;; amdgpu-corpus repo=ROCm/rocSOLVER kind=compiled arch=gfx1201 opt=O3
	.amdgcn_target "amdgcn-amd-amdhsa--gfx1201"
	.amdhsa_code_object_version 6
	.section	.text._ZN9rocsolver6v33100L18getri_kernel_smallILi1E19rocblas_complex_numIdEPS3_EEvT1_iilPiilS6_bb,"axG",@progbits,_ZN9rocsolver6v33100L18getri_kernel_smallILi1E19rocblas_complex_numIdEPS3_EEvT1_iilPiilS6_bb,comdat
	.globl	_ZN9rocsolver6v33100L18getri_kernel_smallILi1E19rocblas_complex_numIdEPS3_EEvT1_iilPiilS6_bb ; -- Begin function _ZN9rocsolver6v33100L18getri_kernel_smallILi1E19rocblas_complex_numIdEPS3_EEvT1_iilPiilS6_bb
	.p2align	8
	.type	_ZN9rocsolver6v33100L18getri_kernel_smallILi1E19rocblas_complex_numIdEPS3_EEvT1_iilPiilS6_bb,@function
_ZN9rocsolver6v33100L18getri_kernel_smallILi1E19rocblas_complex_numIdEPS3_EEvT1_iilPiilS6_bb: ; @_ZN9rocsolver6v33100L18getri_kernel_smallILi1E19rocblas_complex_numIdEPS3_EEvT1_iilPiilS6_bb
; %bb.0:
	s_mov_b32 s11, 0
	s_mov_b32 s2, exec_lo
	v_cmpx_eq_u32_e32 0, v0
	s_cbranch_execz .LBB0_13
; %bb.1:
	s_clause 0x2
	s_load_b96 s[4:6], s[0:1], 0x0
	s_load_b96 s[8:10], s[0:1], 0x30
	s_load_b64 s[0:1], s[0:1], 0x10
	s_mov_b32 s12, ttmp9
	s_wait_kmcnt 0x0
	s_ashr_i32 s3, s6, 31
	s_bitcmp1_b32 s10, 0
	s_mov_b32 s2, s6
	s_cselect_b32 s10, -1, 0
	s_ashr_i32 s13, ttmp9, 31
	s_lshl_b64 s[2:3], s[2:3], 4
	s_mul_u64 s[0:1], s[0:1], s[12:13]
	s_and_b32 vcc_lo, exec_lo, s10
	s_lshl_b64 s[0:1], s[0:1], 4
	s_delay_alu instid0(SALU_CYCLE_1) | instskip(NEXT) | instid1(SALU_CYCLE_1)
	s_add_nc_u64 s[0:1], s[4:5], s[0:1]
	s_add_nc_u64 s[2:3], s[0:1], s[2:3]
	s_mov_b32 s0, -1
	s_load_b128 s[4:7], s[2:3], 0x0
	s_cbranch_vccnz .LBB0_3
; %bb.2:
	s_lshl_b64 s[0:1], s[12:13], 2
	s_delay_alu instid0(SALU_CYCLE_1)
	s_add_nc_u64 s[0:1], s[8:9], s[0:1]
	s_load_b32 s0, s[0:1], 0x0
	s_wait_kmcnt 0x0
	s_cmp_eq_u32 s0, 0
	s_mov_b32 s0, 0
	s_cselect_b32 s11, -1, 0
.LBB0_3:
	s_and_not1_b32 vcc_lo, exec_lo, s0
	s_cbranch_vccnz .LBB0_11
; %bb.4:
	s_wait_kmcnt 0x0
	v_cmp_eq_f64_e64 s0, s[4:5], 0
	v_cmp_eq_f64_e64 s1, s[6:7], 0
	v_mov_b32_e32 v0, 0
	ds_store_b32 v0, v0
	s_wait_dscnt 0x0
	s_barrier_signal -1
	s_barrier_wait -1
	global_inv scope:SCOPE_SE
	s_and_b32 s0, s0, s1
	s_delay_alu instid0(SALU_CYCLE_1)
	s_and_not1_b32 vcc_lo, exec_lo, s0
	s_cbranch_vccnz .LBB0_9
; %bb.5:
	ds_load_b32 v1, v0
	s_mov_b32 s1, 0
	s_wait_dscnt 0x0
	v_cmp_ne_u32_e32 vcc_lo, 0, v1
	v_cmp_gt_i32_e64 s0, 2, v1
	s_and_b32 s0, vcc_lo, s0
	s_delay_alu instid0(SALU_CYCLE_1)
	s_and_b32 vcc_lo, exec_lo, s0
	s_cbranch_vccnz .LBB0_9
; %bb.6:
	v_dual_mov_b32 v2, 1 :: v_dual_mov_b32 v3, 0
.LBB0_7:                                ; =>This Inner Loop Header: Depth=1
	ds_cmpstore_rtn_b32 v1, v3, v2, v1
	s_wait_dscnt 0x0
	v_cmp_ne_u32_e32 vcc_lo, 0, v1
	v_cmp_gt_i32_e64 s0, 2, v1
	s_and_b32 s0, vcc_lo, s0
	s_delay_alu instid0(SALU_CYCLE_1) | instskip(NEXT) | instid1(SALU_CYCLE_1)
	s_and_b32 s0, exec_lo, s0
	s_or_b32 s1, s0, s1
	s_delay_alu instid0(SALU_CYCLE_1)
	s_and_not1_b32 exec_lo, exec_lo, s1
	s_cbranch_execnz .LBB0_7
; %bb.8:
	s_or_b32 exec_lo, exec_lo, s1
.LBB0_9:
	s_wait_loadcnt 0x0
	s_barrier_signal -1
	s_barrier_wait -1
	global_inv scope:SCOPE_SE
	ds_load_b32 v1, v0
	s_lshl_b64 s[0:1], s[12:13], 2
	s_delay_alu instid0(SALU_CYCLE_1)
	s_add_nc_u64 s[0:1], s[8:9], s[0:1]
	s_wait_dscnt 0x0
	v_cmp_ne_u32_e32 vcc_lo, 0, v1
	global_store_b32 v0, v1, s[0:1]
	s_cbranch_vccz .LBB0_14
; %bb.10:
                                        ; implicit-def: $vgpr0_vgpr1
	s_and_b32 vcc_lo, exec_lo, s11
	s_cbranch_vccnz .LBB0_12
	s_branch .LBB0_13
.LBB0_11:
	s_wait_kmcnt 0x0
	v_dual_mov_b32 v2, s6 :: v_dual_mov_b32 v3, s7
	v_dual_mov_b32 v0, s4 :: v_dual_mov_b32 v1, s5
	s_and_b32 vcc_lo, exec_lo, s11
	s_cbranch_vccz .LBB0_13
.LBB0_12:
	v_mov_b32_e32 v4, 0
	global_store_b128 v4, v[0:3], s[2:3]
.LBB0_13:
	s_endpgm
.LBB0_14:
	v_cmp_ngt_f64_e64 s0, |s[4:5]|, |s[6:7]|
	s_and_b32 vcc_lo, exec_lo, s0
	s_cbranch_vccz .LBB0_16
; %bb.15:
	v_div_scale_f64 v[0:1], null, s[6:7], s[6:7], s[4:5]
	v_div_scale_f64 v[6:7], vcc_lo, s[4:5], s[6:7], s[4:5]
	s_delay_alu instid0(VALU_DEP_2) | instskip(NEXT) | instid1(TRANS32_DEP_1)
	v_rcp_f64_e32 v[2:3], v[0:1]
	v_fma_f64 v[4:5], -v[0:1], v[2:3], 1.0
	s_delay_alu instid0(VALU_DEP_1) | instskip(NEXT) | instid1(VALU_DEP_1)
	v_fma_f64 v[2:3], v[2:3], v[4:5], v[2:3]
	v_fma_f64 v[4:5], -v[0:1], v[2:3], 1.0
	s_delay_alu instid0(VALU_DEP_1) | instskip(NEXT) | instid1(VALU_DEP_1)
	v_fma_f64 v[2:3], v[2:3], v[4:5], v[2:3]
	v_mul_f64_e32 v[4:5], v[6:7], v[2:3]
	s_delay_alu instid0(VALU_DEP_1) | instskip(NEXT) | instid1(VALU_DEP_1)
	v_fma_f64 v[0:1], -v[0:1], v[4:5], v[6:7]
	v_div_fmas_f64 v[0:1], v[0:1], v[2:3], v[4:5]
	s_delay_alu instid0(VALU_DEP_1) | instskip(NEXT) | instid1(VALU_DEP_1)
	v_div_fixup_f64 v[0:1], v[0:1], s[6:7], s[4:5]
	v_fma_f64 v[2:3], s[4:5], v[0:1], s[6:7]
	s_delay_alu instid0(VALU_DEP_1) | instskip(NEXT) | instid1(VALU_DEP_1)
	v_div_scale_f64 v[4:5], null, v[2:3], v[2:3], 1.0
	v_rcp_f64_e32 v[6:7], v[4:5]
	s_delay_alu instid0(TRANS32_DEP_1) | instskip(NEXT) | instid1(VALU_DEP_1)
	v_fma_f64 v[8:9], -v[4:5], v[6:7], 1.0
	v_fma_f64 v[6:7], v[6:7], v[8:9], v[6:7]
	s_delay_alu instid0(VALU_DEP_1) | instskip(NEXT) | instid1(VALU_DEP_1)
	v_fma_f64 v[8:9], -v[4:5], v[6:7], 1.0
	v_fma_f64 v[6:7], v[6:7], v[8:9], v[6:7]
	v_div_scale_f64 v[8:9], vcc_lo, 1.0, v[2:3], 1.0
	s_delay_alu instid0(VALU_DEP_1) | instskip(NEXT) | instid1(VALU_DEP_1)
	v_mul_f64_e32 v[10:11], v[8:9], v[6:7]
	v_fma_f64 v[4:5], -v[4:5], v[10:11], v[8:9]
	s_wait_alu 0xfffd
	s_delay_alu instid0(VALU_DEP_1) | instskip(NEXT) | instid1(VALU_DEP_1)
	v_div_fmas_f64 v[4:5], v[4:5], v[6:7], v[10:11]
	v_div_fixup_f64 v[2:3], v[4:5], v[2:3], 1.0
	s_delay_alu instid0(VALU_DEP_1)
	v_mul_f64_e32 v[0:1], v[0:1], v[2:3]
	v_xor_b32_e32 v3, 0x80000000, v3
	s_cbranch_execz .LBB0_17
	s_branch .LBB0_18
.LBB0_16:
                                        ; implicit-def: $vgpr0_vgpr1
.LBB0_17:
	v_div_scale_f64 v[0:1], null, s[4:5], s[4:5], s[6:7]
	v_div_scale_f64 v[6:7], vcc_lo, s[6:7], s[4:5], s[6:7]
	s_delay_alu instid0(VALU_DEP_2) | instskip(NEXT) | instid1(TRANS32_DEP_1)
	v_rcp_f64_e32 v[2:3], v[0:1]
	v_fma_f64 v[4:5], -v[0:1], v[2:3], 1.0
	s_delay_alu instid0(VALU_DEP_1) | instskip(NEXT) | instid1(VALU_DEP_1)
	v_fma_f64 v[2:3], v[2:3], v[4:5], v[2:3]
	v_fma_f64 v[4:5], -v[0:1], v[2:3], 1.0
	s_delay_alu instid0(VALU_DEP_1) | instskip(NEXT) | instid1(VALU_DEP_1)
	v_fma_f64 v[2:3], v[2:3], v[4:5], v[2:3]
	v_mul_f64_e32 v[4:5], v[6:7], v[2:3]
	s_delay_alu instid0(VALU_DEP_1) | instskip(SKIP_1) | instid1(VALU_DEP_1)
	v_fma_f64 v[0:1], -v[0:1], v[4:5], v[6:7]
	s_wait_alu 0xfffd
	v_div_fmas_f64 v[0:1], v[0:1], v[2:3], v[4:5]
	s_delay_alu instid0(VALU_DEP_1) | instskip(NEXT) | instid1(VALU_DEP_1)
	v_div_fixup_f64 v[2:3], v[0:1], s[4:5], s[6:7]
	v_fma_f64 v[0:1], s[6:7], v[2:3], s[4:5]
	s_delay_alu instid0(VALU_DEP_1) | instskip(NEXT) | instid1(VALU_DEP_1)
	v_div_scale_f64 v[4:5], null, v[0:1], v[0:1], 1.0
	v_rcp_f64_e32 v[6:7], v[4:5]
	s_delay_alu instid0(TRANS32_DEP_1) | instskip(NEXT) | instid1(VALU_DEP_1)
	v_fma_f64 v[8:9], -v[4:5], v[6:7], 1.0
	v_fma_f64 v[6:7], v[6:7], v[8:9], v[6:7]
	s_delay_alu instid0(VALU_DEP_1) | instskip(NEXT) | instid1(VALU_DEP_1)
	v_fma_f64 v[8:9], -v[4:5], v[6:7], 1.0
	v_fma_f64 v[6:7], v[6:7], v[8:9], v[6:7]
	v_div_scale_f64 v[8:9], vcc_lo, 1.0, v[0:1], 1.0
	s_delay_alu instid0(VALU_DEP_1) | instskip(NEXT) | instid1(VALU_DEP_1)
	v_mul_f64_e32 v[10:11], v[8:9], v[6:7]
	v_fma_f64 v[4:5], -v[4:5], v[10:11], v[8:9]
	s_wait_alu 0xfffd
	s_delay_alu instid0(VALU_DEP_1) | instskip(NEXT) | instid1(VALU_DEP_1)
	v_div_fmas_f64 v[4:5], v[4:5], v[6:7], v[10:11]
	v_div_fixup_f64 v[0:1], v[4:5], v[0:1], 1.0
	s_delay_alu instid0(VALU_DEP_1)
	v_mul_f64_e64 v[2:3], v[2:3], -v[0:1]
.LBB0_18:
	s_cbranch_execnz .LBB0_12
	s_branch .LBB0_13
	.section	.rodata,"a",@progbits
	.p2align	6, 0x0
	.amdhsa_kernel _ZN9rocsolver6v33100L18getri_kernel_smallILi1E19rocblas_complex_numIdEPS3_EEvT1_iilPiilS6_bb
		.amdhsa_group_segment_fixed_size 4
		.amdhsa_private_segment_fixed_size 0
		.amdhsa_kernarg_size 60
		.amdhsa_user_sgpr_count 2
		.amdhsa_user_sgpr_dispatch_ptr 0
		.amdhsa_user_sgpr_queue_ptr 0
		.amdhsa_user_sgpr_kernarg_segment_ptr 1
		.amdhsa_user_sgpr_dispatch_id 0
		.amdhsa_user_sgpr_private_segment_size 0
		.amdhsa_wavefront_size32 1
		.amdhsa_uses_dynamic_stack 0
		.amdhsa_enable_private_segment 0
		.amdhsa_system_sgpr_workgroup_id_x 1
		.amdhsa_system_sgpr_workgroup_id_y 0
		.amdhsa_system_sgpr_workgroup_id_z 0
		.amdhsa_system_sgpr_workgroup_info 0
		.amdhsa_system_vgpr_workitem_id 0
		.amdhsa_next_free_vgpr 12
		.amdhsa_next_free_sgpr 14
		.amdhsa_reserve_vcc 1
		.amdhsa_float_round_mode_32 0
		.amdhsa_float_round_mode_16_64 0
		.amdhsa_float_denorm_mode_32 3
		.amdhsa_float_denorm_mode_16_64 3
		.amdhsa_fp16_overflow 0
		.amdhsa_workgroup_processor_mode 1
		.amdhsa_memory_ordered 1
		.amdhsa_forward_progress 1
		.amdhsa_inst_pref_size 8
		.amdhsa_round_robin_scheduling 0
		.amdhsa_exception_fp_ieee_invalid_op 0
		.amdhsa_exception_fp_denorm_src 0
		.amdhsa_exception_fp_ieee_div_zero 0
		.amdhsa_exception_fp_ieee_overflow 0
		.amdhsa_exception_fp_ieee_underflow 0
		.amdhsa_exception_fp_ieee_inexact 0
		.amdhsa_exception_int_div_zero 0
	.end_amdhsa_kernel
	.section	.text._ZN9rocsolver6v33100L18getri_kernel_smallILi1E19rocblas_complex_numIdEPS3_EEvT1_iilPiilS6_bb,"axG",@progbits,_ZN9rocsolver6v33100L18getri_kernel_smallILi1E19rocblas_complex_numIdEPS3_EEvT1_iilPiilS6_bb,comdat
.Lfunc_end0:
	.size	_ZN9rocsolver6v33100L18getri_kernel_smallILi1E19rocblas_complex_numIdEPS3_EEvT1_iilPiilS6_bb, .Lfunc_end0-_ZN9rocsolver6v33100L18getri_kernel_smallILi1E19rocblas_complex_numIdEPS3_EEvT1_iilPiilS6_bb
                                        ; -- End function
	.set _ZN9rocsolver6v33100L18getri_kernel_smallILi1E19rocblas_complex_numIdEPS3_EEvT1_iilPiilS6_bb.num_vgpr, 12
	.set _ZN9rocsolver6v33100L18getri_kernel_smallILi1E19rocblas_complex_numIdEPS3_EEvT1_iilPiilS6_bb.num_agpr, 0
	.set _ZN9rocsolver6v33100L18getri_kernel_smallILi1E19rocblas_complex_numIdEPS3_EEvT1_iilPiilS6_bb.numbered_sgpr, 14
	.set _ZN9rocsolver6v33100L18getri_kernel_smallILi1E19rocblas_complex_numIdEPS3_EEvT1_iilPiilS6_bb.num_named_barrier, 0
	.set _ZN9rocsolver6v33100L18getri_kernel_smallILi1E19rocblas_complex_numIdEPS3_EEvT1_iilPiilS6_bb.private_seg_size, 0
	.set _ZN9rocsolver6v33100L18getri_kernel_smallILi1E19rocblas_complex_numIdEPS3_EEvT1_iilPiilS6_bb.uses_vcc, 1
	.set _ZN9rocsolver6v33100L18getri_kernel_smallILi1E19rocblas_complex_numIdEPS3_EEvT1_iilPiilS6_bb.uses_flat_scratch, 0
	.set _ZN9rocsolver6v33100L18getri_kernel_smallILi1E19rocblas_complex_numIdEPS3_EEvT1_iilPiilS6_bb.has_dyn_sized_stack, 0
	.set _ZN9rocsolver6v33100L18getri_kernel_smallILi1E19rocblas_complex_numIdEPS3_EEvT1_iilPiilS6_bb.has_recursion, 0
	.set _ZN9rocsolver6v33100L18getri_kernel_smallILi1E19rocblas_complex_numIdEPS3_EEvT1_iilPiilS6_bb.has_indirect_call, 0
	.section	.AMDGPU.csdata,"",@progbits
; Kernel info:
; codeLenInByte = 956
; TotalNumSgprs: 16
; NumVgprs: 12
; ScratchSize: 0
; MemoryBound: 0
; FloatMode: 240
; IeeeMode: 1
; LDSByteSize: 4 bytes/workgroup (compile time only)
; SGPRBlocks: 0
; VGPRBlocks: 1
; NumSGPRsForWavesPerEU: 16
; NumVGPRsForWavesPerEU: 12
; Occupancy: 16
; WaveLimiterHint : 0
; COMPUTE_PGM_RSRC2:SCRATCH_EN: 0
; COMPUTE_PGM_RSRC2:USER_SGPR: 2
; COMPUTE_PGM_RSRC2:TRAP_HANDLER: 0
; COMPUTE_PGM_RSRC2:TGID_X_EN: 1
; COMPUTE_PGM_RSRC2:TGID_Y_EN: 0
; COMPUTE_PGM_RSRC2:TGID_Z_EN: 0
; COMPUTE_PGM_RSRC2:TIDIG_COMP_CNT: 0
	.section	.text._ZN9rocsolver6v33100L18getri_kernel_smallILi2E19rocblas_complex_numIdEPS3_EEvT1_iilPiilS6_bb,"axG",@progbits,_ZN9rocsolver6v33100L18getri_kernel_smallILi2E19rocblas_complex_numIdEPS3_EEvT1_iilPiilS6_bb,comdat
	.globl	_ZN9rocsolver6v33100L18getri_kernel_smallILi2E19rocblas_complex_numIdEPS3_EEvT1_iilPiilS6_bb ; -- Begin function _ZN9rocsolver6v33100L18getri_kernel_smallILi2E19rocblas_complex_numIdEPS3_EEvT1_iilPiilS6_bb
	.p2align	8
	.type	_ZN9rocsolver6v33100L18getri_kernel_smallILi2E19rocblas_complex_numIdEPS3_EEvT1_iilPiilS6_bb,@function
_ZN9rocsolver6v33100L18getri_kernel_smallILi2E19rocblas_complex_numIdEPS3_EEvT1_iilPiilS6_bb: ; @_ZN9rocsolver6v33100L18getri_kernel_smallILi2E19rocblas_complex_numIdEPS3_EEvT1_iilPiilS6_bb
; %bb.0:
	v_and_b32_e32 v17, 0x3ff, v0
	s_mov_b32 s4, exec_lo
	s_delay_alu instid0(VALU_DEP_1)
	v_cmpx_gt_u32_e32 2, v17
	s_cbranch_execz .LBB1_22
; %bb.1:
	s_clause 0x2
	s_load_b32 s12, s[2:3], 0x38
	s_load_b128 s[8:11], s[2:3], 0x10
	s_load_b128 s[4:7], s[2:3], 0x28
	s_mov_b32 s14, ttmp9
	s_wait_kmcnt 0x0
	s_bitcmp1_b32 s12, 8
	s_cselect_b32 s16, -1, 0
	s_bfe_u32 s12, s12, 0x10008
	s_ashr_i32 s15, ttmp9, 31
	s_cmp_eq_u32 s12, 0
                                        ; implicit-def: $sgpr12_sgpr13
	s_cbranch_scc1 .LBB1_3
; %bb.2:
	s_load_b32 s12, s[2:3], 0x20
	s_mul_u64 s[4:5], s[4:5], s[14:15]
	s_delay_alu instid0(SALU_CYCLE_1) | instskip(NEXT) | instid1(SALU_CYCLE_1)
	s_lshl_b64 s[4:5], s[4:5], 2
	s_add_nc_u64 s[4:5], s[10:11], s[4:5]
	s_wait_kmcnt 0x0
	s_ashr_i32 s13, s12, 31
	s_delay_alu instid0(SALU_CYCLE_1) | instskip(NEXT) | instid1(SALU_CYCLE_1)
	s_lshl_b64 s[10:11], s[12:13], 2
	s_add_nc_u64 s[12:13], s[4:5], s[10:11]
.LBB1_3:
	s_clause 0x1
	s_load_b128 s[20:23], s[2:3], 0x0
	s_load_b32 s10, s[2:3], 0x38
	s_mul_u64 s[2:3], s[8:9], s[14:15]
	v_lshlrev_b32_e32 v18, 4, v17
	s_lshl_b64 s[2:3], s[2:3], 4
	s_wait_kmcnt 0x0
	s_ashr_i32 s5, s22, 31
	s_mov_b32 s4, s22
	s_add_nc_u64 s[2:3], s[20:21], s[2:3]
	s_lshl_b64 s[4:5], s[4:5], 4
	s_ashr_i32 s9, s23, 31
	s_add_nc_u64 s[2:3], s[2:3], s[4:5]
	s_mov_b32 s8, s23
	v_add_co_u32 v13, s4, s2, v18
	s_delay_alu instid0(VALU_DEP_1) | instskip(SKIP_4) | instid1(VALU_DEP_1)
	v_add_co_ci_u32_e64 v14, null, s3, 0, s4
	s_lshl_b64 s[4:5], s[8:9], 4
	s_bitcmp0_b32 s10, 0
	s_wait_alu 0xfffe
	v_add_co_u32 v15, vcc_lo, v13, s4
	v_add_co_ci_u32_e64 v16, null, s5, v14, vcc_lo
	s_clause 0x1
	global_load_b128 v[1:4], v18, s[2:3]
	global_load_b128 v[5:8], v[15:16], off
	s_mov_b32 s4, 16
	s_mov_b32 s3, -1
	s_wait_loadcnt 0x1
	scratch_store_b128 off, v[1:4], off
	s_wait_loadcnt 0x0
	scratch_store_b128 off, v[5:8], off offset:16
	s_cbranch_scc1 .LBB1_20
; %bb.4:
	v_cmp_eq_u32_e64 s2, 0, v17
	s_and_saveexec_b32 s3, s2
; %bb.5:
	v_mov_b32_e32 v1, 0
	ds_store_b32 v1, v1 offset:64
; %bb.6:
	s_wait_alu 0xfffe
	s_or_b32 exec_lo, exec_lo, s3
	s_wait_storecnt_dscnt 0x0
	s_barrier_signal -1
	s_barrier_wait -1
	global_inv scope:SCOPE_SE
	scratch_load_b128 v[1:4], v18, off
	s_wait_loadcnt 0x0
	v_cmp_eq_f64_e32 vcc_lo, 0, v[1:2]
	v_cmp_eq_f64_e64 s3, 0, v[3:4]
	s_and_b32 s3, vcc_lo, s3
	s_wait_alu 0xfffe
	s_and_saveexec_b32 s5, s3
	s_cbranch_execz .LBB1_10
; %bb.7:
	v_mov_b32_e32 v1, 0
	s_mov_b32 s8, 0
	ds_load_b32 v2, v1 offset:64
	s_wait_dscnt 0x0
	v_readfirstlane_b32 s3, v2
	v_add_nc_u32_e32 v2, 1, v17
	s_cmp_eq_u32 s3, 0
	s_delay_alu instid0(VALU_DEP_1) | instskip(SKIP_1) | instid1(SALU_CYCLE_1)
	v_cmp_gt_i32_e32 vcc_lo, s3, v2
	s_cselect_b32 s9, -1, 0
	s_or_b32 s9, s9, vcc_lo
	s_delay_alu instid0(SALU_CYCLE_1)
	s_and_b32 exec_lo, exec_lo, s9
	s_cbranch_execz .LBB1_10
; %bb.8:
	v_mov_b32_e32 v3, s3
.LBB1_9:                                ; =>This Inner Loop Header: Depth=1
	ds_cmpstore_rtn_b32 v3, v1, v2, v3 offset:64
	s_wait_dscnt 0x0
	v_cmp_ne_u32_e32 vcc_lo, 0, v3
	v_cmp_le_i32_e64 s3, v3, v2
	s_and_b32 s3, vcc_lo, s3
	s_wait_alu 0xfffe
	s_and_b32 s3, exec_lo, s3
	s_wait_alu 0xfffe
	s_or_b32 s8, s3, s8
	s_delay_alu instid0(SALU_CYCLE_1)
	s_and_not1_b32 exec_lo, exec_lo, s8
	s_cbranch_execnz .LBB1_9
.LBB1_10:
	s_wait_alu 0xfffe
	s_or_b32 exec_lo, exec_lo, s5
	v_mov_b32_e32 v1, 0
	s_barrier_signal -1
	s_barrier_wait -1
	global_inv scope:SCOPE_SE
	ds_load_b32 v2, v1 offset:64
	s_and_saveexec_b32 s3, s2
	s_cbranch_execz .LBB1_12
; %bb.11:
	s_lshl_b64 s[8:9], s[14:15], 2
	s_delay_alu instid0(SALU_CYCLE_1)
	s_add_nc_u64 s[8:9], s[6:7], s[8:9]
	s_wait_dscnt 0x0
	global_store_b32 v1, v2, s[8:9]
.LBB1_12:
	s_wait_alu 0xfffe
	s_or_b32 exec_lo, exec_lo, s3
	s_wait_dscnt 0x0
	v_cmp_ne_u32_e32 vcc_lo, 0, v2
	s_mov_b32 s3, 0
	s_cbranch_vccnz .LBB1_20
; %bb.13:
	v_mov_b32_e32 v11, v18
                                        ; implicit-def: $vgpr1_vgpr2
                                        ; implicit-def: $vgpr9_vgpr10
	scratch_load_b128 v[5:8], v11, off
	s_wait_loadcnt 0x0
	v_cmp_ngt_f64_e64 s3, |v[5:6]|, |v[7:8]|
	s_wait_alu 0xfffe
	s_and_saveexec_b32 s5, s3
	s_wait_alu 0xfffe
	s_xor_b32 s3, exec_lo, s5
	s_cbranch_execz .LBB1_15
; %bb.14:
	v_div_scale_f64 v[1:2], null, v[7:8], v[7:8], v[5:6]
	v_div_scale_f64 v[19:20], vcc_lo, v[5:6], v[7:8], v[5:6]
	s_delay_alu instid0(VALU_DEP_2) | instskip(NEXT) | instid1(TRANS32_DEP_1)
	v_rcp_f64_e32 v[3:4], v[1:2]
	v_fma_f64 v[9:10], -v[1:2], v[3:4], 1.0
	s_delay_alu instid0(VALU_DEP_1) | instskip(NEXT) | instid1(VALU_DEP_1)
	v_fma_f64 v[3:4], v[3:4], v[9:10], v[3:4]
	v_fma_f64 v[9:10], -v[1:2], v[3:4], 1.0
	s_delay_alu instid0(VALU_DEP_1) | instskip(NEXT) | instid1(VALU_DEP_1)
	v_fma_f64 v[3:4], v[3:4], v[9:10], v[3:4]
	v_mul_f64_e32 v[9:10], v[19:20], v[3:4]
	s_delay_alu instid0(VALU_DEP_1) | instskip(SKIP_1) | instid1(VALU_DEP_1)
	v_fma_f64 v[1:2], -v[1:2], v[9:10], v[19:20]
	s_wait_alu 0xfffd
	v_div_fmas_f64 v[1:2], v[1:2], v[3:4], v[9:10]
	s_delay_alu instid0(VALU_DEP_1) | instskip(NEXT) | instid1(VALU_DEP_1)
	v_div_fixup_f64 v[1:2], v[1:2], v[7:8], v[5:6]
	v_fma_f64 v[3:4], v[5:6], v[1:2], v[7:8]
	s_delay_alu instid0(VALU_DEP_1) | instskip(SKIP_1) | instid1(VALU_DEP_2)
	v_div_scale_f64 v[5:6], null, v[3:4], v[3:4], 1.0
	v_div_scale_f64 v[19:20], vcc_lo, 1.0, v[3:4], 1.0
	v_rcp_f64_e32 v[7:8], v[5:6]
	s_delay_alu instid0(TRANS32_DEP_1) | instskip(NEXT) | instid1(VALU_DEP_1)
	v_fma_f64 v[9:10], -v[5:6], v[7:8], 1.0
	v_fma_f64 v[7:8], v[7:8], v[9:10], v[7:8]
	s_delay_alu instid0(VALU_DEP_1) | instskip(NEXT) | instid1(VALU_DEP_1)
	v_fma_f64 v[9:10], -v[5:6], v[7:8], 1.0
	v_fma_f64 v[7:8], v[7:8], v[9:10], v[7:8]
	s_delay_alu instid0(VALU_DEP_1) | instskip(NEXT) | instid1(VALU_DEP_1)
	v_mul_f64_e32 v[9:10], v[19:20], v[7:8]
	v_fma_f64 v[5:6], -v[5:6], v[9:10], v[19:20]
	s_wait_alu 0xfffd
	s_delay_alu instid0(VALU_DEP_1) | instskip(NEXT) | instid1(VALU_DEP_1)
	v_div_fmas_f64 v[5:6], v[5:6], v[7:8], v[9:10]
	v_div_fixup_f64 v[3:4], v[5:6], v[3:4], 1.0
                                        ; implicit-def: $vgpr5_vgpr6
	s_delay_alu instid0(VALU_DEP_1) | instskip(SKIP_1) | instid1(VALU_DEP_2)
	v_mul_f64_e32 v[1:2], v[1:2], v[3:4]
	v_xor_b32_e32 v4, 0x80000000, v4
	v_xor_b32_e32 v10, 0x80000000, v2
	s_delay_alu instid0(VALU_DEP_3)
	v_mov_b32_e32 v9, v1
.LBB1_15:
	s_wait_alu 0xfffe
	s_and_not1_saveexec_b32 s3, s3
	s_cbranch_execz .LBB1_17
; %bb.16:
	v_div_scale_f64 v[1:2], null, v[5:6], v[5:6], v[7:8]
	v_div_scale_f64 v[19:20], vcc_lo, v[7:8], v[5:6], v[7:8]
	s_delay_alu instid0(VALU_DEP_2) | instskip(NEXT) | instid1(TRANS32_DEP_1)
	v_rcp_f64_e32 v[3:4], v[1:2]
	v_fma_f64 v[9:10], -v[1:2], v[3:4], 1.0
	s_delay_alu instid0(VALU_DEP_1) | instskip(NEXT) | instid1(VALU_DEP_1)
	v_fma_f64 v[3:4], v[3:4], v[9:10], v[3:4]
	v_fma_f64 v[9:10], -v[1:2], v[3:4], 1.0
	s_delay_alu instid0(VALU_DEP_1) | instskip(NEXT) | instid1(VALU_DEP_1)
	v_fma_f64 v[3:4], v[3:4], v[9:10], v[3:4]
	v_mul_f64_e32 v[9:10], v[19:20], v[3:4]
	s_delay_alu instid0(VALU_DEP_1) | instskip(SKIP_1) | instid1(VALU_DEP_1)
	v_fma_f64 v[1:2], -v[1:2], v[9:10], v[19:20]
	s_wait_alu 0xfffd
	v_div_fmas_f64 v[1:2], v[1:2], v[3:4], v[9:10]
	s_delay_alu instid0(VALU_DEP_1) | instskip(NEXT) | instid1(VALU_DEP_1)
	v_div_fixup_f64 v[3:4], v[1:2], v[5:6], v[7:8]
	v_fma_f64 v[1:2], v[7:8], v[3:4], v[5:6]
	s_delay_alu instid0(VALU_DEP_1) | instskip(NEXT) | instid1(VALU_DEP_1)
	v_div_scale_f64 v[5:6], null, v[1:2], v[1:2], 1.0
	v_rcp_f64_e32 v[7:8], v[5:6]
	s_delay_alu instid0(TRANS32_DEP_1) | instskip(NEXT) | instid1(VALU_DEP_1)
	v_fma_f64 v[9:10], -v[5:6], v[7:8], 1.0
	v_fma_f64 v[7:8], v[7:8], v[9:10], v[7:8]
	s_delay_alu instid0(VALU_DEP_1) | instskip(NEXT) | instid1(VALU_DEP_1)
	v_fma_f64 v[9:10], -v[5:6], v[7:8], 1.0
	v_fma_f64 v[7:8], v[7:8], v[9:10], v[7:8]
	v_div_scale_f64 v[9:10], vcc_lo, 1.0, v[1:2], 1.0
	s_delay_alu instid0(VALU_DEP_1) | instskip(NEXT) | instid1(VALU_DEP_1)
	v_mul_f64_e32 v[19:20], v[9:10], v[7:8]
	v_fma_f64 v[5:6], -v[5:6], v[19:20], v[9:10]
	s_wait_alu 0xfffd
	s_delay_alu instid0(VALU_DEP_1) | instskip(NEXT) | instid1(VALU_DEP_1)
	v_div_fmas_f64 v[5:6], v[5:6], v[7:8], v[19:20]
	v_div_fixup_f64 v[1:2], v[5:6], v[1:2], 1.0
	s_delay_alu instid0(VALU_DEP_1)
	v_mul_f64_e64 v[3:4], v[3:4], -v[1:2]
	v_xor_b32_e32 v10, 0x80000000, v2
	v_mov_b32_e32 v9, v1
.LBB1_17:
	s_wait_alu 0xfffe
	s_or_b32 exec_lo, exec_lo, s3
	scratch_store_b128 v11, v[1:4], off
	scratch_load_b128 v[5:8], off, s4
	v_xor_b32_e32 v12, 0x80000000, v4
	v_mov_b32_e32 v11, v3
	ds_store_b128 v18, v[9:12]
	s_wait_loadcnt 0x0
	ds_store_b128 v18, v[5:8] offset:32
	s_wait_storecnt_dscnt 0x0
	s_barrier_signal -1
	s_barrier_wait -1
	global_inv scope:SCOPE_SE
	s_and_saveexec_b32 s3, s2
	s_cbranch_execz .LBB1_19
; %bb.18:
	scratch_load_b128 v[1:4], off, off
	v_mov_b32_e32 v11, 0
	ds_load_b128 v[5:8], v11 offset:32
	s_wait_loadcnt_dscnt 0x0
	v_mul_f64_e32 v[9:10], v[5:6], v[3:4]
	v_mul_f64_e32 v[3:4], v[7:8], v[3:4]
	s_delay_alu instid0(VALU_DEP_2) | instskip(NEXT) | instid1(VALU_DEP_2)
	v_fma_f64 v[7:8], v[7:8], v[1:2], v[9:10]
	v_fma_f64 v[1:2], v[5:6], v[1:2], -v[3:4]
	s_delay_alu instid0(VALU_DEP_2) | instskip(NEXT) | instid1(VALU_DEP_2)
	v_add_f64_e32 v[5:6], 0, v[7:8]
	v_add_f64_e32 v[7:8], 0, v[1:2]
	ds_load_b128 v[1:4], v11 offset:16
	s_wait_dscnt 0x0
	v_mul_f64_e32 v[9:10], v[5:6], v[3:4]
	v_mul_f64_e32 v[11:12], v[7:8], v[3:4]
	s_delay_alu instid0(VALU_DEP_2) | instskip(NEXT) | instid1(VALU_DEP_2)
	v_fma_f64 v[3:4], v[7:8], v[1:2], -v[9:10]
	v_fma_f64 v[5:6], v[5:6], v[1:2], v[11:12]
	scratch_store_b128 off, v[3:6], off offset:16
.LBB1_19:
	s_wait_alu 0xfffe
	s_or_b32 exec_lo, exec_lo, s3
	s_mov_b32 s3, -1
	s_wait_loadcnt 0x0
	s_wait_storecnt 0x0
	s_barrier_signal -1
	s_barrier_wait -1
	global_inv scope:SCOPE_SE
.LBB1_20:
	s_wait_alu 0xfffe
	s_and_b32 vcc_lo, exec_lo, s3
	s_wait_alu 0xfffe
	s_cbranch_vccz .LBB1_22
; %bb.21:
	v_mov_b32_e32 v1, 0
	s_lshl_b64 s[2:3], s[14:15], 2
	s_wait_alu 0xfffe
	s_add_nc_u64 s[2:3], s[6:7], s[2:3]
	global_load_b32 v1, v1, s[2:3]
	s_wait_loadcnt 0x0
	v_cmp_ne_u32_e32 vcc_lo, 0, v1
	s_cbranch_vccz .LBB1_23
.LBB1_22:
	s_endpgm
.LBB1_23:
	s_mov_b32 s2, exec_lo
	v_cmpx_eq_u32_e32 1, v17
	s_cbranch_execz .LBB1_25
; %bb.24:
	scratch_load_b128 v[1:4], off, off
	v_mov_b32_e32 v5, 0
	s_delay_alu instid0(VALU_DEP_1)
	v_dual_mov_b32 v6, v5 :: v_dual_mov_b32 v7, v5
	v_mov_b32_e32 v8, v5
	scratch_store_b128 off, v[5:8], off
	s_wait_loadcnt 0x0
	ds_store_b128 v5, v[1:4] offset:48
.LBB1_25:
	s_wait_alu 0xfffe
	s_or_b32 exec_lo, exec_lo, s2
	s_wait_storecnt_dscnt 0x0
	s_barrier_signal -1
	s_barrier_wait -1
	global_inv scope:SCOPE_SE
	s_clause 0x1
	scratch_load_b128 v[2:5], off, off offset:16
	scratch_load_b128 v[6:9], off, off
	v_mov_b32_e32 v1, 0
	s_and_b32 vcc_lo, exec_lo, s16
	ds_load_b128 v[18:21], v1 offset:48
	s_wait_loadcnt_dscnt 0x100
	v_mul_f64_e32 v[10:11], v[20:21], v[4:5]
	v_mul_f64_e32 v[4:5], v[18:19], v[4:5]
	s_delay_alu instid0(VALU_DEP_2) | instskip(NEXT) | instid1(VALU_DEP_2)
	v_fma_f64 v[10:11], v[18:19], v[2:3], -v[10:11]
	v_fma_f64 v[2:3], v[20:21], v[2:3], v[4:5]
	s_delay_alu instid0(VALU_DEP_2) | instskip(NEXT) | instid1(VALU_DEP_2)
	v_add_f64_e32 v[4:5], 0, v[10:11]
	v_add_f64_e32 v[10:11], 0, v[2:3]
	s_wait_loadcnt 0x0
	s_delay_alu instid0(VALU_DEP_2) | instskip(NEXT) | instid1(VALU_DEP_2)
	v_add_f64_e64 v[2:3], v[6:7], -v[4:5]
	v_add_f64_e64 v[4:5], v[8:9], -v[10:11]
	scratch_store_b128 off, v[2:5], off
	s_wait_alu 0xfffe
	s_cbranch_vccz .LBB1_28
; %bb.26:
	global_load_b32 v1, v1, s[12:13]
	s_wait_loadcnt 0x0
	v_cmp_ne_u32_e32 vcc_lo, 1, v1
	s_cbranch_vccz .LBB1_28
; %bb.27:
	v_lshlrev_b32_e32 v1, 4, v1
	s_load_b64 s[0:1], s[0:1], 0x4
	v_bfe_u32 v10, v0, 10, 10
	v_bfe_u32 v0, v0, 20, 10
	s_delay_alu instid0(VALU_DEP_3)
	v_mov_b32_e32 v9, v1
	scratch_load_b128 v[1:4], off, off
	scratch_load_b128 v[5:8], v9, off offset:-16
	s_wait_kmcnt 0x0
	v_mul_u32_u24_e32 v10, s1, v10
	s_lshr_b32 s0, s0, 16
	s_wait_alu 0xfffe
	s_mul_i32 s0, s0, s1
	s_wait_alu 0xfffe
	v_mad_u32_u24 v10, s0, v17, v10
	s_delay_alu instid0(VALU_DEP_1)
	v_add_lshl_u32 v0, v10, v0, 4
	s_wait_loadcnt 0x1
	ds_store_2addr_b64 v0, v[1:2], v[3:4] offset0:9 offset1:10
	s_wait_loadcnt 0x0
	scratch_store_b128 off, v[5:8], off
	scratch_store_b128 v9, v[1:4], off offset:-16
.LBB1_28:
	scratch_load_b128 v[0:3], off, off
	scratch_load_b128 v[4:7], off, s4
	s_wait_loadcnt 0x1
	global_store_b128 v[13:14], v[0:3], off
	s_wait_loadcnt 0x0
	global_store_b128 v[15:16], v[4:7], off
	s_endpgm
	.section	.rodata,"a",@progbits
	.p2align	6, 0x0
	.amdhsa_kernel _ZN9rocsolver6v33100L18getri_kernel_smallILi2E19rocblas_complex_numIdEPS3_EEvT1_iilPiilS6_bb
		.amdhsa_group_segment_fixed_size 1096
		.amdhsa_private_segment_fixed_size 48
		.amdhsa_kernarg_size 60
		.amdhsa_user_sgpr_count 4
		.amdhsa_user_sgpr_dispatch_ptr 1
		.amdhsa_user_sgpr_queue_ptr 0
		.amdhsa_user_sgpr_kernarg_segment_ptr 1
		.amdhsa_user_sgpr_dispatch_id 0
		.amdhsa_user_sgpr_private_segment_size 0
		.amdhsa_wavefront_size32 1
		.amdhsa_uses_dynamic_stack 0
		.amdhsa_enable_private_segment 1
		.amdhsa_system_sgpr_workgroup_id_x 1
		.amdhsa_system_sgpr_workgroup_id_y 0
		.amdhsa_system_sgpr_workgroup_id_z 0
		.amdhsa_system_sgpr_workgroup_info 0
		.amdhsa_system_vgpr_workitem_id 2
		.amdhsa_next_free_vgpr 22
		.amdhsa_next_free_sgpr 24
		.amdhsa_reserve_vcc 1
		.amdhsa_float_round_mode_32 0
		.amdhsa_float_round_mode_16_64 0
		.amdhsa_float_denorm_mode_32 3
		.amdhsa_float_denorm_mode_16_64 3
		.amdhsa_fp16_overflow 0
		.amdhsa_workgroup_processor_mode 1
		.amdhsa_memory_ordered 1
		.amdhsa_forward_progress 1
		.amdhsa_inst_pref_size 16
		.amdhsa_round_robin_scheduling 0
		.amdhsa_exception_fp_ieee_invalid_op 0
		.amdhsa_exception_fp_denorm_src 0
		.amdhsa_exception_fp_ieee_div_zero 0
		.amdhsa_exception_fp_ieee_overflow 0
		.amdhsa_exception_fp_ieee_underflow 0
		.amdhsa_exception_fp_ieee_inexact 0
		.amdhsa_exception_int_div_zero 0
	.end_amdhsa_kernel
	.section	.text._ZN9rocsolver6v33100L18getri_kernel_smallILi2E19rocblas_complex_numIdEPS3_EEvT1_iilPiilS6_bb,"axG",@progbits,_ZN9rocsolver6v33100L18getri_kernel_smallILi2E19rocblas_complex_numIdEPS3_EEvT1_iilPiilS6_bb,comdat
.Lfunc_end1:
	.size	_ZN9rocsolver6v33100L18getri_kernel_smallILi2E19rocblas_complex_numIdEPS3_EEvT1_iilPiilS6_bb, .Lfunc_end1-_ZN9rocsolver6v33100L18getri_kernel_smallILi2E19rocblas_complex_numIdEPS3_EEvT1_iilPiilS6_bb
                                        ; -- End function
	.set _ZN9rocsolver6v33100L18getri_kernel_smallILi2E19rocblas_complex_numIdEPS3_EEvT1_iilPiilS6_bb.num_vgpr, 22
	.set _ZN9rocsolver6v33100L18getri_kernel_smallILi2E19rocblas_complex_numIdEPS3_EEvT1_iilPiilS6_bb.num_agpr, 0
	.set _ZN9rocsolver6v33100L18getri_kernel_smallILi2E19rocblas_complex_numIdEPS3_EEvT1_iilPiilS6_bb.numbered_sgpr, 24
	.set _ZN9rocsolver6v33100L18getri_kernel_smallILi2E19rocblas_complex_numIdEPS3_EEvT1_iilPiilS6_bb.num_named_barrier, 0
	.set _ZN9rocsolver6v33100L18getri_kernel_smallILi2E19rocblas_complex_numIdEPS3_EEvT1_iilPiilS6_bb.private_seg_size, 48
	.set _ZN9rocsolver6v33100L18getri_kernel_smallILi2E19rocblas_complex_numIdEPS3_EEvT1_iilPiilS6_bb.uses_vcc, 1
	.set _ZN9rocsolver6v33100L18getri_kernel_smallILi2E19rocblas_complex_numIdEPS3_EEvT1_iilPiilS6_bb.uses_flat_scratch, 1
	.set _ZN9rocsolver6v33100L18getri_kernel_smallILi2E19rocblas_complex_numIdEPS3_EEvT1_iilPiilS6_bb.has_dyn_sized_stack, 0
	.set _ZN9rocsolver6v33100L18getri_kernel_smallILi2E19rocblas_complex_numIdEPS3_EEvT1_iilPiilS6_bb.has_recursion, 0
	.set _ZN9rocsolver6v33100L18getri_kernel_smallILi2E19rocblas_complex_numIdEPS3_EEvT1_iilPiilS6_bb.has_indirect_call, 0
	.section	.AMDGPU.csdata,"",@progbits
; Kernel info:
; codeLenInByte = 1960
; TotalNumSgprs: 26
; NumVgprs: 22
; ScratchSize: 48
; MemoryBound: 0
; FloatMode: 240
; IeeeMode: 1
; LDSByteSize: 1096 bytes/workgroup (compile time only)
; SGPRBlocks: 0
; VGPRBlocks: 2
; NumSGPRsForWavesPerEU: 26
; NumVGPRsForWavesPerEU: 22
; Occupancy: 16
; WaveLimiterHint : 0
; COMPUTE_PGM_RSRC2:SCRATCH_EN: 1
; COMPUTE_PGM_RSRC2:USER_SGPR: 4
; COMPUTE_PGM_RSRC2:TRAP_HANDLER: 0
; COMPUTE_PGM_RSRC2:TGID_X_EN: 1
; COMPUTE_PGM_RSRC2:TGID_Y_EN: 0
; COMPUTE_PGM_RSRC2:TGID_Z_EN: 0
; COMPUTE_PGM_RSRC2:TIDIG_COMP_CNT: 2
	.section	.text._ZN9rocsolver6v33100L18getri_kernel_smallILi3E19rocblas_complex_numIdEPS3_EEvT1_iilPiilS6_bb,"axG",@progbits,_ZN9rocsolver6v33100L18getri_kernel_smallILi3E19rocblas_complex_numIdEPS3_EEvT1_iilPiilS6_bb,comdat
	.globl	_ZN9rocsolver6v33100L18getri_kernel_smallILi3E19rocblas_complex_numIdEPS3_EEvT1_iilPiilS6_bb ; -- Begin function _ZN9rocsolver6v33100L18getri_kernel_smallILi3E19rocblas_complex_numIdEPS3_EEvT1_iilPiilS6_bb
	.p2align	8
	.type	_ZN9rocsolver6v33100L18getri_kernel_smallILi3E19rocblas_complex_numIdEPS3_EEvT1_iilPiilS6_bb,@function
_ZN9rocsolver6v33100L18getri_kernel_smallILi3E19rocblas_complex_numIdEPS3_EEvT1_iilPiilS6_bb: ; @_ZN9rocsolver6v33100L18getri_kernel_smallILi3E19rocblas_complex_numIdEPS3_EEvT1_iilPiilS6_bb
; %bb.0:
	s_mov_b32 s2, exec_lo
	v_cmpx_gt_u32_e32 3, v0
	s_cbranch_execz .LBB2_26
; %bb.1:
	s_clause 0x2
	s_load_b32 s2, s[0:1], 0x38
	s_load_b128 s[8:11], s[0:1], 0x10
	s_load_b128 s[4:7], s[0:1], 0x28
	s_mov_b32 s12, ttmp9
	s_wait_kmcnt 0x0
	s_bitcmp1_b32 s2, 8
	s_cselect_b32 s14, -1, 0
	s_bfe_u32 s2, s2, 0x10008
	s_ashr_i32 s13, ttmp9, 31
	s_cmp_eq_u32 s2, 0
                                        ; implicit-def: $sgpr2_sgpr3
	s_cbranch_scc1 .LBB2_3
; %bb.2:
	s_load_b32 s2, s[0:1], 0x20
	s_mul_u64 s[4:5], s[4:5], s[12:13]
	s_delay_alu instid0(SALU_CYCLE_1) | instskip(NEXT) | instid1(SALU_CYCLE_1)
	s_lshl_b64 s[4:5], s[4:5], 2
	s_add_nc_u64 s[4:5], s[10:11], s[4:5]
	s_wait_kmcnt 0x0
	s_ashr_i32 s3, s2, 31
	s_delay_alu instid0(SALU_CYCLE_1) | instskip(NEXT) | instid1(SALU_CYCLE_1)
	s_lshl_b64 s[2:3], s[2:3], 2
	s_add_nc_u64 s[2:3], s[4:5], s[2:3]
.LBB2_3:
	s_clause 0x1
	s_load_b128 s[16:19], s[0:1], 0x0
	s_load_b32 s10, s[0:1], 0x38
	s_mul_u64 s[0:1], s[8:9], s[12:13]
	v_lshlrev_b32_e32 v19, 4, v0
	s_lshl_b64 s[0:1], s[0:1], 4
	s_wait_kmcnt 0x0
	v_add3_u32 v5, s19, s19, v0
	s_ashr_i32 s5, s18, 31
	s_mov_b32 s4, s18
	s_add_nc_u64 s[0:1], s[16:17], s[0:1]
	s_lshl_b64 s[4:5], s[4:5], 4
	v_ashrrev_i32_e32 v6, 31, v5
	s_add_nc_u64 s[0:1], s[0:1], s[4:5]
	s_ashr_i32 s9, s19, 31
	v_add_co_u32 v13, s4, s0, v19
	s_mov_b32 s8, s19
	v_lshlrev_b64_e32 v[5:6], 4, v[5:6]
	v_add_co_ci_u32_e64 v14, null, s1, 0, s4
	s_lshl_b64 s[8:9], s[8:9], 4
	global_load_b128 v[1:4], v19, s[0:1]
	v_add_co_u32 v15, vcc_lo, v13, s8
	s_delay_alu instid0(VALU_DEP_1)
	v_add_co_ci_u32_e64 v16, null, s9, v14, vcc_lo
	v_add_co_u32 v17, vcc_lo, s0, v5
	s_wait_alu 0xfffd
	v_add_co_ci_u32_e64 v18, null, s1, v6, vcc_lo
	s_clause 0x1
	global_load_b128 v[5:8], v[15:16], off
	global_load_b128 v[9:12], v[17:18], off
	s_mov_b32 s4, 32
	s_mov_b32 s5, 48
	s_bitcmp0_b32 s10, 0
	s_mov_b32 s1, -1
	s_wait_loadcnt 0x2
	scratch_store_b128 off, v[1:4], off offset:16
	s_wait_loadcnt 0x1
	scratch_store_b128 off, v[5:8], off offset:32
	;; [unrolled: 2-line block ×3, first 2 shown]
	s_cbranch_scc1 .LBB2_24
; %bb.4:
	v_cmp_eq_u32_e64 s0, 0, v0
	s_and_saveexec_b32 s1, s0
; %bb.5:
	v_mov_b32_e32 v1, 0
	ds_store_b32 v1, v1 offset:96
; %bb.6:
	s_wait_alu 0xfffe
	s_or_b32 exec_lo, exec_lo, s1
	s_wait_storecnt_dscnt 0x0
	s_barrier_signal -1
	s_barrier_wait -1
	global_inv scope:SCOPE_SE
	scratch_load_b128 v[1:4], v19, off offset:16
	s_wait_loadcnt 0x0
	v_cmp_eq_f64_e32 vcc_lo, 0, v[1:2]
	v_cmp_eq_f64_e64 s1, 0, v[3:4]
	s_and_b32 s1, vcc_lo, s1
	s_wait_alu 0xfffe
	s_and_saveexec_b32 s8, s1
	s_cbranch_execz .LBB2_10
; %bb.7:
	v_mov_b32_e32 v1, 0
	s_mov_b32 s9, 0
	ds_load_b32 v2, v1 offset:96
	s_wait_dscnt 0x0
	v_readfirstlane_b32 s1, v2
	v_add_nc_u32_e32 v2, 1, v0
	s_cmp_eq_u32 s1, 0
	s_delay_alu instid0(VALU_DEP_1) | instskip(SKIP_1) | instid1(SALU_CYCLE_1)
	v_cmp_gt_i32_e32 vcc_lo, s1, v2
	s_cselect_b32 s10, -1, 0
	s_or_b32 s10, s10, vcc_lo
	s_delay_alu instid0(SALU_CYCLE_1)
	s_and_b32 exec_lo, exec_lo, s10
	s_cbranch_execz .LBB2_10
; %bb.8:
	v_mov_b32_e32 v3, s1
.LBB2_9:                                ; =>This Inner Loop Header: Depth=1
	ds_cmpstore_rtn_b32 v3, v1, v2, v3 offset:96
	s_wait_dscnt 0x0
	v_cmp_ne_u32_e32 vcc_lo, 0, v3
	v_cmp_le_i32_e64 s1, v3, v2
	s_and_b32 s1, vcc_lo, s1
	s_wait_alu 0xfffe
	s_and_b32 s1, exec_lo, s1
	s_wait_alu 0xfffe
	s_or_b32 s9, s1, s9
	s_wait_alu 0xfffe
	s_and_not1_b32 exec_lo, exec_lo, s9
	s_cbranch_execnz .LBB2_9
.LBB2_10:
	s_wait_alu 0xfffe
	s_or_b32 exec_lo, exec_lo, s8
	v_mov_b32_e32 v1, 0
	s_barrier_signal -1
	s_barrier_wait -1
	global_inv scope:SCOPE_SE
	ds_load_b32 v2, v1 offset:96
	s_and_saveexec_b32 s1, s0
	s_cbranch_execz .LBB2_12
; %bb.11:
	s_lshl_b64 s[8:9], s[12:13], 2
	s_wait_alu 0xfffe
	s_add_nc_u64 s[8:9], s[6:7], s[8:9]
	s_wait_dscnt 0x0
	global_store_b32 v1, v2, s[8:9]
.LBB2_12:
	s_wait_alu 0xfffe
	s_or_b32 exec_lo, exec_lo, s1
	s_wait_dscnt 0x0
	v_cmp_ne_u32_e32 vcc_lo, 0, v2
	s_mov_b32 s1, 0
	s_cbranch_vccnz .LBB2_24
; %bb.13:
	v_add_nc_u32_e32 v20, 16, v19
                                        ; implicit-def: $vgpr1_vgpr2
                                        ; implicit-def: $vgpr9_vgpr10
	scratch_load_b128 v[5:8], v20, off
	s_wait_loadcnt 0x0
	v_cmp_ngt_f64_e64 s1, |v[5:6]|, |v[7:8]|
	s_wait_alu 0xfffe
	s_and_saveexec_b32 s8, s1
	s_wait_alu 0xfffe
	s_xor_b32 s1, exec_lo, s8
	s_cbranch_execz .LBB2_15
; %bb.14:
	v_div_scale_f64 v[1:2], null, v[7:8], v[7:8], v[5:6]
	v_div_scale_f64 v[11:12], vcc_lo, v[5:6], v[7:8], v[5:6]
	s_delay_alu instid0(VALU_DEP_2) | instskip(NEXT) | instid1(TRANS32_DEP_1)
	v_rcp_f64_e32 v[3:4], v[1:2]
	v_fma_f64 v[9:10], -v[1:2], v[3:4], 1.0
	s_delay_alu instid0(VALU_DEP_1) | instskip(NEXT) | instid1(VALU_DEP_1)
	v_fma_f64 v[3:4], v[3:4], v[9:10], v[3:4]
	v_fma_f64 v[9:10], -v[1:2], v[3:4], 1.0
	s_delay_alu instid0(VALU_DEP_1) | instskip(NEXT) | instid1(VALU_DEP_1)
	v_fma_f64 v[3:4], v[3:4], v[9:10], v[3:4]
	v_mul_f64_e32 v[9:10], v[11:12], v[3:4]
	s_delay_alu instid0(VALU_DEP_1) | instskip(SKIP_1) | instid1(VALU_DEP_1)
	v_fma_f64 v[1:2], -v[1:2], v[9:10], v[11:12]
	s_wait_alu 0xfffd
	v_div_fmas_f64 v[1:2], v[1:2], v[3:4], v[9:10]
	s_delay_alu instid0(VALU_DEP_1) | instskip(NEXT) | instid1(VALU_DEP_1)
	v_div_fixup_f64 v[1:2], v[1:2], v[7:8], v[5:6]
	v_fma_f64 v[3:4], v[5:6], v[1:2], v[7:8]
	s_delay_alu instid0(VALU_DEP_1) | instskip(SKIP_1) | instid1(VALU_DEP_2)
	v_div_scale_f64 v[5:6], null, v[3:4], v[3:4], 1.0
	v_div_scale_f64 v[11:12], vcc_lo, 1.0, v[3:4], 1.0
	v_rcp_f64_e32 v[7:8], v[5:6]
	s_delay_alu instid0(TRANS32_DEP_1) | instskip(NEXT) | instid1(VALU_DEP_1)
	v_fma_f64 v[9:10], -v[5:6], v[7:8], 1.0
	v_fma_f64 v[7:8], v[7:8], v[9:10], v[7:8]
	s_delay_alu instid0(VALU_DEP_1) | instskip(NEXT) | instid1(VALU_DEP_1)
	v_fma_f64 v[9:10], -v[5:6], v[7:8], 1.0
	v_fma_f64 v[7:8], v[7:8], v[9:10], v[7:8]
	s_delay_alu instid0(VALU_DEP_1) | instskip(NEXT) | instid1(VALU_DEP_1)
	v_mul_f64_e32 v[9:10], v[11:12], v[7:8]
	v_fma_f64 v[5:6], -v[5:6], v[9:10], v[11:12]
	s_wait_alu 0xfffd
	s_delay_alu instid0(VALU_DEP_1) | instskip(NEXT) | instid1(VALU_DEP_1)
	v_div_fmas_f64 v[5:6], v[5:6], v[7:8], v[9:10]
	v_div_fixup_f64 v[3:4], v[5:6], v[3:4], 1.0
                                        ; implicit-def: $vgpr5_vgpr6
	s_delay_alu instid0(VALU_DEP_1) | instskip(SKIP_1) | instid1(VALU_DEP_2)
	v_mul_f64_e32 v[1:2], v[1:2], v[3:4]
	v_xor_b32_e32 v4, 0x80000000, v4
	v_xor_b32_e32 v10, 0x80000000, v2
	s_delay_alu instid0(VALU_DEP_3)
	v_mov_b32_e32 v9, v1
.LBB2_15:
	s_wait_alu 0xfffe
	s_and_not1_saveexec_b32 s1, s1
	s_cbranch_execz .LBB2_17
; %bb.16:
	v_div_scale_f64 v[1:2], null, v[5:6], v[5:6], v[7:8]
	v_div_scale_f64 v[11:12], vcc_lo, v[7:8], v[5:6], v[7:8]
	s_delay_alu instid0(VALU_DEP_2) | instskip(NEXT) | instid1(TRANS32_DEP_1)
	v_rcp_f64_e32 v[3:4], v[1:2]
	v_fma_f64 v[9:10], -v[1:2], v[3:4], 1.0
	s_delay_alu instid0(VALU_DEP_1) | instskip(NEXT) | instid1(VALU_DEP_1)
	v_fma_f64 v[3:4], v[3:4], v[9:10], v[3:4]
	v_fma_f64 v[9:10], -v[1:2], v[3:4], 1.0
	s_delay_alu instid0(VALU_DEP_1) | instskip(NEXT) | instid1(VALU_DEP_1)
	v_fma_f64 v[3:4], v[3:4], v[9:10], v[3:4]
	v_mul_f64_e32 v[9:10], v[11:12], v[3:4]
	s_delay_alu instid0(VALU_DEP_1) | instskip(SKIP_1) | instid1(VALU_DEP_1)
	v_fma_f64 v[1:2], -v[1:2], v[9:10], v[11:12]
	s_wait_alu 0xfffd
	v_div_fmas_f64 v[1:2], v[1:2], v[3:4], v[9:10]
	s_delay_alu instid0(VALU_DEP_1) | instskip(NEXT) | instid1(VALU_DEP_1)
	v_div_fixup_f64 v[3:4], v[1:2], v[5:6], v[7:8]
	v_fma_f64 v[1:2], v[7:8], v[3:4], v[5:6]
	s_delay_alu instid0(VALU_DEP_1) | instskip(NEXT) | instid1(VALU_DEP_1)
	v_div_scale_f64 v[5:6], null, v[1:2], v[1:2], 1.0
	v_rcp_f64_e32 v[7:8], v[5:6]
	s_delay_alu instid0(TRANS32_DEP_1) | instskip(NEXT) | instid1(VALU_DEP_1)
	v_fma_f64 v[9:10], -v[5:6], v[7:8], 1.0
	v_fma_f64 v[7:8], v[7:8], v[9:10], v[7:8]
	s_delay_alu instid0(VALU_DEP_1) | instskip(NEXT) | instid1(VALU_DEP_1)
	v_fma_f64 v[9:10], -v[5:6], v[7:8], 1.0
	v_fma_f64 v[7:8], v[7:8], v[9:10], v[7:8]
	v_div_scale_f64 v[9:10], vcc_lo, 1.0, v[1:2], 1.0
	s_delay_alu instid0(VALU_DEP_1) | instskip(NEXT) | instid1(VALU_DEP_1)
	v_mul_f64_e32 v[11:12], v[9:10], v[7:8]
	v_fma_f64 v[5:6], -v[5:6], v[11:12], v[9:10]
	s_wait_alu 0xfffd
	s_delay_alu instid0(VALU_DEP_1) | instskip(NEXT) | instid1(VALU_DEP_1)
	v_div_fmas_f64 v[5:6], v[5:6], v[7:8], v[11:12]
	v_div_fixup_f64 v[1:2], v[5:6], v[1:2], 1.0
	s_delay_alu instid0(VALU_DEP_1)
	v_mul_f64_e64 v[3:4], v[3:4], -v[1:2]
	v_xor_b32_e32 v10, 0x80000000, v2
	v_mov_b32_e32 v9, v1
.LBB2_17:
	s_wait_alu 0xfffe
	s_or_b32 exec_lo, exec_lo, s1
	scratch_store_b128 v20, v[1:4], off
	scratch_load_b128 v[5:8], off, s4
	v_xor_b32_e32 v12, 0x80000000, v4
	v_mov_b32_e32 v11, v3
	v_add_nc_u32_e32 v1, 48, v19
	ds_store_b128 v19, v[9:12]
	s_wait_loadcnt 0x0
	ds_store_b128 v19, v[5:8] offset:48
	s_wait_storecnt_dscnt 0x0
	s_barrier_signal -1
	s_barrier_wait -1
	global_inv scope:SCOPE_SE
	s_and_saveexec_b32 s1, s0
	s_cbranch_execz .LBB2_19
; %bb.18:
	scratch_load_b128 v[2:5], v20, off
	ds_load_b128 v[6:9], v1
	v_mov_b32_e32 v10, 0
	ds_load_b128 v[21:24], v10 offset:16
	s_wait_loadcnt_dscnt 0x1
	v_mul_f64_e32 v[10:11], v[6:7], v[4:5]
	v_mul_f64_e32 v[4:5], v[8:9], v[4:5]
	s_delay_alu instid0(VALU_DEP_2) | instskip(NEXT) | instid1(VALU_DEP_2)
	v_fma_f64 v[8:9], v[8:9], v[2:3], v[10:11]
	v_fma_f64 v[2:3], v[6:7], v[2:3], -v[4:5]
	s_delay_alu instid0(VALU_DEP_2) | instskip(NEXT) | instid1(VALU_DEP_2)
	v_add_f64_e32 v[4:5], 0, v[8:9]
	v_add_f64_e32 v[2:3], 0, v[2:3]
	s_wait_dscnt 0x0
	s_delay_alu instid0(VALU_DEP_2) | instskip(NEXT) | instid1(VALU_DEP_2)
	v_mul_f64_e32 v[6:7], v[4:5], v[23:24]
	v_mul_f64_e32 v[8:9], v[2:3], v[23:24]
	s_delay_alu instid0(VALU_DEP_2) | instskip(NEXT) | instid1(VALU_DEP_2)
	v_fma_f64 v[2:3], v[2:3], v[21:22], -v[6:7]
	v_fma_f64 v[4:5], v[4:5], v[21:22], v[8:9]
	scratch_store_b128 off, v[2:5], off offset:32
.LBB2_19:
	s_wait_alu 0xfffe
	s_or_b32 exec_lo, exec_lo, s1
	s_wait_loadcnt 0x0
	s_wait_storecnt 0x0
	s_barrier_signal -1
	s_barrier_wait -1
	global_inv scope:SCOPE_SE
	scratch_load_b128 v[2:5], off, s5
	s_mov_b32 s1, exec_lo
	s_wait_loadcnt 0x0
	ds_store_b128 v1, v[2:5]
	s_wait_dscnt 0x0
	s_barrier_signal -1
	s_barrier_wait -1
	global_inv scope:SCOPE_SE
	v_cmpx_ne_u32_e32 2, v0
	s_cbranch_execz .LBB2_23
; %bb.20:
	scratch_load_b128 v[2:5], v20, off
	ds_load_b128 v[6:9], v1
	s_wait_loadcnt_dscnt 0x0
	v_mul_f64_e32 v[10:11], v[8:9], v[4:5]
	v_mul_f64_e32 v[4:5], v[6:7], v[4:5]
	s_delay_alu instid0(VALU_DEP_2) | instskip(NEXT) | instid1(VALU_DEP_2)
	v_fma_f64 v[6:7], v[6:7], v[2:3], -v[10:11]
	v_fma_f64 v[3:4], v[8:9], v[2:3], v[4:5]
	s_delay_alu instid0(VALU_DEP_2) | instskip(NEXT) | instid1(VALU_DEP_2)
	v_add_f64_e32 v[1:2], 0, v[6:7]
	v_add_f64_e32 v[3:4], 0, v[3:4]
	s_and_saveexec_b32 s8, s0
	s_cbranch_execz .LBB2_22
; %bb.21:
	scratch_load_b128 v[5:8], off, off offset:32
	v_mov_b32_e32 v9, 0
	ds_load_b128 v[9:12], v9 offset:64
	s_wait_loadcnt_dscnt 0x0
	v_mul_f64_e32 v[19:20], v[9:10], v[7:8]
	v_mul_f64_e32 v[7:8], v[11:12], v[7:8]
	s_delay_alu instid0(VALU_DEP_2) | instskip(NEXT) | instid1(VALU_DEP_2)
	v_fma_f64 v[11:12], v[11:12], v[5:6], v[19:20]
	v_fma_f64 v[5:6], v[9:10], v[5:6], -v[7:8]
	s_delay_alu instid0(VALU_DEP_2) | instskip(NEXT) | instid1(VALU_DEP_2)
	v_add_f64_e32 v[3:4], v[3:4], v[11:12]
	v_add_f64_e32 v[1:2], v[1:2], v[5:6]
.LBB2_22:
	s_wait_alu 0xfffe
	s_or_b32 exec_lo, exec_lo, s8
	v_mov_b32_e32 v5, 0
	ds_load_b128 v[5:8], v5 offset:32
	s_wait_dscnt 0x0
	v_mul_f64_e32 v[9:10], v[3:4], v[7:8]
	v_mul_f64_e32 v[7:8], v[1:2], v[7:8]
	s_delay_alu instid0(VALU_DEP_2) | instskip(NEXT) | instid1(VALU_DEP_2)
	v_fma_f64 v[1:2], v[1:2], v[5:6], -v[9:10]
	v_fma_f64 v[3:4], v[3:4], v[5:6], v[7:8]
	scratch_store_b128 off, v[1:4], off offset:48
.LBB2_23:
	s_wait_alu 0xfffe
	s_or_b32 exec_lo, exec_lo, s1
	s_mov_b32 s1, -1
	s_wait_loadcnt 0x0
	s_wait_storecnt 0x0
	s_barrier_signal -1
	s_barrier_wait -1
	global_inv scope:SCOPE_SE
.LBB2_24:
	s_wait_alu 0xfffe
	s_and_b32 vcc_lo, exec_lo, s1
	s_wait_alu 0xfffe
	s_cbranch_vccz .LBB2_26
; %bb.25:
	v_mov_b32_e32 v1, 0
	s_lshl_b64 s[0:1], s[12:13], 2
	s_wait_alu 0xfffe
	s_add_nc_u64 s[0:1], s[6:7], s[0:1]
	global_load_b32 v1, v1, s[0:1]
	s_wait_loadcnt 0x0
	v_cmp_ne_u32_e32 vcc_lo, 0, v1
	s_cbranch_vccz .LBB2_27
.LBB2_26:
	s_endpgm
.LBB2_27:
	v_lshl_add_u32 v5, v0, 4, 48
	s_mov_b32 s0, exec_lo
	v_cmpx_eq_u32_e32 2, v0
	s_cbranch_execz .LBB2_29
; %bb.28:
	scratch_load_b128 v[1:4], off, s4
	v_mov_b32_e32 v6, 0
	s_delay_alu instid0(VALU_DEP_1)
	v_dual_mov_b32 v7, v6 :: v_dual_mov_b32 v8, v6
	v_mov_b32_e32 v9, v6
	scratch_store_b128 off, v[6:9], off offset:32
	s_wait_loadcnt 0x0
	ds_store_b128 v5, v[1:4]
.LBB2_29:
	s_wait_alu 0xfffe
	s_or_b32 exec_lo, exec_lo, s0
	s_wait_storecnt_dscnt 0x0
	s_barrier_signal -1
	s_barrier_wait -1
	global_inv scope:SCOPE_SE
	s_clause 0x1
	scratch_load_b128 v[6:9], off, off offset:48
	scratch_load_b128 v[19:22], off, off offset:32
	v_mov_b32_e32 v1, 0
	s_mov_b32 s0, exec_lo
	ds_load_b128 v[23:26], v1 offset:80
	s_wait_loadcnt_dscnt 0x100
	v_mul_f64_e32 v[2:3], v[25:26], v[8:9]
	v_mul_f64_e32 v[8:9], v[23:24], v[8:9]
	s_delay_alu instid0(VALU_DEP_2) | instskip(NEXT) | instid1(VALU_DEP_2)
	v_fma_f64 v[2:3], v[23:24], v[6:7], -v[2:3]
	v_fma_f64 v[6:7], v[25:26], v[6:7], v[8:9]
	s_delay_alu instid0(VALU_DEP_2) | instskip(NEXT) | instid1(VALU_DEP_2)
	v_add_f64_e32 v[2:3], 0, v[2:3]
	v_add_f64_e32 v[8:9], 0, v[6:7]
	s_wait_loadcnt 0x0
	s_delay_alu instid0(VALU_DEP_2) | instskip(NEXT) | instid1(VALU_DEP_2)
	v_add_f64_e64 v[6:7], v[19:20], -v[2:3]
	v_add_f64_e64 v[8:9], v[21:22], -v[8:9]
	scratch_store_b128 off, v[6:9], off offset:32
	v_cmpx_ne_u32_e32 0, v0
	s_cbranch_execz .LBB2_31
; %bb.30:
	scratch_load_b128 v[6:9], off, off offset:16
	v_dual_mov_b32 v2, v1 :: v_dual_mov_b32 v3, v1
	v_mov_b32_e32 v4, v1
	scratch_store_b128 off, v[1:4], off offset:16
	s_wait_loadcnt 0x0
	ds_store_b128 v5, v[6:9]
.LBB2_31:
	s_wait_alu 0xfffe
	s_or_b32 exec_lo, exec_lo, s0
	s_wait_storecnt_dscnt 0x0
	s_barrier_signal -1
	s_barrier_wait -1
	global_inv scope:SCOPE_SE
	s_clause 0x2
	scratch_load_b128 v[2:5], off, off offset:32
	scratch_load_b128 v[6:9], off, off offset:48
	;; [unrolled: 1-line block ×3, first 2 shown]
	ds_load_b128 v[23:26], v1 offset:64
	ds_load_b128 v[27:30], v1 offset:80
	s_and_b32 vcc_lo, exec_lo, s14
	s_wait_loadcnt_dscnt 0x201
	v_mul_f64_e32 v[0:1], v[25:26], v[4:5]
	v_mul_f64_e32 v[4:5], v[23:24], v[4:5]
	s_wait_loadcnt_dscnt 0x100
	v_mul_f64_e32 v[10:11], v[27:28], v[8:9]
	v_mul_f64_e32 v[8:9], v[29:30], v[8:9]
	s_delay_alu instid0(VALU_DEP_4) | instskip(NEXT) | instid1(VALU_DEP_4)
	v_fma_f64 v[0:1], v[23:24], v[2:3], -v[0:1]
	v_fma_f64 v[2:3], v[25:26], v[2:3], v[4:5]
	s_delay_alu instid0(VALU_DEP_4) | instskip(NEXT) | instid1(VALU_DEP_4)
	v_fma_f64 v[4:5], v[29:30], v[6:7], v[10:11]
	v_fma_f64 v[6:7], v[27:28], v[6:7], -v[8:9]
	s_delay_alu instid0(VALU_DEP_4) | instskip(NEXT) | instid1(VALU_DEP_4)
	v_add_f64_e32 v[0:1], 0, v[0:1]
	v_add_f64_e32 v[2:3], 0, v[2:3]
	s_delay_alu instid0(VALU_DEP_2) | instskip(NEXT) | instid1(VALU_DEP_2)
	v_add_f64_e32 v[0:1], v[0:1], v[6:7]
	v_add_f64_e32 v[2:3], v[2:3], v[4:5]
	s_wait_loadcnt 0x0
	s_delay_alu instid0(VALU_DEP_2) | instskip(NEXT) | instid1(VALU_DEP_2)
	v_add_f64_e64 v[0:1], v[19:20], -v[0:1]
	v_add_f64_e64 v[2:3], v[21:22], -v[2:3]
	scratch_store_b128 off, v[0:3], off offset:16
	s_wait_alu 0xfffe
	s_cbranch_vccz .LBB2_36
; %bb.32:
	v_mov_b32_e32 v0, 0
	global_load_b32 v1, v0, s[2:3] offset:4
	s_wait_loadcnt 0x0
	v_cmp_ne_u32_e32 vcc_lo, 2, v1
	s_cbranch_vccz .LBB2_34
; %bb.33:
	v_lshlrev_b32_e32 v1, 4, v1
	s_delay_alu instid0(VALU_DEP_1)
	v_add_nc_u32_e32 v9, 16, v1
	s_clause 0x1
	scratch_load_b128 v[1:4], v9, off offset:-16
	scratch_load_b128 v[5:8], off, s4
	s_wait_loadcnt 0x1
	scratch_store_b128 off, v[1:4], s4
	s_wait_loadcnt 0x0
	scratch_store_b128 v9, v[5:8], off offset:-16
.LBB2_34:
	global_load_b32 v0, v0, s[2:3]
	s_wait_loadcnt 0x0
	v_cmp_eq_u32_e32 vcc_lo, 1, v0
	s_cbranch_vccnz .LBB2_36
; %bb.35:
	v_lshlrev_b32_e32 v0, 4, v0
	s_delay_alu instid0(VALU_DEP_1)
	v_add_nc_u32_e32 v8, 16, v0
	scratch_load_b128 v[0:3], v8, off offset:-16
	scratch_load_b128 v[4:7], off, off offset:16
	s_wait_loadcnt 0x1
	scratch_store_b128 off, v[0:3], off offset:16
	s_wait_loadcnt 0x0
	scratch_store_b128 v8, v[4:7], off offset:-16
.LBB2_36:
	scratch_load_b128 v[0:3], off, off offset:16
	s_clause 0x1
	scratch_load_b128 v[4:7], off, s4
	scratch_load_b128 v[8:11], off, s5
	s_wait_loadcnt 0x2
	global_store_b128 v[13:14], v[0:3], off
	s_wait_loadcnt 0x1
	global_store_b128 v[15:16], v[4:7], off
	;; [unrolled: 2-line block ×3, first 2 shown]
	s_endpgm
	.section	.rodata,"a",@progbits
	.p2align	6, 0x0
	.amdhsa_kernel _ZN9rocsolver6v33100L18getri_kernel_smallILi3E19rocblas_complex_numIdEPS3_EEvT1_iilPiilS6_bb
		.amdhsa_group_segment_fixed_size 104
		.amdhsa_private_segment_fixed_size 80
		.amdhsa_kernarg_size 60
		.amdhsa_user_sgpr_count 2
		.amdhsa_user_sgpr_dispatch_ptr 0
		.amdhsa_user_sgpr_queue_ptr 0
		.amdhsa_user_sgpr_kernarg_segment_ptr 1
		.amdhsa_user_sgpr_dispatch_id 0
		.amdhsa_user_sgpr_private_segment_size 0
		.amdhsa_wavefront_size32 1
		.amdhsa_uses_dynamic_stack 0
		.amdhsa_enable_private_segment 1
		.amdhsa_system_sgpr_workgroup_id_x 1
		.amdhsa_system_sgpr_workgroup_id_y 0
		.amdhsa_system_sgpr_workgroup_id_z 0
		.amdhsa_system_sgpr_workgroup_info 0
		.amdhsa_system_vgpr_workitem_id 0
		.amdhsa_next_free_vgpr 31
		.amdhsa_next_free_sgpr 20
		.amdhsa_reserve_vcc 1
		.amdhsa_float_round_mode_32 0
		.amdhsa_float_round_mode_16_64 0
		.amdhsa_float_denorm_mode_32 3
		.amdhsa_float_denorm_mode_16_64 3
		.amdhsa_fp16_overflow 0
		.amdhsa_workgroup_processor_mode 1
		.amdhsa_memory_ordered 1
		.amdhsa_forward_progress 1
		.amdhsa_inst_pref_size 21
		.amdhsa_round_robin_scheduling 0
		.amdhsa_exception_fp_ieee_invalid_op 0
		.amdhsa_exception_fp_denorm_src 0
		.amdhsa_exception_fp_ieee_div_zero 0
		.amdhsa_exception_fp_ieee_overflow 0
		.amdhsa_exception_fp_ieee_underflow 0
		.amdhsa_exception_fp_ieee_inexact 0
		.amdhsa_exception_int_div_zero 0
	.end_amdhsa_kernel
	.section	.text._ZN9rocsolver6v33100L18getri_kernel_smallILi3E19rocblas_complex_numIdEPS3_EEvT1_iilPiilS6_bb,"axG",@progbits,_ZN9rocsolver6v33100L18getri_kernel_smallILi3E19rocblas_complex_numIdEPS3_EEvT1_iilPiilS6_bb,comdat
.Lfunc_end2:
	.size	_ZN9rocsolver6v33100L18getri_kernel_smallILi3E19rocblas_complex_numIdEPS3_EEvT1_iilPiilS6_bb, .Lfunc_end2-_ZN9rocsolver6v33100L18getri_kernel_smallILi3E19rocblas_complex_numIdEPS3_EEvT1_iilPiilS6_bb
                                        ; -- End function
	.set _ZN9rocsolver6v33100L18getri_kernel_smallILi3E19rocblas_complex_numIdEPS3_EEvT1_iilPiilS6_bb.num_vgpr, 31
	.set _ZN9rocsolver6v33100L18getri_kernel_smallILi3E19rocblas_complex_numIdEPS3_EEvT1_iilPiilS6_bb.num_agpr, 0
	.set _ZN9rocsolver6v33100L18getri_kernel_smallILi3E19rocblas_complex_numIdEPS3_EEvT1_iilPiilS6_bb.numbered_sgpr, 20
	.set _ZN9rocsolver6v33100L18getri_kernel_smallILi3E19rocblas_complex_numIdEPS3_EEvT1_iilPiilS6_bb.num_named_barrier, 0
	.set _ZN9rocsolver6v33100L18getri_kernel_smallILi3E19rocblas_complex_numIdEPS3_EEvT1_iilPiilS6_bb.private_seg_size, 80
	.set _ZN9rocsolver6v33100L18getri_kernel_smallILi3E19rocblas_complex_numIdEPS3_EEvT1_iilPiilS6_bb.uses_vcc, 1
	.set _ZN9rocsolver6v33100L18getri_kernel_smallILi3E19rocblas_complex_numIdEPS3_EEvT1_iilPiilS6_bb.uses_flat_scratch, 1
	.set _ZN9rocsolver6v33100L18getri_kernel_smallILi3E19rocblas_complex_numIdEPS3_EEvT1_iilPiilS6_bb.has_dyn_sized_stack, 0
	.set _ZN9rocsolver6v33100L18getri_kernel_smallILi3E19rocblas_complex_numIdEPS3_EEvT1_iilPiilS6_bb.has_recursion, 0
	.set _ZN9rocsolver6v33100L18getri_kernel_smallILi3E19rocblas_complex_numIdEPS3_EEvT1_iilPiilS6_bb.has_indirect_call, 0
	.section	.AMDGPU.csdata,"",@progbits
; Kernel info:
; codeLenInByte = 2656
; TotalNumSgprs: 22
; NumVgprs: 31
; ScratchSize: 80
; MemoryBound: 0
; FloatMode: 240
; IeeeMode: 1
; LDSByteSize: 104 bytes/workgroup (compile time only)
; SGPRBlocks: 0
; VGPRBlocks: 3
; NumSGPRsForWavesPerEU: 22
; NumVGPRsForWavesPerEU: 31
; Occupancy: 16
; WaveLimiterHint : 0
; COMPUTE_PGM_RSRC2:SCRATCH_EN: 1
; COMPUTE_PGM_RSRC2:USER_SGPR: 2
; COMPUTE_PGM_RSRC2:TRAP_HANDLER: 0
; COMPUTE_PGM_RSRC2:TGID_X_EN: 1
; COMPUTE_PGM_RSRC2:TGID_Y_EN: 0
; COMPUTE_PGM_RSRC2:TGID_Z_EN: 0
; COMPUTE_PGM_RSRC2:TIDIG_COMP_CNT: 0
	.section	.text._ZN9rocsolver6v33100L18getri_kernel_smallILi4E19rocblas_complex_numIdEPS3_EEvT1_iilPiilS6_bb,"axG",@progbits,_ZN9rocsolver6v33100L18getri_kernel_smallILi4E19rocblas_complex_numIdEPS3_EEvT1_iilPiilS6_bb,comdat
	.globl	_ZN9rocsolver6v33100L18getri_kernel_smallILi4E19rocblas_complex_numIdEPS3_EEvT1_iilPiilS6_bb ; -- Begin function _ZN9rocsolver6v33100L18getri_kernel_smallILi4E19rocblas_complex_numIdEPS3_EEvT1_iilPiilS6_bb
	.p2align	8
	.type	_ZN9rocsolver6v33100L18getri_kernel_smallILi4E19rocblas_complex_numIdEPS3_EEvT1_iilPiilS6_bb,@function
_ZN9rocsolver6v33100L18getri_kernel_smallILi4E19rocblas_complex_numIdEPS3_EEvT1_iilPiilS6_bb: ; @_ZN9rocsolver6v33100L18getri_kernel_smallILi4E19rocblas_complex_numIdEPS3_EEvT1_iilPiilS6_bb
; %bb.0:
	v_and_b32_e32 v21, 0x3ff, v0
	s_mov_b32 s4, exec_lo
	s_delay_alu instid0(VALU_DEP_1)
	v_cmpx_gt_u32_e32 4, v21
	s_cbranch_execz .LBB3_30
; %bb.1:
	s_clause 0x2
	s_load_b32 s8, s[2:3], 0x38
	s_load_b128 s[12:15], s[2:3], 0x10
	s_load_b128 s[4:7], s[2:3], 0x28
	s_mov_b32 s18, ttmp9
                                        ; implicit-def: $sgpr16_sgpr17
	s_wait_kmcnt 0x0
	s_bitcmp1_b32 s8, 8
	s_cselect_b32 s20, -1, 0
	s_bfe_u32 s8, s8, 0x10008
	s_ashr_i32 s19, ttmp9, 31
	s_cmp_eq_u32 s8, 0
	s_cbranch_scc1 .LBB3_3
; %bb.2:
	s_load_b32 s8, s[2:3], 0x20
	s_mul_u64 s[4:5], s[4:5], s[18:19]
	s_delay_alu instid0(SALU_CYCLE_1) | instskip(NEXT) | instid1(SALU_CYCLE_1)
	s_lshl_b64 s[4:5], s[4:5], 2
	s_add_nc_u64 s[4:5], s[14:15], s[4:5]
	s_wait_kmcnt 0x0
	s_ashr_i32 s9, s8, 31
	s_delay_alu instid0(SALU_CYCLE_1) | instskip(NEXT) | instid1(SALU_CYCLE_1)
	s_lshl_b64 s[8:9], s[8:9], 2
	s_add_nc_u64 s[16:17], s[4:5], s[8:9]
.LBB3_3:
	s_clause 0x1
	s_load_b128 s[8:11], s[2:3], 0x0
	s_load_b32 s14, s[2:3], 0x38
	s_mul_u64 s[2:3], s[12:13], s[18:19]
	v_lshlrev_b32_e32 v23, 4, v21
	s_lshl_b64 s[2:3], s[2:3], 4
	s_wait_kmcnt 0x0
	v_add3_u32 v1, s11, s11, v21
	s_ashr_i32 s5, s10, 31
	s_mov_b32 s4, s10
	s_add_nc_u64 s[2:3], s[8:9], s[2:3]
	s_lshl_b64 s[4:5], s[4:5], 4
	v_add_nc_u32_e32 v5, s11, v1
	v_ashrrev_i32_e32 v2, 31, v1
	s_add_nc_u64 s[2:3], s[2:3], s[4:5]
	s_ashr_i32 s9, s11, 31
	v_add_co_u32 v13, s4, s2, v23
	v_ashrrev_i32_e32 v6, 31, v5
	s_mov_b32 s8, s11
	v_lshlrev_b64_e32 v[9:10], 4, v[1:2]
	v_add_co_ci_u32_e64 v14, null, s3, 0, s4
	s_lshl_b64 s[8:9], s[8:9], 4
	v_lshlrev_b64_e32 v[11:12], 4, v[5:6]
	v_add_co_u32 v15, vcc_lo, v13, s8
	s_delay_alu instid0(VALU_DEP_1)
	v_add_co_ci_u32_e64 v16, null, s9, v14, vcc_lo
	v_add_co_u32 v17, vcc_lo, s2, v9
	s_wait_alu 0xfffd
	v_add_co_ci_u32_e64 v18, null, s3, v10, vcc_lo
	v_add_co_u32 v19, vcc_lo, s2, v11
	s_wait_alu 0xfffd
	v_add_co_ci_u32_e64 v20, null, s3, v12, vcc_lo
	s_clause 0x3
	global_load_b128 v[1:4], v23, s[2:3]
	global_load_b128 v[5:8], v[15:16], off
	global_load_b128 v[9:12], v[17:18], off
	;; [unrolled: 1-line block ×3, first 2 shown]
	s_mov_b32 s4, 16
	s_mov_b32 s8, 32
	;; [unrolled: 1-line block ×3, first 2 shown]
	s_mov_b32 s3, -1
	s_bitcmp0_b32 s14, 0
	s_wait_loadcnt 0x3
	scratch_store_b128 off, v[1:4], off
	s_wait_loadcnt 0x2
	scratch_store_b128 off, v[5:8], off offset:16
	s_wait_loadcnt 0x1
	scratch_store_b128 off, v[9:12], off offset:32
	;; [unrolled: 2-line block ×3, first 2 shown]
	s_cbranch_scc1 .LBB3_28
; %bb.4:
	v_cmp_eq_u32_e64 s2, 0, v21
	s_and_saveexec_b32 s3, s2
; %bb.5:
	v_mov_b32_e32 v1, 0
	ds_store_b32 v1, v1 offset:128
; %bb.6:
	s_wait_alu 0xfffe
	s_or_b32 exec_lo, exec_lo, s3
	s_wait_storecnt_dscnt 0x0
	s_barrier_signal -1
	s_barrier_wait -1
	global_inv scope:SCOPE_SE
	scratch_load_b128 v[1:4], v23, off
	s_wait_loadcnt 0x0
	v_cmp_eq_f64_e32 vcc_lo, 0, v[1:2]
	v_cmp_eq_f64_e64 s3, 0, v[3:4]
	s_and_b32 s3, vcc_lo, s3
	s_wait_alu 0xfffe
	s_and_saveexec_b32 s9, s3
	s_cbranch_execz .LBB3_10
; %bb.7:
	v_mov_b32_e32 v1, 0
	s_mov_b32 s10, 0
	ds_load_b32 v2, v1 offset:128
	s_wait_dscnt 0x0
	v_readfirstlane_b32 s3, v2
	v_add_nc_u32_e32 v2, 1, v21
	s_cmp_eq_u32 s3, 0
	s_delay_alu instid0(VALU_DEP_1)
	v_cmp_gt_i32_e32 vcc_lo, s3, v2
	s_cselect_b32 s11, -1, 0
	s_wait_alu 0xfffe
	s_or_b32 s11, s11, vcc_lo
	s_wait_alu 0xfffe
	s_and_b32 exec_lo, exec_lo, s11
	s_cbranch_execz .LBB3_10
; %bb.8:
	v_mov_b32_e32 v3, s3
.LBB3_9:                                ; =>This Inner Loop Header: Depth=1
	ds_cmpstore_rtn_b32 v3, v1, v2, v3 offset:128
	s_wait_dscnt 0x0
	v_cmp_ne_u32_e32 vcc_lo, 0, v3
	v_cmp_le_i32_e64 s3, v3, v2
	s_and_b32 s3, vcc_lo, s3
	s_wait_alu 0xfffe
	s_and_b32 s3, exec_lo, s3
	s_wait_alu 0xfffe
	s_or_b32 s10, s3, s10
	s_wait_alu 0xfffe
	s_and_not1_b32 exec_lo, exec_lo, s10
	s_cbranch_execnz .LBB3_9
.LBB3_10:
	s_wait_alu 0xfffe
	s_or_b32 exec_lo, exec_lo, s9
	v_mov_b32_e32 v1, 0
	s_barrier_signal -1
	s_barrier_wait -1
	global_inv scope:SCOPE_SE
	ds_load_b32 v2, v1 offset:128
	s_and_saveexec_b32 s3, s2
	s_cbranch_execz .LBB3_12
; %bb.11:
	s_lshl_b64 s[10:11], s[18:19], 2
	s_wait_alu 0xfffe
	s_add_nc_u64 s[10:11], s[6:7], s[10:11]
	s_wait_dscnt 0x0
	global_store_b32 v1, v2, s[10:11]
.LBB3_12:
	s_wait_alu 0xfffe
	s_or_b32 exec_lo, exec_lo, s3
	s_wait_dscnt 0x0
	v_cmp_ne_u32_e32 vcc_lo, 0, v2
	s_mov_b32 s3, 0
	s_cbranch_vccnz .LBB3_28
; %bb.13:
	v_mov_b32_e32 v22, v23
                                        ; implicit-def: $vgpr1_vgpr2
                                        ; implicit-def: $vgpr9_vgpr10
	scratch_load_b128 v[5:8], v22, off
	s_wait_loadcnt 0x0
	v_cmp_ngt_f64_e64 s3, |v[5:6]|, |v[7:8]|
	s_wait_alu 0xfffe
	s_and_saveexec_b32 s9, s3
	s_wait_alu 0xfffe
	s_xor_b32 s3, exec_lo, s9
	s_cbranch_execz .LBB3_15
; %bb.14:
	v_div_scale_f64 v[1:2], null, v[7:8], v[7:8], v[5:6]
	v_div_scale_f64 v[11:12], vcc_lo, v[5:6], v[7:8], v[5:6]
	s_delay_alu instid0(VALU_DEP_2) | instskip(NEXT) | instid1(TRANS32_DEP_1)
	v_rcp_f64_e32 v[3:4], v[1:2]
	v_fma_f64 v[9:10], -v[1:2], v[3:4], 1.0
	s_delay_alu instid0(VALU_DEP_1) | instskip(NEXT) | instid1(VALU_DEP_1)
	v_fma_f64 v[3:4], v[3:4], v[9:10], v[3:4]
	v_fma_f64 v[9:10], -v[1:2], v[3:4], 1.0
	s_delay_alu instid0(VALU_DEP_1) | instskip(NEXT) | instid1(VALU_DEP_1)
	v_fma_f64 v[3:4], v[3:4], v[9:10], v[3:4]
	v_mul_f64_e32 v[9:10], v[11:12], v[3:4]
	s_delay_alu instid0(VALU_DEP_1) | instskip(SKIP_1) | instid1(VALU_DEP_1)
	v_fma_f64 v[1:2], -v[1:2], v[9:10], v[11:12]
	s_wait_alu 0xfffd
	v_div_fmas_f64 v[1:2], v[1:2], v[3:4], v[9:10]
	s_delay_alu instid0(VALU_DEP_1) | instskip(NEXT) | instid1(VALU_DEP_1)
	v_div_fixup_f64 v[1:2], v[1:2], v[7:8], v[5:6]
	v_fma_f64 v[3:4], v[5:6], v[1:2], v[7:8]
	s_delay_alu instid0(VALU_DEP_1) | instskip(SKIP_1) | instid1(VALU_DEP_2)
	v_div_scale_f64 v[5:6], null, v[3:4], v[3:4], 1.0
	v_div_scale_f64 v[11:12], vcc_lo, 1.0, v[3:4], 1.0
	v_rcp_f64_e32 v[7:8], v[5:6]
	s_delay_alu instid0(TRANS32_DEP_1) | instskip(NEXT) | instid1(VALU_DEP_1)
	v_fma_f64 v[9:10], -v[5:6], v[7:8], 1.0
	v_fma_f64 v[7:8], v[7:8], v[9:10], v[7:8]
	s_delay_alu instid0(VALU_DEP_1) | instskip(NEXT) | instid1(VALU_DEP_1)
	v_fma_f64 v[9:10], -v[5:6], v[7:8], 1.0
	v_fma_f64 v[7:8], v[7:8], v[9:10], v[7:8]
	s_delay_alu instid0(VALU_DEP_1) | instskip(NEXT) | instid1(VALU_DEP_1)
	v_mul_f64_e32 v[9:10], v[11:12], v[7:8]
	v_fma_f64 v[5:6], -v[5:6], v[9:10], v[11:12]
	s_wait_alu 0xfffd
	s_delay_alu instid0(VALU_DEP_1) | instskip(NEXT) | instid1(VALU_DEP_1)
	v_div_fmas_f64 v[5:6], v[5:6], v[7:8], v[9:10]
	v_div_fixup_f64 v[3:4], v[5:6], v[3:4], 1.0
                                        ; implicit-def: $vgpr5_vgpr6
	s_delay_alu instid0(VALU_DEP_1) | instskip(SKIP_1) | instid1(VALU_DEP_2)
	v_mul_f64_e32 v[1:2], v[1:2], v[3:4]
	v_xor_b32_e32 v4, 0x80000000, v4
	v_xor_b32_e32 v10, 0x80000000, v2
	s_delay_alu instid0(VALU_DEP_3)
	v_mov_b32_e32 v9, v1
.LBB3_15:
	s_wait_alu 0xfffe
	s_and_not1_saveexec_b32 s3, s3
	s_cbranch_execz .LBB3_17
; %bb.16:
	v_div_scale_f64 v[1:2], null, v[5:6], v[5:6], v[7:8]
	v_div_scale_f64 v[11:12], vcc_lo, v[7:8], v[5:6], v[7:8]
	s_delay_alu instid0(VALU_DEP_2) | instskip(NEXT) | instid1(TRANS32_DEP_1)
	v_rcp_f64_e32 v[3:4], v[1:2]
	v_fma_f64 v[9:10], -v[1:2], v[3:4], 1.0
	s_delay_alu instid0(VALU_DEP_1) | instskip(NEXT) | instid1(VALU_DEP_1)
	v_fma_f64 v[3:4], v[3:4], v[9:10], v[3:4]
	v_fma_f64 v[9:10], -v[1:2], v[3:4], 1.0
	s_delay_alu instid0(VALU_DEP_1) | instskip(NEXT) | instid1(VALU_DEP_1)
	v_fma_f64 v[3:4], v[3:4], v[9:10], v[3:4]
	v_mul_f64_e32 v[9:10], v[11:12], v[3:4]
	s_delay_alu instid0(VALU_DEP_1) | instskip(SKIP_1) | instid1(VALU_DEP_1)
	v_fma_f64 v[1:2], -v[1:2], v[9:10], v[11:12]
	s_wait_alu 0xfffd
	v_div_fmas_f64 v[1:2], v[1:2], v[3:4], v[9:10]
	s_delay_alu instid0(VALU_DEP_1) | instskip(NEXT) | instid1(VALU_DEP_1)
	v_div_fixup_f64 v[3:4], v[1:2], v[5:6], v[7:8]
	v_fma_f64 v[1:2], v[7:8], v[3:4], v[5:6]
	s_delay_alu instid0(VALU_DEP_1) | instskip(NEXT) | instid1(VALU_DEP_1)
	v_div_scale_f64 v[5:6], null, v[1:2], v[1:2], 1.0
	v_rcp_f64_e32 v[7:8], v[5:6]
	s_delay_alu instid0(TRANS32_DEP_1) | instskip(NEXT) | instid1(VALU_DEP_1)
	v_fma_f64 v[9:10], -v[5:6], v[7:8], 1.0
	v_fma_f64 v[7:8], v[7:8], v[9:10], v[7:8]
	s_delay_alu instid0(VALU_DEP_1) | instskip(NEXT) | instid1(VALU_DEP_1)
	v_fma_f64 v[9:10], -v[5:6], v[7:8], 1.0
	v_fma_f64 v[7:8], v[7:8], v[9:10], v[7:8]
	v_div_scale_f64 v[9:10], vcc_lo, 1.0, v[1:2], 1.0
	s_delay_alu instid0(VALU_DEP_1) | instskip(NEXT) | instid1(VALU_DEP_1)
	v_mul_f64_e32 v[11:12], v[9:10], v[7:8]
	v_fma_f64 v[5:6], -v[5:6], v[11:12], v[9:10]
	s_wait_alu 0xfffd
	s_delay_alu instid0(VALU_DEP_1) | instskip(NEXT) | instid1(VALU_DEP_1)
	v_div_fmas_f64 v[5:6], v[5:6], v[7:8], v[11:12]
	v_div_fixup_f64 v[1:2], v[5:6], v[1:2], 1.0
	s_delay_alu instid0(VALU_DEP_1)
	v_mul_f64_e64 v[3:4], v[3:4], -v[1:2]
	v_xor_b32_e32 v10, 0x80000000, v2
	v_mov_b32_e32 v9, v1
.LBB3_17:
	s_wait_alu 0xfffe
	s_or_b32 exec_lo, exec_lo, s3
	scratch_store_b128 v22, v[1:4], off
	scratch_load_b128 v[24:27], off, s4
	v_xor_b32_e32 v12, 0x80000000, v4
	v_mov_b32_e32 v11, v3
	v_add_nc_u32_e32 v5, 64, v23
	ds_store_b128 v23, v[9:12]
	s_wait_loadcnt 0x0
	ds_store_b128 v23, v[24:27] offset:64
	s_wait_storecnt_dscnt 0x0
	s_barrier_signal -1
	s_barrier_wait -1
	global_inv scope:SCOPE_SE
	s_and_saveexec_b32 s3, s2
	s_cbranch_execz .LBB3_19
; %bb.18:
	scratch_load_b128 v[1:4], v22, off
	ds_load_b128 v[6:9], v5
	v_mov_b32_e32 v10, 0
	ds_load_b128 v[23:26], v10 offset:16
	s_wait_loadcnt_dscnt 0x1
	v_mul_f64_e32 v[10:11], v[6:7], v[3:4]
	v_mul_f64_e32 v[3:4], v[8:9], v[3:4]
	s_delay_alu instid0(VALU_DEP_2) | instskip(NEXT) | instid1(VALU_DEP_2)
	v_fma_f64 v[8:9], v[8:9], v[1:2], v[10:11]
	v_fma_f64 v[1:2], v[6:7], v[1:2], -v[3:4]
	s_delay_alu instid0(VALU_DEP_2) | instskip(NEXT) | instid1(VALU_DEP_2)
	v_add_f64_e32 v[3:4], 0, v[8:9]
	v_add_f64_e32 v[1:2], 0, v[1:2]
	s_wait_dscnt 0x0
	s_delay_alu instid0(VALU_DEP_2) | instskip(NEXT) | instid1(VALU_DEP_2)
	v_mul_f64_e32 v[6:7], v[3:4], v[25:26]
	v_mul_f64_e32 v[8:9], v[1:2], v[25:26]
	s_delay_alu instid0(VALU_DEP_2) | instskip(NEXT) | instid1(VALU_DEP_2)
	v_fma_f64 v[1:2], v[1:2], v[23:24], -v[6:7]
	v_fma_f64 v[3:4], v[3:4], v[23:24], v[8:9]
	scratch_store_b128 off, v[1:4], off offset:16
.LBB3_19:
	s_wait_alu 0xfffe
	s_or_b32 exec_lo, exec_lo, s3
	s_wait_loadcnt 0x0
	s_wait_storecnt 0x0
	s_barrier_signal -1
	s_barrier_wait -1
	global_inv scope:SCOPE_SE
	scratch_load_b128 v[1:4], off, s8
	s_mov_b32 s3, exec_lo
	s_wait_loadcnt 0x0
	ds_store_b128 v5, v[1:4]
	s_wait_dscnt 0x0
	s_barrier_signal -1
	s_barrier_wait -1
	global_inv scope:SCOPE_SE
	v_cmpx_gt_u32_e32 2, v21
	s_cbranch_execz .LBB3_23
; %bb.20:
	scratch_load_b128 v[1:4], v22, off
	ds_load_b128 v[6:9], v5
	s_wait_loadcnt_dscnt 0x0
	v_mul_f64_e32 v[10:11], v[8:9], v[3:4]
	v_mul_f64_e32 v[3:4], v[6:7], v[3:4]
	s_delay_alu instid0(VALU_DEP_2) | instskip(NEXT) | instid1(VALU_DEP_2)
	v_fma_f64 v[6:7], v[6:7], v[1:2], -v[10:11]
	v_fma_f64 v[3:4], v[8:9], v[1:2], v[3:4]
	s_delay_alu instid0(VALU_DEP_2) | instskip(NEXT) | instid1(VALU_DEP_2)
	v_add_f64_e32 v[1:2], 0, v[6:7]
	v_add_f64_e32 v[3:4], 0, v[3:4]
	s_and_saveexec_b32 s9, s2
	s_cbranch_execz .LBB3_22
; %bb.21:
	scratch_load_b128 v[6:9], off, off offset:16
	v_mov_b32_e32 v10, 0
	ds_load_b128 v[23:26], v10 offset:80
	s_wait_loadcnt_dscnt 0x0
	v_mul_f64_e32 v[10:11], v[23:24], v[8:9]
	v_mul_f64_e32 v[8:9], v[25:26], v[8:9]
	s_delay_alu instid0(VALU_DEP_2) | instskip(NEXT) | instid1(VALU_DEP_2)
	v_fma_f64 v[10:11], v[25:26], v[6:7], v[10:11]
	v_fma_f64 v[6:7], v[23:24], v[6:7], -v[8:9]
	s_delay_alu instid0(VALU_DEP_2) | instskip(NEXT) | instid1(VALU_DEP_2)
	v_add_f64_e32 v[3:4], v[3:4], v[10:11]
	v_add_f64_e32 v[1:2], v[1:2], v[6:7]
.LBB3_22:
	s_wait_alu 0xfffe
	s_or_b32 exec_lo, exec_lo, s9
	v_mov_b32_e32 v6, 0
	ds_load_b128 v[6:9], v6 offset:32
	s_wait_dscnt 0x0
	v_mul_f64_e32 v[10:11], v[3:4], v[8:9]
	v_mul_f64_e32 v[8:9], v[1:2], v[8:9]
	s_delay_alu instid0(VALU_DEP_2) | instskip(NEXT) | instid1(VALU_DEP_2)
	v_fma_f64 v[1:2], v[1:2], v[6:7], -v[10:11]
	v_fma_f64 v[3:4], v[3:4], v[6:7], v[8:9]
	scratch_store_b128 off, v[1:4], off offset:32
.LBB3_23:
	s_wait_alu 0xfffe
	s_or_b32 exec_lo, exec_lo, s3
	s_wait_loadcnt 0x0
	s_wait_storecnt 0x0
	s_barrier_signal -1
	s_barrier_wait -1
	global_inv scope:SCOPE_SE
	scratch_load_b128 v[1:4], off, s5
	s_mov_b32 s2, exec_lo
	s_wait_loadcnt 0x0
	ds_store_b128 v5, v[1:4]
	s_wait_dscnt 0x0
	s_barrier_signal -1
	s_barrier_wait -1
	global_inv scope:SCOPE_SE
	v_cmpx_ne_u32_e32 3, v21
	s_cbranch_execz .LBB3_27
; %bb.24:
	v_dual_mov_b32 v1, 0 :: v_dual_add_nc_u32 v6, -1, v21
	v_dual_mov_b32 v2, 0 :: v_dual_mov_b32 v3, 0
	v_mov_b32_e32 v4, 0
	v_or_b32_e32 v7, 8, v22
	s_mov_b32 s3, 0
.LBB3_25:                               ; =>This Inner Loop Header: Depth=1
	scratch_load_b128 v[8:11], v7, off offset:-8
	ds_load_b128 v[22:25], v5
	v_add_nc_u32_e32 v6, 1, v6
	v_add_nc_u32_e32 v5, 16, v5
	;; [unrolled: 1-line block ×3, first 2 shown]
	s_delay_alu instid0(VALU_DEP_3)
	v_cmp_lt_u32_e32 vcc_lo, 1, v6
	s_wait_alu 0xfffe
	s_or_b32 s3, vcc_lo, s3
	s_wait_loadcnt_dscnt 0x0
	v_mul_f64_e32 v[26:27], v[24:25], v[10:11]
	v_mul_f64_e32 v[10:11], v[22:23], v[10:11]
	s_delay_alu instid0(VALU_DEP_2) | instskip(NEXT) | instid1(VALU_DEP_2)
	v_fma_f64 v[22:23], v[22:23], v[8:9], -v[26:27]
	v_fma_f64 v[8:9], v[24:25], v[8:9], v[10:11]
	s_delay_alu instid0(VALU_DEP_2) | instskip(NEXT) | instid1(VALU_DEP_2)
	v_add_f64_e32 v[3:4], v[3:4], v[22:23]
	v_add_f64_e32 v[1:2], v[1:2], v[8:9]
	s_wait_alu 0xfffe
	s_and_not1_b32 exec_lo, exec_lo, s3
	s_cbranch_execnz .LBB3_25
; %bb.26:
	s_or_b32 exec_lo, exec_lo, s3
	v_mov_b32_e32 v5, 0
	ds_load_b128 v[5:8], v5 offset:48
	s_wait_dscnt 0x0
	v_mul_f64_e32 v[9:10], v[1:2], v[7:8]
	v_mul_f64_e32 v[7:8], v[3:4], v[7:8]
	s_delay_alu instid0(VALU_DEP_2) | instskip(NEXT) | instid1(VALU_DEP_2)
	v_fma_f64 v[3:4], v[3:4], v[5:6], -v[9:10]
	v_fma_f64 v[5:6], v[1:2], v[5:6], v[7:8]
	scratch_store_b128 off, v[3:6], off offset:48
.LBB3_27:
	s_wait_alu 0xfffe
	s_or_b32 exec_lo, exec_lo, s2
	s_mov_b32 s3, -1
	s_wait_loadcnt 0x0
	s_wait_storecnt 0x0
	s_barrier_signal -1
	s_barrier_wait -1
	global_inv scope:SCOPE_SE
.LBB3_28:
	s_wait_alu 0xfffe
	s_and_b32 vcc_lo, exec_lo, s3
	s_wait_alu 0xfffe
	s_cbranch_vccz .LBB3_30
; %bb.29:
	v_mov_b32_e32 v1, 0
	s_lshl_b64 s[2:3], s[18:19], 2
	s_wait_alu 0xfffe
	s_add_nc_u64 s[2:3], s[6:7], s[2:3]
	global_load_b32 v1, v1, s[2:3]
	s_wait_loadcnt 0x0
	v_cmp_ne_u32_e32 vcc_lo, 0, v1
	s_cbranch_vccz .LBB3_31
.LBB3_30:
	s_endpgm
.LBB3_31:
	v_lshl_add_u32 v5, v21, 4, 64
	s_mov_b32 s2, exec_lo
	v_cmpx_eq_u32_e32 3, v21
	s_cbranch_execz .LBB3_33
; %bb.32:
	scratch_load_b128 v[1:4], off, s8
	v_mov_b32_e32 v6, 0
	s_delay_alu instid0(VALU_DEP_1)
	v_dual_mov_b32 v7, v6 :: v_dual_mov_b32 v8, v6
	v_mov_b32_e32 v9, v6
	scratch_store_b128 off, v[6:9], off offset:32
	s_wait_loadcnt 0x0
	ds_store_b128 v5, v[1:4]
.LBB3_33:
	s_wait_alu 0xfffe
	s_or_b32 exec_lo, exec_lo, s2
	s_wait_storecnt_dscnt 0x0
	s_barrier_signal -1
	s_barrier_wait -1
	global_inv scope:SCOPE_SE
	s_clause 0x1
	scratch_load_b128 v[6:9], off, off offset:48
	scratch_load_b128 v[22:25], off, off offset:32
	v_mov_b32_e32 v1, 0
	s_mov_b32 s2, exec_lo
	ds_load_b128 v[26:29], v1 offset:112
	s_wait_loadcnt_dscnt 0x100
	v_mul_f64_e32 v[2:3], v[28:29], v[8:9]
	v_mul_f64_e32 v[8:9], v[26:27], v[8:9]
	s_delay_alu instid0(VALU_DEP_2) | instskip(NEXT) | instid1(VALU_DEP_2)
	v_fma_f64 v[2:3], v[26:27], v[6:7], -v[2:3]
	v_fma_f64 v[6:7], v[28:29], v[6:7], v[8:9]
	s_delay_alu instid0(VALU_DEP_2) | instskip(NEXT) | instid1(VALU_DEP_2)
	v_add_f64_e32 v[2:3], 0, v[2:3]
	v_add_f64_e32 v[8:9], 0, v[6:7]
	s_wait_loadcnt 0x0
	s_delay_alu instid0(VALU_DEP_2) | instskip(NEXT) | instid1(VALU_DEP_2)
	v_add_f64_e64 v[6:7], v[22:23], -v[2:3]
	v_add_f64_e64 v[8:9], v[24:25], -v[8:9]
	scratch_store_b128 off, v[6:9], off offset:32
	v_cmpx_lt_u32_e32 1, v21
	s_cbranch_execz .LBB3_35
; %bb.34:
	scratch_load_b128 v[6:9], off, s4
	v_dual_mov_b32 v2, v1 :: v_dual_mov_b32 v3, v1
	v_mov_b32_e32 v4, v1
	scratch_store_b128 off, v[1:4], off offset:16
	s_wait_loadcnt 0x0
	ds_store_b128 v5, v[6:9]
.LBB3_35:
	s_wait_alu 0xfffe
	s_or_b32 exec_lo, exec_lo, s2
	s_wait_storecnt_dscnt 0x0
	s_barrier_signal -1
	s_barrier_wait -1
	global_inv scope:SCOPE_SE
	s_clause 0x2
	scratch_load_b128 v[6:9], off, off offset:32
	scratch_load_b128 v[22:25], off, off offset:48
	;; [unrolled: 1-line block ×3, first 2 shown]
	ds_load_b128 v[30:33], v1 offset:96
	ds_load_b128 v[1:4], v1 offset:112
	s_mov_b32 s2, exec_lo
	s_wait_loadcnt_dscnt 0x201
	v_mul_f64_e32 v[10:11], v[32:33], v[8:9]
	v_mul_f64_e32 v[8:9], v[30:31], v[8:9]
	s_wait_loadcnt_dscnt 0x100
	v_mul_f64_e32 v[34:35], v[1:2], v[24:25]
	v_mul_f64_e32 v[24:25], v[3:4], v[24:25]
	s_delay_alu instid0(VALU_DEP_4) | instskip(NEXT) | instid1(VALU_DEP_4)
	v_fma_f64 v[10:11], v[30:31], v[6:7], -v[10:11]
	v_fma_f64 v[6:7], v[32:33], v[6:7], v[8:9]
	s_delay_alu instid0(VALU_DEP_4) | instskip(NEXT) | instid1(VALU_DEP_4)
	v_fma_f64 v[3:4], v[3:4], v[22:23], v[34:35]
	v_fma_f64 v[1:2], v[1:2], v[22:23], -v[24:25]
	s_delay_alu instid0(VALU_DEP_4) | instskip(NEXT) | instid1(VALU_DEP_4)
	v_add_f64_e32 v[8:9], 0, v[10:11]
	v_add_f64_e32 v[6:7], 0, v[6:7]
	s_delay_alu instid0(VALU_DEP_2) | instskip(NEXT) | instid1(VALU_DEP_2)
	v_add_f64_e32 v[1:2], v[8:9], v[1:2]
	v_add_f64_e32 v[3:4], v[6:7], v[3:4]
	s_wait_loadcnt 0x0
	s_delay_alu instid0(VALU_DEP_2) | instskip(NEXT) | instid1(VALU_DEP_2)
	v_add_f64_e64 v[1:2], v[26:27], -v[1:2]
	v_add_f64_e64 v[3:4], v[28:29], -v[3:4]
	scratch_store_b128 off, v[1:4], off offset:16
	v_cmpx_ne_u32_e32 0, v21
	s_cbranch_execz .LBB3_37
; %bb.36:
	scratch_load_b128 v[1:4], off, off
	v_mov_b32_e32 v6, 0
	s_delay_alu instid0(VALU_DEP_1)
	v_dual_mov_b32 v7, v6 :: v_dual_mov_b32 v8, v6
	v_mov_b32_e32 v9, v6
	scratch_store_b128 off, v[6:9], off
	s_wait_loadcnt 0x0
	ds_store_b128 v5, v[1:4]
.LBB3_37:
	s_wait_alu 0xfffe
	s_or_b32 exec_lo, exec_lo, s2
	s_wait_storecnt_dscnt 0x0
	s_barrier_signal -1
	s_barrier_wait -1
	global_inv scope:SCOPE_SE
	s_clause 0x3
	scratch_load_b128 v[2:5], off, off offset:16
	scratch_load_b128 v[6:9], off, off offset:32
	;; [unrolled: 1-line block ×3, first 2 shown]
	scratch_load_b128 v[26:29], off, off
	v_mov_b32_e32 v1, 0
	ds_load_b128 v[30:33], v1 offset:80
	ds_load_b128 v[34:37], v1 offset:96
	s_and_b32 vcc_lo, exec_lo, s20
	s_wait_loadcnt_dscnt 0x301
	v_mul_f64_e32 v[10:11], v[32:33], v[4:5]
	v_mul_f64_e32 v[4:5], v[30:31], v[4:5]
	s_wait_loadcnt_dscnt 0x200
	v_mul_f64_e32 v[38:39], v[34:35], v[8:9]
	v_mul_f64_e32 v[8:9], v[36:37], v[8:9]
	s_delay_alu instid0(VALU_DEP_4) | instskip(NEXT) | instid1(VALU_DEP_4)
	v_fma_f64 v[10:11], v[30:31], v[2:3], -v[10:11]
	v_fma_f64 v[30:31], v[32:33], v[2:3], v[4:5]
	ds_load_b128 v[2:5], v1 offset:112
	v_fma_f64 v[36:37], v[36:37], v[6:7], v[38:39]
	v_fma_f64 v[6:7], v[34:35], v[6:7], -v[8:9]
	s_wait_loadcnt_dscnt 0x100
	v_mul_f64_e32 v[32:33], v[2:3], v[24:25]
	v_mul_f64_e32 v[24:25], v[4:5], v[24:25]
	v_add_f64_e32 v[8:9], 0, v[10:11]
	v_add_f64_e32 v[10:11], 0, v[30:31]
	s_delay_alu instid0(VALU_DEP_4) | instskip(NEXT) | instid1(VALU_DEP_4)
	v_fma_f64 v[4:5], v[4:5], v[22:23], v[32:33]
	v_fma_f64 v[2:3], v[2:3], v[22:23], -v[24:25]
	s_delay_alu instid0(VALU_DEP_4) | instskip(NEXT) | instid1(VALU_DEP_4)
	v_add_f64_e32 v[6:7], v[8:9], v[6:7]
	v_add_f64_e32 v[8:9], v[10:11], v[36:37]
	s_delay_alu instid0(VALU_DEP_2) | instskip(NEXT) | instid1(VALU_DEP_2)
	v_add_f64_e32 v[2:3], v[6:7], v[2:3]
	v_add_f64_e32 v[4:5], v[8:9], v[4:5]
	s_wait_loadcnt 0x0
	s_delay_alu instid0(VALU_DEP_2) | instskip(NEXT) | instid1(VALU_DEP_2)
	v_add_f64_e64 v[2:3], v[26:27], -v[2:3]
	v_add_f64_e64 v[4:5], v[28:29], -v[4:5]
	scratch_store_b128 off, v[2:5], off
	s_wait_alu 0xfffe
	s_cbranch_vccz .LBB3_44
; %bb.38:
	global_load_b32 v1, v1, s[16:17] offset:8
	s_load_b64 s[0:1], s[0:1], 0x4
	v_bfe_u32 v2, v0, 10, 10
	v_bfe_u32 v0, v0, 20, 10
	s_wait_kmcnt 0x0
	s_lshr_b32 s0, s0, 16
	s_delay_alu instid0(VALU_DEP_2) | instskip(SKIP_3) | instid1(VALU_DEP_1)
	v_mul_u32_u24_e32 v2, s1, v2
	s_mul_i32 s0, s0, s1
	s_wait_alu 0xfffe
	v_mul_u32_u24_e32 v3, s0, v21
	v_add3_u32 v0, v3, v2, v0
	s_delay_alu instid0(VALU_DEP_1)
	v_lshl_add_u32 v0, v0, 4, 0x88
	s_wait_loadcnt 0x0
	v_cmp_ne_u32_e32 vcc_lo, 3, v1
	s_cbranch_vccz .LBB3_40
; %bb.39:
	v_lshlrev_b32_e32 v1, 4, v1
	s_delay_alu instid0(VALU_DEP_1)
	v_mov_b32_e32 v9, v1
	s_clause 0x1
	scratch_load_b128 v[1:4], off, s8
	scratch_load_b128 v[5:8], v9, off offset:-16
	s_wait_loadcnt 0x1
	ds_store_2addr_b64 v0, v[1:2], v[3:4] offset1:1
	s_wait_loadcnt 0x0
	s_clause 0x1
	scratch_store_b128 off, v[5:8], s8
	scratch_store_b128 v9, v[1:4], off offset:-16
.LBB3_40:
	v_mov_b32_e32 v1, 0
	global_load_b32 v2, v1, s[16:17] offset:4
	s_wait_loadcnt 0x0
	v_cmp_eq_u32_e32 vcc_lo, 2, v2
	s_cbranch_vccnz .LBB3_42
; %bb.41:
	v_lshlrev_b32_e32 v2, 4, v2
	s_delay_alu instid0(VALU_DEP_1)
	v_mov_b32_e32 v10, v2
	s_clause 0x1
	scratch_load_b128 v[2:5], off, s4
	scratch_load_b128 v[6:9], v10, off offset:-16
	s_wait_loadcnt 0x1
	ds_store_2addr_b64 v0, v[2:3], v[4:5] offset1:1
	s_wait_loadcnt 0x0
	s_clause 0x1
	scratch_store_b128 off, v[6:9], s4
	scratch_store_b128 v10, v[2:5], off offset:-16
.LBB3_42:
	global_load_b32 v1, v1, s[16:17]
	s_wait_loadcnt 0x0
	v_cmp_eq_u32_e32 vcc_lo, 1, v1
	s_cbranch_vccnz .LBB3_44
; %bb.43:
	v_lshlrev_b32_e32 v1, 4, v1
	s_delay_alu instid0(VALU_DEP_1)
	v_mov_b32_e32 v9, v1
	scratch_load_b128 v[1:4], off, off
	scratch_load_b128 v[5:8], v9, off offset:-16
	s_wait_loadcnt 0x1
	ds_store_2addr_b64 v0, v[1:2], v[3:4] offset1:1
	s_wait_loadcnt 0x0
	scratch_store_b128 off, v[5:8], off
	scratch_store_b128 v9, v[1:4], off offset:-16
.LBB3_44:
	scratch_load_b128 v[0:3], off, off
	s_clause 0x2
	scratch_load_b128 v[4:7], off, s4
	scratch_load_b128 v[8:11], off, s8
	;; [unrolled: 1-line block ×3, first 2 shown]
	s_wait_loadcnt 0x3
	global_store_b128 v[13:14], v[0:3], off
	s_wait_loadcnt 0x2
	global_store_b128 v[15:16], v[4:7], off
	;; [unrolled: 2-line block ×4, first 2 shown]
	s_endpgm
	.section	.rodata,"a",@progbits
	.p2align	6, 0x0
	.amdhsa_kernel _ZN9rocsolver6v33100L18getri_kernel_smallILi4E19rocblas_complex_numIdEPS3_EEvT1_iilPiilS6_bb
		.amdhsa_group_segment_fixed_size 1160
		.amdhsa_private_segment_fixed_size 80
		.amdhsa_kernarg_size 60
		.amdhsa_user_sgpr_count 4
		.amdhsa_user_sgpr_dispatch_ptr 1
		.amdhsa_user_sgpr_queue_ptr 0
		.amdhsa_user_sgpr_kernarg_segment_ptr 1
		.amdhsa_user_sgpr_dispatch_id 0
		.amdhsa_user_sgpr_private_segment_size 0
		.amdhsa_wavefront_size32 1
		.amdhsa_uses_dynamic_stack 0
		.amdhsa_enable_private_segment 1
		.amdhsa_system_sgpr_workgroup_id_x 1
		.amdhsa_system_sgpr_workgroup_id_y 0
		.amdhsa_system_sgpr_workgroup_id_z 0
		.amdhsa_system_sgpr_workgroup_info 0
		.amdhsa_system_vgpr_workitem_id 2
		.amdhsa_next_free_vgpr 40
		.amdhsa_next_free_sgpr 21
		.amdhsa_reserve_vcc 1
		.amdhsa_float_round_mode_32 0
		.amdhsa_float_round_mode_16_64 0
		.amdhsa_float_denorm_mode_32 3
		.amdhsa_float_denorm_mode_16_64 3
		.amdhsa_fp16_overflow 0
		.amdhsa_workgroup_processor_mode 1
		.amdhsa_memory_ordered 1
		.amdhsa_forward_progress 1
		.amdhsa_inst_pref_size 29
		.amdhsa_round_robin_scheduling 0
		.amdhsa_exception_fp_ieee_invalid_op 0
		.amdhsa_exception_fp_denorm_src 0
		.amdhsa_exception_fp_ieee_div_zero 0
		.amdhsa_exception_fp_ieee_overflow 0
		.amdhsa_exception_fp_ieee_underflow 0
		.amdhsa_exception_fp_ieee_inexact 0
		.amdhsa_exception_int_div_zero 0
	.end_amdhsa_kernel
	.section	.text._ZN9rocsolver6v33100L18getri_kernel_smallILi4E19rocblas_complex_numIdEPS3_EEvT1_iilPiilS6_bb,"axG",@progbits,_ZN9rocsolver6v33100L18getri_kernel_smallILi4E19rocblas_complex_numIdEPS3_EEvT1_iilPiilS6_bb,comdat
.Lfunc_end3:
	.size	_ZN9rocsolver6v33100L18getri_kernel_smallILi4E19rocblas_complex_numIdEPS3_EEvT1_iilPiilS6_bb, .Lfunc_end3-_ZN9rocsolver6v33100L18getri_kernel_smallILi4E19rocblas_complex_numIdEPS3_EEvT1_iilPiilS6_bb
                                        ; -- End function
	.set _ZN9rocsolver6v33100L18getri_kernel_smallILi4E19rocblas_complex_numIdEPS3_EEvT1_iilPiilS6_bb.num_vgpr, 40
	.set _ZN9rocsolver6v33100L18getri_kernel_smallILi4E19rocblas_complex_numIdEPS3_EEvT1_iilPiilS6_bb.num_agpr, 0
	.set _ZN9rocsolver6v33100L18getri_kernel_smallILi4E19rocblas_complex_numIdEPS3_EEvT1_iilPiilS6_bb.numbered_sgpr, 21
	.set _ZN9rocsolver6v33100L18getri_kernel_smallILi4E19rocblas_complex_numIdEPS3_EEvT1_iilPiilS6_bb.num_named_barrier, 0
	.set _ZN9rocsolver6v33100L18getri_kernel_smallILi4E19rocblas_complex_numIdEPS3_EEvT1_iilPiilS6_bb.private_seg_size, 80
	.set _ZN9rocsolver6v33100L18getri_kernel_smallILi4E19rocblas_complex_numIdEPS3_EEvT1_iilPiilS6_bb.uses_vcc, 1
	.set _ZN9rocsolver6v33100L18getri_kernel_smallILi4E19rocblas_complex_numIdEPS3_EEvT1_iilPiilS6_bb.uses_flat_scratch, 1
	.set _ZN9rocsolver6v33100L18getri_kernel_smallILi4E19rocblas_complex_numIdEPS3_EEvT1_iilPiilS6_bb.has_dyn_sized_stack, 0
	.set _ZN9rocsolver6v33100L18getri_kernel_smallILi4E19rocblas_complex_numIdEPS3_EEvT1_iilPiilS6_bb.has_recursion, 0
	.set _ZN9rocsolver6v33100L18getri_kernel_smallILi4E19rocblas_complex_numIdEPS3_EEvT1_iilPiilS6_bb.has_indirect_call, 0
	.section	.AMDGPU.csdata,"",@progbits
; Kernel info:
; codeLenInByte = 3596
; TotalNumSgprs: 23
; NumVgprs: 40
; ScratchSize: 80
; MemoryBound: 0
; FloatMode: 240
; IeeeMode: 1
; LDSByteSize: 1160 bytes/workgroup (compile time only)
; SGPRBlocks: 0
; VGPRBlocks: 4
; NumSGPRsForWavesPerEU: 23
; NumVGPRsForWavesPerEU: 40
; Occupancy: 16
; WaveLimiterHint : 0
; COMPUTE_PGM_RSRC2:SCRATCH_EN: 1
; COMPUTE_PGM_RSRC2:USER_SGPR: 4
; COMPUTE_PGM_RSRC2:TRAP_HANDLER: 0
; COMPUTE_PGM_RSRC2:TGID_X_EN: 1
; COMPUTE_PGM_RSRC2:TGID_Y_EN: 0
; COMPUTE_PGM_RSRC2:TGID_Z_EN: 0
; COMPUTE_PGM_RSRC2:TIDIG_COMP_CNT: 2
	.section	.text._ZN9rocsolver6v33100L18getri_kernel_smallILi5E19rocblas_complex_numIdEPS3_EEvT1_iilPiilS6_bb,"axG",@progbits,_ZN9rocsolver6v33100L18getri_kernel_smallILi5E19rocblas_complex_numIdEPS3_EEvT1_iilPiilS6_bb,comdat
	.globl	_ZN9rocsolver6v33100L18getri_kernel_smallILi5E19rocblas_complex_numIdEPS3_EEvT1_iilPiilS6_bb ; -- Begin function _ZN9rocsolver6v33100L18getri_kernel_smallILi5E19rocblas_complex_numIdEPS3_EEvT1_iilPiilS6_bb
	.p2align	8
	.type	_ZN9rocsolver6v33100L18getri_kernel_smallILi5E19rocblas_complex_numIdEPS3_EEvT1_iilPiilS6_bb,@function
_ZN9rocsolver6v33100L18getri_kernel_smallILi5E19rocblas_complex_numIdEPS3_EEvT1_iilPiilS6_bb: ; @_ZN9rocsolver6v33100L18getri_kernel_smallILi5E19rocblas_complex_numIdEPS3_EEvT1_iilPiilS6_bb
; %bb.0:
	v_and_b32_e32 v23, 0x3ff, v0
	s_mov_b32 s4, exec_lo
	s_delay_alu instid0(VALU_DEP_1)
	v_cmpx_gt_u32_e32 5, v23
	s_cbranch_execz .LBB4_34
; %bb.1:
	s_clause 0x2
	s_load_b32 s8, s[2:3], 0x38
	s_load_b128 s[12:15], s[2:3], 0x10
	s_load_b128 s[4:7], s[2:3], 0x28
	s_mov_b32 s18, ttmp9
                                        ; implicit-def: $sgpr16_sgpr17
	s_wait_kmcnt 0x0
	s_bitcmp1_b32 s8, 8
	s_cselect_b32 s20, -1, 0
	s_bfe_u32 s8, s8, 0x10008
	s_ashr_i32 s19, ttmp9, 31
	s_cmp_eq_u32 s8, 0
	s_cbranch_scc1 .LBB4_3
; %bb.2:
	s_load_b32 s8, s[2:3], 0x20
	s_mul_u64 s[4:5], s[4:5], s[18:19]
	s_delay_alu instid0(SALU_CYCLE_1) | instskip(NEXT) | instid1(SALU_CYCLE_1)
	s_lshl_b64 s[4:5], s[4:5], 2
	s_add_nc_u64 s[4:5], s[14:15], s[4:5]
	s_wait_kmcnt 0x0
	s_ashr_i32 s9, s8, 31
	s_delay_alu instid0(SALU_CYCLE_1) | instskip(NEXT) | instid1(SALU_CYCLE_1)
	s_lshl_b64 s[8:9], s[8:9], 2
	s_add_nc_u64 s[16:17], s[4:5], s[8:9]
.LBB4_3:
	s_clause 0x1
	s_load_b128 s[8:11], s[2:3], 0x0
	s_load_b32 s14, s[2:3], 0x38
	s_mul_u64 s[2:3], s[12:13], s[18:19]
	v_lshlrev_b32_e32 v24, 4, v23
	s_lshl_b64 s[2:3], s[2:3], 4
	s_wait_kmcnt 0x0
	v_add3_u32 v1, s11, s11, v23
	s_ashr_i32 s5, s10, 31
	s_mov_b32 s4, s10
	s_add_nc_u64 s[2:3], s[8:9], s[2:3]
	s_lshl_b64 s[4:5], s[4:5], 4
	v_add_nc_u32_e32 v3, s11, v1
	v_ashrrev_i32_e32 v2, 31, v1
	s_add_nc_u64 s[2:3], s[2:3], s[4:5]
	s_ashr_i32 s9, s11, 31
	v_add_co_u32 v13, s4, s2, v24
	v_add_nc_u32_e32 v5, s11, v3
	v_ashrrev_i32_e32 v4, 31, v3
	s_mov_b32 s8, s11
	v_lshlrev_b64_e32 v[1:2], 4, v[1:2]
	v_add_co_ci_u32_e64 v14, null, s3, 0, s4
	v_ashrrev_i32_e32 v6, 31, v5
	s_lshl_b64 s[8:9], s[8:9], 4
	v_lshlrev_b64_e32 v[19:20], 4, v[3:4]
	v_add_co_u32 v15, vcc_lo, v13, s8
	s_delay_alu instid0(VALU_DEP_3)
	v_lshlrev_b64_e32 v[21:22], 4, v[5:6]
	v_add_co_ci_u32_e64 v16, null, s9, v14, vcc_lo
	v_add_co_u32 v17, vcc_lo, s2, v1
	s_wait_alu 0xfffd
	v_add_co_ci_u32_e64 v18, null, s3, v2, vcc_lo
	v_add_co_u32 v19, vcc_lo, s2, v19
	s_wait_alu 0xfffd
	v_add_co_ci_u32_e64 v20, null, s3, v20, vcc_lo
	v_add_co_u32 v21, vcc_lo, s2, v21
	s_wait_alu 0xfffd
	v_add_co_ci_u32_e64 v22, null, s3, v22, vcc_lo
	s_clause 0x4
	global_load_b128 v[1:4], v24, s[2:3]
	global_load_b128 v[5:8], v[15:16], off
	global_load_b128 v[9:12], v[17:18], off
	;; [unrolled: 1-line block ×4, first 2 shown]
	s_mov_b32 s4, 16
	s_mov_b32 s8, 32
	;; [unrolled: 1-line block ×4, first 2 shown]
	s_bitcmp0_b32 s14, 0
	s_mov_b32 s3, -1
	s_wait_loadcnt 0x4
	scratch_store_b128 off, v[1:4], off
	s_wait_loadcnt 0x3
	scratch_store_b128 off, v[5:8], off offset:16
	s_wait_loadcnt 0x2
	scratch_store_b128 off, v[9:12], off offset:32
	;; [unrolled: 2-line block ×4, first 2 shown]
	s_cbranch_scc1 .LBB4_32
; %bb.4:
	v_cmp_eq_u32_e64 s2, 0, v23
	s_and_saveexec_b32 s3, s2
; %bb.5:
	v_mov_b32_e32 v1, 0
	ds_store_b32 v1, v1 offset:160
; %bb.6:
	s_wait_alu 0xfffe
	s_or_b32 exec_lo, exec_lo, s3
	s_wait_storecnt_dscnt 0x0
	s_barrier_signal -1
	s_barrier_wait -1
	global_inv scope:SCOPE_SE
	scratch_load_b128 v[1:4], v24, off
	s_wait_loadcnt 0x0
	v_cmp_eq_f64_e32 vcc_lo, 0, v[1:2]
	v_cmp_eq_f64_e64 s3, 0, v[3:4]
	s_and_b32 s3, vcc_lo, s3
	s_wait_alu 0xfffe
	s_and_saveexec_b32 s10, s3
	s_cbranch_execz .LBB4_10
; %bb.7:
	v_mov_b32_e32 v1, 0
	s_mov_b32 s11, 0
	ds_load_b32 v2, v1 offset:160
	s_wait_dscnt 0x0
	v_readfirstlane_b32 s3, v2
	v_add_nc_u32_e32 v2, 1, v23
	s_cmp_eq_u32 s3, 0
	s_delay_alu instid0(VALU_DEP_1) | instskip(SKIP_1) | instid1(SALU_CYCLE_1)
	v_cmp_gt_i32_e32 vcc_lo, s3, v2
	s_cselect_b32 s12, -1, 0
	s_or_b32 s12, s12, vcc_lo
	s_delay_alu instid0(SALU_CYCLE_1)
	s_and_b32 exec_lo, exec_lo, s12
	s_cbranch_execz .LBB4_10
; %bb.8:
	v_mov_b32_e32 v3, s3
.LBB4_9:                                ; =>This Inner Loop Header: Depth=1
	ds_cmpstore_rtn_b32 v3, v1, v2, v3 offset:160
	s_wait_dscnt 0x0
	v_cmp_ne_u32_e32 vcc_lo, 0, v3
	v_cmp_le_i32_e64 s3, v3, v2
	s_and_b32 s3, vcc_lo, s3
	s_wait_alu 0xfffe
	s_and_b32 s3, exec_lo, s3
	s_wait_alu 0xfffe
	s_or_b32 s11, s3, s11
	s_wait_alu 0xfffe
	s_and_not1_b32 exec_lo, exec_lo, s11
	s_cbranch_execnz .LBB4_9
.LBB4_10:
	s_wait_alu 0xfffe
	s_or_b32 exec_lo, exec_lo, s10
	v_mov_b32_e32 v1, 0
	s_barrier_signal -1
	s_barrier_wait -1
	global_inv scope:SCOPE_SE
	ds_load_b32 v2, v1 offset:160
	s_and_saveexec_b32 s3, s2
	s_cbranch_execz .LBB4_12
; %bb.11:
	s_lshl_b64 s[10:11], s[18:19], 2
	s_wait_alu 0xfffe
	s_add_nc_u64 s[10:11], s[6:7], s[10:11]
	s_wait_dscnt 0x0
	global_store_b32 v1, v2, s[10:11]
.LBB4_12:
	s_wait_alu 0xfffe
	s_or_b32 exec_lo, exec_lo, s3
	s_wait_dscnt 0x0
	v_cmp_ne_u32_e32 vcc_lo, 0, v2
	s_mov_b32 s3, 0
	s_cbranch_vccnz .LBB4_32
; %bb.13:
	v_mov_b32_e32 v25, v24
                                        ; implicit-def: $vgpr1_vgpr2
                                        ; implicit-def: $vgpr9_vgpr10
	scratch_load_b128 v[5:8], v25, off
	s_wait_loadcnt 0x0
	v_cmp_ngt_f64_e64 s3, |v[5:6]|, |v[7:8]|
	s_wait_alu 0xfffe
	s_and_saveexec_b32 s10, s3
	s_wait_alu 0xfffe
	s_xor_b32 s3, exec_lo, s10
	s_cbranch_execz .LBB4_15
; %bb.14:
	v_div_scale_f64 v[1:2], null, v[7:8], v[7:8], v[5:6]
	v_div_scale_f64 v[11:12], vcc_lo, v[5:6], v[7:8], v[5:6]
	s_delay_alu instid0(VALU_DEP_2) | instskip(NEXT) | instid1(TRANS32_DEP_1)
	v_rcp_f64_e32 v[3:4], v[1:2]
	v_fma_f64 v[9:10], -v[1:2], v[3:4], 1.0
	s_delay_alu instid0(VALU_DEP_1) | instskip(NEXT) | instid1(VALU_DEP_1)
	v_fma_f64 v[3:4], v[3:4], v[9:10], v[3:4]
	v_fma_f64 v[9:10], -v[1:2], v[3:4], 1.0
	s_delay_alu instid0(VALU_DEP_1) | instskip(NEXT) | instid1(VALU_DEP_1)
	v_fma_f64 v[3:4], v[3:4], v[9:10], v[3:4]
	v_mul_f64_e32 v[9:10], v[11:12], v[3:4]
	s_delay_alu instid0(VALU_DEP_1) | instskip(SKIP_1) | instid1(VALU_DEP_1)
	v_fma_f64 v[1:2], -v[1:2], v[9:10], v[11:12]
	s_wait_alu 0xfffd
	v_div_fmas_f64 v[1:2], v[1:2], v[3:4], v[9:10]
	s_delay_alu instid0(VALU_DEP_1) | instskip(NEXT) | instid1(VALU_DEP_1)
	v_div_fixup_f64 v[1:2], v[1:2], v[7:8], v[5:6]
	v_fma_f64 v[3:4], v[5:6], v[1:2], v[7:8]
	s_delay_alu instid0(VALU_DEP_1) | instskip(SKIP_1) | instid1(VALU_DEP_2)
	v_div_scale_f64 v[5:6], null, v[3:4], v[3:4], 1.0
	v_div_scale_f64 v[11:12], vcc_lo, 1.0, v[3:4], 1.0
	v_rcp_f64_e32 v[7:8], v[5:6]
	s_delay_alu instid0(TRANS32_DEP_1) | instskip(NEXT) | instid1(VALU_DEP_1)
	v_fma_f64 v[9:10], -v[5:6], v[7:8], 1.0
	v_fma_f64 v[7:8], v[7:8], v[9:10], v[7:8]
	s_delay_alu instid0(VALU_DEP_1) | instskip(NEXT) | instid1(VALU_DEP_1)
	v_fma_f64 v[9:10], -v[5:6], v[7:8], 1.0
	v_fma_f64 v[7:8], v[7:8], v[9:10], v[7:8]
	s_delay_alu instid0(VALU_DEP_1) | instskip(NEXT) | instid1(VALU_DEP_1)
	v_mul_f64_e32 v[9:10], v[11:12], v[7:8]
	v_fma_f64 v[5:6], -v[5:6], v[9:10], v[11:12]
	s_wait_alu 0xfffd
	s_delay_alu instid0(VALU_DEP_1) | instskip(NEXT) | instid1(VALU_DEP_1)
	v_div_fmas_f64 v[5:6], v[5:6], v[7:8], v[9:10]
	v_div_fixup_f64 v[3:4], v[5:6], v[3:4], 1.0
                                        ; implicit-def: $vgpr5_vgpr6
	s_delay_alu instid0(VALU_DEP_1) | instskip(SKIP_1) | instid1(VALU_DEP_2)
	v_mul_f64_e32 v[1:2], v[1:2], v[3:4]
	v_xor_b32_e32 v4, 0x80000000, v4
	v_xor_b32_e32 v10, 0x80000000, v2
	s_delay_alu instid0(VALU_DEP_3)
	v_mov_b32_e32 v9, v1
.LBB4_15:
	s_wait_alu 0xfffe
	s_and_not1_saveexec_b32 s3, s3
	s_cbranch_execz .LBB4_17
; %bb.16:
	v_div_scale_f64 v[1:2], null, v[5:6], v[5:6], v[7:8]
	v_div_scale_f64 v[11:12], vcc_lo, v[7:8], v[5:6], v[7:8]
	s_delay_alu instid0(VALU_DEP_2) | instskip(NEXT) | instid1(TRANS32_DEP_1)
	v_rcp_f64_e32 v[3:4], v[1:2]
	v_fma_f64 v[9:10], -v[1:2], v[3:4], 1.0
	s_delay_alu instid0(VALU_DEP_1) | instskip(NEXT) | instid1(VALU_DEP_1)
	v_fma_f64 v[3:4], v[3:4], v[9:10], v[3:4]
	v_fma_f64 v[9:10], -v[1:2], v[3:4], 1.0
	s_delay_alu instid0(VALU_DEP_1) | instskip(NEXT) | instid1(VALU_DEP_1)
	v_fma_f64 v[3:4], v[3:4], v[9:10], v[3:4]
	v_mul_f64_e32 v[9:10], v[11:12], v[3:4]
	s_delay_alu instid0(VALU_DEP_1) | instskip(SKIP_1) | instid1(VALU_DEP_1)
	v_fma_f64 v[1:2], -v[1:2], v[9:10], v[11:12]
	s_wait_alu 0xfffd
	v_div_fmas_f64 v[1:2], v[1:2], v[3:4], v[9:10]
	s_delay_alu instid0(VALU_DEP_1) | instskip(NEXT) | instid1(VALU_DEP_1)
	v_div_fixup_f64 v[3:4], v[1:2], v[5:6], v[7:8]
	v_fma_f64 v[1:2], v[7:8], v[3:4], v[5:6]
	s_delay_alu instid0(VALU_DEP_1) | instskip(NEXT) | instid1(VALU_DEP_1)
	v_div_scale_f64 v[5:6], null, v[1:2], v[1:2], 1.0
	v_rcp_f64_e32 v[7:8], v[5:6]
	s_delay_alu instid0(TRANS32_DEP_1) | instskip(NEXT) | instid1(VALU_DEP_1)
	v_fma_f64 v[9:10], -v[5:6], v[7:8], 1.0
	v_fma_f64 v[7:8], v[7:8], v[9:10], v[7:8]
	s_delay_alu instid0(VALU_DEP_1) | instskip(NEXT) | instid1(VALU_DEP_1)
	v_fma_f64 v[9:10], -v[5:6], v[7:8], 1.0
	v_fma_f64 v[7:8], v[7:8], v[9:10], v[7:8]
	v_div_scale_f64 v[9:10], vcc_lo, 1.0, v[1:2], 1.0
	s_delay_alu instid0(VALU_DEP_1) | instskip(NEXT) | instid1(VALU_DEP_1)
	v_mul_f64_e32 v[11:12], v[9:10], v[7:8]
	v_fma_f64 v[5:6], -v[5:6], v[11:12], v[9:10]
	s_wait_alu 0xfffd
	s_delay_alu instid0(VALU_DEP_1) | instskip(NEXT) | instid1(VALU_DEP_1)
	v_div_fmas_f64 v[5:6], v[5:6], v[7:8], v[11:12]
	v_div_fixup_f64 v[1:2], v[5:6], v[1:2], 1.0
	s_delay_alu instid0(VALU_DEP_1)
	v_mul_f64_e64 v[3:4], v[3:4], -v[1:2]
	v_xor_b32_e32 v10, 0x80000000, v2
	v_mov_b32_e32 v9, v1
.LBB4_17:
	s_wait_alu 0xfffe
	s_or_b32 exec_lo, exec_lo, s3
	scratch_store_b128 v25, v[1:4], off
	scratch_load_b128 v[26:29], off, s4
	v_xor_b32_e32 v12, 0x80000000, v4
	v_mov_b32_e32 v11, v3
	v_add_nc_u32_e32 v5, 0x50, v24
	ds_store_b128 v24, v[9:12]
	s_wait_loadcnt 0x0
	ds_store_b128 v24, v[26:29] offset:80
	s_wait_storecnt_dscnt 0x0
	s_barrier_signal -1
	s_barrier_wait -1
	global_inv scope:SCOPE_SE
	s_and_saveexec_b32 s3, s2
	s_cbranch_execz .LBB4_19
; %bb.18:
	scratch_load_b128 v[1:4], v25, off
	ds_load_b128 v[6:9], v5
	v_mov_b32_e32 v10, 0
	ds_load_b128 v[26:29], v10 offset:16
	s_wait_loadcnt_dscnt 0x1
	v_mul_f64_e32 v[10:11], v[6:7], v[3:4]
	v_mul_f64_e32 v[3:4], v[8:9], v[3:4]
	s_delay_alu instid0(VALU_DEP_2) | instskip(NEXT) | instid1(VALU_DEP_2)
	v_fma_f64 v[8:9], v[8:9], v[1:2], v[10:11]
	v_fma_f64 v[1:2], v[6:7], v[1:2], -v[3:4]
	s_delay_alu instid0(VALU_DEP_2) | instskip(NEXT) | instid1(VALU_DEP_2)
	v_add_f64_e32 v[3:4], 0, v[8:9]
	v_add_f64_e32 v[1:2], 0, v[1:2]
	s_wait_dscnt 0x0
	s_delay_alu instid0(VALU_DEP_2) | instskip(NEXT) | instid1(VALU_DEP_2)
	v_mul_f64_e32 v[6:7], v[3:4], v[28:29]
	v_mul_f64_e32 v[8:9], v[1:2], v[28:29]
	s_delay_alu instid0(VALU_DEP_2) | instskip(NEXT) | instid1(VALU_DEP_2)
	v_fma_f64 v[1:2], v[1:2], v[26:27], -v[6:7]
	v_fma_f64 v[3:4], v[3:4], v[26:27], v[8:9]
	scratch_store_b128 off, v[1:4], off offset:16
.LBB4_19:
	s_wait_alu 0xfffe
	s_or_b32 exec_lo, exec_lo, s3
	s_wait_loadcnt 0x0
	s_wait_storecnt 0x0
	s_barrier_signal -1
	s_barrier_wait -1
	global_inv scope:SCOPE_SE
	scratch_load_b128 v[1:4], off, s8
	s_mov_b32 s3, exec_lo
	s_wait_loadcnt 0x0
	ds_store_b128 v5, v[1:4]
	s_wait_dscnt 0x0
	s_barrier_signal -1
	s_barrier_wait -1
	global_inv scope:SCOPE_SE
	v_cmpx_gt_u32_e32 2, v23
	s_cbranch_execz .LBB4_23
; %bb.20:
	scratch_load_b128 v[1:4], v25, off
	ds_load_b128 v[6:9], v5
	s_wait_loadcnt_dscnt 0x0
	v_mul_f64_e32 v[10:11], v[8:9], v[3:4]
	v_mul_f64_e32 v[3:4], v[6:7], v[3:4]
	s_delay_alu instid0(VALU_DEP_2) | instskip(NEXT) | instid1(VALU_DEP_2)
	v_fma_f64 v[6:7], v[6:7], v[1:2], -v[10:11]
	v_fma_f64 v[3:4], v[8:9], v[1:2], v[3:4]
	s_delay_alu instid0(VALU_DEP_2) | instskip(NEXT) | instid1(VALU_DEP_2)
	v_add_f64_e32 v[1:2], 0, v[6:7]
	v_add_f64_e32 v[3:4], 0, v[3:4]
	s_and_saveexec_b32 s10, s2
	s_cbranch_execz .LBB4_22
; %bb.21:
	scratch_load_b128 v[6:9], off, off offset:16
	v_mov_b32_e32 v10, 0
	ds_load_b128 v[26:29], v10 offset:96
	s_wait_loadcnt_dscnt 0x0
	v_mul_f64_e32 v[10:11], v[26:27], v[8:9]
	v_mul_f64_e32 v[8:9], v[28:29], v[8:9]
	s_delay_alu instid0(VALU_DEP_2) | instskip(NEXT) | instid1(VALU_DEP_2)
	v_fma_f64 v[10:11], v[28:29], v[6:7], v[10:11]
	v_fma_f64 v[6:7], v[26:27], v[6:7], -v[8:9]
	s_delay_alu instid0(VALU_DEP_2) | instskip(NEXT) | instid1(VALU_DEP_2)
	v_add_f64_e32 v[3:4], v[3:4], v[10:11]
	v_add_f64_e32 v[1:2], v[1:2], v[6:7]
.LBB4_22:
	s_wait_alu 0xfffe
	s_or_b32 exec_lo, exec_lo, s10
	v_mov_b32_e32 v6, 0
	ds_load_b128 v[6:9], v6 offset:32
	s_wait_dscnt 0x0
	v_mul_f64_e32 v[10:11], v[3:4], v[8:9]
	v_mul_f64_e32 v[8:9], v[1:2], v[8:9]
	s_delay_alu instid0(VALU_DEP_2) | instskip(NEXT) | instid1(VALU_DEP_2)
	v_fma_f64 v[1:2], v[1:2], v[6:7], -v[10:11]
	v_fma_f64 v[3:4], v[3:4], v[6:7], v[8:9]
	scratch_store_b128 off, v[1:4], off offset:32
.LBB4_23:
	s_wait_alu 0xfffe
	s_or_b32 exec_lo, exec_lo, s3
	s_wait_loadcnt 0x0
	s_wait_storecnt 0x0
	s_barrier_signal -1
	s_barrier_wait -1
	global_inv scope:SCOPE_SE
	scratch_load_b128 v[1:4], off, s5
	v_add_nc_u32_e32 v6, -1, v23
	s_mov_b32 s2, exec_lo
	s_wait_loadcnt 0x0
	ds_store_b128 v5, v[1:4]
	s_wait_dscnt 0x0
	s_barrier_signal -1
	s_barrier_wait -1
	global_inv scope:SCOPE_SE
	v_cmpx_gt_u32_e32 3, v23
	s_cbranch_execz .LBB4_27
; %bb.24:
	v_dual_mov_b32 v1, 0 :: v_dual_add_nc_u32 v8, 0x50, v24
	v_mov_b32_e32 v3, 0
	v_dual_mov_b32 v2, 0 :: v_dual_add_nc_u32 v7, -1, v23
	v_mov_b32_e32 v4, 0
	v_or_b32_e32 v9, 8, v25
	s_mov_b32 s3, 0
.LBB4_25:                               ; =>This Inner Loop Header: Depth=1
	scratch_load_b128 v[26:29], v9, off offset:-8
	ds_load_b128 v[30:33], v8
	v_add_nc_u32_e32 v7, 1, v7
	v_add_nc_u32_e32 v8, 16, v8
	;; [unrolled: 1-line block ×3, first 2 shown]
	s_delay_alu instid0(VALU_DEP_3)
	v_cmp_lt_u32_e32 vcc_lo, 1, v7
	s_wait_alu 0xfffe
	s_or_b32 s3, vcc_lo, s3
	s_wait_loadcnt_dscnt 0x0
	v_mul_f64_e32 v[10:11], v[32:33], v[28:29]
	v_mul_f64_e32 v[28:29], v[30:31], v[28:29]
	s_delay_alu instid0(VALU_DEP_2) | instskip(NEXT) | instid1(VALU_DEP_2)
	v_fma_f64 v[10:11], v[30:31], v[26:27], -v[10:11]
	v_fma_f64 v[26:27], v[32:33], v[26:27], v[28:29]
	s_delay_alu instid0(VALU_DEP_2) | instskip(NEXT) | instid1(VALU_DEP_2)
	v_add_f64_e32 v[3:4], v[3:4], v[10:11]
	v_add_f64_e32 v[1:2], v[1:2], v[26:27]
	s_wait_alu 0xfffe
	s_and_not1_b32 exec_lo, exec_lo, s3
	s_cbranch_execnz .LBB4_25
; %bb.26:
	s_or_b32 exec_lo, exec_lo, s3
	v_mov_b32_e32 v7, 0
	ds_load_b128 v[7:10], v7 offset:48
	s_wait_dscnt 0x0
	v_mul_f64_e32 v[11:12], v[1:2], v[9:10]
	v_mul_f64_e32 v[26:27], v[3:4], v[9:10]
	s_delay_alu instid0(VALU_DEP_2) | instskip(NEXT) | instid1(VALU_DEP_2)
	v_fma_f64 v[9:10], v[3:4], v[7:8], -v[11:12]
	v_fma_f64 v[11:12], v[1:2], v[7:8], v[26:27]
	scratch_store_b128 off, v[9:12], off offset:48
.LBB4_27:
	s_wait_alu 0xfffe
	s_or_b32 exec_lo, exec_lo, s2
	s_wait_loadcnt 0x0
	s_wait_storecnt 0x0
	s_barrier_signal -1
	s_barrier_wait -1
	global_inv scope:SCOPE_SE
	scratch_load_b128 v[1:4], off, s9
	s_mov_b32 s2, exec_lo
	s_wait_loadcnt 0x0
	ds_store_b128 v5, v[1:4]
	s_wait_dscnt 0x0
	s_barrier_signal -1
	s_barrier_wait -1
	global_inv scope:SCOPE_SE
	v_cmpx_ne_u32_e32 4, v23
	s_cbranch_execz .LBB4_31
; %bb.28:
	v_mov_b32_e32 v1, 0
	v_dual_mov_b32 v2, 0 :: v_dual_mov_b32 v3, 0
	v_mov_b32_e32 v4, 0
	v_or_b32_e32 v7, 8, v25
	s_mov_b32 s3, 0
.LBB4_29:                               ; =>This Inner Loop Header: Depth=1
	scratch_load_b128 v[8:11], v7, off offset:-8
	ds_load_b128 v[24:27], v5
	v_add_nc_u32_e32 v6, 1, v6
	v_add_nc_u32_e32 v5, 16, v5
	;; [unrolled: 1-line block ×3, first 2 shown]
	s_delay_alu instid0(VALU_DEP_3)
	v_cmp_lt_u32_e32 vcc_lo, 2, v6
	s_wait_alu 0xfffe
	s_or_b32 s3, vcc_lo, s3
	s_wait_loadcnt_dscnt 0x0
	v_mul_f64_e32 v[28:29], v[26:27], v[10:11]
	v_mul_f64_e32 v[10:11], v[24:25], v[10:11]
	s_delay_alu instid0(VALU_DEP_2) | instskip(NEXT) | instid1(VALU_DEP_2)
	v_fma_f64 v[24:25], v[24:25], v[8:9], -v[28:29]
	v_fma_f64 v[8:9], v[26:27], v[8:9], v[10:11]
	s_delay_alu instid0(VALU_DEP_2) | instskip(NEXT) | instid1(VALU_DEP_2)
	v_add_f64_e32 v[3:4], v[3:4], v[24:25]
	v_add_f64_e32 v[1:2], v[1:2], v[8:9]
	s_wait_alu 0xfffe
	s_and_not1_b32 exec_lo, exec_lo, s3
	s_cbranch_execnz .LBB4_29
; %bb.30:
	s_or_b32 exec_lo, exec_lo, s3
	v_mov_b32_e32 v5, 0
	ds_load_b128 v[5:8], v5 offset:64
	s_wait_dscnt 0x0
	v_mul_f64_e32 v[9:10], v[1:2], v[7:8]
	v_mul_f64_e32 v[7:8], v[3:4], v[7:8]
	s_delay_alu instid0(VALU_DEP_2) | instskip(NEXT) | instid1(VALU_DEP_2)
	v_fma_f64 v[3:4], v[3:4], v[5:6], -v[9:10]
	v_fma_f64 v[5:6], v[1:2], v[5:6], v[7:8]
	scratch_store_b128 off, v[3:6], off offset:64
.LBB4_31:
	s_wait_alu 0xfffe
	s_or_b32 exec_lo, exec_lo, s2
	s_mov_b32 s3, -1
	s_wait_loadcnt 0x0
	s_wait_storecnt 0x0
	s_barrier_signal -1
	s_barrier_wait -1
	global_inv scope:SCOPE_SE
.LBB4_32:
	s_wait_alu 0xfffe
	s_and_b32 vcc_lo, exec_lo, s3
	s_wait_alu 0xfffe
	s_cbranch_vccz .LBB4_34
; %bb.33:
	v_mov_b32_e32 v1, 0
	s_lshl_b64 s[2:3], s[18:19], 2
	s_wait_alu 0xfffe
	s_add_nc_u64 s[2:3], s[6:7], s[2:3]
	global_load_b32 v1, v1, s[2:3]
	s_wait_loadcnt 0x0
	v_cmp_ne_u32_e32 vcc_lo, 0, v1
	s_cbranch_vccz .LBB4_35
.LBB4_34:
	s_endpgm
.LBB4_35:
	v_lshl_add_u32 v5, v23, 4, 0x50
	s_mov_b32 s2, exec_lo
	v_cmpx_eq_u32_e32 4, v23
	s_cbranch_execz .LBB4_37
; %bb.36:
	scratch_load_b128 v[1:4], off, s5
	v_mov_b32_e32 v6, 0
	s_delay_alu instid0(VALU_DEP_1)
	v_dual_mov_b32 v7, v6 :: v_dual_mov_b32 v8, v6
	v_mov_b32_e32 v9, v6
	scratch_store_b128 off, v[6:9], off offset:48
	s_wait_loadcnt 0x0
	ds_store_b128 v5, v[1:4]
.LBB4_37:
	s_wait_alu 0xfffe
	s_or_b32 exec_lo, exec_lo, s2
	s_wait_storecnt_dscnt 0x0
	s_barrier_signal -1
	s_barrier_wait -1
	global_inv scope:SCOPE_SE
	s_clause 0x1
	scratch_load_b128 v[6:9], off, off offset:64
	scratch_load_b128 v[24:27], off, off offset:48
	v_mov_b32_e32 v1, 0
	s_mov_b32 s2, exec_lo
	ds_load_b128 v[28:31], v1 offset:144
	s_wait_loadcnt_dscnt 0x100
	v_mul_f64_e32 v[2:3], v[30:31], v[8:9]
	v_mul_f64_e32 v[8:9], v[28:29], v[8:9]
	s_delay_alu instid0(VALU_DEP_2) | instskip(NEXT) | instid1(VALU_DEP_2)
	v_fma_f64 v[2:3], v[28:29], v[6:7], -v[2:3]
	v_fma_f64 v[6:7], v[30:31], v[6:7], v[8:9]
	s_delay_alu instid0(VALU_DEP_2) | instskip(NEXT) | instid1(VALU_DEP_2)
	v_add_f64_e32 v[2:3], 0, v[2:3]
	v_add_f64_e32 v[8:9], 0, v[6:7]
	s_wait_loadcnt 0x0
	s_delay_alu instid0(VALU_DEP_2) | instskip(NEXT) | instid1(VALU_DEP_2)
	v_add_f64_e64 v[6:7], v[24:25], -v[2:3]
	v_add_f64_e64 v[8:9], v[26:27], -v[8:9]
	scratch_store_b128 off, v[6:9], off offset:48
	v_cmpx_lt_u32_e32 2, v23
	s_cbranch_execz .LBB4_39
; %bb.38:
	scratch_load_b128 v[6:9], off, s8
	v_dual_mov_b32 v2, v1 :: v_dual_mov_b32 v3, v1
	v_mov_b32_e32 v4, v1
	scratch_store_b128 off, v[1:4], off offset:32
	s_wait_loadcnt 0x0
	ds_store_b128 v5, v[6:9]
.LBB4_39:
	s_wait_alu 0xfffe
	s_or_b32 exec_lo, exec_lo, s2
	s_wait_storecnt_dscnt 0x0
	s_barrier_signal -1
	s_barrier_wait -1
	global_inv scope:SCOPE_SE
	s_clause 0x2
	scratch_load_b128 v[6:9], off, off offset:48
	scratch_load_b128 v[24:27], off, off offset:64
	;; [unrolled: 1-line block ×3, first 2 shown]
	ds_load_b128 v[32:35], v1 offset:128
	ds_load_b128 v[1:4], v1 offset:144
	s_mov_b32 s2, exec_lo
	s_wait_loadcnt_dscnt 0x201
	v_mul_f64_e32 v[10:11], v[34:35], v[8:9]
	v_mul_f64_e32 v[8:9], v[32:33], v[8:9]
	s_wait_loadcnt_dscnt 0x100
	v_mul_f64_e32 v[36:37], v[1:2], v[26:27]
	v_mul_f64_e32 v[26:27], v[3:4], v[26:27]
	s_delay_alu instid0(VALU_DEP_4) | instskip(NEXT) | instid1(VALU_DEP_4)
	v_fma_f64 v[10:11], v[32:33], v[6:7], -v[10:11]
	v_fma_f64 v[6:7], v[34:35], v[6:7], v[8:9]
	s_delay_alu instid0(VALU_DEP_4) | instskip(NEXT) | instid1(VALU_DEP_4)
	v_fma_f64 v[3:4], v[3:4], v[24:25], v[36:37]
	v_fma_f64 v[1:2], v[1:2], v[24:25], -v[26:27]
	s_delay_alu instid0(VALU_DEP_4) | instskip(NEXT) | instid1(VALU_DEP_4)
	v_add_f64_e32 v[8:9], 0, v[10:11]
	v_add_f64_e32 v[6:7], 0, v[6:7]
	s_delay_alu instid0(VALU_DEP_2) | instskip(NEXT) | instid1(VALU_DEP_2)
	v_add_f64_e32 v[1:2], v[8:9], v[1:2]
	v_add_f64_e32 v[3:4], v[6:7], v[3:4]
	s_wait_loadcnt 0x0
	s_delay_alu instid0(VALU_DEP_2) | instskip(NEXT) | instid1(VALU_DEP_2)
	v_add_f64_e64 v[1:2], v[28:29], -v[1:2]
	v_add_f64_e64 v[3:4], v[30:31], -v[3:4]
	scratch_store_b128 off, v[1:4], off offset:32
	v_cmpx_lt_u32_e32 1, v23
	s_cbranch_execz .LBB4_41
; %bb.40:
	scratch_load_b128 v[1:4], off, s4
	v_mov_b32_e32 v6, 0
	s_delay_alu instid0(VALU_DEP_1)
	v_dual_mov_b32 v7, v6 :: v_dual_mov_b32 v8, v6
	v_mov_b32_e32 v9, v6
	scratch_store_b128 off, v[6:9], off offset:16
	s_wait_loadcnt 0x0
	ds_store_b128 v5, v[1:4]
.LBB4_41:
	s_wait_alu 0xfffe
	s_or_b32 exec_lo, exec_lo, s2
	s_wait_storecnt_dscnt 0x0
	s_barrier_signal -1
	s_barrier_wait -1
	global_inv scope:SCOPE_SE
	s_clause 0x3
	scratch_load_b128 v[6:9], off, off offset:32
	scratch_load_b128 v[24:27], off, off offset:48
	;; [unrolled: 1-line block ×4, first 2 shown]
	v_mov_b32_e32 v1, 0
	ds_load_b128 v[36:39], v1 offset:112
	ds_load_b128 v[40:43], v1 offset:128
	s_mov_b32 s2, exec_lo
	s_wait_loadcnt_dscnt 0x301
	v_mul_f64_e32 v[2:3], v[38:39], v[8:9]
	v_mul_f64_e32 v[8:9], v[36:37], v[8:9]
	s_wait_loadcnt_dscnt 0x200
	v_mul_f64_e32 v[10:11], v[40:41], v[26:27]
	v_mul_f64_e32 v[26:27], v[42:43], v[26:27]
	s_delay_alu instid0(VALU_DEP_4) | instskip(NEXT) | instid1(VALU_DEP_4)
	v_fma_f64 v[2:3], v[36:37], v[6:7], -v[2:3]
	v_fma_f64 v[36:37], v[38:39], v[6:7], v[8:9]
	ds_load_b128 v[6:9], v1 offset:144
	v_fma_f64 v[10:11], v[42:43], v[24:25], v[10:11]
	v_fma_f64 v[24:25], v[40:41], v[24:25], -v[26:27]
	s_wait_loadcnt_dscnt 0x100
	v_mul_f64_e32 v[38:39], v[6:7], v[30:31]
	v_mul_f64_e32 v[30:31], v[8:9], v[30:31]
	v_add_f64_e32 v[2:3], 0, v[2:3]
	v_add_f64_e32 v[26:27], 0, v[36:37]
	s_delay_alu instid0(VALU_DEP_4) | instskip(NEXT) | instid1(VALU_DEP_4)
	v_fma_f64 v[8:9], v[8:9], v[28:29], v[38:39]
	v_fma_f64 v[6:7], v[6:7], v[28:29], -v[30:31]
	s_delay_alu instid0(VALU_DEP_4) | instskip(NEXT) | instid1(VALU_DEP_4)
	v_add_f64_e32 v[2:3], v[2:3], v[24:25]
	v_add_f64_e32 v[10:11], v[26:27], v[10:11]
	s_delay_alu instid0(VALU_DEP_2) | instskip(NEXT) | instid1(VALU_DEP_2)
	v_add_f64_e32 v[2:3], v[2:3], v[6:7]
	v_add_f64_e32 v[8:9], v[10:11], v[8:9]
	s_wait_loadcnt 0x0
	s_delay_alu instid0(VALU_DEP_2) | instskip(NEXT) | instid1(VALU_DEP_2)
	v_add_f64_e64 v[6:7], v[32:33], -v[2:3]
	v_add_f64_e64 v[8:9], v[34:35], -v[8:9]
	scratch_store_b128 off, v[6:9], off offset:16
	v_cmpx_ne_u32_e32 0, v23
	s_cbranch_execz .LBB4_43
; %bb.42:
	scratch_load_b128 v[6:9], off, off
	v_dual_mov_b32 v2, v1 :: v_dual_mov_b32 v3, v1
	v_mov_b32_e32 v4, v1
	scratch_store_b128 off, v[1:4], off
	s_wait_loadcnt 0x0
	ds_store_b128 v5, v[6:9]
.LBB4_43:
	s_wait_alu 0xfffe
	s_or_b32 exec_lo, exec_lo, s2
	s_wait_storecnt_dscnt 0x0
	s_barrier_signal -1
	s_barrier_wait -1
	global_inv scope:SCOPE_SE
	s_clause 0x4
	scratch_load_b128 v[2:5], off, off offset:16
	scratch_load_b128 v[6:9], off, off offset:32
	;; [unrolled: 1-line block ×4, first 2 shown]
	scratch_load_b128 v[32:35], off, off
	ds_load_b128 v[36:39], v1 offset:96
	ds_load_b128 v[40:43], v1 offset:112
	s_and_b32 vcc_lo, exec_lo, s20
	s_wait_loadcnt_dscnt 0x401
	v_mul_f64_e32 v[10:11], v[38:39], v[4:5]
	v_mul_f64_e32 v[4:5], v[36:37], v[4:5]
	s_wait_loadcnt_dscnt 0x300
	v_mul_f64_e32 v[44:45], v[40:41], v[8:9]
	v_mul_f64_e32 v[46:47], v[42:43], v[8:9]
	s_delay_alu instid0(VALU_DEP_4) | instskip(NEXT) | instid1(VALU_DEP_4)
	v_fma_f64 v[36:37], v[36:37], v[2:3], -v[10:11]
	v_fma_f64 v[38:39], v[38:39], v[2:3], v[4:5]
	ds_load_b128 v[2:5], v1 offset:128
	ds_load_b128 v[8:11], v1 offset:144
	v_fma_f64 v[42:43], v[42:43], v[6:7], v[44:45]
	v_fma_f64 v[6:7], v[40:41], v[6:7], -v[46:47]
	s_wait_loadcnt_dscnt 0x201
	v_mul_f64_e32 v[48:49], v[2:3], v[26:27]
	v_mul_f64_e32 v[26:27], v[4:5], v[26:27]
	s_wait_loadcnt_dscnt 0x100
	v_mul_f64_e32 v[40:41], v[8:9], v[30:31]
	v_mul_f64_e32 v[30:31], v[10:11], v[30:31]
	v_add_f64_e32 v[36:37], 0, v[36:37]
	v_add_f64_e32 v[38:39], 0, v[38:39]
	v_fma_f64 v[4:5], v[4:5], v[24:25], v[48:49]
	v_fma_f64 v[1:2], v[2:3], v[24:25], -v[26:27]
	v_fma_f64 v[10:11], v[10:11], v[28:29], v[40:41]
	v_fma_f64 v[8:9], v[8:9], v[28:29], -v[30:31]
	v_add_f64_e32 v[6:7], v[36:37], v[6:7]
	v_add_f64_e32 v[24:25], v[38:39], v[42:43]
	s_delay_alu instid0(VALU_DEP_2) | instskip(NEXT) | instid1(VALU_DEP_2)
	v_add_f64_e32 v[1:2], v[6:7], v[1:2]
	v_add_f64_e32 v[3:4], v[24:25], v[4:5]
	s_delay_alu instid0(VALU_DEP_2) | instskip(NEXT) | instid1(VALU_DEP_2)
	v_add_f64_e32 v[1:2], v[1:2], v[8:9]
	v_add_f64_e32 v[3:4], v[3:4], v[10:11]
	s_wait_loadcnt 0x0
	s_delay_alu instid0(VALU_DEP_2) | instskip(NEXT) | instid1(VALU_DEP_2)
	v_add_f64_e64 v[1:2], v[32:33], -v[1:2]
	v_add_f64_e64 v[3:4], v[34:35], -v[3:4]
	scratch_store_b128 off, v[1:4], off
	s_wait_alu 0xfffe
	s_cbranch_vccz .LBB4_52
; %bb.44:
	v_mov_b32_e32 v1, 0
	s_load_b64 s[0:1], s[0:1], 0x4
	v_bfe_u32 v3, v0, 10, 10
	v_bfe_u32 v0, v0, 20, 10
	global_load_b32 v2, v1, s[16:17] offset:12
	s_wait_kmcnt 0x0
	s_lshr_b32 s0, s0, 16
	v_mul_u32_u24_e32 v3, s1, v3
	s_mul_i32 s0, s0, s1
	s_wait_alu 0xfffe
	v_mul_u32_u24_e32 v4, s0, v23
	s_delay_alu instid0(VALU_DEP_1) | instskip(NEXT) | instid1(VALU_DEP_1)
	v_add3_u32 v0, v4, v3, v0
	v_lshl_add_u32 v0, v0, 4, 0xa8
	s_wait_loadcnt 0x0
	v_cmp_ne_u32_e32 vcc_lo, 4, v2
	s_cbranch_vccz .LBB4_46
; %bb.45:
	v_lshlrev_b32_e32 v2, 4, v2
	s_delay_alu instid0(VALU_DEP_1)
	v_mov_b32_e32 v10, v2
	s_clause 0x1
	scratch_load_b128 v[2:5], off, s5
	scratch_load_b128 v[6:9], v10, off offset:-16
	s_wait_loadcnt 0x1
	ds_store_2addr_b64 v0, v[2:3], v[4:5] offset1:1
	s_wait_loadcnt 0x0
	s_clause 0x1
	scratch_store_b128 off, v[6:9], s5
	scratch_store_b128 v10, v[2:5], off offset:-16
.LBB4_46:
	global_load_b32 v1, v1, s[16:17] offset:8
	s_wait_loadcnt 0x0
	v_cmp_eq_u32_e32 vcc_lo, 3, v1
	s_cbranch_vccnz .LBB4_48
; %bb.47:
	v_lshlrev_b32_e32 v1, 4, v1
	s_delay_alu instid0(VALU_DEP_1)
	v_mov_b32_e32 v9, v1
	s_clause 0x1
	scratch_load_b128 v[1:4], off, s8
	scratch_load_b128 v[5:8], v9, off offset:-16
	s_wait_loadcnt 0x1
	ds_store_2addr_b64 v0, v[1:2], v[3:4] offset1:1
	s_wait_loadcnt 0x0
	s_clause 0x1
	scratch_store_b128 off, v[5:8], s8
	scratch_store_b128 v9, v[1:4], off offset:-16
.LBB4_48:
	v_mov_b32_e32 v1, 0
	global_load_b32 v2, v1, s[16:17] offset:4
	s_wait_loadcnt 0x0
	v_cmp_eq_u32_e32 vcc_lo, 2, v2
	s_cbranch_vccnz .LBB4_50
; %bb.49:
	v_lshlrev_b32_e32 v2, 4, v2
	s_delay_alu instid0(VALU_DEP_1)
	v_mov_b32_e32 v10, v2
	s_clause 0x1
	scratch_load_b128 v[2:5], off, s4
	scratch_load_b128 v[6:9], v10, off offset:-16
	s_wait_loadcnt 0x1
	ds_store_2addr_b64 v0, v[2:3], v[4:5] offset1:1
	s_wait_loadcnt 0x0
	s_clause 0x1
	scratch_store_b128 off, v[6:9], s4
	scratch_store_b128 v10, v[2:5], off offset:-16
.LBB4_50:
	global_load_b32 v1, v1, s[16:17]
	s_wait_loadcnt 0x0
	v_cmp_eq_u32_e32 vcc_lo, 1, v1
	s_cbranch_vccnz .LBB4_52
; %bb.51:
	v_lshlrev_b32_e32 v1, 4, v1
	s_delay_alu instid0(VALU_DEP_1)
	v_mov_b32_e32 v9, v1
	scratch_load_b128 v[1:4], off, off
	scratch_load_b128 v[5:8], v9, off offset:-16
	s_wait_loadcnt 0x1
	ds_store_2addr_b64 v0, v[1:2], v[3:4] offset1:1
	s_wait_loadcnt 0x0
	scratch_store_b128 off, v[5:8], off
	scratch_store_b128 v9, v[1:4], off offset:-16
.LBB4_52:
	scratch_load_b128 v[0:3], off, off
	s_clause 0x3
	scratch_load_b128 v[4:7], off, s4
	scratch_load_b128 v[8:11], off, s8
	;; [unrolled: 1-line block ×4, first 2 shown]
	s_wait_loadcnt 0x4
	global_store_b128 v[13:14], v[0:3], off
	s_wait_loadcnt 0x3
	global_store_b128 v[15:16], v[4:7], off
	;; [unrolled: 2-line block ×5, first 2 shown]
	s_endpgm
	.section	.rodata,"a",@progbits
	.p2align	6, 0x0
	.amdhsa_kernel _ZN9rocsolver6v33100L18getri_kernel_smallILi5E19rocblas_complex_numIdEPS3_EEvT1_iilPiilS6_bb
		.amdhsa_group_segment_fixed_size 1192
		.amdhsa_private_segment_fixed_size 96
		.amdhsa_kernarg_size 60
		.amdhsa_user_sgpr_count 4
		.amdhsa_user_sgpr_dispatch_ptr 1
		.amdhsa_user_sgpr_queue_ptr 0
		.amdhsa_user_sgpr_kernarg_segment_ptr 1
		.amdhsa_user_sgpr_dispatch_id 0
		.amdhsa_user_sgpr_private_segment_size 0
		.amdhsa_wavefront_size32 1
		.amdhsa_uses_dynamic_stack 0
		.amdhsa_enable_private_segment 1
		.amdhsa_system_sgpr_workgroup_id_x 1
		.amdhsa_system_sgpr_workgroup_id_y 0
		.amdhsa_system_sgpr_workgroup_id_z 0
		.amdhsa_system_sgpr_workgroup_info 0
		.amdhsa_system_vgpr_workitem_id 2
		.amdhsa_next_free_vgpr 50
		.amdhsa_next_free_sgpr 21
		.amdhsa_reserve_vcc 1
		.amdhsa_float_round_mode_32 0
		.amdhsa_float_round_mode_16_64 0
		.amdhsa_float_denorm_mode_32 3
		.amdhsa_float_denorm_mode_16_64 3
		.amdhsa_fp16_overflow 0
		.amdhsa_workgroup_processor_mode 1
		.amdhsa_memory_ordered 1
		.amdhsa_forward_progress 1
		.amdhsa_inst_pref_size 35
		.amdhsa_round_robin_scheduling 0
		.amdhsa_exception_fp_ieee_invalid_op 0
		.amdhsa_exception_fp_denorm_src 0
		.amdhsa_exception_fp_ieee_div_zero 0
		.amdhsa_exception_fp_ieee_overflow 0
		.amdhsa_exception_fp_ieee_underflow 0
		.amdhsa_exception_fp_ieee_inexact 0
		.amdhsa_exception_int_div_zero 0
	.end_amdhsa_kernel
	.section	.text._ZN9rocsolver6v33100L18getri_kernel_smallILi5E19rocblas_complex_numIdEPS3_EEvT1_iilPiilS6_bb,"axG",@progbits,_ZN9rocsolver6v33100L18getri_kernel_smallILi5E19rocblas_complex_numIdEPS3_EEvT1_iilPiilS6_bb,comdat
.Lfunc_end4:
	.size	_ZN9rocsolver6v33100L18getri_kernel_smallILi5E19rocblas_complex_numIdEPS3_EEvT1_iilPiilS6_bb, .Lfunc_end4-_ZN9rocsolver6v33100L18getri_kernel_smallILi5E19rocblas_complex_numIdEPS3_EEvT1_iilPiilS6_bb
                                        ; -- End function
	.set _ZN9rocsolver6v33100L18getri_kernel_smallILi5E19rocblas_complex_numIdEPS3_EEvT1_iilPiilS6_bb.num_vgpr, 50
	.set _ZN9rocsolver6v33100L18getri_kernel_smallILi5E19rocblas_complex_numIdEPS3_EEvT1_iilPiilS6_bb.num_agpr, 0
	.set _ZN9rocsolver6v33100L18getri_kernel_smallILi5E19rocblas_complex_numIdEPS3_EEvT1_iilPiilS6_bb.numbered_sgpr, 21
	.set _ZN9rocsolver6v33100L18getri_kernel_smallILi5E19rocblas_complex_numIdEPS3_EEvT1_iilPiilS6_bb.num_named_barrier, 0
	.set _ZN9rocsolver6v33100L18getri_kernel_smallILi5E19rocblas_complex_numIdEPS3_EEvT1_iilPiilS6_bb.private_seg_size, 96
	.set _ZN9rocsolver6v33100L18getri_kernel_smallILi5E19rocblas_complex_numIdEPS3_EEvT1_iilPiilS6_bb.uses_vcc, 1
	.set _ZN9rocsolver6v33100L18getri_kernel_smallILi5E19rocblas_complex_numIdEPS3_EEvT1_iilPiilS6_bb.uses_flat_scratch, 1
	.set _ZN9rocsolver6v33100L18getri_kernel_smallILi5E19rocblas_complex_numIdEPS3_EEvT1_iilPiilS6_bb.has_dyn_sized_stack, 0
	.set _ZN9rocsolver6v33100L18getri_kernel_smallILi5E19rocblas_complex_numIdEPS3_EEvT1_iilPiilS6_bb.has_recursion, 0
	.set _ZN9rocsolver6v33100L18getri_kernel_smallILi5E19rocblas_complex_numIdEPS3_EEvT1_iilPiilS6_bb.has_indirect_call, 0
	.section	.AMDGPU.csdata,"",@progbits
; Kernel info:
; codeLenInByte = 4476
; TotalNumSgprs: 23
; NumVgprs: 50
; ScratchSize: 96
; MemoryBound: 0
; FloatMode: 240
; IeeeMode: 1
; LDSByteSize: 1192 bytes/workgroup (compile time only)
; SGPRBlocks: 0
; VGPRBlocks: 6
; NumSGPRsForWavesPerEU: 23
; NumVGPRsForWavesPerEU: 50
; Occupancy: 16
; WaveLimiterHint : 0
; COMPUTE_PGM_RSRC2:SCRATCH_EN: 1
; COMPUTE_PGM_RSRC2:USER_SGPR: 4
; COMPUTE_PGM_RSRC2:TRAP_HANDLER: 0
; COMPUTE_PGM_RSRC2:TGID_X_EN: 1
; COMPUTE_PGM_RSRC2:TGID_Y_EN: 0
; COMPUTE_PGM_RSRC2:TGID_Z_EN: 0
; COMPUTE_PGM_RSRC2:TIDIG_COMP_CNT: 2
	.section	.text._ZN9rocsolver6v33100L18getri_kernel_smallILi6E19rocblas_complex_numIdEPS3_EEvT1_iilPiilS6_bb,"axG",@progbits,_ZN9rocsolver6v33100L18getri_kernel_smallILi6E19rocblas_complex_numIdEPS3_EEvT1_iilPiilS6_bb,comdat
	.globl	_ZN9rocsolver6v33100L18getri_kernel_smallILi6E19rocblas_complex_numIdEPS3_EEvT1_iilPiilS6_bb ; -- Begin function _ZN9rocsolver6v33100L18getri_kernel_smallILi6E19rocblas_complex_numIdEPS3_EEvT1_iilPiilS6_bb
	.p2align	8
	.type	_ZN9rocsolver6v33100L18getri_kernel_smallILi6E19rocblas_complex_numIdEPS3_EEvT1_iilPiilS6_bb,@function
_ZN9rocsolver6v33100L18getri_kernel_smallILi6E19rocblas_complex_numIdEPS3_EEvT1_iilPiilS6_bb: ; @_ZN9rocsolver6v33100L18getri_kernel_smallILi6E19rocblas_complex_numIdEPS3_EEvT1_iilPiilS6_bb
; %bb.0:
	v_and_b32_e32 v25, 0x3ff, v0
	s_mov_b32 s4, exec_lo
	s_delay_alu instid0(VALU_DEP_1)
	v_cmpx_gt_u32_e32 6, v25
	s_cbranch_execz .LBB5_38
; %bb.1:
	s_clause 0x2
	s_load_b32 s8, s[2:3], 0x38
	s_load_b128 s[12:15], s[2:3], 0x10
	s_load_b128 s[4:7], s[2:3], 0x28
	s_mov_b32 s18, ttmp9
                                        ; implicit-def: $sgpr16_sgpr17
	s_wait_kmcnt 0x0
	s_bitcmp1_b32 s8, 8
	s_cselect_b32 s20, -1, 0
	s_bfe_u32 s8, s8, 0x10008
	s_ashr_i32 s19, ttmp9, 31
	s_cmp_eq_u32 s8, 0
	s_cbranch_scc1 .LBB5_3
; %bb.2:
	s_load_b32 s8, s[2:3], 0x20
	s_mul_u64 s[4:5], s[4:5], s[18:19]
	s_delay_alu instid0(SALU_CYCLE_1) | instskip(NEXT) | instid1(SALU_CYCLE_1)
	s_lshl_b64 s[4:5], s[4:5], 2
	s_add_nc_u64 s[4:5], s[14:15], s[4:5]
	s_wait_kmcnt 0x0
	s_ashr_i32 s9, s8, 31
	s_delay_alu instid0(SALU_CYCLE_1) | instskip(NEXT) | instid1(SALU_CYCLE_1)
	s_lshl_b64 s[8:9], s[8:9], 2
	s_add_nc_u64 s[16:17], s[4:5], s[8:9]
.LBB5_3:
	s_clause 0x1
	s_load_b128 s[8:11], s[2:3], 0x0
	s_load_b32 s14, s[2:3], 0x38
	s_mul_u64 s[2:3], s[12:13], s[18:19]
	v_lshlrev_b32_e32 v26, 4, v25
	s_lshl_b64 s[2:3], s[2:3], 4
	s_wait_kmcnt 0x0
	v_add3_u32 v5, s11, s11, v25
	s_ashr_i32 s5, s10, 31
	s_mov_b32 s4, s10
	s_add_nc_u64 s[2:3], s[8:9], s[2:3]
	s_lshl_b64 s[4:5], s[4:5], 4
	v_add_nc_u32_e32 v7, s11, v5
	v_ashrrev_i32_e32 v6, 31, v5
	s_add_nc_u64 s[2:3], s[2:3], s[4:5]
	s_ashr_i32 s9, s11, 31
	v_add_co_u32 v13, s4, s2, v26
	v_add_nc_u32_e32 v9, s11, v7
	v_ashrrev_i32_e32 v8, 31, v7
	s_mov_b32 s8, s11
	v_lshlrev_b64_e32 v[5:6], 4, v[5:6]
	v_add_co_ci_u32_e64 v14, null, s3, 0, s4
	v_add_nc_u32_e32 v21, s11, v9
	v_ashrrev_i32_e32 v10, 31, v9
	s_lshl_b64 s[8:9], s[8:9], 4
	v_lshlrev_b64_e32 v[7:8], 4, v[7:8]
	v_add_co_u32 v15, vcc_lo, v13, s8
	v_ashrrev_i32_e32 v22, 31, v21
	v_lshlrev_b64_e32 v[23:24], 4, v[9:10]
	v_add_co_ci_u32_e64 v16, null, s9, v14, vcc_lo
	v_add_co_u32 v17, vcc_lo, s2, v5
	s_delay_alu instid0(VALU_DEP_4)
	v_lshlrev_b64_e32 v[31:32], 4, v[21:22]
	s_wait_alu 0xfffd
	v_add_co_ci_u32_e64 v18, null, s3, v6, vcc_lo
	v_add_co_u32 v19, vcc_lo, s2, v7
	s_wait_alu 0xfffd
	v_add_co_ci_u32_e64 v20, null, s3, v8, vcc_lo
	v_add_co_u32 v21, vcc_lo, s2, v23
	;; [unrolled: 3-line block ×3, first 2 shown]
	s_wait_alu 0xfffd
	v_add_co_ci_u32_e64 v24, null, s3, v32, vcc_lo
	s_clause 0x5
	global_load_b128 v[1:4], v26, s[2:3]
	global_load_b128 v[5:8], v[15:16], off
	global_load_b128 v[9:12], v[17:18], off
	global_load_b128 v[27:30], v[19:20], off
	global_load_b128 v[31:34], v[21:22], off
	global_load_b128 v[35:38], v[23:24], off
	s_mov_b32 s4, 16
	s_mov_b32 s8, 32
	s_mov_b32 s5, 48
	s_movk_i32 s9, 0x50
	s_mov_b32 s10, 64
	s_mov_b32 s3, -1
	s_bitcmp0_b32 s14, 0
	s_wait_loadcnt 0x5
	scratch_store_b128 off, v[1:4], off
	s_wait_loadcnt 0x4
	scratch_store_b128 off, v[5:8], off offset:16
	s_wait_loadcnt 0x3
	scratch_store_b128 off, v[9:12], off offset:32
	;; [unrolled: 2-line block ×5, first 2 shown]
	s_cbranch_scc1 .LBB5_36
; %bb.4:
	v_cmp_eq_u32_e64 s2, 0, v25
	s_and_saveexec_b32 s3, s2
; %bb.5:
	v_mov_b32_e32 v1, 0
	ds_store_b32 v1, v1 offset:192
; %bb.6:
	s_wait_alu 0xfffe
	s_or_b32 exec_lo, exec_lo, s3
	s_wait_storecnt_dscnt 0x0
	s_barrier_signal -1
	s_barrier_wait -1
	global_inv scope:SCOPE_SE
	scratch_load_b128 v[1:4], v26, off
	s_wait_loadcnt 0x0
	v_cmp_eq_f64_e32 vcc_lo, 0, v[1:2]
	v_cmp_eq_f64_e64 s3, 0, v[3:4]
	s_and_b32 s3, vcc_lo, s3
	s_wait_alu 0xfffe
	s_and_saveexec_b32 s11, s3
	s_cbranch_execz .LBB5_10
; %bb.7:
	v_mov_b32_e32 v1, 0
	s_mov_b32 s12, 0
	ds_load_b32 v2, v1 offset:192
	s_wait_dscnt 0x0
	v_readfirstlane_b32 s3, v2
	v_add_nc_u32_e32 v2, 1, v25
	s_cmp_eq_u32 s3, 0
	s_delay_alu instid0(VALU_DEP_1) | instskip(SKIP_1) | instid1(SALU_CYCLE_1)
	v_cmp_gt_i32_e32 vcc_lo, s3, v2
	s_cselect_b32 s13, -1, 0
	s_or_b32 s13, s13, vcc_lo
	s_delay_alu instid0(SALU_CYCLE_1)
	s_and_b32 exec_lo, exec_lo, s13
	s_cbranch_execz .LBB5_10
; %bb.8:
	v_mov_b32_e32 v3, s3
.LBB5_9:                                ; =>This Inner Loop Header: Depth=1
	ds_cmpstore_rtn_b32 v3, v1, v2, v3 offset:192
	s_wait_dscnt 0x0
	v_cmp_ne_u32_e32 vcc_lo, 0, v3
	v_cmp_le_i32_e64 s3, v3, v2
	s_and_b32 s3, vcc_lo, s3
	s_wait_alu 0xfffe
	s_and_b32 s3, exec_lo, s3
	s_wait_alu 0xfffe
	s_or_b32 s12, s3, s12
	s_delay_alu instid0(SALU_CYCLE_1)
	s_and_not1_b32 exec_lo, exec_lo, s12
	s_cbranch_execnz .LBB5_9
.LBB5_10:
	s_wait_alu 0xfffe
	s_or_b32 exec_lo, exec_lo, s11
	v_mov_b32_e32 v1, 0
	s_barrier_signal -1
	s_barrier_wait -1
	global_inv scope:SCOPE_SE
	ds_load_b32 v2, v1 offset:192
	s_and_saveexec_b32 s3, s2
	s_cbranch_execz .LBB5_12
; %bb.11:
	s_lshl_b64 s[12:13], s[18:19], 2
	s_delay_alu instid0(SALU_CYCLE_1)
	s_add_nc_u64 s[12:13], s[6:7], s[12:13]
	s_wait_dscnt 0x0
	global_store_b32 v1, v2, s[12:13]
.LBB5_12:
	s_wait_alu 0xfffe
	s_or_b32 exec_lo, exec_lo, s3
	s_wait_dscnt 0x0
	v_cmp_ne_u32_e32 vcc_lo, 0, v2
	s_mov_b32 s3, 0
	s_cbranch_vccnz .LBB5_36
; %bb.13:
	v_mov_b32_e32 v27, v26
                                        ; implicit-def: $vgpr1_vgpr2
                                        ; implicit-def: $vgpr9_vgpr10
	scratch_load_b128 v[5:8], v27, off
	s_wait_loadcnt 0x0
	v_cmp_ngt_f64_e64 s3, |v[5:6]|, |v[7:8]|
	s_wait_alu 0xfffe
	s_and_saveexec_b32 s11, s3
	s_wait_alu 0xfffe
	s_xor_b32 s3, exec_lo, s11
	s_cbranch_execz .LBB5_15
; %bb.14:
	v_div_scale_f64 v[1:2], null, v[7:8], v[7:8], v[5:6]
	v_div_scale_f64 v[11:12], vcc_lo, v[5:6], v[7:8], v[5:6]
	s_delay_alu instid0(VALU_DEP_2) | instskip(NEXT) | instid1(TRANS32_DEP_1)
	v_rcp_f64_e32 v[3:4], v[1:2]
	v_fma_f64 v[9:10], -v[1:2], v[3:4], 1.0
	s_delay_alu instid0(VALU_DEP_1) | instskip(NEXT) | instid1(VALU_DEP_1)
	v_fma_f64 v[3:4], v[3:4], v[9:10], v[3:4]
	v_fma_f64 v[9:10], -v[1:2], v[3:4], 1.0
	s_delay_alu instid0(VALU_DEP_1) | instskip(NEXT) | instid1(VALU_DEP_1)
	v_fma_f64 v[3:4], v[3:4], v[9:10], v[3:4]
	v_mul_f64_e32 v[9:10], v[11:12], v[3:4]
	s_delay_alu instid0(VALU_DEP_1) | instskip(SKIP_1) | instid1(VALU_DEP_1)
	v_fma_f64 v[1:2], -v[1:2], v[9:10], v[11:12]
	s_wait_alu 0xfffd
	v_div_fmas_f64 v[1:2], v[1:2], v[3:4], v[9:10]
	s_delay_alu instid0(VALU_DEP_1) | instskip(NEXT) | instid1(VALU_DEP_1)
	v_div_fixup_f64 v[1:2], v[1:2], v[7:8], v[5:6]
	v_fma_f64 v[3:4], v[5:6], v[1:2], v[7:8]
	s_delay_alu instid0(VALU_DEP_1) | instskip(SKIP_1) | instid1(VALU_DEP_2)
	v_div_scale_f64 v[5:6], null, v[3:4], v[3:4], 1.0
	v_div_scale_f64 v[11:12], vcc_lo, 1.0, v[3:4], 1.0
	v_rcp_f64_e32 v[7:8], v[5:6]
	s_delay_alu instid0(TRANS32_DEP_1) | instskip(NEXT) | instid1(VALU_DEP_1)
	v_fma_f64 v[9:10], -v[5:6], v[7:8], 1.0
	v_fma_f64 v[7:8], v[7:8], v[9:10], v[7:8]
	s_delay_alu instid0(VALU_DEP_1) | instskip(NEXT) | instid1(VALU_DEP_1)
	v_fma_f64 v[9:10], -v[5:6], v[7:8], 1.0
	v_fma_f64 v[7:8], v[7:8], v[9:10], v[7:8]
	s_delay_alu instid0(VALU_DEP_1) | instskip(NEXT) | instid1(VALU_DEP_1)
	v_mul_f64_e32 v[9:10], v[11:12], v[7:8]
	v_fma_f64 v[5:6], -v[5:6], v[9:10], v[11:12]
	s_wait_alu 0xfffd
	s_delay_alu instid0(VALU_DEP_1) | instskip(NEXT) | instid1(VALU_DEP_1)
	v_div_fmas_f64 v[5:6], v[5:6], v[7:8], v[9:10]
	v_div_fixup_f64 v[3:4], v[5:6], v[3:4], 1.0
                                        ; implicit-def: $vgpr5_vgpr6
	s_delay_alu instid0(VALU_DEP_1) | instskip(SKIP_1) | instid1(VALU_DEP_2)
	v_mul_f64_e32 v[1:2], v[1:2], v[3:4]
	v_xor_b32_e32 v4, 0x80000000, v4
	v_xor_b32_e32 v10, 0x80000000, v2
	s_delay_alu instid0(VALU_DEP_3)
	v_mov_b32_e32 v9, v1
.LBB5_15:
	s_wait_alu 0xfffe
	s_and_not1_saveexec_b32 s3, s3
	s_cbranch_execz .LBB5_17
; %bb.16:
	v_div_scale_f64 v[1:2], null, v[5:6], v[5:6], v[7:8]
	v_div_scale_f64 v[11:12], vcc_lo, v[7:8], v[5:6], v[7:8]
	s_delay_alu instid0(VALU_DEP_2) | instskip(NEXT) | instid1(TRANS32_DEP_1)
	v_rcp_f64_e32 v[3:4], v[1:2]
	v_fma_f64 v[9:10], -v[1:2], v[3:4], 1.0
	s_delay_alu instid0(VALU_DEP_1) | instskip(NEXT) | instid1(VALU_DEP_1)
	v_fma_f64 v[3:4], v[3:4], v[9:10], v[3:4]
	v_fma_f64 v[9:10], -v[1:2], v[3:4], 1.0
	s_delay_alu instid0(VALU_DEP_1) | instskip(NEXT) | instid1(VALU_DEP_1)
	v_fma_f64 v[3:4], v[3:4], v[9:10], v[3:4]
	v_mul_f64_e32 v[9:10], v[11:12], v[3:4]
	s_delay_alu instid0(VALU_DEP_1) | instskip(SKIP_1) | instid1(VALU_DEP_1)
	v_fma_f64 v[1:2], -v[1:2], v[9:10], v[11:12]
	s_wait_alu 0xfffd
	v_div_fmas_f64 v[1:2], v[1:2], v[3:4], v[9:10]
	s_delay_alu instid0(VALU_DEP_1) | instskip(NEXT) | instid1(VALU_DEP_1)
	v_div_fixup_f64 v[3:4], v[1:2], v[5:6], v[7:8]
	v_fma_f64 v[1:2], v[7:8], v[3:4], v[5:6]
	s_delay_alu instid0(VALU_DEP_1) | instskip(NEXT) | instid1(VALU_DEP_1)
	v_div_scale_f64 v[5:6], null, v[1:2], v[1:2], 1.0
	v_rcp_f64_e32 v[7:8], v[5:6]
	s_delay_alu instid0(TRANS32_DEP_1) | instskip(NEXT) | instid1(VALU_DEP_1)
	v_fma_f64 v[9:10], -v[5:6], v[7:8], 1.0
	v_fma_f64 v[7:8], v[7:8], v[9:10], v[7:8]
	s_delay_alu instid0(VALU_DEP_1) | instskip(NEXT) | instid1(VALU_DEP_1)
	v_fma_f64 v[9:10], -v[5:6], v[7:8], 1.0
	v_fma_f64 v[7:8], v[7:8], v[9:10], v[7:8]
	v_div_scale_f64 v[9:10], vcc_lo, 1.0, v[1:2], 1.0
	s_delay_alu instid0(VALU_DEP_1) | instskip(NEXT) | instid1(VALU_DEP_1)
	v_mul_f64_e32 v[11:12], v[9:10], v[7:8]
	v_fma_f64 v[5:6], -v[5:6], v[11:12], v[9:10]
	s_wait_alu 0xfffd
	s_delay_alu instid0(VALU_DEP_1) | instskip(NEXT) | instid1(VALU_DEP_1)
	v_div_fmas_f64 v[5:6], v[5:6], v[7:8], v[11:12]
	v_div_fixup_f64 v[1:2], v[5:6], v[1:2], 1.0
	s_delay_alu instid0(VALU_DEP_1)
	v_mul_f64_e64 v[3:4], v[3:4], -v[1:2]
	v_xor_b32_e32 v10, 0x80000000, v2
	v_mov_b32_e32 v9, v1
.LBB5_17:
	s_wait_alu 0xfffe
	s_or_b32 exec_lo, exec_lo, s3
	scratch_store_b128 v27, v[1:4], off
	scratch_load_b128 v[28:31], off, s4
	v_xor_b32_e32 v12, 0x80000000, v4
	v_mov_b32_e32 v11, v3
	v_add_nc_u32_e32 v5, 0x60, v26
	ds_store_b128 v26, v[9:12]
	s_wait_loadcnt 0x0
	ds_store_b128 v26, v[28:31] offset:96
	s_wait_storecnt_dscnt 0x0
	s_barrier_signal -1
	s_barrier_wait -1
	global_inv scope:SCOPE_SE
	s_and_saveexec_b32 s3, s2
	s_cbranch_execz .LBB5_19
; %bb.18:
	scratch_load_b128 v[1:4], v27, off
	ds_load_b128 v[6:9], v5
	v_mov_b32_e32 v10, 0
	ds_load_b128 v[28:31], v10 offset:16
	s_wait_loadcnt_dscnt 0x1
	v_mul_f64_e32 v[10:11], v[6:7], v[3:4]
	v_mul_f64_e32 v[3:4], v[8:9], v[3:4]
	s_delay_alu instid0(VALU_DEP_2) | instskip(NEXT) | instid1(VALU_DEP_2)
	v_fma_f64 v[8:9], v[8:9], v[1:2], v[10:11]
	v_fma_f64 v[1:2], v[6:7], v[1:2], -v[3:4]
	s_delay_alu instid0(VALU_DEP_2) | instskip(NEXT) | instid1(VALU_DEP_2)
	v_add_f64_e32 v[3:4], 0, v[8:9]
	v_add_f64_e32 v[1:2], 0, v[1:2]
	s_wait_dscnt 0x0
	s_delay_alu instid0(VALU_DEP_2) | instskip(NEXT) | instid1(VALU_DEP_2)
	v_mul_f64_e32 v[6:7], v[3:4], v[30:31]
	v_mul_f64_e32 v[8:9], v[1:2], v[30:31]
	s_delay_alu instid0(VALU_DEP_2) | instskip(NEXT) | instid1(VALU_DEP_2)
	v_fma_f64 v[1:2], v[1:2], v[28:29], -v[6:7]
	v_fma_f64 v[3:4], v[3:4], v[28:29], v[8:9]
	scratch_store_b128 off, v[1:4], off offset:16
.LBB5_19:
	s_wait_alu 0xfffe
	s_or_b32 exec_lo, exec_lo, s3
	s_wait_loadcnt 0x0
	s_wait_storecnt 0x0
	s_barrier_signal -1
	s_barrier_wait -1
	global_inv scope:SCOPE_SE
	scratch_load_b128 v[1:4], off, s8
	s_mov_b32 s3, exec_lo
	s_wait_loadcnt 0x0
	ds_store_b128 v5, v[1:4]
	s_wait_dscnt 0x0
	s_barrier_signal -1
	s_barrier_wait -1
	global_inv scope:SCOPE_SE
	v_cmpx_gt_u32_e32 2, v25
	s_cbranch_execz .LBB5_23
; %bb.20:
	scratch_load_b128 v[1:4], v27, off
	ds_load_b128 v[6:9], v5
	s_wait_loadcnt_dscnt 0x0
	v_mul_f64_e32 v[10:11], v[8:9], v[3:4]
	v_mul_f64_e32 v[3:4], v[6:7], v[3:4]
	s_delay_alu instid0(VALU_DEP_2) | instskip(NEXT) | instid1(VALU_DEP_2)
	v_fma_f64 v[6:7], v[6:7], v[1:2], -v[10:11]
	v_fma_f64 v[3:4], v[8:9], v[1:2], v[3:4]
	s_delay_alu instid0(VALU_DEP_2) | instskip(NEXT) | instid1(VALU_DEP_2)
	v_add_f64_e32 v[1:2], 0, v[6:7]
	v_add_f64_e32 v[3:4], 0, v[3:4]
	s_and_saveexec_b32 s11, s2
	s_cbranch_execz .LBB5_22
; %bb.21:
	scratch_load_b128 v[6:9], off, off offset:16
	v_mov_b32_e32 v10, 0
	ds_load_b128 v[28:31], v10 offset:112
	s_wait_loadcnt_dscnt 0x0
	v_mul_f64_e32 v[10:11], v[28:29], v[8:9]
	v_mul_f64_e32 v[8:9], v[30:31], v[8:9]
	s_delay_alu instid0(VALU_DEP_2) | instskip(NEXT) | instid1(VALU_DEP_2)
	v_fma_f64 v[10:11], v[30:31], v[6:7], v[10:11]
	v_fma_f64 v[6:7], v[28:29], v[6:7], -v[8:9]
	s_delay_alu instid0(VALU_DEP_2) | instskip(NEXT) | instid1(VALU_DEP_2)
	v_add_f64_e32 v[3:4], v[3:4], v[10:11]
	v_add_f64_e32 v[1:2], v[1:2], v[6:7]
.LBB5_22:
	s_wait_alu 0xfffe
	s_or_b32 exec_lo, exec_lo, s11
	v_mov_b32_e32 v6, 0
	ds_load_b128 v[6:9], v6 offset:32
	s_wait_dscnt 0x0
	v_mul_f64_e32 v[10:11], v[3:4], v[8:9]
	v_mul_f64_e32 v[8:9], v[1:2], v[8:9]
	s_delay_alu instid0(VALU_DEP_2) | instskip(NEXT) | instid1(VALU_DEP_2)
	v_fma_f64 v[1:2], v[1:2], v[6:7], -v[10:11]
	v_fma_f64 v[3:4], v[3:4], v[6:7], v[8:9]
	scratch_store_b128 off, v[1:4], off offset:32
.LBB5_23:
	s_wait_alu 0xfffe
	s_or_b32 exec_lo, exec_lo, s3
	s_wait_loadcnt 0x0
	s_wait_storecnt 0x0
	s_barrier_signal -1
	s_barrier_wait -1
	global_inv scope:SCOPE_SE
	scratch_load_b128 v[1:4], off, s5
	v_add_nc_u32_e32 v6, -1, v25
	s_mov_b32 s2, exec_lo
	s_wait_loadcnt 0x0
	ds_store_b128 v5, v[1:4]
	s_wait_dscnt 0x0
	s_barrier_signal -1
	s_barrier_wait -1
	global_inv scope:SCOPE_SE
	v_cmpx_gt_u32_e32 3, v25
	s_cbranch_execz .LBB5_27
; %bb.24:
	v_dual_mov_b32 v1, 0 :: v_dual_add_nc_u32 v8, 0x60, v26
	v_mov_b32_e32 v3, 0
	v_dual_mov_b32 v2, 0 :: v_dual_add_nc_u32 v7, -1, v25
	v_mov_b32_e32 v4, 0
	v_or_b32_e32 v9, 8, v27
	s_mov_b32 s3, 0
.LBB5_25:                               ; =>This Inner Loop Header: Depth=1
	scratch_load_b128 v[28:31], v9, off offset:-8
	ds_load_b128 v[32:35], v8
	v_add_nc_u32_e32 v7, 1, v7
	v_add_nc_u32_e32 v8, 16, v8
	;; [unrolled: 1-line block ×3, first 2 shown]
	s_delay_alu instid0(VALU_DEP_3)
	v_cmp_lt_u32_e32 vcc_lo, 1, v7
	s_wait_alu 0xfffe
	s_or_b32 s3, vcc_lo, s3
	s_wait_loadcnt_dscnt 0x0
	v_mul_f64_e32 v[10:11], v[34:35], v[30:31]
	v_mul_f64_e32 v[30:31], v[32:33], v[30:31]
	s_delay_alu instid0(VALU_DEP_2) | instskip(NEXT) | instid1(VALU_DEP_2)
	v_fma_f64 v[10:11], v[32:33], v[28:29], -v[10:11]
	v_fma_f64 v[28:29], v[34:35], v[28:29], v[30:31]
	s_delay_alu instid0(VALU_DEP_2) | instskip(NEXT) | instid1(VALU_DEP_2)
	v_add_f64_e32 v[3:4], v[3:4], v[10:11]
	v_add_f64_e32 v[1:2], v[1:2], v[28:29]
	s_wait_alu 0xfffe
	s_and_not1_b32 exec_lo, exec_lo, s3
	s_cbranch_execnz .LBB5_25
; %bb.26:
	s_or_b32 exec_lo, exec_lo, s3
	v_mov_b32_e32 v7, 0
	ds_load_b128 v[7:10], v7 offset:48
	s_wait_dscnt 0x0
	v_mul_f64_e32 v[11:12], v[1:2], v[9:10]
	v_mul_f64_e32 v[28:29], v[3:4], v[9:10]
	s_delay_alu instid0(VALU_DEP_2) | instskip(NEXT) | instid1(VALU_DEP_2)
	v_fma_f64 v[9:10], v[3:4], v[7:8], -v[11:12]
	v_fma_f64 v[11:12], v[1:2], v[7:8], v[28:29]
	scratch_store_b128 off, v[9:12], off offset:48
.LBB5_27:
	s_wait_alu 0xfffe
	s_or_b32 exec_lo, exec_lo, s2
	s_wait_loadcnt 0x0
	s_wait_storecnt 0x0
	s_barrier_signal -1
	s_barrier_wait -1
	global_inv scope:SCOPE_SE
	scratch_load_b128 v[1:4], off, s10
	s_mov_b32 s2, exec_lo
	s_wait_loadcnt 0x0
	ds_store_b128 v5, v[1:4]
	s_wait_dscnt 0x0
	s_barrier_signal -1
	s_barrier_wait -1
	global_inv scope:SCOPE_SE
	v_cmpx_gt_u32_e32 4, v25
	s_cbranch_execz .LBB5_31
; %bb.28:
	v_dual_mov_b32 v1, 0 :: v_dual_add_nc_u32 v8, 0x60, v26
	v_mov_b32_e32 v3, 0
	v_dual_mov_b32 v2, 0 :: v_dual_add_nc_u32 v7, -1, v25
	v_mov_b32_e32 v4, 0
	v_or_b32_e32 v9, 8, v27
	s_mov_b32 s3, 0
.LBB5_29:                               ; =>This Inner Loop Header: Depth=1
	scratch_load_b128 v[28:31], v9, off offset:-8
	ds_load_b128 v[32:35], v8
	v_add_nc_u32_e32 v7, 1, v7
	v_add_nc_u32_e32 v8, 16, v8
	;; [unrolled: 1-line block ×3, first 2 shown]
	s_delay_alu instid0(VALU_DEP_3)
	v_cmp_lt_u32_e32 vcc_lo, 2, v7
	s_wait_alu 0xfffe
	s_or_b32 s3, vcc_lo, s3
	s_wait_loadcnt_dscnt 0x0
	v_mul_f64_e32 v[10:11], v[34:35], v[30:31]
	v_mul_f64_e32 v[30:31], v[32:33], v[30:31]
	s_delay_alu instid0(VALU_DEP_2) | instskip(NEXT) | instid1(VALU_DEP_2)
	v_fma_f64 v[10:11], v[32:33], v[28:29], -v[10:11]
	v_fma_f64 v[28:29], v[34:35], v[28:29], v[30:31]
	s_delay_alu instid0(VALU_DEP_2) | instskip(NEXT) | instid1(VALU_DEP_2)
	v_add_f64_e32 v[3:4], v[3:4], v[10:11]
	v_add_f64_e32 v[1:2], v[1:2], v[28:29]
	s_wait_alu 0xfffe
	s_and_not1_b32 exec_lo, exec_lo, s3
	s_cbranch_execnz .LBB5_29
; %bb.30:
	s_or_b32 exec_lo, exec_lo, s3
	v_mov_b32_e32 v7, 0
	ds_load_b128 v[7:10], v7 offset:64
	s_wait_dscnt 0x0
	v_mul_f64_e32 v[11:12], v[1:2], v[9:10]
	v_mul_f64_e32 v[28:29], v[3:4], v[9:10]
	s_delay_alu instid0(VALU_DEP_2) | instskip(NEXT) | instid1(VALU_DEP_2)
	v_fma_f64 v[9:10], v[3:4], v[7:8], -v[11:12]
	v_fma_f64 v[11:12], v[1:2], v[7:8], v[28:29]
	scratch_store_b128 off, v[9:12], off offset:64
.LBB5_31:
	s_wait_alu 0xfffe
	s_or_b32 exec_lo, exec_lo, s2
	s_wait_loadcnt 0x0
	s_wait_storecnt 0x0
	s_barrier_signal -1
	s_barrier_wait -1
	global_inv scope:SCOPE_SE
	scratch_load_b128 v[1:4], off, s9
	s_mov_b32 s2, exec_lo
	s_wait_loadcnt 0x0
	ds_store_b128 v5, v[1:4]
	s_wait_dscnt 0x0
	s_barrier_signal -1
	s_barrier_wait -1
	global_inv scope:SCOPE_SE
	v_cmpx_ne_u32_e32 5, v25
	s_cbranch_execz .LBB5_35
; %bb.32:
	v_mov_b32_e32 v1, 0
	v_dual_mov_b32 v2, 0 :: v_dual_mov_b32 v3, 0
	v_mov_b32_e32 v4, 0
	v_or_b32_e32 v7, 8, v27
	s_mov_b32 s3, 0
.LBB5_33:                               ; =>This Inner Loop Header: Depth=1
	scratch_load_b128 v[8:11], v7, off offset:-8
	ds_load_b128 v[26:29], v5
	v_add_nc_u32_e32 v6, 1, v6
	v_add_nc_u32_e32 v5, 16, v5
	;; [unrolled: 1-line block ×3, first 2 shown]
	s_delay_alu instid0(VALU_DEP_3)
	v_cmp_lt_u32_e32 vcc_lo, 3, v6
	s_wait_alu 0xfffe
	s_or_b32 s3, vcc_lo, s3
	s_wait_loadcnt_dscnt 0x0
	v_mul_f64_e32 v[30:31], v[28:29], v[10:11]
	v_mul_f64_e32 v[10:11], v[26:27], v[10:11]
	s_delay_alu instid0(VALU_DEP_2) | instskip(NEXT) | instid1(VALU_DEP_2)
	v_fma_f64 v[26:27], v[26:27], v[8:9], -v[30:31]
	v_fma_f64 v[8:9], v[28:29], v[8:9], v[10:11]
	s_delay_alu instid0(VALU_DEP_2) | instskip(NEXT) | instid1(VALU_DEP_2)
	v_add_f64_e32 v[3:4], v[3:4], v[26:27]
	v_add_f64_e32 v[1:2], v[1:2], v[8:9]
	s_wait_alu 0xfffe
	s_and_not1_b32 exec_lo, exec_lo, s3
	s_cbranch_execnz .LBB5_33
; %bb.34:
	s_or_b32 exec_lo, exec_lo, s3
	v_mov_b32_e32 v5, 0
	ds_load_b128 v[5:8], v5 offset:80
	s_wait_dscnt 0x0
	v_mul_f64_e32 v[9:10], v[1:2], v[7:8]
	v_mul_f64_e32 v[7:8], v[3:4], v[7:8]
	s_delay_alu instid0(VALU_DEP_2) | instskip(NEXT) | instid1(VALU_DEP_2)
	v_fma_f64 v[3:4], v[3:4], v[5:6], -v[9:10]
	v_fma_f64 v[5:6], v[1:2], v[5:6], v[7:8]
	scratch_store_b128 off, v[3:6], off offset:80
.LBB5_35:
	s_wait_alu 0xfffe
	s_or_b32 exec_lo, exec_lo, s2
	s_mov_b32 s3, -1
	s_wait_loadcnt 0x0
	s_wait_storecnt 0x0
	s_barrier_signal -1
	s_barrier_wait -1
	global_inv scope:SCOPE_SE
.LBB5_36:
	s_wait_alu 0xfffe
	s_and_b32 vcc_lo, exec_lo, s3
	s_wait_alu 0xfffe
	s_cbranch_vccz .LBB5_38
; %bb.37:
	v_mov_b32_e32 v1, 0
	s_lshl_b64 s[2:3], s[18:19], 2
	s_wait_alu 0xfffe
	s_add_nc_u64 s[2:3], s[6:7], s[2:3]
	global_load_b32 v1, v1, s[2:3]
	s_wait_loadcnt 0x0
	v_cmp_ne_u32_e32 vcc_lo, 0, v1
	s_cbranch_vccz .LBB5_39
.LBB5_38:
	s_endpgm
.LBB5_39:
	v_lshl_add_u32 v5, v25, 4, 0x60
	s_mov_b32 s2, exec_lo
	v_cmpx_eq_u32_e32 5, v25
	s_cbranch_execz .LBB5_41
; %bb.40:
	scratch_load_b128 v[1:4], off, s10
	v_mov_b32_e32 v6, 0
	s_delay_alu instid0(VALU_DEP_1)
	v_dual_mov_b32 v7, v6 :: v_dual_mov_b32 v8, v6
	v_mov_b32_e32 v9, v6
	scratch_store_b128 off, v[6:9], off offset:64
	s_wait_loadcnt 0x0
	ds_store_b128 v5, v[1:4]
.LBB5_41:
	s_wait_alu 0xfffe
	s_or_b32 exec_lo, exec_lo, s2
	s_wait_storecnt_dscnt 0x0
	s_barrier_signal -1
	s_barrier_wait -1
	global_inv scope:SCOPE_SE
	s_clause 0x1
	scratch_load_b128 v[6:9], off, off offset:80
	scratch_load_b128 v[26:29], off, off offset:64
	v_mov_b32_e32 v1, 0
	s_mov_b32 s2, exec_lo
	ds_load_b128 v[30:33], v1 offset:176
	s_wait_loadcnt_dscnt 0x100
	v_mul_f64_e32 v[2:3], v[32:33], v[8:9]
	v_mul_f64_e32 v[8:9], v[30:31], v[8:9]
	s_delay_alu instid0(VALU_DEP_2) | instskip(NEXT) | instid1(VALU_DEP_2)
	v_fma_f64 v[2:3], v[30:31], v[6:7], -v[2:3]
	v_fma_f64 v[6:7], v[32:33], v[6:7], v[8:9]
	s_delay_alu instid0(VALU_DEP_2) | instskip(NEXT) | instid1(VALU_DEP_2)
	v_add_f64_e32 v[2:3], 0, v[2:3]
	v_add_f64_e32 v[8:9], 0, v[6:7]
	s_wait_loadcnt 0x0
	s_delay_alu instid0(VALU_DEP_2) | instskip(NEXT) | instid1(VALU_DEP_2)
	v_add_f64_e64 v[6:7], v[26:27], -v[2:3]
	v_add_f64_e64 v[8:9], v[28:29], -v[8:9]
	scratch_store_b128 off, v[6:9], off offset:64
	v_cmpx_lt_u32_e32 3, v25
	s_cbranch_execz .LBB5_43
; %bb.42:
	scratch_load_b128 v[6:9], off, s5
	v_dual_mov_b32 v2, v1 :: v_dual_mov_b32 v3, v1
	v_mov_b32_e32 v4, v1
	scratch_store_b128 off, v[1:4], off offset:48
	s_wait_loadcnt 0x0
	ds_store_b128 v5, v[6:9]
.LBB5_43:
	s_wait_alu 0xfffe
	s_or_b32 exec_lo, exec_lo, s2
	s_wait_storecnt_dscnt 0x0
	s_barrier_signal -1
	s_barrier_wait -1
	global_inv scope:SCOPE_SE
	s_clause 0x2
	scratch_load_b128 v[6:9], off, off offset:64
	scratch_load_b128 v[26:29], off, off offset:80
	;; [unrolled: 1-line block ×3, first 2 shown]
	ds_load_b128 v[34:37], v1 offset:160
	ds_load_b128 v[1:4], v1 offset:176
	s_mov_b32 s2, exec_lo
	s_wait_loadcnt_dscnt 0x201
	v_mul_f64_e32 v[10:11], v[36:37], v[8:9]
	v_mul_f64_e32 v[8:9], v[34:35], v[8:9]
	s_wait_loadcnt_dscnt 0x100
	v_mul_f64_e32 v[38:39], v[1:2], v[28:29]
	v_mul_f64_e32 v[28:29], v[3:4], v[28:29]
	s_delay_alu instid0(VALU_DEP_4) | instskip(NEXT) | instid1(VALU_DEP_4)
	v_fma_f64 v[10:11], v[34:35], v[6:7], -v[10:11]
	v_fma_f64 v[6:7], v[36:37], v[6:7], v[8:9]
	s_delay_alu instid0(VALU_DEP_4) | instskip(NEXT) | instid1(VALU_DEP_4)
	v_fma_f64 v[3:4], v[3:4], v[26:27], v[38:39]
	v_fma_f64 v[1:2], v[1:2], v[26:27], -v[28:29]
	s_delay_alu instid0(VALU_DEP_4) | instskip(NEXT) | instid1(VALU_DEP_4)
	v_add_f64_e32 v[8:9], 0, v[10:11]
	v_add_f64_e32 v[6:7], 0, v[6:7]
	s_delay_alu instid0(VALU_DEP_2) | instskip(NEXT) | instid1(VALU_DEP_2)
	v_add_f64_e32 v[1:2], v[8:9], v[1:2]
	v_add_f64_e32 v[3:4], v[6:7], v[3:4]
	s_wait_loadcnt 0x0
	s_delay_alu instid0(VALU_DEP_2) | instskip(NEXT) | instid1(VALU_DEP_2)
	v_add_f64_e64 v[1:2], v[30:31], -v[1:2]
	v_add_f64_e64 v[3:4], v[32:33], -v[3:4]
	scratch_store_b128 off, v[1:4], off offset:48
	v_cmpx_lt_u32_e32 2, v25
	s_cbranch_execz .LBB5_45
; %bb.44:
	scratch_load_b128 v[1:4], off, s8
	v_mov_b32_e32 v6, 0
	s_delay_alu instid0(VALU_DEP_1)
	v_dual_mov_b32 v7, v6 :: v_dual_mov_b32 v8, v6
	v_mov_b32_e32 v9, v6
	scratch_store_b128 off, v[6:9], off offset:32
	s_wait_loadcnt 0x0
	ds_store_b128 v5, v[1:4]
.LBB5_45:
	s_wait_alu 0xfffe
	s_or_b32 exec_lo, exec_lo, s2
	s_wait_storecnt_dscnt 0x0
	s_barrier_signal -1
	s_barrier_wait -1
	global_inv scope:SCOPE_SE
	s_clause 0x3
	scratch_load_b128 v[6:9], off, off offset:48
	scratch_load_b128 v[26:29], off, off offset:64
	;; [unrolled: 1-line block ×4, first 2 shown]
	v_mov_b32_e32 v1, 0
	ds_load_b128 v[38:41], v1 offset:144
	ds_load_b128 v[42:45], v1 offset:160
	s_mov_b32 s2, exec_lo
	s_wait_loadcnt_dscnt 0x301
	v_mul_f64_e32 v[2:3], v[40:41], v[8:9]
	v_mul_f64_e32 v[8:9], v[38:39], v[8:9]
	s_wait_loadcnt_dscnt 0x200
	v_mul_f64_e32 v[10:11], v[42:43], v[28:29]
	v_mul_f64_e32 v[28:29], v[44:45], v[28:29]
	s_delay_alu instid0(VALU_DEP_4) | instskip(NEXT) | instid1(VALU_DEP_4)
	v_fma_f64 v[2:3], v[38:39], v[6:7], -v[2:3]
	v_fma_f64 v[38:39], v[40:41], v[6:7], v[8:9]
	ds_load_b128 v[6:9], v1 offset:176
	v_fma_f64 v[10:11], v[44:45], v[26:27], v[10:11]
	v_fma_f64 v[26:27], v[42:43], v[26:27], -v[28:29]
	s_wait_loadcnt_dscnt 0x100
	v_mul_f64_e32 v[40:41], v[6:7], v[32:33]
	v_mul_f64_e32 v[32:33], v[8:9], v[32:33]
	v_add_f64_e32 v[2:3], 0, v[2:3]
	v_add_f64_e32 v[28:29], 0, v[38:39]
	s_delay_alu instid0(VALU_DEP_4) | instskip(NEXT) | instid1(VALU_DEP_4)
	v_fma_f64 v[8:9], v[8:9], v[30:31], v[40:41]
	v_fma_f64 v[6:7], v[6:7], v[30:31], -v[32:33]
	s_delay_alu instid0(VALU_DEP_4) | instskip(NEXT) | instid1(VALU_DEP_4)
	v_add_f64_e32 v[2:3], v[2:3], v[26:27]
	v_add_f64_e32 v[10:11], v[28:29], v[10:11]
	s_delay_alu instid0(VALU_DEP_2) | instskip(NEXT) | instid1(VALU_DEP_2)
	v_add_f64_e32 v[2:3], v[2:3], v[6:7]
	v_add_f64_e32 v[8:9], v[10:11], v[8:9]
	s_wait_loadcnt 0x0
	s_delay_alu instid0(VALU_DEP_2) | instskip(NEXT) | instid1(VALU_DEP_2)
	v_add_f64_e64 v[6:7], v[34:35], -v[2:3]
	v_add_f64_e64 v[8:9], v[36:37], -v[8:9]
	scratch_store_b128 off, v[6:9], off offset:32
	v_cmpx_lt_u32_e32 1, v25
	s_cbranch_execz .LBB5_47
; %bb.46:
	scratch_load_b128 v[6:9], off, s4
	v_dual_mov_b32 v2, v1 :: v_dual_mov_b32 v3, v1
	v_mov_b32_e32 v4, v1
	scratch_store_b128 off, v[1:4], off offset:16
	s_wait_loadcnt 0x0
	ds_store_b128 v5, v[6:9]
.LBB5_47:
	s_wait_alu 0xfffe
	s_or_b32 exec_lo, exec_lo, s2
	s_wait_storecnt_dscnt 0x0
	s_barrier_signal -1
	s_barrier_wait -1
	global_inv scope:SCOPE_SE
	s_clause 0x4
	scratch_load_b128 v[6:9], off, off offset:32
	scratch_load_b128 v[26:29], off, off offset:48
	;; [unrolled: 1-line block ×5, first 2 shown]
	ds_load_b128 v[42:45], v1 offset:128
	ds_load_b128 v[46:49], v1 offset:144
	s_mov_b32 s2, exec_lo
	s_wait_loadcnt_dscnt 0x401
	v_mul_f64_e32 v[2:3], v[44:45], v[8:9]
	v_mul_f64_e32 v[8:9], v[42:43], v[8:9]
	s_wait_loadcnt_dscnt 0x300
	v_mul_f64_e32 v[10:11], v[46:47], v[28:29]
	v_mul_f64_e32 v[28:29], v[48:49], v[28:29]
	s_delay_alu instid0(VALU_DEP_4) | instskip(NEXT) | instid1(VALU_DEP_4)
	v_fma_f64 v[42:43], v[42:43], v[6:7], -v[2:3]
	v_fma_f64 v[44:45], v[44:45], v[6:7], v[8:9]
	ds_load_b128 v[6:9], v1 offset:160
	ds_load_b128 v[1:4], v1 offset:176
	v_fma_f64 v[10:11], v[48:49], v[26:27], v[10:11]
	v_fma_f64 v[26:27], v[46:47], v[26:27], -v[28:29]
	s_wait_loadcnt_dscnt 0x201
	v_mul_f64_e32 v[50:51], v[6:7], v[32:33]
	v_mul_f64_e32 v[32:33], v[8:9], v[32:33]
	v_add_f64_e32 v[28:29], 0, v[42:43]
	v_add_f64_e32 v[42:43], 0, v[44:45]
	s_wait_loadcnt_dscnt 0x100
	v_mul_f64_e32 v[44:45], v[1:2], v[36:37]
	v_mul_f64_e32 v[36:37], v[3:4], v[36:37]
	v_fma_f64 v[8:9], v[8:9], v[30:31], v[50:51]
	v_fma_f64 v[6:7], v[6:7], v[30:31], -v[32:33]
	v_add_f64_e32 v[26:27], v[28:29], v[26:27]
	v_add_f64_e32 v[10:11], v[42:43], v[10:11]
	v_fma_f64 v[3:4], v[3:4], v[34:35], v[44:45]
	v_fma_f64 v[1:2], v[1:2], v[34:35], -v[36:37]
	s_delay_alu instid0(VALU_DEP_4) | instskip(NEXT) | instid1(VALU_DEP_4)
	v_add_f64_e32 v[6:7], v[26:27], v[6:7]
	v_add_f64_e32 v[8:9], v[10:11], v[8:9]
	s_delay_alu instid0(VALU_DEP_2) | instskip(NEXT) | instid1(VALU_DEP_2)
	v_add_f64_e32 v[1:2], v[6:7], v[1:2]
	v_add_f64_e32 v[3:4], v[8:9], v[3:4]
	s_wait_loadcnt 0x0
	s_delay_alu instid0(VALU_DEP_2) | instskip(NEXT) | instid1(VALU_DEP_2)
	v_add_f64_e64 v[1:2], v[38:39], -v[1:2]
	v_add_f64_e64 v[3:4], v[40:41], -v[3:4]
	scratch_store_b128 off, v[1:4], off offset:16
	v_cmpx_ne_u32_e32 0, v25
	s_cbranch_execz .LBB5_49
; %bb.48:
	scratch_load_b128 v[1:4], off, off
	v_mov_b32_e32 v6, 0
	s_delay_alu instid0(VALU_DEP_1)
	v_dual_mov_b32 v7, v6 :: v_dual_mov_b32 v8, v6
	v_mov_b32_e32 v9, v6
	scratch_store_b128 off, v[6:9], off
	s_wait_loadcnt 0x0
	ds_store_b128 v5, v[1:4]
.LBB5_49:
	s_wait_alu 0xfffe
	s_or_b32 exec_lo, exec_lo, s2
	s_wait_storecnt_dscnt 0x0
	s_barrier_signal -1
	s_barrier_wait -1
	global_inv scope:SCOPE_SE
	s_clause 0x5
	scratch_load_b128 v[2:5], off, off offset:16
	scratch_load_b128 v[6:9], off, off offset:32
	scratch_load_b128 v[26:29], off, off offset:48
	scratch_load_b128 v[30:33], off, off offset:64
	scratch_load_b128 v[34:37], off, off offset:80
	scratch_load_b128 v[38:41], off, off
	v_mov_b32_e32 v1, 0
	ds_load_b128 v[42:45], v1 offset:112
	ds_load_b128 v[46:49], v1 offset:128
	s_and_b32 vcc_lo, exec_lo, s20
	s_wait_loadcnt_dscnt 0x501
	v_mul_f64_e32 v[10:11], v[44:45], v[4:5]
	v_mul_f64_e32 v[4:5], v[42:43], v[4:5]
	s_wait_loadcnt_dscnt 0x400
	v_mul_f64_e32 v[50:51], v[46:47], v[8:9]
	v_mul_f64_e32 v[52:53], v[48:49], v[8:9]
	s_delay_alu instid0(VALU_DEP_4) | instskip(NEXT) | instid1(VALU_DEP_4)
	v_fma_f64 v[42:43], v[42:43], v[2:3], -v[10:11]
	v_fma_f64 v[44:45], v[44:45], v[2:3], v[4:5]
	ds_load_b128 v[2:5], v1 offset:144
	ds_load_b128 v[8:11], v1 offset:160
	v_fma_f64 v[48:49], v[48:49], v[6:7], v[50:51]
	v_fma_f64 v[6:7], v[46:47], v[6:7], -v[52:53]
	s_wait_loadcnt_dscnt 0x301
	v_mul_f64_e32 v[54:55], v[2:3], v[28:29]
	v_mul_f64_e32 v[28:29], v[4:5], v[28:29]
	s_wait_loadcnt_dscnt 0x200
	v_mul_f64_e32 v[46:47], v[8:9], v[32:33]
	v_mul_f64_e32 v[32:33], v[10:11], v[32:33]
	v_add_f64_e32 v[42:43], 0, v[42:43]
	v_add_f64_e32 v[44:45], 0, v[44:45]
	v_fma_f64 v[50:51], v[4:5], v[26:27], v[54:55]
	v_fma_f64 v[26:27], v[2:3], v[26:27], -v[28:29]
	ds_load_b128 v[2:5], v1 offset:176
	v_fma_f64 v[10:11], v[10:11], v[30:31], v[46:47]
	v_fma_f64 v[8:9], v[8:9], v[30:31], -v[32:33]
	v_add_f64_e32 v[6:7], v[42:43], v[6:7]
	v_add_f64_e32 v[28:29], v[44:45], v[48:49]
	s_wait_loadcnt_dscnt 0x100
	v_mul_f64_e32 v[42:43], v[2:3], v[36:37]
	v_mul_f64_e32 v[36:37], v[4:5], v[36:37]
	s_delay_alu instid0(VALU_DEP_4) | instskip(NEXT) | instid1(VALU_DEP_4)
	v_add_f64_e32 v[6:7], v[6:7], v[26:27]
	v_add_f64_e32 v[26:27], v[28:29], v[50:51]
	s_delay_alu instid0(VALU_DEP_4) | instskip(NEXT) | instid1(VALU_DEP_4)
	v_fma_f64 v[4:5], v[4:5], v[34:35], v[42:43]
	v_fma_f64 v[2:3], v[2:3], v[34:35], -v[36:37]
	s_delay_alu instid0(VALU_DEP_4) | instskip(NEXT) | instid1(VALU_DEP_4)
	v_add_f64_e32 v[6:7], v[6:7], v[8:9]
	v_add_f64_e32 v[8:9], v[26:27], v[10:11]
	s_delay_alu instid0(VALU_DEP_2) | instskip(NEXT) | instid1(VALU_DEP_2)
	v_add_f64_e32 v[2:3], v[6:7], v[2:3]
	v_add_f64_e32 v[4:5], v[8:9], v[4:5]
	s_wait_loadcnt 0x0
	s_delay_alu instid0(VALU_DEP_2) | instskip(NEXT) | instid1(VALU_DEP_2)
	v_add_f64_e64 v[2:3], v[38:39], -v[2:3]
	v_add_f64_e64 v[4:5], v[40:41], -v[4:5]
	scratch_store_b128 off, v[2:5], off
	s_wait_alu 0xfffe
	s_cbranch_vccz .LBB5_60
; %bb.50:
	global_load_b32 v1, v1, s[16:17] offset:16
	s_load_b64 s[0:1], s[0:1], 0x4
	v_bfe_u32 v2, v0, 10, 10
	v_bfe_u32 v0, v0, 20, 10
	s_wait_kmcnt 0x0
	s_lshr_b32 s0, s0, 16
	s_delay_alu instid0(VALU_DEP_2) | instskip(SKIP_3) | instid1(VALU_DEP_1)
	v_mul_u32_u24_e32 v2, s1, v2
	s_mul_i32 s0, s0, s1
	s_wait_alu 0xfffe
	v_mul_u32_u24_e32 v3, s0, v25
	v_add3_u32 v0, v3, v2, v0
	s_delay_alu instid0(VALU_DEP_1)
	v_lshl_add_u32 v0, v0, 4, 0xc8
	s_wait_loadcnt 0x0
	v_cmp_ne_u32_e32 vcc_lo, 5, v1
	s_cbranch_vccz .LBB5_52
; %bb.51:
	v_lshlrev_b32_e32 v1, 4, v1
	s_delay_alu instid0(VALU_DEP_1)
	v_mov_b32_e32 v9, v1
	s_clause 0x1
	scratch_load_b128 v[1:4], off, s10
	scratch_load_b128 v[5:8], v9, off offset:-16
	s_wait_loadcnt 0x1
	ds_store_2addr_b64 v0, v[1:2], v[3:4] offset1:1
	s_wait_loadcnt 0x0
	s_clause 0x1
	scratch_store_b128 off, v[5:8], s10
	scratch_store_b128 v9, v[1:4], off offset:-16
.LBB5_52:
	v_mov_b32_e32 v1, 0
	global_load_b32 v2, v1, s[16:17] offset:12
	s_wait_loadcnt 0x0
	v_cmp_eq_u32_e32 vcc_lo, 4, v2
	s_cbranch_vccnz .LBB5_54
; %bb.53:
	v_lshlrev_b32_e32 v2, 4, v2
	s_delay_alu instid0(VALU_DEP_1)
	v_mov_b32_e32 v10, v2
	s_clause 0x1
	scratch_load_b128 v[2:5], off, s5
	scratch_load_b128 v[6:9], v10, off offset:-16
	s_wait_loadcnt 0x1
	ds_store_2addr_b64 v0, v[2:3], v[4:5] offset1:1
	s_wait_loadcnt 0x0
	s_clause 0x1
	scratch_store_b128 off, v[6:9], s5
	scratch_store_b128 v10, v[2:5], off offset:-16
.LBB5_54:
	global_load_b32 v1, v1, s[16:17] offset:8
	s_wait_loadcnt 0x0
	v_cmp_eq_u32_e32 vcc_lo, 3, v1
	s_cbranch_vccnz .LBB5_56
; %bb.55:
	v_lshlrev_b32_e32 v1, 4, v1
	s_delay_alu instid0(VALU_DEP_1)
	v_mov_b32_e32 v9, v1
	s_clause 0x1
	scratch_load_b128 v[1:4], off, s8
	scratch_load_b128 v[5:8], v9, off offset:-16
	s_wait_loadcnt 0x1
	ds_store_2addr_b64 v0, v[1:2], v[3:4] offset1:1
	s_wait_loadcnt 0x0
	s_clause 0x1
	scratch_store_b128 off, v[5:8], s8
	scratch_store_b128 v9, v[1:4], off offset:-16
.LBB5_56:
	v_mov_b32_e32 v1, 0
	global_load_b32 v2, v1, s[16:17] offset:4
	s_wait_loadcnt 0x0
	v_cmp_eq_u32_e32 vcc_lo, 2, v2
	s_cbranch_vccnz .LBB5_58
; %bb.57:
	v_lshlrev_b32_e32 v2, 4, v2
	s_delay_alu instid0(VALU_DEP_1)
	v_mov_b32_e32 v10, v2
	s_clause 0x1
	scratch_load_b128 v[2:5], off, s4
	scratch_load_b128 v[6:9], v10, off offset:-16
	s_wait_loadcnt 0x1
	ds_store_2addr_b64 v0, v[2:3], v[4:5] offset1:1
	s_wait_loadcnt 0x0
	s_clause 0x1
	scratch_store_b128 off, v[6:9], s4
	scratch_store_b128 v10, v[2:5], off offset:-16
.LBB5_58:
	global_load_b32 v1, v1, s[16:17]
	s_wait_loadcnt 0x0
	v_cmp_eq_u32_e32 vcc_lo, 1, v1
	s_cbranch_vccnz .LBB5_60
; %bb.59:
	v_lshlrev_b32_e32 v1, 4, v1
	s_delay_alu instid0(VALU_DEP_1)
	v_mov_b32_e32 v9, v1
	scratch_load_b128 v[1:4], off, off
	scratch_load_b128 v[5:8], v9, off offset:-16
	s_wait_loadcnt 0x1
	ds_store_2addr_b64 v0, v[1:2], v[3:4] offset1:1
	s_wait_loadcnt 0x0
	scratch_store_b128 off, v[5:8], off
	scratch_store_b128 v9, v[1:4], off offset:-16
.LBB5_60:
	scratch_load_b128 v[0:3], off, off
	s_clause 0x4
	scratch_load_b128 v[4:7], off, s4
	scratch_load_b128 v[8:11], off, s8
	;; [unrolled: 1-line block ×5, first 2 shown]
	s_wait_loadcnt 0x5
	global_store_b128 v[13:14], v[0:3], off
	s_wait_loadcnt 0x4
	global_store_b128 v[15:16], v[4:7], off
	;; [unrolled: 2-line block ×6, first 2 shown]
	s_endpgm
	.section	.rodata,"a",@progbits
	.p2align	6, 0x0
	.amdhsa_kernel _ZN9rocsolver6v33100L18getri_kernel_smallILi6E19rocblas_complex_numIdEPS3_EEvT1_iilPiilS6_bb
		.amdhsa_group_segment_fixed_size 1224
		.amdhsa_private_segment_fixed_size 112
		.amdhsa_kernarg_size 60
		.amdhsa_user_sgpr_count 4
		.amdhsa_user_sgpr_dispatch_ptr 1
		.amdhsa_user_sgpr_queue_ptr 0
		.amdhsa_user_sgpr_kernarg_segment_ptr 1
		.amdhsa_user_sgpr_dispatch_id 0
		.amdhsa_user_sgpr_private_segment_size 0
		.amdhsa_wavefront_size32 1
		.amdhsa_uses_dynamic_stack 0
		.amdhsa_enable_private_segment 1
		.amdhsa_system_sgpr_workgroup_id_x 1
		.amdhsa_system_sgpr_workgroup_id_y 0
		.amdhsa_system_sgpr_workgroup_id_z 0
		.amdhsa_system_sgpr_workgroup_info 0
		.amdhsa_system_vgpr_workitem_id 2
		.amdhsa_next_free_vgpr 56
		.amdhsa_next_free_sgpr 21
		.amdhsa_reserve_vcc 1
		.amdhsa_float_round_mode_32 0
		.amdhsa_float_round_mode_16_64 0
		.amdhsa_float_denorm_mode_32 3
		.amdhsa_float_denorm_mode_16_64 3
		.amdhsa_fp16_overflow 0
		.amdhsa_workgroup_processor_mode 1
		.amdhsa_memory_ordered 1
		.amdhsa_forward_progress 1
		.amdhsa_inst_pref_size 43
		.amdhsa_round_robin_scheduling 0
		.amdhsa_exception_fp_ieee_invalid_op 0
		.amdhsa_exception_fp_denorm_src 0
		.amdhsa_exception_fp_ieee_div_zero 0
		.amdhsa_exception_fp_ieee_overflow 0
		.amdhsa_exception_fp_ieee_underflow 0
		.amdhsa_exception_fp_ieee_inexact 0
		.amdhsa_exception_int_div_zero 0
	.end_amdhsa_kernel
	.section	.text._ZN9rocsolver6v33100L18getri_kernel_smallILi6E19rocblas_complex_numIdEPS3_EEvT1_iilPiilS6_bb,"axG",@progbits,_ZN9rocsolver6v33100L18getri_kernel_smallILi6E19rocblas_complex_numIdEPS3_EEvT1_iilPiilS6_bb,comdat
.Lfunc_end5:
	.size	_ZN9rocsolver6v33100L18getri_kernel_smallILi6E19rocblas_complex_numIdEPS3_EEvT1_iilPiilS6_bb, .Lfunc_end5-_ZN9rocsolver6v33100L18getri_kernel_smallILi6E19rocblas_complex_numIdEPS3_EEvT1_iilPiilS6_bb
                                        ; -- End function
	.set _ZN9rocsolver6v33100L18getri_kernel_smallILi6E19rocblas_complex_numIdEPS3_EEvT1_iilPiilS6_bb.num_vgpr, 56
	.set _ZN9rocsolver6v33100L18getri_kernel_smallILi6E19rocblas_complex_numIdEPS3_EEvT1_iilPiilS6_bb.num_agpr, 0
	.set _ZN9rocsolver6v33100L18getri_kernel_smallILi6E19rocblas_complex_numIdEPS3_EEvT1_iilPiilS6_bb.numbered_sgpr, 21
	.set _ZN9rocsolver6v33100L18getri_kernel_smallILi6E19rocblas_complex_numIdEPS3_EEvT1_iilPiilS6_bb.num_named_barrier, 0
	.set _ZN9rocsolver6v33100L18getri_kernel_smallILi6E19rocblas_complex_numIdEPS3_EEvT1_iilPiilS6_bb.private_seg_size, 112
	.set _ZN9rocsolver6v33100L18getri_kernel_smallILi6E19rocblas_complex_numIdEPS3_EEvT1_iilPiilS6_bb.uses_vcc, 1
	.set _ZN9rocsolver6v33100L18getri_kernel_smallILi6E19rocblas_complex_numIdEPS3_EEvT1_iilPiilS6_bb.uses_flat_scratch, 1
	.set _ZN9rocsolver6v33100L18getri_kernel_smallILi6E19rocblas_complex_numIdEPS3_EEvT1_iilPiilS6_bb.has_dyn_sized_stack, 0
	.set _ZN9rocsolver6v33100L18getri_kernel_smallILi6E19rocblas_complex_numIdEPS3_EEvT1_iilPiilS6_bb.has_recursion, 0
	.set _ZN9rocsolver6v33100L18getri_kernel_smallILi6E19rocblas_complex_numIdEPS3_EEvT1_iilPiilS6_bb.has_indirect_call, 0
	.section	.AMDGPU.csdata,"",@progbits
; Kernel info:
; codeLenInByte = 5432
; TotalNumSgprs: 23
; NumVgprs: 56
; ScratchSize: 112
; MemoryBound: 0
; FloatMode: 240
; IeeeMode: 1
; LDSByteSize: 1224 bytes/workgroup (compile time only)
; SGPRBlocks: 0
; VGPRBlocks: 6
; NumSGPRsForWavesPerEU: 23
; NumVGPRsForWavesPerEU: 56
; Occupancy: 16
; WaveLimiterHint : 1
; COMPUTE_PGM_RSRC2:SCRATCH_EN: 1
; COMPUTE_PGM_RSRC2:USER_SGPR: 4
; COMPUTE_PGM_RSRC2:TRAP_HANDLER: 0
; COMPUTE_PGM_RSRC2:TGID_X_EN: 1
; COMPUTE_PGM_RSRC2:TGID_Y_EN: 0
; COMPUTE_PGM_RSRC2:TGID_Z_EN: 0
; COMPUTE_PGM_RSRC2:TIDIG_COMP_CNT: 2
	.section	.text._ZN9rocsolver6v33100L18getri_kernel_smallILi7E19rocblas_complex_numIdEPS3_EEvT1_iilPiilS6_bb,"axG",@progbits,_ZN9rocsolver6v33100L18getri_kernel_smallILi7E19rocblas_complex_numIdEPS3_EEvT1_iilPiilS6_bb,comdat
	.globl	_ZN9rocsolver6v33100L18getri_kernel_smallILi7E19rocblas_complex_numIdEPS3_EEvT1_iilPiilS6_bb ; -- Begin function _ZN9rocsolver6v33100L18getri_kernel_smallILi7E19rocblas_complex_numIdEPS3_EEvT1_iilPiilS6_bb
	.p2align	8
	.type	_ZN9rocsolver6v33100L18getri_kernel_smallILi7E19rocblas_complex_numIdEPS3_EEvT1_iilPiilS6_bb,@function
_ZN9rocsolver6v33100L18getri_kernel_smallILi7E19rocblas_complex_numIdEPS3_EEvT1_iilPiilS6_bb: ; @_ZN9rocsolver6v33100L18getri_kernel_smallILi7E19rocblas_complex_numIdEPS3_EEvT1_iilPiilS6_bb
; %bb.0:
	v_and_b32_e32 v27, 0x3ff, v0
	s_mov_b32 s4, exec_lo
	s_delay_alu instid0(VALU_DEP_1)
	v_cmpx_gt_u32_e32 7, v27
	s_cbranch_execz .LBB6_42
; %bb.1:
	s_clause 0x2
	s_load_b32 s8, s[2:3], 0x38
	s_load_b128 s[12:15], s[2:3], 0x10
	s_load_b128 s[4:7], s[2:3], 0x28
	s_mov_b32 s18, ttmp9
                                        ; implicit-def: $sgpr16_sgpr17
	s_wait_kmcnt 0x0
	s_bitcmp1_b32 s8, 8
	s_cselect_b32 s20, -1, 0
	s_bfe_u32 s8, s8, 0x10008
	s_ashr_i32 s19, ttmp9, 31
	s_cmp_eq_u32 s8, 0
	s_cbranch_scc1 .LBB6_3
; %bb.2:
	s_load_b32 s8, s[2:3], 0x20
	s_mul_u64 s[4:5], s[4:5], s[18:19]
	s_delay_alu instid0(SALU_CYCLE_1) | instskip(NEXT) | instid1(SALU_CYCLE_1)
	s_lshl_b64 s[4:5], s[4:5], 2
	s_add_nc_u64 s[4:5], s[14:15], s[4:5]
	s_wait_kmcnt 0x0
	s_ashr_i32 s9, s8, 31
	s_delay_alu instid0(SALU_CYCLE_1) | instskip(NEXT) | instid1(SALU_CYCLE_1)
	s_lshl_b64 s[8:9], s[8:9], 2
	s_add_nc_u64 s[16:17], s[4:5], s[8:9]
.LBB6_3:
	s_clause 0x1
	s_load_b128 s[8:11], s[2:3], 0x0
	s_load_b32 s14, s[2:3], 0x38
	s_mul_u64 s[2:3], s[12:13], s[18:19]
	v_lshlrev_b32_e32 v28, 4, v27
	s_lshl_b64 s[2:3], s[2:3], 4
	s_wait_kmcnt 0x0
	v_add3_u32 v5, s11, s11, v27
	s_ashr_i32 s5, s10, 31
	s_mov_b32 s4, s10
	s_add_nc_u64 s[2:3], s[8:9], s[2:3]
	s_lshl_b64 s[4:5], s[4:5], 4
	v_add_nc_u32_e32 v7, s11, v5
	v_ashrrev_i32_e32 v6, 31, v5
	s_add_nc_u64 s[2:3], s[2:3], s[4:5]
	s_ashr_i32 s9, s11, 31
	v_add_co_u32 v13, s4, s2, v28
	v_add_nc_u32_e32 v9, s11, v7
	s_mov_b32 s8, s11
	v_lshlrev_b64_e32 v[5:6], 4, v[5:6]
	v_add_co_ci_u32_e64 v14, null, s3, 0, s4
	s_delay_alu instid0(VALU_DEP_3)
	v_add_nc_u32_e32 v11, s11, v9
	v_ashrrev_i32_e32 v8, 31, v7
	s_lshl_b64 s[8:9], s[8:9], 4
	v_ashrrev_i32_e32 v10, 31, v9
	v_add_co_u32 v15, vcc_lo, v13, s8
	v_add_nc_u32_e32 v23, s11, v11
	v_ashrrev_i32_e32 v12, 31, v11
	v_add_co_ci_u32_e64 v16, null, s9, v14, vcc_lo
	v_lshlrev_b64_e32 v[7:8], 4, v[7:8]
	v_add_co_u32 v17, vcc_lo, s2, v5
	v_ashrrev_i32_e32 v24, 31, v23
	s_wait_alu 0xfffd
	v_add_co_ci_u32_e64 v18, null, s3, v6, vcc_lo
	v_lshlrev_b64_e32 v[5:6], 4, v[9:10]
	v_lshlrev_b64_e32 v[25:26], 4, v[11:12]
	v_add_co_u32 v19, vcc_lo, s2, v7
	v_lshlrev_b64_e32 v[37:38], 4, v[23:24]
	s_wait_alu 0xfffd
	v_add_co_ci_u32_e64 v20, null, s3, v8, vcc_lo
	v_add_co_u32 v21, vcc_lo, s2, v5
	s_wait_alu 0xfffd
	v_add_co_ci_u32_e64 v22, null, s3, v6, vcc_lo
	v_add_co_u32 v23, vcc_lo, s2, v25
	;; [unrolled: 3-line block ×3, first 2 shown]
	s_wait_alu 0xfffd
	v_add_co_ci_u32_e64 v26, null, s3, v38, vcc_lo
	s_clause 0x6
	global_load_b128 v[1:4], v28, s[2:3]
	global_load_b128 v[5:8], v[15:16], off
	global_load_b128 v[9:12], v[17:18], off
	;; [unrolled: 1-line block ×6, first 2 shown]
	s_mov_b32 s4, 16
	s_mov_b32 s8, 32
	s_mov_b32 s5, 48
	s_movk_i32 s9, 0x50
	s_mov_b32 s10, 64
	s_movk_i32 s11, 0x60
	s_bitcmp0_b32 s14, 0
	s_mov_b32 s3, -1
	s_wait_loadcnt 0x6
	scratch_store_b128 off, v[1:4], off
	s_wait_loadcnt 0x5
	scratch_store_b128 off, v[5:8], off offset:16
	s_wait_loadcnt 0x4
	scratch_store_b128 off, v[9:12], off offset:32
	;; [unrolled: 2-line block ×6, first 2 shown]
	s_cbranch_scc1 .LBB6_40
; %bb.4:
	v_cmp_eq_u32_e64 s2, 0, v27
	s_and_saveexec_b32 s3, s2
; %bb.5:
	v_mov_b32_e32 v1, 0
	ds_store_b32 v1, v1 offset:224
; %bb.6:
	s_wait_alu 0xfffe
	s_or_b32 exec_lo, exec_lo, s3
	s_wait_storecnt_dscnt 0x0
	s_barrier_signal -1
	s_barrier_wait -1
	global_inv scope:SCOPE_SE
	scratch_load_b128 v[1:4], v28, off
	s_wait_loadcnt 0x0
	v_cmp_eq_f64_e32 vcc_lo, 0, v[1:2]
	v_cmp_eq_f64_e64 s3, 0, v[3:4]
	s_and_b32 s3, vcc_lo, s3
	s_wait_alu 0xfffe
	s_and_saveexec_b32 s12, s3
	s_cbranch_execz .LBB6_10
; %bb.7:
	v_mov_b32_e32 v1, 0
	s_mov_b32 s13, 0
	ds_load_b32 v2, v1 offset:224
	s_wait_dscnt 0x0
	v_readfirstlane_b32 s3, v2
	v_add_nc_u32_e32 v2, 1, v27
	s_cmp_eq_u32 s3, 0
	s_delay_alu instid0(VALU_DEP_1) | instskip(SKIP_1) | instid1(SALU_CYCLE_1)
	v_cmp_gt_i32_e32 vcc_lo, s3, v2
	s_cselect_b32 s14, -1, 0
	s_or_b32 s14, s14, vcc_lo
	s_delay_alu instid0(SALU_CYCLE_1)
	s_and_b32 exec_lo, exec_lo, s14
	s_cbranch_execz .LBB6_10
; %bb.8:
	v_mov_b32_e32 v3, s3
.LBB6_9:                                ; =>This Inner Loop Header: Depth=1
	ds_cmpstore_rtn_b32 v3, v1, v2, v3 offset:224
	s_wait_dscnt 0x0
	v_cmp_ne_u32_e32 vcc_lo, 0, v3
	v_cmp_le_i32_e64 s3, v3, v2
	s_and_b32 s3, vcc_lo, s3
	s_wait_alu 0xfffe
	s_and_b32 s3, exec_lo, s3
	s_wait_alu 0xfffe
	s_or_b32 s13, s3, s13
	s_delay_alu instid0(SALU_CYCLE_1)
	s_and_not1_b32 exec_lo, exec_lo, s13
	s_cbranch_execnz .LBB6_9
.LBB6_10:
	s_or_b32 exec_lo, exec_lo, s12
	v_mov_b32_e32 v1, 0
	s_barrier_signal -1
	s_barrier_wait -1
	global_inv scope:SCOPE_SE
	ds_load_b32 v2, v1 offset:224
	s_and_saveexec_b32 s3, s2
	s_cbranch_execz .LBB6_12
; %bb.11:
	s_lshl_b64 s[12:13], s[18:19], 2
	s_delay_alu instid0(SALU_CYCLE_1)
	s_add_nc_u64 s[12:13], s[6:7], s[12:13]
	s_wait_dscnt 0x0
	global_store_b32 v1, v2, s[12:13]
.LBB6_12:
	s_wait_alu 0xfffe
	s_or_b32 exec_lo, exec_lo, s3
	s_wait_dscnt 0x0
	v_cmp_ne_u32_e32 vcc_lo, 0, v2
	s_mov_b32 s3, 0
	s_cbranch_vccnz .LBB6_40
; %bb.13:
	v_mov_b32_e32 v29, v28
                                        ; implicit-def: $vgpr1_vgpr2
                                        ; implicit-def: $vgpr9_vgpr10
	scratch_load_b128 v[5:8], v29, off
	s_wait_loadcnt 0x0
	v_cmp_ngt_f64_e64 s3, |v[5:6]|, |v[7:8]|
	s_wait_alu 0xfffe
	s_and_saveexec_b32 s12, s3
	s_delay_alu instid0(SALU_CYCLE_1)
	s_xor_b32 s3, exec_lo, s12
	s_cbranch_execz .LBB6_15
; %bb.14:
	v_div_scale_f64 v[1:2], null, v[7:8], v[7:8], v[5:6]
	v_div_scale_f64 v[11:12], vcc_lo, v[5:6], v[7:8], v[5:6]
	s_delay_alu instid0(VALU_DEP_2) | instskip(NEXT) | instid1(TRANS32_DEP_1)
	v_rcp_f64_e32 v[3:4], v[1:2]
	v_fma_f64 v[9:10], -v[1:2], v[3:4], 1.0
	s_delay_alu instid0(VALU_DEP_1) | instskip(NEXT) | instid1(VALU_DEP_1)
	v_fma_f64 v[3:4], v[3:4], v[9:10], v[3:4]
	v_fma_f64 v[9:10], -v[1:2], v[3:4], 1.0
	s_delay_alu instid0(VALU_DEP_1) | instskip(NEXT) | instid1(VALU_DEP_1)
	v_fma_f64 v[3:4], v[3:4], v[9:10], v[3:4]
	v_mul_f64_e32 v[9:10], v[11:12], v[3:4]
	s_delay_alu instid0(VALU_DEP_1) | instskip(SKIP_1) | instid1(VALU_DEP_1)
	v_fma_f64 v[1:2], -v[1:2], v[9:10], v[11:12]
	s_wait_alu 0xfffd
	v_div_fmas_f64 v[1:2], v[1:2], v[3:4], v[9:10]
	s_delay_alu instid0(VALU_DEP_1) | instskip(NEXT) | instid1(VALU_DEP_1)
	v_div_fixup_f64 v[1:2], v[1:2], v[7:8], v[5:6]
	v_fma_f64 v[3:4], v[5:6], v[1:2], v[7:8]
	s_delay_alu instid0(VALU_DEP_1) | instskip(SKIP_1) | instid1(VALU_DEP_2)
	v_div_scale_f64 v[5:6], null, v[3:4], v[3:4], 1.0
	v_div_scale_f64 v[11:12], vcc_lo, 1.0, v[3:4], 1.0
	v_rcp_f64_e32 v[7:8], v[5:6]
	s_delay_alu instid0(TRANS32_DEP_1) | instskip(NEXT) | instid1(VALU_DEP_1)
	v_fma_f64 v[9:10], -v[5:6], v[7:8], 1.0
	v_fma_f64 v[7:8], v[7:8], v[9:10], v[7:8]
	s_delay_alu instid0(VALU_DEP_1) | instskip(NEXT) | instid1(VALU_DEP_1)
	v_fma_f64 v[9:10], -v[5:6], v[7:8], 1.0
	v_fma_f64 v[7:8], v[7:8], v[9:10], v[7:8]
	s_delay_alu instid0(VALU_DEP_1) | instskip(NEXT) | instid1(VALU_DEP_1)
	v_mul_f64_e32 v[9:10], v[11:12], v[7:8]
	v_fma_f64 v[5:6], -v[5:6], v[9:10], v[11:12]
	s_wait_alu 0xfffd
	s_delay_alu instid0(VALU_DEP_1) | instskip(NEXT) | instid1(VALU_DEP_1)
	v_div_fmas_f64 v[5:6], v[5:6], v[7:8], v[9:10]
	v_div_fixup_f64 v[3:4], v[5:6], v[3:4], 1.0
                                        ; implicit-def: $vgpr5_vgpr6
	s_delay_alu instid0(VALU_DEP_1) | instskip(SKIP_1) | instid1(VALU_DEP_2)
	v_mul_f64_e32 v[1:2], v[1:2], v[3:4]
	v_xor_b32_e32 v4, 0x80000000, v4
	v_xor_b32_e32 v10, 0x80000000, v2
	s_delay_alu instid0(VALU_DEP_3)
	v_mov_b32_e32 v9, v1
.LBB6_15:
	s_wait_alu 0xfffe
	s_and_not1_saveexec_b32 s3, s3
	s_cbranch_execz .LBB6_17
; %bb.16:
	v_div_scale_f64 v[1:2], null, v[5:6], v[5:6], v[7:8]
	v_div_scale_f64 v[11:12], vcc_lo, v[7:8], v[5:6], v[7:8]
	s_delay_alu instid0(VALU_DEP_2) | instskip(NEXT) | instid1(TRANS32_DEP_1)
	v_rcp_f64_e32 v[3:4], v[1:2]
	v_fma_f64 v[9:10], -v[1:2], v[3:4], 1.0
	s_delay_alu instid0(VALU_DEP_1) | instskip(NEXT) | instid1(VALU_DEP_1)
	v_fma_f64 v[3:4], v[3:4], v[9:10], v[3:4]
	v_fma_f64 v[9:10], -v[1:2], v[3:4], 1.0
	s_delay_alu instid0(VALU_DEP_1) | instskip(NEXT) | instid1(VALU_DEP_1)
	v_fma_f64 v[3:4], v[3:4], v[9:10], v[3:4]
	v_mul_f64_e32 v[9:10], v[11:12], v[3:4]
	s_delay_alu instid0(VALU_DEP_1) | instskip(SKIP_1) | instid1(VALU_DEP_1)
	v_fma_f64 v[1:2], -v[1:2], v[9:10], v[11:12]
	s_wait_alu 0xfffd
	v_div_fmas_f64 v[1:2], v[1:2], v[3:4], v[9:10]
	s_delay_alu instid0(VALU_DEP_1) | instskip(NEXT) | instid1(VALU_DEP_1)
	v_div_fixup_f64 v[3:4], v[1:2], v[5:6], v[7:8]
	v_fma_f64 v[1:2], v[7:8], v[3:4], v[5:6]
	s_delay_alu instid0(VALU_DEP_1) | instskip(NEXT) | instid1(VALU_DEP_1)
	v_div_scale_f64 v[5:6], null, v[1:2], v[1:2], 1.0
	v_rcp_f64_e32 v[7:8], v[5:6]
	s_delay_alu instid0(TRANS32_DEP_1) | instskip(NEXT) | instid1(VALU_DEP_1)
	v_fma_f64 v[9:10], -v[5:6], v[7:8], 1.0
	v_fma_f64 v[7:8], v[7:8], v[9:10], v[7:8]
	s_delay_alu instid0(VALU_DEP_1) | instskip(NEXT) | instid1(VALU_DEP_1)
	v_fma_f64 v[9:10], -v[5:6], v[7:8], 1.0
	v_fma_f64 v[7:8], v[7:8], v[9:10], v[7:8]
	v_div_scale_f64 v[9:10], vcc_lo, 1.0, v[1:2], 1.0
	s_delay_alu instid0(VALU_DEP_1) | instskip(NEXT) | instid1(VALU_DEP_1)
	v_mul_f64_e32 v[11:12], v[9:10], v[7:8]
	v_fma_f64 v[5:6], -v[5:6], v[11:12], v[9:10]
	s_wait_alu 0xfffd
	s_delay_alu instid0(VALU_DEP_1) | instskip(NEXT) | instid1(VALU_DEP_1)
	v_div_fmas_f64 v[5:6], v[5:6], v[7:8], v[11:12]
	v_div_fixup_f64 v[1:2], v[5:6], v[1:2], 1.0
	s_delay_alu instid0(VALU_DEP_1)
	v_mul_f64_e64 v[3:4], v[3:4], -v[1:2]
	v_xor_b32_e32 v10, 0x80000000, v2
	v_mov_b32_e32 v9, v1
.LBB6_17:
	s_wait_alu 0xfffe
	s_or_b32 exec_lo, exec_lo, s3
	scratch_store_b128 v29, v[1:4], off
	scratch_load_b128 v[30:33], off, s4
	v_xor_b32_e32 v12, 0x80000000, v4
	v_mov_b32_e32 v11, v3
	v_add_nc_u32_e32 v5, 0x70, v28
	ds_store_b128 v28, v[9:12]
	s_wait_loadcnt 0x0
	ds_store_b128 v28, v[30:33] offset:112
	s_wait_storecnt_dscnt 0x0
	s_barrier_signal -1
	s_barrier_wait -1
	global_inv scope:SCOPE_SE
	s_and_saveexec_b32 s3, s2
	s_cbranch_execz .LBB6_19
; %bb.18:
	scratch_load_b128 v[1:4], v29, off
	ds_load_b128 v[6:9], v5
	v_mov_b32_e32 v10, 0
	ds_load_b128 v[30:33], v10 offset:16
	s_wait_loadcnt_dscnt 0x1
	v_mul_f64_e32 v[10:11], v[6:7], v[3:4]
	v_mul_f64_e32 v[3:4], v[8:9], v[3:4]
	s_delay_alu instid0(VALU_DEP_2) | instskip(NEXT) | instid1(VALU_DEP_2)
	v_fma_f64 v[8:9], v[8:9], v[1:2], v[10:11]
	v_fma_f64 v[1:2], v[6:7], v[1:2], -v[3:4]
	s_delay_alu instid0(VALU_DEP_2) | instskip(NEXT) | instid1(VALU_DEP_2)
	v_add_f64_e32 v[3:4], 0, v[8:9]
	v_add_f64_e32 v[1:2], 0, v[1:2]
	s_wait_dscnt 0x0
	s_delay_alu instid0(VALU_DEP_2) | instskip(NEXT) | instid1(VALU_DEP_2)
	v_mul_f64_e32 v[6:7], v[3:4], v[32:33]
	v_mul_f64_e32 v[8:9], v[1:2], v[32:33]
	s_delay_alu instid0(VALU_DEP_2) | instskip(NEXT) | instid1(VALU_DEP_2)
	v_fma_f64 v[1:2], v[1:2], v[30:31], -v[6:7]
	v_fma_f64 v[3:4], v[3:4], v[30:31], v[8:9]
	scratch_store_b128 off, v[1:4], off offset:16
.LBB6_19:
	s_wait_alu 0xfffe
	s_or_b32 exec_lo, exec_lo, s3
	s_wait_loadcnt 0x0
	s_wait_storecnt 0x0
	s_barrier_signal -1
	s_barrier_wait -1
	global_inv scope:SCOPE_SE
	scratch_load_b128 v[1:4], off, s8
	s_mov_b32 s3, exec_lo
	s_wait_loadcnt 0x0
	ds_store_b128 v5, v[1:4]
	s_wait_dscnt 0x0
	s_barrier_signal -1
	s_barrier_wait -1
	global_inv scope:SCOPE_SE
	v_cmpx_gt_u32_e32 2, v27
	s_cbranch_execz .LBB6_23
; %bb.20:
	scratch_load_b128 v[1:4], v29, off
	ds_load_b128 v[6:9], v5
	s_wait_loadcnt_dscnt 0x0
	v_mul_f64_e32 v[10:11], v[8:9], v[3:4]
	v_mul_f64_e32 v[3:4], v[6:7], v[3:4]
	s_delay_alu instid0(VALU_DEP_2) | instskip(NEXT) | instid1(VALU_DEP_2)
	v_fma_f64 v[6:7], v[6:7], v[1:2], -v[10:11]
	v_fma_f64 v[3:4], v[8:9], v[1:2], v[3:4]
	s_delay_alu instid0(VALU_DEP_2) | instskip(NEXT) | instid1(VALU_DEP_2)
	v_add_f64_e32 v[1:2], 0, v[6:7]
	v_add_f64_e32 v[3:4], 0, v[3:4]
	s_and_saveexec_b32 s12, s2
	s_cbranch_execz .LBB6_22
; %bb.21:
	scratch_load_b128 v[6:9], off, off offset:16
	v_mov_b32_e32 v10, 0
	ds_load_b128 v[30:33], v10 offset:128
	s_wait_loadcnt_dscnt 0x0
	v_mul_f64_e32 v[10:11], v[30:31], v[8:9]
	v_mul_f64_e32 v[8:9], v[32:33], v[8:9]
	s_delay_alu instid0(VALU_DEP_2) | instskip(NEXT) | instid1(VALU_DEP_2)
	v_fma_f64 v[10:11], v[32:33], v[6:7], v[10:11]
	v_fma_f64 v[6:7], v[30:31], v[6:7], -v[8:9]
	s_delay_alu instid0(VALU_DEP_2) | instskip(NEXT) | instid1(VALU_DEP_2)
	v_add_f64_e32 v[3:4], v[3:4], v[10:11]
	v_add_f64_e32 v[1:2], v[1:2], v[6:7]
.LBB6_22:
	s_or_b32 exec_lo, exec_lo, s12
	v_mov_b32_e32 v6, 0
	ds_load_b128 v[6:9], v6 offset:32
	s_wait_dscnt 0x0
	v_mul_f64_e32 v[10:11], v[3:4], v[8:9]
	v_mul_f64_e32 v[8:9], v[1:2], v[8:9]
	s_delay_alu instid0(VALU_DEP_2) | instskip(NEXT) | instid1(VALU_DEP_2)
	v_fma_f64 v[1:2], v[1:2], v[6:7], -v[10:11]
	v_fma_f64 v[3:4], v[3:4], v[6:7], v[8:9]
	scratch_store_b128 off, v[1:4], off offset:32
.LBB6_23:
	s_wait_alu 0xfffe
	s_or_b32 exec_lo, exec_lo, s3
	s_wait_loadcnt 0x0
	s_wait_storecnt 0x0
	s_barrier_signal -1
	s_barrier_wait -1
	global_inv scope:SCOPE_SE
	scratch_load_b128 v[1:4], off, s5
	v_add_nc_u32_e32 v6, -1, v27
	s_mov_b32 s2, exec_lo
	s_wait_loadcnt 0x0
	ds_store_b128 v5, v[1:4]
	s_wait_dscnt 0x0
	s_barrier_signal -1
	s_barrier_wait -1
	global_inv scope:SCOPE_SE
	v_cmpx_gt_u32_e32 3, v27
	s_cbranch_execz .LBB6_27
; %bb.24:
	v_dual_mov_b32 v1, 0 :: v_dual_add_nc_u32 v8, 0x70, v28
	v_mov_b32_e32 v3, 0
	v_dual_mov_b32 v2, 0 :: v_dual_add_nc_u32 v7, -1, v27
	v_mov_b32_e32 v4, 0
	v_or_b32_e32 v9, 8, v29
	s_mov_b32 s3, 0
.LBB6_25:                               ; =>This Inner Loop Header: Depth=1
	scratch_load_b128 v[30:33], v9, off offset:-8
	ds_load_b128 v[34:37], v8
	v_add_nc_u32_e32 v7, 1, v7
	v_add_nc_u32_e32 v8, 16, v8
	v_add_nc_u32_e32 v9, 16, v9
	s_delay_alu instid0(VALU_DEP_3)
	v_cmp_lt_u32_e32 vcc_lo, 1, v7
	s_wait_alu 0xfffe
	s_or_b32 s3, vcc_lo, s3
	s_wait_loadcnt_dscnt 0x0
	v_mul_f64_e32 v[10:11], v[36:37], v[32:33]
	v_mul_f64_e32 v[32:33], v[34:35], v[32:33]
	s_delay_alu instid0(VALU_DEP_2) | instskip(NEXT) | instid1(VALU_DEP_2)
	v_fma_f64 v[10:11], v[34:35], v[30:31], -v[10:11]
	v_fma_f64 v[30:31], v[36:37], v[30:31], v[32:33]
	s_delay_alu instid0(VALU_DEP_2) | instskip(NEXT) | instid1(VALU_DEP_2)
	v_add_f64_e32 v[3:4], v[3:4], v[10:11]
	v_add_f64_e32 v[1:2], v[1:2], v[30:31]
	s_wait_alu 0xfffe
	s_and_not1_b32 exec_lo, exec_lo, s3
	s_cbranch_execnz .LBB6_25
; %bb.26:
	s_or_b32 exec_lo, exec_lo, s3
	v_mov_b32_e32 v7, 0
	ds_load_b128 v[7:10], v7 offset:48
	s_wait_dscnt 0x0
	v_mul_f64_e32 v[11:12], v[1:2], v[9:10]
	v_mul_f64_e32 v[30:31], v[3:4], v[9:10]
	s_delay_alu instid0(VALU_DEP_2) | instskip(NEXT) | instid1(VALU_DEP_2)
	v_fma_f64 v[9:10], v[3:4], v[7:8], -v[11:12]
	v_fma_f64 v[11:12], v[1:2], v[7:8], v[30:31]
	scratch_store_b128 off, v[9:12], off offset:48
.LBB6_27:
	s_wait_alu 0xfffe
	s_or_b32 exec_lo, exec_lo, s2
	s_wait_loadcnt 0x0
	s_wait_storecnt 0x0
	s_barrier_signal -1
	s_barrier_wait -1
	global_inv scope:SCOPE_SE
	scratch_load_b128 v[1:4], off, s10
	s_mov_b32 s2, exec_lo
	s_wait_loadcnt 0x0
	ds_store_b128 v5, v[1:4]
	s_wait_dscnt 0x0
	s_barrier_signal -1
	s_barrier_wait -1
	global_inv scope:SCOPE_SE
	v_cmpx_gt_u32_e32 4, v27
	s_cbranch_execz .LBB6_31
; %bb.28:
	v_dual_mov_b32 v1, 0 :: v_dual_add_nc_u32 v8, 0x70, v28
	v_mov_b32_e32 v3, 0
	v_dual_mov_b32 v2, 0 :: v_dual_add_nc_u32 v7, -1, v27
	v_mov_b32_e32 v4, 0
	v_or_b32_e32 v9, 8, v29
	s_mov_b32 s3, 0
.LBB6_29:                               ; =>This Inner Loop Header: Depth=1
	scratch_load_b128 v[30:33], v9, off offset:-8
	ds_load_b128 v[34:37], v8
	v_add_nc_u32_e32 v7, 1, v7
	v_add_nc_u32_e32 v8, 16, v8
	v_add_nc_u32_e32 v9, 16, v9
	s_delay_alu instid0(VALU_DEP_3)
	v_cmp_lt_u32_e32 vcc_lo, 2, v7
	s_wait_alu 0xfffe
	s_or_b32 s3, vcc_lo, s3
	s_wait_loadcnt_dscnt 0x0
	v_mul_f64_e32 v[10:11], v[36:37], v[32:33]
	v_mul_f64_e32 v[32:33], v[34:35], v[32:33]
	s_delay_alu instid0(VALU_DEP_2) | instskip(NEXT) | instid1(VALU_DEP_2)
	v_fma_f64 v[10:11], v[34:35], v[30:31], -v[10:11]
	v_fma_f64 v[30:31], v[36:37], v[30:31], v[32:33]
	s_delay_alu instid0(VALU_DEP_2) | instskip(NEXT) | instid1(VALU_DEP_2)
	v_add_f64_e32 v[3:4], v[3:4], v[10:11]
	v_add_f64_e32 v[1:2], v[1:2], v[30:31]
	s_wait_alu 0xfffe
	s_and_not1_b32 exec_lo, exec_lo, s3
	s_cbranch_execnz .LBB6_29
; %bb.30:
	s_or_b32 exec_lo, exec_lo, s3
	v_mov_b32_e32 v7, 0
	ds_load_b128 v[7:10], v7 offset:64
	s_wait_dscnt 0x0
	v_mul_f64_e32 v[11:12], v[1:2], v[9:10]
	v_mul_f64_e32 v[30:31], v[3:4], v[9:10]
	s_delay_alu instid0(VALU_DEP_2) | instskip(NEXT) | instid1(VALU_DEP_2)
	v_fma_f64 v[9:10], v[3:4], v[7:8], -v[11:12]
	v_fma_f64 v[11:12], v[1:2], v[7:8], v[30:31]
	scratch_store_b128 off, v[9:12], off offset:64
.LBB6_31:
	s_wait_alu 0xfffe
	s_or_b32 exec_lo, exec_lo, s2
	s_wait_loadcnt 0x0
	s_wait_storecnt 0x0
	s_barrier_signal -1
	s_barrier_wait -1
	global_inv scope:SCOPE_SE
	scratch_load_b128 v[1:4], off, s9
	s_mov_b32 s2, exec_lo
	s_wait_loadcnt 0x0
	ds_store_b128 v5, v[1:4]
	s_wait_dscnt 0x0
	s_barrier_signal -1
	s_barrier_wait -1
	global_inv scope:SCOPE_SE
	v_cmpx_gt_u32_e32 5, v27
	s_cbranch_execz .LBB6_35
; %bb.32:
	v_dual_mov_b32 v1, 0 :: v_dual_add_nc_u32 v8, 0x70, v28
	v_mov_b32_e32 v3, 0
	v_dual_mov_b32 v2, 0 :: v_dual_add_nc_u32 v7, -1, v27
	v_mov_b32_e32 v4, 0
	v_or_b32_e32 v9, 8, v29
	s_mov_b32 s3, 0
.LBB6_33:                               ; =>This Inner Loop Header: Depth=1
	scratch_load_b128 v[30:33], v9, off offset:-8
	ds_load_b128 v[34:37], v8
	v_add_nc_u32_e32 v7, 1, v7
	v_add_nc_u32_e32 v8, 16, v8
	v_add_nc_u32_e32 v9, 16, v9
	s_delay_alu instid0(VALU_DEP_3)
	v_cmp_lt_u32_e32 vcc_lo, 3, v7
	s_wait_alu 0xfffe
	s_or_b32 s3, vcc_lo, s3
	s_wait_loadcnt_dscnt 0x0
	v_mul_f64_e32 v[10:11], v[36:37], v[32:33]
	v_mul_f64_e32 v[32:33], v[34:35], v[32:33]
	s_delay_alu instid0(VALU_DEP_2) | instskip(NEXT) | instid1(VALU_DEP_2)
	v_fma_f64 v[10:11], v[34:35], v[30:31], -v[10:11]
	v_fma_f64 v[30:31], v[36:37], v[30:31], v[32:33]
	s_delay_alu instid0(VALU_DEP_2) | instskip(NEXT) | instid1(VALU_DEP_2)
	v_add_f64_e32 v[3:4], v[3:4], v[10:11]
	v_add_f64_e32 v[1:2], v[1:2], v[30:31]
	s_wait_alu 0xfffe
	s_and_not1_b32 exec_lo, exec_lo, s3
	s_cbranch_execnz .LBB6_33
; %bb.34:
	s_or_b32 exec_lo, exec_lo, s3
	v_mov_b32_e32 v7, 0
	ds_load_b128 v[7:10], v7 offset:80
	s_wait_dscnt 0x0
	v_mul_f64_e32 v[11:12], v[1:2], v[9:10]
	v_mul_f64_e32 v[30:31], v[3:4], v[9:10]
	s_delay_alu instid0(VALU_DEP_2) | instskip(NEXT) | instid1(VALU_DEP_2)
	v_fma_f64 v[9:10], v[3:4], v[7:8], -v[11:12]
	v_fma_f64 v[11:12], v[1:2], v[7:8], v[30:31]
	scratch_store_b128 off, v[9:12], off offset:80
.LBB6_35:
	s_wait_alu 0xfffe
	s_or_b32 exec_lo, exec_lo, s2
	s_wait_loadcnt 0x0
	s_wait_storecnt 0x0
	s_barrier_signal -1
	s_barrier_wait -1
	global_inv scope:SCOPE_SE
	scratch_load_b128 v[1:4], off, s11
	s_mov_b32 s2, exec_lo
	s_wait_loadcnt 0x0
	ds_store_b128 v5, v[1:4]
	s_wait_dscnt 0x0
	s_barrier_signal -1
	s_barrier_wait -1
	global_inv scope:SCOPE_SE
	v_cmpx_ne_u32_e32 6, v27
	s_cbranch_execz .LBB6_39
; %bb.36:
	v_mov_b32_e32 v1, 0
	v_dual_mov_b32 v2, 0 :: v_dual_mov_b32 v3, 0
	v_mov_b32_e32 v4, 0
	v_or_b32_e32 v7, 8, v29
	s_mov_b32 s3, 0
.LBB6_37:                               ; =>This Inner Loop Header: Depth=1
	scratch_load_b128 v[8:11], v7, off offset:-8
	ds_load_b128 v[28:31], v5
	v_add_nc_u32_e32 v6, 1, v6
	v_add_nc_u32_e32 v5, 16, v5
	;; [unrolled: 1-line block ×3, first 2 shown]
	s_delay_alu instid0(VALU_DEP_3)
	v_cmp_lt_u32_e32 vcc_lo, 4, v6
	s_wait_alu 0xfffe
	s_or_b32 s3, vcc_lo, s3
	s_wait_loadcnt_dscnt 0x0
	v_mul_f64_e32 v[32:33], v[30:31], v[10:11]
	v_mul_f64_e32 v[10:11], v[28:29], v[10:11]
	s_delay_alu instid0(VALU_DEP_2) | instskip(NEXT) | instid1(VALU_DEP_2)
	v_fma_f64 v[28:29], v[28:29], v[8:9], -v[32:33]
	v_fma_f64 v[8:9], v[30:31], v[8:9], v[10:11]
	s_delay_alu instid0(VALU_DEP_2) | instskip(NEXT) | instid1(VALU_DEP_2)
	v_add_f64_e32 v[3:4], v[3:4], v[28:29]
	v_add_f64_e32 v[1:2], v[1:2], v[8:9]
	s_wait_alu 0xfffe
	s_and_not1_b32 exec_lo, exec_lo, s3
	s_cbranch_execnz .LBB6_37
; %bb.38:
	s_or_b32 exec_lo, exec_lo, s3
	v_mov_b32_e32 v5, 0
	ds_load_b128 v[5:8], v5 offset:96
	s_wait_dscnt 0x0
	v_mul_f64_e32 v[9:10], v[1:2], v[7:8]
	v_mul_f64_e32 v[7:8], v[3:4], v[7:8]
	s_delay_alu instid0(VALU_DEP_2) | instskip(NEXT) | instid1(VALU_DEP_2)
	v_fma_f64 v[3:4], v[3:4], v[5:6], -v[9:10]
	v_fma_f64 v[5:6], v[1:2], v[5:6], v[7:8]
	scratch_store_b128 off, v[3:6], off offset:96
.LBB6_39:
	s_wait_alu 0xfffe
	s_or_b32 exec_lo, exec_lo, s2
	s_mov_b32 s3, -1
	s_wait_loadcnt 0x0
	s_wait_storecnt 0x0
	s_barrier_signal -1
	s_barrier_wait -1
	global_inv scope:SCOPE_SE
.LBB6_40:
	s_wait_alu 0xfffe
	s_and_b32 vcc_lo, exec_lo, s3
	s_wait_alu 0xfffe
	s_cbranch_vccz .LBB6_42
; %bb.41:
	v_mov_b32_e32 v1, 0
	s_lshl_b64 s[2:3], s[18:19], 2
	s_wait_alu 0xfffe
	s_add_nc_u64 s[2:3], s[6:7], s[2:3]
	global_load_b32 v1, v1, s[2:3]
	s_wait_loadcnt 0x0
	v_cmp_ne_u32_e32 vcc_lo, 0, v1
	s_cbranch_vccz .LBB6_43
.LBB6_42:
	s_endpgm
.LBB6_43:
	v_lshl_add_u32 v5, v27, 4, 0x70
	s_mov_b32 s2, exec_lo
	v_cmpx_eq_u32_e32 6, v27
	s_cbranch_execz .LBB6_45
; %bb.44:
	scratch_load_b128 v[1:4], off, s9
	v_mov_b32_e32 v6, 0
	s_delay_alu instid0(VALU_DEP_1)
	v_dual_mov_b32 v7, v6 :: v_dual_mov_b32 v8, v6
	v_mov_b32_e32 v9, v6
	scratch_store_b128 off, v[6:9], off offset:80
	s_wait_loadcnt 0x0
	ds_store_b128 v5, v[1:4]
.LBB6_45:
	s_wait_alu 0xfffe
	s_or_b32 exec_lo, exec_lo, s2
	s_wait_storecnt_dscnt 0x0
	s_barrier_signal -1
	s_barrier_wait -1
	global_inv scope:SCOPE_SE
	s_clause 0x1
	scratch_load_b128 v[6:9], off, off offset:96
	scratch_load_b128 v[28:31], off, off offset:80
	v_mov_b32_e32 v1, 0
	s_mov_b32 s2, exec_lo
	ds_load_b128 v[32:35], v1 offset:208
	s_wait_loadcnt_dscnt 0x100
	v_mul_f64_e32 v[2:3], v[34:35], v[8:9]
	v_mul_f64_e32 v[8:9], v[32:33], v[8:9]
	s_delay_alu instid0(VALU_DEP_2) | instskip(NEXT) | instid1(VALU_DEP_2)
	v_fma_f64 v[2:3], v[32:33], v[6:7], -v[2:3]
	v_fma_f64 v[6:7], v[34:35], v[6:7], v[8:9]
	s_delay_alu instid0(VALU_DEP_2) | instskip(NEXT) | instid1(VALU_DEP_2)
	v_add_f64_e32 v[2:3], 0, v[2:3]
	v_add_f64_e32 v[8:9], 0, v[6:7]
	s_wait_loadcnt 0x0
	s_delay_alu instid0(VALU_DEP_2) | instskip(NEXT) | instid1(VALU_DEP_2)
	v_add_f64_e64 v[6:7], v[28:29], -v[2:3]
	v_add_f64_e64 v[8:9], v[30:31], -v[8:9]
	scratch_store_b128 off, v[6:9], off offset:80
	v_cmpx_lt_u32_e32 4, v27
	s_cbranch_execz .LBB6_47
; %bb.46:
	scratch_load_b128 v[6:9], off, s10
	v_dual_mov_b32 v2, v1 :: v_dual_mov_b32 v3, v1
	v_mov_b32_e32 v4, v1
	scratch_store_b128 off, v[1:4], off offset:64
	s_wait_loadcnt 0x0
	ds_store_b128 v5, v[6:9]
.LBB6_47:
	s_wait_alu 0xfffe
	s_or_b32 exec_lo, exec_lo, s2
	s_wait_storecnt_dscnt 0x0
	s_barrier_signal -1
	s_barrier_wait -1
	global_inv scope:SCOPE_SE
	s_clause 0x2
	scratch_load_b128 v[6:9], off, off offset:80
	scratch_load_b128 v[28:31], off, off offset:96
	;; [unrolled: 1-line block ×3, first 2 shown]
	ds_load_b128 v[36:39], v1 offset:192
	ds_load_b128 v[1:4], v1 offset:208
	s_mov_b32 s2, exec_lo
	s_wait_loadcnt_dscnt 0x201
	v_mul_f64_e32 v[10:11], v[38:39], v[8:9]
	v_mul_f64_e32 v[8:9], v[36:37], v[8:9]
	s_wait_loadcnt_dscnt 0x100
	v_mul_f64_e32 v[40:41], v[1:2], v[30:31]
	v_mul_f64_e32 v[30:31], v[3:4], v[30:31]
	s_delay_alu instid0(VALU_DEP_4) | instskip(NEXT) | instid1(VALU_DEP_4)
	v_fma_f64 v[10:11], v[36:37], v[6:7], -v[10:11]
	v_fma_f64 v[6:7], v[38:39], v[6:7], v[8:9]
	s_delay_alu instid0(VALU_DEP_4) | instskip(NEXT) | instid1(VALU_DEP_4)
	v_fma_f64 v[3:4], v[3:4], v[28:29], v[40:41]
	v_fma_f64 v[1:2], v[1:2], v[28:29], -v[30:31]
	s_delay_alu instid0(VALU_DEP_4) | instskip(NEXT) | instid1(VALU_DEP_4)
	v_add_f64_e32 v[8:9], 0, v[10:11]
	v_add_f64_e32 v[6:7], 0, v[6:7]
	s_delay_alu instid0(VALU_DEP_2) | instskip(NEXT) | instid1(VALU_DEP_2)
	v_add_f64_e32 v[1:2], v[8:9], v[1:2]
	v_add_f64_e32 v[3:4], v[6:7], v[3:4]
	s_wait_loadcnt 0x0
	s_delay_alu instid0(VALU_DEP_2) | instskip(NEXT) | instid1(VALU_DEP_2)
	v_add_f64_e64 v[1:2], v[32:33], -v[1:2]
	v_add_f64_e64 v[3:4], v[34:35], -v[3:4]
	scratch_store_b128 off, v[1:4], off offset:64
	v_cmpx_lt_u32_e32 3, v27
	s_cbranch_execz .LBB6_49
; %bb.48:
	scratch_load_b128 v[1:4], off, s5
	v_mov_b32_e32 v6, 0
	s_delay_alu instid0(VALU_DEP_1)
	v_dual_mov_b32 v7, v6 :: v_dual_mov_b32 v8, v6
	v_mov_b32_e32 v9, v6
	scratch_store_b128 off, v[6:9], off offset:48
	s_wait_loadcnt 0x0
	ds_store_b128 v5, v[1:4]
.LBB6_49:
	s_wait_alu 0xfffe
	s_or_b32 exec_lo, exec_lo, s2
	s_wait_storecnt_dscnt 0x0
	s_barrier_signal -1
	s_barrier_wait -1
	global_inv scope:SCOPE_SE
	s_clause 0x3
	scratch_load_b128 v[6:9], off, off offset:64
	scratch_load_b128 v[28:31], off, off offset:80
	;; [unrolled: 1-line block ×4, first 2 shown]
	v_mov_b32_e32 v1, 0
	ds_load_b128 v[40:43], v1 offset:176
	ds_load_b128 v[44:47], v1 offset:192
	s_mov_b32 s2, exec_lo
	s_wait_loadcnt_dscnt 0x301
	v_mul_f64_e32 v[2:3], v[42:43], v[8:9]
	v_mul_f64_e32 v[8:9], v[40:41], v[8:9]
	s_wait_loadcnt_dscnt 0x200
	v_mul_f64_e32 v[10:11], v[44:45], v[30:31]
	v_mul_f64_e32 v[30:31], v[46:47], v[30:31]
	s_delay_alu instid0(VALU_DEP_4) | instskip(NEXT) | instid1(VALU_DEP_4)
	v_fma_f64 v[2:3], v[40:41], v[6:7], -v[2:3]
	v_fma_f64 v[40:41], v[42:43], v[6:7], v[8:9]
	ds_load_b128 v[6:9], v1 offset:208
	v_fma_f64 v[10:11], v[46:47], v[28:29], v[10:11]
	v_fma_f64 v[28:29], v[44:45], v[28:29], -v[30:31]
	s_wait_loadcnt_dscnt 0x100
	v_mul_f64_e32 v[42:43], v[6:7], v[34:35]
	v_mul_f64_e32 v[34:35], v[8:9], v[34:35]
	v_add_f64_e32 v[2:3], 0, v[2:3]
	v_add_f64_e32 v[30:31], 0, v[40:41]
	s_delay_alu instid0(VALU_DEP_4) | instskip(NEXT) | instid1(VALU_DEP_4)
	v_fma_f64 v[8:9], v[8:9], v[32:33], v[42:43]
	v_fma_f64 v[6:7], v[6:7], v[32:33], -v[34:35]
	s_delay_alu instid0(VALU_DEP_4) | instskip(NEXT) | instid1(VALU_DEP_4)
	v_add_f64_e32 v[2:3], v[2:3], v[28:29]
	v_add_f64_e32 v[10:11], v[30:31], v[10:11]
	s_delay_alu instid0(VALU_DEP_2) | instskip(NEXT) | instid1(VALU_DEP_2)
	v_add_f64_e32 v[2:3], v[2:3], v[6:7]
	v_add_f64_e32 v[8:9], v[10:11], v[8:9]
	s_wait_loadcnt 0x0
	s_delay_alu instid0(VALU_DEP_2) | instskip(NEXT) | instid1(VALU_DEP_2)
	v_add_f64_e64 v[6:7], v[36:37], -v[2:3]
	v_add_f64_e64 v[8:9], v[38:39], -v[8:9]
	scratch_store_b128 off, v[6:9], off offset:48
	v_cmpx_lt_u32_e32 2, v27
	s_cbranch_execz .LBB6_51
; %bb.50:
	scratch_load_b128 v[6:9], off, s8
	v_dual_mov_b32 v2, v1 :: v_dual_mov_b32 v3, v1
	v_mov_b32_e32 v4, v1
	scratch_store_b128 off, v[1:4], off offset:32
	s_wait_loadcnt 0x0
	ds_store_b128 v5, v[6:9]
.LBB6_51:
	s_wait_alu 0xfffe
	s_or_b32 exec_lo, exec_lo, s2
	s_wait_storecnt_dscnt 0x0
	s_barrier_signal -1
	s_barrier_wait -1
	global_inv scope:SCOPE_SE
	s_clause 0x4
	scratch_load_b128 v[6:9], off, off offset:48
	scratch_load_b128 v[28:31], off, off offset:64
	;; [unrolled: 1-line block ×5, first 2 shown]
	ds_load_b128 v[44:47], v1 offset:160
	ds_load_b128 v[48:51], v1 offset:176
	s_mov_b32 s2, exec_lo
	s_wait_loadcnt_dscnt 0x401
	v_mul_f64_e32 v[2:3], v[46:47], v[8:9]
	v_mul_f64_e32 v[8:9], v[44:45], v[8:9]
	s_wait_loadcnt_dscnt 0x300
	v_mul_f64_e32 v[10:11], v[48:49], v[30:31]
	v_mul_f64_e32 v[30:31], v[50:51], v[30:31]
	s_delay_alu instid0(VALU_DEP_4) | instskip(NEXT) | instid1(VALU_DEP_4)
	v_fma_f64 v[44:45], v[44:45], v[6:7], -v[2:3]
	v_fma_f64 v[46:47], v[46:47], v[6:7], v[8:9]
	ds_load_b128 v[6:9], v1 offset:192
	ds_load_b128 v[1:4], v1 offset:208
	v_fma_f64 v[10:11], v[50:51], v[28:29], v[10:11]
	v_fma_f64 v[28:29], v[48:49], v[28:29], -v[30:31]
	s_wait_loadcnt_dscnt 0x201
	v_mul_f64_e32 v[52:53], v[6:7], v[34:35]
	v_mul_f64_e32 v[34:35], v[8:9], v[34:35]
	v_add_f64_e32 v[30:31], 0, v[44:45]
	v_add_f64_e32 v[44:45], 0, v[46:47]
	s_wait_loadcnt_dscnt 0x100
	v_mul_f64_e32 v[46:47], v[1:2], v[38:39]
	v_mul_f64_e32 v[38:39], v[3:4], v[38:39]
	v_fma_f64 v[8:9], v[8:9], v[32:33], v[52:53]
	v_fma_f64 v[6:7], v[6:7], v[32:33], -v[34:35]
	v_add_f64_e32 v[28:29], v[30:31], v[28:29]
	v_add_f64_e32 v[10:11], v[44:45], v[10:11]
	v_fma_f64 v[3:4], v[3:4], v[36:37], v[46:47]
	v_fma_f64 v[1:2], v[1:2], v[36:37], -v[38:39]
	s_delay_alu instid0(VALU_DEP_4) | instskip(NEXT) | instid1(VALU_DEP_4)
	v_add_f64_e32 v[6:7], v[28:29], v[6:7]
	v_add_f64_e32 v[8:9], v[10:11], v[8:9]
	s_delay_alu instid0(VALU_DEP_2) | instskip(NEXT) | instid1(VALU_DEP_2)
	v_add_f64_e32 v[1:2], v[6:7], v[1:2]
	v_add_f64_e32 v[3:4], v[8:9], v[3:4]
	s_wait_loadcnt 0x0
	s_delay_alu instid0(VALU_DEP_2) | instskip(NEXT) | instid1(VALU_DEP_2)
	v_add_f64_e64 v[1:2], v[40:41], -v[1:2]
	v_add_f64_e64 v[3:4], v[42:43], -v[3:4]
	scratch_store_b128 off, v[1:4], off offset:32
	v_cmpx_lt_u32_e32 1, v27
	s_cbranch_execz .LBB6_53
; %bb.52:
	scratch_load_b128 v[1:4], off, s4
	v_mov_b32_e32 v6, 0
	s_delay_alu instid0(VALU_DEP_1)
	v_dual_mov_b32 v7, v6 :: v_dual_mov_b32 v8, v6
	v_mov_b32_e32 v9, v6
	scratch_store_b128 off, v[6:9], off offset:16
	s_wait_loadcnt 0x0
	ds_store_b128 v5, v[1:4]
.LBB6_53:
	s_wait_alu 0xfffe
	s_or_b32 exec_lo, exec_lo, s2
	s_wait_storecnt_dscnt 0x0
	s_barrier_signal -1
	s_barrier_wait -1
	global_inv scope:SCOPE_SE
	s_clause 0x5
	scratch_load_b128 v[6:9], off, off offset:32
	scratch_load_b128 v[28:31], off, off offset:48
	;; [unrolled: 1-line block ×6, first 2 shown]
	v_mov_b32_e32 v1, 0
	ds_load_b128 v[48:51], v1 offset:144
	ds_load_b128 v[52:55], v1 offset:160
	s_mov_b32 s2, exec_lo
	s_wait_loadcnt_dscnt 0x501
	v_mul_f64_e32 v[2:3], v[50:51], v[8:9]
	v_mul_f64_e32 v[8:9], v[48:49], v[8:9]
	s_wait_loadcnt_dscnt 0x400
	v_mul_f64_e32 v[10:11], v[52:53], v[30:31]
	v_mul_f64_e32 v[30:31], v[54:55], v[30:31]
	s_delay_alu instid0(VALU_DEP_4) | instskip(NEXT) | instid1(VALU_DEP_4)
	v_fma_f64 v[2:3], v[48:49], v[6:7], -v[2:3]
	v_fma_f64 v[56:57], v[50:51], v[6:7], v[8:9]
	ds_load_b128 v[6:9], v1 offset:176
	ds_load_b128 v[48:51], v1 offset:192
	v_fma_f64 v[10:11], v[54:55], v[28:29], v[10:11]
	v_fma_f64 v[28:29], v[52:53], v[28:29], -v[30:31]
	s_wait_loadcnt_dscnt 0x301
	v_mul_f64_e32 v[58:59], v[6:7], v[34:35]
	v_mul_f64_e32 v[34:35], v[8:9], v[34:35]
	s_wait_loadcnt_dscnt 0x200
	v_mul_f64_e32 v[52:53], v[48:49], v[38:39]
	v_mul_f64_e32 v[38:39], v[50:51], v[38:39]
	v_add_f64_e32 v[2:3], 0, v[2:3]
	v_add_f64_e32 v[30:31], 0, v[56:57]
	v_fma_f64 v[54:55], v[8:9], v[32:33], v[58:59]
	v_fma_f64 v[32:33], v[6:7], v[32:33], -v[34:35]
	ds_load_b128 v[6:9], v1 offset:208
	v_fma_f64 v[34:35], v[50:51], v[36:37], v[52:53]
	v_fma_f64 v[36:37], v[48:49], v[36:37], -v[38:39]
	v_add_f64_e32 v[2:3], v[2:3], v[28:29]
	v_add_f64_e32 v[10:11], v[30:31], v[10:11]
	s_wait_loadcnt_dscnt 0x100
	v_mul_f64_e32 v[28:29], v[6:7], v[42:43]
	v_mul_f64_e32 v[30:31], v[8:9], v[42:43]
	s_delay_alu instid0(VALU_DEP_4) | instskip(NEXT) | instid1(VALU_DEP_4)
	v_add_f64_e32 v[2:3], v[2:3], v[32:33]
	v_add_f64_e32 v[10:11], v[10:11], v[54:55]
	s_delay_alu instid0(VALU_DEP_4) | instskip(NEXT) | instid1(VALU_DEP_4)
	v_fma_f64 v[8:9], v[8:9], v[40:41], v[28:29]
	v_fma_f64 v[6:7], v[6:7], v[40:41], -v[30:31]
	s_delay_alu instid0(VALU_DEP_4) | instskip(NEXT) | instid1(VALU_DEP_4)
	v_add_f64_e32 v[2:3], v[2:3], v[36:37]
	v_add_f64_e32 v[10:11], v[10:11], v[34:35]
	s_delay_alu instid0(VALU_DEP_2) | instskip(NEXT) | instid1(VALU_DEP_2)
	v_add_f64_e32 v[2:3], v[2:3], v[6:7]
	v_add_f64_e32 v[8:9], v[10:11], v[8:9]
	s_wait_loadcnt 0x0
	s_delay_alu instid0(VALU_DEP_2) | instskip(NEXT) | instid1(VALU_DEP_2)
	v_add_f64_e64 v[6:7], v[44:45], -v[2:3]
	v_add_f64_e64 v[8:9], v[46:47], -v[8:9]
	scratch_store_b128 off, v[6:9], off offset:16
	v_cmpx_ne_u32_e32 0, v27
	s_cbranch_execz .LBB6_55
; %bb.54:
	scratch_load_b128 v[6:9], off, off
	v_dual_mov_b32 v2, v1 :: v_dual_mov_b32 v3, v1
	v_mov_b32_e32 v4, v1
	scratch_store_b128 off, v[1:4], off
	s_wait_loadcnt 0x0
	ds_store_b128 v5, v[6:9]
.LBB6_55:
	s_wait_alu 0xfffe
	s_or_b32 exec_lo, exec_lo, s2
	s_wait_storecnt_dscnt 0x0
	s_barrier_signal -1
	s_barrier_wait -1
	global_inv scope:SCOPE_SE
	s_clause 0x5
	scratch_load_b128 v[2:5], off, off offset:16
	scratch_load_b128 v[6:9], off, off offset:32
	;; [unrolled: 1-line block ×6, first 2 shown]
	ds_load_b128 v[44:47], v1 offset:128
	ds_load_b128 v[52:55], v1 offset:144
	scratch_load_b128 v[48:51], off, off
	s_and_b32 vcc_lo, exec_lo, s20
	s_wait_loadcnt_dscnt 0x601
	v_mul_f64_e32 v[10:11], v[46:47], v[4:5]
	v_mul_f64_e32 v[4:5], v[44:45], v[4:5]
	s_wait_loadcnt_dscnt 0x500
	v_mul_f64_e32 v[56:57], v[52:53], v[8:9]
	v_mul_f64_e32 v[58:59], v[54:55], v[8:9]
	s_delay_alu instid0(VALU_DEP_4) | instskip(NEXT) | instid1(VALU_DEP_4)
	v_fma_f64 v[44:45], v[44:45], v[2:3], -v[10:11]
	v_fma_f64 v[46:47], v[46:47], v[2:3], v[4:5]
	ds_load_b128 v[2:5], v1 offset:160
	ds_load_b128 v[8:11], v1 offset:176
	v_fma_f64 v[54:55], v[54:55], v[6:7], v[56:57]
	v_fma_f64 v[6:7], v[52:53], v[6:7], -v[58:59]
	s_wait_loadcnt_dscnt 0x401
	v_mul_f64_e32 v[60:61], v[2:3], v[30:31]
	v_mul_f64_e32 v[30:31], v[4:5], v[30:31]
	s_wait_loadcnt_dscnt 0x300
	v_mul_f64_e32 v[52:53], v[8:9], v[34:35]
	v_mul_f64_e32 v[34:35], v[10:11], v[34:35]
	v_add_f64_e32 v[44:45], 0, v[44:45]
	v_add_f64_e32 v[46:47], 0, v[46:47]
	v_fma_f64 v[56:57], v[4:5], v[28:29], v[60:61]
	v_fma_f64 v[58:59], v[2:3], v[28:29], -v[30:31]
	ds_load_b128 v[2:5], v1 offset:192
	ds_load_b128 v[28:31], v1 offset:208
	v_fma_f64 v[10:11], v[10:11], v[32:33], v[52:53]
	v_fma_f64 v[8:9], v[8:9], v[32:33], -v[34:35]
	v_add_f64_e32 v[6:7], v[44:45], v[6:7]
	v_add_f64_e32 v[44:45], v[46:47], v[54:55]
	s_wait_loadcnt_dscnt 0x201
	v_mul_f64_e32 v[46:47], v[2:3], v[38:39]
	v_mul_f64_e32 v[38:39], v[4:5], v[38:39]
	s_wait_loadcnt_dscnt 0x100
	v_mul_f64_e32 v[34:35], v[28:29], v[42:43]
	v_mul_f64_e32 v[42:43], v[30:31], v[42:43]
	v_add_f64_e32 v[6:7], v[6:7], v[58:59]
	v_add_f64_e32 v[32:33], v[44:45], v[56:57]
	v_fma_f64 v[4:5], v[4:5], v[36:37], v[46:47]
	v_fma_f64 v[1:2], v[2:3], v[36:37], -v[38:39]
	v_fma_f64 v[28:29], v[28:29], v[40:41], -v[42:43]
	v_add_f64_e32 v[6:7], v[6:7], v[8:9]
	v_add_f64_e32 v[8:9], v[32:33], v[10:11]
	v_fma_f64 v[10:11], v[30:31], v[40:41], v[34:35]
	s_delay_alu instid0(VALU_DEP_3) | instskip(NEXT) | instid1(VALU_DEP_3)
	v_add_f64_e32 v[1:2], v[6:7], v[1:2]
	v_add_f64_e32 v[3:4], v[8:9], v[4:5]
	s_delay_alu instid0(VALU_DEP_2) | instskip(NEXT) | instid1(VALU_DEP_2)
	v_add_f64_e32 v[1:2], v[1:2], v[28:29]
	v_add_f64_e32 v[3:4], v[3:4], v[10:11]
	s_wait_loadcnt 0x0
	s_delay_alu instid0(VALU_DEP_2) | instskip(NEXT) | instid1(VALU_DEP_2)
	v_add_f64_e64 v[1:2], v[48:49], -v[1:2]
	v_add_f64_e64 v[3:4], v[50:51], -v[3:4]
	scratch_store_b128 off, v[1:4], off
	s_wait_alu 0xfffe
	s_cbranch_vccz .LBB6_68
; %bb.56:
	v_mov_b32_e32 v1, 0
	s_load_b64 s[0:1], s[0:1], 0x4
	v_bfe_u32 v3, v0, 10, 10
	v_bfe_u32 v0, v0, 20, 10
	global_load_b32 v2, v1, s[16:17] offset:20
	s_wait_kmcnt 0x0
	s_lshr_b32 s0, s0, 16
	v_mul_u32_u24_e32 v3, s1, v3
	s_mul_i32 s0, s0, s1
	s_wait_alu 0xfffe
	v_mul_u32_u24_e32 v4, s0, v27
	s_delay_alu instid0(VALU_DEP_1) | instskip(NEXT) | instid1(VALU_DEP_1)
	v_add3_u32 v0, v4, v3, v0
	v_lshl_add_u32 v0, v0, 4, 0xe8
	s_wait_loadcnt 0x0
	v_cmp_ne_u32_e32 vcc_lo, 6, v2
	s_cbranch_vccz .LBB6_58
; %bb.57:
	v_lshlrev_b32_e32 v2, 4, v2
	s_delay_alu instid0(VALU_DEP_1)
	v_mov_b32_e32 v10, v2
	s_clause 0x1
	scratch_load_b128 v[2:5], off, s9
	scratch_load_b128 v[6:9], v10, off offset:-16
	s_wait_loadcnt 0x1
	ds_store_2addr_b64 v0, v[2:3], v[4:5] offset1:1
	s_wait_loadcnt 0x0
	s_clause 0x1
	scratch_store_b128 off, v[6:9], s9
	scratch_store_b128 v10, v[2:5], off offset:-16
.LBB6_58:
	global_load_b32 v1, v1, s[16:17] offset:16
	s_wait_loadcnt 0x0
	v_cmp_eq_u32_e32 vcc_lo, 5, v1
	s_cbranch_vccnz .LBB6_60
; %bb.59:
	v_lshlrev_b32_e32 v1, 4, v1
	s_delay_alu instid0(VALU_DEP_1)
	v_mov_b32_e32 v9, v1
	s_clause 0x1
	scratch_load_b128 v[1:4], off, s10
	scratch_load_b128 v[5:8], v9, off offset:-16
	s_wait_loadcnt 0x1
	ds_store_2addr_b64 v0, v[1:2], v[3:4] offset1:1
	s_wait_loadcnt 0x0
	s_clause 0x1
	scratch_store_b128 off, v[5:8], s10
	scratch_store_b128 v9, v[1:4], off offset:-16
.LBB6_60:
	v_mov_b32_e32 v1, 0
	global_load_b32 v2, v1, s[16:17] offset:12
	s_wait_loadcnt 0x0
	v_cmp_eq_u32_e32 vcc_lo, 4, v2
	s_cbranch_vccnz .LBB6_62
; %bb.61:
	v_lshlrev_b32_e32 v2, 4, v2
	s_delay_alu instid0(VALU_DEP_1)
	v_mov_b32_e32 v10, v2
	s_clause 0x1
	scratch_load_b128 v[2:5], off, s5
	scratch_load_b128 v[6:9], v10, off offset:-16
	s_wait_loadcnt 0x1
	ds_store_2addr_b64 v0, v[2:3], v[4:5] offset1:1
	s_wait_loadcnt 0x0
	s_clause 0x1
	scratch_store_b128 off, v[6:9], s5
	scratch_store_b128 v10, v[2:5], off offset:-16
.LBB6_62:
	global_load_b32 v1, v1, s[16:17] offset:8
	s_wait_loadcnt 0x0
	v_cmp_eq_u32_e32 vcc_lo, 3, v1
	s_cbranch_vccnz .LBB6_64
; %bb.63:
	v_lshlrev_b32_e32 v1, 4, v1
	s_delay_alu instid0(VALU_DEP_1)
	v_mov_b32_e32 v9, v1
	s_clause 0x1
	scratch_load_b128 v[1:4], off, s8
	scratch_load_b128 v[5:8], v9, off offset:-16
	s_wait_loadcnt 0x1
	ds_store_2addr_b64 v0, v[1:2], v[3:4] offset1:1
	s_wait_loadcnt 0x0
	s_clause 0x1
	scratch_store_b128 off, v[5:8], s8
	scratch_store_b128 v9, v[1:4], off offset:-16
.LBB6_64:
	v_mov_b32_e32 v1, 0
	global_load_b32 v2, v1, s[16:17] offset:4
	s_wait_loadcnt 0x0
	v_cmp_eq_u32_e32 vcc_lo, 2, v2
	s_cbranch_vccnz .LBB6_66
; %bb.65:
	v_lshlrev_b32_e32 v2, 4, v2
	s_delay_alu instid0(VALU_DEP_1)
	v_mov_b32_e32 v10, v2
	s_clause 0x1
	scratch_load_b128 v[2:5], off, s4
	scratch_load_b128 v[6:9], v10, off offset:-16
	s_wait_loadcnt 0x1
	ds_store_2addr_b64 v0, v[2:3], v[4:5] offset1:1
	s_wait_loadcnt 0x0
	s_clause 0x1
	scratch_store_b128 off, v[6:9], s4
	scratch_store_b128 v10, v[2:5], off offset:-16
.LBB6_66:
	global_load_b32 v1, v1, s[16:17]
	s_wait_loadcnt 0x0
	v_cmp_eq_u32_e32 vcc_lo, 1, v1
	s_cbranch_vccnz .LBB6_68
; %bb.67:
	v_lshlrev_b32_e32 v1, 4, v1
	s_delay_alu instid0(VALU_DEP_1)
	v_mov_b32_e32 v9, v1
	scratch_load_b128 v[1:4], off, off
	scratch_load_b128 v[5:8], v9, off offset:-16
	s_wait_loadcnt 0x1
	ds_store_2addr_b64 v0, v[1:2], v[3:4] offset1:1
	s_wait_loadcnt 0x0
	scratch_store_b128 off, v[5:8], off
	scratch_store_b128 v9, v[1:4], off offset:-16
.LBB6_68:
	scratch_load_b128 v[0:3], off, off
	s_clause 0x5
	scratch_load_b128 v[4:7], off, s4
	scratch_load_b128 v[8:11], off, s8
	;; [unrolled: 1-line block ×6, first 2 shown]
	s_wait_loadcnt 0x6
	global_store_b128 v[13:14], v[0:3], off
	s_wait_loadcnt 0x5
	global_store_b128 v[15:16], v[4:7], off
	;; [unrolled: 2-line block ×7, first 2 shown]
	s_endpgm
	.section	.rodata,"a",@progbits
	.p2align	6, 0x0
	.amdhsa_kernel _ZN9rocsolver6v33100L18getri_kernel_smallILi7E19rocblas_complex_numIdEPS3_EEvT1_iilPiilS6_bb
		.amdhsa_group_segment_fixed_size 1256
		.amdhsa_private_segment_fixed_size 128
		.amdhsa_kernarg_size 60
		.amdhsa_user_sgpr_count 4
		.amdhsa_user_sgpr_dispatch_ptr 1
		.amdhsa_user_sgpr_queue_ptr 0
		.amdhsa_user_sgpr_kernarg_segment_ptr 1
		.amdhsa_user_sgpr_dispatch_id 0
		.amdhsa_user_sgpr_private_segment_size 0
		.amdhsa_wavefront_size32 1
		.amdhsa_uses_dynamic_stack 0
		.amdhsa_enable_private_segment 1
		.amdhsa_system_sgpr_workgroup_id_x 1
		.amdhsa_system_sgpr_workgroup_id_y 0
		.amdhsa_system_sgpr_workgroup_id_z 0
		.amdhsa_system_sgpr_workgroup_info 0
		.amdhsa_system_vgpr_workitem_id 2
		.amdhsa_next_free_vgpr 62
		.amdhsa_next_free_sgpr 21
		.amdhsa_reserve_vcc 1
		.amdhsa_float_round_mode_32 0
		.amdhsa_float_round_mode_16_64 0
		.amdhsa_float_denorm_mode_32 3
		.amdhsa_float_denorm_mode_16_64 3
		.amdhsa_fp16_overflow 0
		.amdhsa_workgroup_processor_mode 1
		.amdhsa_memory_ordered 1
		.amdhsa_forward_progress 1
		.amdhsa_inst_pref_size 51
		.amdhsa_round_robin_scheduling 0
		.amdhsa_exception_fp_ieee_invalid_op 0
		.amdhsa_exception_fp_denorm_src 0
		.amdhsa_exception_fp_ieee_div_zero 0
		.amdhsa_exception_fp_ieee_overflow 0
		.amdhsa_exception_fp_ieee_underflow 0
		.amdhsa_exception_fp_ieee_inexact 0
		.amdhsa_exception_int_div_zero 0
	.end_amdhsa_kernel
	.section	.text._ZN9rocsolver6v33100L18getri_kernel_smallILi7E19rocblas_complex_numIdEPS3_EEvT1_iilPiilS6_bb,"axG",@progbits,_ZN9rocsolver6v33100L18getri_kernel_smallILi7E19rocblas_complex_numIdEPS3_EEvT1_iilPiilS6_bb,comdat
.Lfunc_end6:
	.size	_ZN9rocsolver6v33100L18getri_kernel_smallILi7E19rocblas_complex_numIdEPS3_EEvT1_iilPiilS6_bb, .Lfunc_end6-_ZN9rocsolver6v33100L18getri_kernel_smallILi7E19rocblas_complex_numIdEPS3_EEvT1_iilPiilS6_bb
                                        ; -- End function
	.set _ZN9rocsolver6v33100L18getri_kernel_smallILi7E19rocblas_complex_numIdEPS3_EEvT1_iilPiilS6_bb.num_vgpr, 62
	.set _ZN9rocsolver6v33100L18getri_kernel_smallILi7E19rocblas_complex_numIdEPS3_EEvT1_iilPiilS6_bb.num_agpr, 0
	.set _ZN9rocsolver6v33100L18getri_kernel_smallILi7E19rocblas_complex_numIdEPS3_EEvT1_iilPiilS6_bb.numbered_sgpr, 21
	.set _ZN9rocsolver6v33100L18getri_kernel_smallILi7E19rocblas_complex_numIdEPS3_EEvT1_iilPiilS6_bb.num_named_barrier, 0
	.set _ZN9rocsolver6v33100L18getri_kernel_smallILi7E19rocblas_complex_numIdEPS3_EEvT1_iilPiilS6_bb.private_seg_size, 128
	.set _ZN9rocsolver6v33100L18getri_kernel_smallILi7E19rocblas_complex_numIdEPS3_EEvT1_iilPiilS6_bb.uses_vcc, 1
	.set _ZN9rocsolver6v33100L18getri_kernel_smallILi7E19rocblas_complex_numIdEPS3_EEvT1_iilPiilS6_bb.uses_flat_scratch, 1
	.set _ZN9rocsolver6v33100L18getri_kernel_smallILi7E19rocblas_complex_numIdEPS3_EEvT1_iilPiilS6_bb.has_dyn_sized_stack, 0
	.set _ZN9rocsolver6v33100L18getri_kernel_smallILi7E19rocblas_complex_numIdEPS3_EEvT1_iilPiilS6_bb.has_recursion, 0
	.set _ZN9rocsolver6v33100L18getri_kernel_smallILi7E19rocblas_complex_numIdEPS3_EEvT1_iilPiilS6_bb.has_indirect_call, 0
	.section	.AMDGPU.csdata,"",@progbits
; Kernel info:
; codeLenInByte = 6412
; TotalNumSgprs: 23
; NumVgprs: 62
; ScratchSize: 128
; MemoryBound: 0
; FloatMode: 240
; IeeeMode: 1
; LDSByteSize: 1256 bytes/workgroup (compile time only)
; SGPRBlocks: 0
; VGPRBlocks: 7
; NumSGPRsForWavesPerEU: 23
; NumVGPRsForWavesPerEU: 62
; Occupancy: 16
; WaveLimiterHint : 1
; COMPUTE_PGM_RSRC2:SCRATCH_EN: 1
; COMPUTE_PGM_RSRC2:USER_SGPR: 4
; COMPUTE_PGM_RSRC2:TRAP_HANDLER: 0
; COMPUTE_PGM_RSRC2:TGID_X_EN: 1
; COMPUTE_PGM_RSRC2:TGID_Y_EN: 0
; COMPUTE_PGM_RSRC2:TGID_Z_EN: 0
; COMPUTE_PGM_RSRC2:TIDIG_COMP_CNT: 2
	.section	.text._ZN9rocsolver6v33100L18getri_kernel_smallILi8E19rocblas_complex_numIdEPS3_EEvT1_iilPiilS6_bb,"axG",@progbits,_ZN9rocsolver6v33100L18getri_kernel_smallILi8E19rocblas_complex_numIdEPS3_EEvT1_iilPiilS6_bb,comdat
	.globl	_ZN9rocsolver6v33100L18getri_kernel_smallILi8E19rocblas_complex_numIdEPS3_EEvT1_iilPiilS6_bb ; -- Begin function _ZN9rocsolver6v33100L18getri_kernel_smallILi8E19rocblas_complex_numIdEPS3_EEvT1_iilPiilS6_bb
	.p2align	8
	.type	_ZN9rocsolver6v33100L18getri_kernel_smallILi8E19rocblas_complex_numIdEPS3_EEvT1_iilPiilS6_bb,@function
_ZN9rocsolver6v33100L18getri_kernel_smallILi8E19rocblas_complex_numIdEPS3_EEvT1_iilPiilS6_bb: ; @_ZN9rocsolver6v33100L18getri_kernel_smallILi8E19rocblas_complex_numIdEPS3_EEvT1_iilPiilS6_bb
; %bb.0:
	v_and_b32_e32 v29, 0x3ff, v0
	s_mov_b32 s4, exec_lo
	s_delay_alu instid0(VALU_DEP_1)
	v_cmpx_gt_u32_e32 8, v29
	s_cbranch_execz .LBB7_46
; %bb.1:
	s_clause 0x2
	s_load_b32 s8, s[2:3], 0x38
	s_load_b128 s[12:15], s[2:3], 0x10
	s_load_b128 s[4:7], s[2:3], 0x28
	s_mov_b32 s18, ttmp9
                                        ; implicit-def: $sgpr16_sgpr17
	s_wait_kmcnt 0x0
	s_bitcmp1_b32 s8, 8
	s_cselect_b32 s20, -1, 0
	s_bfe_u32 s8, s8, 0x10008
	s_ashr_i32 s19, ttmp9, 31
	s_cmp_eq_u32 s8, 0
	s_cbranch_scc1 .LBB7_3
; %bb.2:
	s_load_b32 s8, s[2:3], 0x20
	s_mul_u64 s[4:5], s[4:5], s[18:19]
	s_delay_alu instid0(SALU_CYCLE_1) | instskip(NEXT) | instid1(SALU_CYCLE_1)
	s_lshl_b64 s[4:5], s[4:5], 2
	s_add_nc_u64 s[4:5], s[14:15], s[4:5]
	s_wait_kmcnt 0x0
	s_ashr_i32 s9, s8, 31
	s_delay_alu instid0(SALU_CYCLE_1) | instskip(NEXT) | instid1(SALU_CYCLE_1)
	s_lshl_b64 s[8:9], s[8:9], 2
	s_add_nc_u64 s[16:17], s[4:5], s[8:9]
.LBB7_3:
	s_clause 0x1
	s_load_b128 s[8:11], s[2:3], 0x0
	s_load_b32 s14, s[2:3], 0x38
	s_mul_u64 s[2:3], s[12:13], s[18:19]
	v_lshlrev_b32_e32 v30, 4, v29
	s_lshl_b64 s[2:3], s[2:3], 4
	s_movk_i32 s12, 0x60
	s_wait_kmcnt 0x0
	v_add3_u32 v5, s11, s11, v29
	s_ashr_i32 s5, s10, 31
	s_mov_b32 s4, s10
	s_add_nc_u64 s[2:3], s[8:9], s[2:3]
	s_lshl_b64 s[4:5], s[4:5], 4
	v_add_nc_u32_e32 v7, s11, v5
	v_ashrrev_i32_e32 v6, 31, v5
	s_add_nc_u64 s[2:3], s[2:3], s[4:5]
	s_ashr_i32 s9, s11, 31
	v_add_co_u32 v13, s4, s2, v30
	v_add_nc_u32_e32 v9, s11, v7
	v_ashrrev_i32_e32 v8, 31, v7
	s_mov_b32 s8, s11
	v_lshlrev_b64_e32 v[5:6], 4, v[5:6]
	v_add_co_ci_u32_e64 v14, null, s3, 0, s4
	v_add_nc_u32_e32 v21, s11, v9
	v_ashrrev_i32_e32 v10, 31, v9
	s_lshl_b64 s[8:9], s[8:9], 4
	v_lshlrev_b64_e32 v[19:20], 4, v[7:8]
	v_add_co_u32 v15, vcc_lo, v13, s8
	v_add_nc_u32_e32 v25, s11, v21
	v_ashrrev_i32_e32 v22, 31, v21
	v_lshlrev_b64_e32 v[23:24], 4, v[9:10]
	v_add_co_ci_u32_e64 v16, null, s9, v14, vcc_lo
	s_delay_alu instid0(VALU_DEP_4)
	v_add_nc_u32_e32 v43, s11, v25
	v_add_co_u32 v17, vcc_lo, s2, v5
	v_lshlrev_b64_e32 v[27:28], 4, v[21:22]
	v_ashrrev_i32_e32 v26, 31, v25
	s_wait_alu 0xfffd
	v_add_co_ci_u32_e64 v18, null, s3, v6, vcc_lo
	v_add_co_u32 v19, vcc_lo, s2, v19
	v_ashrrev_i32_e32 v44, 31, v43
	s_wait_alu 0xfffd
	v_add_co_ci_u32_e64 v20, null, s3, v20, vcc_lo
	v_add_co_u32 v21, vcc_lo, s2, v23
	s_wait_alu 0xfffd
	v_add_co_ci_u32_e64 v22, null, s3, v24, vcc_lo
	v_add_co_u32 v23, vcc_lo, s2, v27
	v_lshlrev_b64_e32 v[25:26], 4, v[25:26]
	s_wait_alu 0xfffd
	v_add_co_ci_u32_e64 v24, null, s3, v28, vcc_lo
	v_lshlrev_b64_e32 v[27:28], 4, v[43:44]
	s_clause 0x2
	global_load_b128 v[1:4], v30, s[2:3]
	global_load_b128 v[5:8], v[15:16], off
	global_load_b128 v[9:12], v[17:18], off
	v_add_co_u32 v25, vcc_lo, s2, v25
	s_wait_alu 0xfffd
	v_add_co_ci_u32_e64 v26, null, s3, v26, vcc_lo
	v_add_co_u32 v27, vcc_lo, s2, v27
	s_wait_alu 0xfffd
	v_add_co_ci_u32_e64 v28, null, s3, v28, vcc_lo
	s_clause 0x4
	global_load_b128 v[31:34], v[19:20], off
	global_load_b128 v[35:38], v[21:22], off
	;; [unrolled: 1-line block ×5, first 2 shown]
	s_mov_b32 s4, 16
	s_mov_b32 s8, 32
	;; [unrolled: 1-line block ×3, first 2 shown]
	s_movk_i32 s9, 0x50
	s_mov_b32 s10, 64
	s_movk_i32 s11, 0x70
	s_mov_b32 s3, -1
	s_bitcmp0_b32 s14, 0
	s_wait_loadcnt 0x7
	scratch_store_b128 off, v[1:4], off
	s_wait_loadcnt 0x6
	scratch_store_b128 off, v[5:8], off offset:16
	s_wait_loadcnt 0x5
	scratch_store_b128 off, v[9:12], off offset:32
	;; [unrolled: 2-line block ×7, first 2 shown]
	s_cbranch_scc1 .LBB7_44
; %bb.4:
	v_cmp_eq_u32_e64 s2, 0, v29
	s_and_saveexec_b32 s3, s2
; %bb.5:
	v_mov_b32_e32 v1, 0
	ds_store_b32 v1, v1 offset:256
; %bb.6:
	s_wait_alu 0xfffe
	s_or_b32 exec_lo, exec_lo, s3
	s_wait_storecnt_dscnt 0x0
	s_barrier_signal -1
	s_barrier_wait -1
	global_inv scope:SCOPE_SE
	scratch_load_b128 v[1:4], v30, off
	s_wait_loadcnt 0x0
	v_cmp_eq_f64_e32 vcc_lo, 0, v[1:2]
	v_cmp_eq_f64_e64 s3, 0, v[3:4]
	s_and_b32 s3, vcc_lo, s3
	s_wait_alu 0xfffe
	s_and_saveexec_b32 s13, s3
	s_cbranch_execz .LBB7_10
; %bb.7:
	v_mov_b32_e32 v1, 0
	s_mov_b32 s14, 0
	ds_load_b32 v2, v1 offset:256
	s_wait_dscnt 0x0
	v_readfirstlane_b32 s3, v2
	v_add_nc_u32_e32 v2, 1, v29
	s_cmp_eq_u32 s3, 0
	s_delay_alu instid0(VALU_DEP_1) | instskip(SKIP_1) | instid1(SALU_CYCLE_1)
	v_cmp_gt_i32_e32 vcc_lo, s3, v2
	s_cselect_b32 s15, -1, 0
	s_or_b32 s15, s15, vcc_lo
	s_delay_alu instid0(SALU_CYCLE_1)
	s_and_b32 exec_lo, exec_lo, s15
	s_cbranch_execz .LBB7_10
; %bb.8:
	v_mov_b32_e32 v3, s3
.LBB7_9:                                ; =>This Inner Loop Header: Depth=1
	ds_cmpstore_rtn_b32 v3, v1, v2, v3 offset:256
	s_wait_dscnt 0x0
	v_cmp_ne_u32_e32 vcc_lo, 0, v3
	v_cmp_le_i32_e64 s3, v3, v2
	s_and_b32 s3, vcc_lo, s3
	s_wait_alu 0xfffe
	s_and_b32 s3, exec_lo, s3
	s_wait_alu 0xfffe
	s_or_b32 s14, s3, s14
	s_delay_alu instid0(SALU_CYCLE_1)
	s_and_not1_b32 exec_lo, exec_lo, s14
	s_cbranch_execnz .LBB7_9
.LBB7_10:
	s_or_b32 exec_lo, exec_lo, s13
	v_mov_b32_e32 v1, 0
	s_barrier_signal -1
	s_barrier_wait -1
	global_inv scope:SCOPE_SE
	ds_load_b32 v2, v1 offset:256
	s_and_saveexec_b32 s3, s2
	s_cbranch_execz .LBB7_12
; %bb.11:
	s_lshl_b64 s[14:15], s[18:19], 2
	s_delay_alu instid0(SALU_CYCLE_1)
	s_add_nc_u64 s[14:15], s[6:7], s[14:15]
	s_wait_dscnt 0x0
	global_store_b32 v1, v2, s[14:15]
.LBB7_12:
	s_wait_alu 0xfffe
	s_or_b32 exec_lo, exec_lo, s3
	s_wait_dscnt 0x0
	v_cmp_ne_u32_e32 vcc_lo, 0, v2
	s_mov_b32 s3, 0
	s_cbranch_vccnz .LBB7_44
; %bb.13:
	v_mov_b32_e32 v31, v30
                                        ; implicit-def: $vgpr1_vgpr2
                                        ; implicit-def: $vgpr9_vgpr10
	scratch_load_b128 v[5:8], v31, off
	s_wait_loadcnt 0x0
	v_cmp_ngt_f64_e64 s3, |v[5:6]|, |v[7:8]|
	s_wait_alu 0xfffe
	s_and_saveexec_b32 s13, s3
	s_delay_alu instid0(SALU_CYCLE_1)
	s_xor_b32 s3, exec_lo, s13
	s_cbranch_execz .LBB7_15
; %bb.14:
	v_div_scale_f64 v[1:2], null, v[7:8], v[7:8], v[5:6]
	v_div_scale_f64 v[11:12], vcc_lo, v[5:6], v[7:8], v[5:6]
	s_delay_alu instid0(VALU_DEP_2) | instskip(NEXT) | instid1(TRANS32_DEP_1)
	v_rcp_f64_e32 v[3:4], v[1:2]
	v_fma_f64 v[9:10], -v[1:2], v[3:4], 1.0
	s_delay_alu instid0(VALU_DEP_1) | instskip(NEXT) | instid1(VALU_DEP_1)
	v_fma_f64 v[3:4], v[3:4], v[9:10], v[3:4]
	v_fma_f64 v[9:10], -v[1:2], v[3:4], 1.0
	s_delay_alu instid0(VALU_DEP_1) | instskip(NEXT) | instid1(VALU_DEP_1)
	v_fma_f64 v[3:4], v[3:4], v[9:10], v[3:4]
	v_mul_f64_e32 v[9:10], v[11:12], v[3:4]
	s_delay_alu instid0(VALU_DEP_1) | instskip(SKIP_1) | instid1(VALU_DEP_1)
	v_fma_f64 v[1:2], -v[1:2], v[9:10], v[11:12]
	s_wait_alu 0xfffd
	v_div_fmas_f64 v[1:2], v[1:2], v[3:4], v[9:10]
	s_delay_alu instid0(VALU_DEP_1) | instskip(NEXT) | instid1(VALU_DEP_1)
	v_div_fixup_f64 v[1:2], v[1:2], v[7:8], v[5:6]
	v_fma_f64 v[3:4], v[5:6], v[1:2], v[7:8]
	s_delay_alu instid0(VALU_DEP_1) | instskip(SKIP_1) | instid1(VALU_DEP_2)
	v_div_scale_f64 v[5:6], null, v[3:4], v[3:4], 1.0
	v_div_scale_f64 v[11:12], vcc_lo, 1.0, v[3:4], 1.0
	v_rcp_f64_e32 v[7:8], v[5:6]
	s_delay_alu instid0(TRANS32_DEP_1) | instskip(NEXT) | instid1(VALU_DEP_1)
	v_fma_f64 v[9:10], -v[5:6], v[7:8], 1.0
	v_fma_f64 v[7:8], v[7:8], v[9:10], v[7:8]
	s_delay_alu instid0(VALU_DEP_1) | instskip(NEXT) | instid1(VALU_DEP_1)
	v_fma_f64 v[9:10], -v[5:6], v[7:8], 1.0
	v_fma_f64 v[7:8], v[7:8], v[9:10], v[7:8]
	s_delay_alu instid0(VALU_DEP_1) | instskip(NEXT) | instid1(VALU_DEP_1)
	v_mul_f64_e32 v[9:10], v[11:12], v[7:8]
	v_fma_f64 v[5:6], -v[5:6], v[9:10], v[11:12]
	s_wait_alu 0xfffd
	s_delay_alu instid0(VALU_DEP_1) | instskip(NEXT) | instid1(VALU_DEP_1)
	v_div_fmas_f64 v[5:6], v[5:6], v[7:8], v[9:10]
	v_div_fixup_f64 v[3:4], v[5:6], v[3:4], 1.0
                                        ; implicit-def: $vgpr5_vgpr6
	s_delay_alu instid0(VALU_DEP_1) | instskip(SKIP_1) | instid1(VALU_DEP_2)
	v_mul_f64_e32 v[1:2], v[1:2], v[3:4]
	v_xor_b32_e32 v4, 0x80000000, v4
	v_xor_b32_e32 v10, 0x80000000, v2
	s_delay_alu instid0(VALU_DEP_3)
	v_mov_b32_e32 v9, v1
.LBB7_15:
	s_wait_alu 0xfffe
	s_and_not1_saveexec_b32 s3, s3
	s_cbranch_execz .LBB7_17
; %bb.16:
	v_div_scale_f64 v[1:2], null, v[5:6], v[5:6], v[7:8]
	v_div_scale_f64 v[11:12], vcc_lo, v[7:8], v[5:6], v[7:8]
	s_delay_alu instid0(VALU_DEP_2) | instskip(NEXT) | instid1(TRANS32_DEP_1)
	v_rcp_f64_e32 v[3:4], v[1:2]
	v_fma_f64 v[9:10], -v[1:2], v[3:4], 1.0
	s_delay_alu instid0(VALU_DEP_1) | instskip(NEXT) | instid1(VALU_DEP_1)
	v_fma_f64 v[3:4], v[3:4], v[9:10], v[3:4]
	v_fma_f64 v[9:10], -v[1:2], v[3:4], 1.0
	s_delay_alu instid0(VALU_DEP_1) | instskip(NEXT) | instid1(VALU_DEP_1)
	v_fma_f64 v[3:4], v[3:4], v[9:10], v[3:4]
	v_mul_f64_e32 v[9:10], v[11:12], v[3:4]
	s_delay_alu instid0(VALU_DEP_1) | instskip(SKIP_1) | instid1(VALU_DEP_1)
	v_fma_f64 v[1:2], -v[1:2], v[9:10], v[11:12]
	s_wait_alu 0xfffd
	v_div_fmas_f64 v[1:2], v[1:2], v[3:4], v[9:10]
	s_delay_alu instid0(VALU_DEP_1) | instskip(NEXT) | instid1(VALU_DEP_1)
	v_div_fixup_f64 v[3:4], v[1:2], v[5:6], v[7:8]
	v_fma_f64 v[1:2], v[7:8], v[3:4], v[5:6]
	s_delay_alu instid0(VALU_DEP_1) | instskip(NEXT) | instid1(VALU_DEP_1)
	v_div_scale_f64 v[5:6], null, v[1:2], v[1:2], 1.0
	v_rcp_f64_e32 v[7:8], v[5:6]
	s_delay_alu instid0(TRANS32_DEP_1) | instskip(NEXT) | instid1(VALU_DEP_1)
	v_fma_f64 v[9:10], -v[5:6], v[7:8], 1.0
	v_fma_f64 v[7:8], v[7:8], v[9:10], v[7:8]
	s_delay_alu instid0(VALU_DEP_1) | instskip(NEXT) | instid1(VALU_DEP_1)
	v_fma_f64 v[9:10], -v[5:6], v[7:8], 1.0
	v_fma_f64 v[7:8], v[7:8], v[9:10], v[7:8]
	v_div_scale_f64 v[9:10], vcc_lo, 1.0, v[1:2], 1.0
	s_delay_alu instid0(VALU_DEP_1) | instskip(NEXT) | instid1(VALU_DEP_1)
	v_mul_f64_e32 v[11:12], v[9:10], v[7:8]
	v_fma_f64 v[5:6], -v[5:6], v[11:12], v[9:10]
	s_wait_alu 0xfffd
	s_delay_alu instid0(VALU_DEP_1) | instskip(NEXT) | instid1(VALU_DEP_1)
	v_div_fmas_f64 v[5:6], v[5:6], v[7:8], v[11:12]
	v_div_fixup_f64 v[1:2], v[5:6], v[1:2], 1.0
	s_delay_alu instid0(VALU_DEP_1)
	v_mul_f64_e64 v[3:4], v[3:4], -v[1:2]
	v_xor_b32_e32 v10, 0x80000000, v2
	v_mov_b32_e32 v9, v1
.LBB7_17:
	s_wait_alu 0xfffe
	s_or_b32 exec_lo, exec_lo, s3
	scratch_store_b128 v31, v[1:4], off
	scratch_load_b128 v[32:35], off, s4
	v_xor_b32_e32 v12, 0x80000000, v4
	v_mov_b32_e32 v11, v3
	v_add_nc_u32_e32 v5, 0x80, v30
	ds_store_b128 v30, v[9:12]
	s_wait_loadcnt 0x0
	ds_store_b128 v30, v[32:35] offset:128
	s_wait_storecnt_dscnt 0x0
	s_barrier_signal -1
	s_barrier_wait -1
	global_inv scope:SCOPE_SE
	s_and_saveexec_b32 s3, s2
	s_cbranch_execz .LBB7_19
; %bb.18:
	scratch_load_b128 v[1:4], v31, off
	ds_load_b128 v[6:9], v5
	v_mov_b32_e32 v10, 0
	ds_load_b128 v[32:35], v10 offset:16
	s_wait_loadcnt_dscnt 0x1
	v_mul_f64_e32 v[10:11], v[6:7], v[3:4]
	v_mul_f64_e32 v[3:4], v[8:9], v[3:4]
	s_delay_alu instid0(VALU_DEP_2) | instskip(NEXT) | instid1(VALU_DEP_2)
	v_fma_f64 v[8:9], v[8:9], v[1:2], v[10:11]
	v_fma_f64 v[1:2], v[6:7], v[1:2], -v[3:4]
	s_delay_alu instid0(VALU_DEP_2) | instskip(NEXT) | instid1(VALU_DEP_2)
	v_add_f64_e32 v[3:4], 0, v[8:9]
	v_add_f64_e32 v[1:2], 0, v[1:2]
	s_wait_dscnt 0x0
	s_delay_alu instid0(VALU_DEP_2) | instskip(NEXT) | instid1(VALU_DEP_2)
	v_mul_f64_e32 v[6:7], v[3:4], v[34:35]
	v_mul_f64_e32 v[8:9], v[1:2], v[34:35]
	s_delay_alu instid0(VALU_DEP_2) | instskip(NEXT) | instid1(VALU_DEP_2)
	v_fma_f64 v[1:2], v[1:2], v[32:33], -v[6:7]
	v_fma_f64 v[3:4], v[3:4], v[32:33], v[8:9]
	scratch_store_b128 off, v[1:4], off offset:16
.LBB7_19:
	s_wait_alu 0xfffe
	s_or_b32 exec_lo, exec_lo, s3
	s_wait_loadcnt 0x0
	s_wait_storecnt 0x0
	s_barrier_signal -1
	s_barrier_wait -1
	global_inv scope:SCOPE_SE
	scratch_load_b128 v[1:4], off, s8
	s_mov_b32 s3, exec_lo
	s_wait_loadcnt 0x0
	ds_store_b128 v5, v[1:4]
	s_wait_dscnt 0x0
	s_barrier_signal -1
	s_barrier_wait -1
	global_inv scope:SCOPE_SE
	v_cmpx_gt_u32_e32 2, v29
	s_cbranch_execz .LBB7_23
; %bb.20:
	scratch_load_b128 v[1:4], v31, off
	ds_load_b128 v[6:9], v5
	s_wait_loadcnt_dscnt 0x0
	v_mul_f64_e32 v[10:11], v[8:9], v[3:4]
	v_mul_f64_e32 v[3:4], v[6:7], v[3:4]
	s_delay_alu instid0(VALU_DEP_2) | instskip(NEXT) | instid1(VALU_DEP_2)
	v_fma_f64 v[6:7], v[6:7], v[1:2], -v[10:11]
	v_fma_f64 v[3:4], v[8:9], v[1:2], v[3:4]
	s_delay_alu instid0(VALU_DEP_2) | instskip(NEXT) | instid1(VALU_DEP_2)
	v_add_f64_e32 v[1:2], 0, v[6:7]
	v_add_f64_e32 v[3:4], 0, v[3:4]
	s_and_saveexec_b32 s13, s2
	s_cbranch_execz .LBB7_22
; %bb.21:
	scratch_load_b128 v[6:9], off, off offset:16
	v_mov_b32_e32 v10, 0
	ds_load_b128 v[32:35], v10 offset:144
	s_wait_loadcnt_dscnt 0x0
	v_mul_f64_e32 v[10:11], v[32:33], v[8:9]
	v_mul_f64_e32 v[8:9], v[34:35], v[8:9]
	s_delay_alu instid0(VALU_DEP_2) | instskip(NEXT) | instid1(VALU_DEP_2)
	v_fma_f64 v[10:11], v[34:35], v[6:7], v[10:11]
	v_fma_f64 v[6:7], v[32:33], v[6:7], -v[8:9]
	s_delay_alu instid0(VALU_DEP_2) | instskip(NEXT) | instid1(VALU_DEP_2)
	v_add_f64_e32 v[3:4], v[3:4], v[10:11]
	v_add_f64_e32 v[1:2], v[1:2], v[6:7]
.LBB7_22:
	s_or_b32 exec_lo, exec_lo, s13
	v_mov_b32_e32 v6, 0
	ds_load_b128 v[6:9], v6 offset:32
	s_wait_dscnt 0x0
	v_mul_f64_e32 v[10:11], v[3:4], v[8:9]
	v_mul_f64_e32 v[8:9], v[1:2], v[8:9]
	s_delay_alu instid0(VALU_DEP_2) | instskip(NEXT) | instid1(VALU_DEP_2)
	v_fma_f64 v[1:2], v[1:2], v[6:7], -v[10:11]
	v_fma_f64 v[3:4], v[3:4], v[6:7], v[8:9]
	scratch_store_b128 off, v[1:4], off offset:32
.LBB7_23:
	s_wait_alu 0xfffe
	s_or_b32 exec_lo, exec_lo, s3
	s_wait_loadcnt 0x0
	s_wait_storecnt 0x0
	s_barrier_signal -1
	s_barrier_wait -1
	global_inv scope:SCOPE_SE
	scratch_load_b128 v[1:4], off, s5
	v_add_nc_u32_e32 v6, -1, v29
	s_mov_b32 s2, exec_lo
	s_wait_loadcnt 0x0
	ds_store_b128 v5, v[1:4]
	s_wait_dscnt 0x0
	s_barrier_signal -1
	s_barrier_wait -1
	global_inv scope:SCOPE_SE
	v_cmpx_gt_u32_e32 3, v29
	s_cbranch_execz .LBB7_27
; %bb.24:
	v_dual_mov_b32 v1, 0 :: v_dual_add_nc_u32 v8, 0x80, v30
	v_mov_b32_e32 v3, 0
	v_dual_mov_b32 v2, 0 :: v_dual_add_nc_u32 v7, -1, v29
	v_mov_b32_e32 v4, 0
	v_or_b32_e32 v9, 8, v31
	s_mov_b32 s3, 0
.LBB7_25:                               ; =>This Inner Loop Header: Depth=1
	scratch_load_b128 v[32:35], v9, off offset:-8
	ds_load_b128 v[36:39], v8
	v_add_nc_u32_e32 v7, 1, v7
	v_add_nc_u32_e32 v8, 16, v8
	v_add_nc_u32_e32 v9, 16, v9
	s_delay_alu instid0(VALU_DEP_3)
	v_cmp_lt_u32_e32 vcc_lo, 1, v7
	s_wait_alu 0xfffe
	s_or_b32 s3, vcc_lo, s3
	s_wait_loadcnt_dscnt 0x0
	v_mul_f64_e32 v[10:11], v[38:39], v[34:35]
	v_mul_f64_e32 v[34:35], v[36:37], v[34:35]
	s_delay_alu instid0(VALU_DEP_2) | instskip(NEXT) | instid1(VALU_DEP_2)
	v_fma_f64 v[10:11], v[36:37], v[32:33], -v[10:11]
	v_fma_f64 v[32:33], v[38:39], v[32:33], v[34:35]
	s_delay_alu instid0(VALU_DEP_2) | instskip(NEXT) | instid1(VALU_DEP_2)
	v_add_f64_e32 v[3:4], v[3:4], v[10:11]
	v_add_f64_e32 v[1:2], v[1:2], v[32:33]
	s_wait_alu 0xfffe
	s_and_not1_b32 exec_lo, exec_lo, s3
	s_cbranch_execnz .LBB7_25
; %bb.26:
	s_or_b32 exec_lo, exec_lo, s3
	v_mov_b32_e32 v7, 0
	ds_load_b128 v[7:10], v7 offset:48
	s_wait_dscnt 0x0
	v_mul_f64_e32 v[11:12], v[1:2], v[9:10]
	v_mul_f64_e32 v[32:33], v[3:4], v[9:10]
	s_delay_alu instid0(VALU_DEP_2) | instskip(NEXT) | instid1(VALU_DEP_2)
	v_fma_f64 v[9:10], v[3:4], v[7:8], -v[11:12]
	v_fma_f64 v[11:12], v[1:2], v[7:8], v[32:33]
	scratch_store_b128 off, v[9:12], off offset:48
.LBB7_27:
	s_wait_alu 0xfffe
	s_or_b32 exec_lo, exec_lo, s2
	s_wait_loadcnt 0x0
	s_wait_storecnt 0x0
	s_barrier_signal -1
	s_barrier_wait -1
	global_inv scope:SCOPE_SE
	scratch_load_b128 v[1:4], off, s10
	s_mov_b32 s2, exec_lo
	s_wait_loadcnt 0x0
	ds_store_b128 v5, v[1:4]
	s_wait_dscnt 0x0
	s_barrier_signal -1
	s_barrier_wait -1
	global_inv scope:SCOPE_SE
	v_cmpx_gt_u32_e32 4, v29
	s_cbranch_execz .LBB7_31
; %bb.28:
	v_dual_mov_b32 v1, 0 :: v_dual_add_nc_u32 v8, 0x80, v30
	v_mov_b32_e32 v3, 0
	v_dual_mov_b32 v2, 0 :: v_dual_add_nc_u32 v7, -1, v29
	v_mov_b32_e32 v4, 0
	v_or_b32_e32 v9, 8, v31
	s_mov_b32 s3, 0
.LBB7_29:                               ; =>This Inner Loop Header: Depth=1
	scratch_load_b128 v[32:35], v9, off offset:-8
	ds_load_b128 v[36:39], v8
	v_add_nc_u32_e32 v7, 1, v7
	v_add_nc_u32_e32 v8, 16, v8
	v_add_nc_u32_e32 v9, 16, v9
	s_delay_alu instid0(VALU_DEP_3)
	v_cmp_lt_u32_e32 vcc_lo, 2, v7
	s_wait_alu 0xfffe
	s_or_b32 s3, vcc_lo, s3
	s_wait_loadcnt_dscnt 0x0
	v_mul_f64_e32 v[10:11], v[38:39], v[34:35]
	v_mul_f64_e32 v[34:35], v[36:37], v[34:35]
	s_delay_alu instid0(VALU_DEP_2) | instskip(NEXT) | instid1(VALU_DEP_2)
	v_fma_f64 v[10:11], v[36:37], v[32:33], -v[10:11]
	v_fma_f64 v[32:33], v[38:39], v[32:33], v[34:35]
	s_delay_alu instid0(VALU_DEP_2) | instskip(NEXT) | instid1(VALU_DEP_2)
	v_add_f64_e32 v[3:4], v[3:4], v[10:11]
	v_add_f64_e32 v[1:2], v[1:2], v[32:33]
	s_wait_alu 0xfffe
	s_and_not1_b32 exec_lo, exec_lo, s3
	s_cbranch_execnz .LBB7_29
; %bb.30:
	s_or_b32 exec_lo, exec_lo, s3
	v_mov_b32_e32 v7, 0
	ds_load_b128 v[7:10], v7 offset:64
	s_wait_dscnt 0x0
	v_mul_f64_e32 v[11:12], v[1:2], v[9:10]
	v_mul_f64_e32 v[32:33], v[3:4], v[9:10]
	s_delay_alu instid0(VALU_DEP_2) | instskip(NEXT) | instid1(VALU_DEP_2)
	v_fma_f64 v[9:10], v[3:4], v[7:8], -v[11:12]
	v_fma_f64 v[11:12], v[1:2], v[7:8], v[32:33]
	scratch_store_b128 off, v[9:12], off offset:64
.LBB7_31:
	s_wait_alu 0xfffe
	s_or_b32 exec_lo, exec_lo, s2
	s_wait_loadcnt 0x0
	s_wait_storecnt 0x0
	s_barrier_signal -1
	s_barrier_wait -1
	global_inv scope:SCOPE_SE
	scratch_load_b128 v[1:4], off, s9
	;; [unrolled: 58-line block ×4, first 2 shown]
	s_mov_b32 s2, exec_lo
	s_wait_loadcnt 0x0
	ds_store_b128 v5, v[1:4]
	s_wait_dscnt 0x0
	s_barrier_signal -1
	s_barrier_wait -1
	global_inv scope:SCOPE_SE
	v_cmpx_ne_u32_e32 7, v29
	s_cbranch_execz .LBB7_43
; %bb.40:
	v_mov_b32_e32 v1, 0
	v_dual_mov_b32 v2, 0 :: v_dual_mov_b32 v3, 0
	v_mov_b32_e32 v4, 0
	v_or_b32_e32 v7, 8, v31
	s_mov_b32 s3, 0
.LBB7_41:                               ; =>This Inner Loop Header: Depth=1
	scratch_load_b128 v[8:11], v7, off offset:-8
	ds_load_b128 v[30:33], v5
	v_add_nc_u32_e32 v6, 1, v6
	v_add_nc_u32_e32 v5, 16, v5
	;; [unrolled: 1-line block ×3, first 2 shown]
	s_delay_alu instid0(VALU_DEP_3)
	v_cmp_lt_u32_e32 vcc_lo, 5, v6
	s_wait_alu 0xfffe
	s_or_b32 s3, vcc_lo, s3
	s_wait_loadcnt_dscnt 0x0
	v_mul_f64_e32 v[34:35], v[32:33], v[10:11]
	v_mul_f64_e32 v[10:11], v[30:31], v[10:11]
	s_delay_alu instid0(VALU_DEP_2) | instskip(NEXT) | instid1(VALU_DEP_2)
	v_fma_f64 v[30:31], v[30:31], v[8:9], -v[34:35]
	v_fma_f64 v[8:9], v[32:33], v[8:9], v[10:11]
	s_delay_alu instid0(VALU_DEP_2) | instskip(NEXT) | instid1(VALU_DEP_2)
	v_add_f64_e32 v[3:4], v[3:4], v[30:31]
	v_add_f64_e32 v[1:2], v[1:2], v[8:9]
	s_wait_alu 0xfffe
	s_and_not1_b32 exec_lo, exec_lo, s3
	s_cbranch_execnz .LBB7_41
; %bb.42:
	s_or_b32 exec_lo, exec_lo, s3
	v_mov_b32_e32 v5, 0
	ds_load_b128 v[5:8], v5 offset:112
	s_wait_dscnt 0x0
	v_mul_f64_e32 v[9:10], v[1:2], v[7:8]
	v_mul_f64_e32 v[7:8], v[3:4], v[7:8]
	s_delay_alu instid0(VALU_DEP_2) | instskip(NEXT) | instid1(VALU_DEP_2)
	v_fma_f64 v[3:4], v[3:4], v[5:6], -v[9:10]
	v_fma_f64 v[5:6], v[1:2], v[5:6], v[7:8]
	scratch_store_b128 off, v[3:6], off offset:112
.LBB7_43:
	s_wait_alu 0xfffe
	s_or_b32 exec_lo, exec_lo, s2
	s_mov_b32 s3, -1
	s_wait_loadcnt 0x0
	s_wait_storecnt 0x0
	s_barrier_signal -1
	s_barrier_wait -1
	global_inv scope:SCOPE_SE
.LBB7_44:
	s_wait_alu 0xfffe
	s_and_b32 vcc_lo, exec_lo, s3
	s_wait_alu 0xfffe
	s_cbranch_vccz .LBB7_46
; %bb.45:
	v_mov_b32_e32 v1, 0
	s_lshl_b64 s[2:3], s[18:19], 2
	s_wait_alu 0xfffe
	s_add_nc_u64 s[2:3], s[6:7], s[2:3]
	global_load_b32 v1, v1, s[2:3]
	s_wait_loadcnt 0x0
	v_cmp_ne_u32_e32 vcc_lo, 0, v1
	s_cbranch_vccz .LBB7_47
.LBB7_46:
	s_endpgm
.LBB7_47:
	v_lshl_add_u32 v5, v29, 4, 0x80
	s_mov_b32 s2, exec_lo
	v_cmpx_eq_u32_e32 7, v29
	s_cbranch_execz .LBB7_49
; %bb.48:
	scratch_load_b128 v[1:4], off, s12
	v_mov_b32_e32 v6, 0
	s_delay_alu instid0(VALU_DEP_1)
	v_dual_mov_b32 v7, v6 :: v_dual_mov_b32 v8, v6
	v_mov_b32_e32 v9, v6
	scratch_store_b128 off, v[6:9], off offset:96
	s_wait_loadcnt 0x0
	ds_store_b128 v5, v[1:4]
.LBB7_49:
	s_wait_alu 0xfffe
	s_or_b32 exec_lo, exec_lo, s2
	s_wait_storecnt_dscnt 0x0
	s_barrier_signal -1
	s_barrier_wait -1
	global_inv scope:SCOPE_SE
	s_clause 0x1
	scratch_load_b128 v[6:9], off, off offset:112
	scratch_load_b128 v[30:33], off, off offset:96
	v_mov_b32_e32 v1, 0
	s_mov_b32 s2, exec_lo
	ds_load_b128 v[34:37], v1 offset:240
	s_wait_loadcnt_dscnt 0x100
	v_mul_f64_e32 v[2:3], v[36:37], v[8:9]
	v_mul_f64_e32 v[8:9], v[34:35], v[8:9]
	s_delay_alu instid0(VALU_DEP_2) | instskip(NEXT) | instid1(VALU_DEP_2)
	v_fma_f64 v[2:3], v[34:35], v[6:7], -v[2:3]
	v_fma_f64 v[6:7], v[36:37], v[6:7], v[8:9]
	s_delay_alu instid0(VALU_DEP_2) | instskip(NEXT) | instid1(VALU_DEP_2)
	v_add_f64_e32 v[2:3], 0, v[2:3]
	v_add_f64_e32 v[8:9], 0, v[6:7]
	s_wait_loadcnt 0x0
	s_delay_alu instid0(VALU_DEP_2) | instskip(NEXT) | instid1(VALU_DEP_2)
	v_add_f64_e64 v[6:7], v[30:31], -v[2:3]
	v_add_f64_e64 v[8:9], v[32:33], -v[8:9]
	scratch_store_b128 off, v[6:9], off offset:96
	v_cmpx_lt_u32_e32 5, v29
	s_cbranch_execz .LBB7_51
; %bb.50:
	scratch_load_b128 v[6:9], off, s9
	v_dual_mov_b32 v2, v1 :: v_dual_mov_b32 v3, v1
	v_mov_b32_e32 v4, v1
	scratch_store_b128 off, v[1:4], off offset:80
	s_wait_loadcnt 0x0
	ds_store_b128 v5, v[6:9]
.LBB7_51:
	s_wait_alu 0xfffe
	s_or_b32 exec_lo, exec_lo, s2
	s_wait_storecnt_dscnt 0x0
	s_barrier_signal -1
	s_barrier_wait -1
	global_inv scope:SCOPE_SE
	s_clause 0x2
	scratch_load_b128 v[6:9], off, off offset:96
	scratch_load_b128 v[30:33], off, off offset:112
	;; [unrolled: 1-line block ×3, first 2 shown]
	ds_load_b128 v[38:41], v1 offset:224
	ds_load_b128 v[1:4], v1 offset:240
	s_mov_b32 s2, exec_lo
	s_wait_loadcnt_dscnt 0x201
	v_mul_f64_e32 v[10:11], v[40:41], v[8:9]
	v_mul_f64_e32 v[8:9], v[38:39], v[8:9]
	s_wait_loadcnt_dscnt 0x100
	v_mul_f64_e32 v[42:43], v[1:2], v[32:33]
	v_mul_f64_e32 v[32:33], v[3:4], v[32:33]
	s_delay_alu instid0(VALU_DEP_4) | instskip(NEXT) | instid1(VALU_DEP_4)
	v_fma_f64 v[10:11], v[38:39], v[6:7], -v[10:11]
	v_fma_f64 v[6:7], v[40:41], v[6:7], v[8:9]
	s_delay_alu instid0(VALU_DEP_4) | instskip(NEXT) | instid1(VALU_DEP_4)
	v_fma_f64 v[3:4], v[3:4], v[30:31], v[42:43]
	v_fma_f64 v[1:2], v[1:2], v[30:31], -v[32:33]
	s_delay_alu instid0(VALU_DEP_4) | instskip(NEXT) | instid1(VALU_DEP_4)
	v_add_f64_e32 v[8:9], 0, v[10:11]
	v_add_f64_e32 v[6:7], 0, v[6:7]
	s_delay_alu instid0(VALU_DEP_2) | instskip(NEXT) | instid1(VALU_DEP_2)
	v_add_f64_e32 v[1:2], v[8:9], v[1:2]
	v_add_f64_e32 v[3:4], v[6:7], v[3:4]
	s_wait_loadcnt 0x0
	s_delay_alu instid0(VALU_DEP_2) | instskip(NEXT) | instid1(VALU_DEP_2)
	v_add_f64_e64 v[1:2], v[34:35], -v[1:2]
	v_add_f64_e64 v[3:4], v[36:37], -v[3:4]
	scratch_store_b128 off, v[1:4], off offset:80
	v_cmpx_lt_u32_e32 4, v29
	s_cbranch_execz .LBB7_53
; %bb.52:
	scratch_load_b128 v[1:4], off, s10
	v_mov_b32_e32 v6, 0
	s_delay_alu instid0(VALU_DEP_1)
	v_dual_mov_b32 v7, v6 :: v_dual_mov_b32 v8, v6
	v_mov_b32_e32 v9, v6
	scratch_store_b128 off, v[6:9], off offset:64
	s_wait_loadcnt 0x0
	ds_store_b128 v5, v[1:4]
.LBB7_53:
	s_wait_alu 0xfffe
	s_or_b32 exec_lo, exec_lo, s2
	s_wait_storecnt_dscnt 0x0
	s_barrier_signal -1
	s_barrier_wait -1
	global_inv scope:SCOPE_SE
	s_clause 0x3
	scratch_load_b128 v[6:9], off, off offset:80
	scratch_load_b128 v[30:33], off, off offset:96
	;; [unrolled: 1-line block ×4, first 2 shown]
	v_mov_b32_e32 v1, 0
	ds_load_b128 v[42:45], v1 offset:208
	ds_load_b128 v[46:49], v1 offset:224
	s_mov_b32 s2, exec_lo
	s_wait_loadcnt_dscnt 0x301
	v_mul_f64_e32 v[2:3], v[44:45], v[8:9]
	v_mul_f64_e32 v[8:9], v[42:43], v[8:9]
	s_wait_loadcnt_dscnt 0x200
	v_mul_f64_e32 v[10:11], v[46:47], v[32:33]
	v_mul_f64_e32 v[32:33], v[48:49], v[32:33]
	s_delay_alu instid0(VALU_DEP_4) | instskip(NEXT) | instid1(VALU_DEP_4)
	v_fma_f64 v[2:3], v[42:43], v[6:7], -v[2:3]
	v_fma_f64 v[42:43], v[44:45], v[6:7], v[8:9]
	ds_load_b128 v[6:9], v1 offset:240
	v_fma_f64 v[10:11], v[48:49], v[30:31], v[10:11]
	v_fma_f64 v[30:31], v[46:47], v[30:31], -v[32:33]
	s_wait_loadcnt_dscnt 0x100
	v_mul_f64_e32 v[44:45], v[6:7], v[36:37]
	v_mul_f64_e32 v[36:37], v[8:9], v[36:37]
	v_add_f64_e32 v[2:3], 0, v[2:3]
	v_add_f64_e32 v[32:33], 0, v[42:43]
	s_delay_alu instid0(VALU_DEP_4) | instskip(NEXT) | instid1(VALU_DEP_4)
	v_fma_f64 v[8:9], v[8:9], v[34:35], v[44:45]
	v_fma_f64 v[6:7], v[6:7], v[34:35], -v[36:37]
	s_delay_alu instid0(VALU_DEP_4) | instskip(NEXT) | instid1(VALU_DEP_4)
	v_add_f64_e32 v[2:3], v[2:3], v[30:31]
	v_add_f64_e32 v[10:11], v[32:33], v[10:11]
	s_delay_alu instid0(VALU_DEP_2) | instskip(NEXT) | instid1(VALU_DEP_2)
	v_add_f64_e32 v[2:3], v[2:3], v[6:7]
	v_add_f64_e32 v[8:9], v[10:11], v[8:9]
	s_wait_loadcnt 0x0
	s_delay_alu instid0(VALU_DEP_2) | instskip(NEXT) | instid1(VALU_DEP_2)
	v_add_f64_e64 v[6:7], v[38:39], -v[2:3]
	v_add_f64_e64 v[8:9], v[40:41], -v[8:9]
	scratch_store_b128 off, v[6:9], off offset:64
	v_cmpx_lt_u32_e32 3, v29
	s_cbranch_execz .LBB7_55
; %bb.54:
	scratch_load_b128 v[6:9], off, s5
	v_dual_mov_b32 v2, v1 :: v_dual_mov_b32 v3, v1
	v_mov_b32_e32 v4, v1
	scratch_store_b128 off, v[1:4], off offset:48
	s_wait_loadcnt 0x0
	ds_store_b128 v5, v[6:9]
.LBB7_55:
	s_wait_alu 0xfffe
	s_or_b32 exec_lo, exec_lo, s2
	s_wait_storecnt_dscnt 0x0
	s_barrier_signal -1
	s_barrier_wait -1
	global_inv scope:SCOPE_SE
	s_clause 0x4
	scratch_load_b128 v[6:9], off, off offset:64
	scratch_load_b128 v[30:33], off, off offset:80
	;; [unrolled: 1-line block ×5, first 2 shown]
	ds_load_b128 v[46:49], v1 offset:192
	ds_load_b128 v[50:53], v1 offset:208
	s_mov_b32 s2, exec_lo
	s_wait_loadcnt_dscnt 0x401
	v_mul_f64_e32 v[2:3], v[48:49], v[8:9]
	v_mul_f64_e32 v[8:9], v[46:47], v[8:9]
	s_wait_loadcnt_dscnt 0x300
	v_mul_f64_e32 v[10:11], v[50:51], v[32:33]
	v_mul_f64_e32 v[32:33], v[52:53], v[32:33]
	s_delay_alu instid0(VALU_DEP_4) | instskip(NEXT) | instid1(VALU_DEP_4)
	v_fma_f64 v[46:47], v[46:47], v[6:7], -v[2:3]
	v_fma_f64 v[48:49], v[48:49], v[6:7], v[8:9]
	ds_load_b128 v[6:9], v1 offset:224
	ds_load_b128 v[1:4], v1 offset:240
	v_fma_f64 v[10:11], v[52:53], v[30:31], v[10:11]
	v_fma_f64 v[30:31], v[50:51], v[30:31], -v[32:33]
	s_wait_loadcnt_dscnt 0x201
	v_mul_f64_e32 v[54:55], v[6:7], v[36:37]
	v_mul_f64_e32 v[36:37], v[8:9], v[36:37]
	v_add_f64_e32 v[32:33], 0, v[46:47]
	v_add_f64_e32 v[46:47], 0, v[48:49]
	s_wait_loadcnt_dscnt 0x100
	v_mul_f64_e32 v[48:49], v[1:2], v[40:41]
	v_mul_f64_e32 v[40:41], v[3:4], v[40:41]
	v_fma_f64 v[8:9], v[8:9], v[34:35], v[54:55]
	v_fma_f64 v[6:7], v[6:7], v[34:35], -v[36:37]
	v_add_f64_e32 v[30:31], v[32:33], v[30:31]
	v_add_f64_e32 v[10:11], v[46:47], v[10:11]
	v_fma_f64 v[3:4], v[3:4], v[38:39], v[48:49]
	v_fma_f64 v[1:2], v[1:2], v[38:39], -v[40:41]
	s_delay_alu instid0(VALU_DEP_4) | instskip(NEXT) | instid1(VALU_DEP_4)
	v_add_f64_e32 v[6:7], v[30:31], v[6:7]
	v_add_f64_e32 v[8:9], v[10:11], v[8:9]
	s_delay_alu instid0(VALU_DEP_2) | instskip(NEXT) | instid1(VALU_DEP_2)
	v_add_f64_e32 v[1:2], v[6:7], v[1:2]
	v_add_f64_e32 v[3:4], v[8:9], v[3:4]
	s_wait_loadcnt 0x0
	s_delay_alu instid0(VALU_DEP_2) | instskip(NEXT) | instid1(VALU_DEP_2)
	v_add_f64_e64 v[1:2], v[42:43], -v[1:2]
	v_add_f64_e64 v[3:4], v[44:45], -v[3:4]
	scratch_store_b128 off, v[1:4], off offset:48
	v_cmpx_lt_u32_e32 2, v29
	s_cbranch_execz .LBB7_57
; %bb.56:
	scratch_load_b128 v[1:4], off, s8
	v_mov_b32_e32 v6, 0
	s_delay_alu instid0(VALU_DEP_1)
	v_dual_mov_b32 v7, v6 :: v_dual_mov_b32 v8, v6
	v_mov_b32_e32 v9, v6
	scratch_store_b128 off, v[6:9], off offset:32
	s_wait_loadcnt 0x0
	ds_store_b128 v5, v[1:4]
.LBB7_57:
	s_wait_alu 0xfffe
	s_or_b32 exec_lo, exec_lo, s2
	s_wait_storecnt_dscnt 0x0
	s_barrier_signal -1
	s_barrier_wait -1
	global_inv scope:SCOPE_SE
	s_clause 0x5
	scratch_load_b128 v[6:9], off, off offset:48
	scratch_load_b128 v[30:33], off, off offset:64
	;; [unrolled: 1-line block ×6, first 2 shown]
	v_mov_b32_e32 v1, 0
	ds_load_b128 v[50:53], v1 offset:176
	ds_load_b128 v[54:57], v1 offset:192
	s_mov_b32 s2, exec_lo
	s_wait_loadcnt_dscnt 0x501
	v_mul_f64_e32 v[2:3], v[52:53], v[8:9]
	v_mul_f64_e32 v[8:9], v[50:51], v[8:9]
	s_wait_loadcnt_dscnt 0x400
	v_mul_f64_e32 v[10:11], v[54:55], v[32:33]
	v_mul_f64_e32 v[32:33], v[56:57], v[32:33]
	s_delay_alu instid0(VALU_DEP_4) | instskip(NEXT) | instid1(VALU_DEP_4)
	v_fma_f64 v[2:3], v[50:51], v[6:7], -v[2:3]
	v_fma_f64 v[58:59], v[52:53], v[6:7], v[8:9]
	ds_load_b128 v[6:9], v1 offset:208
	ds_load_b128 v[50:53], v1 offset:224
	v_fma_f64 v[10:11], v[56:57], v[30:31], v[10:11]
	v_fma_f64 v[30:31], v[54:55], v[30:31], -v[32:33]
	s_wait_loadcnt_dscnt 0x301
	v_mul_f64_e32 v[60:61], v[6:7], v[36:37]
	v_mul_f64_e32 v[36:37], v[8:9], v[36:37]
	s_wait_loadcnt_dscnt 0x200
	v_mul_f64_e32 v[54:55], v[50:51], v[40:41]
	v_mul_f64_e32 v[40:41], v[52:53], v[40:41]
	v_add_f64_e32 v[2:3], 0, v[2:3]
	v_add_f64_e32 v[32:33], 0, v[58:59]
	v_fma_f64 v[56:57], v[8:9], v[34:35], v[60:61]
	v_fma_f64 v[34:35], v[6:7], v[34:35], -v[36:37]
	ds_load_b128 v[6:9], v1 offset:240
	v_fma_f64 v[36:37], v[52:53], v[38:39], v[54:55]
	v_fma_f64 v[38:39], v[50:51], v[38:39], -v[40:41]
	v_add_f64_e32 v[2:3], v[2:3], v[30:31]
	v_add_f64_e32 v[10:11], v[32:33], v[10:11]
	s_wait_loadcnt_dscnt 0x100
	v_mul_f64_e32 v[30:31], v[6:7], v[44:45]
	v_mul_f64_e32 v[32:33], v[8:9], v[44:45]
	s_delay_alu instid0(VALU_DEP_4) | instskip(NEXT) | instid1(VALU_DEP_4)
	v_add_f64_e32 v[2:3], v[2:3], v[34:35]
	v_add_f64_e32 v[10:11], v[10:11], v[56:57]
	s_delay_alu instid0(VALU_DEP_4) | instskip(NEXT) | instid1(VALU_DEP_4)
	v_fma_f64 v[8:9], v[8:9], v[42:43], v[30:31]
	v_fma_f64 v[6:7], v[6:7], v[42:43], -v[32:33]
	s_delay_alu instid0(VALU_DEP_4) | instskip(NEXT) | instid1(VALU_DEP_4)
	v_add_f64_e32 v[2:3], v[2:3], v[38:39]
	v_add_f64_e32 v[10:11], v[10:11], v[36:37]
	s_delay_alu instid0(VALU_DEP_2) | instskip(NEXT) | instid1(VALU_DEP_2)
	v_add_f64_e32 v[2:3], v[2:3], v[6:7]
	v_add_f64_e32 v[8:9], v[10:11], v[8:9]
	s_wait_loadcnt 0x0
	s_delay_alu instid0(VALU_DEP_2) | instskip(NEXT) | instid1(VALU_DEP_2)
	v_add_f64_e64 v[6:7], v[46:47], -v[2:3]
	v_add_f64_e64 v[8:9], v[48:49], -v[8:9]
	scratch_store_b128 off, v[6:9], off offset:32
	v_cmpx_lt_u32_e32 1, v29
	s_cbranch_execz .LBB7_59
; %bb.58:
	scratch_load_b128 v[6:9], off, s4
	v_dual_mov_b32 v2, v1 :: v_dual_mov_b32 v3, v1
	v_mov_b32_e32 v4, v1
	scratch_store_b128 off, v[1:4], off offset:16
	s_wait_loadcnt 0x0
	ds_store_b128 v5, v[6:9]
.LBB7_59:
	s_wait_alu 0xfffe
	s_or_b32 exec_lo, exec_lo, s2
	s_wait_storecnt_dscnt 0x0
	s_barrier_signal -1
	s_barrier_wait -1
	global_inv scope:SCOPE_SE
	s_clause 0x5
	scratch_load_b128 v[6:9], off, off offset:32
	scratch_load_b128 v[30:33], off, off offset:48
	;; [unrolled: 1-line block ×6, first 2 shown]
	ds_load_b128 v[50:53], v1 offset:160
	ds_load_b128 v[58:61], v1 offset:176
	scratch_load_b128 v[54:57], off, off offset:16
	s_mov_b32 s2, exec_lo
	s_wait_loadcnt_dscnt 0x601
	v_mul_f64_e32 v[2:3], v[52:53], v[8:9]
	v_mul_f64_e32 v[8:9], v[50:51], v[8:9]
	s_wait_loadcnt_dscnt 0x500
	v_mul_f64_e32 v[10:11], v[58:59], v[32:33]
	v_mul_f64_e32 v[32:33], v[60:61], v[32:33]
	s_delay_alu instid0(VALU_DEP_4) | instskip(NEXT) | instid1(VALU_DEP_4)
	v_fma_f64 v[2:3], v[50:51], v[6:7], -v[2:3]
	v_fma_f64 v[62:63], v[52:53], v[6:7], v[8:9]
	ds_load_b128 v[6:9], v1 offset:192
	ds_load_b128 v[50:53], v1 offset:208
	v_fma_f64 v[10:11], v[60:61], v[30:31], v[10:11]
	v_fma_f64 v[30:31], v[58:59], v[30:31], -v[32:33]
	s_wait_loadcnt_dscnt 0x401
	v_mul_f64_e32 v[64:65], v[6:7], v[36:37]
	v_mul_f64_e32 v[36:37], v[8:9], v[36:37]
	s_wait_loadcnt_dscnt 0x300
	v_mul_f64_e32 v[58:59], v[50:51], v[40:41]
	v_mul_f64_e32 v[40:41], v[52:53], v[40:41]
	v_add_f64_e32 v[2:3], 0, v[2:3]
	v_add_f64_e32 v[32:33], 0, v[62:63]
	v_fma_f64 v[60:61], v[8:9], v[34:35], v[64:65]
	v_fma_f64 v[34:35], v[6:7], v[34:35], -v[36:37]
	s_delay_alu instid0(VALU_DEP_4) | instskip(NEXT) | instid1(VALU_DEP_4)
	v_add_f64_e32 v[30:31], v[2:3], v[30:31]
	v_add_f64_e32 v[10:11], v[32:33], v[10:11]
	ds_load_b128 v[6:9], v1 offset:224
	ds_load_b128 v[1:4], v1 offset:240
	s_wait_loadcnt_dscnt 0x201
	v_mul_f64_e32 v[32:33], v[6:7], v[44:45]
	v_mul_f64_e32 v[36:37], v[8:9], v[44:45]
	v_fma_f64 v[44:45], v[52:53], v[38:39], v[58:59]
	v_fma_f64 v[38:39], v[50:51], v[38:39], -v[40:41]
	s_wait_loadcnt_dscnt 0x100
	v_mul_f64_e32 v[40:41], v[3:4], v[48:49]
	v_add_f64_e32 v[30:31], v[30:31], v[34:35]
	v_add_f64_e32 v[10:11], v[10:11], v[60:61]
	v_mul_f64_e32 v[34:35], v[1:2], v[48:49]
	v_fma_f64 v[8:9], v[8:9], v[42:43], v[32:33]
	v_fma_f64 v[6:7], v[6:7], v[42:43], -v[36:37]
	v_fma_f64 v[1:2], v[1:2], v[46:47], -v[40:41]
	v_add_f64_e32 v[30:31], v[30:31], v[38:39]
	v_add_f64_e32 v[10:11], v[10:11], v[44:45]
	v_fma_f64 v[3:4], v[3:4], v[46:47], v[34:35]
	s_delay_alu instid0(VALU_DEP_3) | instskip(NEXT) | instid1(VALU_DEP_3)
	v_add_f64_e32 v[6:7], v[30:31], v[6:7]
	v_add_f64_e32 v[8:9], v[10:11], v[8:9]
	s_delay_alu instid0(VALU_DEP_2) | instskip(NEXT) | instid1(VALU_DEP_2)
	v_add_f64_e32 v[1:2], v[6:7], v[1:2]
	v_add_f64_e32 v[3:4], v[8:9], v[3:4]
	s_wait_loadcnt 0x0
	s_delay_alu instid0(VALU_DEP_2) | instskip(NEXT) | instid1(VALU_DEP_2)
	v_add_f64_e64 v[1:2], v[54:55], -v[1:2]
	v_add_f64_e64 v[3:4], v[56:57], -v[3:4]
	scratch_store_b128 off, v[1:4], off offset:16
	v_cmpx_ne_u32_e32 0, v29
	s_cbranch_execz .LBB7_61
; %bb.60:
	scratch_load_b128 v[1:4], off, off
	v_mov_b32_e32 v6, 0
	s_delay_alu instid0(VALU_DEP_1)
	v_dual_mov_b32 v7, v6 :: v_dual_mov_b32 v8, v6
	v_mov_b32_e32 v9, v6
	scratch_store_b128 off, v[6:9], off
	s_wait_loadcnt 0x0
	ds_store_b128 v5, v[1:4]
.LBB7_61:
	s_wait_alu 0xfffe
	s_or_b32 exec_lo, exec_lo, s2
	s_wait_storecnt_dscnt 0x0
	s_barrier_signal -1
	s_barrier_wait -1
	global_inv scope:SCOPE_SE
	s_clause 0x6
	scratch_load_b128 v[2:5], off, off offset:16
	scratch_load_b128 v[6:9], off, off offset:32
	;; [unrolled: 1-line block ×7, first 2 shown]
	v_mov_b32_e32 v1, 0
	scratch_load_b128 v[54:57], off, off
	s_and_b32 vcc_lo, exec_lo, s20
	ds_load_b128 v[50:53], v1 offset:144
	ds_load_b128 v[58:61], v1 offset:160
	s_wait_loadcnt_dscnt 0x701
	v_mul_f64_e32 v[10:11], v[52:53], v[4:5]
	v_mul_f64_e32 v[4:5], v[50:51], v[4:5]
	s_wait_loadcnt_dscnt 0x600
	v_mul_f64_e32 v[62:63], v[58:59], v[8:9]
	v_mul_f64_e32 v[64:65], v[60:61], v[8:9]
	s_delay_alu instid0(VALU_DEP_4) | instskip(NEXT) | instid1(VALU_DEP_4)
	v_fma_f64 v[50:51], v[50:51], v[2:3], -v[10:11]
	v_fma_f64 v[52:53], v[52:53], v[2:3], v[4:5]
	ds_load_b128 v[2:5], v1 offset:176
	ds_load_b128 v[8:11], v1 offset:192
	v_fma_f64 v[60:61], v[60:61], v[6:7], v[62:63]
	v_fma_f64 v[6:7], v[58:59], v[6:7], -v[64:65]
	s_wait_loadcnt_dscnt 0x501
	v_mul_f64_e32 v[66:67], v[2:3], v[32:33]
	v_mul_f64_e32 v[32:33], v[4:5], v[32:33]
	s_wait_loadcnt_dscnt 0x400
	v_mul_f64_e32 v[58:59], v[8:9], v[36:37]
	v_mul_f64_e32 v[36:37], v[10:11], v[36:37]
	v_add_f64_e32 v[50:51], 0, v[50:51]
	v_add_f64_e32 v[52:53], 0, v[52:53]
	v_fma_f64 v[62:63], v[4:5], v[30:31], v[66:67]
	v_fma_f64 v[64:65], v[2:3], v[30:31], -v[32:33]
	ds_load_b128 v[2:5], v1 offset:208
	ds_load_b128 v[30:33], v1 offset:224
	v_fma_f64 v[10:11], v[10:11], v[34:35], v[58:59]
	v_fma_f64 v[8:9], v[8:9], v[34:35], -v[36:37]
	v_add_f64_e32 v[6:7], v[50:51], v[6:7]
	v_add_f64_e32 v[50:51], v[52:53], v[60:61]
	s_wait_loadcnt_dscnt 0x301
	v_mul_f64_e32 v[52:53], v[2:3], v[40:41]
	v_mul_f64_e32 v[40:41], v[4:5], v[40:41]
	s_wait_loadcnt_dscnt 0x200
	v_mul_f64_e32 v[36:37], v[30:31], v[44:45]
	v_mul_f64_e32 v[44:45], v[32:33], v[44:45]
	v_add_f64_e32 v[6:7], v[6:7], v[64:65]
	v_add_f64_e32 v[34:35], v[50:51], v[62:63]
	v_fma_f64 v[50:51], v[4:5], v[38:39], v[52:53]
	v_fma_f64 v[38:39], v[2:3], v[38:39], -v[40:41]
	ds_load_b128 v[2:5], v1 offset:240
	v_fma_f64 v[32:33], v[32:33], v[42:43], v[36:37]
	v_fma_f64 v[30:31], v[30:31], v[42:43], -v[44:45]
	v_add_f64_e32 v[6:7], v[6:7], v[8:9]
	v_add_f64_e32 v[8:9], v[34:35], v[10:11]
	s_wait_loadcnt_dscnt 0x100
	v_mul_f64_e32 v[10:11], v[2:3], v[48:49]
	v_mul_f64_e32 v[34:35], v[4:5], v[48:49]
	s_delay_alu instid0(VALU_DEP_4) | instskip(NEXT) | instid1(VALU_DEP_4)
	v_add_f64_e32 v[6:7], v[6:7], v[38:39]
	v_add_f64_e32 v[8:9], v[8:9], v[50:51]
	s_delay_alu instid0(VALU_DEP_4) | instskip(NEXT) | instid1(VALU_DEP_4)
	v_fma_f64 v[4:5], v[4:5], v[46:47], v[10:11]
	v_fma_f64 v[2:3], v[2:3], v[46:47], -v[34:35]
	s_delay_alu instid0(VALU_DEP_4) | instskip(NEXT) | instid1(VALU_DEP_4)
	v_add_f64_e32 v[6:7], v[6:7], v[30:31]
	v_add_f64_e32 v[8:9], v[8:9], v[32:33]
	s_delay_alu instid0(VALU_DEP_2) | instskip(NEXT) | instid1(VALU_DEP_2)
	v_add_f64_e32 v[2:3], v[6:7], v[2:3]
	v_add_f64_e32 v[4:5], v[8:9], v[4:5]
	s_wait_loadcnt 0x0
	s_delay_alu instid0(VALU_DEP_2) | instskip(NEXT) | instid1(VALU_DEP_2)
	v_add_f64_e64 v[2:3], v[54:55], -v[2:3]
	v_add_f64_e64 v[4:5], v[56:57], -v[4:5]
	scratch_store_b128 off, v[2:5], off
	s_wait_alu 0xfffe
	s_cbranch_vccz .LBB7_76
; %bb.62:
	global_load_b32 v1, v1, s[16:17] offset:24
	s_load_b64 s[0:1], s[0:1], 0x4
	v_bfe_u32 v2, v0, 10, 10
	v_bfe_u32 v0, v0, 20, 10
	s_wait_kmcnt 0x0
	s_lshr_b32 s0, s0, 16
	s_delay_alu instid0(VALU_DEP_2) | instskip(SKIP_3) | instid1(VALU_DEP_1)
	v_mul_u32_u24_e32 v2, s1, v2
	s_mul_i32 s0, s0, s1
	s_wait_alu 0xfffe
	v_mul_u32_u24_e32 v3, s0, v29
	v_add3_u32 v0, v3, v2, v0
	s_delay_alu instid0(VALU_DEP_1)
	v_lshl_add_u32 v0, v0, 4, 0x108
	s_wait_loadcnt 0x0
	v_cmp_ne_u32_e32 vcc_lo, 7, v1
	s_cbranch_vccz .LBB7_64
; %bb.63:
	v_lshlrev_b32_e32 v1, 4, v1
	s_delay_alu instid0(VALU_DEP_1)
	v_mov_b32_e32 v9, v1
	s_clause 0x1
	scratch_load_b128 v[1:4], off, s12
	scratch_load_b128 v[5:8], v9, off offset:-16
	s_wait_loadcnt 0x1
	ds_store_2addr_b64 v0, v[1:2], v[3:4] offset1:1
	s_wait_loadcnt 0x0
	s_clause 0x1
	scratch_store_b128 off, v[5:8], s12
	scratch_store_b128 v9, v[1:4], off offset:-16
.LBB7_64:
	v_mov_b32_e32 v1, 0
	global_load_b32 v2, v1, s[16:17] offset:20
	s_wait_loadcnt 0x0
	v_cmp_eq_u32_e32 vcc_lo, 6, v2
	s_cbranch_vccnz .LBB7_66
; %bb.65:
	v_lshlrev_b32_e32 v2, 4, v2
	s_delay_alu instid0(VALU_DEP_1)
	v_mov_b32_e32 v10, v2
	s_clause 0x1
	scratch_load_b128 v[2:5], off, s9
	scratch_load_b128 v[6:9], v10, off offset:-16
	s_wait_loadcnt 0x1
	ds_store_2addr_b64 v0, v[2:3], v[4:5] offset1:1
	s_wait_loadcnt 0x0
	s_clause 0x1
	scratch_store_b128 off, v[6:9], s9
	scratch_store_b128 v10, v[2:5], off offset:-16
.LBB7_66:
	global_load_b32 v1, v1, s[16:17] offset:16
	s_wait_loadcnt 0x0
	v_cmp_eq_u32_e32 vcc_lo, 5, v1
	s_cbranch_vccnz .LBB7_68
; %bb.67:
	v_lshlrev_b32_e32 v1, 4, v1
	s_delay_alu instid0(VALU_DEP_1)
	v_mov_b32_e32 v9, v1
	s_clause 0x1
	scratch_load_b128 v[1:4], off, s10
	scratch_load_b128 v[5:8], v9, off offset:-16
	s_wait_loadcnt 0x1
	ds_store_2addr_b64 v0, v[1:2], v[3:4] offset1:1
	s_wait_loadcnt 0x0
	s_clause 0x1
	scratch_store_b128 off, v[5:8], s10
	scratch_store_b128 v9, v[1:4], off offset:-16
.LBB7_68:
	v_mov_b32_e32 v1, 0
	global_load_b32 v2, v1, s[16:17] offset:12
	s_wait_loadcnt 0x0
	v_cmp_eq_u32_e32 vcc_lo, 4, v2
	s_cbranch_vccnz .LBB7_70
; %bb.69:
	v_lshlrev_b32_e32 v2, 4, v2
	s_delay_alu instid0(VALU_DEP_1)
	v_mov_b32_e32 v10, v2
	s_clause 0x1
	scratch_load_b128 v[2:5], off, s5
	scratch_load_b128 v[6:9], v10, off offset:-16
	s_wait_loadcnt 0x1
	ds_store_2addr_b64 v0, v[2:3], v[4:5] offset1:1
	s_wait_loadcnt 0x0
	s_clause 0x1
	scratch_store_b128 off, v[6:9], s5
	scratch_store_b128 v10, v[2:5], off offset:-16
.LBB7_70:
	global_load_b32 v1, v1, s[16:17] offset:8
	s_wait_loadcnt 0x0
	v_cmp_eq_u32_e32 vcc_lo, 3, v1
	s_cbranch_vccnz .LBB7_72
; %bb.71:
	v_lshlrev_b32_e32 v1, 4, v1
	s_delay_alu instid0(VALU_DEP_1)
	v_mov_b32_e32 v9, v1
	s_clause 0x1
	scratch_load_b128 v[1:4], off, s8
	scratch_load_b128 v[5:8], v9, off offset:-16
	s_wait_loadcnt 0x1
	ds_store_2addr_b64 v0, v[1:2], v[3:4] offset1:1
	s_wait_loadcnt 0x0
	s_clause 0x1
	scratch_store_b128 off, v[5:8], s8
	scratch_store_b128 v9, v[1:4], off offset:-16
.LBB7_72:
	v_mov_b32_e32 v1, 0
	global_load_b32 v2, v1, s[16:17] offset:4
	s_wait_loadcnt 0x0
	v_cmp_eq_u32_e32 vcc_lo, 2, v2
	s_cbranch_vccnz .LBB7_74
; %bb.73:
	v_lshlrev_b32_e32 v2, 4, v2
	s_delay_alu instid0(VALU_DEP_1)
	v_mov_b32_e32 v10, v2
	s_clause 0x1
	scratch_load_b128 v[2:5], off, s4
	scratch_load_b128 v[6:9], v10, off offset:-16
	s_wait_loadcnt 0x1
	ds_store_2addr_b64 v0, v[2:3], v[4:5] offset1:1
	s_wait_loadcnt 0x0
	s_clause 0x1
	scratch_store_b128 off, v[6:9], s4
	scratch_store_b128 v10, v[2:5], off offset:-16
.LBB7_74:
	global_load_b32 v1, v1, s[16:17]
	s_wait_loadcnt 0x0
	v_cmp_eq_u32_e32 vcc_lo, 1, v1
	s_cbranch_vccnz .LBB7_76
; %bb.75:
	v_lshlrev_b32_e32 v1, 4, v1
	s_delay_alu instid0(VALU_DEP_1)
	v_mov_b32_e32 v9, v1
	scratch_load_b128 v[1:4], off, off
	scratch_load_b128 v[5:8], v9, off offset:-16
	s_wait_loadcnt 0x1
	ds_store_2addr_b64 v0, v[1:2], v[3:4] offset1:1
	s_wait_loadcnt 0x0
	scratch_store_b128 off, v[5:8], off
	scratch_store_b128 v9, v[1:4], off offset:-16
.LBB7_76:
	scratch_load_b128 v[0:3], off, off
	s_clause 0x6
	scratch_load_b128 v[4:7], off, s4
	scratch_load_b128 v[8:11], off, s8
	;; [unrolled: 1-line block ×7, first 2 shown]
	s_wait_loadcnt 0x7
	global_store_b128 v[13:14], v[0:3], off
	s_wait_loadcnt 0x6
	global_store_b128 v[15:16], v[4:7], off
	;; [unrolled: 2-line block ×8, first 2 shown]
	s_endpgm
	.section	.rodata,"a",@progbits
	.p2align	6, 0x0
	.amdhsa_kernel _ZN9rocsolver6v33100L18getri_kernel_smallILi8E19rocblas_complex_numIdEPS3_EEvT1_iilPiilS6_bb
		.amdhsa_group_segment_fixed_size 1288
		.amdhsa_private_segment_fixed_size 144
		.amdhsa_kernarg_size 60
		.amdhsa_user_sgpr_count 4
		.amdhsa_user_sgpr_dispatch_ptr 1
		.amdhsa_user_sgpr_queue_ptr 0
		.amdhsa_user_sgpr_kernarg_segment_ptr 1
		.amdhsa_user_sgpr_dispatch_id 0
		.amdhsa_user_sgpr_private_segment_size 0
		.amdhsa_wavefront_size32 1
		.amdhsa_uses_dynamic_stack 0
		.amdhsa_enable_private_segment 1
		.amdhsa_system_sgpr_workgroup_id_x 1
		.amdhsa_system_sgpr_workgroup_id_y 0
		.amdhsa_system_sgpr_workgroup_id_z 0
		.amdhsa_system_sgpr_workgroup_info 0
		.amdhsa_system_vgpr_workitem_id 2
		.amdhsa_next_free_vgpr 68
		.amdhsa_next_free_sgpr 21
		.amdhsa_reserve_vcc 1
		.amdhsa_float_round_mode_32 0
		.amdhsa_float_round_mode_16_64 0
		.amdhsa_float_denorm_mode_32 3
		.amdhsa_float_denorm_mode_16_64 3
		.amdhsa_fp16_overflow 0
		.amdhsa_workgroup_processor_mode 1
		.amdhsa_memory_ordered 1
		.amdhsa_forward_progress 1
		.amdhsa_inst_pref_size 59
		.amdhsa_round_robin_scheduling 0
		.amdhsa_exception_fp_ieee_invalid_op 0
		.amdhsa_exception_fp_denorm_src 0
		.amdhsa_exception_fp_ieee_div_zero 0
		.amdhsa_exception_fp_ieee_overflow 0
		.amdhsa_exception_fp_ieee_underflow 0
		.amdhsa_exception_fp_ieee_inexact 0
		.amdhsa_exception_int_div_zero 0
	.end_amdhsa_kernel
	.section	.text._ZN9rocsolver6v33100L18getri_kernel_smallILi8E19rocblas_complex_numIdEPS3_EEvT1_iilPiilS6_bb,"axG",@progbits,_ZN9rocsolver6v33100L18getri_kernel_smallILi8E19rocblas_complex_numIdEPS3_EEvT1_iilPiilS6_bb,comdat
.Lfunc_end7:
	.size	_ZN9rocsolver6v33100L18getri_kernel_smallILi8E19rocblas_complex_numIdEPS3_EEvT1_iilPiilS6_bb, .Lfunc_end7-_ZN9rocsolver6v33100L18getri_kernel_smallILi8E19rocblas_complex_numIdEPS3_EEvT1_iilPiilS6_bb
                                        ; -- End function
	.set _ZN9rocsolver6v33100L18getri_kernel_smallILi8E19rocblas_complex_numIdEPS3_EEvT1_iilPiilS6_bb.num_vgpr, 68
	.set _ZN9rocsolver6v33100L18getri_kernel_smallILi8E19rocblas_complex_numIdEPS3_EEvT1_iilPiilS6_bb.num_agpr, 0
	.set _ZN9rocsolver6v33100L18getri_kernel_smallILi8E19rocblas_complex_numIdEPS3_EEvT1_iilPiilS6_bb.numbered_sgpr, 21
	.set _ZN9rocsolver6v33100L18getri_kernel_smallILi8E19rocblas_complex_numIdEPS3_EEvT1_iilPiilS6_bb.num_named_barrier, 0
	.set _ZN9rocsolver6v33100L18getri_kernel_smallILi8E19rocblas_complex_numIdEPS3_EEvT1_iilPiilS6_bb.private_seg_size, 144
	.set _ZN9rocsolver6v33100L18getri_kernel_smallILi8E19rocblas_complex_numIdEPS3_EEvT1_iilPiilS6_bb.uses_vcc, 1
	.set _ZN9rocsolver6v33100L18getri_kernel_smallILi8E19rocblas_complex_numIdEPS3_EEvT1_iilPiilS6_bb.uses_flat_scratch, 1
	.set _ZN9rocsolver6v33100L18getri_kernel_smallILi8E19rocblas_complex_numIdEPS3_EEvT1_iilPiilS6_bb.has_dyn_sized_stack, 0
	.set _ZN9rocsolver6v33100L18getri_kernel_smallILi8E19rocblas_complex_numIdEPS3_EEvT1_iilPiilS6_bb.has_recursion, 0
	.set _ZN9rocsolver6v33100L18getri_kernel_smallILi8E19rocblas_complex_numIdEPS3_EEvT1_iilPiilS6_bb.has_indirect_call, 0
	.section	.AMDGPU.csdata,"",@progbits
; Kernel info:
; codeLenInByte = 7488
; TotalNumSgprs: 23
; NumVgprs: 68
; ScratchSize: 144
; MemoryBound: 0
; FloatMode: 240
; IeeeMode: 1
; LDSByteSize: 1288 bytes/workgroup (compile time only)
; SGPRBlocks: 0
; VGPRBlocks: 8
; NumSGPRsForWavesPerEU: 23
; NumVGPRsForWavesPerEU: 68
; Occupancy: 16
; WaveLimiterHint : 1
; COMPUTE_PGM_RSRC2:SCRATCH_EN: 1
; COMPUTE_PGM_RSRC2:USER_SGPR: 4
; COMPUTE_PGM_RSRC2:TRAP_HANDLER: 0
; COMPUTE_PGM_RSRC2:TGID_X_EN: 1
; COMPUTE_PGM_RSRC2:TGID_Y_EN: 0
; COMPUTE_PGM_RSRC2:TGID_Z_EN: 0
; COMPUTE_PGM_RSRC2:TIDIG_COMP_CNT: 2
	.section	.text._ZN9rocsolver6v33100L18getri_kernel_smallILi9E19rocblas_complex_numIdEPS3_EEvT1_iilPiilS6_bb,"axG",@progbits,_ZN9rocsolver6v33100L18getri_kernel_smallILi9E19rocblas_complex_numIdEPS3_EEvT1_iilPiilS6_bb,comdat
	.globl	_ZN9rocsolver6v33100L18getri_kernel_smallILi9E19rocblas_complex_numIdEPS3_EEvT1_iilPiilS6_bb ; -- Begin function _ZN9rocsolver6v33100L18getri_kernel_smallILi9E19rocblas_complex_numIdEPS3_EEvT1_iilPiilS6_bb
	.p2align	8
	.type	_ZN9rocsolver6v33100L18getri_kernel_smallILi9E19rocblas_complex_numIdEPS3_EEvT1_iilPiilS6_bb,@function
_ZN9rocsolver6v33100L18getri_kernel_smallILi9E19rocblas_complex_numIdEPS3_EEvT1_iilPiilS6_bb: ; @_ZN9rocsolver6v33100L18getri_kernel_smallILi9E19rocblas_complex_numIdEPS3_EEvT1_iilPiilS6_bb
; %bb.0:
	v_and_b32_e32 v31, 0x3ff, v0
	s_mov_b32 s4, exec_lo
	s_delay_alu instid0(VALU_DEP_1)
	v_cmpx_gt_u32_e32 9, v31
	s_cbranch_execz .LBB8_50
; %bb.1:
	s_clause 0x2
	s_load_b32 s8, s[2:3], 0x38
	s_load_b128 s[12:15], s[2:3], 0x10
	s_load_b128 s[4:7], s[2:3], 0x28
	s_mov_b32 s18, ttmp9
                                        ; implicit-def: $sgpr16_sgpr17
	s_wait_kmcnt 0x0
	s_bitcmp1_b32 s8, 8
	s_cselect_b32 s20, -1, 0
	s_bfe_u32 s8, s8, 0x10008
	s_ashr_i32 s19, ttmp9, 31
	s_cmp_eq_u32 s8, 0
	s_cbranch_scc1 .LBB8_3
; %bb.2:
	s_load_b32 s8, s[2:3], 0x20
	s_mul_u64 s[4:5], s[4:5], s[18:19]
	s_delay_alu instid0(SALU_CYCLE_1) | instskip(NEXT) | instid1(SALU_CYCLE_1)
	s_lshl_b64 s[4:5], s[4:5], 2
	s_add_nc_u64 s[4:5], s[14:15], s[4:5]
	s_wait_kmcnt 0x0
	s_ashr_i32 s9, s8, 31
	s_delay_alu instid0(SALU_CYCLE_1) | instskip(NEXT) | instid1(SALU_CYCLE_1)
	s_lshl_b64 s[8:9], s[8:9], 2
	s_add_nc_u64 s[16:17], s[4:5], s[8:9]
.LBB8_3:
	s_clause 0x1
	s_load_b128 s[8:11], s[2:3], 0x0
	s_load_b32 s14, s[2:3], 0x38
	s_mul_u64 s[2:3], s[12:13], s[18:19]
	v_lshlrev_b32_e32 v32, 4, v31
	s_lshl_b64 s[2:3], s[2:3], 4
	s_movk_i32 s12, 0x60
	s_movk_i32 s13, 0x80
	s_wait_kmcnt 0x0
	v_add3_u32 v5, s11, s11, v31
	s_ashr_i32 s5, s10, 31
	s_mov_b32 s4, s10
	s_add_nc_u64 s[2:3], s[8:9], s[2:3]
	s_lshl_b64 s[4:5], s[4:5], 4
	v_add_nc_u32_e32 v7, s11, v5
	v_ashrrev_i32_e32 v6, 31, v5
	s_add_nc_u64 s[2:3], s[2:3], s[4:5]
	s_ashr_i32 s9, s11, 31
	v_add_co_u32 v13, s4, s2, v32
	v_add_nc_u32_e32 v9, s11, v7
	v_ashrrev_i32_e32 v8, 31, v7
	s_mov_b32 s8, s11
	v_lshlrev_b64_e32 v[5:6], 4, v[5:6]
	v_add_co_ci_u32_e64 v14, null, s3, 0, s4
	v_add_nc_u32_e32 v21, s11, v9
	v_ashrrev_i32_e32 v10, 31, v9
	s_lshl_b64 s[8:9], s[8:9], 4
	v_lshlrev_b64_e32 v[19:20], 4, v[7:8]
	v_add_co_u32 v15, vcc_lo, v13, s8
	v_ashrrev_i32_e32 v22, 31, v21
	v_add_nc_u32_e32 v25, s11, v21
	v_lshlrev_b64_e32 v[23:24], 4, v[9:10]
	v_add_co_ci_u32_e64 v16, null, s9, v14, vcc_lo
	v_add_co_u32 v17, vcc_lo, s2, v5
	v_lshlrev_b64_e32 v[27:28], 4, v[21:22]
	v_ashrrev_i32_e32 v26, 31, v25
	v_add_nc_u32_e32 v33, s11, v25
	s_wait_alu 0xfffd
	v_add_co_ci_u32_e64 v18, null, s3, v6, vcc_lo
	v_add_co_u32 v19, vcc_lo, s2, v19
	s_wait_alu 0xfffd
	v_add_co_ci_u32_e64 v20, null, s3, v20, vcc_lo
	v_add_co_u32 v21, vcc_lo, s2, v23
	s_wait_alu 0xfffd
	v_add_co_ci_u32_e64 v22, null, s3, v24, vcc_lo
	v_lshlrev_b64_e32 v[29:30], 4, v[25:26]
	v_add_co_u32 v23, vcc_lo, s2, v27
	v_add_nc_u32_e32 v27, s11, v33
	v_ashrrev_i32_e32 v34, 31, v33
	s_wait_alu 0xfffd
	v_add_co_ci_u32_e64 v24, null, s3, v28, vcc_lo
	v_add_co_u32 v25, vcc_lo, s2, v29
	v_ashrrev_i32_e32 v28, 31, v27
	s_wait_alu 0xfffd
	v_add_co_ci_u32_e64 v26, null, s3, v30, vcc_lo
	v_lshlrev_b64_e32 v[29:30], 4, v[33:34]
	global_load_b128 v[1:4], v32, s[2:3]
	v_lshlrev_b64_e32 v[49:50], 4, v[27:28]
	s_clause 0x5
	global_load_b128 v[5:8], v[15:16], off
	global_load_b128 v[9:12], v[17:18], off
	;; [unrolled: 1-line block ×6, first 2 shown]
	s_mov_b32 s4, 16
	v_add_co_u32 v27, vcc_lo, s2, v29
	s_wait_alu 0xfffd
	v_add_co_ci_u32_e64 v28, null, s3, v30, vcc_lo
	v_add_co_u32 v29, vcc_lo, s2, v49
	s_wait_alu 0xfffd
	v_add_co_ci_u32_e64 v30, null, s3, v50, vcc_lo
	s_clause 0x1
	global_load_b128 v[49:52], v[27:28], off
	global_load_b128 v[53:56], v[29:30], off
	s_mov_b32 s8, 32
	s_mov_b32 s5, 48
	s_movk_i32 s9, 0x50
	s_mov_b32 s10, 64
	s_movk_i32 s11, 0x70
	s_bitcmp0_b32 s14, 0
	s_mov_b32 s3, -1
	s_wait_loadcnt 0x8
	scratch_store_b128 off, v[1:4], off
	s_wait_loadcnt 0x7
	scratch_store_b128 off, v[5:8], off offset:16
	s_wait_loadcnt 0x6
	scratch_store_b128 off, v[9:12], off offset:32
	;; [unrolled: 2-line block ×8, first 2 shown]
	s_cbranch_scc1 .LBB8_48
; %bb.4:
	v_cmp_eq_u32_e64 s2, 0, v31
	s_and_saveexec_b32 s3, s2
; %bb.5:
	v_mov_b32_e32 v1, 0
	ds_store_b32 v1, v1 offset:288
; %bb.6:
	s_wait_alu 0xfffe
	s_or_b32 exec_lo, exec_lo, s3
	s_wait_storecnt_dscnt 0x0
	s_barrier_signal -1
	s_barrier_wait -1
	global_inv scope:SCOPE_SE
	scratch_load_b128 v[1:4], v32, off
	s_wait_loadcnt 0x0
	v_cmp_eq_f64_e32 vcc_lo, 0, v[1:2]
	v_cmp_eq_f64_e64 s3, 0, v[3:4]
	s_and_b32 s3, vcc_lo, s3
	s_wait_alu 0xfffe
	s_and_saveexec_b32 s14, s3
	s_cbranch_execz .LBB8_10
; %bb.7:
	v_mov_b32_e32 v1, 0
	s_mov_b32 s15, 0
	ds_load_b32 v2, v1 offset:288
	s_wait_dscnt 0x0
	v_readfirstlane_b32 s3, v2
	v_add_nc_u32_e32 v2, 1, v31
	s_cmp_eq_u32 s3, 0
	s_delay_alu instid0(VALU_DEP_1) | instskip(SKIP_1) | instid1(SALU_CYCLE_1)
	v_cmp_gt_i32_e32 vcc_lo, s3, v2
	s_cselect_b32 s21, -1, 0
	s_or_b32 s21, s21, vcc_lo
	s_delay_alu instid0(SALU_CYCLE_1)
	s_and_b32 exec_lo, exec_lo, s21
	s_cbranch_execz .LBB8_10
; %bb.8:
	v_mov_b32_e32 v3, s3
.LBB8_9:                                ; =>This Inner Loop Header: Depth=1
	ds_cmpstore_rtn_b32 v3, v1, v2, v3 offset:288
	s_wait_dscnt 0x0
	v_cmp_ne_u32_e32 vcc_lo, 0, v3
	v_cmp_le_i32_e64 s3, v3, v2
	s_and_b32 s3, vcc_lo, s3
	s_wait_alu 0xfffe
	s_and_b32 s3, exec_lo, s3
	s_wait_alu 0xfffe
	s_or_b32 s15, s3, s15
	s_delay_alu instid0(SALU_CYCLE_1)
	s_and_not1_b32 exec_lo, exec_lo, s15
	s_cbranch_execnz .LBB8_9
.LBB8_10:
	s_or_b32 exec_lo, exec_lo, s14
	v_mov_b32_e32 v1, 0
	s_barrier_signal -1
	s_barrier_wait -1
	global_inv scope:SCOPE_SE
	ds_load_b32 v2, v1 offset:288
	s_and_saveexec_b32 s3, s2
	s_cbranch_execz .LBB8_12
; %bb.11:
	s_lshl_b64 s[14:15], s[18:19], 2
	s_delay_alu instid0(SALU_CYCLE_1)
	s_add_nc_u64 s[14:15], s[6:7], s[14:15]
	s_wait_dscnt 0x0
	global_store_b32 v1, v2, s[14:15]
.LBB8_12:
	s_wait_alu 0xfffe
	s_or_b32 exec_lo, exec_lo, s3
	s_wait_dscnt 0x0
	v_cmp_ne_u32_e32 vcc_lo, 0, v2
	s_mov_b32 s3, 0
	s_cbranch_vccnz .LBB8_48
; %bb.13:
	v_mov_b32_e32 v33, v32
                                        ; implicit-def: $vgpr1_vgpr2
                                        ; implicit-def: $vgpr9_vgpr10
	scratch_load_b128 v[5:8], v33, off
	s_wait_loadcnt 0x0
	v_cmp_ngt_f64_e64 s3, |v[5:6]|, |v[7:8]|
	s_wait_alu 0xfffe
	s_and_saveexec_b32 s14, s3
	s_delay_alu instid0(SALU_CYCLE_1)
	s_xor_b32 s3, exec_lo, s14
	s_cbranch_execz .LBB8_15
; %bb.14:
	v_div_scale_f64 v[1:2], null, v[7:8], v[7:8], v[5:6]
	v_div_scale_f64 v[11:12], vcc_lo, v[5:6], v[7:8], v[5:6]
	s_delay_alu instid0(VALU_DEP_2) | instskip(NEXT) | instid1(TRANS32_DEP_1)
	v_rcp_f64_e32 v[3:4], v[1:2]
	v_fma_f64 v[9:10], -v[1:2], v[3:4], 1.0
	s_delay_alu instid0(VALU_DEP_1) | instskip(NEXT) | instid1(VALU_DEP_1)
	v_fma_f64 v[3:4], v[3:4], v[9:10], v[3:4]
	v_fma_f64 v[9:10], -v[1:2], v[3:4], 1.0
	s_delay_alu instid0(VALU_DEP_1) | instskip(NEXT) | instid1(VALU_DEP_1)
	v_fma_f64 v[3:4], v[3:4], v[9:10], v[3:4]
	v_mul_f64_e32 v[9:10], v[11:12], v[3:4]
	s_delay_alu instid0(VALU_DEP_1) | instskip(SKIP_1) | instid1(VALU_DEP_1)
	v_fma_f64 v[1:2], -v[1:2], v[9:10], v[11:12]
	s_wait_alu 0xfffd
	v_div_fmas_f64 v[1:2], v[1:2], v[3:4], v[9:10]
	s_delay_alu instid0(VALU_DEP_1) | instskip(NEXT) | instid1(VALU_DEP_1)
	v_div_fixup_f64 v[1:2], v[1:2], v[7:8], v[5:6]
	v_fma_f64 v[3:4], v[5:6], v[1:2], v[7:8]
	s_delay_alu instid0(VALU_DEP_1) | instskip(SKIP_1) | instid1(VALU_DEP_2)
	v_div_scale_f64 v[5:6], null, v[3:4], v[3:4], 1.0
	v_div_scale_f64 v[11:12], vcc_lo, 1.0, v[3:4], 1.0
	v_rcp_f64_e32 v[7:8], v[5:6]
	s_delay_alu instid0(TRANS32_DEP_1) | instskip(NEXT) | instid1(VALU_DEP_1)
	v_fma_f64 v[9:10], -v[5:6], v[7:8], 1.0
	v_fma_f64 v[7:8], v[7:8], v[9:10], v[7:8]
	s_delay_alu instid0(VALU_DEP_1) | instskip(NEXT) | instid1(VALU_DEP_1)
	v_fma_f64 v[9:10], -v[5:6], v[7:8], 1.0
	v_fma_f64 v[7:8], v[7:8], v[9:10], v[7:8]
	s_delay_alu instid0(VALU_DEP_1) | instskip(NEXT) | instid1(VALU_DEP_1)
	v_mul_f64_e32 v[9:10], v[11:12], v[7:8]
	v_fma_f64 v[5:6], -v[5:6], v[9:10], v[11:12]
	s_wait_alu 0xfffd
	s_delay_alu instid0(VALU_DEP_1) | instskip(NEXT) | instid1(VALU_DEP_1)
	v_div_fmas_f64 v[5:6], v[5:6], v[7:8], v[9:10]
	v_div_fixup_f64 v[3:4], v[5:6], v[3:4], 1.0
                                        ; implicit-def: $vgpr5_vgpr6
	s_delay_alu instid0(VALU_DEP_1) | instskip(SKIP_1) | instid1(VALU_DEP_2)
	v_mul_f64_e32 v[1:2], v[1:2], v[3:4]
	v_xor_b32_e32 v4, 0x80000000, v4
	v_xor_b32_e32 v10, 0x80000000, v2
	s_delay_alu instid0(VALU_DEP_3)
	v_mov_b32_e32 v9, v1
.LBB8_15:
	s_wait_alu 0xfffe
	s_and_not1_saveexec_b32 s3, s3
	s_cbranch_execz .LBB8_17
; %bb.16:
	v_div_scale_f64 v[1:2], null, v[5:6], v[5:6], v[7:8]
	v_div_scale_f64 v[11:12], vcc_lo, v[7:8], v[5:6], v[7:8]
	s_delay_alu instid0(VALU_DEP_2) | instskip(NEXT) | instid1(TRANS32_DEP_1)
	v_rcp_f64_e32 v[3:4], v[1:2]
	v_fma_f64 v[9:10], -v[1:2], v[3:4], 1.0
	s_delay_alu instid0(VALU_DEP_1) | instskip(NEXT) | instid1(VALU_DEP_1)
	v_fma_f64 v[3:4], v[3:4], v[9:10], v[3:4]
	v_fma_f64 v[9:10], -v[1:2], v[3:4], 1.0
	s_delay_alu instid0(VALU_DEP_1) | instskip(NEXT) | instid1(VALU_DEP_1)
	v_fma_f64 v[3:4], v[3:4], v[9:10], v[3:4]
	v_mul_f64_e32 v[9:10], v[11:12], v[3:4]
	s_delay_alu instid0(VALU_DEP_1) | instskip(SKIP_1) | instid1(VALU_DEP_1)
	v_fma_f64 v[1:2], -v[1:2], v[9:10], v[11:12]
	s_wait_alu 0xfffd
	v_div_fmas_f64 v[1:2], v[1:2], v[3:4], v[9:10]
	s_delay_alu instid0(VALU_DEP_1) | instskip(NEXT) | instid1(VALU_DEP_1)
	v_div_fixup_f64 v[3:4], v[1:2], v[5:6], v[7:8]
	v_fma_f64 v[1:2], v[7:8], v[3:4], v[5:6]
	s_delay_alu instid0(VALU_DEP_1) | instskip(NEXT) | instid1(VALU_DEP_1)
	v_div_scale_f64 v[5:6], null, v[1:2], v[1:2], 1.0
	v_rcp_f64_e32 v[7:8], v[5:6]
	s_delay_alu instid0(TRANS32_DEP_1) | instskip(NEXT) | instid1(VALU_DEP_1)
	v_fma_f64 v[9:10], -v[5:6], v[7:8], 1.0
	v_fma_f64 v[7:8], v[7:8], v[9:10], v[7:8]
	s_delay_alu instid0(VALU_DEP_1) | instskip(NEXT) | instid1(VALU_DEP_1)
	v_fma_f64 v[9:10], -v[5:6], v[7:8], 1.0
	v_fma_f64 v[7:8], v[7:8], v[9:10], v[7:8]
	v_div_scale_f64 v[9:10], vcc_lo, 1.0, v[1:2], 1.0
	s_delay_alu instid0(VALU_DEP_1) | instskip(NEXT) | instid1(VALU_DEP_1)
	v_mul_f64_e32 v[11:12], v[9:10], v[7:8]
	v_fma_f64 v[5:6], -v[5:6], v[11:12], v[9:10]
	s_wait_alu 0xfffd
	s_delay_alu instid0(VALU_DEP_1) | instskip(NEXT) | instid1(VALU_DEP_1)
	v_div_fmas_f64 v[5:6], v[5:6], v[7:8], v[11:12]
	v_div_fixup_f64 v[1:2], v[5:6], v[1:2], 1.0
	s_delay_alu instid0(VALU_DEP_1)
	v_mul_f64_e64 v[3:4], v[3:4], -v[1:2]
	v_xor_b32_e32 v10, 0x80000000, v2
	v_mov_b32_e32 v9, v1
.LBB8_17:
	s_wait_alu 0xfffe
	s_or_b32 exec_lo, exec_lo, s3
	scratch_store_b128 v33, v[1:4], off
	scratch_load_b128 v[34:37], off, s4
	v_xor_b32_e32 v12, 0x80000000, v4
	v_mov_b32_e32 v11, v3
	v_add_nc_u32_e32 v5, 0x90, v32
	ds_store_b128 v32, v[9:12]
	s_wait_loadcnt 0x0
	ds_store_b128 v32, v[34:37] offset:144
	s_wait_storecnt_dscnt 0x0
	s_barrier_signal -1
	s_barrier_wait -1
	global_inv scope:SCOPE_SE
	s_and_saveexec_b32 s3, s2
	s_cbranch_execz .LBB8_19
; %bb.18:
	scratch_load_b128 v[1:4], v33, off
	ds_load_b128 v[6:9], v5
	v_mov_b32_e32 v10, 0
	ds_load_b128 v[34:37], v10 offset:16
	s_wait_loadcnt_dscnt 0x1
	v_mul_f64_e32 v[10:11], v[6:7], v[3:4]
	v_mul_f64_e32 v[3:4], v[8:9], v[3:4]
	s_delay_alu instid0(VALU_DEP_2) | instskip(NEXT) | instid1(VALU_DEP_2)
	v_fma_f64 v[8:9], v[8:9], v[1:2], v[10:11]
	v_fma_f64 v[1:2], v[6:7], v[1:2], -v[3:4]
	s_delay_alu instid0(VALU_DEP_2) | instskip(NEXT) | instid1(VALU_DEP_2)
	v_add_f64_e32 v[3:4], 0, v[8:9]
	v_add_f64_e32 v[1:2], 0, v[1:2]
	s_wait_dscnt 0x0
	s_delay_alu instid0(VALU_DEP_2) | instskip(NEXT) | instid1(VALU_DEP_2)
	v_mul_f64_e32 v[6:7], v[3:4], v[36:37]
	v_mul_f64_e32 v[8:9], v[1:2], v[36:37]
	s_delay_alu instid0(VALU_DEP_2) | instskip(NEXT) | instid1(VALU_DEP_2)
	v_fma_f64 v[1:2], v[1:2], v[34:35], -v[6:7]
	v_fma_f64 v[3:4], v[3:4], v[34:35], v[8:9]
	scratch_store_b128 off, v[1:4], off offset:16
.LBB8_19:
	s_wait_alu 0xfffe
	s_or_b32 exec_lo, exec_lo, s3
	s_wait_loadcnt 0x0
	s_wait_storecnt 0x0
	s_barrier_signal -1
	s_barrier_wait -1
	global_inv scope:SCOPE_SE
	scratch_load_b128 v[1:4], off, s8
	s_mov_b32 s3, exec_lo
	s_wait_loadcnt 0x0
	ds_store_b128 v5, v[1:4]
	s_wait_dscnt 0x0
	s_barrier_signal -1
	s_barrier_wait -1
	global_inv scope:SCOPE_SE
	v_cmpx_gt_u32_e32 2, v31
	s_cbranch_execz .LBB8_23
; %bb.20:
	scratch_load_b128 v[1:4], v33, off
	ds_load_b128 v[6:9], v5
	s_wait_loadcnt_dscnt 0x0
	v_mul_f64_e32 v[10:11], v[8:9], v[3:4]
	v_mul_f64_e32 v[3:4], v[6:7], v[3:4]
	s_delay_alu instid0(VALU_DEP_2) | instskip(NEXT) | instid1(VALU_DEP_2)
	v_fma_f64 v[6:7], v[6:7], v[1:2], -v[10:11]
	v_fma_f64 v[3:4], v[8:9], v[1:2], v[3:4]
	s_delay_alu instid0(VALU_DEP_2) | instskip(NEXT) | instid1(VALU_DEP_2)
	v_add_f64_e32 v[1:2], 0, v[6:7]
	v_add_f64_e32 v[3:4], 0, v[3:4]
	s_and_saveexec_b32 s14, s2
	s_cbranch_execz .LBB8_22
; %bb.21:
	scratch_load_b128 v[6:9], off, off offset:16
	v_mov_b32_e32 v10, 0
	ds_load_b128 v[34:37], v10 offset:160
	s_wait_loadcnt_dscnt 0x0
	v_mul_f64_e32 v[10:11], v[34:35], v[8:9]
	v_mul_f64_e32 v[8:9], v[36:37], v[8:9]
	s_delay_alu instid0(VALU_DEP_2) | instskip(NEXT) | instid1(VALU_DEP_2)
	v_fma_f64 v[10:11], v[36:37], v[6:7], v[10:11]
	v_fma_f64 v[6:7], v[34:35], v[6:7], -v[8:9]
	s_delay_alu instid0(VALU_DEP_2) | instskip(NEXT) | instid1(VALU_DEP_2)
	v_add_f64_e32 v[3:4], v[3:4], v[10:11]
	v_add_f64_e32 v[1:2], v[1:2], v[6:7]
.LBB8_22:
	s_or_b32 exec_lo, exec_lo, s14
	v_mov_b32_e32 v6, 0
	ds_load_b128 v[6:9], v6 offset:32
	s_wait_dscnt 0x0
	v_mul_f64_e32 v[10:11], v[3:4], v[8:9]
	v_mul_f64_e32 v[8:9], v[1:2], v[8:9]
	s_delay_alu instid0(VALU_DEP_2) | instskip(NEXT) | instid1(VALU_DEP_2)
	v_fma_f64 v[1:2], v[1:2], v[6:7], -v[10:11]
	v_fma_f64 v[3:4], v[3:4], v[6:7], v[8:9]
	scratch_store_b128 off, v[1:4], off offset:32
.LBB8_23:
	s_wait_alu 0xfffe
	s_or_b32 exec_lo, exec_lo, s3
	s_wait_loadcnt 0x0
	s_wait_storecnt 0x0
	s_barrier_signal -1
	s_barrier_wait -1
	global_inv scope:SCOPE_SE
	scratch_load_b128 v[1:4], off, s5
	v_add_nc_u32_e32 v6, -1, v31
	s_mov_b32 s2, exec_lo
	s_wait_loadcnt 0x0
	ds_store_b128 v5, v[1:4]
	s_wait_dscnt 0x0
	s_barrier_signal -1
	s_barrier_wait -1
	global_inv scope:SCOPE_SE
	v_cmpx_gt_u32_e32 3, v31
	s_cbranch_execz .LBB8_27
; %bb.24:
	v_dual_mov_b32 v1, 0 :: v_dual_add_nc_u32 v8, 0x90, v32
	v_mov_b32_e32 v3, 0
	v_dual_mov_b32 v2, 0 :: v_dual_add_nc_u32 v7, -1, v31
	v_mov_b32_e32 v4, 0
	v_or_b32_e32 v9, 8, v33
	s_mov_b32 s3, 0
.LBB8_25:                               ; =>This Inner Loop Header: Depth=1
	scratch_load_b128 v[34:37], v9, off offset:-8
	ds_load_b128 v[38:41], v8
	v_add_nc_u32_e32 v7, 1, v7
	v_add_nc_u32_e32 v8, 16, v8
	v_add_nc_u32_e32 v9, 16, v9
	s_delay_alu instid0(VALU_DEP_3)
	v_cmp_lt_u32_e32 vcc_lo, 1, v7
	s_wait_alu 0xfffe
	s_or_b32 s3, vcc_lo, s3
	s_wait_loadcnt_dscnt 0x0
	v_mul_f64_e32 v[10:11], v[40:41], v[36:37]
	v_mul_f64_e32 v[36:37], v[38:39], v[36:37]
	s_delay_alu instid0(VALU_DEP_2) | instskip(NEXT) | instid1(VALU_DEP_2)
	v_fma_f64 v[10:11], v[38:39], v[34:35], -v[10:11]
	v_fma_f64 v[34:35], v[40:41], v[34:35], v[36:37]
	s_delay_alu instid0(VALU_DEP_2) | instskip(NEXT) | instid1(VALU_DEP_2)
	v_add_f64_e32 v[3:4], v[3:4], v[10:11]
	v_add_f64_e32 v[1:2], v[1:2], v[34:35]
	s_wait_alu 0xfffe
	s_and_not1_b32 exec_lo, exec_lo, s3
	s_cbranch_execnz .LBB8_25
; %bb.26:
	s_or_b32 exec_lo, exec_lo, s3
	v_mov_b32_e32 v7, 0
	ds_load_b128 v[7:10], v7 offset:48
	s_wait_dscnt 0x0
	v_mul_f64_e32 v[11:12], v[1:2], v[9:10]
	v_mul_f64_e32 v[34:35], v[3:4], v[9:10]
	s_delay_alu instid0(VALU_DEP_2) | instskip(NEXT) | instid1(VALU_DEP_2)
	v_fma_f64 v[9:10], v[3:4], v[7:8], -v[11:12]
	v_fma_f64 v[11:12], v[1:2], v[7:8], v[34:35]
	scratch_store_b128 off, v[9:12], off offset:48
.LBB8_27:
	s_wait_alu 0xfffe
	s_or_b32 exec_lo, exec_lo, s2
	s_wait_loadcnt 0x0
	s_wait_storecnt 0x0
	s_barrier_signal -1
	s_barrier_wait -1
	global_inv scope:SCOPE_SE
	scratch_load_b128 v[1:4], off, s10
	s_mov_b32 s2, exec_lo
	s_wait_loadcnt 0x0
	ds_store_b128 v5, v[1:4]
	s_wait_dscnt 0x0
	s_barrier_signal -1
	s_barrier_wait -1
	global_inv scope:SCOPE_SE
	v_cmpx_gt_u32_e32 4, v31
	s_cbranch_execz .LBB8_31
; %bb.28:
	v_dual_mov_b32 v1, 0 :: v_dual_add_nc_u32 v8, 0x90, v32
	v_mov_b32_e32 v3, 0
	v_dual_mov_b32 v2, 0 :: v_dual_add_nc_u32 v7, -1, v31
	v_mov_b32_e32 v4, 0
	v_or_b32_e32 v9, 8, v33
	s_mov_b32 s3, 0
.LBB8_29:                               ; =>This Inner Loop Header: Depth=1
	scratch_load_b128 v[34:37], v9, off offset:-8
	ds_load_b128 v[38:41], v8
	v_add_nc_u32_e32 v7, 1, v7
	v_add_nc_u32_e32 v8, 16, v8
	v_add_nc_u32_e32 v9, 16, v9
	s_delay_alu instid0(VALU_DEP_3)
	v_cmp_lt_u32_e32 vcc_lo, 2, v7
	s_wait_alu 0xfffe
	s_or_b32 s3, vcc_lo, s3
	s_wait_loadcnt_dscnt 0x0
	v_mul_f64_e32 v[10:11], v[40:41], v[36:37]
	v_mul_f64_e32 v[36:37], v[38:39], v[36:37]
	s_delay_alu instid0(VALU_DEP_2) | instskip(NEXT) | instid1(VALU_DEP_2)
	v_fma_f64 v[10:11], v[38:39], v[34:35], -v[10:11]
	v_fma_f64 v[34:35], v[40:41], v[34:35], v[36:37]
	s_delay_alu instid0(VALU_DEP_2) | instskip(NEXT) | instid1(VALU_DEP_2)
	v_add_f64_e32 v[3:4], v[3:4], v[10:11]
	v_add_f64_e32 v[1:2], v[1:2], v[34:35]
	s_wait_alu 0xfffe
	s_and_not1_b32 exec_lo, exec_lo, s3
	s_cbranch_execnz .LBB8_29
; %bb.30:
	s_or_b32 exec_lo, exec_lo, s3
	v_mov_b32_e32 v7, 0
	ds_load_b128 v[7:10], v7 offset:64
	s_wait_dscnt 0x0
	v_mul_f64_e32 v[11:12], v[1:2], v[9:10]
	v_mul_f64_e32 v[34:35], v[3:4], v[9:10]
	s_delay_alu instid0(VALU_DEP_2) | instskip(NEXT) | instid1(VALU_DEP_2)
	v_fma_f64 v[9:10], v[3:4], v[7:8], -v[11:12]
	v_fma_f64 v[11:12], v[1:2], v[7:8], v[34:35]
	scratch_store_b128 off, v[9:12], off offset:64
.LBB8_31:
	s_wait_alu 0xfffe
	s_or_b32 exec_lo, exec_lo, s2
	s_wait_loadcnt 0x0
	s_wait_storecnt 0x0
	s_barrier_signal -1
	s_barrier_wait -1
	global_inv scope:SCOPE_SE
	scratch_load_b128 v[1:4], off, s9
	;; [unrolled: 58-line block ×5, first 2 shown]
	s_mov_b32 s2, exec_lo
	s_wait_loadcnt 0x0
	ds_store_b128 v5, v[1:4]
	s_wait_dscnt 0x0
	s_barrier_signal -1
	s_barrier_wait -1
	global_inv scope:SCOPE_SE
	v_cmpx_ne_u32_e32 8, v31
	s_cbranch_execz .LBB8_47
; %bb.44:
	v_mov_b32_e32 v1, 0
	v_dual_mov_b32 v2, 0 :: v_dual_mov_b32 v3, 0
	v_mov_b32_e32 v4, 0
	v_or_b32_e32 v7, 8, v33
	s_mov_b32 s3, 0
.LBB8_45:                               ; =>This Inner Loop Header: Depth=1
	scratch_load_b128 v[8:11], v7, off offset:-8
	ds_load_b128 v[32:35], v5
	v_add_nc_u32_e32 v6, 1, v6
	v_add_nc_u32_e32 v5, 16, v5
	;; [unrolled: 1-line block ×3, first 2 shown]
	s_delay_alu instid0(VALU_DEP_3)
	v_cmp_lt_u32_e32 vcc_lo, 6, v6
	s_wait_alu 0xfffe
	s_or_b32 s3, vcc_lo, s3
	s_wait_loadcnt_dscnt 0x0
	v_mul_f64_e32 v[36:37], v[34:35], v[10:11]
	v_mul_f64_e32 v[10:11], v[32:33], v[10:11]
	s_delay_alu instid0(VALU_DEP_2) | instskip(NEXT) | instid1(VALU_DEP_2)
	v_fma_f64 v[32:33], v[32:33], v[8:9], -v[36:37]
	v_fma_f64 v[8:9], v[34:35], v[8:9], v[10:11]
	s_delay_alu instid0(VALU_DEP_2) | instskip(NEXT) | instid1(VALU_DEP_2)
	v_add_f64_e32 v[3:4], v[3:4], v[32:33]
	v_add_f64_e32 v[1:2], v[1:2], v[8:9]
	s_wait_alu 0xfffe
	s_and_not1_b32 exec_lo, exec_lo, s3
	s_cbranch_execnz .LBB8_45
; %bb.46:
	s_or_b32 exec_lo, exec_lo, s3
	v_mov_b32_e32 v5, 0
	ds_load_b128 v[5:8], v5 offset:128
	s_wait_dscnt 0x0
	v_mul_f64_e32 v[9:10], v[1:2], v[7:8]
	v_mul_f64_e32 v[7:8], v[3:4], v[7:8]
	s_delay_alu instid0(VALU_DEP_2) | instskip(NEXT) | instid1(VALU_DEP_2)
	v_fma_f64 v[3:4], v[3:4], v[5:6], -v[9:10]
	v_fma_f64 v[5:6], v[1:2], v[5:6], v[7:8]
	scratch_store_b128 off, v[3:6], off offset:128
.LBB8_47:
	s_wait_alu 0xfffe
	s_or_b32 exec_lo, exec_lo, s2
	s_mov_b32 s3, -1
	s_wait_loadcnt 0x0
	s_wait_storecnt 0x0
	s_barrier_signal -1
	s_barrier_wait -1
	global_inv scope:SCOPE_SE
.LBB8_48:
	s_wait_alu 0xfffe
	s_and_b32 vcc_lo, exec_lo, s3
	s_wait_alu 0xfffe
	s_cbranch_vccz .LBB8_50
; %bb.49:
	v_mov_b32_e32 v1, 0
	s_lshl_b64 s[2:3], s[18:19], 2
	s_wait_alu 0xfffe
	s_add_nc_u64 s[2:3], s[6:7], s[2:3]
	global_load_b32 v1, v1, s[2:3]
	s_wait_loadcnt 0x0
	v_cmp_ne_u32_e32 vcc_lo, 0, v1
	s_cbranch_vccz .LBB8_51
.LBB8_50:
	s_endpgm
.LBB8_51:
	v_lshl_add_u32 v5, v31, 4, 0x90
	s_mov_b32 s2, exec_lo
	v_cmpx_eq_u32_e32 8, v31
	s_cbranch_execz .LBB8_53
; %bb.52:
	scratch_load_b128 v[1:4], off, s11
	v_mov_b32_e32 v6, 0
	s_delay_alu instid0(VALU_DEP_1)
	v_dual_mov_b32 v7, v6 :: v_dual_mov_b32 v8, v6
	v_mov_b32_e32 v9, v6
	scratch_store_b128 off, v[6:9], off offset:112
	s_wait_loadcnt 0x0
	ds_store_b128 v5, v[1:4]
.LBB8_53:
	s_wait_alu 0xfffe
	s_or_b32 exec_lo, exec_lo, s2
	s_wait_storecnt_dscnt 0x0
	s_barrier_signal -1
	s_barrier_wait -1
	global_inv scope:SCOPE_SE
	s_clause 0x1
	scratch_load_b128 v[6:9], off, off offset:128
	scratch_load_b128 v[32:35], off, off offset:112
	v_mov_b32_e32 v1, 0
	s_mov_b32 s2, exec_lo
	ds_load_b128 v[36:39], v1 offset:272
	s_wait_loadcnt_dscnt 0x100
	v_mul_f64_e32 v[2:3], v[38:39], v[8:9]
	v_mul_f64_e32 v[8:9], v[36:37], v[8:9]
	s_delay_alu instid0(VALU_DEP_2) | instskip(NEXT) | instid1(VALU_DEP_2)
	v_fma_f64 v[2:3], v[36:37], v[6:7], -v[2:3]
	v_fma_f64 v[6:7], v[38:39], v[6:7], v[8:9]
	s_delay_alu instid0(VALU_DEP_2) | instskip(NEXT) | instid1(VALU_DEP_2)
	v_add_f64_e32 v[2:3], 0, v[2:3]
	v_add_f64_e32 v[8:9], 0, v[6:7]
	s_wait_loadcnt 0x0
	s_delay_alu instid0(VALU_DEP_2) | instskip(NEXT) | instid1(VALU_DEP_2)
	v_add_f64_e64 v[6:7], v[32:33], -v[2:3]
	v_add_f64_e64 v[8:9], v[34:35], -v[8:9]
	scratch_store_b128 off, v[6:9], off offset:112
	v_cmpx_lt_u32_e32 6, v31
	s_cbranch_execz .LBB8_55
; %bb.54:
	scratch_load_b128 v[6:9], off, s12
	v_dual_mov_b32 v2, v1 :: v_dual_mov_b32 v3, v1
	v_mov_b32_e32 v4, v1
	scratch_store_b128 off, v[1:4], off offset:96
	s_wait_loadcnt 0x0
	ds_store_b128 v5, v[6:9]
.LBB8_55:
	s_wait_alu 0xfffe
	s_or_b32 exec_lo, exec_lo, s2
	s_wait_storecnt_dscnt 0x0
	s_barrier_signal -1
	s_barrier_wait -1
	global_inv scope:SCOPE_SE
	s_clause 0x2
	scratch_load_b128 v[6:9], off, off offset:112
	scratch_load_b128 v[32:35], off, off offset:128
	;; [unrolled: 1-line block ×3, first 2 shown]
	ds_load_b128 v[40:43], v1 offset:256
	ds_load_b128 v[1:4], v1 offset:272
	s_mov_b32 s2, exec_lo
	s_wait_loadcnt_dscnt 0x201
	v_mul_f64_e32 v[10:11], v[42:43], v[8:9]
	v_mul_f64_e32 v[8:9], v[40:41], v[8:9]
	s_wait_loadcnt_dscnt 0x100
	v_mul_f64_e32 v[44:45], v[1:2], v[34:35]
	v_mul_f64_e32 v[34:35], v[3:4], v[34:35]
	s_delay_alu instid0(VALU_DEP_4) | instskip(NEXT) | instid1(VALU_DEP_4)
	v_fma_f64 v[10:11], v[40:41], v[6:7], -v[10:11]
	v_fma_f64 v[6:7], v[42:43], v[6:7], v[8:9]
	s_delay_alu instid0(VALU_DEP_4) | instskip(NEXT) | instid1(VALU_DEP_4)
	v_fma_f64 v[3:4], v[3:4], v[32:33], v[44:45]
	v_fma_f64 v[1:2], v[1:2], v[32:33], -v[34:35]
	s_delay_alu instid0(VALU_DEP_4) | instskip(NEXT) | instid1(VALU_DEP_4)
	v_add_f64_e32 v[8:9], 0, v[10:11]
	v_add_f64_e32 v[6:7], 0, v[6:7]
	s_delay_alu instid0(VALU_DEP_2) | instskip(NEXT) | instid1(VALU_DEP_2)
	v_add_f64_e32 v[1:2], v[8:9], v[1:2]
	v_add_f64_e32 v[3:4], v[6:7], v[3:4]
	s_wait_loadcnt 0x0
	s_delay_alu instid0(VALU_DEP_2) | instskip(NEXT) | instid1(VALU_DEP_2)
	v_add_f64_e64 v[1:2], v[36:37], -v[1:2]
	v_add_f64_e64 v[3:4], v[38:39], -v[3:4]
	scratch_store_b128 off, v[1:4], off offset:96
	v_cmpx_lt_u32_e32 5, v31
	s_cbranch_execz .LBB8_57
; %bb.56:
	scratch_load_b128 v[1:4], off, s9
	v_mov_b32_e32 v6, 0
	s_delay_alu instid0(VALU_DEP_1)
	v_dual_mov_b32 v7, v6 :: v_dual_mov_b32 v8, v6
	v_mov_b32_e32 v9, v6
	scratch_store_b128 off, v[6:9], off offset:80
	s_wait_loadcnt 0x0
	ds_store_b128 v5, v[1:4]
.LBB8_57:
	s_wait_alu 0xfffe
	s_or_b32 exec_lo, exec_lo, s2
	s_wait_storecnt_dscnt 0x0
	s_barrier_signal -1
	s_barrier_wait -1
	global_inv scope:SCOPE_SE
	s_clause 0x3
	scratch_load_b128 v[6:9], off, off offset:96
	scratch_load_b128 v[32:35], off, off offset:112
	;; [unrolled: 1-line block ×4, first 2 shown]
	v_mov_b32_e32 v1, 0
	ds_load_b128 v[44:47], v1 offset:240
	ds_load_b128 v[48:51], v1 offset:256
	s_mov_b32 s2, exec_lo
	s_wait_loadcnt_dscnt 0x301
	v_mul_f64_e32 v[2:3], v[46:47], v[8:9]
	v_mul_f64_e32 v[8:9], v[44:45], v[8:9]
	s_wait_loadcnt_dscnt 0x200
	v_mul_f64_e32 v[10:11], v[48:49], v[34:35]
	v_mul_f64_e32 v[34:35], v[50:51], v[34:35]
	s_delay_alu instid0(VALU_DEP_4) | instskip(NEXT) | instid1(VALU_DEP_4)
	v_fma_f64 v[2:3], v[44:45], v[6:7], -v[2:3]
	v_fma_f64 v[44:45], v[46:47], v[6:7], v[8:9]
	ds_load_b128 v[6:9], v1 offset:272
	v_fma_f64 v[10:11], v[50:51], v[32:33], v[10:11]
	v_fma_f64 v[32:33], v[48:49], v[32:33], -v[34:35]
	s_wait_loadcnt_dscnt 0x100
	v_mul_f64_e32 v[46:47], v[6:7], v[38:39]
	v_mul_f64_e32 v[38:39], v[8:9], v[38:39]
	v_add_f64_e32 v[2:3], 0, v[2:3]
	v_add_f64_e32 v[34:35], 0, v[44:45]
	s_delay_alu instid0(VALU_DEP_4) | instskip(NEXT) | instid1(VALU_DEP_4)
	v_fma_f64 v[8:9], v[8:9], v[36:37], v[46:47]
	v_fma_f64 v[6:7], v[6:7], v[36:37], -v[38:39]
	s_delay_alu instid0(VALU_DEP_4) | instskip(NEXT) | instid1(VALU_DEP_4)
	v_add_f64_e32 v[2:3], v[2:3], v[32:33]
	v_add_f64_e32 v[10:11], v[34:35], v[10:11]
	s_delay_alu instid0(VALU_DEP_2) | instskip(NEXT) | instid1(VALU_DEP_2)
	v_add_f64_e32 v[2:3], v[2:3], v[6:7]
	v_add_f64_e32 v[8:9], v[10:11], v[8:9]
	s_wait_loadcnt 0x0
	s_delay_alu instid0(VALU_DEP_2) | instskip(NEXT) | instid1(VALU_DEP_2)
	v_add_f64_e64 v[6:7], v[40:41], -v[2:3]
	v_add_f64_e64 v[8:9], v[42:43], -v[8:9]
	scratch_store_b128 off, v[6:9], off offset:80
	v_cmpx_lt_u32_e32 4, v31
	s_cbranch_execz .LBB8_59
; %bb.58:
	scratch_load_b128 v[6:9], off, s10
	v_dual_mov_b32 v2, v1 :: v_dual_mov_b32 v3, v1
	v_mov_b32_e32 v4, v1
	scratch_store_b128 off, v[1:4], off offset:64
	s_wait_loadcnt 0x0
	ds_store_b128 v5, v[6:9]
.LBB8_59:
	s_wait_alu 0xfffe
	s_or_b32 exec_lo, exec_lo, s2
	s_wait_storecnt_dscnt 0x0
	s_barrier_signal -1
	s_barrier_wait -1
	global_inv scope:SCOPE_SE
	s_clause 0x4
	scratch_load_b128 v[6:9], off, off offset:80
	scratch_load_b128 v[32:35], off, off offset:96
	;; [unrolled: 1-line block ×5, first 2 shown]
	ds_load_b128 v[48:51], v1 offset:224
	ds_load_b128 v[52:55], v1 offset:240
	s_mov_b32 s2, exec_lo
	s_wait_loadcnt_dscnt 0x401
	v_mul_f64_e32 v[2:3], v[50:51], v[8:9]
	v_mul_f64_e32 v[8:9], v[48:49], v[8:9]
	s_wait_loadcnt_dscnt 0x300
	v_mul_f64_e32 v[10:11], v[52:53], v[34:35]
	v_mul_f64_e32 v[34:35], v[54:55], v[34:35]
	s_delay_alu instid0(VALU_DEP_4) | instskip(NEXT) | instid1(VALU_DEP_4)
	v_fma_f64 v[48:49], v[48:49], v[6:7], -v[2:3]
	v_fma_f64 v[50:51], v[50:51], v[6:7], v[8:9]
	ds_load_b128 v[6:9], v1 offset:256
	ds_load_b128 v[1:4], v1 offset:272
	v_fma_f64 v[10:11], v[54:55], v[32:33], v[10:11]
	v_fma_f64 v[32:33], v[52:53], v[32:33], -v[34:35]
	s_wait_loadcnt_dscnt 0x201
	v_mul_f64_e32 v[56:57], v[6:7], v[38:39]
	v_mul_f64_e32 v[38:39], v[8:9], v[38:39]
	v_add_f64_e32 v[34:35], 0, v[48:49]
	v_add_f64_e32 v[48:49], 0, v[50:51]
	s_wait_loadcnt_dscnt 0x100
	v_mul_f64_e32 v[50:51], v[1:2], v[42:43]
	v_mul_f64_e32 v[42:43], v[3:4], v[42:43]
	v_fma_f64 v[8:9], v[8:9], v[36:37], v[56:57]
	v_fma_f64 v[6:7], v[6:7], v[36:37], -v[38:39]
	v_add_f64_e32 v[32:33], v[34:35], v[32:33]
	v_add_f64_e32 v[10:11], v[48:49], v[10:11]
	v_fma_f64 v[3:4], v[3:4], v[40:41], v[50:51]
	v_fma_f64 v[1:2], v[1:2], v[40:41], -v[42:43]
	s_delay_alu instid0(VALU_DEP_4) | instskip(NEXT) | instid1(VALU_DEP_4)
	v_add_f64_e32 v[6:7], v[32:33], v[6:7]
	v_add_f64_e32 v[8:9], v[10:11], v[8:9]
	s_delay_alu instid0(VALU_DEP_2) | instskip(NEXT) | instid1(VALU_DEP_2)
	v_add_f64_e32 v[1:2], v[6:7], v[1:2]
	v_add_f64_e32 v[3:4], v[8:9], v[3:4]
	s_wait_loadcnt 0x0
	s_delay_alu instid0(VALU_DEP_2) | instskip(NEXT) | instid1(VALU_DEP_2)
	v_add_f64_e64 v[1:2], v[44:45], -v[1:2]
	v_add_f64_e64 v[3:4], v[46:47], -v[3:4]
	scratch_store_b128 off, v[1:4], off offset:64
	v_cmpx_lt_u32_e32 3, v31
	s_cbranch_execz .LBB8_61
; %bb.60:
	scratch_load_b128 v[1:4], off, s5
	v_mov_b32_e32 v6, 0
	s_delay_alu instid0(VALU_DEP_1)
	v_dual_mov_b32 v7, v6 :: v_dual_mov_b32 v8, v6
	v_mov_b32_e32 v9, v6
	scratch_store_b128 off, v[6:9], off offset:48
	s_wait_loadcnt 0x0
	ds_store_b128 v5, v[1:4]
.LBB8_61:
	s_wait_alu 0xfffe
	s_or_b32 exec_lo, exec_lo, s2
	s_wait_storecnt_dscnt 0x0
	s_barrier_signal -1
	s_barrier_wait -1
	global_inv scope:SCOPE_SE
	s_clause 0x5
	scratch_load_b128 v[6:9], off, off offset:64
	scratch_load_b128 v[32:35], off, off offset:80
	;; [unrolled: 1-line block ×6, first 2 shown]
	v_mov_b32_e32 v1, 0
	ds_load_b128 v[52:55], v1 offset:208
	ds_load_b128 v[56:59], v1 offset:224
	s_mov_b32 s2, exec_lo
	s_wait_loadcnt_dscnt 0x501
	v_mul_f64_e32 v[2:3], v[54:55], v[8:9]
	v_mul_f64_e32 v[8:9], v[52:53], v[8:9]
	s_wait_loadcnt_dscnt 0x400
	v_mul_f64_e32 v[10:11], v[56:57], v[34:35]
	v_mul_f64_e32 v[34:35], v[58:59], v[34:35]
	s_delay_alu instid0(VALU_DEP_4) | instskip(NEXT) | instid1(VALU_DEP_4)
	v_fma_f64 v[2:3], v[52:53], v[6:7], -v[2:3]
	v_fma_f64 v[60:61], v[54:55], v[6:7], v[8:9]
	ds_load_b128 v[6:9], v1 offset:240
	ds_load_b128 v[52:55], v1 offset:256
	v_fma_f64 v[10:11], v[58:59], v[32:33], v[10:11]
	v_fma_f64 v[32:33], v[56:57], v[32:33], -v[34:35]
	s_wait_loadcnt_dscnt 0x301
	v_mul_f64_e32 v[62:63], v[6:7], v[38:39]
	v_mul_f64_e32 v[38:39], v[8:9], v[38:39]
	s_wait_loadcnt_dscnt 0x200
	v_mul_f64_e32 v[56:57], v[52:53], v[42:43]
	v_mul_f64_e32 v[42:43], v[54:55], v[42:43]
	v_add_f64_e32 v[2:3], 0, v[2:3]
	v_add_f64_e32 v[34:35], 0, v[60:61]
	v_fma_f64 v[58:59], v[8:9], v[36:37], v[62:63]
	v_fma_f64 v[36:37], v[6:7], v[36:37], -v[38:39]
	ds_load_b128 v[6:9], v1 offset:272
	v_fma_f64 v[38:39], v[54:55], v[40:41], v[56:57]
	v_fma_f64 v[40:41], v[52:53], v[40:41], -v[42:43]
	v_add_f64_e32 v[2:3], v[2:3], v[32:33]
	v_add_f64_e32 v[10:11], v[34:35], v[10:11]
	s_wait_loadcnt_dscnt 0x100
	v_mul_f64_e32 v[32:33], v[6:7], v[46:47]
	v_mul_f64_e32 v[34:35], v[8:9], v[46:47]
	s_delay_alu instid0(VALU_DEP_4) | instskip(NEXT) | instid1(VALU_DEP_4)
	v_add_f64_e32 v[2:3], v[2:3], v[36:37]
	v_add_f64_e32 v[10:11], v[10:11], v[58:59]
	s_delay_alu instid0(VALU_DEP_4) | instskip(NEXT) | instid1(VALU_DEP_4)
	v_fma_f64 v[8:9], v[8:9], v[44:45], v[32:33]
	v_fma_f64 v[6:7], v[6:7], v[44:45], -v[34:35]
	s_delay_alu instid0(VALU_DEP_4) | instskip(NEXT) | instid1(VALU_DEP_4)
	v_add_f64_e32 v[2:3], v[2:3], v[40:41]
	v_add_f64_e32 v[10:11], v[10:11], v[38:39]
	s_delay_alu instid0(VALU_DEP_2) | instskip(NEXT) | instid1(VALU_DEP_2)
	v_add_f64_e32 v[2:3], v[2:3], v[6:7]
	v_add_f64_e32 v[8:9], v[10:11], v[8:9]
	s_wait_loadcnt 0x0
	s_delay_alu instid0(VALU_DEP_2) | instskip(NEXT) | instid1(VALU_DEP_2)
	v_add_f64_e64 v[6:7], v[48:49], -v[2:3]
	v_add_f64_e64 v[8:9], v[50:51], -v[8:9]
	scratch_store_b128 off, v[6:9], off offset:48
	v_cmpx_lt_u32_e32 2, v31
	s_cbranch_execz .LBB8_63
; %bb.62:
	scratch_load_b128 v[6:9], off, s8
	v_dual_mov_b32 v2, v1 :: v_dual_mov_b32 v3, v1
	v_mov_b32_e32 v4, v1
	scratch_store_b128 off, v[1:4], off offset:32
	s_wait_loadcnt 0x0
	ds_store_b128 v5, v[6:9]
.LBB8_63:
	s_wait_alu 0xfffe
	s_or_b32 exec_lo, exec_lo, s2
	s_wait_storecnt_dscnt 0x0
	s_barrier_signal -1
	s_barrier_wait -1
	global_inv scope:SCOPE_SE
	s_clause 0x5
	scratch_load_b128 v[6:9], off, off offset:48
	scratch_load_b128 v[32:35], off, off offset:64
	;; [unrolled: 1-line block ×6, first 2 shown]
	ds_load_b128 v[52:55], v1 offset:192
	ds_load_b128 v[60:63], v1 offset:208
	scratch_load_b128 v[56:59], off, off offset:32
	s_mov_b32 s2, exec_lo
	s_wait_loadcnt_dscnt 0x601
	v_mul_f64_e32 v[2:3], v[54:55], v[8:9]
	v_mul_f64_e32 v[8:9], v[52:53], v[8:9]
	s_wait_loadcnt_dscnt 0x500
	v_mul_f64_e32 v[10:11], v[60:61], v[34:35]
	v_mul_f64_e32 v[34:35], v[62:63], v[34:35]
	s_delay_alu instid0(VALU_DEP_4) | instskip(NEXT) | instid1(VALU_DEP_4)
	v_fma_f64 v[2:3], v[52:53], v[6:7], -v[2:3]
	v_fma_f64 v[64:65], v[54:55], v[6:7], v[8:9]
	ds_load_b128 v[6:9], v1 offset:224
	ds_load_b128 v[52:55], v1 offset:240
	v_fma_f64 v[10:11], v[62:63], v[32:33], v[10:11]
	v_fma_f64 v[32:33], v[60:61], v[32:33], -v[34:35]
	s_wait_loadcnt_dscnt 0x401
	v_mul_f64_e32 v[66:67], v[6:7], v[38:39]
	v_mul_f64_e32 v[38:39], v[8:9], v[38:39]
	s_wait_loadcnt_dscnt 0x300
	v_mul_f64_e32 v[60:61], v[52:53], v[42:43]
	v_mul_f64_e32 v[42:43], v[54:55], v[42:43]
	v_add_f64_e32 v[2:3], 0, v[2:3]
	v_add_f64_e32 v[34:35], 0, v[64:65]
	v_fma_f64 v[62:63], v[8:9], v[36:37], v[66:67]
	v_fma_f64 v[36:37], v[6:7], v[36:37], -v[38:39]
	s_delay_alu instid0(VALU_DEP_4) | instskip(NEXT) | instid1(VALU_DEP_4)
	v_add_f64_e32 v[32:33], v[2:3], v[32:33]
	v_add_f64_e32 v[10:11], v[34:35], v[10:11]
	ds_load_b128 v[6:9], v1 offset:256
	ds_load_b128 v[1:4], v1 offset:272
	s_wait_loadcnt_dscnt 0x201
	v_mul_f64_e32 v[34:35], v[6:7], v[46:47]
	v_mul_f64_e32 v[38:39], v[8:9], v[46:47]
	v_fma_f64 v[46:47], v[54:55], v[40:41], v[60:61]
	v_fma_f64 v[40:41], v[52:53], v[40:41], -v[42:43]
	s_wait_loadcnt_dscnt 0x100
	v_mul_f64_e32 v[42:43], v[3:4], v[50:51]
	v_add_f64_e32 v[32:33], v[32:33], v[36:37]
	v_add_f64_e32 v[10:11], v[10:11], v[62:63]
	v_mul_f64_e32 v[36:37], v[1:2], v[50:51]
	v_fma_f64 v[8:9], v[8:9], v[44:45], v[34:35]
	v_fma_f64 v[6:7], v[6:7], v[44:45], -v[38:39]
	v_fma_f64 v[1:2], v[1:2], v[48:49], -v[42:43]
	v_add_f64_e32 v[32:33], v[32:33], v[40:41]
	v_add_f64_e32 v[10:11], v[10:11], v[46:47]
	v_fma_f64 v[3:4], v[3:4], v[48:49], v[36:37]
	s_delay_alu instid0(VALU_DEP_3) | instskip(NEXT) | instid1(VALU_DEP_3)
	v_add_f64_e32 v[6:7], v[32:33], v[6:7]
	v_add_f64_e32 v[8:9], v[10:11], v[8:9]
	s_delay_alu instid0(VALU_DEP_2) | instskip(NEXT) | instid1(VALU_DEP_2)
	v_add_f64_e32 v[1:2], v[6:7], v[1:2]
	v_add_f64_e32 v[3:4], v[8:9], v[3:4]
	s_wait_loadcnt 0x0
	s_delay_alu instid0(VALU_DEP_2) | instskip(NEXT) | instid1(VALU_DEP_2)
	v_add_f64_e64 v[1:2], v[56:57], -v[1:2]
	v_add_f64_e64 v[3:4], v[58:59], -v[3:4]
	scratch_store_b128 off, v[1:4], off offset:32
	v_cmpx_lt_u32_e32 1, v31
	s_cbranch_execz .LBB8_65
; %bb.64:
	scratch_load_b128 v[1:4], off, s4
	v_mov_b32_e32 v6, 0
	s_delay_alu instid0(VALU_DEP_1)
	v_dual_mov_b32 v7, v6 :: v_dual_mov_b32 v8, v6
	v_mov_b32_e32 v9, v6
	scratch_store_b128 off, v[6:9], off offset:16
	s_wait_loadcnt 0x0
	ds_store_b128 v5, v[1:4]
.LBB8_65:
	s_wait_alu 0xfffe
	s_or_b32 exec_lo, exec_lo, s2
	s_wait_storecnt_dscnt 0x0
	s_barrier_signal -1
	s_barrier_wait -1
	global_inv scope:SCOPE_SE
	s_clause 0x6
	scratch_load_b128 v[6:9], off, off offset:32
	scratch_load_b128 v[32:35], off, off offset:48
	;; [unrolled: 1-line block ×7, first 2 shown]
	v_mov_b32_e32 v1, 0
	scratch_load_b128 v[60:63], off, off offset:16
	s_mov_b32 s2, exec_lo
	ds_load_b128 v[56:59], v1 offset:176
	ds_load_b128 v[64:67], v1 offset:192
	s_wait_loadcnt_dscnt 0x701
	v_mul_f64_e32 v[2:3], v[58:59], v[8:9]
	v_mul_f64_e32 v[8:9], v[56:57], v[8:9]
	s_wait_loadcnt_dscnt 0x600
	v_mul_f64_e32 v[10:11], v[64:65], v[34:35]
	v_mul_f64_e32 v[34:35], v[66:67], v[34:35]
	s_delay_alu instid0(VALU_DEP_4) | instskip(NEXT) | instid1(VALU_DEP_4)
	v_fma_f64 v[2:3], v[56:57], v[6:7], -v[2:3]
	v_fma_f64 v[68:69], v[58:59], v[6:7], v[8:9]
	ds_load_b128 v[6:9], v1 offset:208
	ds_load_b128 v[56:59], v1 offset:224
	v_fma_f64 v[10:11], v[66:67], v[32:33], v[10:11]
	v_fma_f64 v[32:33], v[64:65], v[32:33], -v[34:35]
	s_wait_loadcnt_dscnt 0x501
	v_mul_f64_e32 v[70:71], v[6:7], v[38:39]
	v_mul_f64_e32 v[38:39], v[8:9], v[38:39]
	s_wait_loadcnt_dscnt 0x400
	v_mul_f64_e32 v[64:65], v[56:57], v[42:43]
	v_mul_f64_e32 v[42:43], v[58:59], v[42:43]
	v_add_f64_e32 v[2:3], 0, v[2:3]
	v_add_f64_e32 v[34:35], 0, v[68:69]
	v_fma_f64 v[66:67], v[8:9], v[36:37], v[70:71]
	v_fma_f64 v[36:37], v[6:7], v[36:37], -v[38:39]
	v_fma_f64 v[58:59], v[58:59], v[40:41], v[64:65]
	v_fma_f64 v[40:41], v[56:57], v[40:41], -v[42:43]
	v_add_f64_e32 v[2:3], v[2:3], v[32:33]
	v_add_f64_e32 v[10:11], v[34:35], v[10:11]
	ds_load_b128 v[6:9], v1 offset:240
	ds_load_b128 v[32:35], v1 offset:256
	s_wait_loadcnt_dscnt 0x301
	v_mul_f64_e32 v[38:39], v[6:7], v[46:47]
	v_mul_f64_e32 v[46:47], v[8:9], v[46:47]
	s_wait_loadcnt_dscnt 0x200
	v_mul_f64_e32 v[42:43], v[34:35], v[50:51]
	v_add_f64_e32 v[2:3], v[2:3], v[36:37]
	v_add_f64_e32 v[10:11], v[10:11], v[66:67]
	v_mul_f64_e32 v[36:37], v[32:33], v[50:51]
	v_fma_f64 v[38:39], v[8:9], v[44:45], v[38:39]
	v_fma_f64 v[44:45], v[6:7], v[44:45], -v[46:47]
	ds_load_b128 v[6:9], v1 offset:272
	v_fma_f64 v[32:33], v[32:33], v[48:49], -v[42:43]
	v_add_f64_e32 v[2:3], v[2:3], v[40:41]
	v_add_f64_e32 v[10:11], v[10:11], v[58:59]
	v_fma_f64 v[34:35], v[34:35], v[48:49], v[36:37]
	s_wait_loadcnt_dscnt 0x100
	v_mul_f64_e32 v[40:41], v[6:7], v[54:55]
	v_mul_f64_e32 v[46:47], v[8:9], v[54:55]
	v_add_f64_e32 v[2:3], v[2:3], v[44:45]
	v_add_f64_e32 v[10:11], v[10:11], v[38:39]
	s_delay_alu instid0(VALU_DEP_4) | instskip(NEXT) | instid1(VALU_DEP_4)
	v_fma_f64 v[8:9], v[8:9], v[52:53], v[40:41]
	v_fma_f64 v[6:7], v[6:7], v[52:53], -v[46:47]
	s_delay_alu instid0(VALU_DEP_4) | instskip(NEXT) | instid1(VALU_DEP_4)
	v_add_f64_e32 v[2:3], v[2:3], v[32:33]
	v_add_f64_e32 v[10:11], v[10:11], v[34:35]
	s_delay_alu instid0(VALU_DEP_2) | instskip(NEXT) | instid1(VALU_DEP_2)
	v_add_f64_e32 v[2:3], v[2:3], v[6:7]
	v_add_f64_e32 v[8:9], v[10:11], v[8:9]
	s_wait_loadcnt 0x0
	s_delay_alu instid0(VALU_DEP_2) | instskip(NEXT) | instid1(VALU_DEP_2)
	v_add_f64_e64 v[6:7], v[60:61], -v[2:3]
	v_add_f64_e64 v[8:9], v[62:63], -v[8:9]
	scratch_store_b128 off, v[6:9], off offset:16
	v_cmpx_ne_u32_e32 0, v31
	s_cbranch_execz .LBB8_67
; %bb.66:
	scratch_load_b128 v[6:9], off, off
	v_dual_mov_b32 v2, v1 :: v_dual_mov_b32 v3, v1
	v_mov_b32_e32 v4, v1
	scratch_store_b128 off, v[1:4], off
	s_wait_loadcnt 0x0
	ds_store_b128 v5, v[6:9]
.LBB8_67:
	s_wait_alu 0xfffe
	s_or_b32 exec_lo, exec_lo, s2
	s_wait_storecnt_dscnt 0x0
	s_barrier_signal -1
	s_barrier_wait -1
	global_inv scope:SCOPE_SE
	s_clause 0x7
	scratch_load_b128 v[2:5], off, off offset:16
	scratch_load_b128 v[6:9], off, off offset:32
	;; [unrolled: 1-line block ×8, first 2 shown]
	ds_load_b128 v[56:59], v1 offset:160
	ds_load_b128 v[60:63], v1 offset:176
	scratch_load_b128 v[64:67], off, off
	s_and_b32 vcc_lo, exec_lo, s20
	s_wait_loadcnt_dscnt 0x801
	v_mul_f64_e32 v[10:11], v[58:59], v[4:5]
	v_mul_f64_e32 v[4:5], v[56:57], v[4:5]
	s_wait_loadcnt_dscnt 0x700
	v_mul_f64_e32 v[68:69], v[60:61], v[8:9]
	v_mul_f64_e32 v[70:71], v[62:63], v[8:9]
	s_delay_alu instid0(VALU_DEP_4) | instskip(NEXT) | instid1(VALU_DEP_4)
	v_fma_f64 v[56:57], v[56:57], v[2:3], -v[10:11]
	v_fma_f64 v[58:59], v[58:59], v[2:3], v[4:5]
	ds_load_b128 v[2:5], v1 offset:192
	ds_load_b128 v[8:11], v1 offset:208
	v_fma_f64 v[62:63], v[62:63], v[6:7], v[68:69]
	v_fma_f64 v[6:7], v[60:61], v[6:7], -v[70:71]
	s_wait_loadcnt_dscnt 0x601
	v_mul_f64_e32 v[72:73], v[2:3], v[34:35]
	v_mul_f64_e32 v[34:35], v[4:5], v[34:35]
	s_wait_loadcnt_dscnt 0x500
	v_mul_f64_e32 v[60:61], v[8:9], v[38:39]
	v_mul_f64_e32 v[38:39], v[10:11], v[38:39]
	v_add_f64_e32 v[56:57], 0, v[56:57]
	v_add_f64_e32 v[58:59], 0, v[58:59]
	v_fma_f64 v[68:69], v[4:5], v[32:33], v[72:73]
	v_fma_f64 v[70:71], v[2:3], v[32:33], -v[34:35]
	ds_load_b128 v[2:5], v1 offset:224
	ds_load_b128 v[32:35], v1 offset:240
	v_fma_f64 v[10:11], v[10:11], v[36:37], v[60:61]
	v_fma_f64 v[8:9], v[8:9], v[36:37], -v[38:39]
	v_add_f64_e32 v[6:7], v[56:57], v[6:7]
	v_add_f64_e32 v[56:57], v[58:59], v[62:63]
	s_wait_loadcnt_dscnt 0x401
	v_mul_f64_e32 v[58:59], v[2:3], v[42:43]
	v_mul_f64_e32 v[42:43], v[4:5], v[42:43]
	s_wait_loadcnt_dscnt 0x300
	v_mul_f64_e32 v[38:39], v[32:33], v[46:47]
	v_mul_f64_e32 v[46:47], v[34:35], v[46:47]
	v_add_f64_e32 v[6:7], v[6:7], v[70:71]
	v_add_f64_e32 v[36:37], v[56:57], v[68:69]
	v_fma_f64 v[56:57], v[4:5], v[40:41], v[58:59]
	v_fma_f64 v[40:41], v[2:3], v[40:41], -v[42:43]
	v_fma_f64 v[34:35], v[34:35], v[44:45], v[38:39]
	v_fma_f64 v[32:33], v[32:33], v[44:45], -v[46:47]
	v_add_f64_e32 v[42:43], v[6:7], v[8:9]
	v_add_f64_e32 v[10:11], v[36:37], v[10:11]
	ds_load_b128 v[2:5], v1 offset:256
	ds_load_b128 v[6:9], v1 offset:272
	s_wait_loadcnt_dscnt 0x201
	v_mul_f64_e32 v[36:37], v[2:3], v[50:51]
	v_mul_f64_e32 v[50:51], v[4:5], v[50:51]
	v_add_f64_e32 v[38:39], v[42:43], v[40:41]
	v_add_f64_e32 v[10:11], v[10:11], v[56:57]
	s_wait_loadcnt_dscnt 0x100
	v_mul_f64_e32 v[40:41], v[6:7], v[54:55]
	v_mul_f64_e32 v[42:43], v[8:9], v[54:55]
	v_fma_f64 v[4:5], v[4:5], v[48:49], v[36:37]
	v_fma_f64 v[1:2], v[2:3], v[48:49], -v[50:51]
	v_add_f64_e32 v[32:33], v[38:39], v[32:33]
	v_add_f64_e32 v[10:11], v[10:11], v[34:35]
	v_fma_f64 v[8:9], v[8:9], v[52:53], v[40:41]
	v_fma_f64 v[6:7], v[6:7], v[52:53], -v[42:43]
	s_delay_alu instid0(VALU_DEP_4) | instskip(NEXT) | instid1(VALU_DEP_4)
	v_add_f64_e32 v[1:2], v[32:33], v[1:2]
	v_add_f64_e32 v[3:4], v[10:11], v[4:5]
	s_delay_alu instid0(VALU_DEP_2) | instskip(NEXT) | instid1(VALU_DEP_2)
	v_add_f64_e32 v[1:2], v[1:2], v[6:7]
	v_add_f64_e32 v[3:4], v[3:4], v[8:9]
	s_wait_loadcnt 0x0
	s_delay_alu instid0(VALU_DEP_2) | instskip(NEXT) | instid1(VALU_DEP_2)
	v_add_f64_e64 v[1:2], v[64:65], -v[1:2]
	v_add_f64_e64 v[3:4], v[66:67], -v[3:4]
	scratch_store_b128 off, v[1:4], off
	s_wait_alu 0xfffe
	s_cbranch_vccz .LBB8_84
; %bb.68:
	v_mov_b32_e32 v1, 0
	s_load_b64 s[0:1], s[0:1], 0x4
	v_bfe_u32 v3, v0, 10, 10
	v_bfe_u32 v0, v0, 20, 10
	global_load_b32 v2, v1, s[16:17] offset:28
	s_wait_kmcnt 0x0
	s_lshr_b32 s0, s0, 16
	v_mul_u32_u24_e32 v3, s1, v3
	s_mul_i32 s0, s0, s1
	s_wait_alu 0xfffe
	v_mul_u32_u24_e32 v4, s0, v31
	s_delay_alu instid0(VALU_DEP_1) | instskip(NEXT) | instid1(VALU_DEP_1)
	v_add3_u32 v0, v4, v3, v0
	v_lshl_add_u32 v0, v0, 4, 0x128
	s_wait_loadcnt 0x0
	v_cmp_ne_u32_e32 vcc_lo, 8, v2
	s_cbranch_vccz .LBB8_70
; %bb.69:
	v_lshlrev_b32_e32 v2, 4, v2
	s_delay_alu instid0(VALU_DEP_1)
	v_mov_b32_e32 v10, v2
	s_clause 0x1
	scratch_load_b128 v[2:5], off, s11
	scratch_load_b128 v[6:9], v10, off offset:-16
	s_wait_loadcnt 0x1
	ds_store_2addr_b64 v0, v[2:3], v[4:5] offset1:1
	s_wait_loadcnt 0x0
	s_clause 0x1
	scratch_store_b128 off, v[6:9], s11
	scratch_store_b128 v10, v[2:5], off offset:-16
.LBB8_70:
	global_load_b32 v1, v1, s[16:17] offset:24
	s_wait_loadcnt 0x0
	v_cmp_eq_u32_e32 vcc_lo, 7, v1
	s_cbranch_vccnz .LBB8_72
; %bb.71:
	v_lshlrev_b32_e32 v1, 4, v1
	s_delay_alu instid0(VALU_DEP_1)
	v_mov_b32_e32 v9, v1
	s_clause 0x1
	scratch_load_b128 v[1:4], off, s12
	scratch_load_b128 v[5:8], v9, off offset:-16
	s_wait_loadcnt 0x1
	ds_store_2addr_b64 v0, v[1:2], v[3:4] offset1:1
	s_wait_loadcnt 0x0
	s_clause 0x1
	scratch_store_b128 off, v[5:8], s12
	scratch_store_b128 v9, v[1:4], off offset:-16
.LBB8_72:
	v_mov_b32_e32 v1, 0
	global_load_b32 v2, v1, s[16:17] offset:20
	s_wait_loadcnt 0x0
	v_cmp_eq_u32_e32 vcc_lo, 6, v2
	s_cbranch_vccnz .LBB8_74
; %bb.73:
	v_lshlrev_b32_e32 v2, 4, v2
	s_delay_alu instid0(VALU_DEP_1)
	v_mov_b32_e32 v10, v2
	s_clause 0x1
	scratch_load_b128 v[2:5], off, s9
	scratch_load_b128 v[6:9], v10, off offset:-16
	s_wait_loadcnt 0x1
	ds_store_2addr_b64 v0, v[2:3], v[4:5] offset1:1
	s_wait_loadcnt 0x0
	s_clause 0x1
	scratch_store_b128 off, v[6:9], s9
	scratch_store_b128 v10, v[2:5], off offset:-16
.LBB8_74:
	global_load_b32 v1, v1, s[16:17] offset:16
	s_wait_loadcnt 0x0
	v_cmp_eq_u32_e32 vcc_lo, 5, v1
	s_cbranch_vccnz .LBB8_76
; %bb.75:
	v_lshlrev_b32_e32 v1, 4, v1
	s_delay_alu instid0(VALU_DEP_1)
	v_mov_b32_e32 v9, v1
	s_clause 0x1
	scratch_load_b128 v[1:4], off, s10
	scratch_load_b128 v[5:8], v9, off offset:-16
	s_wait_loadcnt 0x1
	ds_store_2addr_b64 v0, v[1:2], v[3:4] offset1:1
	s_wait_loadcnt 0x0
	s_clause 0x1
	scratch_store_b128 off, v[5:8], s10
	scratch_store_b128 v9, v[1:4], off offset:-16
.LBB8_76:
	v_mov_b32_e32 v1, 0
	global_load_b32 v2, v1, s[16:17] offset:12
	s_wait_loadcnt 0x0
	v_cmp_eq_u32_e32 vcc_lo, 4, v2
	s_cbranch_vccnz .LBB8_78
; %bb.77:
	v_lshlrev_b32_e32 v2, 4, v2
	s_delay_alu instid0(VALU_DEP_1)
	v_mov_b32_e32 v10, v2
	s_clause 0x1
	scratch_load_b128 v[2:5], off, s5
	scratch_load_b128 v[6:9], v10, off offset:-16
	s_wait_loadcnt 0x1
	ds_store_2addr_b64 v0, v[2:3], v[4:5] offset1:1
	s_wait_loadcnt 0x0
	s_clause 0x1
	scratch_store_b128 off, v[6:9], s5
	scratch_store_b128 v10, v[2:5], off offset:-16
.LBB8_78:
	;; [unrolled: 37-line block ×3, first 2 shown]
	global_load_b32 v1, v1, s[16:17]
	s_wait_loadcnt 0x0
	v_cmp_eq_u32_e32 vcc_lo, 1, v1
	s_cbranch_vccnz .LBB8_84
; %bb.83:
	v_lshlrev_b32_e32 v1, 4, v1
	s_delay_alu instid0(VALU_DEP_1)
	v_mov_b32_e32 v9, v1
	scratch_load_b128 v[1:4], off, off
	scratch_load_b128 v[5:8], v9, off offset:-16
	s_wait_loadcnt 0x1
	ds_store_2addr_b64 v0, v[1:2], v[3:4] offset1:1
	s_wait_loadcnt 0x0
	scratch_store_b128 off, v[5:8], off
	scratch_store_b128 v9, v[1:4], off offset:-16
.LBB8_84:
	scratch_load_b128 v[0:3], off, off
	s_clause 0x7
	scratch_load_b128 v[4:7], off, s4
	scratch_load_b128 v[8:11], off, s8
	;; [unrolled: 1-line block ×8, first 2 shown]
	s_wait_loadcnt 0x8
	global_store_b128 v[13:14], v[0:3], off
	s_wait_loadcnt 0x7
	global_store_b128 v[15:16], v[4:7], off
	;; [unrolled: 2-line block ×9, first 2 shown]
	s_endpgm
	.section	.rodata,"a",@progbits
	.p2align	6, 0x0
	.amdhsa_kernel _ZN9rocsolver6v33100L18getri_kernel_smallILi9E19rocblas_complex_numIdEPS3_EEvT1_iilPiilS6_bb
		.amdhsa_group_segment_fixed_size 1320
		.amdhsa_private_segment_fixed_size 160
		.amdhsa_kernarg_size 60
		.amdhsa_user_sgpr_count 4
		.amdhsa_user_sgpr_dispatch_ptr 1
		.amdhsa_user_sgpr_queue_ptr 0
		.amdhsa_user_sgpr_kernarg_segment_ptr 1
		.amdhsa_user_sgpr_dispatch_id 0
		.amdhsa_user_sgpr_private_segment_size 0
		.amdhsa_wavefront_size32 1
		.amdhsa_uses_dynamic_stack 0
		.amdhsa_enable_private_segment 1
		.amdhsa_system_sgpr_workgroup_id_x 1
		.amdhsa_system_sgpr_workgroup_id_y 0
		.amdhsa_system_sgpr_workgroup_id_z 0
		.amdhsa_system_sgpr_workgroup_info 0
		.amdhsa_system_vgpr_workitem_id 2
		.amdhsa_next_free_vgpr 74
		.amdhsa_next_free_sgpr 22
		.amdhsa_reserve_vcc 1
		.amdhsa_float_round_mode_32 0
		.amdhsa_float_round_mode_16_64 0
		.amdhsa_float_denorm_mode_32 3
		.amdhsa_float_denorm_mode_16_64 3
		.amdhsa_fp16_overflow 0
		.amdhsa_workgroup_processor_mode 1
		.amdhsa_memory_ordered 1
		.amdhsa_forward_progress 1
		.amdhsa_inst_pref_size 68
		.amdhsa_round_robin_scheduling 0
		.amdhsa_exception_fp_ieee_invalid_op 0
		.amdhsa_exception_fp_denorm_src 0
		.amdhsa_exception_fp_ieee_div_zero 0
		.amdhsa_exception_fp_ieee_overflow 0
		.amdhsa_exception_fp_ieee_underflow 0
		.amdhsa_exception_fp_ieee_inexact 0
		.amdhsa_exception_int_div_zero 0
	.end_amdhsa_kernel
	.section	.text._ZN9rocsolver6v33100L18getri_kernel_smallILi9E19rocblas_complex_numIdEPS3_EEvT1_iilPiilS6_bb,"axG",@progbits,_ZN9rocsolver6v33100L18getri_kernel_smallILi9E19rocblas_complex_numIdEPS3_EEvT1_iilPiilS6_bb,comdat
.Lfunc_end8:
	.size	_ZN9rocsolver6v33100L18getri_kernel_smallILi9E19rocblas_complex_numIdEPS3_EEvT1_iilPiilS6_bb, .Lfunc_end8-_ZN9rocsolver6v33100L18getri_kernel_smallILi9E19rocblas_complex_numIdEPS3_EEvT1_iilPiilS6_bb
                                        ; -- End function
	.set _ZN9rocsolver6v33100L18getri_kernel_smallILi9E19rocblas_complex_numIdEPS3_EEvT1_iilPiilS6_bb.num_vgpr, 74
	.set _ZN9rocsolver6v33100L18getri_kernel_smallILi9E19rocblas_complex_numIdEPS3_EEvT1_iilPiilS6_bb.num_agpr, 0
	.set _ZN9rocsolver6v33100L18getri_kernel_smallILi9E19rocblas_complex_numIdEPS3_EEvT1_iilPiilS6_bb.numbered_sgpr, 22
	.set _ZN9rocsolver6v33100L18getri_kernel_smallILi9E19rocblas_complex_numIdEPS3_EEvT1_iilPiilS6_bb.num_named_barrier, 0
	.set _ZN9rocsolver6v33100L18getri_kernel_smallILi9E19rocblas_complex_numIdEPS3_EEvT1_iilPiilS6_bb.private_seg_size, 160
	.set _ZN9rocsolver6v33100L18getri_kernel_smallILi9E19rocblas_complex_numIdEPS3_EEvT1_iilPiilS6_bb.uses_vcc, 1
	.set _ZN9rocsolver6v33100L18getri_kernel_smallILi9E19rocblas_complex_numIdEPS3_EEvT1_iilPiilS6_bb.uses_flat_scratch, 1
	.set _ZN9rocsolver6v33100L18getri_kernel_smallILi9E19rocblas_complex_numIdEPS3_EEvT1_iilPiilS6_bb.has_dyn_sized_stack, 0
	.set _ZN9rocsolver6v33100L18getri_kernel_smallILi9E19rocblas_complex_numIdEPS3_EEvT1_iilPiilS6_bb.has_recursion, 0
	.set _ZN9rocsolver6v33100L18getri_kernel_smallILi9E19rocblas_complex_numIdEPS3_EEvT1_iilPiilS6_bb.has_indirect_call, 0
	.section	.AMDGPU.csdata,"",@progbits
; Kernel info:
; codeLenInByte = 8580
; TotalNumSgprs: 24
; NumVgprs: 74
; ScratchSize: 160
; MemoryBound: 0
; FloatMode: 240
; IeeeMode: 1
; LDSByteSize: 1320 bytes/workgroup (compile time only)
; SGPRBlocks: 0
; VGPRBlocks: 9
; NumSGPRsForWavesPerEU: 24
; NumVGPRsForWavesPerEU: 74
; Occupancy: 16
; WaveLimiterHint : 1
; COMPUTE_PGM_RSRC2:SCRATCH_EN: 1
; COMPUTE_PGM_RSRC2:USER_SGPR: 4
; COMPUTE_PGM_RSRC2:TRAP_HANDLER: 0
; COMPUTE_PGM_RSRC2:TGID_X_EN: 1
; COMPUTE_PGM_RSRC2:TGID_Y_EN: 0
; COMPUTE_PGM_RSRC2:TGID_Z_EN: 0
; COMPUTE_PGM_RSRC2:TIDIG_COMP_CNT: 2
	.section	.text._ZN9rocsolver6v33100L18getri_kernel_smallILi10E19rocblas_complex_numIdEPS3_EEvT1_iilPiilS6_bb,"axG",@progbits,_ZN9rocsolver6v33100L18getri_kernel_smallILi10E19rocblas_complex_numIdEPS3_EEvT1_iilPiilS6_bb,comdat
	.globl	_ZN9rocsolver6v33100L18getri_kernel_smallILi10E19rocblas_complex_numIdEPS3_EEvT1_iilPiilS6_bb ; -- Begin function _ZN9rocsolver6v33100L18getri_kernel_smallILi10E19rocblas_complex_numIdEPS3_EEvT1_iilPiilS6_bb
	.p2align	8
	.type	_ZN9rocsolver6v33100L18getri_kernel_smallILi10E19rocblas_complex_numIdEPS3_EEvT1_iilPiilS6_bb,@function
_ZN9rocsolver6v33100L18getri_kernel_smallILi10E19rocblas_complex_numIdEPS3_EEvT1_iilPiilS6_bb: ; @_ZN9rocsolver6v33100L18getri_kernel_smallILi10E19rocblas_complex_numIdEPS3_EEvT1_iilPiilS6_bb
; %bb.0:
	v_and_b32_e32 v33, 0x3ff, v0
	s_mov_b32 s4, exec_lo
	s_delay_alu instid0(VALU_DEP_1)
	v_cmpx_gt_u32_e32 10, v33
	s_cbranch_execz .LBB9_54
; %bb.1:
	s_clause 0x2
	s_load_b32 s8, s[2:3], 0x38
	s_load_b128 s[12:15], s[2:3], 0x10
	s_load_b128 s[4:7], s[2:3], 0x28
	s_mov_b32 s18, ttmp9
                                        ; implicit-def: $sgpr16_sgpr17
	s_wait_kmcnt 0x0
	s_bitcmp1_b32 s8, 8
	s_cselect_b32 s20, -1, 0
	s_bfe_u32 s8, s8, 0x10008
	s_ashr_i32 s19, ttmp9, 31
	s_cmp_eq_u32 s8, 0
	s_cbranch_scc1 .LBB9_3
; %bb.2:
	s_load_b32 s8, s[2:3], 0x20
	s_mul_u64 s[4:5], s[4:5], s[18:19]
	s_delay_alu instid0(SALU_CYCLE_1) | instskip(NEXT) | instid1(SALU_CYCLE_1)
	s_lshl_b64 s[4:5], s[4:5], 2
	s_add_nc_u64 s[4:5], s[14:15], s[4:5]
	s_wait_kmcnt 0x0
	s_ashr_i32 s9, s8, 31
	s_delay_alu instid0(SALU_CYCLE_1) | instskip(NEXT) | instid1(SALU_CYCLE_1)
	s_lshl_b64 s[8:9], s[8:9], 2
	s_add_nc_u64 s[16:17], s[4:5], s[8:9]
.LBB9_3:
	s_clause 0x1
	s_load_b128 s[8:11], s[2:3], 0x0
	s_load_b32 s15, s[2:3], 0x38
	s_mul_u64 s[2:3], s[12:13], s[18:19]
	v_lshlrev_b32_e32 v34, 4, v33
	s_lshl_b64 s[2:3], s[2:3], 4
	s_movk_i32 s12, 0x60
	s_movk_i32 s14, 0x80
	;; [unrolled: 1-line block ×3, first 2 shown]
	s_wait_kmcnt 0x0
	v_add3_u32 v5, s11, s11, v33
	s_ashr_i32 s5, s10, 31
	s_mov_b32 s4, s10
	s_add_nc_u64 s[2:3], s[8:9], s[2:3]
	s_lshl_b64 s[4:5], s[4:5], 4
	v_add_nc_u32_e32 v7, s11, v5
	v_ashrrev_i32_e32 v6, 31, v5
	s_add_nc_u64 s[2:3], s[2:3], s[4:5]
	s_ashr_i32 s9, s11, 31
	v_add_co_u32 v13, s4, s2, v34
	v_add_nc_u32_e32 v9, s11, v7
	v_ashrrev_i32_e32 v8, 31, v7
	s_mov_b32 s8, s11
	v_lshlrev_b64_e32 v[5:6], 4, v[5:6]
	v_add_co_ci_u32_e64 v14, null, s3, 0, s4
	v_add_nc_u32_e32 v23, s11, v9
	v_ashrrev_i32_e32 v10, 31, v9
	s_lshl_b64 s[8:9], s[8:9], 4
	v_lshlrev_b64_e32 v[19:20], 4, v[7:8]
	v_add_co_u32 v15, vcc_lo, v13, s8
	v_add_nc_u32_e32 v25, s11, v23
	v_ashrrev_i32_e32 v24, 31, v23
	v_lshlrev_b64_e32 v[21:22], 4, v[9:10]
	v_add_co_ci_u32_e64 v16, null, s9, v14, vcc_lo
	s_delay_alu instid0(VALU_DEP_4) | instskip(SKIP_3) | instid1(VALU_DEP_4)
	v_add_nc_u32_e32 v27, s11, v25
	v_ashrrev_i32_e32 v26, 31, v25
	v_add_co_u32 v17, vcc_lo, s2, v5
	v_lshlrev_b64_e32 v[23:24], 4, v[23:24]
	v_ashrrev_i32_e32 v28, 31, v27
	v_add_nc_u32_e32 v30, s11, v27
	s_wait_alu 0xfffd
	v_add_co_ci_u32_e64 v18, null, s3, v6, vcc_lo
	v_add_co_u32 v19, vcc_lo, s2, v19
	v_lshlrev_b64_e32 v[25:26], 4, v[25:26]
	s_wait_alu 0xfffd
	v_add_co_ci_u32_e64 v20, null, s3, v20, vcc_lo
	v_add_co_u32 v21, vcc_lo, s2, v21
	v_lshlrev_b64_e32 v[28:29], 4, v[27:28]
	v_add_nc_u32_e32 v55, s11, v30
	s_wait_alu 0xfffd
	v_add_co_ci_u32_e64 v22, null, s3, v22, vcc_lo
	v_add_co_u32 v23, vcc_lo, s2, v23
	v_ashrrev_i32_e32 v31, 31, v30
	s_wait_alu 0xfffd
	v_add_co_ci_u32_e64 v24, null, s3, v24, vcc_lo
	v_add_co_u32 v25, vcc_lo, s2, v25
	v_ashrrev_i32_e32 v56, 31, v55
	s_wait_alu 0xfffd
	v_add_co_ci_u32_e64 v26, null, s3, v26, vcc_lo
	v_add_co_u32 v27, vcc_lo, s2, v28
	s_wait_alu 0xfffd
	v_add_co_ci_u32_e64 v28, null, s3, v29, vcc_lo
	v_lshlrev_b64_e32 v[29:30], 4, v[30:31]
	v_lshlrev_b64_e32 v[31:32], 4, v[55:56]
	s_clause 0x7
	global_load_b128 v[1:4], v34, s[2:3]
	global_load_b128 v[5:8], v[15:16], off
	global_load_b128 v[9:12], v[17:18], off
	;; [unrolled: 1-line block ×7, first 2 shown]
	v_add_co_u32 v29, vcc_lo, s2, v29
	s_wait_alu 0xfffd
	v_add_co_ci_u32_e64 v30, null, s3, v30, vcc_lo
	v_add_co_u32 v31, vcc_lo, s2, v31
	s_wait_alu 0xfffd
	v_add_co_ci_u32_e64 v32, null, s3, v32, vcc_lo
	s_clause 0x1
	global_load_b128 v[55:58], v[29:30], off
	global_load_b128 v[59:62], v[31:32], off
	s_mov_b32 s4, 16
	s_mov_b32 s8, 32
	;; [unrolled: 1-line block ×3, first 2 shown]
	s_movk_i32 s9, 0x50
	s_mov_b32 s10, 64
	s_movk_i32 s11, 0x70
	s_mov_b32 s3, -1
	s_bitcmp0_b32 s15, 0
	s_wait_loadcnt 0x9
	scratch_store_b128 off, v[1:4], off
	s_wait_loadcnt 0x8
	scratch_store_b128 off, v[5:8], off offset:16
	s_wait_loadcnt 0x7
	scratch_store_b128 off, v[9:12], off offset:32
	;; [unrolled: 2-line block ×9, first 2 shown]
	s_cbranch_scc1 .LBB9_52
; %bb.4:
	v_cmp_eq_u32_e64 s2, 0, v33
	s_and_saveexec_b32 s3, s2
; %bb.5:
	v_mov_b32_e32 v1, 0
	ds_store_b32 v1, v1 offset:320
; %bb.6:
	s_wait_alu 0xfffe
	s_or_b32 exec_lo, exec_lo, s3
	s_wait_storecnt_dscnt 0x0
	s_barrier_signal -1
	s_barrier_wait -1
	global_inv scope:SCOPE_SE
	scratch_load_b128 v[1:4], v34, off
	s_wait_loadcnt 0x0
	v_cmp_eq_f64_e32 vcc_lo, 0, v[1:2]
	v_cmp_eq_f64_e64 s3, 0, v[3:4]
	s_and_b32 s3, vcc_lo, s3
	s_wait_alu 0xfffe
	s_and_saveexec_b32 s15, s3
	s_cbranch_execz .LBB9_10
; %bb.7:
	v_mov_b32_e32 v1, 0
	s_mov_b32 s21, 0
	ds_load_b32 v2, v1 offset:320
	s_wait_dscnt 0x0
	v_readfirstlane_b32 s3, v2
	v_add_nc_u32_e32 v2, 1, v33
	s_cmp_eq_u32 s3, 0
	s_delay_alu instid0(VALU_DEP_1) | instskip(SKIP_1) | instid1(SALU_CYCLE_1)
	v_cmp_gt_i32_e32 vcc_lo, s3, v2
	s_cselect_b32 s22, -1, 0
	s_or_b32 s22, s22, vcc_lo
	s_delay_alu instid0(SALU_CYCLE_1)
	s_and_b32 exec_lo, exec_lo, s22
	s_cbranch_execz .LBB9_10
; %bb.8:
	v_mov_b32_e32 v3, s3
.LBB9_9:                                ; =>This Inner Loop Header: Depth=1
	ds_cmpstore_rtn_b32 v3, v1, v2, v3 offset:320
	s_wait_dscnt 0x0
	v_cmp_ne_u32_e32 vcc_lo, 0, v3
	v_cmp_le_i32_e64 s3, v3, v2
	s_and_b32 s3, vcc_lo, s3
	s_wait_alu 0xfffe
	s_and_b32 s3, exec_lo, s3
	s_wait_alu 0xfffe
	s_or_b32 s21, s3, s21
	s_delay_alu instid0(SALU_CYCLE_1)
	s_and_not1_b32 exec_lo, exec_lo, s21
	s_cbranch_execnz .LBB9_9
.LBB9_10:
	s_or_b32 exec_lo, exec_lo, s15
	v_mov_b32_e32 v1, 0
	s_barrier_signal -1
	s_barrier_wait -1
	global_inv scope:SCOPE_SE
	ds_load_b32 v2, v1 offset:320
	s_and_saveexec_b32 s3, s2
	s_cbranch_execz .LBB9_12
; %bb.11:
	s_lshl_b64 s[22:23], s[18:19], 2
	s_delay_alu instid0(SALU_CYCLE_1)
	s_add_nc_u64 s[22:23], s[6:7], s[22:23]
	s_wait_dscnt 0x0
	global_store_b32 v1, v2, s[22:23]
.LBB9_12:
	s_wait_alu 0xfffe
	s_or_b32 exec_lo, exec_lo, s3
	s_wait_dscnt 0x0
	v_cmp_ne_u32_e32 vcc_lo, 0, v2
	s_mov_b32 s3, 0
	s_cbranch_vccnz .LBB9_52
; %bb.13:
	v_mov_b32_e32 v35, v34
                                        ; implicit-def: $vgpr1_vgpr2
                                        ; implicit-def: $vgpr9_vgpr10
	scratch_load_b128 v[5:8], v35, off
	s_wait_loadcnt 0x0
	v_cmp_ngt_f64_e64 s3, |v[5:6]|, |v[7:8]|
	s_wait_alu 0xfffe
	s_and_saveexec_b32 s15, s3
	s_delay_alu instid0(SALU_CYCLE_1)
	s_xor_b32 s3, exec_lo, s15
	s_cbranch_execz .LBB9_15
; %bb.14:
	v_div_scale_f64 v[1:2], null, v[7:8], v[7:8], v[5:6]
	v_div_scale_f64 v[11:12], vcc_lo, v[5:6], v[7:8], v[5:6]
	s_delay_alu instid0(VALU_DEP_2) | instskip(NEXT) | instid1(TRANS32_DEP_1)
	v_rcp_f64_e32 v[3:4], v[1:2]
	v_fma_f64 v[9:10], -v[1:2], v[3:4], 1.0
	s_delay_alu instid0(VALU_DEP_1) | instskip(NEXT) | instid1(VALU_DEP_1)
	v_fma_f64 v[3:4], v[3:4], v[9:10], v[3:4]
	v_fma_f64 v[9:10], -v[1:2], v[3:4], 1.0
	s_delay_alu instid0(VALU_DEP_1) | instskip(NEXT) | instid1(VALU_DEP_1)
	v_fma_f64 v[3:4], v[3:4], v[9:10], v[3:4]
	v_mul_f64_e32 v[9:10], v[11:12], v[3:4]
	s_delay_alu instid0(VALU_DEP_1) | instskip(SKIP_1) | instid1(VALU_DEP_1)
	v_fma_f64 v[1:2], -v[1:2], v[9:10], v[11:12]
	s_wait_alu 0xfffd
	v_div_fmas_f64 v[1:2], v[1:2], v[3:4], v[9:10]
	s_delay_alu instid0(VALU_DEP_1) | instskip(NEXT) | instid1(VALU_DEP_1)
	v_div_fixup_f64 v[1:2], v[1:2], v[7:8], v[5:6]
	v_fma_f64 v[3:4], v[5:6], v[1:2], v[7:8]
	s_delay_alu instid0(VALU_DEP_1) | instskip(SKIP_1) | instid1(VALU_DEP_2)
	v_div_scale_f64 v[5:6], null, v[3:4], v[3:4], 1.0
	v_div_scale_f64 v[11:12], vcc_lo, 1.0, v[3:4], 1.0
	v_rcp_f64_e32 v[7:8], v[5:6]
	s_delay_alu instid0(TRANS32_DEP_1) | instskip(NEXT) | instid1(VALU_DEP_1)
	v_fma_f64 v[9:10], -v[5:6], v[7:8], 1.0
	v_fma_f64 v[7:8], v[7:8], v[9:10], v[7:8]
	s_delay_alu instid0(VALU_DEP_1) | instskip(NEXT) | instid1(VALU_DEP_1)
	v_fma_f64 v[9:10], -v[5:6], v[7:8], 1.0
	v_fma_f64 v[7:8], v[7:8], v[9:10], v[7:8]
	s_delay_alu instid0(VALU_DEP_1) | instskip(NEXT) | instid1(VALU_DEP_1)
	v_mul_f64_e32 v[9:10], v[11:12], v[7:8]
	v_fma_f64 v[5:6], -v[5:6], v[9:10], v[11:12]
	s_wait_alu 0xfffd
	s_delay_alu instid0(VALU_DEP_1) | instskip(NEXT) | instid1(VALU_DEP_1)
	v_div_fmas_f64 v[5:6], v[5:6], v[7:8], v[9:10]
	v_div_fixup_f64 v[3:4], v[5:6], v[3:4], 1.0
                                        ; implicit-def: $vgpr5_vgpr6
	s_delay_alu instid0(VALU_DEP_1) | instskip(SKIP_1) | instid1(VALU_DEP_2)
	v_mul_f64_e32 v[1:2], v[1:2], v[3:4]
	v_xor_b32_e32 v4, 0x80000000, v4
	v_xor_b32_e32 v10, 0x80000000, v2
	s_delay_alu instid0(VALU_DEP_3)
	v_mov_b32_e32 v9, v1
.LBB9_15:
	s_wait_alu 0xfffe
	s_and_not1_saveexec_b32 s3, s3
	s_cbranch_execz .LBB9_17
; %bb.16:
	v_div_scale_f64 v[1:2], null, v[5:6], v[5:6], v[7:8]
	v_div_scale_f64 v[11:12], vcc_lo, v[7:8], v[5:6], v[7:8]
	s_delay_alu instid0(VALU_DEP_2) | instskip(NEXT) | instid1(TRANS32_DEP_1)
	v_rcp_f64_e32 v[3:4], v[1:2]
	v_fma_f64 v[9:10], -v[1:2], v[3:4], 1.0
	s_delay_alu instid0(VALU_DEP_1) | instskip(NEXT) | instid1(VALU_DEP_1)
	v_fma_f64 v[3:4], v[3:4], v[9:10], v[3:4]
	v_fma_f64 v[9:10], -v[1:2], v[3:4], 1.0
	s_delay_alu instid0(VALU_DEP_1) | instskip(NEXT) | instid1(VALU_DEP_1)
	v_fma_f64 v[3:4], v[3:4], v[9:10], v[3:4]
	v_mul_f64_e32 v[9:10], v[11:12], v[3:4]
	s_delay_alu instid0(VALU_DEP_1) | instskip(SKIP_1) | instid1(VALU_DEP_1)
	v_fma_f64 v[1:2], -v[1:2], v[9:10], v[11:12]
	s_wait_alu 0xfffd
	v_div_fmas_f64 v[1:2], v[1:2], v[3:4], v[9:10]
	s_delay_alu instid0(VALU_DEP_1) | instskip(NEXT) | instid1(VALU_DEP_1)
	v_div_fixup_f64 v[3:4], v[1:2], v[5:6], v[7:8]
	v_fma_f64 v[1:2], v[7:8], v[3:4], v[5:6]
	s_delay_alu instid0(VALU_DEP_1) | instskip(NEXT) | instid1(VALU_DEP_1)
	v_div_scale_f64 v[5:6], null, v[1:2], v[1:2], 1.0
	v_rcp_f64_e32 v[7:8], v[5:6]
	s_delay_alu instid0(TRANS32_DEP_1) | instskip(NEXT) | instid1(VALU_DEP_1)
	v_fma_f64 v[9:10], -v[5:6], v[7:8], 1.0
	v_fma_f64 v[7:8], v[7:8], v[9:10], v[7:8]
	s_delay_alu instid0(VALU_DEP_1) | instskip(NEXT) | instid1(VALU_DEP_1)
	v_fma_f64 v[9:10], -v[5:6], v[7:8], 1.0
	v_fma_f64 v[7:8], v[7:8], v[9:10], v[7:8]
	v_div_scale_f64 v[9:10], vcc_lo, 1.0, v[1:2], 1.0
	s_delay_alu instid0(VALU_DEP_1) | instskip(NEXT) | instid1(VALU_DEP_1)
	v_mul_f64_e32 v[11:12], v[9:10], v[7:8]
	v_fma_f64 v[5:6], -v[5:6], v[11:12], v[9:10]
	s_wait_alu 0xfffd
	s_delay_alu instid0(VALU_DEP_1) | instskip(NEXT) | instid1(VALU_DEP_1)
	v_div_fmas_f64 v[5:6], v[5:6], v[7:8], v[11:12]
	v_div_fixup_f64 v[1:2], v[5:6], v[1:2], 1.0
	s_delay_alu instid0(VALU_DEP_1)
	v_mul_f64_e64 v[3:4], v[3:4], -v[1:2]
	v_xor_b32_e32 v10, 0x80000000, v2
	v_mov_b32_e32 v9, v1
.LBB9_17:
	s_wait_alu 0xfffe
	s_or_b32 exec_lo, exec_lo, s3
	scratch_store_b128 v35, v[1:4], off
	scratch_load_b128 v[36:39], off, s4
	v_xor_b32_e32 v12, 0x80000000, v4
	v_mov_b32_e32 v11, v3
	v_add_nc_u32_e32 v5, 0xa0, v34
	ds_store_b128 v34, v[9:12]
	s_wait_loadcnt 0x0
	ds_store_b128 v34, v[36:39] offset:160
	s_wait_storecnt_dscnt 0x0
	s_barrier_signal -1
	s_barrier_wait -1
	global_inv scope:SCOPE_SE
	s_and_saveexec_b32 s3, s2
	s_cbranch_execz .LBB9_19
; %bb.18:
	scratch_load_b128 v[1:4], v35, off
	ds_load_b128 v[6:9], v5
	v_mov_b32_e32 v10, 0
	ds_load_b128 v[36:39], v10 offset:16
	s_wait_loadcnt_dscnt 0x1
	v_mul_f64_e32 v[10:11], v[6:7], v[3:4]
	v_mul_f64_e32 v[3:4], v[8:9], v[3:4]
	s_delay_alu instid0(VALU_DEP_2) | instskip(NEXT) | instid1(VALU_DEP_2)
	v_fma_f64 v[8:9], v[8:9], v[1:2], v[10:11]
	v_fma_f64 v[1:2], v[6:7], v[1:2], -v[3:4]
	s_delay_alu instid0(VALU_DEP_2) | instskip(NEXT) | instid1(VALU_DEP_2)
	v_add_f64_e32 v[3:4], 0, v[8:9]
	v_add_f64_e32 v[1:2], 0, v[1:2]
	s_wait_dscnt 0x0
	s_delay_alu instid0(VALU_DEP_2) | instskip(NEXT) | instid1(VALU_DEP_2)
	v_mul_f64_e32 v[6:7], v[3:4], v[38:39]
	v_mul_f64_e32 v[8:9], v[1:2], v[38:39]
	s_delay_alu instid0(VALU_DEP_2) | instskip(NEXT) | instid1(VALU_DEP_2)
	v_fma_f64 v[1:2], v[1:2], v[36:37], -v[6:7]
	v_fma_f64 v[3:4], v[3:4], v[36:37], v[8:9]
	scratch_store_b128 off, v[1:4], off offset:16
.LBB9_19:
	s_wait_alu 0xfffe
	s_or_b32 exec_lo, exec_lo, s3
	s_wait_loadcnt 0x0
	s_wait_storecnt 0x0
	s_barrier_signal -1
	s_barrier_wait -1
	global_inv scope:SCOPE_SE
	scratch_load_b128 v[1:4], off, s8
	s_mov_b32 s3, exec_lo
	s_wait_loadcnt 0x0
	ds_store_b128 v5, v[1:4]
	s_wait_dscnt 0x0
	s_barrier_signal -1
	s_barrier_wait -1
	global_inv scope:SCOPE_SE
	v_cmpx_gt_u32_e32 2, v33
	s_cbranch_execz .LBB9_23
; %bb.20:
	scratch_load_b128 v[1:4], v35, off
	ds_load_b128 v[6:9], v5
	s_wait_loadcnt_dscnt 0x0
	v_mul_f64_e32 v[10:11], v[8:9], v[3:4]
	v_mul_f64_e32 v[3:4], v[6:7], v[3:4]
	s_delay_alu instid0(VALU_DEP_2) | instskip(NEXT) | instid1(VALU_DEP_2)
	v_fma_f64 v[6:7], v[6:7], v[1:2], -v[10:11]
	v_fma_f64 v[3:4], v[8:9], v[1:2], v[3:4]
	s_delay_alu instid0(VALU_DEP_2) | instskip(NEXT) | instid1(VALU_DEP_2)
	v_add_f64_e32 v[1:2], 0, v[6:7]
	v_add_f64_e32 v[3:4], 0, v[3:4]
	s_and_saveexec_b32 s15, s2
	s_cbranch_execz .LBB9_22
; %bb.21:
	scratch_load_b128 v[6:9], off, off offset:16
	v_mov_b32_e32 v10, 0
	ds_load_b128 v[36:39], v10 offset:176
	s_wait_loadcnt_dscnt 0x0
	v_mul_f64_e32 v[10:11], v[36:37], v[8:9]
	v_mul_f64_e32 v[8:9], v[38:39], v[8:9]
	s_delay_alu instid0(VALU_DEP_2) | instskip(NEXT) | instid1(VALU_DEP_2)
	v_fma_f64 v[10:11], v[38:39], v[6:7], v[10:11]
	v_fma_f64 v[6:7], v[36:37], v[6:7], -v[8:9]
	s_delay_alu instid0(VALU_DEP_2) | instskip(NEXT) | instid1(VALU_DEP_2)
	v_add_f64_e32 v[3:4], v[3:4], v[10:11]
	v_add_f64_e32 v[1:2], v[1:2], v[6:7]
.LBB9_22:
	s_or_b32 exec_lo, exec_lo, s15
	v_mov_b32_e32 v6, 0
	ds_load_b128 v[6:9], v6 offset:32
	s_wait_dscnt 0x0
	v_mul_f64_e32 v[10:11], v[3:4], v[8:9]
	v_mul_f64_e32 v[8:9], v[1:2], v[8:9]
	s_delay_alu instid0(VALU_DEP_2) | instskip(NEXT) | instid1(VALU_DEP_2)
	v_fma_f64 v[1:2], v[1:2], v[6:7], -v[10:11]
	v_fma_f64 v[3:4], v[3:4], v[6:7], v[8:9]
	scratch_store_b128 off, v[1:4], off offset:32
.LBB9_23:
	s_wait_alu 0xfffe
	s_or_b32 exec_lo, exec_lo, s3
	s_wait_loadcnt 0x0
	s_wait_storecnt 0x0
	s_barrier_signal -1
	s_barrier_wait -1
	global_inv scope:SCOPE_SE
	scratch_load_b128 v[1:4], off, s5
	v_add_nc_u32_e32 v6, -1, v33
	s_mov_b32 s2, exec_lo
	s_wait_loadcnt 0x0
	ds_store_b128 v5, v[1:4]
	s_wait_dscnt 0x0
	s_barrier_signal -1
	s_barrier_wait -1
	global_inv scope:SCOPE_SE
	v_cmpx_gt_u32_e32 3, v33
	s_cbranch_execz .LBB9_27
; %bb.24:
	v_dual_mov_b32 v1, 0 :: v_dual_add_nc_u32 v8, 0xa0, v34
	v_mov_b32_e32 v3, 0
	v_dual_mov_b32 v2, 0 :: v_dual_add_nc_u32 v7, -1, v33
	v_mov_b32_e32 v4, 0
	v_or_b32_e32 v9, 8, v35
	s_mov_b32 s3, 0
.LBB9_25:                               ; =>This Inner Loop Header: Depth=1
	scratch_load_b128 v[36:39], v9, off offset:-8
	ds_load_b128 v[40:43], v8
	v_add_nc_u32_e32 v7, 1, v7
	v_add_nc_u32_e32 v8, 16, v8
	v_add_nc_u32_e32 v9, 16, v9
	s_delay_alu instid0(VALU_DEP_3)
	v_cmp_lt_u32_e32 vcc_lo, 1, v7
	s_wait_alu 0xfffe
	s_or_b32 s3, vcc_lo, s3
	s_wait_loadcnt_dscnt 0x0
	v_mul_f64_e32 v[10:11], v[42:43], v[38:39]
	v_mul_f64_e32 v[38:39], v[40:41], v[38:39]
	s_delay_alu instid0(VALU_DEP_2) | instskip(NEXT) | instid1(VALU_DEP_2)
	v_fma_f64 v[10:11], v[40:41], v[36:37], -v[10:11]
	v_fma_f64 v[36:37], v[42:43], v[36:37], v[38:39]
	s_delay_alu instid0(VALU_DEP_2) | instskip(NEXT) | instid1(VALU_DEP_2)
	v_add_f64_e32 v[3:4], v[3:4], v[10:11]
	v_add_f64_e32 v[1:2], v[1:2], v[36:37]
	s_wait_alu 0xfffe
	s_and_not1_b32 exec_lo, exec_lo, s3
	s_cbranch_execnz .LBB9_25
; %bb.26:
	s_or_b32 exec_lo, exec_lo, s3
	v_mov_b32_e32 v7, 0
	ds_load_b128 v[7:10], v7 offset:48
	s_wait_dscnt 0x0
	v_mul_f64_e32 v[11:12], v[1:2], v[9:10]
	v_mul_f64_e32 v[36:37], v[3:4], v[9:10]
	s_delay_alu instid0(VALU_DEP_2) | instskip(NEXT) | instid1(VALU_DEP_2)
	v_fma_f64 v[9:10], v[3:4], v[7:8], -v[11:12]
	v_fma_f64 v[11:12], v[1:2], v[7:8], v[36:37]
	scratch_store_b128 off, v[9:12], off offset:48
.LBB9_27:
	s_wait_alu 0xfffe
	s_or_b32 exec_lo, exec_lo, s2
	s_wait_loadcnt 0x0
	s_wait_storecnt 0x0
	s_barrier_signal -1
	s_barrier_wait -1
	global_inv scope:SCOPE_SE
	scratch_load_b128 v[1:4], off, s10
	s_mov_b32 s2, exec_lo
	s_wait_loadcnt 0x0
	ds_store_b128 v5, v[1:4]
	s_wait_dscnt 0x0
	s_barrier_signal -1
	s_barrier_wait -1
	global_inv scope:SCOPE_SE
	v_cmpx_gt_u32_e32 4, v33
	s_cbranch_execz .LBB9_31
; %bb.28:
	v_dual_mov_b32 v1, 0 :: v_dual_add_nc_u32 v8, 0xa0, v34
	v_mov_b32_e32 v3, 0
	v_dual_mov_b32 v2, 0 :: v_dual_add_nc_u32 v7, -1, v33
	v_mov_b32_e32 v4, 0
	v_or_b32_e32 v9, 8, v35
	s_mov_b32 s3, 0
.LBB9_29:                               ; =>This Inner Loop Header: Depth=1
	scratch_load_b128 v[36:39], v9, off offset:-8
	ds_load_b128 v[40:43], v8
	v_add_nc_u32_e32 v7, 1, v7
	v_add_nc_u32_e32 v8, 16, v8
	v_add_nc_u32_e32 v9, 16, v9
	s_delay_alu instid0(VALU_DEP_3)
	v_cmp_lt_u32_e32 vcc_lo, 2, v7
	s_wait_alu 0xfffe
	s_or_b32 s3, vcc_lo, s3
	s_wait_loadcnt_dscnt 0x0
	v_mul_f64_e32 v[10:11], v[42:43], v[38:39]
	v_mul_f64_e32 v[38:39], v[40:41], v[38:39]
	s_delay_alu instid0(VALU_DEP_2) | instskip(NEXT) | instid1(VALU_DEP_2)
	v_fma_f64 v[10:11], v[40:41], v[36:37], -v[10:11]
	v_fma_f64 v[36:37], v[42:43], v[36:37], v[38:39]
	s_delay_alu instid0(VALU_DEP_2) | instskip(NEXT) | instid1(VALU_DEP_2)
	v_add_f64_e32 v[3:4], v[3:4], v[10:11]
	v_add_f64_e32 v[1:2], v[1:2], v[36:37]
	s_wait_alu 0xfffe
	s_and_not1_b32 exec_lo, exec_lo, s3
	s_cbranch_execnz .LBB9_29
; %bb.30:
	s_or_b32 exec_lo, exec_lo, s3
	v_mov_b32_e32 v7, 0
	ds_load_b128 v[7:10], v7 offset:64
	s_wait_dscnt 0x0
	v_mul_f64_e32 v[11:12], v[1:2], v[9:10]
	v_mul_f64_e32 v[36:37], v[3:4], v[9:10]
	s_delay_alu instid0(VALU_DEP_2) | instskip(NEXT) | instid1(VALU_DEP_2)
	v_fma_f64 v[9:10], v[3:4], v[7:8], -v[11:12]
	v_fma_f64 v[11:12], v[1:2], v[7:8], v[36:37]
	scratch_store_b128 off, v[9:12], off offset:64
.LBB9_31:
	s_wait_alu 0xfffe
	s_or_b32 exec_lo, exec_lo, s2
	s_wait_loadcnt 0x0
	s_wait_storecnt 0x0
	s_barrier_signal -1
	s_barrier_wait -1
	global_inv scope:SCOPE_SE
	scratch_load_b128 v[1:4], off, s9
	s_mov_b32 s2, exec_lo
	s_wait_loadcnt 0x0
	ds_store_b128 v5, v[1:4]
	s_wait_dscnt 0x0
	s_barrier_signal -1
	s_barrier_wait -1
	global_inv scope:SCOPE_SE
	v_cmpx_gt_u32_e32 5, v33
	s_cbranch_execz .LBB9_35
; %bb.32:
	v_dual_mov_b32 v1, 0 :: v_dual_add_nc_u32 v8, 0xa0, v34
	v_mov_b32_e32 v3, 0
	v_dual_mov_b32 v2, 0 :: v_dual_add_nc_u32 v7, -1, v33
	v_mov_b32_e32 v4, 0
	v_or_b32_e32 v9, 8, v35
	s_mov_b32 s3, 0
.LBB9_33:                               ; =>This Inner Loop Header: Depth=1
	scratch_load_b128 v[36:39], v9, off offset:-8
	ds_load_b128 v[40:43], v8
	v_add_nc_u32_e32 v7, 1, v7
	v_add_nc_u32_e32 v8, 16, v8
	v_add_nc_u32_e32 v9, 16, v9
	s_delay_alu instid0(VALU_DEP_3)
	v_cmp_lt_u32_e32 vcc_lo, 3, v7
	s_wait_alu 0xfffe
	s_or_b32 s3, vcc_lo, s3
	s_wait_loadcnt_dscnt 0x0
	v_mul_f64_e32 v[10:11], v[42:43], v[38:39]
	v_mul_f64_e32 v[38:39], v[40:41], v[38:39]
	s_delay_alu instid0(VALU_DEP_2) | instskip(NEXT) | instid1(VALU_DEP_2)
	v_fma_f64 v[10:11], v[40:41], v[36:37], -v[10:11]
	v_fma_f64 v[36:37], v[42:43], v[36:37], v[38:39]
	s_delay_alu instid0(VALU_DEP_2) | instskip(NEXT) | instid1(VALU_DEP_2)
	v_add_f64_e32 v[3:4], v[3:4], v[10:11]
	v_add_f64_e32 v[1:2], v[1:2], v[36:37]
	s_wait_alu 0xfffe
	s_and_not1_b32 exec_lo, exec_lo, s3
	s_cbranch_execnz .LBB9_33
; %bb.34:
	s_or_b32 exec_lo, exec_lo, s3
	v_mov_b32_e32 v7, 0
	ds_load_b128 v[7:10], v7 offset:80
	s_wait_dscnt 0x0
	v_mul_f64_e32 v[11:12], v[1:2], v[9:10]
	v_mul_f64_e32 v[36:37], v[3:4], v[9:10]
	s_delay_alu instid0(VALU_DEP_2) | instskip(NEXT) | instid1(VALU_DEP_2)
	v_fma_f64 v[9:10], v[3:4], v[7:8], -v[11:12]
	v_fma_f64 v[11:12], v[1:2], v[7:8], v[36:37]
	scratch_store_b128 off, v[9:12], off offset:80
.LBB9_35:
	s_wait_alu 0xfffe
	s_or_b32 exec_lo, exec_lo, s2
	s_wait_loadcnt 0x0
	s_wait_storecnt 0x0
	s_barrier_signal -1
	s_barrier_wait -1
	global_inv scope:SCOPE_SE
	scratch_load_b128 v[1:4], off, s12
	s_mov_b32 s2, exec_lo
	s_wait_loadcnt 0x0
	ds_store_b128 v5, v[1:4]
	s_wait_dscnt 0x0
	s_barrier_signal -1
	s_barrier_wait -1
	global_inv scope:SCOPE_SE
	v_cmpx_gt_u32_e32 6, v33
	s_cbranch_execz .LBB9_39
; %bb.36:
	v_dual_mov_b32 v1, 0 :: v_dual_add_nc_u32 v8, 0xa0, v34
	v_mov_b32_e32 v3, 0
	v_dual_mov_b32 v2, 0 :: v_dual_add_nc_u32 v7, -1, v33
	v_mov_b32_e32 v4, 0
	v_or_b32_e32 v9, 8, v35
	s_mov_b32 s3, 0
.LBB9_37:                               ; =>This Inner Loop Header: Depth=1
	scratch_load_b128 v[36:39], v9, off offset:-8
	ds_load_b128 v[40:43], v8
	v_add_nc_u32_e32 v7, 1, v7
	v_add_nc_u32_e32 v8, 16, v8
	v_add_nc_u32_e32 v9, 16, v9
	s_delay_alu instid0(VALU_DEP_3)
	v_cmp_lt_u32_e32 vcc_lo, 4, v7
	s_wait_alu 0xfffe
	s_or_b32 s3, vcc_lo, s3
	s_wait_loadcnt_dscnt 0x0
	v_mul_f64_e32 v[10:11], v[42:43], v[38:39]
	v_mul_f64_e32 v[38:39], v[40:41], v[38:39]
	s_delay_alu instid0(VALU_DEP_2) | instskip(NEXT) | instid1(VALU_DEP_2)
	v_fma_f64 v[10:11], v[40:41], v[36:37], -v[10:11]
	v_fma_f64 v[36:37], v[42:43], v[36:37], v[38:39]
	s_delay_alu instid0(VALU_DEP_2) | instskip(NEXT) | instid1(VALU_DEP_2)
	v_add_f64_e32 v[3:4], v[3:4], v[10:11]
	v_add_f64_e32 v[1:2], v[1:2], v[36:37]
	s_wait_alu 0xfffe
	s_and_not1_b32 exec_lo, exec_lo, s3
	s_cbranch_execnz .LBB9_37
; %bb.38:
	s_or_b32 exec_lo, exec_lo, s3
	v_mov_b32_e32 v7, 0
	ds_load_b128 v[7:10], v7 offset:96
	s_wait_dscnt 0x0
	v_mul_f64_e32 v[11:12], v[1:2], v[9:10]
	v_mul_f64_e32 v[36:37], v[3:4], v[9:10]
	s_delay_alu instid0(VALU_DEP_2) | instskip(NEXT) | instid1(VALU_DEP_2)
	v_fma_f64 v[9:10], v[3:4], v[7:8], -v[11:12]
	v_fma_f64 v[11:12], v[1:2], v[7:8], v[36:37]
	scratch_store_b128 off, v[9:12], off offset:96
.LBB9_39:
	s_wait_alu 0xfffe
	s_or_b32 exec_lo, exec_lo, s2
	s_wait_loadcnt 0x0
	s_wait_storecnt 0x0
	s_barrier_signal -1
	s_barrier_wait -1
	global_inv scope:SCOPE_SE
	scratch_load_b128 v[1:4], off, s11
	s_mov_b32 s2, exec_lo
	s_wait_loadcnt 0x0
	ds_store_b128 v5, v[1:4]
	s_wait_dscnt 0x0
	s_barrier_signal -1
	s_barrier_wait -1
	global_inv scope:SCOPE_SE
	v_cmpx_gt_u32_e32 7, v33
	s_cbranch_execz .LBB9_43
; %bb.40:
	v_dual_mov_b32 v1, 0 :: v_dual_add_nc_u32 v8, 0xa0, v34
	v_mov_b32_e32 v3, 0
	v_dual_mov_b32 v2, 0 :: v_dual_add_nc_u32 v7, -1, v33
	v_mov_b32_e32 v4, 0
	v_or_b32_e32 v9, 8, v35
	s_mov_b32 s3, 0
.LBB9_41:                               ; =>This Inner Loop Header: Depth=1
	scratch_load_b128 v[36:39], v9, off offset:-8
	ds_load_b128 v[40:43], v8
	v_add_nc_u32_e32 v7, 1, v7
	v_add_nc_u32_e32 v8, 16, v8
	v_add_nc_u32_e32 v9, 16, v9
	s_delay_alu instid0(VALU_DEP_3)
	v_cmp_lt_u32_e32 vcc_lo, 5, v7
	s_wait_alu 0xfffe
	s_or_b32 s3, vcc_lo, s3
	s_wait_loadcnt_dscnt 0x0
	v_mul_f64_e32 v[10:11], v[42:43], v[38:39]
	v_mul_f64_e32 v[38:39], v[40:41], v[38:39]
	s_delay_alu instid0(VALU_DEP_2) | instskip(NEXT) | instid1(VALU_DEP_2)
	v_fma_f64 v[10:11], v[40:41], v[36:37], -v[10:11]
	v_fma_f64 v[36:37], v[42:43], v[36:37], v[38:39]
	s_delay_alu instid0(VALU_DEP_2) | instskip(NEXT) | instid1(VALU_DEP_2)
	v_add_f64_e32 v[3:4], v[3:4], v[10:11]
	v_add_f64_e32 v[1:2], v[1:2], v[36:37]
	s_wait_alu 0xfffe
	s_and_not1_b32 exec_lo, exec_lo, s3
	s_cbranch_execnz .LBB9_41
; %bb.42:
	s_or_b32 exec_lo, exec_lo, s3
	v_mov_b32_e32 v7, 0
	ds_load_b128 v[7:10], v7 offset:112
	s_wait_dscnt 0x0
	v_mul_f64_e32 v[11:12], v[1:2], v[9:10]
	v_mul_f64_e32 v[36:37], v[3:4], v[9:10]
	s_delay_alu instid0(VALU_DEP_2) | instskip(NEXT) | instid1(VALU_DEP_2)
	v_fma_f64 v[9:10], v[3:4], v[7:8], -v[11:12]
	v_fma_f64 v[11:12], v[1:2], v[7:8], v[36:37]
	scratch_store_b128 off, v[9:12], off offset:112
.LBB9_43:
	s_wait_alu 0xfffe
	s_or_b32 exec_lo, exec_lo, s2
	s_wait_loadcnt 0x0
	s_wait_storecnt 0x0
	s_barrier_signal -1
	s_barrier_wait -1
	global_inv scope:SCOPE_SE
	scratch_load_b128 v[1:4], off, s14
	s_mov_b32 s2, exec_lo
	s_wait_loadcnt 0x0
	ds_store_b128 v5, v[1:4]
	s_wait_dscnt 0x0
	s_barrier_signal -1
	s_barrier_wait -1
	global_inv scope:SCOPE_SE
	v_cmpx_gt_u32_e32 8, v33
	s_cbranch_execz .LBB9_47
; %bb.44:
	v_dual_mov_b32 v1, 0 :: v_dual_add_nc_u32 v8, 0xa0, v34
	v_mov_b32_e32 v3, 0
	v_dual_mov_b32 v2, 0 :: v_dual_add_nc_u32 v7, -1, v33
	v_mov_b32_e32 v4, 0
	v_or_b32_e32 v9, 8, v35
	s_mov_b32 s3, 0
.LBB9_45:                               ; =>This Inner Loop Header: Depth=1
	scratch_load_b128 v[36:39], v9, off offset:-8
	ds_load_b128 v[40:43], v8
	v_add_nc_u32_e32 v7, 1, v7
	v_add_nc_u32_e32 v8, 16, v8
	v_add_nc_u32_e32 v9, 16, v9
	s_delay_alu instid0(VALU_DEP_3)
	v_cmp_lt_u32_e32 vcc_lo, 6, v7
	s_wait_alu 0xfffe
	s_or_b32 s3, vcc_lo, s3
	s_wait_loadcnt_dscnt 0x0
	v_mul_f64_e32 v[10:11], v[42:43], v[38:39]
	v_mul_f64_e32 v[38:39], v[40:41], v[38:39]
	s_delay_alu instid0(VALU_DEP_2) | instskip(NEXT) | instid1(VALU_DEP_2)
	v_fma_f64 v[10:11], v[40:41], v[36:37], -v[10:11]
	v_fma_f64 v[36:37], v[42:43], v[36:37], v[38:39]
	s_delay_alu instid0(VALU_DEP_2) | instskip(NEXT) | instid1(VALU_DEP_2)
	v_add_f64_e32 v[3:4], v[3:4], v[10:11]
	v_add_f64_e32 v[1:2], v[1:2], v[36:37]
	s_wait_alu 0xfffe
	s_and_not1_b32 exec_lo, exec_lo, s3
	s_cbranch_execnz .LBB9_45
; %bb.46:
	s_or_b32 exec_lo, exec_lo, s3
	v_mov_b32_e32 v7, 0
	ds_load_b128 v[7:10], v7 offset:128
	s_wait_dscnt 0x0
	v_mul_f64_e32 v[11:12], v[1:2], v[9:10]
	v_mul_f64_e32 v[36:37], v[3:4], v[9:10]
	s_delay_alu instid0(VALU_DEP_2) | instskip(NEXT) | instid1(VALU_DEP_2)
	v_fma_f64 v[9:10], v[3:4], v[7:8], -v[11:12]
	v_fma_f64 v[11:12], v[1:2], v[7:8], v[36:37]
	scratch_store_b128 off, v[9:12], off offset:128
.LBB9_47:
	s_wait_alu 0xfffe
	s_or_b32 exec_lo, exec_lo, s2
	s_wait_loadcnt 0x0
	s_wait_storecnt 0x0
	s_barrier_signal -1
	s_barrier_wait -1
	global_inv scope:SCOPE_SE
	scratch_load_b128 v[1:4], off, s13
	s_mov_b32 s2, exec_lo
	s_wait_loadcnt 0x0
	ds_store_b128 v5, v[1:4]
	s_wait_dscnt 0x0
	s_barrier_signal -1
	s_barrier_wait -1
	global_inv scope:SCOPE_SE
	v_cmpx_ne_u32_e32 9, v33
	s_cbranch_execz .LBB9_51
; %bb.48:
	v_mov_b32_e32 v1, 0
	v_dual_mov_b32 v2, 0 :: v_dual_mov_b32 v3, 0
	v_mov_b32_e32 v4, 0
	v_or_b32_e32 v7, 8, v35
	s_mov_b32 s3, 0
.LBB9_49:                               ; =>This Inner Loop Header: Depth=1
	scratch_load_b128 v[8:11], v7, off offset:-8
	ds_load_b128 v[34:37], v5
	v_add_nc_u32_e32 v6, 1, v6
	v_add_nc_u32_e32 v5, 16, v5
	;; [unrolled: 1-line block ×3, first 2 shown]
	s_delay_alu instid0(VALU_DEP_3)
	v_cmp_lt_u32_e32 vcc_lo, 7, v6
	s_wait_alu 0xfffe
	s_or_b32 s3, vcc_lo, s3
	s_wait_loadcnt_dscnt 0x0
	v_mul_f64_e32 v[38:39], v[36:37], v[10:11]
	v_mul_f64_e32 v[10:11], v[34:35], v[10:11]
	s_delay_alu instid0(VALU_DEP_2) | instskip(NEXT) | instid1(VALU_DEP_2)
	v_fma_f64 v[34:35], v[34:35], v[8:9], -v[38:39]
	v_fma_f64 v[8:9], v[36:37], v[8:9], v[10:11]
	s_delay_alu instid0(VALU_DEP_2) | instskip(NEXT) | instid1(VALU_DEP_2)
	v_add_f64_e32 v[3:4], v[3:4], v[34:35]
	v_add_f64_e32 v[1:2], v[1:2], v[8:9]
	s_wait_alu 0xfffe
	s_and_not1_b32 exec_lo, exec_lo, s3
	s_cbranch_execnz .LBB9_49
; %bb.50:
	s_or_b32 exec_lo, exec_lo, s3
	v_mov_b32_e32 v5, 0
	ds_load_b128 v[5:8], v5 offset:144
	s_wait_dscnt 0x0
	v_mul_f64_e32 v[9:10], v[1:2], v[7:8]
	v_mul_f64_e32 v[7:8], v[3:4], v[7:8]
	s_delay_alu instid0(VALU_DEP_2) | instskip(NEXT) | instid1(VALU_DEP_2)
	v_fma_f64 v[3:4], v[3:4], v[5:6], -v[9:10]
	v_fma_f64 v[5:6], v[1:2], v[5:6], v[7:8]
	scratch_store_b128 off, v[3:6], off offset:144
.LBB9_51:
	s_wait_alu 0xfffe
	s_or_b32 exec_lo, exec_lo, s2
	s_mov_b32 s3, -1
	s_wait_loadcnt 0x0
	s_wait_storecnt 0x0
	s_barrier_signal -1
	s_barrier_wait -1
	global_inv scope:SCOPE_SE
.LBB9_52:
	s_wait_alu 0xfffe
	s_and_b32 vcc_lo, exec_lo, s3
	s_wait_alu 0xfffe
	s_cbranch_vccz .LBB9_54
; %bb.53:
	v_mov_b32_e32 v1, 0
	s_lshl_b64 s[2:3], s[18:19], 2
	s_wait_alu 0xfffe
	s_add_nc_u64 s[2:3], s[6:7], s[2:3]
	global_load_b32 v1, v1, s[2:3]
	s_wait_loadcnt 0x0
	v_cmp_ne_u32_e32 vcc_lo, 0, v1
	s_cbranch_vccz .LBB9_55
.LBB9_54:
	s_endpgm
.LBB9_55:
	v_lshl_add_u32 v5, v33, 4, 0xa0
	s_mov_b32 s2, exec_lo
	v_cmpx_eq_u32_e32 9, v33
	s_cbranch_execz .LBB9_57
; %bb.56:
	scratch_load_b128 v[1:4], off, s14
	v_mov_b32_e32 v6, 0
	s_delay_alu instid0(VALU_DEP_1)
	v_dual_mov_b32 v7, v6 :: v_dual_mov_b32 v8, v6
	v_mov_b32_e32 v9, v6
	scratch_store_b128 off, v[6:9], off offset:128
	s_wait_loadcnt 0x0
	ds_store_b128 v5, v[1:4]
.LBB9_57:
	s_wait_alu 0xfffe
	s_or_b32 exec_lo, exec_lo, s2
	s_wait_storecnt_dscnt 0x0
	s_barrier_signal -1
	s_barrier_wait -1
	global_inv scope:SCOPE_SE
	s_clause 0x1
	scratch_load_b128 v[6:9], off, off offset:144
	scratch_load_b128 v[34:37], off, off offset:128
	v_mov_b32_e32 v1, 0
	s_mov_b32 s2, exec_lo
	ds_load_b128 v[38:41], v1 offset:304
	s_wait_loadcnt_dscnt 0x100
	v_mul_f64_e32 v[2:3], v[40:41], v[8:9]
	v_mul_f64_e32 v[8:9], v[38:39], v[8:9]
	s_delay_alu instid0(VALU_DEP_2) | instskip(NEXT) | instid1(VALU_DEP_2)
	v_fma_f64 v[2:3], v[38:39], v[6:7], -v[2:3]
	v_fma_f64 v[6:7], v[40:41], v[6:7], v[8:9]
	s_delay_alu instid0(VALU_DEP_2) | instskip(NEXT) | instid1(VALU_DEP_2)
	v_add_f64_e32 v[2:3], 0, v[2:3]
	v_add_f64_e32 v[8:9], 0, v[6:7]
	s_wait_loadcnt 0x0
	s_delay_alu instid0(VALU_DEP_2) | instskip(NEXT) | instid1(VALU_DEP_2)
	v_add_f64_e64 v[6:7], v[34:35], -v[2:3]
	v_add_f64_e64 v[8:9], v[36:37], -v[8:9]
	scratch_store_b128 off, v[6:9], off offset:128
	v_cmpx_lt_u32_e32 7, v33
	s_cbranch_execz .LBB9_59
; %bb.58:
	scratch_load_b128 v[6:9], off, s11
	v_dual_mov_b32 v2, v1 :: v_dual_mov_b32 v3, v1
	v_mov_b32_e32 v4, v1
	scratch_store_b128 off, v[1:4], off offset:112
	s_wait_loadcnt 0x0
	ds_store_b128 v5, v[6:9]
.LBB9_59:
	s_wait_alu 0xfffe
	s_or_b32 exec_lo, exec_lo, s2
	s_wait_storecnt_dscnt 0x0
	s_barrier_signal -1
	s_barrier_wait -1
	global_inv scope:SCOPE_SE
	s_clause 0x2
	scratch_load_b128 v[6:9], off, off offset:128
	scratch_load_b128 v[34:37], off, off offset:144
	;; [unrolled: 1-line block ×3, first 2 shown]
	ds_load_b128 v[42:45], v1 offset:288
	ds_load_b128 v[1:4], v1 offset:304
	s_mov_b32 s2, exec_lo
	s_wait_loadcnt_dscnt 0x201
	v_mul_f64_e32 v[10:11], v[44:45], v[8:9]
	v_mul_f64_e32 v[8:9], v[42:43], v[8:9]
	s_wait_loadcnt_dscnt 0x100
	v_mul_f64_e32 v[46:47], v[1:2], v[36:37]
	v_mul_f64_e32 v[36:37], v[3:4], v[36:37]
	s_delay_alu instid0(VALU_DEP_4) | instskip(NEXT) | instid1(VALU_DEP_4)
	v_fma_f64 v[10:11], v[42:43], v[6:7], -v[10:11]
	v_fma_f64 v[6:7], v[44:45], v[6:7], v[8:9]
	s_delay_alu instid0(VALU_DEP_4) | instskip(NEXT) | instid1(VALU_DEP_4)
	v_fma_f64 v[3:4], v[3:4], v[34:35], v[46:47]
	v_fma_f64 v[1:2], v[1:2], v[34:35], -v[36:37]
	s_delay_alu instid0(VALU_DEP_4) | instskip(NEXT) | instid1(VALU_DEP_4)
	v_add_f64_e32 v[8:9], 0, v[10:11]
	v_add_f64_e32 v[6:7], 0, v[6:7]
	s_delay_alu instid0(VALU_DEP_2) | instskip(NEXT) | instid1(VALU_DEP_2)
	v_add_f64_e32 v[1:2], v[8:9], v[1:2]
	v_add_f64_e32 v[3:4], v[6:7], v[3:4]
	s_wait_loadcnt 0x0
	s_delay_alu instid0(VALU_DEP_2) | instskip(NEXT) | instid1(VALU_DEP_2)
	v_add_f64_e64 v[1:2], v[38:39], -v[1:2]
	v_add_f64_e64 v[3:4], v[40:41], -v[3:4]
	scratch_store_b128 off, v[1:4], off offset:112
	v_cmpx_lt_u32_e32 6, v33
	s_cbranch_execz .LBB9_61
; %bb.60:
	scratch_load_b128 v[1:4], off, s12
	v_mov_b32_e32 v6, 0
	s_delay_alu instid0(VALU_DEP_1)
	v_dual_mov_b32 v7, v6 :: v_dual_mov_b32 v8, v6
	v_mov_b32_e32 v9, v6
	scratch_store_b128 off, v[6:9], off offset:96
	s_wait_loadcnt 0x0
	ds_store_b128 v5, v[1:4]
.LBB9_61:
	s_wait_alu 0xfffe
	s_or_b32 exec_lo, exec_lo, s2
	s_wait_storecnt_dscnt 0x0
	s_barrier_signal -1
	s_barrier_wait -1
	global_inv scope:SCOPE_SE
	s_clause 0x3
	scratch_load_b128 v[6:9], off, off offset:112
	scratch_load_b128 v[34:37], off, off offset:128
	;; [unrolled: 1-line block ×4, first 2 shown]
	v_mov_b32_e32 v1, 0
	ds_load_b128 v[46:49], v1 offset:272
	ds_load_b128 v[50:53], v1 offset:288
	s_mov_b32 s2, exec_lo
	s_wait_loadcnt_dscnt 0x301
	v_mul_f64_e32 v[2:3], v[48:49], v[8:9]
	v_mul_f64_e32 v[8:9], v[46:47], v[8:9]
	s_wait_loadcnt_dscnt 0x200
	v_mul_f64_e32 v[10:11], v[50:51], v[36:37]
	v_mul_f64_e32 v[36:37], v[52:53], v[36:37]
	s_delay_alu instid0(VALU_DEP_4) | instskip(NEXT) | instid1(VALU_DEP_4)
	v_fma_f64 v[2:3], v[46:47], v[6:7], -v[2:3]
	v_fma_f64 v[46:47], v[48:49], v[6:7], v[8:9]
	ds_load_b128 v[6:9], v1 offset:304
	v_fma_f64 v[10:11], v[52:53], v[34:35], v[10:11]
	v_fma_f64 v[34:35], v[50:51], v[34:35], -v[36:37]
	s_wait_loadcnt_dscnt 0x100
	v_mul_f64_e32 v[48:49], v[6:7], v[40:41]
	v_mul_f64_e32 v[40:41], v[8:9], v[40:41]
	v_add_f64_e32 v[2:3], 0, v[2:3]
	v_add_f64_e32 v[36:37], 0, v[46:47]
	s_delay_alu instid0(VALU_DEP_4) | instskip(NEXT) | instid1(VALU_DEP_4)
	v_fma_f64 v[8:9], v[8:9], v[38:39], v[48:49]
	v_fma_f64 v[6:7], v[6:7], v[38:39], -v[40:41]
	s_delay_alu instid0(VALU_DEP_4) | instskip(NEXT) | instid1(VALU_DEP_4)
	v_add_f64_e32 v[2:3], v[2:3], v[34:35]
	v_add_f64_e32 v[10:11], v[36:37], v[10:11]
	s_delay_alu instid0(VALU_DEP_2) | instskip(NEXT) | instid1(VALU_DEP_2)
	v_add_f64_e32 v[2:3], v[2:3], v[6:7]
	v_add_f64_e32 v[8:9], v[10:11], v[8:9]
	s_wait_loadcnt 0x0
	s_delay_alu instid0(VALU_DEP_2) | instskip(NEXT) | instid1(VALU_DEP_2)
	v_add_f64_e64 v[6:7], v[42:43], -v[2:3]
	v_add_f64_e64 v[8:9], v[44:45], -v[8:9]
	scratch_store_b128 off, v[6:9], off offset:96
	v_cmpx_lt_u32_e32 5, v33
	s_cbranch_execz .LBB9_63
; %bb.62:
	scratch_load_b128 v[6:9], off, s9
	v_dual_mov_b32 v2, v1 :: v_dual_mov_b32 v3, v1
	v_mov_b32_e32 v4, v1
	scratch_store_b128 off, v[1:4], off offset:80
	s_wait_loadcnt 0x0
	ds_store_b128 v5, v[6:9]
.LBB9_63:
	s_wait_alu 0xfffe
	s_or_b32 exec_lo, exec_lo, s2
	s_wait_storecnt_dscnt 0x0
	s_barrier_signal -1
	s_barrier_wait -1
	global_inv scope:SCOPE_SE
	s_clause 0x4
	scratch_load_b128 v[6:9], off, off offset:96
	scratch_load_b128 v[34:37], off, off offset:112
	;; [unrolled: 1-line block ×5, first 2 shown]
	ds_load_b128 v[50:53], v1 offset:256
	ds_load_b128 v[54:57], v1 offset:272
	s_mov_b32 s2, exec_lo
	s_wait_loadcnt_dscnt 0x401
	v_mul_f64_e32 v[2:3], v[52:53], v[8:9]
	v_mul_f64_e32 v[8:9], v[50:51], v[8:9]
	s_wait_loadcnt_dscnt 0x300
	v_mul_f64_e32 v[10:11], v[54:55], v[36:37]
	v_mul_f64_e32 v[36:37], v[56:57], v[36:37]
	s_delay_alu instid0(VALU_DEP_4) | instskip(NEXT) | instid1(VALU_DEP_4)
	v_fma_f64 v[50:51], v[50:51], v[6:7], -v[2:3]
	v_fma_f64 v[52:53], v[52:53], v[6:7], v[8:9]
	ds_load_b128 v[6:9], v1 offset:288
	ds_load_b128 v[1:4], v1 offset:304
	v_fma_f64 v[10:11], v[56:57], v[34:35], v[10:11]
	v_fma_f64 v[34:35], v[54:55], v[34:35], -v[36:37]
	s_wait_loadcnt_dscnt 0x201
	v_mul_f64_e32 v[58:59], v[6:7], v[40:41]
	v_mul_f64_e32 v[40:41], v[8:9], v[40:41]
	v_add_f64_e32 v[36:37], 0, v[50:51]
	v_add_f64_e32 v[50:51], 0, v[52:53]
	s_wait_loadcnt_dscnt 0x100
	v_mul_f64_e32 v[52:53], v[1:2], v[44:45]
	v_mul_f64_e32 v[44:45], v[3:4], v[44:45]
	v_fma_f64 v[8:9], v[8:9], v[38:39], v[58:59]
	v_fma_f64 v[6:7], v[6:7], v[38:39], -v[40:41]
	v_add_f64_e32 v[34:35], v[36:37], v[34:35]
	v_add_f64_e32 v[10:11], v[50:51], v[10:11]
	v_fma_f64 v[3:4], v[3:4], v[42:43], v[52:53]
	v_fma_f64 v[1:2], v[1:2], v[42:43], -v[44:45]
	s_delay_alu instid0(VALU_DEP_4) | instskip(NEXT) | instid1(VALU_DEP_4)
	v_add_f64_e32 v[6:7], v[34:35], v[6:7]
	v_add_f64_e32 v[8:9], v[10:11], v[8:9]
	s_delay_alu instid0(VALU_DEP_2) | instskip(NEXT) | instid1(VALU_DEP_2)
	v_add_f64_e32 v[1:2], v[6:7], v[1:2]
	v_add_f64_e32 v[3:4], v[8:9], v[3:4]
	s_wait_loadcnt 0x0
	s_delay_alu instid0(VALU_DEP_2) | instskip(NEXT) | instid1(VALU_DEP_2)
	v_add_f64_e64 v[1:2], v[46:47], -v[1:2]
	v_add_f64_e64 v[3:4], v[48:49], -v[3:4]
	scratch_store_b128 off, v[1:4], off offset:80
	v_cmpx_lt_u32_e32 4, v33
	s_cbranch_execz .LBB9_65
; %bb.64:
	scratch_load_b128 v[1:4], off, s10
	v_mov_b32_e32 v6, 0
	s_delay_alu instid0(VALU_DEP_1)
	v_dual_mov_b32 v7, v6 :: v_dual_mov_b32 v8, v6
	v_mov_b32_e32 v9, v6
	scratch_store_b128 off, v[6:9], off offset:64
	s_wait_loadcnt 0x0
	ds_store_b128 v5, v[1:4]
.LBB9_65:
	s_wait_alu 0xfffe
	s_or_b32 exec_lo, exec_lo, s2
	s_wait_storecnt_dscnt 0x0
	s_barrier_signal -1
	s_barrier_wait -1
	global_inv scope:SCOPE_SE
	s_clause 0x5
	scratch_load_b128 v[6:9], off, off offset:80
	scratch_load_b128 v[34:37], off, off offset:96
	;; [unrolled: 1-line block ×6, first 2 shown]
	v_mov_b32_e32 v1, 0
	ds_load_b128 v[54:57], v1 offset:240
	ds_load_b128 v[58:61], v1 offset:256
	s_mov_b32 s2, exec_lo
	s_wait_loadcnt_dscnt 0x501
	v_mul_f64_e32 v[2:3], v[56:57], v[8:9]
	v_mul_f64_e32 v[8:9], v[54:55], v[8:9]
	s_wait_loadcnt_dscnt 0x400
	v_mul_f64_e32 v[10:11], v[58:59], v[36:37]
	v_mul_f64_e32 v[36:37], v[60:61], v[36:37]
	s_delay_alu instid0(VALU_DEP_4) | instskip(NEXT) | instid1(VALU_DEP_4)
	v_fma_f64 v[2:3], v[54:55], v[6:7], -v[2:3]
	v_fma_f64 v[62:63], v[56:57], v[6:7], v[8:9]
	ds_load_b128 v[6:9], v1 offset:272
	ds_load_b128 v[54:57], v1 offset:288
	v_fma_f64 v[10:11], v[60:61], v[34:35], v[10:11]
	v_fma_f64 v[34:35], v[58:59], v[34:35], -v[36:37]
	s_wait_loadcnt_dscnt 0x301
	v_mul_f64_e32 v[64:65], v[6:7], v[40:41]
	v_mul_f64_e32 v[40:41], v[8:9], v[40:41]
	s_wait_loadcnt_dscnt 0x200
	v_mul_f64_e32 v[58:59], v[54:55], v[44:45]
	v_mul_f64_e32 v[44:45], v[56:57], v[44:45]
	v_add_f64_e32 v[2:3], 0, v[2:3]
	v_add_f64_e32 v[36:37], 0, v[62:63]
	v_fma_f64 v[60:61], v[8:9], v[38:39], v[64:65]
	v_fma_f64 v[38:39], v[6:7], v[38:39], -v[40:41]
	ds_load_b128 v[6:9], v1 offset:304
	v_fma_f64 v[40:41], v[56:57], v[42:43], v[58:59]
	v_fma_f64 v[42:43], v[54:55], v[42:43], -v[44:45]
	v_add_f64_e32 v[2:3], v[2:3], v[34:35]
	v_add_f64_e32 v[10:11], v[36:37], v[10:11]
	s_wait_loadcnt_dscnt 0x100
	v_mul_f64_e32 v[34:35], v[6:7], v[48:49]
	v_mul_f64_e32 v[36:37], v[8:9], v[48:49]
	s_delay_alu instid0(VALU_DEP_4) | instskip(NEXT) | instid1(VALU_DEP_4)
	v_add_f64_e32 v[2:3], v[2:3], v[38:39]
	v_add_f64_e32 v[10:11], v[10:11], v[60:61]
	s_delay_alu instid0(VALU_DEP_4) | instskip(NEXT) | instid1(VALU_DEP_4)
	v_fma_f64 v[8:9], v[8:9], v[46:47], v[34:35]
	v_fma_f64 v[6:7], v[6:7], v[46:47], -v[36:37]
	s_delay_alu instid0(VALU_DEP_4) | instskip(NEXT) | instid1(VALU_DEP_4)
	v_add_f64_e32 v[2:3], v[2:3], v[42:43]
	v_add_f64_e32 v[10:11], v[10:11], v[40:41]
	s_delay_alu instid0(VALU_DEP_2) | instskip(NEXT) | instid1(VALU_DEP_2)
	v_add_f64_e32 v[2:3], v[2:3], v[6:7]
	v_add_f64_e32 v[8:9], v[10:11], v[8:9]
	s_wait_loadcnt 0x0
	s_delay_alu instid0(VALU_DEP_2) | instskip(NEXT) | instid1(VALU_DEP_2)
	v_add_f64_e64 v[6:7], v[50:51], -v[2:3]
	v_add_f64_e64 v[8:9], v[52:53], -v[8:9]
	scratch_store_b128 off, v[6:9], off offset:64
	v_cmpx_lt_u32_e32 3, v33
	s_cbranch_execz .LBB9_67
; %bb.66:
	scratch_load_b128 v[6:9], off, s5
	v_dual_mov_b32 v2, v1 :: v_dual_mov_b32 v3, v1
	v_mov_b32_e32 v4, v1
	scratch_store_b128 off, v[1:4], off offset:48
	s_wait_loadcnt 0x0
	ds_store_b128 v5, v[6:9]
.LBB9_67:
	s_wait_alu 0xfffe
	s_or_b32 exec_lo, exec_lo, s2
	s_wait_storecnt_dscnt 0x0
	s_barrier_signal -1
	s_barrier_wait -1
	global_inv scope:SCOPE_SE
	s_clause 0x5
	scratch_load_b128 v[6:9], off, off offset:64
	scratch_load_b128 v[34:37], off, off offset:80
	;; [unrolled: 1-line block ×6, first 2 shown]
	ds_load_b128 v[54:57], v1 offset:224
	ds_load_b128 v[62:65], v1 offset:240
	scratch_load_b128 v[58:61], off, off offset:48
	s_mov_b32 s2, exec_lo
	s_wait_loadcnt_dscnt 0x601
	v_mul_f64_e32 v[2:3], v[56:57], v[8:9]
	v_mul_f64_e32 v[8:9], v[54:55], v[8:9]
	s_wait_loadcnt_dscnt 0x500
	v_mul_f64_e32 v[10:11], v[62:63], v[36:37]
	v_mul_f64_e32 v[36:37], v[64:65], v[36:37]
	s_delay_alu instid0(VALU_DEP_4) | instskip(NEXT) | instid1(VALU_DEP_4)
	v_fma_f64 v[2:3], v[54:55], v[6:7], -v[2:3]
	v_fma_f64 v[66:67], v[56:57], v[6:7], v[8:9]
	ds_load_b128 v[6:9], v1 offset:256
	ds_load_b128 v[54:57], v1 offset:272
	v_fma_f64 v[10:11], v[64:65], v[34:35], v[10:11]
	v_fma_f64 v[34:35], v[62:63], v[34:35], -v[36:37]
	s_wait_loadcnt_dscnt 0x401
	v_mul_f64_e32 v[68:69], v[6:7], v[40:41]
	v_mul_f64_e32 v[40:41], v[8:9], v[40:41]
	s_wait_loadcnt_dscnt 0x300
	v_mul_f64_e32 v[62:63], v[54:55], v[44:45]
	v_mul_f64_e32 v[44:45], v[56:57], v[44:45]
	v_add_f64_e32 v[2:3], 0, v[2:3]
	v_add_f64_e32 v[36:37], 0, v[66:67]
	v_fma_f64 v[64:65], v[8:9], v[38:39], v[68:69]
	v_fma_f64 v[38:39], v[6:7], v[38:39], -v[40:41]
	s_delay_alu instid0(VALU_DEP_4) | instskip(NEXT) | instid1(VALU_DEP_4)
	v_add_f64_e32 v[34:35], v[2:3], v[34:35]
	v_add_f64_e32 v[10:11], v[36:37], v[10:11]
	ds_load_b128 v[6:9], v1 offset:288
	ds_load_b128 v[1:4], v1 offset:304
	s_wait_loadcnt_dscnt 0x201
	v_mul_f64_e32 v[36:37], v[6:7], v[48:49]
	v_mul_f64_e32 v[40:41], v[8:9], v[48:49]
	v_fma_f64 v[48:49], v[56:57], v[42:43], v[62:63]
	v_fma_f64 v[42:43], v[54:55], v[42:43], -v[44:45]
	s_wait_loadcnt_dscnt 0x100
	v_mul_f64_e32 v[44:45], v[3:4], v[52:53]
	v_add_f64_e32 v[34:35], v[34:35], v[38:39]
	v_add_f64_e32 v[10:11], v[10:11], v[64:65]
	v_mul_f64_e32 v[38:39], v[1:2], v[52:53]
	v_fma_f64 v[8:9], v[8:9], v[46:47], v[36:37]
	v_fma_f64 v[6:7], v[6:7], v[46:47], -v[40:41]
	v_fma_f64 v[1:2], v[1:2], v[50:51], -v[44:45]
	v_add_f64_e32 v[34:35], v[34:35], v[42:43]
	v_add_f64_e32 v[10:11], v[10:11], v[48:49]
	v_fma_f64 v[3:4], v[3:4], v[50:51], v[38:39]
	s_delay_alu instid0(VALU_DEP_3) | instskip(NEXT) | instid1(VALU_DEP_3)
	v_add_f64_e32 v[6:7], v[34:35], v[6:7]
	v_add_f64_e32 v[8:9], v[10:11], v[8:9]
	s_delay_alu instid0(VALU_DEP_2) | instskip(NEXT) | instid1(VALU_DEP_2)
	v_add_f64_e32 v[1:2], v[6:7], v[1:2]
	v_add_f64_e32 v[3:4], v[8:9], v[3:4]
	s_wait_loadcnt 0x0
	s_delay_alu instid0(VALU_DEP_2) | instskip(NEXT) | instid1(VALU_DEP_2)
	v_add_f64_e64 v[1:2], v[58:59], -v[1:2]
	v_add_f64_e64 v[3:4], v[60:61], -v[3:4]
	scratch_store_b128 off, v[1:4], off offset:48
	v_cmpx_lt_u32_e32 2, v33
	s_cbranch_execz .LBB9_69
; %bb.68:
	scratch_load_b128 v[1:4], off, s8
	v_mov_b32_e32 v6, 0
	s_delay_alu instid0(VALU_DEP_1)
	v_dual_mov_b32 v7, v6 :: v_dual_mov_b32 v8, v6
	v_mov_b32_e32 v9, v6
	scratch_store_b128 off, v[6:9], off offset:32
	s_wait_loadcnt 0x0
	ds_store_b128 v5, v[1:4]
.LBB9_69:
	s_wait_alu 0xfffe
	s_or_b32 exec_lo, exec_lo, s2
	s_wait_storecnt_dscnt 0x0
	s_barrier_signal -1
	s_barrier_wait -1
	global_inv scope:SCOPE_SE
	s_clause 0x6
	scratch_load_b128 v[6:9], off, off offset:48
	scratch_load_b128 v[34:37], off, off offset:64
	;; [unrolled: 1-line block ×7, first 2 shown]
	v_mov_b32_e32 v1, 0
	scratch_load_b128 v[62:65], off, off offset:32
	s_mov_b32 s2, exec_lo
	ds_load_b128 v[58:61], v1 offset:208
	ds_load_b128 v[66:69], v1 offset:224
	s_wait_loadcnt_dscnt 0x701
	v_mul_f64_e32 v[2:3], v[60:61], v[8:9]
	v_mul_f64_e32 v[8:9], v[58:59], v[8:9]
	s_wait_loadcnt_dscnt 0x600
	v_mul_f64_e32 v[10:11], v[66:67], v[36:37]
	v_mul_f64_e32 v[36:37], v[68:69], v[36:37]
	s_delay_alu instid0(VALU_DEP_4) | instskip(NEXT) | instid1(VALU_DEP_4)
	v_fma_f64 v[2:3], v[58:59], v[6:7], -v[2:3]
	v_fma_f64 v[70:71], v[60:61], v[6:7], v[8:9]
	ds_load_b128 v[6:9], v1 offset:240
	ds_load_b128 v[58:61], v1 offset:256
	v_fma_f64 v[10:11], v[68:69], v[34:35], v[10:11]
	v_fma_f64 v[34:35], v[66:67], v[34:35], -v[36:37]
	s_wait_loadcnt_dscnt 0x501
	v_mul_f64_e32 v[72:73], v[6:7], v[40:41]
	v_mul_f64_e32 v[40:41], v[8:9], v[40:41]
	s_wait_loadcnt_dscnt 0x400
	v_mul_f64_e32 v[66:67], v[58:59], v[44:45]
	v_mul_f64_e32 v[44:45], v[60:61], v[44:45]
	v_add_f64_e32 v[2:3], 0, v[2:3]
	v_add_f64_e32 v[36:37], 0, v[70:71]
	v_fma_f64 v[68:69], v[8:9], v[38:39], v[72:73]
	v_fma_f64 v[38:39], v[6:7], v[38:39], -v[40:41]
	v_fma_f64 v[60:61], v[60:61], v[42:43], v[66:67]
	v_fma_f64 v[42:43], v[58:59], v[42:43], -v[44:45]
	v_add_f64_e32 v[2:3], v[2:3], v[34:35]
	v_add_f64_e32 v[10:11], v[36:37], v[10:11]
	ds_load_b128 v[6:9], v1 offset:272
	ds_load_b128 v[34:37], v1 offset:288
	s_wait_loadcnt_dscnt 0x301
	v_mul_f64_e32 v[40:41], v[6:7], v[48:49]
	v_mul_f64_e32 v[48:49], v[8:9], v[48:49]
	s_wait_loadcnt_dscnt 0x200
	v_mul_f64_e32 v[44:45], v[36:37], v[52:53]
	v_add_f64_e32 v[2:3], v[2:3], v[38:39]
	v_add_f64_e32 v[10:11], v[10:11], v[68:69]
	v_mul_f64_e32 v[38:39], v[34:35], v[52:53]
	v_fma_f64 v[40:41], v[8:9], v[46:47], v[40:41]
	v_fma_f64 v[46:47], v[6:7], v[46:47], -v[48:49]
	ds_load_b128 v[6:9], v1 offset:304
	v_fma_f64 v[34:35], v[34:35], v[50:51], -v[44:45]
	v_add_f64_e32 v[2:3], v[2:3], v[42:43]
	v_add_f64_e32 v[10:11], v[10:11], v[60:61]
	v_fma_f64 v[36:37], v[36:37], v[50:51], v[38:39]
	s_wait_loadcnt_dscnt 0x100
	v_mul_f64_e32 v[42:43], v[6:7], v[56:57]
	v_mul_f64_e32 v[48:49], v[8:9], v[56:57]
	v_add_f64_e32 v[2:3], v[2:3], v[46:47]
	v_add_f64_e32 v[10:11], v[10:11], v[40:41]
	s_delay_alu instid0(VALU_DEP_4) | instskip(NEXT) | instid1(VALU_DEP_4)
	v_fma_f64 v[8:9], v[8:9], v[54:55], v[42:43]
	v_fma_f64 v[6:7], v[6:7], v[54:55], -v[48:49]
	s_delay_alu instid0(VALU_DEP_4) | instskip(NEXT) | instid1(VALU_DEP_4)
	v_add_f64_e32 v[2:3], v[2:3], v[34:35]
	v_add_f64_e32 v[10:11], v[10:11], v[36:37]
	s_delay_alu instid0(VALU_DEP_2) | instskip(NEXT) | instid1(VALU_DEP_2)
	v_add_f64_e32 v[2:3], v[2:3], v[6:7]
	v_add_f64_e32 v[8:9], v[10:11], v[8:9]
	s_wait_loadcnt 0x0
	s_delay_alu instid0(VALU_DEP_2) | instskip(NEXT) | instid1(VALU_DEP_2)
	v_add_f64_e64 v[6:7], v[62:63], -v[2:3]
	v_add_f64_e64 v[8:9], v[64:65], -v[8:9]
	scratch_store_b128 off, v[6:9], off offset:32
	v_cmpx_lt_u32_e32 1, v33
	s_cbranch_execz .LBB9_71
; %bb.70:
	scratch_load_b128 v[6:9], off, s4
	v_dual_mov_b32 v2, v1 :: v_dual_mov_b32 v3, v1
	v_mov_b32_e32 v4, v1
	scratch_store_b128 off, v[1:4], off offset:16
	s_wait_loadcnt 0x0
	ds_store_b128 v5, v[6:9]
.LBB9_71:
	s_wait_alu 0xfffe
	s_or_b32 exec_lo, exec_lo, s2
	s_wait_storecnt_dscnt 0x0
	s_barrier_signal -1
	s_barrier_wait -1
	global_inv scope:SCOPE_SE
	s_clause 0x7
	scratch_load_b128 v[6:9], off, off offset:32
	scratch_load_b128 v[34:37], off, off offset:48
	;; [unrolled: 1-line block ×8, first 2 shown]
	ds_load_b128 v[62:65], v1 offset:192
	ds_load_b128 v[66:69], v1 offset:208
	scratch_load_b128 v[70:73], off, off offset:16
	s_mov_b32 s2, exec_lo
	s_wait_loadcnt_dscnt 0x801
	v_mul_f64_e32 v[2:3], v[64:65], v[8:9]
	v_mul_f64_e32 v[8:9], v[62:63], v[8:9]
	s_wait_loadcnt_dscnt 0x700
	v_mul_f64_e32 v[10:11], v[66:67], v[36:37]
	v_mul_f64_e32 v[36:37], v[68:69], v[36:37]
	s_delay_alu instid0(VALU_DEP_4) | instskip(NEXT) | instid1(VALU_DEP_4)
	v_fma_f64 v[2:3], v[62:63], v[6:7], -v[2:3]
	v_fma_f64 v[74:75], v[64:65], v[6:7], v[8:9]
	ds_load_b128 v[6:9], v1 offset:224
	ds_load_b128 v[62:65], v1 offset:240
	v_fma_f64 v[10:11], v[68:69], v[34:35], v[10:11]
	v_fma_f64 v[34:35], v[66:67], v[34:35], -v[36:37]
	s_wait_loadcnt_dscnt 0x601
	v_mul_f64_e32 v[76:77], v[6:7], v[40:41]
	v_mul_f64_e32 v[40:41], v[8:9], v[40:41]
	s_wait_loadcnt_dscnt 0x500
	v_mul_f64_e32 v[66:67], v[62:63], v[44:45]
	v_mul_f64_e32 v[44:45], v[64:65], v[44:45]
	v_add_f64_e32 v[2:3], 0, v[2:3]
	v_add_f64_e32 v[36:37], 0, v[74:75]
	v_fma_f64 v[68:69], v[8:9], v[38:39], v[76:77]
	v_fma_f64 v[38:39], v[6:7], v[38:39], -v[40:41]
	v_fma_f64 v[64:65], v[64:65], v[42:43], v[66:67]
	v_fma_f64 v[42:43], v[62:63], v[42:43], -v[44:45]
	v_add_f64_e32 v[2:3], v[2:3], v[34:35]
	v_add_f64_e32 v[10:11], v[36:37], v[10:11]
	ds_load_b128 v[6:9], v1 offset:256
	ds_load_b128 v[34:37], v1 offset:272
	s_wait_loadcnt_dscnt 0x401
	v_mul_f64_e32 v[40:41], v[6:7], v[48:49]
	v_mul_f64_e32 v[48:49], v[8:9], v[48:49]
	s_wait_loadcnt_dscnt 0x300
	v_mul_f64_e32 v[44:45], v[36:37], v[52:53]
	v_add_f64_e32 v[2:3], v[2:3], v[38:39]
	v_add_f64_e32 v[10:11], v[10:11], v[68:69]
	v_mul_f64_e32 v[38:39], v[34:35], v[52:53]
	v_fma_f64 v[40:41], v[8:9], v[46:47], v[40:41]
	v_fma_f64 v[46:47], v[6:7], v[46:47], -v[48:49]
	v_fma_f64 v[34:35], v[34:35], v[50:51], -v[44:45]
	v_add_f64_e32 v[42:43], v[2:3], v[42:43]
	v_add_f64_e32 v[10:11], v[10:11], v[64:65]
	ds_load_b128 v[6:9], v1 offset:288
	ds_load_b128 v[1:4], v1 offset:304
	v_fma_f64 v[36:37], v[36:37], v[50:51], v[38:39]
	s_wait_loadcnt_dscnt 0x201
	v_mul_f64_e32 v[48:49], v[6:7], v[56:57]
	v_mul_f64_e32 v[52:53], v[8:9], v[56:57]
	v_add_f64_e32 v[38:39], v[42:43], v[46:47]
	v_add_f64_e32 v[10:11], v[10:11], v[40:41]
	s_wait_loadcnt_dscnt 0x100
	v_mul_f64_e32 v[40:41], v[1:2], v[60:61]
	v_mul_f64_e32 v[42:43], v[3:4], v[60:61]
	v_fma_f64 v[8:9], v[8:9], v[54:55], v[48:49]
	v_fma_f64 v[6:7], v[6:7], v[54:55], -v[52:53]
	v_add_f64_e32 v[34:35], v[38:39], v[34:35]
	v_add_f64_e32 v[10:11], v[10:11], v[36:37]
	v_fma_f64 v[3:4], v[3:4], v[58:59], v[40:41]
	v_fma_f64 v[1:2], v[1:2], v[58:59], -v[42:43]
	s_delay_alu instid0(VALU_DEP_4) | instskip(NEXT) | instid1(VALU_DEP_4)
	v_add_f64_e32 v[6:7], v[34:35], v[6:7]
	v_add_f64_e32 v[8:9], v[10:11], v[8:9]
	s_delay_alu instid0(VALU_DEP_2) | instskip(NEXT) | instid1(VALU_DEP_2)
	v_add_f64_e32 v[1:2], v[6:7], v[1:2]
	v_add_f64_e32 v[3:4], v[8:9], v[3:4]
	s_wait_loadcnt 0x0
	s_delay_alu instid0(VALU_DEP_2) | instskip(NEXT) | instid1(VALU_DEP_2)
	v_add_f64_e64 v[1:2], v[70:71], -v[1:2]
	v_add_f64_e64 v[3:4], v[72:73], -v[3:4]
	scratch_store_b128 off, v[1:4], off offset:16
	v_cmpx_ne_u32_e32 0, v33
	s_cbranch_execz .LBB9_73
; %bb.72:
	scratch_load_b128 v[1:4], off, off
	v_mov_b32_e32 v6, 0
	s_delay_alu instid0(VALU_DEP_1)
	v_dual_mov_b32 v7, v6 :: v_dual_mov_b32 v8, v6
	v_mov_b32_e32 v9, v6
	scratch_store_b128 off, v[6:9], off
	s_wait_loadcnt 0x0
	ds_store_b128 v5, v[1:4]
.LBB9_73:
	s_wait_alu 0xfffe
	s_or_b32 exec_lo, exec_lo, s2
	s_wait_storecnt_dscnt 0x0
	s_barrier_signal -1
	s_barrier_wait -1
	global_inv scope:SCOPE_SE
	s_clause 0x7
	scratch_load_b128 v[2:5], off, off offset:16
	scratch_load_b128 v[6:9], off, off offset:32
	scratch_load_b128 v[34:37], off, off offset:48
	scratch_load_b128 v[38:41], off, off offset:64
	scratch_load_b128 v[42:45], off, off offset:80
	scratch_load_b128 v[46:49], off, off offset:96
	scratch_load_b128 v[50:53], off, off offset:112
	scratch_load_b128 v[54:57], off, off offset:128
	v_mov_b32_e32 v1, 0
	s_and_b32 vcc_lo, exec_lo, s20
	ds_load_b128 v[58:61], v1 offset:176
	s_clause 0x1
	scratch_load_b128 v[62:65], off, off offset:144
	scratch_load_b128 v[66:69], off, off
	ds_load_b128 v[70:73], v1 offset:192
	s_wait_loadcnt_dscnt 0x901
	v_mul_f64_e32 v[10:11], v[60:61], v[4:5]
	v_mul_f64_e32 v[4:5], v[58:59], v[4:5]
	s_wait_loadcnt_dscnt 0x800
	v_mul_f64_e32 v[74:75], v[70:71], v[8:9]
	v_mul_f64_e32 v[76:77], v[72:73], v[8:9]
	s_delay_alu instid0(VALU_DEP_4) | instskip(NEXT) | instid1(VALU_DEP_4)
	v_fma_f64 v[58:59], v[58:59], v[2:3], -v[10:11]
	v_fma_f64 v[60:61], v[60:61], v[2:3], v[4:5]
	ds_load_b128 v[2:5], v1 offset:208
	ds_load_b128 v[8:11], v1 offset:224
	v_fma_f64 v[72:73], v[72:73], v[6:7], v[74:75]
	v_fma_f64 v[6:7], v[70:71], v[6:7], -v[76:77]
	s_wait_loadcnt_dscnt 0x701
	v_mul_f64_e32 v[78:79], v[2:3], v[36:37]
	v_mul_f64_e32 v[36:37], v[4:5], v[36:37]
	s_wait_loadcnt_dscnt 0x600
	v_mul_f64_e32 v[70:71], v[8:9], v[40:41]
	v_mul_f64_e32 v[40:41], v[10:11], v[40:41]
	v_add_f64_e32 v[58:59], 0, v[58:59]
	v_add_f64_e32 v[60:61], 0, v[60:61]
	v_fma_f64 v[74:75], v[4:5], v[34:35], v[78:79]
	v_fma_f64 v[76:77], v[2:3], v[34:35], -v[36:37]
	ds_load_b128 v[2:5], v1 offset:240
	ds_load_b128 v[34:37], v1 offset:256
	v_fma_f64 v[10:11], v[10:11], v[38:39], v[70:71]
	v_fma_f64 v[8:9], v[8:9], v[38:39], -v[40:41]
	v_add_f64_e32 v[6:7], v[58:59], v[6:7]
	v_add_f64_e32 v[58:59], v[60:61], v[72:73]
	s_wait_loadcnt_dscnt 0x501
	v_mul_f64_e32 v[60:61], v[2:3], v[44:45]
	v_mul_f64_e32 v[44:45], v[4:5], v[44:45]
	s_wait_loadcnt_dscnt 0x400
	v_mul_f64_e32 v[40:41], v[34:35], v[48:49]
	v_mul_f64_e32 v[48:49], v[36:37], v[48:49]
	v_add_f64_e32 v[6:7], v[6:7], v[76:77]
	v_add_f64_e32 v[38:39], v[58:59], v[74:75]
	v_fma_f64 v[58:59], v[4:5], v[42:43], v[60:61]
	v_fma_f64 v[42:43], v[2:3], v[42:43], -v[44:45]
	v_fma_f64 v[36:37], v[36:37], v[46:47], v[40:41]
	v_fma_f64 v[34:35], v[34:35], v[46:47], -v[48:49]
	v_add_f64_e32 v[44:45], v[6:7], v[8:9]
	v_add_f64_e32 v[10:11], v[38:39], v[10:11]
	ds_load_b128 v[2:5], v1 offset:272
	ds_load_b128 v[6:9], v1 offset:288
	s_wait_loadcnt_dscnt 0x301
	v_mul_f64_e32 v[38:39], v[2:3], v[52:53]
	v_mul_f64_e32 v[52:53], v[4:5], v[52:53]
	v_add_f64_e32 v[40:41], v[44:45], v[42:43]
	v_add_f64_e32 v[10:11], v[10:11], v[58:59]
	s_wait_loadcnt_dscnt 0x200
	v_mul_f64_e32 v[42:43], v[6:7], v[56:57]
	v_mul_f64_e32 v[44:45], v[8:9], v[56:57]
	v_fma_f64 v[38:39], v[4:5], v[50:51], v[38:39]
	v_fma_f64 v[46:47], v[2:3], v[50:51], -v[52:53]
	ds_load_b128 v[2:5], v1 offset:304
	v_add_f64_e32 v[34:35], v[40:41], v[34:35]
	v_add_f64_e32 v[10:11], v[10:11], v[36:37]
	v_fma_f64 v[8:9], v[8:9], v[54:55], v[42:43]
	v_fma_f64 v[6:7], v[6:7], v[54:55], -v[44:45]
	s_wait_loadcnt_dscnt 0x100
	v_mul_f64_e32 v[36:37], v[2:3], v[64:65]
	v_mul_f64_e32 v[40:41], v[4:5], v[64:65]
	v_add_f64_e32 v[34:35], v[34:35], v[46:47]
	v_add_f64_e32 v[10:11], v[10:11], v[38:39]
	s_delay_alu instid0(VALU_DEP_4) | instskip(NEXT) | instid1(VALU_DEP_4)
	v_fma_f64 v[4:5], v[4:5], v[62:63], v[36:37]
	v_fma_f64 v[2:3], v[2:3], v[62:63], -v[40:41]
	s_delay_alu instid0(VALU_DEP_4) | instskip(NEXT) | instid1(VALU_DEP_4)
	v_add_f64_e32 v[6:7], v[34:35], v[6:7]
	v_add_f64_e32 v[8:9], v[10:11], v[8:9]
	s_delay_alu instid0(VALU_DEP_2) | instskip(NEXT) | instid1(VALU_DEP_2)
	v_add_f64_e32 v[2:3], v[6:7], v[2:3]
	v_add_f64_e32 v[4:5], v[8:9], v[4:5]
	s_wait_loadcnt 0x0
	s_delay_alu instid0(VALU_DEP_2) | instskip(NEXT) | instid1(VALU_DEP_2)
	v_add_f64_e64 v[2:3], v[66:67], -v[2:3]
	v_add_f64_e64 v[4:5], v[68:69], -v[4:5]
	scratch_store_b128 off, v[2:5], off
	s_wait_alu 0xfffe
	s_cbranch_vccz .LBB9_92
; %bb.74:
	global_load_b32 v1, v1, s[16:17] offset:32
	s_load_b64 s[0:1], s[0:1], 0x4
	v_bfe_u32 v2, v0, 10, 10
	v_bfe_u32 v0, v0, 20, 10
	s_wait_kmcnt 0x0
	s_lshr_b32 s0, s0, 16
	s_delay_alu instid0(VALU_DEP_2) | instskip(SKIP_3) | instid1(VALU_DEP_1)
	v_mul_u32_u24_e32 v2, s1, v2
	s_mul_i32 s0, s0, s1
	s_wait_alu 0xfffe
	v_mul_u32_u24_e32 v3, s0, v33
	v_add3_u32 v0, v3, v2, v0
	s_delay_alu instid0(VALU_DEP_1)
	v_lshl_add_u32 v0, v0, 4, 0x148
	s_wait_loadcnt 0x0
	v_cmp_ne_u32_e32 vcc_lo, 9, v1
	s_cbranch_vccz .LBB9_76
; %bb.75:
	v_lshlrev_b32_e32 v1, 4, v1
	s_delay_alu instid0(VALU_DEP_1)
	v_mov_b32_e32 v9, v1
	s_clause 0x1
	scratch_load_b128 v[1:4], off, s14
	scratch_load_b128 v[5:8], v9, off offset:-16
	s_wait_loadcnt 0x1
	ds_store_2addr_b64 v0, v[1:2], v[3:4] offset1:1
	s_wait_loadcnt 0x0
	s_clause 0x1
	scratch_store_b128 off, v[5:8], s14
	scratch_store_b128 v9, v[1:4], off offset:-16
.LBB9_76:
	v_mov_b32_e32 v1, 0
	global_load_b32 v2, v1, s[16:17] offset:28
	s_wait_loadcnt 0x0
	v_cmp_eq_u32_e32 vcc_lo, 8, v2
	s_cbranch_vccnz .LBB9_78
; %bb.77:
	v_lshlrev_b32_e32 v2, 4, v2
	s_delay_alu instid0(VALU_DEP_1)
	v_mov_b32_e32 v10, v2
	s_clause 0x1
	scratch_load_b128 v[2:5], off, s11
	scratch_load_b128 v[6:9], v10, off offset:-16
	s_wait_loadcnt 0x1
	ds_store_2addr_b64 v0, v[2:3], v[4:5] offset1:1
	s_wait_loadcnt 0x0
	s_clause 0x1
	scratch_store_b128 off, v[6:9], s11
	scratch_store_b128 v10, v[2:5], off offset:-16
.LBB9_78:
	global_load_b32 v1, v1, s[16:17] offset:24
	s_wait_loadcnt 0x0
	v_cmp_eq_u32_e32 vcc_lo, 7, v1
	s_cbranch_vccnz .LBB9_80
; %bb.79:
	v_lshlrev_b32_e32 v1, 4, v1
	s_delay_alu instid0(VALU_DEP_1)
	v_mov_b32_e32 v9, v1
	s_clause 0x1
	scratch_load_b128 v[1:4], off, s12
	scratch_load_b128 v[5:8], v9, off offset:-16
	s_wait_loadcnt 0x1
	ds_store_2addr_b64 v0, v[1:2], v[3:4] offset1:1
	s_wait_loadcnt 0x0
	s_clause 0x1
	scratch_store_b128 off, v[5:8], s12
	scratch_store_b128 v9, v[1:4], off offset:-16
.LBB9_80:
	v_mov_b32_e32 v1, 0
	global_load_b32 v2, v1, s[16:17] offset:20
	s_wait_loadcnt 0x0
	v_cmp_eq_u32_e32 vcc_lo, 6, v2
	s_cbranch_vccnz .LBB9_82
; %bb.81:
	v_lshlrev_b32_e32 v2, 4, v2
	s_delay_alu instid0(VALU_DEP_1)
	v_mov_b32_e32 v10, v2
	s_clause 0x1
	scratch_load_b128 v[2:5], off, s9
	scratch_load_b128 v[6:9], v10, off offset:-16
	s_wait_loadcnt 0x1
	ds_store_2addr_b64 v0, v[2:3], v[4:5] offset1:1
	s_wait_loadcnt 0x0
	s_clause 0x1
	scratch_store_b128 off, v[6:9], s9
	scratch_store_b128 v10, v[2:5], off offset:-16
.LBB9_82:
	global_load_b32 v1, v1, s[16:17] offset:16
	s_wait_loadcnt 0x0
	v_cmp_eq_u32_e32 vcc_lo, 5, v1
	s_cbranch_vccnz .LBB9_84
; %bb.83:
	v_lshlrev_b32_e32 v1, 4, v1
	s_delay_alu instid0(VALU_DEP_1)
	v_mov_b32_e32 v9, v1
	s_clause 0x1
	scratch_load_b128 v[1:4], off, s10
	scratch_load_b128 v[5:8], v9, off offset:-16
	s_wait_loadcnt 0x1
	ds_store_2addr_b64 v0, v[1:2], v[3:4] offset1:1
	s_wait_loadcnt 0x0
	s_clause 0x1
	scratch_store_b128 off, v[5:8], s10
	scratch_store_b128 v9, v[1:4], off offset:-16
.LBB9_84:
	;; [unrolled: 37-line block ×3, first 2 shown]
	v_mov_b32_e32 v1, 0
	global_load_b32 v2, v1, s[16:17] offset:4
	s_wait_loadcnt 0x0
	v_cmp_eq_u32_e32 vcc_lo, 2, v2
	s_cbranch_vccnz .LBB9_90
; %bb.89:
	v_lshlrev_b32_e32 v2, 4, v2
	s_delay_alu instid0(VALU_DEP_1)
	v_mov_b32_e32 v10, v2
	s_clause 0x1
	scratch_load_b128 v[2:5], off, s4
	scratch_load_b128 v[6:9], v10, off offset:-16
	s_wait_loadcnt 0x1
	ds_store_2addr_b64 v0, v[2:3], v[4:5] offset1:1
	s_wait_loadcnt 0x0
	s_clause 0x1
	scratch_store_b128 off, v[6:9], s4
	scratch_store_b128 v10, v[2:5], off offset:-16
.LBB9_90:
	global_load_b32 v1, v1, s[16:17]
	s_wait_loadcnt 0x0
	v_cmp_eq_u32_e32 vcc_lo, 1, v1
	s_cbranch_vccnz .LBB9_92
; %bb.91:
	v_lshlrev_b32_e32 v1, 4, v1
	s_delay_alu instid0(VALU_DEP_1)
	v_mov_b32_e32 v9, v1
	scratch_load_b128 v[1:4], off, off
	scratch_load_b128 v[5:8], v9, off offset:-16
	s_wait_loadcnt 0x1
	ds_store_2addr_b64 v0, v[1:2], v[3:4] offset1:1
	s_wait_loadcnt 0x0
	scratch_store_b128 off, v[5:8], off
	scratch_store_b128 v9, v[1:4], off offset:-16
.LBB9_92:
	scratch_load_b128 v[0:3], off, off
	s_clause 0x8
	scratch_load_b128 v[4:7], off, s4
	scratch_load_b128 v[8:11], off, s8
	;; [unrolled: 1-line block ×9, first 2 shown]
	s_wait_loadcnt 0x9
	global_store_b128 v[13:14], v[0:3], off
	s_wait_loadcnt 0x8
	global_store_b128 v[15:16], v[4:7], off
	;; [unrolled: 2-line block ×10, first 2 shown]
	s_endpgm
	.section	.rodata,"a",@progbits
	.p2align	6, 0x0
	.amdhsa_kernel _ZN9rocsolver6v33100L18getri_kernel_smallILi10E19rocblas_complex_numIdEPS3_EEvT1_iilPiilS6_bb
		.amdhsa_group_segment_fixed_size 1352
		.amdhsa_private_segment_fixed_size 176
		.amdhsa_kernarg_size 60
		.amdhsa_user_sgpr_count 4
		.amdhsa_user_sgpr_dispatch_ptr 1
		.amdhsa_user_sgpr_queue_ptr 0
		.amdhsa_user_sgpr_kernarg_segment_ptr 1
		.amdhsa_user_sgpr_dispatch_id 0
		.amdhsa_user_sgpr_private_segment_size 0
		.amdhsa_wavefront_size32 1
		.amdhsa_uses_dynamic_stack 0
		.amdhsa_enable_private_segment 1
		.amdhsa_system_sgpr_workgroup_id_x 1
		.amdhsa_system_sgpr_workgroup_id_y 0
		.amdhsa_system_sgpr_workgroup_id_z 0
		.amdhsa_system_sgpr_workgroup_info 0
		.amdhsa_system_vgpr_workitem_id 2
		.amdhsa_next_free_vgpr 80
		.amdhsa_next_free_sgpr 24
		.amdhsa_reserve_vcc 1
		.amdhsa_float_round_mode_32 0
		.amdhsa_float_round_mode_16_64 0
		.amdhsa_float_denorm_mode_32 3
		.amdhsa_float_denorm_mode_16_64 3
		.amdhsa_fp16_overflow 0
		.amdhsa_workgroup_processor_mode 1
		.amdhsa_memory_ordered 1
		.amdhsa_forward_progress 1
		.amdhsa_inst_pref_size 77
		.amdhsa_round_robin_scheduling 0
		.amdhsa_exception_fp_ieee_invalid_op 0
		.amdhsa_exception_fp_denorm_src 0
		.amdhsa_exception_fp_ieee_div_zero 0
		.amdhsa_exception_fp_ieee_overflow 0
		.amdhsa_exception_fp_ieee_underflow 0
		.amdhsa_exception_fp_ieee_inexact 0
		.amdhsa_exception_int_div_zero 0
	.end_amdhsa_kernel
	.section	.text._ZN9rocsolver6v33100L18getri_kernel_smallILi10E19rocblas_complex_numIdEPS3_EEvT1_iilPiilS6_bb,"axG",@progbits,_ZN9rocsolver6v33100L18getri_kernel_smallILi10E19rocblas_complex_numIdEPS3_EEvT1_iilPiilS6_bb,comdat
.Lfunc_end9:
	.size	_ZN9rocsolver6v33100L18getri_kernel_smallILi10E19rocblas_complex_numIdEPS3_EEvT1_iilPiilS6_bb, .Lfunc_end9-_ZN9rocsolver6v33100L18getri_kernel_smallILi10E19rocblas_complex_numIdEPS3_EEvT1_iilPiilS6_bb
                                        ; -- End function
	.set _ZN9rocsolver6v33100L18getri_kernel_smallILi10E19rocblas_complex_numIdEPS3_EEvT1_iilPiilS6_bb.num_vgpr, 80
	.set _ZN9rocsolver6v33100L18getri_kernel_smallILi10E19rocblas_complex_numIdEPS3_EEvT1_iilPiilS6_bb.num_agpr, 0
	.set _ZN9rocsolver6v33100L18getri_kernel_smallILi10E19rocblas_complex_numIdEPS3_EEvT1_iilPiilS6_bb.numbered_sgpr, 24
	.set _ZN9rocsolver6v33100L18getri_kernel_smallILi10E19rocblas_complex_numIdEPS3_EEvT1_iilPiilS6_bb.num_named_barrier, 0
	.set _ZN9rocsolver6v33100L18getri_kernel_smallILi10E19rocblas_complex_numIdEPS3_EEvT1_iilPiilS6_bb.private_seg_size, 176
	.set _ZN9rocsolver6v33100L18getri_kernel_smallILi10E19rocblas_complex_numIdEPS3_EEvT1_iilPiilS6_bb.uses_vcc, 1
	.set _ZN9rocsolver6v33100L18getri_kernel_smallILi10E19rocblas_complex_numIdEPS3_EEvT1_iilPiilS6_bb.uses_flat_scratch, 1
	.set _ZN9rocsolver6v33100L18getri_kernel_smallILi10E19rocblas_complex_numIdEPS3_EEvT1_iilPiilS6_bb.has_dyn_sized_stack, 0
	.set _ZN9rocsolver6v33100L18getri_kernel_smallILi10E19rocblas_complex_numIdEPS3_EEvT1_iilPiilS6_bb.has_recursion, 0
	.set _ZN9rocsolver6v33100L18getri_kernel_smallILi10E19rocblas_complex_numIdEPS3_EEvT1_iilPiilS6_bb.has_indirect_call, 0
	.section	.AMDGPU.csdata,"",@progbits
; Kernel info:
; codeLenInByte = 9764
; TotalNumSgprs: 26
; NumVgprs: 80
; ScratchSize: 176
; MemoryBound: 0
; FloatMode: 240
; IeeeMode: 1
; LDSByteSize: 1352 bytes/workgroup (compile time only)
; SGPRBlocks: 0
; VGPRBlocks: 9
; NumSGPRsForWavesPerEU: 26
; NumVGPRsForWavesPerEU: 80
; Occupancy: 16
; WaveLimiterHint : 1
; COMPUTE_PGM_RSRC2:SCRATCH_EN: 1
; COMPUTE_PGM_RSRC2:USER_SGPR: 4
; COMPUTE_PGM_RSRC2:TRAP_HANDLER: 0
; COMPUTE_PGM_RSRC2:TGID_X_EN: 1
; COMPUTE_PGM_RSRC2:TGID_Y_EN: 0
; COMPUTE_PGM_RSRC2:TGID_Z_EN: 0
; COMPUTE_PGM_RSRC2:TIDIG_COMP_CNT: 2
	.section	.text._ZN9rocsolver6v33100L18getri_kernel_smallILi11E19rocblas_complex_numIdEPS3_EEvT1_iilPiilS6_bb,"axG",@progbits,_ZN9rocsolver6v33100L18getri_kernel_smallILi11E19rocblas_complex_numIdEPS3_EEvT1_iilPiilS6_bb,comdat
	.globl	_ZN9rocsolver6v33100L18getri_kernel_smallILi11E19rocblas_complex_numIdEPS3_EEvT1_iilPiilS6_bb ; -- Begin function _ZN9rocsolver6v33100L18getri_kernel_smallILi11E19rocblas_complex_numIdEPS3_EEvT1_iilPiilS6_bb
	.p2align	8
	.type	_ZN9rocsolver6v33100L18getri_kernel_smallILi11E19rocblas_complex_numIdEPS3_EEvT1_iilPiilS6_bb,@function
_ZN9rocsolver6v33100L18getri_kernel_smallILi11E19rocblas_complex_numIdEPS3_EEvT1_iilPiilS6_bb: ; @_ZN9rocsolver6v33100L18getri_kernel_smallILi11E19rocblas_complex_numIdEPS3_EEvT1_iilPiilS6_bb
; %bb.0:
	v_and_b32_e32 v35, 0x3ff, v0
	s_mov_b32 s4, exec_lo
	s_delay_alu instid0(VALU_DEP_1)
	v_cmpx_gt_u32_e32 11, v35
	s_cbranch_execz .LBB10_58
; %bb.1:
	s_clause 0x2
	s_load_b32 s8, s[2:3], 0x38
	s_load_b128 s[12:15], s[2:3], 0x10
	s_load_b128 s[4:7], s[2:3], 0x28
	s_mov_b32 s18, ttmp9
                                        ; implicit-def: $sgpr16_sgpr17
	s_wait_kmcnt 0x0
	s_bitcmp1_b32 s8, 8
	s_cselect_b32 s20, -1, 0
	s_bfe_u32 s8, s8, 0x10008
	s_ashr_i32 s19, ttmp9, 31
	s_cmp_eq_u32 s8, 0
	s_cbranch_scc1 .LBB10_3
; %bb.2:
	s_load_b32 s8, s[2:3], 0x20
	s_mul_u64 s[4:5], s[4:5], s[18:19]
	s_delay_alu instid0(SALU_CYCLE_1) | instskip(NEXT) | instid1(SALU_CYCLE_1)
	s_lshl_b64 s[4:5], s[4:5], 2
	s_add_nc_u64 s[4:5], s[14:15], s[4:5]
	s_wait_kmcnt 0x0
	s_ashr_i32 s9, s8, 31
	s_delay_alu instid0(SALU_CYCLE_1) | instskip(NEXT) | instid1(SALU_CYCLE_1)
	s_lshl_b64 s[8:9], s[8:9], 2
	s_add_nc_u64 s[16:17], s[4:5], s[8:9]
.LBB10_3:
	s_clause 0x1
	s_load_b128 s[8:11], s[2:3], 0x0
	s_load_b32 s21, s[2:3], 0x38
	s_mul_u64 s[2:3], s[12:13], s[18:19]
	v_lshlrev_b32_e32 v36, 4, v35
	s_lshl_b64 s[2:3], s[2:3], 4
	s_movk_i32 s12, 0x60
	s_movk_i32 s14, 0x80
	;; [unrolled: 1-line block ×4, first 2 shown]
	s_wait_kmcnt 0x0
	v_add3_u32 v5, s11, s11, v35
	s_ashr_i32 s5, s10, 31
	s_mov_b32 s4, s10
	s_add_nc_u64 s[2:3], s[8:9], s[2:3]
	s_lshl_b64 s[4:5], s[4:5], 4
	v_add_nc_u32_e32 v7, s11, v5
	v_ashrrev_i32_e32 v6, 31, v5
	s_add_nc_u64 s[2:3], s[2:3], s[4:5]
	s_ashr_i32 s9, s11, 31
	v_add_co_u32 v13, s4, s2, v36
	v_add_nc_u32_e32 v9, s11, v7
	v_ashrrev_i32_e32 v8, 31, v7
	s_mov_b32 s8, s11
	v_lshlrev_b64_e32 v[5:6], 4, v[5:6]
	v_add_co_ci_u32_e64 v14, null, s3, 0, s4
	v_add_nc_u32_e32 v23, s11, v9
	v_ashrrev_i32_e32 v10, 31, v9
	s_lshl_b64 s[8:9], s[8:9], 4
	v_lshlrev_b64_e32 v[19:20], 4, v[7:8]
	v_add_co_u32 v15, vcc_lo, v13, s8
	v_add_nc_u32_e32 v25, s11, v23
	v_ashrrev_i32_e32 v24, 31, v23
	v_lshlrev_b64_e32 v[21:22], 4, v[9:10]
	v_add_co_ci_u32_e64 v16, null, s9, v14, vcc_lo
	s_delay_alu instid0(VALU_DEP_4) | instskip(SKIP_3) | instid1(VALU_DEP_4)
	v_add_nc_u32_e32 v27, s11, v25
	v_ashrrev_i32_e32 v26, 31, v25
	v_add_co_u32 v17, vcc_lo, s2, v5
	v_lshlrev_b64_e32 v[23:24], 4, v[23:24]
	v_add_nc_u32_e32 v29, s11, v27
	v_ashrrev_i32_e32 v28, 31, v27
	s_wait_alu 0xfffd
	v_add_co_ci_u32_e64 v18, null, s3, v6, vcc_lo
	v_add_co_u32 v19, vcc_lo, s2, v19
	v_ashrrev_i32_e32 v30, 31, v29
	v_add_nc_u32_e32 v32, s11, v29
	v_lshlrev_b64_e32 v[25:26], 4, v[25:26]
	s_wait_alu 0xfffd
	v_add_co_ci_u32_e64 v20, null, s3, v20, vcc_lo
	v_add_co_u32 v21, vcc_lo, s2, v21
	v_lshlrev_b64_e32 v[27:28], 4, v[27:28]
	s_wait_alu 0xfffd
	v_add_co_ci_u32_e64 v22, null, s3, v22, vcc_lo
	v_add_co_u32 v23, vcc_lo, s2, v23
	v_lshlrev_b64_e32 v[30:31], 4, v[29:30]
	v_add_nc_u32_e32 v61, s11, v32
	s_wait_alu 0xfffd
	v_add_co_ci_u32_e64 v24, null, s3, v24, vcc_lo
	v_add_co_u32 v25, vcc_lo, s2, v25
	v_ashrrev_i32_e32 v33, 31, v32
	s_wait_alu 0xfffd
	v_add_co_ci_u32_e64 v26, null, s3, v26, vcc_lo
	v_add_co_u32 v27, vcc_lo, s2, v27
	v_ashrrev_i32_e32 v62, 31, v61
	s_wait_alu 0xfffd
	v_add_co_ci_u32_e64 v28, null, s3, v28, vcc_lo
	v_add_co_u32 v29, vcc_lo, s2, v30
	s_wait_alu 0xfffd
	v_add_co_ci_u32_e64 v30, null, s3, v31, vcc_lo
	v_lshlrev_b64_e32 v[31:32], 4, v[32:33]
	v_lshlrev_b64_e32 v[33:34], 4, v[61:62]
	s_clause 0x8
	global_load_b128 v[1:4], v36, s[2:3]
	global_load_b128 v[5:8], v[15:16], off
	global_load_b128 v[9:12], v[17:18], off
	;; [unrolled: 1-line block ×8, first 2 shown]
	v_add_co_u32 v31, vcc_lo, s2, v31
	s_wait_alu 0xfffd
	v_add_co_ci_u32_e64 v32, null, s3, v32, vcc_lo
	v_add_co_u32 v33, vcc_lo, s2, v33
	s_wait_alu 0xfffd
	v_add_co_ci_u32_e64 v34, null, s3, v34, vcc_lo
	s_clause 0x1
	global_load_b128 v[61:64], v[31:32], off
	global_load_b128 v[65:68], v[33:34], off
	s_mov_b32 s4, 16
	s_mov_b32 s8, 32
	;; [unrolled: 1-line block ×3, first 2 shown]
	s_movk_i32 s9, 0x50
	s_mov_b32 s10, 64
	s_movk_i32 s11, 0x70
	s_bitcmp0_b32 s21, 0
	s_mov_b32 s3, -1
	s_wait_loadcnt 0xa
	scratch_store_b128 off, v[1:4], off
	s_wait_loadcnt 0x9
	scratch_store_b128 off, v[5:8], off offset:16
	s_wait_loadcnt 0x8
	scratch_store_b128 off, v[9:12], off offset:32
	;; [unrolled: 2-line block ×10, first 2 shown]
	s_cbranch_scc1 .LBB10_56
; %bb.4:
	v_cmp_eq_u32_e64 s2, 0, v35
	s_and_saveexec_b32 s3, s2
; %bb.5:
	v_mov_b32_e32 v1, 0
	ds_store_b32 v1, v1 offset:352
; %bb.6:
	s_wait_alu 0xfffe
	s_or_b32 exec_lo, exec_lo, s3
	s_wait_storecnt_dscnt 0x0
	s_barrier_signal -1
	s_barrier_wait -1
	global_inv scope:SCOPE_SE
	scratch_load_b128 v[1:4], v36, off
	s_wait_loadcnt 0x0
	v_cmp_eq_f64_e32 vcc_lo, 0, v[1:2]
	v_cmp_eq_f64_e64 s3, 0, v[3:4]
	s_and_b32 s3, vcc_lo, s3
	s_wait_alu 0xfffe
	s_and_saveexec_b32 s21, s3
	s_cbranch_execz .LBB10_10
; %bb.7:
	v_mov_b32_e32 v1, 0
	s_mov_b32 s22, 0
	ds_load_b32 v2, v1 offset:352
	s_wait_dscnt 0x0
	v_readfirstlane_b32 s3, v2
	v_add_nc_u32_e32 v2, 1, v35
	s_cmp_eq_u32 s3, 0
	s_delay_alu instid0(VALU_DEP_1) | instskip(SKIP_1) | instid1(SALU_CYCLE_1)
	v_cmp_gt_i32_e32 vcc_lo, s3, v2
	s_cselect_b32 s23, -1, 0
	s_or_b32 s23, s23, vcc_lo
	s_delay_alu instid0(SALU_CYCLE_1)
	s_and_b32 exec_lo, exec_lo, s23
	s_cbranch_execz .LBB10_10
; %bb.8:
	v_mov_b32_e32 v3, s3
.LBB10_9:                               ; =>This Inner Loop Header: Depth=1
	ds_cmpstore_rtn_b32 v3, v1, v2, v3 offset:352
	s_wait_dscnt 0x0
	v_cmp_ne_u32_e32 vcc_lo, 0, v3
	v_cmp_le_i32_e64 s3, v3, v2
	s_and_b32 s3, vcc_lo, s3
	s_wait_alu 0xfffe
	s_and_b32 s3, exec_lo, s3
	s_wait_alu 0xfffe
	s_or_b32 s22, s3, s22
	s_delay_alu instid0(SALU_CYCLE_1)
	s_and_not1_b32 exec_lo, exec_lo, s22
	s_cbranch_execnz .LBB10_9
.LBB10_10:
	s_or_b32 exec_lo, exec_lo, s21
	v_mov_b32_e32 v1, 0
	s_barrier_signal -1
	s_barrier_wait -1
	global_inv scope:SCOPE_SE
	ds_load_b32 v2, v1 offset:352
	s_and_saveexec_b32 s3, s2
	s_cbranch_execz .LBB10_12
; %bb.11:
	s_lshl_b64 s[22:23], s[18:19], 2
	s_delay_alu instid0(SALU_CYCLE_1)
	s_add_nc_u64 s[22:23], s[6:7], s[22:23]
	s_wait_dscnt 0x0
	global_store_b32 v1, v2, s[22:23]
.LBB10_12:
	s_wait_alu 0xfffe
	s_or_b32 exec_lo, exec_lo, s3
	s_wait_dscnt 0x0
	v_cmp_ne_u32_e32 vcc_lo, 0, v2
	s_mov_b32 s3, 0
	s_cbranch_vccnz .LBB10_56
; %bb.13:
	v_mov_b32_e32 v37, v36
                                        ; implicit-def: $vgpr1_vgpr2
                                        ; implicit-def: $vgpr9_vgpr10
	scratch_load_b128 v[5:8], v37, off
	s_wait_loadcnt 0x0
	v_cmp_ngt_f64_e64 s3, |v[5:6]|, |v[7:8]|
	s_wait_alu 0xfffe
	s_and_saveexec_b32 s21, s3
	s_delay_alu instid0(SALU_CYCLE_1)
	s_xor_b32 s3, exec_lo, s21
	s_cbranch_execz .LBB10_15
; %bb.14:
	v_div_scale_f64 v[1:2], null, v[7:8], v[7:8], v[5:6]
	v_div_scale_f64 v[11:12], vcc_lo, v[5:6], v[7:8], v[5:6]
	s_delay_alu instid0(VALU_DEP_2) | instskip(NEXT) | instid1(TRANS32_DEP_1)
	v_rcp_f64_e32 v[3:4], v[1:2]
	v_fma_f64 v[9:10], -v[1:2], v[3:4], 1.0
	s_delay_alu instid0(VALU_DEP_1) | instskip(NEXT) | instid1(VALU_DEP_1)
	v_fma_f64 v[3:4], v[3:4], v[9:10], v[3:4]
	v_fma_f64 v[9:10], -v[1:2], v[3:4], 1.0
	s_delay_alu instid0(VALU_DEP_1) | instskip(NEXT) | instid1(VALU_DEP_1)
	v_fma_f64 v[3:4], v[3:4], v[9:10], v[3:4]
	v_mul_f64_e32 v[9:10], v[11:12], v[3:4]
	s_delay_alu instid0(VALU_DEP_1) | instskip(SKIP_1) | instid1(VALU_DEP_1)
	v_fma_f64 v[1:2], -v[1:2], v[9:10], v[11:12]
	s_wait_alu 0xfffd
	v_div_fmas_f64 v[1:2], v[1:2], v[3:4], v[9:10]
	s_delay_alu instid0(VALU_DEP_1) | instskip(NEXT) | instid1(VALU_DEP_1)
	v_div_fixup_f64 v[1:2], v[1:2], v[7:8], v[5:6]
	v_fma_f64 v[3:4], v[5:6], v[1:2], v[7:8]
	s_delay_alu instid0(VALU_DEP_1) | instskip(SKIP_1) | instid1(VALU_DEP_2)
	v_div_scale_f64 v[5:6], null, v[3:4], v[3:4], 1.0
	v_div_scale_f64 v[11:12], vcc_lo, 1.0, v[3:4], 1.0
	v_rcp_f64_e32 v[7:8], v[5:6]
	s_delay_alu instid0(TRANS32_DEP_1) | instskip(NEXT) | instid1(VALU_DEP_1)
	v_fma_f64 v[9:10], -v[5:6], v[7:8], 1.0
	v_fma_f64 v[7:8], v[7:8], v[9:10], v[7:8]
	s_delay_alu instid0(VALU_DEP_1) | instskip(NEXT) | instid1(VALU_DEP_1)
	v_fma_f64 v[9:10], -v[5:6], v[7:8], 1.0
	v_fma_f64 v[7:8], v[7:8], v[9:10], v[7:8]
	s_delay_alu instid0(VALU_DEP_1) | instskip(NEXT) | instid1(VALU_DEP_1)
	v_mul_f64_e32 v[9:10], v[11:12], v[7:8]
	v_fma_f64 v[5:6], -v[5:6], v[9:10], v[11:12]
	s_wait_alu 0xfffd
	s_delay_alu instid0(VALU_DEP_1) | instskip(NEXT) | instid1(VALU_DEP_1)
	v_div_fmas_f64 v[5:6], v[5:6], v[7:8], v[9:10]
	v_div_fixup_f64 v[3:4], v[5:6], v[3:4], 1.0
                                        ; implicit-def: $vgpr5_vgpr6
	s_delay_alu instid0(VALU_DEP_1) | instskip(SKIP_1) | instid1(VALU_DEP_2)
	v_mul_f64_e32 v[1:2], v[1:2], v[3:4]
	v_xor_b32_e32 v4, 0x80000000, v4
	v_xor_b32_e32 v10, 0x80000000, v2
	s_delay_alu instid0(VALU_DEP_3)
	v_mov_b32_e32 v9, v1
.LBB10_15:
	s_wait_alu 0xfffe
	s_and_not1_saveexec_b32 s3, s3
	s_cbranch_execz .LBB10_17
; %bb.16:
	v_div_scale_f64 v[1:2], null, v[5:6], v[5:6], v[7:8]
	v_div_scale_f64 v[11:12], vcc_lo, v[7:8], v[5:6], v[7:8]
	s_delay_alu instid0(VALU_DEP_2) | instskip(NEXT) | instid1(TRANS32_DEP_1)
	v_rcp_f64_e32 v[3:4], v[1:2]
	v_fma_f64 v[9:10], -v[1:2], v[3:4], 1.0
	s_delay_alu instid0(VALU_DEP_1) | instskip(NEXT) | instid1(VALU_DEP_1)
	v_fma_f64 v[3:4], v[3:4], v[9:10], v[3:4]
	v_fma_f64 v[9:10], -v[1:2], v[3:4], 1.0
	s_delay_alu instid0(VALU_DEP_1) | instskip(NEXT) | instid1(VALU_DEP_1)
	v_fma_f64 v[3:4], v[3:4], v[9:10], v[3:4]
	v_mul_f64_e32 v[9:10], v[11:12], v[3:4]
	s_delay_alu instid0(VALU_DEP_1) | instskip(SKIP_1) | instid1(VALU_DEP_1)
	v_fma_f64 v[1:2], -v[1:2], v[9:10], v[11:12]
	s_wait_alu 0xfffd
	v_div_fmas_f64 v[1:2], v[1:2], v[3:4], v[9:10]
	s_delay_alu instid0(VALU_DEP_1) | instskip(NEXT) | instid1(VALU_DEP_1)
	v_div_fixup_f64 v[3:4], v[1:2], v[5:6], v[7:8]
	v_fma_f64 v[1:2], v[7:8], v[3:4], v[5:6]
	s_delay_alu instid0(VALU_DEP_1) | instskip(NEXT) | instid1(VALU_DEP_1)
	v_div_scale_f64 v[5:6], null, v[1:2], v[1:2], 1.0
	v_rcp_f64_e32 v[7:8], v[5:6]
	s_delay_alu instid0(TRANS32_DEP_1) | instskip(NEXT) | instid1(VALU_DEP_1)
	v_fma_f64 v[9:10], -v[5:6], v[7:8], 1.0
	v_fma_f64 v[7:8], v[7:8], v[9:10], v[7:8]
	s_delay_alu instid0(VALU_DEP_1) | instskip(NEXT) | instid1(VALU_DEP_1)
	v_fma_f64 v[9:10], -v[5:6], v[7:8], 1.0
	v_fma_f64 v[7:8], v[7:8], v[9:10], v[7:8]
	v_div_scale_f64 v[9:10], vcc_lo, 1.0, v[1:2], 1.0
	s_delay_alu instid0(VALU_DEP_1) | instskip(NEXT) | instid1(VALU_DEP_1)
	v_mul_f64_e32 v[11:12], v[9:10], v[7:8]
	v_fma_f64 v[5:6], -v[5:6], v[11:12], v[9:10]
	s_wait_alu 0xfffd
	s_delay_alu instid0(VALU_DEP_1) | instskip(NEXT) | instid1(VALU_DEP_1)
	v_div_fmas_f64 v[5:6], v[5:6], v[7:8], v[11:12]
	v_div_fixup_f64 v[1:2], v[5:6], v[1:2], 1.0
	s_delay_alu instid0(VALU_DEP_1)
	v_mul_f64_e64 v[3:4], v[3:4], -v[1:2]
	v_xor_b32_e32 v10, 0x80000000, v2
	v_mov_b32_e32 v9, v1
.LBB10_17:
	s_wait_alu 0xfffe
	s_or_b32 exec_lo, exec_lo, s3
	scratch_store_b128 v37, v[1:4], off
	scratch_load_b128 v[38:41], off, s4
	v_xor_b32_e32 v12, 0x80000000, v4
	v_mov_b32_e32 v11, v3
	v_add_nc_u32_e32 v5, 0xb0, v36
	ds_store_b128 v36, v[9:12]
	s_wait_loadcnt 0x0
	ds_store_b128 v36, v[38:41] offset:176
	s_wait_storecnt_dscnt 0x0
	s_barrier_signal -1
	s_barrier_wait -1
	global_inv scope:SCOPE_SE
	s_and_saveexec_b32 s3, s2
	s_cbranch_execz .LBB10_19
; %bb.18:
	scratch_load_b128 v[1:4], v37, off
	ds_load_b128 v[6:9], v5
	v_mov_b32_e32 v10, 0
	ds_load_b128 v[38:41], v10 offset:16
	s_wait_loadcnt_dscnt 0x1
	v_mul_f64_e32 v[10:11], v[6:7], v[3:4]
	v_mul_f64_e32 v[3:4], v[8:9], v[3:4]
	s_delay_alu instid0(VALU_DEP_2) | instskip(NEXT) | instid1(VALU_DEP_2)
	v_fma_f64 v[8:9], v[8:9], v[1:2], v[10:11]
	v_fma_f64 v[1:2], v[6:7], v[1:2], -v[3:4]
	s_delay_alu instid0(VALU_DEP_2) | instskip(NEXT) | instid1(VALU_DEP_2)
	v_add_f64_e32 v[3:4], 0, v[8:9]
	v_add_f64_e32 v[1:2], 0, v[1:2]
	s_wait_dscnt 0x0
	s_delay_alu instid0(VALU_DEP_2) | instskip(NEXT) | instid1(VALU_DEP_2)
	v_mul_f64_e32 v[6:7], v[3:4], v[40:41]
	v_mul_f64_e32 v[8:9], v[1:2], v[40:41]
	s_delay_alu instid0(VALU_DEP_2) | instskip(NEXT) | instid1(VALU_DEP_2)
	v_fma_f64 v[1:2], v[1:2], v[38:39], -v[6:7]
	v_fma_f64 v[3:4], v[3:4], v[38:39], v[8:9]
	scratch_store_b128 off, v[1:4], off offset:16
.LBB10_19:
	s_wait_alu 0xfffe
	s_or_b32 exec_lo, exec_lo, s3
	s_wait_loadcnt 0x0
	s_wait_storecnt 0x0
	s_barrier_signal -1
	s_barrier_wait -1
	global_inv scope:SCOPE_SE
	scratch_load_b128 v[1:4], off, s8
	s_mov_b32 s3, exec_lo
	s_wait_loadcnt 0x0
	ds_store_b128 v5, v[1:4]
	s_wait_dscnt 0x0
	s_barrier_signal -1
	s_barrier_wait -1
	global_inv scope:SCOPE_SE
	v_cmpx_gt_u32_e32 2, v35
	s_cbranch_execz .LBB10_23
; %bb.20:
	scratch_load_b128 v[1:4], v37, off
	ds_load_b128 v[6:9], v5
	s_wait_loadcnt_dscnt 0x0
	v_mul_f64_e32 v[10:11], v[8:9], v[3:4]
	v_mul_f64_e32 v[3:4], v[6:7], v[3:4]
	s_delay_alu instid0(VALU_DEP_2) | instskip(NEXT) | instid1(VALU_DEP_2)
	v_fma_f64 v[6:7], v[6:7], v[1:2], -v[10:11]
	v_fma_f64 v[3:4], v[8:9], v[1:2], v[3:4]
	s_delay_alu instid0(VALU_DEP_2) | instskip(NEXT) | instid1(VALU_DEP_2)
	v_add_f64_e32 v[1:2], 0, v[6:7]
	v_add_f64_e32 v[3:4], 0, v[3:4]
	s_and_saveexec_b32 s21, s2
	s_cbranch_execz .LBB10_22
; %bb.21:
	scratch_load_b128 v[6:9], off, off offset:16
	v_mov_b32_e32 v10, 0
	ds_load_b128 v[38:41], v10 offset:192
	s_wait_loadcnt_dscnt 0x0
	v_mul_f64_e32 v[10:11], v[38:39], v[8:9]
	v_mul_f64_e32 v[8:9], v[40:41], v[8:9]
	s_delay_alu instid0(VALU_DEP_2) | instskip(NEXT) | instid1(VALU_DEP_2)
	v_fma_f64 v[10:11], v[40:41], v[6:7], v[10:11]
	v_fma_f64 v[6:7], v[38:39], v[6:7], -v[8:9]
	s_delay_alu instid0(VALU_DEP_2) | instskip(NEXT) | instid1(VALU_DEP_2)
	v_add_f64_e32 v[3:4], v[3:4], v[10:11]
	v_add_f64_e32 v[1:2], v[1:2], v[6:7]
.LBB10_22:
	s_or_b32 exec_lo, exec_lo, s21
	v_mov_b32_e32 v6, 0
	ds_load_b128 v[6:9], v6 offset:32
	s_wait_dscnt 0x0
	v_mul_f64_e32 v[10:11], v[3:4], v[8:9]
	v_mul_f64_e32 v[8:9], v[1:2], v[8:9]
	s_delay_alu instid0(VALU_DEP_2) | instskip(NEXT) | instid1(VALU_DEP_2)
	v_fma_f64 v[1:2], v[1:2], v[6:7], -v[10:11]
	v_fma_f64 v[3:4], v[3:4], v[6:7], v[8:9]
	scratch_store_b128 off, v[1:4], off offset:32
.LBB10_23:
	s_wait_alu 0xfffe
	s_or_b32 exec_lo, exec_lo, s3
	s_wait_loadcnt 0x0
	s_wait_storecnt 0x0
	s_barrier_signal -1
	s_barrier_wait -1
	global_inv scope:SCOPE_SE
	scratch_load_b128 v[1:4], off, s5
	v_add_nc_u32_e32 v6, -1, v35
	s_mov_b32 s2, exec_lo
	s_wait_loadcnt 0x0
	ds_store_b128 v5, v[1:4]
	s_wait_dscnt 0x0
	s_barrier_signal -1
	s_barrier_wait -1
	global_inv scope:SCOPE_SE
	v_cmpx_gt_u32_e32 3, v35
	s_cbranch_execz .LBB10_27
; %bb.24:
	v_dual_mov_b32 v1, 0 :: v_dual_add_nc_u32 v8, 0xb0, v36
	v_mov_b32_e32 v3, 0
	v_dual_mov_b32 v2, 0 :: v_dual_add_nc_u32 v7, -1, v35
	v_mov_b32_e32 v4, 0
	v_or_b32_e32 v9, 8, v37
	s_mov_b32 s3, 0
.LBB10_25:                              ; =>This Inner Loop Header: Depth=1
	scratch_load_b128 v[38:41], v9, off offset:-8
	ds_load_b128 v[42:45], v8
	v_add_nc_u32_e32 v7, 1, v7
	v_add_nc_u32_e32 v8, 16, v8
	v_add_nc_u32_e32 v9, 16, v9
	s_delay_alu instid0(VALU_DEP_3)
	v_cmp_lt_u32_e32 vcc_lo, 1, v7
	s_wait_alu 0xfffe
	s_or_b32 s3, vcc_lo, s3
	s_wait_loadcnt_dscnt 0x0
	v_mul_f64_e32 v[10:11], v[44:45], v[40:41]
	v_mul_f64_e32 v[40:41], v[42:43], v[40:41]
	s_delay_alu instid0(VALU_DEP_2) | instskip(NEXT) | instid1(VALU_DEP_2)
	v_fma_f64 v[10:11], v[42:43], v[38:39], -v[10:11]
	v_fma_f64 v[38:39], v[44:45], v[38:39], v[40:41]
	s_delay_alu instid0(VALU_DEP_2) | instskip(NEXT) | instid1(VALU_DEP_2)
	v_add_f64_e32 v[3:4], v[3:4], v[10:11]
	v_add_f64_e32 v[1:2], v[1:2], v[38:39]
	s_wait_alu 0xfffe
	s_and_not1_b32 exec_lo, exec_lo, s3
	s_cbranch_execnz .LBB10_25
; %bb.26:
	s_or_b32 exec_lo, exec_lo, s3
	v_mov_b32_e32 v7, 0
	ds_load_b128 v[7:10], v7 offset:48
	s_wait_dscnt 0x0
	v_mul_f64_e32 v[11:12], v[1:2], v[9:10]
	v_mul_f64_e32 v[38:39], v[3:4], v[9:10]
	s_delay_alu instid0(VALU_DEP_2) | instskip(NEXT) | instid1(VALU_DEP_2)
	v_fma_f64 v[9:10], v[3:4], v[7:8], -v[11:12]
	v_fma_f64 v[11:12], v[1:2], v[7:8], v[38:39]
	scratch_store_b128 off, v[9:12], off offset:48
.LBB10_27:
	s_wait_alu 0xfffe
	s_or_b32 exec_lo, exec_lo, s2
	s_wait_loadcnt 0x0
	s_wait_storecnt 0x0
	s_barrier_signal -1
	s_barrier_wait -1
	global_inv scope:SCOPE_SE
	scratch_load_b128 v[1:4], off, s10
	s_mov_b32 s2, exec_lo
	s_wait_loadcnt 0x0
	ds_store_b128 v5, v[1:4]
	s_wait_dscnt 0x0
	s_barrier_signal -1
	s_barrier_wait -1
	global_inv scope:SCOPE_SE
	v_cmpx_gt_u32_e32 4, v35
	s_cbranch_execz .LBB10_31
; %bb.28:
	v_dual_mov_b32 v1, 0 :: v_dual_add_nc_u32 v8, 0xb0, v36
	v_mov_b32_e32 v3, 0
	v_dual_mov_b32 v2, 0 :: v_dual_add_nc_u32 v7, -1, v35
	v_mov_b32_e32 v4, 0
	v_or_b32_e32 v9, 8, v37
	s_mov_b32 s3, 0
.LBB10_29:                              ; =>This Inner Loop Header: Depth=1
	scratch_load_b128 v[38:41], v9, off offset:-8
	ds_load_b128 v[42:45], v8
	v_add_nc_u32_e32 v7, 1, v7
	v_add_nc_u32_e32 v8, 16, v8
	v_add_nc_u32_e32 v9, 16, v9
	s_delay_alu instid0(VALU_DEP_3)
	v_cmp_lt_u32_e32 vcc_lo, 2, v7
	s_wait_alu 0xfffe
	s_or_b32 s3, vcc_lo, s3
	s_wait_loadcnt_dscnt 0x0
	v_mul_f64_e32 v[10:11], v[44:45], v[40:41]
	v_mul_f64_e32 v[40:41], v[42:43], v[40:41]
	s_delay_alu instid0(VALU_DEP_2) | instskip(NEXT) | instid1(VALU_DEP_2)
	v_fma_f64 v[10:11], v[42:43], v[38:39], -v[10:11]
	v_fma_f64 v[38:39], v[44:45], v[38:39], v[40:41]
	s_delay_alu instid0(VALU_DEP_2) | instskip(NEXT) | instid1(VALU_DEP_2)
	v_add_f64_e32 v[3:4], v[3:4], v[10:11]
	v_add_f64_e32 v[1:2], v[1:2], v[38:39]
	s_wait_alu 0xfffe
	s_and_not1_b32 exec_lo, exec_lo, s3
	s_cbranch_execnz .LBB10_29
; %bb.30:
	s_or_b32 exec_lo, exec_lo, s3
	v_mov_b32_e32 v7, 0
	ds_load_b128 v[7:10], v7 offset:64
	s_wait_dscnt 0x0
	v_mul_f64_e32 v[11:12], v[1:2], v[9:10]
	v_mul_f64_e32 v[38:39], v[3:4], v[9:10]
	s_delay_alu instid0(VALU_DEP_2) | instskip(NEXT) | instid1(VALU_DEP_2)
	v_fma_f64 v[9:10], v[3:4], v[7:8], -v[11:12]
	v_fma_f64 v[11:12], v[1:2], v[7:8], v[38:39]
	scratch_store_b128 off, v[9:12], off offset:64
.LBB10_31:
	s_wait_alu 0xfffe
	s_or_b32 exec_lo, exec_lo, s2
	s_wait_loadcnt 0x0
	s_wait_storecnt 0x0
	s_barrier_signal -1
	s_barrier_wait -1
	global_inv scope:SCOPE_SE
	scratch_load_b128 v[1:4], off, s9
	;; [unrolled: 58-line block ×7, first 2 shown]
	s_mov_b32 s2, exec_lo
	s_wait_loadcnt 0x0
	ds_store_b128 v5, v[1:4]
	s_wait_dscnt 0x0
	s_barrier_signal -1
	s_barrier_wait -1
	global_inv scope:SCOPE_SE
	v_cmpx_ne_u32_e32 10, v35
	s_cbranch_execz .LBB10_55
; %bb.52:
	v_mov_b32_e32 v1, 0
	v_dual_mov_b32 v2, 0 :: v_dual_mov_b32 v3, 0
	v_mov_b32_e32 v4, 0
	v_or_b32_e32 v7, 8, v37
	s_mov_b32 s3, 0
.LBB10_53:                              ; =>This Inner Loop Header: Depth=1
	scratch_load_b128 v[8:11], v7, off offset:-8
	ds_load_b128 v[36:39], v5
	v_add_nc_u32_e32 v6, 1, v6
	v_add_nc_u32_e32 v5, 16, v5
	;; [unrolled: 1-line block ×3, first 2 shown]
	s_delay_alu instid0(VALU_DEP_3)
	v_cmp_lt_u32_e32 vcc_lo, 8, v6
	s_wait_alu 0xfffe
	s_or_b32 s3, vcc_lo, s3
	s_wait_loadcnt_dscnt 0x0
	v_mul_f64_e32 v[40:41], v[38:39], v[10:11]
	v_mul_f64_e32 v[10:11], v[36:37], v[10:11]
	s_delay_alu instid0(VALU_DEP_2) | instskip(NEXT) | instid1(VALU_DEP_2)
	v_fma_f64 v[36:37], v[36:37], v[8:9], -v[40:41]
	v_fma_f64 v[8:9], v[38:39], v[8:9], v[10:11]
	s_delay_alu instid0(VALU_DEP_2) | instskip(NEXT) | instid1(VALU_DEP_2)
	v_add_f64_e32 v[3:4], v[3:4], v[36:37]
	v_add_f64_e32 v[1:2], v[1:2], v[8:9]
	s_wait_alu 0xfffe
	s_and_not1_b32 exec_lo, exec_lo, s3
	s_cbranch_execnz .LBB10_53
; %bb.54:
	s_or_b32 exec_lo, exec_lo, s3
	v_mov_b32_e32 v5, 0
	ds_load_b128 v[5:8], v5 offset:160
	s_wait_dscnt 0x0
	v_mul_f64_e32 v[9:10], v[1:2], v[7:8]
	v_mul_f64_e32 v[7:8], v[3:4], v[7:8]
	s_delay_alu instid0(VALU_DEP_2) | instskip(NEXT) | instid1(VALU_DEP_2)
	v_fma_f64 v[3:4], v[3:4], v[5:6], -v[9:10]
	v_fma_f64 v[5:6], v[1:2], v[5:6], v[7:8]
	scratch_store_b128 off, v[3:6], off offset:160
.LBB10_55:
	s_wait_alu 0xfffe
	s_or_b32 exec_lo, exec_lo, s2
	s_mov_b32 s3, -1
	s_wait_loadcnt 0x0
	s_wait_storecnt 0x0
	s_barrier_signal -1
	s_barrier_wait -1
	global_inv scope:SCOPE_SE
.LBB10_56:
	s_wait_alu 0xfffe
	s_and_b32 vcc_lo, exec_lo, s3
	s_wait_alu 0xfffe
	s_cbranch_vccz .LBB10_58
; %bb.57:
	v_mov_b32_e32 v1, 0
	s_lshl_b64 s[2:3], s[18:19], 2
	s_wait_alu 0xfffe
	s_add_nc_u64 s[2:3], s[6:7], s[2:3]
	global_load_b32 v1, v1, s[2:3]
	s_wait_loadcnt 0x0
	v_cmp_ne_u32_e32 vcc_lo, 0, v1
	s_cbranch_vccz .LBB10_59
.LBB10_58:
	s_endpgm
.LBB10_59:
	v_lshl_add_u32 v5, v35, 4, 0xb0
	s_mov_b32 s2, exec_lo
	v_cmpx_eq_u32_e32 10, v35
	s_cbranch_execz .LBB10_61
; %bb.60:
	scratch_load_b128 v[1:4], off, s13
	v_mov_b32_e32 v6, 0
	s_delay_alu instid0(VALU_DEP_1)
	v_dual_mov_b32 v7, v6 :: v_dual_mov_b32 v8, v6
	v_mov_b32_e32 v9, v6
	scratch_store_b128 off, v[6:9], off offset:144
	s_wait_loadcnt 0x0
	ds_store_b128 v5, v[1:4]
.LBB10_61:
	s_wait_alu 0xfffe
	s_or_b32 exec_lo, exec_lo, s2
	s_wait_storecnt_dscnt 0x0
	s_barrier_signal -1
	s_barrier_wait -1
	global_inv scope:SCOPE_SE
	s_clause 0x1
	scratch_load_b128 v[6:9], off, off offset:160
	scratch_load_b128 v[36:39], off, off offset:144
	v_mov_b32_e32 v1, 0
	s_mov_b32 s2, exec_lo
	ds_load_b128 v[40:43], v1 offset:336
	s_wait_loadcnt_dscnt 0x100
	v_mul_f64_e32 v[2:3], v[42:43], v[8:9]
	v_mul_f64_e32 v[8:9], v[40:41], v[8:9]
	s_delay_alu instid0(VALU_DEP_2) | instskip(NEXT) | instid1(VALU_DEP_2)
	v_fma_f64 v[2:3], v[40:41], v[6:7], -v[2:3]
	v_fma_f64 v[6:7], v[42:43], v[6:7], v[8:9]
	s_delay_alu instid0(VALU_DEP_2) | instskip(NEXT) | instid1(VALU_DEP_2)
	v_add_f64_e32 v[2:3], 0, v[2:3]
	v_add_f64_e32 v[8:9], 0, v[6:7]
	s_wait_loadcnt 0x0
	s_delay_alu instid0(VALU_DEP_2) | instskip(NEXT) | instid1(VALU_DEP_2)
	v_add_f64_e64 v[6:7], v[36:37], -v[2:3]
	v_add_f64_e64 v[8:9], v[38:39], -v[8:9]
	scratch_store_b128 off, v[6:9], off offset:144
	v_cmpx_lt_u32_e32 8, v35
	s_cbranch_execz .LBB10_63
; %bb.62:
	scratch_load_b128 v[6:9], off, s14
	v_dual_mov_b32 v2, v1 :: v_dual_mov_b32 v3, v1
	v_mov_b32_e32 v4, v1
	scratch_store_b128 off, v[1:4], off offset:128
	s_wait_loadcnt 0x0
	ds_store_b128 v5, v[6:9]
.LBB10_63:
	s_wait_alu 0xfffe
	s_or_b32 exec_lo, exec_lo, s2
	s_wait_storecnt_dscnt 0x0
	s_barrier_signal -1
	s_barrier_wait -1
	global_inv scope:SCOPE_SE
	s_clause 0x2
	scratch_load_b128 v[6:9], off, off offset:144
	scratch_load_b128 v[36:39], off, off offset:160
	;; [unrolled: 1-line block ×3, first 2 shown]
	ds_load_b128 v[44:47], v1 offset:320
	ds_load_b128 v[1:4], v1 offset:336
	s_mov_b32 s2, exec_lo
	s_wait_loadcnt_dscnt 0x201
	v_mul_f64_e32 v[10:11], v[46:47], v[8:9]
	v_mul_f64_e32 v[8:9], v[44:45], v[8:9]
	s_wait_loadcnt_dscnt 0x100
	v_mul_f64_e32 v[48:49], v[1:2], v[38:39]
	v_mul_f64_e32 v[38:39], v[3:4], v[38:39]
	s_delay_alu instid0(VALU_DEP_4) | instskip(NEXT) | instid1(VALU_DEP_4)
	v_fma_f64 v[10:11], v[44:45], v[6:7], -v[10:11]
	v_fma_f64 v[6:7], v[46:47], v[6:7], v[8:9]
	s_delay_alu instid0(VALU_DEP_4) | instskip(NEXT) | instid1(VALU_DEP_4)
	v_fma_f64 v[3:4], v[3:4], v[36:37], v[48:49]
	v_fma_f64 v[1:2], v[1:2], v[36:37], -v[38:39]
	s_delay_alu instid0(VALU_DEP_4) | instskip(NEXT) | instid1(VALU_DEP_4)
	v_add_f64_e32 v[8:9], 0, v[10:11]
	v_add_f64_e32 v[6:7], 0, v[6:7]
	s_delay_alu instid0(VALU_DEP_2) | instskip(NEXT) | instid1(VALU_DEP_2)
	v_add_f64_e32 v[1:2], v[8:9], v[1:2]
	v_add_f64_e32 v[3:4], v[6:7], v[3:4]
	s_wait_loadcnt 0x0
	s_delay_alu instid0(VALU_DEP_2) | instskip(NEXT) | instid1(VALU_DEP_2)
	v_add_f64_e64 v[1:2], v[40:41], -v[1:2]
	v_add_f64_e64 v[3:4], v[42:43], -v[3:4]
	scratch_store_b128 off, v[1:4], off offset:128
	v_cmpx_lt_u32_e32 7, v35
	s_cbranch_execz .LBB10_65
; %bb.64:
	scratch_load_b128 v[1:4], off, s11
	v_mov_b32_e32 v6, 0
	s_delay_alu instid0(VALU_DEP_1)
	v_dual_mov_b32 v7, v6 :: v_dual_mov_b32 v8, v6
	v_mov_b32_e32 v9, v6
	scratch_store_b128 off, v[6:9], off offset:112
	s_wait_loadcnt 0x0
	ds_store_b128 v5, v[1:4]
.LBB10_65:
	s_wait_alu 0xfffe
	s_or_b32 exec_lo, exec_lo, s2
	s_wait_storecnt_dscnt 0x0
	s_barrier_signal -1
	s_barrier_wait -1
	global_inv scope:SCOPE_SE
	s_clause 0x3
	scratch_load_b128 v[6:9], off, off offset:128
	scratch_load_b128 v[36:39], off, off offset:144
	;; [unrolled: 1-line block ×4, first 2 shown]
	v_mov_b32_e32 v1, 0
	ds_load_b128 v[48:51], v1 offset:304
	ds_load_b128 v[52:55], v1 offset:320
	s_mov_b32 s2, exec_lo
	s_wait_loadcnt_dscnt 0x301
	v_mul_f64_e32 v[2:3], v[50:51], v[8:9]
	v_mul_f64_e32 v[8:9], v[48:49], v[8:9]
	s_wait_loadcnt_dscnt 0x200
	v_mul_f64_e32 v[10:11], v[52:53], v[38:39]
	v_mul_f64_e32 v[38:39], v[54:55], v[38:39]
	s_delay_alu instid0(VALU_DEP_4) | instskip(NEXT) | instid1(VALU_DEP_4)
	v_fma_f64 v[2:3], v[48:49], v[6:7], -v[2:3]
	v_fma_f64 v[48:49], v[50:51], v[6:7], v[8:9]
	ds_load_b128 v[6:9], v1 offset:336
	v_fma_f64 v[10:11], v[54:55], v[36:37], v[10:11]
	v_fma_f64 v[36:37], v[52:53], v[36:37], -v[38:39]
	s_wait_loadcnt_dscnt 0x100
	v_mul_f64_e32 v[50:51], v[6:7], v[42:43]
	v_mul_f64_e32 v[42:43], v[8:9], v[42:43]
	v_add_f64_e32 v[2:3], 0, v[2:3]
	v_add_f64_e32 v[38:39], 0, v[48:49]
	s_delay_alu instid0(VALU_DEP_4) | instskip(NEXT) | instid1(VALU_DEP_4)
	v_fma_f64 v[8:9], v[8:9], v[40:41], v[50:51]
	v_fma_f64 v[6:7], v[6:7], v[40:41], -v[42:43]
	s_delay_alu instid0(VALU_DEP_4) | instskip(NEXT) | instid1(VALU_DEP_4)
	v_add_f64_e32 v[2:3], v[2:3], v[36:37]
	v_add_f64_e32 v[10:11], v[38:39], v[10:11]
	s_delay_alu instid0(VALU_DEP_2) | instskip(NEXT) | instid1(VALU_DEP_2)
	v_add_f64_e32 v[2:3], v[2:3], v[6:7]
	v_add_f64_e32 v[8:9], v[10:11], v[8:9]
	s_wait_loadcnt 0x0
	s_delay_alu instid0(VALU_DEP_2) | instskip(NEXT) | instid1(VALU_DEP_2)
	v_add_f64_e64 v[6:7], v[44:45], -v[2:3]
	v_add_f64_e64 v[8:9], v[46:47], -v[8:9]
	scratch_store_b128 off, v[6:9], off offset:112
	v_cmpx_lt_u32_e32 6, v35
	s_cbranch_execz .LBB10_67
; %bb.66:
	scratch_load_b128 v[6:9], off, s12
	v_dual_mov_b32 v2, v1 :: v_dual_mov_b32 v3, v1
	v_mov_b32_e32 v4, v1
	scratch_store_b128 off, v[1:4], off offset:96
	s_wait_loadcnt 0x0
	ds_store_b128 v5, v[6:9]
.LBB10_67:
	s_wait_alu 0xfffe
	s_or_b32 exec_lo, exec_lo, s2
	s_wait_storecnt_dscnt 0x0
	s_barrier_signal -1
	s_barrier_wait -1
	global_inv scope:SCOPE_SE
	s_clause 0x4
	scratch_load_b128 v[6:9], off, off offset:112
	scratch_load_b128 v[36:39], off, off offset:128
	scratch_load_b128 v[40:43], off, off offset:144
	scratch_load_b128 v[44:47], off, off offset:160
	scratch_load_b128 v[48:51], off, off offset:96
	ds_load_b128 v[52:55], v1 offset:288
	ds_load_b128 v[56:59], v1 offset:304
	s_mov_b32 s2, exec_lo
	s_wait_loadcnt_dscnt 0x401
	v_mul_f64_e32 v[2:3], v[54:55], v[8:9]
	v_mul_f64_e32 v[8:9], v[52:53], v[8:9]
	s_wait_loadcnt_dscnt 0x300
	v_mul_f64_e32 v[10:11], v[56:57], v[38:39]
	v_mul_f64_e32 v[38:39], v[58:59], v[38:39]
	s_delay_alu instid0(VALU_DEP_4) | instskip(NEXT) | instid1(VALU_DEP_4)
	v_fma_f64 v[52:53], v[52:53], v[6:7], -v[2:3]
	v_fma_f64 v[54:55], v[54:55], v[6:7], v[8:9]
	ds_load_b128 v[6:9], v1 offset:320
	ds_load_b128 v[1:4], v1 offset:336
	v_fma_f64 v[10:11], v[58:59], v[36:37], v[10:11]
	v_fma_f64 v[36:37], v[56:57], v[36:37], -v[38:39]
	s_wait_loadcnt_dscnt 0x201
	v_mul_f64_e32 v[60:61], v[6:7], v[42:43]
	v_mul_f64_e32 v[42:43], v[8:9], v[42:43]
	v_add_f64_e32 v[38:39], 0, v[52:53]
	v_add_f64_e32 v[52:53], 0, v[54:55]
	s_wait_loadcnt_dscnt 0x100
	v_mul_f64_e32 v[54:55], v[1:2], v[46:47]
	v_mul_f64_e32 v[46:47], v[3:4], v[46:47]
	v_fma_f64 v[8:9], v[8:9], v[40:41], v[60:61]
	v_fma_f64 v[6:7], v[6:7], v[40:41], -v[42:43]
	v_add_f64_e32 v[36:37], v[38:39], v[36:37]
	v_add_f64_e32 v[10:11], v[52:53], v[10:11]
	v_fma_f64 v[3:4], v[3:4], v[44:45], v[54:55]
	v_fma_f64 v[1:2], v[1:2], v[44:45], -v[46:47]
	s_delay_alu instid0(VALU_DEP_4) | instskip(NEXT) | instid1(VALU_DEP_4)
	v_add_f64_e32 v[6:7], v[36:37], v[6:7]
	v_add_f64_e32 v[8:9], v[10:11], v[8:9]
	s_delay_alu instid0(VALU_DEP_2) | instskip(NEXT) | instid1(VALU_DEP_2)
	v_add_f64_e32 v[1:2], v[6:7], v[1:2]
	v_add_f64_e32 v[3:4], v[8:9], v[3:4]
	s_wait_loadcnt 0x0
	s_delay_alu instid0(VALU_DEP_2) | instskip(NEXT) | instid1(VALU_DEP_2)
	v_add_f64_e64 v[1:2], v[48:49], -v[1:2]
	v_add_f64_e64 v[3:4], v[50:51], -v[3:4]
	scratch_store_b128 off, v[1:4], off offset:96
	v_cmpx_lt_u32_e32 5, v35
	s_cbranch_execz .LBB10_69
; %bb.68:
	scratch_load_b128 v[1:4], off, s9
	v_mov_b32_e32 v6, 0
	s_delay_alu instid0(VALU_DEP_1)
	v_dual_mov_b32 v7, v6 :: v_dual_mov_b32 v8, v6
	v_mov_b32_e32 v9, v6
	scratch_store_b128 off, v[6:9], off offset:80
	s_wait_loadcnt 0x0
	ds_store_b128 v5, v[1:4]
.LBB10_69:
	s_wait_alu 0xfffe
	s_or_b32 exec_lo, exec_lo, s2
	s_wait_storecnt_dscnt 0x0
	s_barrier_signal -1
	s_barrier_wait -1
	global_inv scope:SCOPE_SE
	s_clause 0x5
	scratch_load_b128 v[6:9], off, off offset:96
	scratch_load_b128 v[36:39], off, off offset:112
	;; [unrolled: 1-line block ×6, first 2 shown]
	v_mov_b32_e32 v1, 0
	ds_load_b128 v[56:59], v1 offset:272
	ds_load_b128 v[60:63], v1 offset:288
	s_mov_b32 s2, exec_lo
	s_wait_loadcnt_dscnt 0x501
	v_mul_f64_e32 v[2:3], v[58:59], v[8:9]
	v_mul_f64_e32 v[8:9], v[56:57], v[8:9]
	s_wait_loadcnt_dscnt 0x400
	v_mul_f64_e32 v[10:11], v[60:61], v[38:39]
	v_mul_f64_e32 v[38:39], v[62:63], v[38:39]
	s_delay_alu instid0(VALU_DEP_4) | instskip(NEXT) | instid1(VALU_DEP_4)
	v_fma_f64 v[2:3], v[56:57], v[6:7], -v[2:3]
	v_fma_f64 v[64:65], v[58:59], v[6:7], v[8:9]
	ds_load_b128 v[6:9], v1 offset:304
	ds_load_b128 v[56:59], v1 offset:320
	v_fma_f64 v[10:11], v[62:63], v[36:37], v[10:11]
	v_fma_f64 v[36:37], v[60:61], v[36:37], -v[38:39]
	s_wait_loadcnt_dscnt 0x301
	v_mul_f64_e32 v[66:67], v[6:7], v[42:43]
	v_mul_f64_e32 v[42:43], v[8:9], v[42:43]
	s_wait_loadcnt_dscnt 0x200
	v_mul_f64_e32 v[60:61], v[56:57], v[46:47]
	v_mul_f64_e32 v[46:47], v[58:59], v[46:47]
	v_add_f64_e32 v[2:3], 0, v[2:3]
	v_add_f64_e32 v[38:39], 0, v[64:65]
	v_fma_f64 v[62:63], v[8:9], v[40:41], v[66:67]
	v_fma_f64 v[40:41], v[6:7], v[40:41], -v[42:43]
	ds_load_b128 v[6:9], v1 offset:336
	v_fma_f64 v[42:43], v[58:59], v[44:45], v[60:61]
	v_fma_f64 v[44:45], v[56:57], v[44:45], -v[46:47]
	v_add_f64_e32 v[2:3], v[2:3], v[36:37]
	v_add_f64_e32 v[10:11], v[38:39], v[10:11]
	s_wait_loadcnt_dscnt 0x100
	v_mul_f64_e32 v[36:37], v[6:7], v[50:51]
	v_mul_f64_e32 v[38:39], v[8:9], v[50:51]
	s_delay_alu instid0(VALU_DEP_4) | instskip(NEXT) | instid1(VALU_DEP_4)
	v_add_f64_e32 v[2:3], v[2:3], v[40:41]
	v_add_f64_e32 v[10:11], v[10:11], v[62:63]
	s_delay_alu instid0(VALU_DEP_4) | instskip(NEXT) | instid1(VALU_DEP_4)
	v_fma_f64 v[8:9], v[8:9], v[48:49], v[36:37]
	v_fma_f64 v[6:7], v[6:7], v[48:49], -v[38:39]
	s_delay_alu instid0(VALU_DEP_4) | instskip(NEXT) | instid1(VALU_DEP_4)
	v_add_f64_e32 v[2:3], v[2:3], v[44:45]
	v_add_f64_e32 v[10:11], v[10:11], v[42:43]
	s_delay_alu instid0(VALU_DEP_2) | instskip(NEXT) | instid1(VALU_DEP_2)
	v_add_f64_e32 v[2:3], v[2:3], v[6:7]
	v_add_f64_e32 v[8:9], v[10:11], v[8:9]
	s_wait_loadcnt 0x0
	s_delay_alu instid0(VALU_DEP_2) | instskip(NEXT) | instid1(VALU_DEP_2)
	v_add_f64_e64 v[6:7], v[52:53], -v[2:3]
	v_add_f64_e64 v[8:9], v[54:55], -v[8:9]
	scratch_store_b128 off, v[6:9], off offset:80
	v_cmpx_lt_u32_e32 4, v35
	s_cbranch_execz .LBB10_71
; %bb.70:
	scratch_load_b128 v[6:9], off, s10
	v_dual_mov_b32 v2, v1 :: v_dual_mov_b32 v3, v1
	v_mov_b32_e32 v4, v1
	scratch_store_b128 off, v[1:4], off offset:64
	s_wait_loadcnt 0x0
	ds_store_b128 v5, v[6:9]
.LBB10_71:
	s_wait_alu 0xfffe
	s_or_b32 exec_lo, exec_lo, s2
	s_wait_storecnt_dscnt 0x0
	s_barrier_signal -1
	s_barrier_wait -1
	global_inv scope:SCOPE_SE
	s_clause 0x5
	scratch_load_b128 v[6:9], off, off offset:80
	scratch_load_b128 v[36:39], off, off offset:96
	;; [unrolled: 1-line block ×6, first 2 shown]
	ds_load_b128 v[56:59], v1 offset:256
	ds_load_b128 v[64:67], v1 offset:272
	scratch_load_b128 v[60:63], off, off offset:64
	s_mov_b32 s2, exec_lo
	s_wait_loadcnt_dscnt 0x601
	v_mul_f64_e32 v[2:3], v[58:59], v[8:9]
	v_mul_f64_e32 v[8:9], v[56:57], v[8:9]
	s_wait_loadcnt_dscnt 0x500
	v_mul_f64_e32 v[10:11], v[64:65], v[38:39]
	v_mul_f64_e32 v[38:39], v[66:67], v[38:39]
	s_delay_alu instid0(VALU_DEP_4) | instskip(NEXT) | instid1(VALU_DEP_4)
	v_fma_f64 v[2:3], v[56:57], v[6:7], -v[2:3]
	v_fma_f64 v[68:69], v[58:59], v[6:7], v[8:9]
	ds_load_b128 v[6:9], v1 offset:288
	ds_load_b128 v[56:59], v1 offset:304
	v_fma_f64 v[10:11], v[66:67], v[36:37], v[10:11]
	v_fma_f64 v[36:37], v[64:65], v[36:37], -v[38:39]
	s_wait_loadcnt_dscnt 0x401
	v_mul_f64_e32 v[70:71], v[6:7], v[42:43]
	v_mul_f64_e32 v[42:43], v[8:9], v[42:43]
	s_wait_loadcnt_dscnt 0x300
	v_mul_f64_e32 v[64:65], v[56:57], v[46:47]
	v_mul_f64_e32 v[46:47], v[58:59], v[46:47]
	v_add_f64_e32 v[2:3], 0, v[2:3]
	v_add_f64_e32 v[38:39], 0, v[68:69]
	v_fma_f64 v[66:67], v[8:9], v[40:41], v[70:71]
	v_fma_f64 v[40:41], v[6:7], v[40:41], -v[42:43]
	s_delay_alu instid0(VALU_DEP_4) | instskip(NEXT) | instid1(VALU_DEP_4)
	v_add_f64_e32 v[36:37], v[2:3], v[36:37]
	v_add_f64_e32 v[10:11], v[38:39], v[10:11]
	ds_load_b128 v[6:9], v1 offset:320
	ds_load_b128 v[1:4], v1 offset:336
	s_wait_loadcnt_dscnt 0x201
	v_mul_f64_e32 v[38:39], v[6:7], v[50:51]
	v_mul_f64_e32 v[42:43], v[8:9], v[50:51]
	v_fma_f64 v[50:51], v[58:59], v[44:45], v[64:65]
	v_fma_f64 v[44:45], v[56:57], v[44:45], -v[46:47]
	s_wait_loadcnt_dscnt 0x100
	v_mul_f64_e32 v[46:47], v[3:4], v[54:55]
	v_add_f64_e32 v[36:37], v[36:37], v[40:41]
	v_add_f64_e32 v[10:11], v[10:11], v[66:67]
	v_mul_f64_e32 v[40:41], v[1:2], v[54:55]
	v_fma_f64 v[8:9], v[8:9], v[48:49], v[38:39]
	v_fma_f64 v[6:7], v[6:7], v[48:49], -v[42:43]
	v_fma_f64 v[1:2], v[1:2], v[52:53], -v[46:47]
	v_add_f64_e32 v[36:37], v[36:37], v[44:45]
	v_add_f64_e32 v[10:11], v[10:11], v[50:51]
	v_fma_f64 v[3:4], v[3:4], v[52:53], v[40:41]
	s_delay_alu instid0(VALU_DEP_3) | instskip(NEXT) | instid1(VALU_DEP_3)
	v_add_f64_e32 v[6:7], v[36:37], v[6:7]
	v_add_f64_e32 v[8:9], v[10:11], v[8:9]
	s_delay_alu instid0(VALU_DEP_2) | instskip(NEXT) | instid1(VALU_DEP_2)
	v_add_f64_e32 v[1:2], v[6:7], v[1:2]
	v_add_f64_e32 v[3:4], v[8:9], v[3:4]
	s_wait_loadcnt 0x0
	s_delay_alu instid0(VALU_DEP_2) | instskip(NEXT) | instid1(VALU_DEP_2)
	v_add_f64_e64 v[1:2], v[60:61], -v[1:2]
	v_add_f64_e64 v[3:4], v[62:63], -v[3:4]
	scratch_store_b128 off, v[1:4], off offset:64
	v_cmpx_lt_u32_e32 3, v35
	s_cbranch_execz .LBB10_73
; %bb.72:
	scratch_load_b128 v[1:4], off, s5
	v_mov_b32_e32 v6, 0
	s_delay_alu instid0(VALU_DEP_1)
	v_dual_mov_b32 v7, v6 :: v_dual_mov_b32 v8, v6
	v_mov_b32_e32 v9, v6
	scratch_store_b128 off, v[6:9], off offset:48
	s_wait_loadcnt 0x0
	ds_store_b128 v5, v[1:4]
.LBB10_73:
	s_wait_alu 0xfffe
	s_or_b32 exec_lo, exec_lo, s2
	s_wait_storecnt_dscnt 0x0
	s_barrier_signal -1
	s_barrier_wait -1
	global_inv scope:SCOPE_SE
	s_clause 0x6
	scratch_load_b128 v[6:9], off, off offset:64
	scratch_load_b128 v[36:39], off, off offset:80
	;; [unrolled: 1-line block ×7, first 2 shown]
	v_mov_b32_e32 v1, 0
	scratch_load_b128 v[64:67], off, off offset:48
	s_mov_b32 s2, exec_lo
	ds_load_b128 v[60:63], v1 offset:240
	ds_load_b128 v[68:71], v1 offset:256
	s_wait_loadcnt_dscnt 0x701
	v_mul_f64_e32 v[2:3], v[62:63], v[8:9]
	v_mul_f64_e32 v[8:9], v[60:61], v[8:9]
	s_wait_loadcnt_dscnt 0x600
	v_mul_f64_e32 v[10:11], v[68:69], v[38:39]
	v_mul_f64_e32 v[38:39], v[70:71], v[38:39]
	s_delay_alu instid0(VALU_DEP_4) | instskip(NEXT) | instid1(VALU_DEP_4)
	v_fma_f64 v[2:3], v[60:61], v[6:7], -v[2:3]
	v_fma_f64 v[72:73], v[62:63], v[6:7], v[8:9]
	ds_load_b128 v[6:9], v1 offset:272
	ds_load_b128 v[60:63], v1 offset:288
	v_fma_f64 v[10:11], v[70:71], v[36:37], v[10:11]
	v_fma_f64 v[36:37], v[68:69], v[36:37], -v[38:39]
	s_wait_loadcnt_dscnt 0x501
	v_mul_f64_e32 v[74:75], v[6:7], v[42:43]
	v_mul_f64_e32 v[42:43], v[8:9], v[42:43]
	s_wait_loadcnt_dscnt 0x400
	v_mul_f64_e32 v[68:69], v[60:61], v[46:47]
	v_mul_f64_e32 v[46:47], v[62:63], v[46:47]
	v_add_f64_e32 v[2:3], 0, v[2:3]
	v_add_f64_e32 v[38:39], 0, v[72:73]
	v_fma_f64 v[70:71], v[8:9], v[40:41], v[74:75]
	v_fma_f64 v[40:41], v[6:7], v[40:41], -v[42:43]
	v_fma_f64 v[62:63], v[62:63], v[44:45], v[68:69]
	v_fma_f64 v[44:45], v[60:61], v[44:45], -v[46:47]
	v_add_f64_e32 v[2:3], v[2:3], v[36:37]
	v_add_f64_e32 v[10:11], v[38:39], v[10:11]
	ds_load_b128 v[6:9], v1 offset:304
	ds_load_b128 v[36:39], v1 offset:320
	s_wait_loadcnt_dscnt 0x301
	v_mul_f64_e32 v[42:43], v[6:7], v[50:51]
	v_mul_f64_e32 v[50:51], v[8:9], v[50:51]
	s_wait_loadcnt_dscnt 0x200
	v_mul_f64_e32 v[46:47], v[38:39], v[54:55]
	v_add_f64_e32 v[2:3], v[2:3], v[40:41]
	v_add_f64_e32 v[10:11], v[10:11], v[70:71]
	v_mul_f64_e32 v[40:41], v[36:37], v[54:55]
	v_fma_f64 v[42:43], v[8:9], v[48:49], v[42:43]
	v_fma_f64 v[48:49], v[6:7], v[48:49], -v[50:51]
	ds_load_b128 v[6:9], v1 offset:336
	v_fma_f64 v[36:37], v[36:37], v[52:53], -v[46:47]
	v_add_f64_e32 v[2:3], v[2:3], v[44:45]
	v_add_f64_e32 v[10:11], v[10:11], v[62:63]
	v_fma_f64 v[38:39], v[38:39], v[52:53], v[40:41]
	s_wait_loadcnt_dscnt 0x100
	v_mul_f64_e32 v[44:45], v[6:7], v[58:59]
	v_mul_f64_e32 v[50:51], v[8:9], v[58:59]
	v_add_f64_e32 v[2:3], v[2:3], v[48:49]
	v_add_f64_e32 v[10:11], v[10:11], v[42:43]
	s_delay_alu instid0(VALU_DEP_4) | instskip(NEXT) | instid1(VALU_DEP_4)
	v_fma_f64 v[8:9], v[8:9], v[56:57], v[44:45]
	v_fma_f64 v[6:7], v[6:7], v[56:57], -v[50:51]
	s_delay_alu instid0(VALU_DEP_4) | instskip(NEXT) | instid1(VALU_DEP_4)
	v_add_f64_e32 v[2:3], v[2:3], v[36:37]
	v_add_f64_e32 v[10:11], v[10:11], v[38:39]
	s_delay_alu instid0(VALU_DEP_2) | instskip(NEXT) | instid1(VALU_DEP_2)
	v_add_f64_e32 v[2:3], v[2:3], v[6:7]
	v_add_f64_e32 v[8:9], v[10:11], v[8:9]
	s_wait_loadcnt 0x0
	s_delay_alu instid0(VALU_DEP_2) | instskip(NEXT) | instid1(VALU_DEP_2)
	v_add_f64_e64 v[6:7], v[64:65], -v[2:3]
	v_add_f64_e64 v[8:9], v[66:67], -v[8:9]
	scratch_store_b128 off, v[6:9], off offset:48
	v_cmpx_lt_u32_e32 2, v35
	s_cbranch_execz .LBB10_75
; %bb.74:
	scratch_load_b128 v[6:9], off, s8
	v_dual_mov_b32 v2, v1 :: v_dual_mov_b32 v3, v1
	v_mov_b32_e32 v4, v1
	scratch_store_b128 off, v[1:4], off offset:32
	s_wait_loadcnt 0x0
	ds_store_b128 v5, v[6:9]
.LBB10_75:
	s_wait_alu 0xfffe
	s_or_b32 exec_lo, exec_lo, s2
	s_wait_storecnt_dscnt 0x0
	s_barrier_signal -1
	s_barrier_wait -1
	global_inv scope:SCOPE_SE
	s_clause 0x7
	scratch_load_b128 v[6:9], off, off offset:48
	scratch_load_b128 v[36:39], off, off offset:64
	;; [unrolled: 1-line block ×8, first 2 shown]
	ds_load_b128 v[64:67], v1 offset:224
	ds_load_b128 v[68:71], v1 offset:240
	scratch_load_b128 v[72:75], off, off offset:32
	s_mov_b32 s2, exec_lo
	s_wait_loadcnt_dscnt 0x801
	v_mul_f64_e32 v[2:3], v[66:67], v[8:9]
	v_mul_f64_e32 v[8:9], v[64:65], v[8:9]
	s_wait_loadcnt_dscnt 0x700
	v_mul_f64_e32 v[10:11], v[68:69], v[38:39]
	v_mul_f64_e32 v[38:39], v[70:71], v[38:39]
	s_delay_alu instid0(VALU_DEP_4) | instskip(NEXT) | instid1(VALU_DEP_4)
	v_fma_f64 v[2:3], v[64:65], v[6:7], -v[2:3]
	v_fma_f64 v[76:77], v[66:67], v[6:7], v[8:9]
	ds_load_b128 v[6:9], v1 offset:256
	ds_load_b128 v[64:67], v1 offset:272
	v_fma_f64 v[10:11], v[70:71], v[36:37], v[10:11]
	v_fma_f64 v[36:37], v[68:69], v[36:37], -v[38:39]
	s_wait_loadcnt_dscnt 0x601
	v_mul_f64_e32 v[78:79], v[6:7], v[42:43]
	v_mul_f64_e32 v[42:43], v[8:9], v[42:43]
	s_wait_loadcnt_dscnt 0x500
	v_mul_f64_e32 v[68:69], v[64:65], v[46:47]
	v_mul_f64_e32 v[46:47], v[66:67], v[46:47]
	v_add_f64_e32 v[2:3], 0, v[2:3]
	v_add_f64_e32 v[38:39], 0, v[76:77]
	v_fma_f64 v[70:71], v[8:9], v[40:41], v[78:79]
	v_fma_f64 v[40:41], v[6:7], v[40:41], -v[42:43]
	v_fma_f64 v[66:67], v[66:67], v[44:45], v[68:69]
	v_fma_f64 v[44:45], v[64:65], v[44:45], -v[46:47]
	v_add_f64_e32 v[2:3], v[2:3], v[36:37]
	v_add_f64_e32 v[10:11], v[38:39], v[10:11]
	ds_load_b128 v[6:9], v1 offset:288
	ds_load_b128 v[36:39], v1 offset:304
	s_wait_loadcnt_dscnt 0x401
	v_mul_f64_e32 v[42:43], v[6:7], v[50:51]
	v_mul_f64_e32 v[50:51], v[8:9], v[50:51]
	s_wait_loadcnt_dscnt 0x300
	v_mul_f64_e32 v[46:47], v[38:39], v[54:55]
	v_add_f64_e32 v[2:3], v[2:3], v[40:41]
	v_add_f64_e32 v[10:11], v[10:11], v[70:71]
	v_mul_f64_e32 v[40:41], v[36:37], v[54:55]
	v_fma_f64 v[42:43], v[8:9], v[48:49], v[42:43]
	v_fma_f64 v[48:49], v[6:7], v[48:49], -v[50:51]
	v_fma_f64 v[36:37], v[36:37], v[52:53], -v[46:47]
	v_add_f64_e32 v[44:45], v[2:3], v[44:45]
	v_add_f64_e32 v[10:11], v[10:11], v[66:67]
	ds_load_b128 v[6:9], v1 offset:320
	ds_load_b128 v[1:4], v1 offset:336
	v_fma_f64 v[38:39], v[38:39], v[52:53], v[40:41]
	s_wait_loadcnt_dscnt 0x201
	v_mul_f64_e32 v[50:51], v[6:7], v[58:59]
	v_mul_f64_e32 v[54:55], v[8:9], v[58:59]
	v_add_f64_e32 v[40:41], v[44:45], v[48:49]
	v_add_f64_e32 v[10:11], v[10:11], v[42:43]
	s_wait_loadcnt_dscnt 0x100
	v_mul_f64_e32 v[42:43], v[1:2], v[62:63]
	v_mul_f64_e32 v[44:45], v[3:4], v[62:63]
	v_fma_f64 v[8:9], v[8:9], v[56:57], v[50:51]
	v_fma_f64 v[6:7], v[6:7], v[56:57], -v[54:55]
	v_add_f64_e32 v[36:37], v[40:41], v[36:37]
	v_add_f64_e32 v[10:11], v[10:11], v[38:39]
	v_fma_f64 v[3:4], v[3:4], v[60:61], v[42:43]
	v_fma_f64 v[1:2], v[1:2], v[60:61], -v[44:45]
	s_delay_alu instid0(VALU_DEP_4) | instskip(NEXT) | instid1(VALU_DEP_4)
	v_add_f64_e32 v[6:7], v[36:37], v[6:7]
	v_add_f64_e32 v[8:9], v[10:11], v[8:9]
	s_delay_alu instid0(VALU_DEP_2) | instskip(NEXT) | instid1(VALU_DEP_2)
	v_add_f64_e32 v[1:2], v[6:7], v[1:2]
	v_add_f64_e32 v[3:4], v[8:9], v[3:4]
	s_wait_loadcnt 0x0
	s_delay_alu instid0(VALU_DEP_2) | instskip(NEXT) | instid1(VALU_DEP_2)
	v_add_f64_e64 v[1:2], v[72:73], -v[1:2]
	v_add_f64_e64 v[3:4], v[74:75], -v[3:4]
	scratch_store_b128 off, v[1:4], off offset:32
	v_cmpx_lt_u32_e32 1, v35
	s_cbranch_execz .LBB10_77
; %bb.76:
	scratch_load_b128 v[1:4], off, s4
	v_mov_b32_e32 v6, 0
	s_delay_alu instid0(VALU_DEP_1)
	v_dual_mov_b32 v7, v6 :: v_dual_mov_b32 v8, v6
	v_mov_b32_e32 v9, v6
	scratch_store_b128 off, v[6:9], off offset:16
	s_wait_loadcnt 0x0
	ds_store_b128 v5, v[1:4]
.LBB10_77:
	s_wait_alu 0xfffe
	s_or_b32 exec_lo, exec_lo, s2
	s_wait_storecnt_dscnt 0x0
	s_barrier_signal -1
	s_barrier_wait -1
	global_inv scope:SCOPE_SE
	s_clause 0x7
	scratch_load_b128 v[6:9], off, off offset:32
	scratch_load_b128 v[36:39], off, off offset:48
	;; [unrolled: 1-line block ×8, first 2 shown]
	v_mov_b32_e32 v1, 0
	s_mov_b32 s2, exec_lo
	ds_load_b128 v[64:67], v1 offset:208
	s_clause 0x1
	scratch_load_b128 v[68:71], off, off offset:160
	scratch_load_b128 v[72:75], off, off offset:16
	ds_load_b128 v[76:79], v1 offset:224
	s_wait_loadcnt_dscnt 0x901
	v_mul_f64_e32 v[2:3], v[66:67], v[8:9]
	v_mul_f64_e32 v[8:9], v[64:65], v[8:9]
	s_wait_loadcnt_dscnt 0x800
	v_mul_f64_e32 v[10:11], v[76:77], v[38:39]
	v_mul_f64_e32 v[38:39], v[78:79], v[38:39]
	s_delay_alu instid0(VALU_DEP_4) | instskip(NEXT) | instid1(VALU_DEP_4)
	v_fma_f64 v[2:3], v[64:65], v[6:7], -v[2:3]
	v_fma_f64 v[80:81], v[66:67], v[6:7], v[8:9]
	ds_load_b128 v[6:9], v1 offset:240
	ds_load_b128 v[64:67], v1 offset:256
	v_fma_f64 v[10:11], v[78:79], v[36:37], v[10:11]
	v_fma_f64 v[36:37], v[76:77], v[36:37], -v[38:39]
	s_wait_loadcnt_dscnt 0x701
	v_mul_f64_e32 v[82:83], v[6:7], v[42:43]
	v_mul_f64_e32 v[42:43], v[8:9], v[42:43]
	s_wait_loadcnt_dscnt 0x600
	v_mul_f64_e32 v[76:77], v[64:65], v[46:47]
	v_mul_f64_e32 v[46:47], v[66:67], v[46:47]
	v_add_f64_e32 v[2:3], 0, v[2:3]
	v_add_f64_e32 v[38:39], 0, v[80:81]
	v_fma_f64 v[78:79], v[8:9], v[40:41], v[82:83]
	v_fma_f64 v[40:41], v[6:7], v[40:41], -v[42:43]
	v_fma_f64 v[66:67], v[66:67], v[44:45], v[76:77]
	v_fma_f64 v[44:45], v[64:65], v[44:45], -v[46:47]
	v_add_f64_e32 v[2:3], v[2:3], v[36:37]
	v_add_f64_e32 v[10:11], v[38:39], v[10:11]
	ds_load_b128 v[6:9], v1 offset:272
	ds_load_b128 v[36:39], v1 offset:288
	s_wait_loadcnt_dscnt 0x501
	v_mul_f64_e32 v[42:43], v[6:7], v[50:51]
	v_mul_f64_e32 v[50:51], v[8:9], v[50:51]
	s_wait_loadcnt_dscnt 0x400
	v_mul_f64_e32 v[46:47], v[36:37], v[54:55]
	v_mul_f64_e32 v[54:55], v[38:39], v[54:55]
	v_add_f64_e32 v[2:3], v[2:3], v[40:41]
	v_add_f64_e32 v[10:11], v[10:11], v[78:79]
	v_fma_f64 v[64:65], v[8:9], v[48:49], v[42:43]
	v_fma_f64 v[48:49], v[6:7], v[48:49], -v[50:51]
	ds_load_b128 v[6:9], v1 offset:304
	ds_load_b128 v[40:43], v1 offset:320
	v_fma_f64 v[38:39], v[38:39], v[52:53], v[46:47]
	v_fma_f64 v[36:37], v[36:37], v[52:53], -v[54:55]
	v_add_f64_e32 v[2:3], v[2:3], v[44:45]
	v_add_f64_e32 v[10:11], v[10:11], v[66:67]
	s_wait_loadcnt_dscnt 0x301
	v_mul_f64_e32 v[44:45], v[6:7], v[58:59]
	v_mul_f64_e32 v[50:51], v[8:9], v[58:59]
	s_wait_loadcnt_dscnt 0x200
	v_mul_f64_e32 v[46:47], v[40:41], v[62:63]
	v_add_f64_e32 v[2:3], v[2:3], v[48:49]
	v_add_f64_e32 v[10:11], v[10:11], v[64:65]
	v_mul_f64_e32 v[48:49], v[42:43], v[62:63]
	v_fma_f64 v[44:45], v[8:9], v[56:57], v[44:45]
	v_fma_f64 v[50:51], v[6:7], v[56:57], -v[50:51]
	ds_load_b128 v[6:9], v1 offset:336
	v_fma_f64 v[42:43], v[42:43], v[60:61], v[46:47]
	v_add_f64_e32 v[2:3], v[2:3], v[36:37]
	v_add_f64_e32 v[10:11], v[10:11], v[38:39]
	s_wait_loadcnt_dscnt 0x100
	v_mul_f64_e32 v[36:37], v[6:7], v[70:71]
	v_mul_f64_e32 v[38:39], v[8:9], v[70:71]
	v_fma_f64 v[40:41], v[40:41], v[60:61], -v[48:49]
	v_add_f64_e32 v[2:3], v[2:3], v[50:51]
	v_add_f64_e32 v[10:11], v[10:11], v[44:45]
	v_fma_f64 v[8:9], v[8:9], v[68:69], v[36:37]
	v_fma_f64 v[6:7], v[6:7], v[68:69], -v[38:39]
	s_delay_alu instid0(VALU_DEP_4) | instskip(NEXT) | instid1(VALU_DEP_4)
	v_add_f64_e32 v[2:3], v[2:3], v[40:41]
	v_add_f64_e32 v[10:11], v[10:11], v[42:43]
	s_delay_alu instid0(VALU_DEP_2) | instskip(NEXT) | instid1(VALU_DEP_2)
	v_add_f64_e32 v[2:3], v[2:3], v[6:7]
	v_add_f64_e32 v[8:9], v[10:11], v[8:9]
	s_wait_loadcnt 0x0
	s_delay_alu instid0(VALU_DEP_2) | instskip(NEXT) | instid1(VALU_DEP_2)
	v_add_f64_e64 v[6:7], v[72:73], -v[2:3]
	v_add_f64_e64 v[8:9], v[74:75], -v[8:9]
	scratch_store_b128 off, v[6:9], off offset:16
	v_cmpx_ne_u32_e32 0, v35
	s_cbranch_execz .LBB10_79
; %bb.78:
	scratch_load_b128 v[6:9], off, off
	v_dual_mov_b32 v2, v1 :: v_dual_mov_b32 v3, v1
	v_mov_b32_e32 v4, v1
	scratch_store_b128 off, v[1:4], off
	s_wait_loadcnt 0x0
	ds_store_b128 v5, v[6:9]
.LBB10_79:
	s_wait_alu 0xfffe
	s_or_b32 exec_lo, exec_lo, s2
	s_wait_storecnt_dscnt 0x0
	s_barrier_signal -1
	s_barrier_wait -1
	global_inv scope:SCOPE_SE
	s_clause 0x8
	scratch_load_b128 v[2:5], off, off offset:16
	scratch_load_b128 v[6:9], off, off offset:32
	;; [unrolled: 1-line block ×9, first 2 shown]
	ds_load_b128 v[64:67], v1 offset:192
	ds_load_b128 v[68:71], v1 offset:208
	s_clause 0x1
	scratch_load_b128 v[72:75], off, off
	scratch_load_b128 v[76:79], off, off offset:160
	s_and_b32 vcc_lo, exec_lo, s20
	s_wait_loadcnt_dscnt 0xa01
	v_mul_f64_e32 v[10:11], v[66:67], v[4:5]
	v_mul_f64_e32 v[4:5], v[64:65], v[4:5]
	s_wait_loadcnt_dscnt 0x900
	v_mul_f64_e32 v[80:81], v[68:69], v[8:9]
	v_mul_f64_e32 v[82:83], v[70:71], v[8:9]
	s_delay_alu instid0(VALU_DEP_4) | instskip(NEXT) | instid1(VALU_DEP_4)
	v_fma_f64 v[64:65], v[64:65], v[2:3], -v[10:11]
	v_fma_f64 v[66:67], v[66:67], v[2:3], v[4:5]
	ds_load_b128 v[2:5], v1 offset:224
	ds_load_b128 v[8:11], v1 offset:240
	v_fma_f64 v[70:71], v[70:71], v[6:7], v[80:81]
	v_fma_f64 v[6:7], v[68:69], v[6:7], -v[82:83]
	s_wait_loadcnt_dscnt 0x801
	v_mul_f64_e32 v[84:85], v[2:3], v[38:39]
	v_mul_f64_e32 v[38:39], v[4:5], v[38:39]
	s_wait_loadcnt_dscnt 0x700
	v_mul_f64_e32 v[68:69], v[8:9], v[42:43]
	v_mul_f64_e32 v[42:43], v[10:11], v[42:43]
	v_add_f64_e32 v[64:65], 0, v[64:65]
	v_add_f64_e32 v[66:67], 0, v[66:67]
	v_fma_f64 v[80:81], v[4:5], v[36:37], v[84:85]
	v_fma_f64 v[82:83], v[2:3], v[36:37], -v[38:39]
	ds_load_b128 v[2:5], v1 offset:256
	ds_load_b128 v[36:39], v1 offset:272
	v_fma_f64 v[10:11], v[10:11], v[40:41], v[68:69]
	v_fma_f64 v[8:9], v[8:9], v[40:41], -v[42:43]
	v_add_f64_e32 v[6:7], v[64:65], v[6:7]
	v_add_f64_e32 v[64:65], v[66:67], v[70:71]
	s_wait_loadcnt_dscnt 0x601
	v_mul_f64_e32 v[66:67], v[2:3], v[46:47]
	v_mul_f64_e32 v[46:47], v[4:5], v[46:47]
	s_wait_loadcnt_dscnt 0x500
	v_mul_f64_e32 v[42:43], v[36:37], v[50:51]
	v_mul_f64_e32 v[50:51], v[38:39], v[50:51]
	v_add_f64_e32 v[6:7], v[6:7], v[82:83]
	v_add_f64_e32 v[40:41], v[64:65], v[80:81]
	v_fma_f64 v[64:65], v[4:5], v[44:45], v[66:67]
	v_fma_f64 v[44:45], v[2:3], v[44:45], -v[46:47]
	v_fma_f64 v[38:39], v[38:39], v[48:49], v[42:43]
	v_fma_f64 v[36:37], v[36:37], v[48:49], -v[50:51]
	v_add_f64_e32 v[46:47], v[6:7], v[8:9]
	v_add_f64_e32 v[10:11], v[40:41], v[10:11]
	ds_load_b128 v[2:5], v1 offset:288
	ds_load_b128 v[6:9], v1 offset:304
	s_wait_loadcnt_dscnt 0x401
	v_mul_f64_e32 v[40:41], v[2:3], v[54:55]
	v_mul_f64_e32 v[54:55], v[4:5], v[54:55]
	v_add_f64_e32 v[42:43], v[46:47], v[44:45]
	v_add_f64_e32 v[10:11], v[10:11], v[64:65]
	s_wait_loadcnt_dscnt 0x300
	v_mul_f64_e32 v[44:45], v[6:7], v[58:59]
	v_mul_f64_e32 v[46:47], v[8:9], v[58:59]
	v_fma_f64 v[40:41], v[4:5], v[52:53], v[40:41]
	v_fma_f64 v[48:49], v[2:3], v[52:53], -v[54:55]
	v_add_f64_e32 v[42:43], v[42:43], v[36:37]
	v_add_f64_e32 v[10:11], v[10:11], v[38:39]
	ds_load_b128 v[2:5], v1 offset:320
	ds_load_b128 v[36:39], v1 offset:336
	v_fma_f64 v[8:9], v[8:9], v[56:57], v[44:45]
	v_fma_f64 v[6:7], v[6:7], v[56:57], -v[46:47]
	s_wait_loadcnt_dscnt 0x201
	v_mul_f64_e32 v[50:51], v[2:3], v[62:63]
	v_mul_f64_e32 v[52:53], v[4:5], v[62:63]
	s_wait_loadcnt_dscnt 0x0
	v_mul_f64_e32 v[44:45], v[38:39], v[78:79]
	v_add_f64_e32 v[42:43], v[42:43], v[48:49]
	v_add_f64_e32 v[10:11], v[10:11], v[40:41]
	v_mul_f64_e32 v[40:41], v[36:37], v[78:79]
	v_fma_f64 v[4:5], v[4:5], v[60:61], v[50:51]
	v_fma_f64 v[1:2], v[2:3], v[60:61], -v[52:53]
	v_fma_f64 v[36:37], v[36:37], v[76:77], -v[44:45]
	v_add_f64_e32 v[6:7], v[42:43], v[6:7]
	v_add_f64_e32 v[8:9], v[10:11], v[8:9]
	v_fma_f64 v[10:11], v[38:39], v[76:77], v[40:41]
	s_delay_alu instid0(VALU_DEP_3) | instskip(NEXT) | instid1(VALU_DEP_3)
	v_add_f64_e32 v[1:2], v[6:7], v[1:2]
	v_add_f64_e32 v[3:4], v[8:9], v[4:5]
	s_delay_alu instid0(VALU_DEP_2) | instskip(NEXT) | instid1(VALU_DEP_2)
	v_add_f64_e32 v[1:2], v[1:2], v[36:37]
	v_add_f64_e32 v[3:4], v[3:4], v[10:11]
	s_delay_alu instid0(VALU_DEP_2) | instskip(NEXT) | instid1(VALU_DEP_2)
	v_add_f64_e64 v[1:2], v[72:73], -v[1:2]
	v_add_f64_e64 v[3:4], v[74:75], -v[3:4]
	scratch_store_b128 off, v[1:4], off
	s_wait_alu 0xfffe
	s_cbranch_vccz .LBB10_100
; %bb.80:
	v_mov_b32_e32 v1, 0
	s_load_b64 s[0:1], s[0:1], 0x4
	v_bfe_u32 v3, v0, 10, 10
	v_bfe_u32 v0, v0, 20, 10
	global_load_b32 v2, v1, s[16:17] offset:36
	s_wait_kmcnt 0x0
	s_lshr_b32 s0, s0, 16
	v_mul_u32_u24_e32 v3, s1, v3
	s_mul_i32 s0, s0, s1
	s_wait_alu 0xfffe
	v_mul_u32_u24_e32 v4, s0, v35
	s_delay_alu instid0(VALU_DEP_1) | instskip(NEXT) | instid1(VALU_DEP_1)
	v_add3_u32 v0, v4, v3, v0
	v_lshl_add_u32 v0, v0, 4, 0x168
	s_wait_loadcnt 0x0
	v_cmp_ne_u32_e32 vcc_lo, 10, v2
	s_cbranch_vccz .LBB10_82
; %bb.81:
	v_lshlrev_b32_e32 v2, 4, v2
	s_delay_alu instid0(VALU_DEP_1)
	v_mov_b32_e32 v10, v2
	s_clause 0x1
	scratch_load_b128 v[2:5], off, s13
	scratch_load_b128 v[6:9], v10, off offset:-16
	s_wait_loadcnt 0x1
	ds_store_2addr_b64 v0, v[2:3], v[4:5] offset1:1
	s_wait_loadcnt 0x0
	s_clause 0x1
	scratch_store_b128 off, v[6:9], s13
	scratch_store_b128 v10, v[2:5], off offset:-16
.LBB10_82:
	global_load_b32 v1, v1, s[16:17] offset:32
	s_wait_loadcnt 0x0
	v_cmp_eq_u32_e32 vcc_lo, 9, v1
	s_cbranch_vccnz .LBB10_84
; %bb.83:
	v_lshlrev_b32_e32 v1, 4, v1
	s_delay_alu instid0(VALU_DEP_1)
	v_mov_b32_e32 v9, v1
	s_clause 0x1
	scratch_load_b128 v[1:4], off, s14
	scratch_load_b128 v[5:8], v9, off offset:-16
	s_wait_loadcnt 0x1
	ds_store_2addr_b64 v0, v[1:2], v[3:4] offset1:1
	s_wait_loadcnt 0x0
	s_clause 0x1
	scratch_store_b128 off, v[5:8], s14
	scratch_store_b128 v9, v[1:4], off offset:-16
.LBB10_84:
	v_mov_b32_e32 v1, 0
	global_load_b32 v2, v1, s[16:17] offset:28
	s_wait_loadcnt 0x0
	v_cmp_eq_u32_e32 vcc_lo, 8, v2
	s_cbranch_vccnz .LBB10_86
; %bb.85:
	v_lshlrev_b32_e32 v2, 4, v2
	s_delay_alu instid0(VALU_DEP_1)
	v_mov_b32_e32 v10, v2
	s_clause 0x1
	scratch_load_b128 v[2:5], off, s11
	scratch_load_b128 v[6:9], v10, off offset:-16
	s_wait_loadcnt 0x1
	ds_store_2addr_b64 v0, v[2:3], v[4:5] offset1:1
	s_wait_loadcnt 0x0
	s_clause 0x1
	scratch_store_b128 off, v[6:9], s11
	scratch_store_b128 v10, v[2:5], off offset:-16
.LBB10_86:
	global_load_b32 v1, v1, s[16:17] offset:24
	s_wait_loadcnt 0x0
	v_cmp_eq_u32_e32 vcc_lo, 7, v1
	s_cbranch_vccnz .LBB10_88
; %bb.87:
	v_lshlrev_b32_e32 v1, 4, v1
	s_delay_alu instid0(VALU_DEP_1)
	v_mov_b32_e32 v9, v1
	s_clause 0x1
	scratch_load_b128 v[1:4], off, s12
	scratch_load_b128 v[5:8], v9, off offset:-16
	s_wait_loadcnt 0x1
	ds_store_2addr_b64 v0, v[1:2], v[3:4] offset1:1
	s_wait_loadcnt 0x0
	s_clause 0x1
	scratch_store_b128 off, v[5:8], s12
	scratch_store_b128 v9, v[1:4], off offset:-16
.LBB10_88:
	v_mov_b32_e32 v1, 0
	global_load_b32 v2, v1, s[16:17] offset:20
	s_wait_loadcnt 0x0
	v_cmp_eq_u32_e32 vcc_lo, 6, v2
	s_cbranch_vccnz .LBB10_90
; %bb.89:
	v_lshlrev_b32_e32 v2, 4, v2
	s_delay_alu instid0(VALU_DEP_1)
	v_mov_b32_e32 v10, v2
	s_clause 0x1
	scratch_load_b128 v[2:5], off, s9
	scratch_load_b128 v[6:9], v10, off offset:-16
	s_wait_loadcnt 0x1
	ds_store_2addr_b64 v0, v[2:3], v[4:5] offset1:1
	s_wait_loadcnt 0x0
	s_clause 0x1
	scratch_store_b128 off, v[6:9], s9
	scratch_store_b128 v10, v[2:5], off offset:-16
.LBB10_90:
	;; [unrolled: 37-line block ×4, first 2 shown]
	global_load_b32 v1, v1, s[16:17]
	s_wait_loadcnt 0x0
	v_cmp_eq_u32_e32 vcc_lo, 1, v1
	s_cbranch_vccnz .LBB10_100
; %bb.99:
	v_lshlrev_b32_e32 v1, 4, v1
	s_delay_alu instid0(VALU_DEP_1)
	v_mov_b32_e32 v9, v1
	scratch_load_b128 v[1:4], off, off
	scratch_load_b128 v[5:8], v9, off offset:-16
	s_wait_loadcnt 0x1
	ds_store_2addr_b64 v0, v[1:2], v[3:4] offset1:1
	s_wait_loadcnt 0x0
	scratch_store_b128 off, v[5:8], off
	scratch_store_b128 v9, v[1:4], off offset:-16
.LBB10_100:
	scratch_load_b128 v[0:3], off, off
	s_clause 0x9
	scratch_load_b128 v[4:7], off, s4
	scratch_load_b128 v[8:11], off, s8
	;; [unrolled: 1-line block ×10, first 2 shown]
	s_wait_loadcnt 0xa
	global_store_b128 v[13:14], v[0:3], off
	s_wait_loadcnt 0x9
	global_store_b128 v[15:16], v[4:7], off
	;; [unrolled: 2-line block ×11, first 2 shown]
	s_endpgm
	.section	.rodata,"a",@progbits
	.p2align	6, 0x0
	.amdhsa_kernel _ZN9rocsolver6v33100L18getri_kernel_smallILi11E19rocblas_complex_numIdEPS3_EEvT1_iilPiilS6_bb
		.amdhsa_group_segment_fixed_size 1384
		.amdhsa_private_segment_fixed_size 192
		.amdhsa_kernarg_size 60
		.amdhsa_user_sgpr_count 4
		.amdhsa_user_sgpr_dispatch_ptr 1
		.amdhsa_user_sgpr_queue_ptr 0
		.amdhsa_user_sgpr_kernarg_segment_ptr 1
		.amdhsa_user_sgpr_dispatch_id 0
		.amdhsa_user_sgpr_private_segment_size 0
		.amdhsa_wavefront_size32 1
		.amdhsa_uses_dynamic_stack 0
		.amdhsa_enable_private_segment 1
		.amdhsa_system_sgpr_workgroup_id_x 1
		.amdhsa_system_sgpr_workgroup_id_y 0
		.amdhsa_system_sgpr_workgroup_id_z 0
		.amdhsa_system_sgpr_workgroup_info 0
		.amdhsa_system_vgpr_workitem_id 2
		.amdhsa_next_free_vgpr 86
		.amdhsa_next_free_sgpr 24
		.amdhsa_reserve_vcc 1
		.amdhsa_float_round_mode_32 0
		.amdhsa_float_round_mode_16_64 0
		.amdhsa_float_denorm_mode_32 3
		.amdhsa_float_denorm_mode_16_64 3
		.amdhsa_fp16_overflow 0
		.amdhsa_workgroup_processor_mode 1
		.amdhsa_memory_ordered 1
		.amdhsa_forward_progress 1
		.amdhsa_inst_pref_size 86
		.amdhsa_round_robin_scheduling 0
		.amdhsa_exception_fp_ieee_invalid_op 0
		.amdhsa_exception_fp_denorm_src 0
		.amdhsa_exception_fp_ieee_div_zero 0
		.amdhsa_exception_fp_ieee_overflow 0
		.amdhsa_exception_fp_ieee_underflow 0
		.amdhsa_exception_fp_ieee_inexact 0
		.amdhsa_exception_int_div_zero 0
	.end_amdhsa_kernel
	.section	.text._ZN9rocsolver6v33100L18getri_kernel_smallILi11E19rocblas_complex_numIdEPS3_EEvT1_iilPiilS6_bb,"axG",@progbits,_ZN9rocsolver6v33100L18getri_kernel_smallILi11E19rocblas_complex_numIdEPS3_EEvT1_iilPiilS6_bb,comdat
.Lfunc_end10:
	.size	_ZN9rocsolver6v33100L18getri_kernel_smallILi11E19rocblas_complex_numIdEPS3_EEvT1_iilPiilS6_bb, .Lfunc_end10-_ZN9rocsolver6v33100L18getri_kernel_smallILi11E19rocblas_complex_numIdEPS3_EEvT1_iilPiilS6_bb
                                        ; -- End function
	.set _ZN9rocsolver6v33100L18getri_kernel_smallILi11E19rocblas_complex_numIdEPS3_EEvT1_iilPiilS6_bb.num_vgpr, 86
	.set _ZN9rocsolver6v33100L18getri_kernel_smallILi11E19rocblas_complex_numIdEPS3_EEvT1_iilPiilS6_bb.num_agpr, 0
	.set _ZN9rocsolver6v33100L18getri_kernel_smallILi11E19rocblas_complex_numIdEPS3_EEvT1_iilPiilS6_bb.numbered_sgpr, 24
	.set _ZN9rocsolver6v33100L18getri_kernel_smallILi11E19rocblas_complex_numIdEPS3_EEvT1_iilPiilS6_bb.num_named_barrier, 0
	.set _ZN9rocsolver6v33100L18getri_kernel_smallILi11E19rocblas_complex_numIdEPS3_EEvT1_iilPiilS6_bb.private_seg_size, 192
	.set _ZN9rocsolver6v33100L18getri_kernel_smallILi11E19rocblas_complex_numIdEPS3_EEvT1_iilPiilS6_bb.uses_vcc, 1
	.set _ZN9rocsolver6v33100L18getri_kernel_smallILi11E19rocblas_complex_numIdEPS3_EEvT1_iilPiilS6_bb.uses_flat_scratch, 1
	.set _ZN9rocsolver6v33100L18getri_kernel_smallILi11E19rocblas_complex_numIdEPS3_EEvT1_iilPiilS6_bb.has_dyn_sized_stack, 0
	.set _ZN9rocsolver6v33100L18getri_kernel_smallILi11E19rocblas_complex_numIdEPS3_EEvT1_iilPiilS6_bb.has_recursion, 0
	.set _ZN9rocsolver6v33100L18getri_kernel_smallILi11E19rocblas_complex_numIdEPS3_EEvT1_iilPiilS6_bb.has_indirect_call, 0
	.section	.AMDGPU.csdata,"",@progbits
; Kernel info:
; codeLenInByte = 10972
; TotalNumSgprs: 26
; NumVgprs: 86
; ScratchSize: 192
; MemoryBound: 0
; FloatMode: 240
; IeeeMode: 1
; LDSByteSize: 1384 bytes/workgroup (compile time only)
; SGPRBlocks: 0
; VGPRBlocks: 10
; NumSGPRsForWavesPerEU: 26
; NumVGPRsForWavesPerEU: 86
; Occupancy: 16
; WaveLimiterHint : 1
; COMPUTE_PGM_RSRC2:SCRATCH_EN: 1
; COMPUTE_PGM_RSRC2:USER_SGPR: 4
; COMPUTE_PGM_RSRC2:TRAP_HANDLER: 0
; COMPUTE_PGM_RSRC2:TGID_X_EN: 1
; COMPUTE_PGM_RSRC2:TGID_Y_EN: 0
; COMPUTE_PGM_RSRC2:TGID_Z_EN: 0
; COMPUTE_PGM_RSRC2:TIDIG_COMP_CNT: 2
	.section	.text._ZN9rocsolver6v33100L18getri_kernel_smallILi12E19rocblas_complex_numIdEPS3_EEvT1_iilPiilS6_bb,"axG",@progbits,_ZN9rocsolver6v33100L18getri_kernel_smallILi12E19rocblas_complex_numIdEPS3_EEvT1_iilPiilS6_bb,comdat
	.globl	_ZN9rocsolver6v33100L18getri_kernel_smallILi12E19rocblas_complex_numIdEPS3_EEvT1_iilPiilS6_bb ; -- Begin function _ZN9rocsolver6v33100L18getri_kernel_smallILi12E19rocblas_complex_numIdEPS3_EEvT1_iilPiilS6_bb
	.p2align	8
	.type	_ZN9rocsolver6v33100L18getri_kernel_smallILi12E19rocblas_complex_numIdEPS3_EEvT1_iilPiilS6_bb,@function
_ZN9rocsolver6v33100L18getri_kernel_smallILi12E19rocblas_complex_numIdEPS3_EEvT1_iilPiilS6_bb: ; @_ZN9rocsolver6v33100L18getri_kernel_smallILi12E19rocblas_complex_numIdEPS3_EEvT1_iilPiilS6_bb
; %bb.0:
	v_and_b32_e32 v37, 0x3ff, v0
	s_mov_b32 s4, exec_lo
	s_delay_alu instid0(VALU_DEP_1)
	v_cmpx_gt_u32_e32 12, v37
	s_cbranch_execz .LBB11_62
; %bb.1:
	s_clause 0x2
	s_load_b32 s8, s[2:3], 0x38
	s_load_b128 s[12:15], s[2:3], 0x10
	s_load_b128 s[4:7], s[2:3], 0x28
	s_mov_b32 s18, ttmp9
                                        ; implicit-def: $sgpr16_sgpr17
	s_wait_kmcnt 0x0
	s_bitcmp1_b32 s8, 8
	s_cselect_b32 s20, -1, 0
	s_bfe_u32 s8, s8, 0x10008
	s_ashr_i32 s19, ttmp9, 31
	s_cmp_eq_u32 s8, 0
	s_cbranch_scc1 .LBB11_3
; %bb.2:
	s_load_b32 s8, s[2:3], 0x20
	s_mul_u64 s[4:5], s[4:5], s[18:19]
	s_delay_alu instid0(SALU_CYCLE_1) | instskip(NEXT) | instid1(SALU_CYCLE_1)
	s_lshl_b64 s[4:5], s[4:5], 2
	s_add_nc_u64 s[4:5], s[14:15], s[4:5]
	s_wait_kmcnt 0x0
	s_ashr_i32 s9, s8, 31
	s_delay_alu instid0(SALU_CYCLE_1) | instskip(NEXT) | instid1(SALU_CYCLE_1)
	s_lshl_b64 s[8:9], s[8:9], 2
	s_add_nc_u64 s[16:17], s[4:5], s[8:9]
.LBB11_3:
	s_clause 0x1
	s_load_b128 s[8:11], s[2:3], 0x0
	s_load_b32 s22, s[2:3], 0x38
	s_mul_u64 s[2:3], s[12:13], s[18:19]
	v_lshlrev_b32_e32 v38, 4, v37
	s_lshl_b64 s[2:3], s[2:3], 4
	s_movk_i32 s12, 0x60
	s_movk_i32 s14, 0x80
	;; [unrolled: 1-line block ×5, first 2 shown]
	s_wait_kmcnt 0x0
	v_add3_u32 v5, s11, s11, v37
	s_ashr_i32 s5, s10, 31
	s_mov_b32 s4, s10
	s_add_nc_u64 s[2:3], s[8:9], s[2:3]
	s_lshl_b64 s[4:5], s[4:5], 4
	v_add_nc_u32_e32 v7, s11, v5
	v_ashrrev_i32_e32 v6, 31, v5
	s_add_nc_u64 s[2:3], s[2:3], s[4:5]
	s_ashr_i32 s9, s11, 31
	v_add_co_u32 v13, s4, s2, v38
	v_add_nc_u32_e32 v9, s11, v7
	s_mov_b32 s8, s11
	v_lshlrev_b64_e32 v[5:6], 4, v[5:6]
	v_add_co_ci_u32_e64 v14, null, s3, 0, s4
	s_delay_alu instid0(VALU_DEP_3)
	v_add_nc_u32_e32 v23, s11, v9
	v_ashrrev_i32_e32 v8, 31, v7
	s_lshl_b64 s[8:9], s[8:9], 4
	v_ashrrev_i32_e32 v10, 31, v9
	v_add_co_u32 v15, vcc_lo, v13, s8
	v_add_nc_u32_e32 v25, s11, v23
	v_ashrrev_i32_e32 v24, 31, v23
	v_add_co_ci_u32_e64 v16, null, s9, v14, vcc_lo
	v_lshlrev_b64_e32 v[7:8], 4, v[7:8]
	s_delay_alu instid0(VALU_DEP_4)
	v_add_nc_u32_e32 v28, s11, v25
	v_add_co_u32 v17, vcc_lo, s2, v5
	v_ashrrev_i32_e32 v26, 31, v25
	s_wait_alu 0xfffd
	v_add_co_ci_u32_e64 v18, null, s3, v6, vcc_lo
	v_lshlrev_b64_e32 v[5:6], 4, v[9:10]
	v_add_nc_u32_e32 v30, s11, v28
	v_lshlrev_b64_e32 v[23:24], 4, v[23:24]
	v_add_co_u32 v19, vcc_lo, s2, v7
	v_lshlrev_b64_e32 v[26:27], 4, v[25:26]
	s_wait_alu 0xfffd
	v_add_co_ci_u32_e64 v20, null, s3, v8, vcc_lo
	v_add_co_u32 v21, vcc_lo, s2, v5
	v_add_nc_u32_e32 v32, s11, v30
	v_ashrrev_i32_e32 v29, 31, v28
	s_wait_alu 0xfffd
	v_add_co_ci_u32_e64 v22, null, s3, v6, vcc_lo
	v_add_co_u32 v23, vcc_lo, s2, v23
	v_ashrrev_i32_e32 v31, 31, v30
	s_wait_alu 0xfffd
	v_add_co_ci_u32_e64 v24, null, s3, v24, vcc_lo
	v_add_co_u32 v25, vcc_lo, s2, v26
	v_ashrrev_i32_e32 v33, 31, v32
	v_add_nc_u32_e32 v35, s11, v32
	s_wait_alu 0xfffd
	v_add_co_ci_u32_e64 v26, null, s3, v27, vcc_lo
	v_lshlrev_b64_e32 v[27:28], 4, v[28:29]
	v_lshlrev_b64_e32 v[29:30], 4, v[30:31]
	;; [unrolled: 1-line block ×3, first 2 shown]
	v_add_nc_u32_e32 v67, s11, v35
	v_ashrrev_i32_e32 v36, 31, v35
	global_load_b128 v[1:4], v38, s[2:3]
	v_add_co_u32 v27, vcc_lo, s2, v27
	s_wait_alu 0xfffd
	v_add_co_ci_u32_e64 v28, null, s3, v28, vcc_lo
	v_add_co_u32 v29, vcc_lo, s2, v29
	v_ashrrev_i32_e32 v68, 31, v67
	s_wait_alu 0xfffd
	v_add_co_ci_u32_e64 v30, null, s3, v30, vcc_lo
	v_add_co_u32 v31, vcc_lo, s2, v33
	s_wait_alu 0xfffd
	v_add_co_ci_u32_e64 v32, null, s3, v34, vcc_lo
	v_lshlrev_b64_e32 v[33:34], 4, v[35:36]
	v_lshlrev_b64_e32 v[35:36], 4, v[67:68]
	s_clause 0x8
	global_load_b128 v[5:8], v[15:16], off
	global_load_b128 v[9:12], v[17:18], off
	;; [unrolled: 1-line block ×9, first 2 shown]
	v_add_co_u32 v33, vcc_lo, s2, v33
	s_wait_alu 0xfffd
	v_add_co_ci_u32_e64 v34, null, s3, v34, vcc_lo
	v_add_co_u32 v35, vcc_lo, s2, v35
	s_wait_alu 0xfffd
	v_add_co_ci_u32_e64 v36, null, s3, v36, vcc_lo
	s_clause 0x1
	global_load_b128 v[67:70], v[33:34], off
	global_load_b128 v[71:74], v[35:36], off
	s_mov_b32 s4, 16
	s_mov_b32 s8, 32
	;; [unrolled: 1-line block ×3, first 2 shown]
	s_movk_i32 s9, 0x50
	s_mov_b32 s10, 64
	s_movk_i32 s11, 0x70
	s_mov_b32 s3, -1
	s_bitcmp0_b32 s22, 0
	s_wait_loadcnt 0xb
	scratch_store_b128 off, v[1:4], off
	s_wait_loadcnt 0xa
	scratch_store_b128 off, v[5:8], off offset:16
	s_wait_loadcnt 0x9
	scratch_store_b128 off, v[9:12], off offset:32
	;; [unrolled: 2-line block ×11, first 2 shown]
	s_cbranch_scc1 .LBB11_60
; %bb.4:
	v_cmp_eq_u32_e64 s2, 0, v37
	s_and_saveexec_b32 s3, s2
; %bb.5:
	v_mov_b32_e32 v1, 0
	ds_store_b32 v1, v1 offset:384
; %bb.6:
	s_wait_alu 0xfffe
	s_or_b32 exec_lo, exec_lo, s3
	s_wait_storecnt_dscnt 0x0
	s_barrier_signal -1
	s_barrier_wait -1
	global_inv scope:SCOPE_SE
	scratch_load_b128 v[1:4], v38, off
	s_wait_loadcnt 0x0
	v_cmp_eq_f64_e32 vcc_lo, 0, v[1:2]
	v_cmp_eq_f64_e64 s3, 0, v[3:4]
	s_and_b32 s3, vcc_lo, s3
	s_wait_alu 0xfffe
	s_and_saveexec_b32 s22, s3
	s_cbranch_execz .LBB11_10
; %bb.7:
	v_mov_b32_e32 v1, 0
	s_mov_b32 s23, 0
	ds_load_b32 v2, v1 offset:384
	s_wait_dscnt 0x0
	v_readfirstlane_b32 s3, v2
	v_add_nc_u32_e32 v2, 1, v37
	s_cmp_eq_u32 s3, 0
	s_delay_alu instid0(VALU_DEP_1) | instskip(SKIP_1) | instid1(SALU_CYCLE_1)
	v_cmp_gt_i32_e32 vcc_lo, s3, v2
	s_cselect_b32 s24, -1, 0
	s_or_b32 s24, s24, vcc_lo
	s_delay_alu instid0(SALU_CYCLE_1)
	s_and_b32 exec_lo, exec_lo, s24
	s_cbranch_execz .LBB11_10
; %bb.8:
	v_mov_b32_e32 v3, s3
.LBB11_9:                               ; =>This Inner Loop Header: Depth=1
	ds_cmpstore_rtn_b32 v3, v1, v2, v3 offset:384
	s_wait_dscnt 0x0
	v_cmp_ne_u32_e32 vcc_lo, 0, v3
	v_cmp_le_i32_e64 s3, v3, v2
	s_and_b32 s3, vcc_lo, s3
	s_wait_alu 0xfffe
	s_and_b32 s3, exec_lo, s3
	s_wait_alu 0xfffe
	s_or_b32 s23, s3, s23
	s_delay_alu instid0(SALU_CYCLE_1)
	s_and_not1_b32 exec_lo, exec_lo, s23
	s_cbranch_execnz .LBB11_9
.LBB11_10:
	s_or_b32 exec_lo, exec_lo, s22
	v_mov_b32_e32 v1, 0
	s_barrier_signal -1
	s_barrier_wait -1
	global_inv scope:SCOPE_SE
	ds_load_b32 v2, v1 offset:384
	s_and_saveexec_b32 s3, s2
	s_cbranch_execz .LBB11_12
; %bb.11:
	s_lshl_b64 s[22:23], s[18:19], 2
	s_delay_alu instid0(SALU_CYCLE_1)
	s_add_nc_u64 s[22:23], s[6:7], s[22:23]
	s_wait_dscnt 0x0
	global_store_b32 v1, v2, s[22:23]
.LBB11_12:
	s_wait_alu 0xfffe
	s_or_b32 exec_lo, exec_lo, s3
	s_wait_dscnt 0x0
	v_cmp_ne_u32_e32 vcc_lo, 0, v2
	s_mov_b32 s3, 0
	s_cbranch_vccnz .LBB11_60
; %bb.13:
	v_mov_b32_e32 v39, v38
                                        ; implicit-def: $vgpr1_vgpr2
                                        ; implicit-def: $vgpr9_vgpr10
	scratch_load_b128 v[5:8], v39, off
	s_wait_loadcnt 0x0
	v_cmp_ngt_f64_e64 s3, |v[5:6]|, |v[7:8]|
	s_wait_alu 0xfffe
	s_and_saveexec_b32 s22, s3
	s_delay_alu instid0(SALU_CYCLE_1)
	s_xor_b32 s3, exec_lo, s22
	s_cbranch_execz .LBB11_15
; %bb.14:
	v_div_scale_f64 v[1:2], null, v[7:8], v[7:8], v[5:6]
	v_div_scale_f64 v[11:12], vcc_lo, v[5:6], v[7:8], v[5:6]
	s_delay_alu instid0(VALU_DEP_2) | instskip(NEXT) | instid1(TRANS32_DEP_1)
	v_rcp_f64_e32 v[3:4], v[1:2]
	v_fma_f64 v[9:10], -v[1:2], v[3:4], 1.0
	s_delay_alu instid0(VALU_DEP_1) | instskip(NEXT) | instid1(VALU_DEP_1)
	v_fma_f64 v[3:4], v[3:4], v[9:10], v[3:4]
	v_fma_f64 v[9:10], -v[1:2], v[3:4], 1.0
	s_delay_alu instid0(VALU_DEP_1) | instskip(NEXT) | instid1(VALU_DEP_1)
	v_fma_f64 v[3:4], v[3:4], v[9:10], v[3:4]
	v_mul_f64_e32 v[9:10], v[11:12], v[3:4]
	s_delay_alu instid0(VALU_DEP_1) | instskip(SKIP_1) | instid1(VALU_DEP_1)
	v_fma_f64 v[1:2], -v[1:2], v[9:10], v[11:12]
	s_wait_alu 0xfffd
	v_div_fmas_f64 v[1:2], v[1:2], v[3:4], v[9:10]
	s_delay_alu instid0(VALU_DEP_1) | instskip(NEXT) | instid1(VALU_DEP_1)
	v_div_fixup_f64 v[1:2], v[1:2], v[7:8], v[5:6]
	v_fma_f64 v[3:4], v[5:6], v[1:2], v[7:8]
	s_delay_alu instid0(VALU_DEP_1) | instskip(SKIP_1) | instid1(VALU_DEP_2)
	v_div_scale_f64 v[5:6], null, v[3:4], v[3:4], 1.0
	v_div_scale_f64 v[11:12], vcc_lo, 1.0, v[3:4], 1.0
	v_rcp_f64_e32 v[7:8], v[5:6]
	s_delay_alu instid0(TRANS32_DEP_1) | instskip(NEXT) | instid1(VALU_DEP_1)
	v_fma_f64 v[9:10], -v[5:6], v[7:8], 1.0
	v_fma_f64 v[7:8], v[7:8], v[9:10], v[7:8]
	s_delay_alu instid0(VALU_DEP_1) | instskip(NEXT) | instid1(VALU_DEP_1)
	v_fma_f64 v[9:10], -v[5:6], v[7:8], 1.0
	v_fma_f64 v[7:8], v[7:8], v[9:10], v[7:8]
	s_delay_alu instid0(VALU_DEP_1) | instskip(NEXT) | instid1(VALU_DEP_1)
	v_mul_f64_e32 v[9:10], v[11:12], v[7:8]
	v_fma_f64 v[5:6], -v[5:6], v[9:10], v[11:12]
	s_wait_alu 0xfffd
	s_delay_alu instid0(VALU_DEP_1) | instskip(NEXT) | instid1(VALU_DEP_1)
	v_div_fmas_f64 v[5:6], v[5:6], v[7:8], v[9:10]
	v_div_fixup_f64 v[3:4], v[5:6], v[3:4], 1.0
                                        ; implicit-def: $vgpr5_vgpr6
	s_delay_alu instid0(VALU_DEP_1) | instskip(SKIP_1) | instid1(VALU_DEP_2)
	v_mul_f64_e32 v[1:2], v[1:2], v[3:4]
	v_xor_b32_e32 v4, 0x80000000, v4
	v_xor_b32_e32 v10, 0x80000000, v2
	s_delay_alu instid0(VALU_DEP_3)
	v_mov_b32_e32 v9, v1
.LBB11_15:
	s_wait_alu 0xfffe
	s_and_not1_saveexec_b32 s3, s3
	s_cbranch_execz .LBB11_17
; %bb.16:
	v_div_scale_f64 v[1:2], null, v[5:6], v[5:6], v[7:8]
	v_div_scale_f64 v[11:12], vcc_lo, v[7:8], v[5:6], v[7:8]
	s_delay_alu instid0(VALU_DEP_2) | instskip(NEXT) | instid1(TRANS32_DEP_1)
	v_rcp_f64_e32 v[3:4], v[1:2]
	v_fma_f64 v[9:10], -v[1:2], v[3:4], 1.0
	s_delay_alu instid0(VALU_DEP_1) | instskip(NEXT) | instid1(VALU_DEP_1)
	v_fma_f64 v[3:4], v[3:4], v[9:10], v[3:4]
	v_fma_f64 v[9:10], -v[1:2], v[3:4], 1.0
	s_delay_alu instid0(VALU_DEP_1) | instskip(NEXT) | instid1(VALU_DEP_1)
	v_fma_f64 v[3:4], v[3:4], v[9:10], v[3:4]
	v_mul_f64_e32 v[9:10], v[11:12], v[3:4]
	s_delay_alu instid0(VALU_DEP_1) | instskip(SKIP_1) | instid1(VALU_DEP_1)
	v_fma_f64 v[1:2], -v[1:2], v[9:10], v[11:12]
	s_wait_alu 0xfffd
	v_div_fmas_f64 v[1:2], v[1:2], v[3:4], v[9:10]
	s_delay_alu instid0(VALU_DEP_1) | instskip(NEXT) | instid1(VALU_DEP_1)
	v_div_fixup_f64 v[3:4], v[1:2], v[5:6], v[7:8]
	v_fma_f64 v[1:2], v[7:8], v[3:4], v[5:6]
	s_delay_alu instid0(VALU_DEP_1) | instskip(NEXT) | instid1(VALU_DEP_1)
	v_div_scale_f64 v[5:6], null, v[1:2], v[1:2], 1.0
	v_rcp_f64_e32 v[7:8], v[5:6]
	s_delay_alu instid0(TRANS32_DEP_1) | instskip(NEXT) | instid1(VALU_DEP_1)
	v_fma_f64 v[9:10], -v[5:6], v[7:8], 1.0
	v_fma_f64 v[7:8], v[7:8], v[9:10], v[7:8]
	s_delay_alu instid0(VALU_DEP_1) | instskip(NEXT) | instid1(VALU_DEP_1)
	v_fma_f64 v[9:10], -v[5:6], v[7:8], 1.0
	v_fma_f64 v[7:8], v[7:8], v[9:10], v[7:8]
	v_div_scale_f64 v[9:10], vcc_lo, 1.0, v[1:2], 1.0
	s_delay_alu instid0(VALU_DEP_1) | instskip(NEXT) | instid1(VALU_DEP_1)
	v_mul_f64_e32 v[11:12], v[9:10], v[7:8]
	v_fma_f64 v[5:6], -v[5:6], v[11:12], v[9:10]
	s_wait_alu 0xfffd
	s_delay_alu instid0(VALU_DEP_1) | instskip(NEXT) | instid1(VALU_DEP_1)
	v_div_fmas_f64 v[5:6], v[5:6], v[7:8], v[11:12]
	v_div_fixup_f64 v[1:2], v[5:6], v[1:2], 1.0
	s_delay_alu instid0(VALU_DEP_1)
	v_mul_f64_e64 v[3:4], v[3:4], -v[1:2]
	v_xor_b32_e32 v10, 0x80000000, v2
	v_mov_b32_e32 v9, v1
.LBB11_17:
	s_wait_alu 0xfffe
	s_or_b32 exec_lo, exec_lo, s3
	scratch_store_b128 v39, v[1:4], off
	scratch_load_b128 v[40:43], off, s4
	v_xor_b32_e32 v12, 0x80000000, v4
	v_mov_b32_e32 v11, v3
	v_add_nc_u32_e32 v5, 0xc0, v38
	ds_store_b128 v38, v[9:12]
	s_wait_loadcnt 0x0
	ds_store_b128 v38, v[40:43] offset:192
	s_wait_storecnt_dscnt 0x0
	s_barrier_signal -1
	s_barrier_wait -1
	global_inv scope:SCOPE_SE
	s_and_saveexec_b32 s3, s2
	s_cbranch_execz .LBB11_19
; %bb.18:
	scratch_load_b128 v[1:4], v39, off
	ds_load_b128 v[6:9], v5
	v_mov_b32_e32 v10, 0
	ds_load_b128 v[40:43], v10 offset:16
	s_wait_loadcnt_dscnt 0x1
	v_mul_f64_e32 v[10:11], v[6:7], v[3:4]
	v_mul_f64_e32 v[3:4], v[8:9], v[3:4]
	s_delay_alu instid0(VALU_DEP_2) | instskip(NEXT) | instid1(VALU_DEP_2)
	v_fma_f64 v[8:9], v[8:9], v[1:2], v[10:11]
	v_fma_f64 v[1:2], v[6:7], v[1:2], -v[3:4]
	s_delay_alu instid0(VALU_DEP_2) | instskip(NEXT) | instid1(VALU_DEP_2)
	v_add_f64_e32 v[3:4], 0, v[8:9]
	v_add_f64_e32 v[1:2], 0, v[1:2]
	s_wait_dscnt 0x0
	s_delay_alu instid0(VALU_DEP_2) | instskip(NEXT) | instid1(VALU_DEP_2)
	v_mul_f64_e32 v[6:7], v[3:4], v[42:43]
	v_mul_f64_e32 v[8:9], v[1:2], v[42:43]
	s_delay_alu instid0(VALU_DEP_2) | instskip(NEXT) | instid1(VALU_DEP_2)
	v_fma_f64 v[1:2], v[1:2], v[40:41], -v[6:7]
	v_fma_f64 v[3:4], v[3:4], v[40:41], v[8:9]
	scratch_store_b128 off, v[1:4], off offset:16
.LBB11_19:
	s_wait_alu 0xfffe
	s_or_b32 exec_lo, exec_lo, s3
	s_wait_loadcnt 0x0
	s_wait_storecnt 0x0
	s_barrier_signal -1
	s_barrier_wait -1
	global_inv scope:SCOPE_SE
	scratch_load_b128 v[1:4], off, s8
	s_mov_b32 s3, exec_lo
	s_wait_loadcnt 0x0
	ds_store_b128 v5, v[1:4]
	s_wait_dscnt 0x0
	s_barrier_signal -1
	s_barrier_wait -1
	global_inv scope:SCOPE_SE
	v_cmpx_gt_u32_e32 2, v37
	s_cbranch_execz .LBB11_23
; %bb.20:
	scratch_load_b128 v[1:4], v39, off
	ds_load_b128 v[6:9], v5
	s_wait_loadcnt_dscnt 0x0
	v_mul_f64_e32 v[10:11], v[8:9], v[3:4]
	v_mul_f64_e32 v[3:4], v[6:7], v[3:4]
	s_delay_alu instid0(VALU_DEP_2) | instskip(NEXT) | instid1(VALU_DEP_2)
	v_fma_f64 v[6:7], v[6:7], v[1:2], -v[10:11]
	v_fma_f64 v[3:4], v[8:9], v[1:2], v[3:4]
	s_delay_alu instid0(VALU_DEP_2) | instskip(NEXT) | instid1(VALU_DEP_2)
	v_add_f64_e32 v[1:2], 0, v[6:7]
	v_add_f64_e32 v[3:4], 0, v[3:4]
	s_and_saveexec_b32 s22, s2
	s_cbranch_execz .LBB11_22
; %bb.21:
	scratch_load_b128 v[6:9], off, off offset:16
	v_mov_b32_e32 v10, 0
	ds_load_b128 v[40:43], v10 offset:208
	s_wait_loadcnt_dscnt 0x0
	v_mul_f64_e32 v[10:11], v[40:41], v[8:9]
	v_mul_f64_e32 v[8:9], v[42:43], v[8:9]
	s_delay_alu instid0(VALU_DEP_2) | instskip(NEXT) | instid1(VALU_DEP_2)
	v_fma_f64 v[10:11], v[42:43], v[6:7], v[10:11]
	v_fma_f64 v[6:7], v[40:41], v[6:7], -v[8:9]
	s_delay_alu instid0(VALU_DEP_2) | instskip(NEXT) | instid1(VALU_DEP_2)
	v_add_f64_e32 v[3:4], v[3:4], v[10:11]
	v_add_f64_e32 v[1:2], v[1:2], v[6:7]
.LBB11_22:
	s_or_b32 exec_lo, exec_lo, s22
	v_mov_b32_e32 v6, 0
	ds_load_b128 v[6:9], v6 offset:32
	s_wait_dscnt 0x0
	v_mul_f64_e32 v[10:11], v[3:4], v[8:9]
	v_mul_f64_e32 v[8:9], v[1:2], v[8:9]
	s_delay_alu instid0(VALU_DEP_2) | instskip(NEXT) | instid1(VALU_DEP_2)
	v_fma_f64 v[1:2], v[1:2], v[6:7], -v[10:11]
	v_fma_f64 v[3:4], v[3:4], v[6:7], v[8:9]
	scratch_store_b128 off, v[1:4], off offset:32
.LBB11_23:
	s_wait_alu 0xfffe
	s_or_b32 exec_lo, exec_lo, s3
	s_wait_loadcnt 0x0
	s_wait_storecnt 0x0
	s_barrier_signal -1
	s_barrier_wait -1
	global_inv scope:SCOPE_SE
	scratch_load_b128 v[1:4], off, s5
	v_add_nc_u32_e32 v6, -1, v37
	s_mov_b32 s2, exec_lo
	s_wait_loadcnt 0x0
	ds_store_b128 v5, v[1:4]
	s_wait_dscnt 0x0
	s_barrier_signal -1
	s_barrier_wait -1
	global_inv scope:SCOPE_SE
	v_cmpx_gt_u32_e32 3, v37
	s_cbranch_execz .LBB11_27
; %bb.24:
	v_dual_mov_b32 v1, 0 :: v_dual_add_nc_u32 v8, 0xc0, v38
	v_mov_b32_e32 v3, 0
	v_dual_mov_b32 v2, 0 :: v_dual_add_nc_u32 v7, -1, v37
	v_mov_b32_e32 v4, 0
	v_or_b32_e32 v9, 8, v39
	s_mov_b32 s3, 0
.LBB11_25:                              ; =>This Inner Loop Header: Depth=1
	scratch_load_b128 v[40:43], v9, off offset:-8
	ds_load_b128 v[44:47], v8
	v_add_nc_u32_e32 v7, 1, v7
	v_add_nc_u32_e32 v8, 16, v8
	v_add_nc_u32_e32 v9, 16, v9
	s_delay_alu instid0(VALU_DEP_3)
	v_cmp_lt_u32_e32 vcc_lo, 1, v7
	s_wait_alu 0xfffe
	s_or_b32 s3, vcc_lo, s3
	s_wait_loadcnt_dscnt 0x0
	v_mul_f64_e32 v[10:11], v[46:47], v[42:43]
	v_mul_f64_e32 v[42:43], v[44:45], v[42:43]
	s_delay_alu instid0(VALU_DEP_2) | instskip(NEXT) | instid1(VALU_DEP_2)
	v_fma_f64 v[10:11], v[44:45], v[40:41], -v[10:11]
	v_fma_f64 v[40:41], v[46:47], v[40:41], v[42:43]
	s_delay_alu instid0(VALU_DEP_2) | instskip(NEXT) | instid1(VALU_DEP_2)
	v_add_f64_e32 v[3:4], v[3:4], v[10:11]
	v_add_f64_e32 v[1:2], v[1:2], v[40:41]
	s_wait_alu 0xfffe
	s_and_not1_b32 exec_lo, exec_lo, s3
	s_cbranch_execnz .LBB11_25
; %bb.26:
	s_or_b32 exec_lo, exec_lo, s3
	v_mov_b32_e32 v7, 0
	ds_load_b128 v[7:10], v7 offset:48
	s_wait_dscnt 0x0
	v_mul_f64_e32 v[11:12], v[1:2], v[9:10]
	v_mul_f64_e32 v[40:41], v[3:4], v[9:10]
	s_delay_alu instid0(VALU_DEP_2) | instskip(NEXT) | instid1(VALU_DEP_2)
	v_fma_f64 v[9:10], v[3:4], v[7:8], -v[11:12]
	v_fma_f64 v[11:12], v[1:2], v[7:8], v[40:41]
	scratch_store_b128 off, v[9:12], off offset:48
.LBB11_27:
	s_wait_alu 0xfffe
	s_or_b32 exec_lo, exec_lo, s2
	s_wait_loadcnt 0x0
	s_wait_storecnt 0x0
	s_barrier_signal -1
	s_barrier_wait -1
	global_inv scope:SCOPE_SE
	scratch_load_b128 v[1:4], off, s10
	s_mov_b32 s2, exec_lo
	s_wait_loadcnt 0x0
	ds_store_b128 v5, v[1:4]
	s_wait_dscnt 0x0
	s_barrier_signal -1
	s_barrier_wait -1
	global_inv scope:SCOPE_SE
	v_cmpx_gt_u32_e32 4, v37
	s_cbranch_execz .LBB11_31
; %bb.28:
	v_dual_mov_b32 v1, 0 :: v_dual_add_nc_u32 v8, 0xc0, v38
	v_mov_b32_e32 v3, 0
	v_dual_mov_b32 v2, 0 :: v_dual_add_nc_u32 v7, -1, v37
	v_mov_b32_e32 v4, 0
	v_or_b32_e32 v9, 8, v39
	s_mov_b32 s3, 0
.LBB11_29:                              ; =>This Inner Loop Header: Depth=1
	scratch_load_b128 v[40:43], v9, off offset:-8
	ds_load_b128 v[44:47], v8
	v_add_nc_u32_e32 v7, 1, v7
	v_add_nc_u32_e32 v8, 16, v8
	v_add_nc_u32_e32 v9, 16, v9
	s_delay_alu instid0(VALU_DEP_3)
	v_cmp_lt_u32_e32 vcc_lo, 2, v7
	s_wait_alu 0xfffe
	s_or_b32 s3, vcc_lo, s3
	s_wait_loadcnt_dscnt 0x0
	v_mul_f64_e32 v[10:11], v[46:47], v[42:43]
	v_mul_f64_e32 v[42:43], v[44:45], v[42:43]
	s_delay_alu instid0(VALU_DEP_2) | instskip(NEXT) | instid1(VALU_DEP_2)
	v_fma_f64 v[10:11], v[44:45], v[40:41], -v[10:11]
	v_fma_f64 v[40:41], v[46:47], v[40:41], v[42:43]
	s_delay_alu instid0(VALU_DEP_2) | instskip(NEXT) | instid1(VALU_DEP_2)
	v_add_f64_e32 v[3:4], v[3:4], v[10:11]
	v_add_f64_e32 v[1:2], v[1:2], v[40:41]
	s_wait_alu 0xfffe
	s_and_not1_b32 exec_lo, exec_lo, s3
	s_cbranch_execnz .LBB11_29
; %bb.30:
	s_or_b32 exec_lo, exec_lo, s3
	v_mov_b32_e32 v7, 0
	ds_load_b128 v[7:10], v7 offset:64
	s_wait_dscnt 0x0
	v_mul_f64_e32 v[11:12], v[1:2], v[9:10]
	v_mul_f64_e32 v[40:41], v[3:4], v[9:10]
	s_delay_alu instid0(VALU_DEP_2) | instskip(NEXT) | instid1(VALU_DEP_2)
	v_fma_f64 v[9:10], v[3:4], v[7:8], -v[11:12]
	v_fma_f64 v[11:12], v[1:2], v[7:8], v[40:41]
	scratch_store_b128 off, v[9:12], off offset:64
.LBB11_31:
	s_wait_alu 0xfffe
	s_or_b32 exec_lo, exec_lo, s2
	s_wait_loadcnt 0x0
	s_wait_storecnt 0x0
	s_barrier_signal -1
	s_barrier_wait -1
	global_inv scope:SCOPE_SE
	scratch_load_b128 v[1:4], off, s9
	;; [unrolled: 58-line block ×8, first 2 shown]
	s_mov_b32 s2, exec_lo
	s_wait_loadcnt 0x0
	ds_store_b128 v5, v[1:4]
	s_wait_dscnt 0x0
	s_barrier_signal -1
	s_barrier_wait -1
	global_inv scope:SCOPE_SE
	v_cmpx_ne_u32_e32 11, v37
	s_cbranch_execz .LBB11_59
; %bb.56:
	v_mov_b32_e32 v1, 0
	v_dual_mov_b32 v2, 0 :: v_dual_mov_b32 v3, 0
	v_mov_b32_e32 v4, 0
	v_or_b32_e32 v7, 8, v39
	s_mov_b32 s3, 0
.LBB11_57:                              ; =>This Inner Loop Header: Depth=1
	scratch_load_b128 v[8:11], v7, off offset:-8
	ds_load_b128 v[38:41], v5
	v_add_nc_u32_e32 v6, 1, v6
	v_add_nc_u32_e32 v5, 16, v5
	;; [unrolled: 1-line block ×3, first 2 shown]
	s_delay_alu instid0(VALU_DEP_3)
	v_cmp_lt_u32_e32 vcc_lo, 9, v6
	s_wait_alu 0xfffe
	s_or_b32 s3, vcc_lo, s3
	s_wait_loadcnt_dscnt 0x0
	v_mul_f64_e32 v[42:43], v[40:41], v[10:11]
	v_mul_f64_e32 v[10:11], v[38:39], v[10:11]
	s_delay_alu instid0(VALU_DEP_2) | instskip(NEXT) | instid1(VALU_DEP_2)
	v_fma_f64 v[38:39], v[38:39], v[8:9], -v[42:43]
	v_fma_f64 v[8:9], v[40:41], v[8:9], v[10:11]
	s_delay_alu instid0(VALU_DEP_2) | instskip(NEXT) | instid1(VALU_DEP_2)
	v_add_f64_e32 v[3:4], v[3:4], v[38:39]
	v_add_f64_e32 v[1:2], v[1:2], v[8:9]
	s_wait_alu 0xfffe
	s_and_not1_b32 exec_lo, exec_lo, s3
	s_cbranch_execnz .LBB11_57
; %bb.58:
	s_or_b32 exec_lo, exec_lo, s3
	v_mov_b32_e32 v5, 0
	ds_load_b128 v[5:8], v5 offset:176
	s_wait_dscnt 0x0
	v_mul_f64_e32 v[9:10], v[1:2], v[7:8]
	v_mul_f64_e32 v[7:8], v[3:4], v[7:8]
	s_delay_alu instid0(VALU_DEP_2) | instskip(NEXT) | instid1(VALU_DEP_2)
	v_fma_f64 v[3:4], v[3:4], v[5:6], -v[9:10]
	v_fma_f64 v[5:6], v[1:2], v[5:6], v[7:8]
	scratch_store_b128 off, v[3:6], off offset:176
.LBB11_59:
	s_wait_alu 0xfffe
	s_or_b32 exec_lo, exec_lo, s2
	s_mov_b32 s3, -1
	s_wait_loadcnt 0x0
	s_wait_storecnt 0x0
	s_barrier_signal -1
	s_barrier_wait -1
	global_inv scope:SCOPE_SE
.LBB11_60:
	s_wait_alu 0xfffe
	s_and_b32 vcc_lo, exec_lo, s3
	s_wait_alu 0xfffe
	s_cbranch_vccz .LBB11_62
; %bb.61:
	v_mov_b32_e32 v1, 0
	s_lshl_b64 s[2:3], s[18:19], 2
	s_wait_alu 0xfffe
	s_add_nc_u64 s[2:3], s[6:7], s[2:3]
	global_load_b32 v1, v1, s[2:3]
	s_wait_loadcnt 0x0
	v_cmp_ne_u32_e32 vcc_lo, 0, v1
	s_cbranch_vccz .LBB11_63
.LBB11_62:
	s_endpgm
.LBB11_63:
	v_lshl_add_u32 v5, v37, 4, 0xc0
	s_mov_b32 s2, exec_lo
	v_cmpx_eq_u32_e32 11, v37
	s_cbranch_execz .LBB11_65
; %bb.64:
	scratch_load_b128 v[1:4], off, s21
	v_mov_b32_e32 v6, 0
	s_delay_alu instid0(VALU_DEP_1)
	v_dual_mov_b32 v7, v6 :: v_dual_mov_b32 v8, v6
	v_mov_b32_e32 v9, v6
	scratch_store_b128 off, v[6:9], off offset:160
	s_wait_loadcnt 0x0
	ds_store_b128 v5, v[1:4]
.LBB11_65:
	s_wait_alu 0xfffe
	s_or_b32 exec_lo, exec_lo, s2
	s_wait_storecnt_dscnt 0x0
	s_barrier_signal -1
	s_barrier_wait -1
	global_inv scope:SCOPE_SE
	s_clause 0x1
	scratch_load_b128 v[6:9], off, off offset:176
	scratch_load_b128 v[38:41], off, off offset:160
	v_mov_b32_e32 v1, 0
	s_mov_b32 s2, exec_lo
	ds_load_b128 v[42:45], v1 offset:368
	s_wait_loadcnt_dscnt 0x100
	v_mul_f64_e32 v[2:3], v[44:45], v[8:9]
	v_mul_f64_e32 v[8:9], v[42:43], v[8:9]
	s_delay_alu instid0(VALU_DEP_2) | instskip(NEXT) | instid1(VALU_DEP_2)
	v_fma_f64 v[2:3], v[42:43], v[6:7], -v[2:3]
	v_fma_f64 v[6:7], v[44:45], v[6:7], v[8:9]
	s_delay_alu instid0(VALU_DEP_2) | instskip(NEXT) | instid1(VALU_DEP_2)
	v_add_f64_e32 v[2:3], 0, v[2:3]
	v_add_f64_e32 v[8:9], 0, v[6:7]
	s_wait_loadcnt 0x0
	s_delay_alu instid0(VALU_DEP_2) | instskip(NEXT) | instid1(VALU_DEP_2)
	v_add_f64_e64 v[6:7], v[38:39], -v[2:3]
	v_add_f64_e64 v[8:9], v[40:41], -v[8:9]
	scratch_store_b128 off, v[6:9], off offset:160
	v_cmpx_lt_u32_e32 9, v37
	s_cbranch_execz .LBB11_67
; %bb.66:
	scratch_load_b128 v[6:9], off, s13
	v_dual_mov_b32 v2, v1 :: v_dual_mov_b32 v3, v1
	v_mov_b32_e32 v4, v1
	scratch_store_b128 off, v[1:4], off offset:144
	s_wait_loadcnt 0x0
	ds_store_b128 v5, v[6:9]
.LBB11_67:
	s_wait_alu 0xfffe
	s_or_b32 exec_lo, exec_lo, s2
	s_wait_storecnt_dscnt 0x0
	s_barrier_signal -1
	s_barrier_wait -1
	global_inv scope:SCOPE_SE
	s_clause 0x2
	scratch_load_b128 v[6:9], off, off offset:160
	scratch_load_b128 v[38:41], off, off offset:176
	;; [unrolled: 1-line block ×3, first 2 shown]
	ds_load_b128 v[46:49], v1 offset:352
	ds_load_b128 v[1:4], v1 offset:368
	s_mov_b32 s2, exec_lo
	s_wait_loadcnt_dscnt 0x201
	v_mul_f64_e32 v[10:11], v[48:49], v[8:9]
	v_mul_f64_e32 v[8:9], v[46:47], v[8:9]
	s_wait_loadcnt_dscnt 0x100
	v_mul_f64_e32 v[50:51], v[1:2], v[40:41]
	v_mul_f64_e32 v[40:41], v[3:4], v[40:41]
	s_delay_alu instid0(VALU_DEP_4) | instskip(NEXT) | instid1(VALU_DEP_4)
	v_fma_f64 v[10:11], v[46:47], v[6:7], -v[10:11]
	v_fma_f64 v[6:7], v[48:49], v[6:7], v[8:9]
	s_delay_alu instid0(VALU_DEP_4) | instskip(NEXT) | instid1(VALU_DEP_4)
	v_fma_f64 v[3:4], v[3:4], v[38:39], v[50:51]
	v_fma_f64 v[1:2], v[1:2], v[38:39], -v[40:41]
	s_delay_alu instid0(VALU_DEP_4) | instskip(NEXT) | instid1(VALU_DEP_4)
	v_add_f64_e32 v[8:9], 0, v[10:11]
	v_add_f64_e32 v[6:7], 0, v[6:7]
	s_delay_alu instid0(VALU_DEP_2) | instskip(NEXT) | instid1(VALU_DEP_2)
	v_add_f64_e32 v[1:2], v[8:9], v[1:2]
	v_add_f64_e32 v[3:4], v[6:7], v[3:4]
	s_wait_loadcnt 0x0
	s_delay_alu instid0(VALU_DEP_2) | instskip(NEXT) | instid1(VALU_DEP_2)
	v_add_f64_e64 v[1:2], v[42:43], -v[1:2]
	v_add_f64_e64 v[3:4], v[44:45], -v[3:4]
	scratch_store_b128 off, v[1:4], off offset:144
	v_cmpx_lt_u32_e32 8, v37
	s_cbranch_execz .LBB11_69
; %bb.68:
	scratch_load_b128 v[1:4], off, s14
	v_mov_b32_e32 v6, 0
	s_delay_alu instid0(VALU_DEP_1)
	v_dual_mov_b32 v7, v6 :: v_dual_mov_b32 v8, v6
	v_mov_b32_e32 v9, v6
	scratch_store_b128 off, v[6:9], off offset:128
	s_wait_loadcnt 0x0
	ds_store_b128 v5, v[1:4]
.LBB11_69:
	s_wait_alu 0xfffe
	s_or_b32 exec_lo, exec_lo, s2
	s_wait_storecnt_dscnt 0x0
	s_barrier_signal -1
	s_barrier_wait -1
	global_inv scope:SCOPE_SE
	s_clause 0x3
	scratch_load_b128 v[6:9], off, off offset:144
	scratch_load_b128 v[38:41], off, off offset:160
	;; [unrolled: 1-line block ×4, first 2 shown]
	v_mov_b32_e32 v1, 0
	ds_load_b128 v[50:53], v1 offset:336
	ds_load_b128 v[54:57], v1 offset:352
	s_mov_b32 s2, exec_lo
	s_wait_loadcnt_dscnt 0x301
	v_mul_f64_e32 v[2:3], v[52:53], v[8:9]
	v_mul_f64_e32 v[8:9], v[50:51], v[8:9]
	s_wait_loadcnt_dscnt 0x200
	v_mul_f64_e32 v[10:11], v[54:55], v[40:41]
	v_mul_f64_e32 v[40:41], v[56:57], v[40:41]
	s_delay_alu instid0(VALU_DEP_4) | instskip(NEXT) | instid1(VALU_DEP_4)
	v_fma_f64 v[2:3], v[50:51], v[6:7], -v[2:3]
	v_fma_f64 v[50:51], v[52:53], v[6:7], v[8:9]
	ds_load_b128 v[6:9], v1 offset:368
	v_fma_f64 v[10:11], v[56:57], v[38:39], v[10:11]
	v_fma_f64 v[38:39], v[54:55], v[38:39], -v[40:41]
	s_wait_loadcnt_dscnt 0x100
	v_mul_f64_e32 v[52:53], v[6:7], v[44:45]
	v_mul_f64_e32 v[44:45], v[8:9], v[44:45]
	v_add_f64_e32 v[2:3], 0, v[2:3]
	v_add_f64_e32 v[40:41], 0, v[50:51]
	s_delay_alu instid0(VALU_DEP_4) | instskip(NEXT) | instid1(VALU_DEP_4)
	v_fma_f64 v[8:9], v[8:9], v[42:43], v[52:53]
	v_fma_f64 v[6:7], v[6:7], v[42:43], -v[44:45]
	s_delay_alu instid0(VALU_DEP_4) | instskip(NEXT) | instid1(VALU_DEP_4)
	v_add_f64_e32 v[2:3], v[2:3], v[38:39]
	v_add_f64_e32 v[10:11], v[40:41], v[10:11]
	s_delay_alu instid0(VALU_DEP_2) | instskip(NEXT) | instid1(VALU_DEP_2)
	v_add_f64_e32 v[2:3], v[2:3], v[6:7]
	v_add_f64_e32 v[8:9], v[10:11], v[8:9]
	s_wait_loadcnt 0x0
	s_delay_alu instid0(VALU_DEP_2) | instskip(NEXT) | instid1(VALU_DEP_2)
	v_add_f64_e64 v[6:7], v[46:47], -v[2:3]
	v_add_f64_e64 v[8:9], v[48:49], -v[8:9]
	scratch_store_b128 off, v[6:9], off offset:128
	v_cmpx_lt_u32_e32 7, v37
	s_cbranch_execz .LBB11_71
; %bb.70:
	scratch_load_b128 v[6:9], off, s11
	v_dual_mov_b32 v2, v1 :: v_dual_mov_b32 v3, v1
	v_mov_b32_e32 v4, v1
	scratch_store_b128 off, v[1:4], off offset:112
	s_wait_loadcnt 0x0
	ds_store_b128 v5, v[6:9]
.LBB11_71:
	s_wait_alu 0xfffe
	s_or_b32 exec_lo, exec_lo, s2
	s_wait_storecnt_dscnt 0x0
	s_barrier_signal -1
	s_barrier_wait -1
	global_inv scope:SCOPE_SE
	s_clause 0x4
	scratch_load_b128 v[6:9], off, off offset:128
	scratch_load_b128 v[38:41], off, off offset:144
	;; [unrolled: 1-line block ×5, first 2 shown]
	ds_load_b128 v[54:57], v1 offset:320
	ds_load_b128 v[58:61], v1 offset:336
	s_mov_b32 s2, exec_lo
	s_wait_loadcnt_dscnt 0x401
	v_mul_f64_e32 v[2:3], v[56:57], v[8:9]
	v_mul_f64_e32 v[8:9], v[54:55], v[8:9]
	s_wait_loadcnt_dscnt 0x300
	v_mul_f64_e32 v[10:11], v[58:59], v[40:41]
	v_mul_f64_e32 v[40:41], v[60:61], v[40:41]
	s_delay_alu instid0(VALU_DEP_4) | instskip(NEXT) | instid1(VALU_DEP_4)
	v_fma_f64 v[54:55], v[54:55], v[6:7], -v[2:3]
	v_fma_f64 v[56:57], v[56:57], v[6:7], v[8:9]
	ds_load_b128 v[6:9], v1 offset:352
	ds_load_b128 v[1:4], v1 offset:368
	v_fma_f64 v[10:11], v[60:61], v[38:39], v[10:11]
	v_fma_f64 v[38:39], v[58:59], v[38:39], -v[40:41]
	s_wait_loadcnt_dscnt 0x201
	v_mul_f64_e32 v[62:63], v[6:7], v[44:45]
	v_mul_f64_e32 v[44:45], v[8:9], v[44:45]
	v_add_f64_e32 v[40:41], 0, v[54:55]
	v_add_f64_e32 v[54:55], 0, v[56:57]
	s_wait_loadcnt_dscnt 0x100
	v_mul_f64_e32 v[56:57], v[1:2], v[48:49]
	v_mul_f64_e32 v[48:49], v[3:4], v[48:49]
	v_fma_f64 v[8:9], v[8:9], v[42:43], v[62:63]
	v_fma_f64 v[6:7], v[6:7], v[42:43], -v[44:45]
	v_add_f64_e32 v[38:39], v[40:41], v[38:39]
	v_add_f64_e32 v[10:11], v[54:55], v[10:11]
	v_fma_f64 v[3:4], v[3:4], v[46:47], v[56:57]
	v_fma_f64 v[1:2], v[1:2], v[46:47], -v[48:49]
	s_delay_alu instid0(VALU_DEP_4) | instskip(NEXT) | instid1(VALU_DEP_4)
	v_add_f64_e32 v[6:7], v[38:39], v[6:7]
	v_add_f64_e32 v[8:9], v[10:11], v[8:9]
	s_delay_alu instid0(VALU_DEP_2) | instskip(NEXT) | instid1(VALU_DEP_2)
	v_add_f64_e32 v[1:2], v[6:7], v[1:2]
	v_add_f64_e32 v[3:4], v[8:9], v[3:4]
	s_wait_loadcnt 0x0
	s_delay_alu instid0(VALU_DEP_2) | instskip(NEXT) | instid1(VALU_DEP_2)
	v_add_f64_e64 v[1:2], v[50:51], -v[1:2]
	v_add_f64_e64 v[3:4], v[52:53], -v[3:4]
	scratch_store_b128 off, v[1:4], off offset:112
	v_cmpx_lt_u32_e32 6, v37
	s_cbranch_execz .LBB11_73
; %bb.72:
	scratch_load_b128 v[1:4], off, s12
	v_mov_b32_e32 v6, 0
	s_delay_alu instid0(VALU_DEP_1)
	v_dual_mov_b32 v7, v6 :: v_dual_mov_b32 v8, v6
	v_mov_b32_e32 v9, v6
	scratch_store_b128 off, v[6:9], off offset:96
	s_wait_loadcnt 0x0
	ds_store_b128 v5, v[1:4]
.LBB11_73:
	s_wait_alu 0xfffe
	s_or_b32 exec_lo, exec_lo, s2
	s_wait_storecnt_dscnt 0x0
	s_barrier_signal -1
	s_barrier_wait -1
	global_inv scope:SCOPE_SE
	s_clause 0x5
	scratch_load_b128 v[6:9], off, off offset:112
	scratch_load_b128 v[38:41], off, off offset:128
	;; [unrolled: 1-line block ×6, first 2 shown]
	v_mov_b32_e32 v1, 0
	ds_load_b128 v[58:61], v1 offset:304
	ds_load_b128 v[62:65], v1 offset:320
	s_mov_b32 s2, exec_lo
	s_wait_loadcnt_dscnt 0x501
	v_mul_f64_e32 v[2:3], v[60:61], v[8:9]
	v_mul_f64_e32 v[8:9], v[58:59], v[8:9]
	s_wait_loadcnt_dscnt 0x400
	v_mul_f64_e32 v[10:11], v[62:63], v[40:41]
	v_mul_f64_e32 v[40:41], v[64:65], v[40:41]
	s_delay_alu instid0(VALU_DEP_4) | instskip(NEXT) | instid1(VALU_DEP_4)
	v_fma_f64 v[2:3], v[58:59], v[6:7], -v[2:3]
	v_fma_f64 v[66:67], v[60:61], v[6:7], v[8:9]
	ds_load_b128 v[6:9], v1 offset:336
	ds_load_b128 v[58:61], v1 offset:352
	v_fma_f64 v[10:11], v[64:65], v[38:39], v[10:11]
	v_fma_f64 v[38:39], v[62:63], v[38:39], -v[40:41]
	s_wait_loadcnt_dscnt 0x301
	v_mul_f64_e32 v[68:69], v[6:7], v[44:45]
	v_mul_f64_e32 v[44:45], v[8:9], v[44:45]
	s_wait_loadcnt_dscnt 0x200
	v_mul_f64_e32 v[62:63], v[58:59], v[48:49]
	v_mul_f64_e32 v[48:49], v[60:61], v[48:49]
	v_add_f64_e32 v[2:3], 0, v[2:3]
	v_add_f64_e32 v[40:41], 0, v[66:67]
	v_fma_f64 v[64:65], v[8:9], v[42:43], v[68:69]
	v_fma_f64 v[42:43], v[6:7], v[42:43], -v[44:45]
	ds_load_b128 v[6:9], v1 offset:368
	v_fma_f64 v[44:45], v[60:61], v[46:47], v[62:63]
	v_fma_f64 v[46:47], v[58:59], v[46:47], -v[48:49]
	v_add_f64_e32 v[2:3], v[2:3], v[38:39]
	v_add_f64_e32 v[10:11], v[40:41], v[10:11]
	s_wait_loadcnt_dscnt 0x100
	v_mul_f64_e32 v[38:39], v[6:7], v[52:53]
	v_mul_f64_e32 v[40:41], v[8:9], v[52:53]
	s_delay_alu instid0(VALU_DEP_4) | instskip(NEXT) | instid1(VALU_DEP_4)
	v_add_f64_e32 v[2:3], v[2:3], v[42:43]
	v_add_f64_e32 v[10:11], v[10:11], v[64:65]
	s_delay_alu instid0(VALU_DEP_4) | instskip(NEXT) | instid1(VALU_DEP_4)
	v_fma_f64 v[8:9], v[8:9], v[50:51], v[38:39]
	v_fma_f64 v[6:7], v[6:7], v[50:51], -v[40:41]
	s_delay_alu instid0(VALU_DEP_4) | instskip(NEXT) | instid1(VALU_DEP_4)
	v_add_f64_e32 v[2:3], v[2:3], v[46:47]
	v_add_f64_e32 v[10:11], v[10:11], v[44:45]
	s_delay_alu instid0(VALU_DEP_2) | instskip(NEXT) | instid1(VALU_DEP_2)
	v_add_f64_e32 v[2:3], v[2:3], v[6:7]
	v_add_f64_e32 v[8:9], v[10:11], v[8:9]
	s_wait_loadcnt 0x0
	s_delay_alu instid0(VALU_DEP_2) | instskip(NEXT) | instid1(VALU_DEP_2)
	v_add_f64_e64 v[6:7], v[54:55], -v[2:3]
	v_add_f64_e64 v[8:9], v[56:57], -v[8:9]
	scratch_store_b128 off, v[6:9], off offset:96
	v_cmpx_lt_u32_e32 5, v37
	s_cbranch_execz .LBB11_75
; %bb.74:
	scratch_load_b128 v[6:9], off, s9
	v_dual_mov_b32 v2, v1 :: v_dual_mov_b32 v3, v1
	v_mov_b32_e32 v4, v1
	scratch_store_b128 off, v[1:4], off offset:80
	s_wait_loadcnt 0x0
	ds_store_b128 v5, v[6:9]
.LBB11_75:
	s_wait_alu 0xfffe
	s_or_b32 exec_lo, exec_lo, s2
	s_wait_storecnt_dscnt 0x0
	s_barrier_signal -1
	s_barrier_wait -1
	global_inv scope:SCOPE_SE
	s_clause 0x5
	scratch_load_b128 v[6:9], off, off offset:96
	scratch_load_b128 v[38:41], off, off offset:112
	;; [unrolled: 1-line block ×6, first 2 shown]
	ds_load_b128 v[58:61], v1 offset:288
	ds_load_b128 v[66:69], v1 offset:304
	scratch_load_b128 v[62:65], off, off offset:80
	s_mov_b32 s2, exec_lo
	s_wait_loadcnt_dscnt 0x601
	v_mul_f64_e32 v[2:3], v[60:61], v[8:9]
	v_mul_f64_e32 v[8:9], v[58:59], v[8:9]
	s_wait_loadcnt_dscnt 0x500
	v_mul_f64_e32 v[10:11], v[66:67], v[40:41]
	v_mul_f64_e32 v[40:41], v[68:69], v[40:41]
	s_delay_alu instid0(VALU_DEP_4) | instskip(NEXT) | instid1(VALU_DEP_4)
	v_fma_f64 v[2:3], v[58:59], v[6:7], -v[2:3]
	v_fma_f64 v[70:71], v[60:61], v[6:7], v[8:9]
	ds_load_b128 v[6:9], v1 offset:320
	ds_load_b128 v[58:61], v1 offset:336
	v_fma_f64 v[10:11], v[68:69], v[38:39], v[10:11]
	v_fma_f64 v[38:39], v[66:67], v[38:39], -v[40:41]
	s_wait_loadcnt_dscnt 0x401
	v_mul_f64_e32 v[72:73], v[6:7], v[44:45]
	v_mul_f64_e32 v[44:45], v[8:9], v[44:45]
	s_wait_loadcnt_dscnt 0x300
	v_mul_f64_e32 v[66:67], v[58:59], v[48:49]
	v_mul_f64_e32 v[48:49], v[60:61], v[48:49]
	v_add_f64_e32 v[2:3], 0, v[2:3]
	v_add_f64_e32 v[40:41], 0, v[70:71]
	v_fma_f64 v[68:69], v[8:9], v[42:43], v[72:73]
	v_fma_f64 v[42:43], v[6:7], v[42:43], -v[44:45]
	s_delay_alu instid0(VALU_DEP_4) | instskip(NEXT) | instid1(VALU_DEP_4)
	v_add_f64_e32 v[38:39], v[2:3], v[38:39]
	v_add_f64_e32 v[10:11], v[40:41], v[10:11]
	ds_load_b128 v[6:9], v1 offset:352
	ds_load_b128 v[1:4], v1 offset:368
	s_wait_loadcnt_dscnt 0x201
	v_mul_f64_e32 v[40:41], v[6:7], v[52:53]
	v_mul_f64_e32 v[44:45], v[8:9], v[52:53]
	v_fma_f64 v[52:53], v[60:61], v[46:47], v[66:67]
	v_fma_f64 v[46:47], v[58:59], v[46:47], -v[48:49]
	s_wait_loadcnt_dscnt 0x100
	v_mul_f64_e32 v[48:49], v[3:4], v[56:57]
	v_add_f64_e32 v[38:39], v[38:39], v[42:43]
	v_add_f64_e32 v[10:11], v[10:11], v[68:69]
	v_mul_f64_e32 v[42:43], v[1:2], v[56:57]
	v_fma_f64 v[8:9], v[8:9], v[50:51], v[40:41]
	v_fma_f64 v[6:7], v[6:7], v[50:51], -v[44:45]
	v_fma_f64 v[1:2], v[1:2], v[54:55], -v[48:49]
	v_add_f64_e32 v[38:39], v[38:39], v[46:47]
	v_add_f64_e32 v[10:11], v[10:11], v[52:53]
	v_fma_f64 v[3:4], v[3:4], v[54:55], v[42:43]
	s_delay_alu instid0(VALU_DEP_3) | instskip(NEXT) | instid1(VALU_DEP_3)
	v_add_f64_e32 v[6:7], v[38:39], v[6:7]
	v_add_f64_e32 v[8:9], v[10:11], v[8:9]
	s_delay_alu instid0(VALU_DEP_2) | instskip(NEXT) | instid1(VALU_DEP_2)
	v_add_f64_e32 v[1:2], v[6:7], v[1:2]
	v_add_f64_e32 v[3:4], v[8:9], v[3:4]
	s_wait_loadcnt 0x0
	s_delay_alu instid0(VALU_DEP_2) | instskip(NEXT) | instid1(VALU_DEP_2)
	v_add_f64_e64 v[1:2], v[62:63], -v[1:2]
	v_add_f64_e64 v[3:4], v[64:65], -v[3:4]
	scratch_store_b128 off, v[1:4], off offset:80
	v_cmpx_lt_u32_e32 4, v37
	s_cbranch_execz .LBB11_77
; %bb.76:
	scratch_load_b128 v[1:4], off, s10
	v_mov_b32_e32 v6, 0
	s_delay_alu instid0(VALU_DEP_1)
	v_dual_mov_b32 v7, v6 :: v_dual_mov_b32 v8, v6
	v_mov_b32_e32 v9, v6
	scratch_store_b128 off, v[6:9], off offset:64
	s_wait_loadcnt 0x0
	ds_store_b128 v5, v[1:4]
.LBB11_77:
	s_wait_alu 0xfffe
	s_or_b32 exec_lo, exec_lo, s2
	s_wait_storecnt_dscnt 0x0
	s_barrier_signal -1
	s_barrier_wait -1
	global_inv scope:SCOPE_SE
	s_clause 0x6
	scratch_load_b128 v[6:9], off, off offset:80
	scratch_load_b128 v[38:41], off, off offset:96
	;; [unrolled: 1-line block ×7, first 2 shown]
	v_mov_b32_e32 v1, 0
	scratch_load_b128 v[66:69], off, off offset:64
	s_mov_b32 s2, exec_lo
	ds_load_b128 v[62:65], v1 offset:272
	ds_load_b128 v[70:73], v1 offset:288
	s_wait_loadcnt_dscnt 0x701
	v_mul_f64_e32 v[2:3], v[64:65], v[8:9]
	v_mul_f64_e32 v[8:9], v[62:63], v[8:9]
	s_wait_loadcnt_dscnt 0x600
	v_mul_f64_e32 v[10:11], v[70:71], v[40:41]
	v_mul_f64_e32 v[40:41], v[72:73], v[40:41]
	s_delay_alu instid0(VALU_DEP_4) | instskip(NEXT) | instid1(VALU_DEP_4)
	v_fma_f64 v[2:3], v[62:63], v[6:7], -v[2:3]
	v_fma_f64 v[74:75], v[64:65], v[6:7], v[8:9]
	ds_load_b128 v[6:9], v1 offset:304
	ds_load_b128 v[62:65], v1 offset:320
	v_fma_f64 v[10:11], v[72:73], v[38:39], v[10:11]
	v_fma_f64 v[38:39], v[70:71], v[38:39], -v[40:41]
	s_wait_loadcnt_dscnt 0x501
	v_mul_f64_e32 v[76:77], v[6:7], v[44:45]
	v_mul_f64_e32 v[44:45], v[8:9], v[44:45]
	s_wait_loadcnt_dscnt 0x400
	v_mul_f64_e32 v[70:71], v[62:63], v[48:49]
	v_mul_f64_e32 v[48:49], v[64:65], v[48:49]
	v_add_f64_e32 v[2:3], 0, v[2:3]
	v_add_f64_e32 v[40:41], 0, v[74:75]
	v_fma_f64 v[72:73], v[8:9], v[42:43], v[76:77]
	v_fma_f64 v[42:43], v[6:7], v[42:43], -v[44:45]
	v_fma_f64 v[64:65], v[64:65], v[46:47], v[70:71]
	v_fma_f64 v[46:47], v[62:63], v[46:47], -v[48:49]
	v_add_f64_e32 v[2:3], v[2:3], v[38:39]
	v_add_f64_e32 v[10:11], v[40:41], v[10:11]
	ds_load_b128 v[6:9], v1 offset:336
	ds_load_b128 v[38:41], v1 offset:352
	s_wait_loadcnt_dscnt 0x301
	v_mul_f64_e32 v[44:45], v[6:7], v[52:53]
	v_mul_f64_e32 v[52:53], v[8:9], v[52:53]
	s_wait_loadcnt_dscnt 0x200
	v_mul_f64_e32 v[48:49], v[40:41], v[56:57]
	v_add_f64_e32 v[2:3], v[2:3], v[42:43]
	v_add_f64_e32 v[10:11], v[10:11], v[72:73]
	v_mul_f64_e32 v[42:43], v[38:39], v[56:57]
	v_fma_f64 v[44:45], v[8:9], v[50:51], v[44:45]
	v_fma_f64 v[50:51], v[6:7], v[50:51], -v[52:53]
	ds_load_b128 v[6:9], v1 offset:368
	v_fma_f64 v[38:39], v[38:39], v[54:55], -v[48:49]
	v_add_f64_e32 v[2:3], v[2:3], v[46:47]
	v_add_f64_e32 v[10:11], v[10:11], v[64:65]
	v_fma_f64 v[40:41], v[40:41], v[54:55], v[42:43]
	s_wait_loadcnt_dscnt 0x100
	v_mul_f64_e32 v[46:47], v[6:7], v[60:61]
	v_mul_f64_e32 v[52:53], v[8:9], v[60:61]
	v_add_f64_e32 v[2:3], v[2:3], v[50:51]
	v_add_f64_e32 v[10:11], v[10:11], v[44:45]
	s_delay_alu instid0(VALU_DEP_4) | instskip(NEXT) | instid1(VALU_DEP_4)
	v_fma_f64 v[8:9], v[8:9], v[58:59], v[46:47]
	v_fma_f64 v[6:7], v[6:7], v[58:59], -v[52:53]
	s_delay_alu instid0(VALU_DEP_4) | instskip(NEXT) | instid1(VALU_DEP_4)
	v_add_f64_e32 v[2:3], v[2:3], v[38:39]
	v_add_f64_e32 v[10:11], v[10:11], v[40:41]
	s_delay_alu instid0(VALU_DEP_2) | instskip(NEXT) | instid1(VALU_DEP_2)
	v_add_f64_e32 v[2:3], v[2:3], v[6:7]
	v_add_f64_e32 v[8:9], v[10:11], v[8:9]
	s_wait_loadcnt 0x0
	s_delay_alu instid0(VALU_DEP_2) | instskip(NEXT) | instid1(VALU_DEP_2)
	v_add_f64_e64 v[6:7], v[66:67], -v[2:3]
	v_add_f64_e64 v[8:9], v[68:69], -v[8:9]
	scratch_store_b128 off, v[6:9], off offset:64
	v_cmpx_lt_u32_e32 3, v37
	s_cbranch_execz .LBB11_79
; %bb.78:
	scratch_load_b128 v[6:9], off, s5
	v_dual_mov_b32 v2, v1 :: v_dual_mov_b32 v3, v1
	v_mov_b32_e32 v4, v1
	scratch_store_b128 off, v[1:4], off offset:48
	s_wait_loadcnt 0x0
	ds_store_b128 v5, v[6:9]
.LBB11_79:
	s_wait_alu 0xfffe
	s_or_b32 exec_lo, exec_lo, s2
	s_wait_storecnt_dscnt 0x0
	s_barrier_signal -1
	s_barrier_wait -1
	global_inv scope:SCOPE_SE
	s_clause 0x7
	scratch_load_b128 v[6:9], off, off offset:64
	scratch_load_b128 v[38:41], off, off offset:80
	;; [unrolled: 1-line block ×8, first 2 shown]
	ds_load_b128 v[66:69], v1 offset:256
	ds_load_b128 v[70:73], v1 offset:272
	scratch_load_b128 v[74:77], off, off offset:48
	s_mov_b32 s2, exec_lo
	s_wait_loadcnt_dscnt 0x801
	v_mul_f64_e32 v[2:3], v[68:69], v[8:9]
	v_mul_f64_e32 v[8:9], v[66:67], v[8:9]
	s_wait_loadcnt_dscnt 0x700
	v_mul_f64_e32 v[10:11], v[70:71], v[40:41]
	v_mul_f64_e32 v[40:41], v[72:73], v[40:41]
	s_delay_alu instid0(VALU_DEP_4) | instskip(NEXT) | instid1(VALU_DEP_4)
	v_fma_f64 v[2:3], v[66:67], v[6:7], -v[2:3]
	v_fma_f64 v[78:79], v[68:69], v[6:7], v[8:9]
	ds_load_b128 v[6:9], v1 offset:288
	ds_load_b128 v[66:69], v1 offset:304
	v_fma_f64 v[10:11], v[72:73], v[38:39], v[10:11]
	v_fma_f64 v[38:39], v[70:71], v[38:39], -v[40:41]
	s_wait_loadcnt_dscnt 0x601
	v_mul_f64_e32 v[80:81], v[6:7], v[44:45]
	v_mul_f64_e32 v[44:45], v[8:9], v[44:45]
	s_wait_loadcnt_dscnt 0x500
	v_mul_f64_e32 v[70:71], v[66:67], v[48:49]
	v_mul_f64_e32 v[48:49], v[68:69], v[48:49]
	v_add_f64_e32 v[2:3], 0, v[2:3]
	v_add_f64_e32 v[40:41], 0, v[78:79]
	v_fma_f64 v[72:73], v[8:9], v[42:43], v[80:81]
	v_fma_f64 v[42:43], v[6:7], v[42:43], -v[44:45]
	v_fma_f64 v[68:69], v[68:69], v[46:47], v[70:71]
	v_fma_f64 v[46:47], v[66:67], v[46:47], -v[48:49]
	v_add_f64_e32 v[2:3], v[2:3], v[38:39]
	v_add_f64_e32 v[10:11], v[40:41], v[10:11]
	ds_load_b128 v[6:9], v1 offset:320
	ds_load_b128 v[38:41], v1 offset:336
	s_wait_loadcnt_dscnt 0x401
	v_mul_f64_e32 v[44:45], v[6:7], v[52:53]
	v_mul_f64_e32 v[52:53], v[8:9], v[52:53]
	s_wait_loadcnt_dscnt 0x300
	v_mul_f64_e32 v[48:49], v[40:41], v[56:57]
	v_add_f64_e32 v[2:3], v[2:3], v[42:43]
	v_add_f64_e32 v[10:11], v[10:11], v[72:73]
	v_mul_f64_e32 v[42:43], v[38:39], v[56:57]
	v_fma_f64 v[44:45], v[8:9], v[50:51], v[44:45]
	v_fma_f64 v[50:51], v[6:7], v[50:51], -v[52:53]
	v_fma_f64 v[38:39], v[38:39], v[54:55], -v[48:49]
	v_add_f64_e32 v[46:47], v[2:3], v[46:47]
	v_add_f64_e32 v[10:11], v[10:11], v[68:69]
	ds_load_b128 v[6:9], v1 offset:352
	ds_load_b128 v[1:4], v1 offset:368
	v_fma_f64 v[40:41], v[40:41], v[54:55], v[42:43]
	s_wait_loadcnt_dscnt 0x201
	v_mul_f64_e32 v[52:53], v[6:7], v[60:61]
	v_mul_f64_e32 v[56:57], v[8:9], v[60:61]
	v_add_f64_e32 v[42:43], v[46:47], v[50:51]
	v_add_f64_e32 v[10:11], v[10:11], v[44:45]
	s_wait_loadcnt_dscnt 0x100
	v_mul_f64_e32 v[44:45], v[1:2], v[64:65]
	v_mul_f64_e32 v[46:47], v[3:4], v[64:65]
	v_fma_f64 v[8:9], v[8:9], v[58:59], v[52:53]
	v_fma_f64 v[6:7], v[6:7], v[58:59], -v[56:57]
	v_add_f64_e32 v[38:39], v[42:43], v[38:39]
	v_add_f64_e32 v[10:11], v[10:11], v[40:41]
	v_fma_f64 v[3:4], v[3:4], v[62:63], v[44:45]
	v_fma_f64 v[1:2], v[1:2], v[62:63], -v[46:47]
	s_delay_alu instid0(VALU_DEP_4) | instskip(NEXT) | instid1(VALU_DEP_4)
	v_add_f64_e32 v[6:7], v[38:39], v[6:7]
	v_add_f64_e32 v[8:9], v[10:11], v[8:9]
	s_delay_alu instid0(VALU_DEP_2) | instskip(NEXT) | instid1(VALU_DEP_2)
	v_add_f64_e32 v[1:2], v[6:7], v[1:2]
	v_add_f64_e32 v[3:4], v[8:9], v[3:4]
	s_wait_loadcnt 0x0
	s_delay_alu instid0(VALU_DEP_2) | instskip(NEXT) | instid1(VALU_DEP_2)
	v_add_f64_e64 v[1:2], v[74:75], -v[1:2]
	v_add_f64_e64 v[3:4], v[76:77], -v[3:4]
	scratch_store_b128 off, v[1:4], off offset:48
	v_cmpx_lt_u32_e32 2, v37
	s_cbranch_execz .LBB11_81
; %bb.80:
	scratch_load_b128 v[1:4], off, s8
	v_mov_b32_e32 v6, 0
	s_delay_alu instid0(VALU_DEP_1)
	v_dual_mov_b32 v7, v6 :: v_dual_mov_b32 v8, v6
	v_mov_b32_e32 v9, v6
	scratch_store_b128 off, v[6:9], off offset:32
	s_wait_loadcnt 0x0
	ds_store_b128 v5, v[1:4]
.LBB11_81:
	s_wait_alu 0xfffe
	s_or_b32 exec_lo, exec_lo, s2
	s_wait_storecnt_dscnt 0x0
	s_barrier_signal -1
	s_barrier_wait -1
	global_inv scope:SCOPE_SE
	s_clause 0x7
	scratch_load_b128 v[6:9], off, off offset:48
	scratch_load_b128 v[38:41], off, off offset:64
	;; [unrolled: 1-line block ×8, first 2 shown]
	v_mov_b32_e32 v1, 0
	s_mov_b32 s2, exec_lo
	ds_load_b128 v[66:69], v1 offset:240
	s_clause 0x1
	scratch_load_b128 v[70:73], off, off offset:176
	scratch_load_b128 v[74:77], off, off offset:32
	ds_load_b128 v[78:81], v1 offset:256
	s_wait_loadcnt_dscnt 0x901
	v_mul_f64_e32 v[2:3], v[68:69], v[8:9]
	v_mul_f64_e32 v[8:9], v[66:67], v[8:9]
	s_wait_loadcnt_dscnt 0x800
	v_mul_f64_e32 v[10:11], v[78:79], v[40:41]
	v_mul_f64_e32 v[40:41], v[80:81], v[40:41]
	s_delay_alu instid0(VALU_DEP_4) | instskip(NEXT) | instid1(VALU_DEP_4)
	v_fma_f64 v[2:3], v[66:67], v[6:7], -v[2:3]
	v_fma_f64 v[82:83], v[68:69], v[6:7], v[8:9]
	ds_load_b128 v[6:9], v1 offset:272
	ds_load_b128 v[66:69], v1 offset:288
	v_fma_f64 v[10:11], v[80:81], v[38:39], v[10:11]
	v_fma_f64 v[38:39], v[78:79], v[38:39], -v[40:41]
	s_wait_loadcnt_dscnt 0x701
	v_mul_f64_e32 v[84:85], v[6:7], v[44:45]
	v_mul_f64_e32 v[44:45], v[8:9], v[44:45]
	s_wait_loadcnt_dscnt 0x600
	v_mul_f64_e32 v[78:79], v[66:67], v[48:49]
	v_mul_f64_e32 v[48:49], v[68:69], v[48:49]
	v_add_f64_e32 v[2:3], 0, v[2:3]
	v_add_f64_e32 v[40:41], 0, v[82:83]
	v_fma_f64 v[80:81], v[8:9], v[42:43], v[84:85]
	v_fma_f64 v[42:43], v[6:7], v[42:43], -v[44:45]
	v_fma_f64 v[68:69], v[68:69], v[46:47], v[78:79]
	v_fma_f64 v[46:47], v[66:67], v[46:47], -v[48:49]
	v_add_f64_e32 v[2:3], v[2:3], v[38:39]
	v_add_f64_e32 v[10:11], v[40:41], v[10:11]
	ds_load_b128 v[6:9], v1 offset:304
	ds_load_b128 v[38:41], v1 offset:320
	s_wait_loadcnt_dscnt 0x501
	v_mul_f64_e32 v[44:45], v[6:7], v[52:53]
	v_mul_f64_e32 v[52:53], v[8:9], v[52:53]
	s_wait_loadcnt_dscnt 0x400
	v_mul_f64_e32 v[48:49], v[38:39], v[56:57]
	v_mul_f64_e32 v[56:57], v[40:41], v[56:57]
	v_add_f64_e32 v[2:3], v[2:3], v[42:43]
	v_add_f64_e32 v[10:11], v[10:11], v[80:81]
	v_fma_f64 v[66:67], v[8:9], v[50:51], v[44:45]
	v_fma_f64 v[50:51], v[6:7], v[50:51], -v[52:53]
	ds_load_b128 v[6:9], v1 offset:336
	ds_load_b128 v[42:45], v1 offset:352
	v_fma_f64 v[40:41], v[40:41], v[54:55], v[48:49]
	v_fma_f64 v[38:39], v[38:39], v[54:55], -v[56:57]
	v_add_f64_e32 v[2:3], v[2:3], v[46:47]
	v_add_f64_e32 v[10:11], v[10:11], v[68:69]
	s_wait_loadcnt_dscnt 0x301
	v_mul_f64_e32 v[46:47], v[6:7], v[60:61]
	v_mul_f64_e32 v[52:53], v[8:9], v[60:61]
	s_wait_loadcnt_dscnt 0x200
	v_mul_f64_e32 v[48:49], v[42:43], v[64:65]
	v_add_f64_e32 v[2:3], v[2:3], v[50:51]
	v_add_f64_e32 v[10:11], v[10:11], v[66:67]
	v_mul_f64_e32 v[50:51], v[44:45], v[64:65]
	v_fma_f64 v[46:47], v[8:9], v[58:59], v[46:47]
	v_fma_f64 v[52:53], v[6:7], v[58:59], -v[52:53]
	ds_load_b128 v[6:9], v1 offset:368
	v_fma_f64 v[44:45], v[44:45], v[62:63], v[48:49]
	v_add_f64_e32 v[2:3], v[2:3], v[38:39]
	v_add_f64_e32 v[10:11], v[10:11], v[40:41]
	s_wait_loadcnt_dscnt 0x100
	v_mul_f64_e32 v[38:39], v[6:7], v[72:73]
	v_mul_f64_e32 v[40:41], v[8:9], v[72:73]
	v_fma_f64 v[42:43], v[42:43], v[62:63], -v[50:51]
	v_add_f64_e32 v[2:3], v[2:3], v[52:53]
	v_add_f64_e32 v[10:11], v[10:11], v[46:47]
	v_fma_f64 v[8:9], v[8:9], v[70:71], v[38:39]
	v_fma_f64 v[6:7], v[6:7], v[70:71], -v[40:41]
	s_delay_alu instid0(VALU_DEP_4) | instskip(NEXT) | instid1(VALU_DEP_4)
	v_add_f64_e32 v[2:3], v[2:3], v[42:43]
	v_add_f64_e32 v[10:11], v[10:11], v[44:45]
	s_delay_alu instid0(VALU_DEP_2) | instskip(NEXT) | instid1(VALU_DEP_2)
	v_add_f64_e32 v[2:3], v[2:3], v[6:7]
	v_add_f64_e32 v[8:9], v[10:11], v[8:9]
	s_wait_loadcnt 0x0
	s_delay_alu instid0(VALU_DEP_2) | instskip(NEXT) | instid1(VALU_DEP_2)
	v_add_f64_e64 v[6:7], v[74:75], -v[2:3]
	v_add_f64_e64 v[8:9], v[76:77], -v[8:9]
	scratch_store_b128 off, v[6:9], off offset:32
	v_cmpx_lt_u32_e32 1, v37
	s_cbranch_execz .LBB11_83
; %bb.82:
	scratch_load_b128 v[6:9], off, s4
	v_dual_mov_b32 v2, v1 :: v_dual_mov_b32 v3, v1
	v_mov_b32_e32 v4, v1
	scratch_store_b128 off, v[1:4], off offset:16
	s_wait_loadcnt 0x0
	ds_store_b128 v5, v[6:9]
.LBB11_83:
	s_wait_alu 0xfffe
	s_or_b32 exec_lo, exec_lo, s2
	s_wait_storecnt_dscnt 0x0
	s_barrier_signal -1
	s_barrier_wait -1
	global_inv scope:SCOPE_SE
	s_clause 0x8
	scratch_load_b128 v[6:9], off, off offset:32
	scratch_load_b128 v[38:41], off, off offset:48
	;; [unrolled: 1-line block ×9, first 2 shown]
	ds_load_b128 v[70:73], v1 offset:224
	ds_load_b128 v[74:77], v1 offset:240
	scratch_load_b128 v[78:81], off, off offset:16
	s_mov_b32 s2, exec_lo
	s_wait_loadcnt_dscnt 0x901
	v_mul_f64_e32 v[2:3], v[72:73], v[8:9]
	v_mul_f64_e32 v[82:83], v[70:71], v[8:9]
	scratch_load_b128 v[8:11], off, off offset:176
	s_wait_loadcnt_dscnt 0x900
	v_mul_f64_e32 v[86:87], v[74:75], v[40:41]
	v_mul_f64_e32 v[40:41], v[76:77], v[40:41]
	v_fma_f64 v[2:3], v[70:71], v[6:7], -v[2:3]
	v_fma_f64 v[6:7], v[72:73], v[6:7], v[82:83]
	ds_load_b128 v[70:73], v1 offset:256
	ds_load_b128 v[82:85], v1 offset:272
	v_fma_f64 v[76:77], v[76:77], v[38:39], v[86:87]
	v_fma_f64 v[38:39], v[74:75], v[38:39], -v[40:41]
	s_wait_loadcnt_dscnt 0x801
	v_mul_f64_e32 v[88:89], v[70:71], v[44:45]
	v_mul_f64_e32 v[44:45], v[72:73], v[44:45]
	s_wait_loadcnt_dscnt 0x700
	v_mul_f64_e32 v[74:75], v[82:83], v[48:49]
	v_mul_f64_e32 v[48:49], v[84:85], v[48:49]
	v_add_f64_e32 v[2:3], 0, v[2:3]
	v_add_f64_e32 v[6:7], 0, v[6:7]
	v_fma_f64 v[72:73], v[72:73], v[42:43], v[88:89]
	v_fma_f64 v[70:71], v[70:71], v[42:43], -v[44:45]
	v_fma_f64 v[74:75], v[84:85], v[46:47], v[74:75]
	v_fma_f64 v[46:47], v[82:83], v[46:47], -v[48:49]
	v_add_f64_e32 v[2:3], v[2:3], v[38:39]
	v_add_f64_e32 v[6:7], v[6:7], v[76:77]
	ds_load_b128 v[38:41], v1 offset:288
	ds_load_b128 v[42:45], v1 offset:304
	s_wait_loadcnt_dscnt 0x601
	v_mul_f64_e32 v[76:77], v[38:39], v[52:53]
	v_mul_f64_e32 v[52:53], v[40:41], v[52:53]
	v_add_f64_e32 v[2:3], v[2:3], v[70:71]
	v_add_f64_e32 v[6:7], v[6:7], v[72:73]
	s_wait_loadcnt_dscnt 0x500
	v_mul_f64_e32 v[70:71], v[42:43], v[56:57]
	v_mul_f64_e32 v[56:57], v[44:45], v[56:57]
	v_fma_f64 v[72:73], v[40:41], v[50:51], v[76:77]
	v_fma_f64 v[50:51], v[38:39], v[50:51], -v[52:53]
	v_add_f64_e32 v[2:3], v[2:3], v[46:47]
	v_add_f64_e32 v[6:7], v[6:7], v[74:75]
	ds_load_b128 v[38:41], v1 offset:320
	ds_load_b128 v[46:49], v1 offset:336
	v_fma_f64 v[44:45], v[44:45], v[54:55], v[70:71]
	v_fma_f64 v[42:43], v[42:43], v[54:55], -v[56:57]
	s_wait_loadcnt_dscnt 0x401
	v_mul_f64_e32 v[52:53], v[38:39], v[60:61]
	v_mul_f64_e32 v[60:61], v[40:41], v[60:61]
	s_wait_loadcnt_dscnt 0x300
	v_mul_f64_e32 v[54:55], v[48:49], v[64:65]
	v_add_f64_e32 v[2:3], v[2:3], v[50:51]
	v_add_f64_e32 v[6:7], v[6:7], v[72:73]
	v_mul_f64_e32 v[50:51], v[46:47], v[64:65]
	v_fma_f64 v[52:53], v[40:41], v[58:59], v[52:53]
	v_fma_f64 v[56:57], v[38:39], v[58:59], -v[60:61]
	v_fma_f64 v[46:47], v[46:47], v[62:63], -v[54:55]
	v_add_f64_e32 v[42:43], v[2:3], v[42:43]
	v_add_f64_e32 v[6:7], v[6:7], v[44:45]
	ds_load_b128 v[38:41], v1 offset:352
	ds_load_b128 v[1:4], v1 offset:368
	v_fma_f64 v[48:49], v[48:49], v[62:63], v[50:51]
	s_wait_loadcnt_dscnt 0x201
	v_mul_f64_e32 v[44:45], v[38:39], v[68:69]
	v_mul_f64_e32 v[58:59], v[40:41], v[68:69]
	v_add_f64_e32 v[42:43], v[42:43], v[56:57]
	v_add_f64_e32 v[6:7], v[6:7], v[52:53]
	s_wait_loadcnt_dscnt 0x0
	v_mul_f64_e32 v[50:51], v[1:2], v[10:11]
	v_mul_f64_e32 v[10:11], v[3:4], v[10:11]
	v_fma_f64 v[40:41], v[40:41], v[66:67], v[44:45]
	v_fma_f64 v[38:39], v[38:39], v[66:67], -v[58:59]
	v_add_f64_e32 v[42:43], v[42:43], v[46:47]
	v_add_f64_e32 v[6:7], v[6:7], v[48:49]
	v_fma_f64 v[3:4], v[3:4], v[8:9], v[50:51]
	v_fma_f64 v[1:2], v[1:2], v[8:9], -v[10:11]
	s_delay_alu instid0(VALU_DEP_4) | instskip(NEXT) | instid1(VALU_DEP_4)
	v_add_f64_e32 v[8:9], v[42:43], v[38:39]
	v_add_f64_e32 v[6:7], v[6:7], v[40:41]
	s_delay_alu instid0(VALU_DEP_2) | instskip(NEXT) | instid1(VALU_DEP_2)
	v_add_f64_e32 v[1:2], v[8:9], v[1:2]
	v_add_f64_e32 v[3:4], v[6:7], v[3:4]
	s_delay_alu instid0(VALU_DEP_2) | instskip(NEXT) | instid1(VALU_DEP_2)
	v_add_f64_e64 v[1:2], v[78:79], -v[1:2]
	v_add_f64_e64 v[3:4], v[80:81], -v[3:4]
	scratch_store_b128 off, v[1:4], off offset:16
	v_cmpx_ne_u32_e32 0, v37
	s_cbranch_execz .LBB11_85
; %bb.84:
	scratch_load_b128 v[1:4], off, off
	v_mov_b32_e32 v6, 0
	s_delay_alu instid0(VALU_DEP_1)
	v_dual_mov_b32 v7, v6 :: v_dual_mov_b32 v8, v6
	v_mov_b32_e32 v9, v6
	scratch_store_b128 off, v[6:9], off
	s_wait_loadcnt 0x0
	ds_store_b128 v5, v[1:4]
.LBB11_85:
	s_wait_alu 0xfffe
	s_or_b32 exec_lo, exec_lo, s2
	s_wait_storecnt_dscnt 0x0
	s_barrier_signal -1
	s_barrier_wait -1
	global_inv scope:SCOPE_SE
	s_clause 0x7
	scratch_load_b128 v[2:5], off, off offset:16
	scratch_load_b128 v[6:9], off, off offset:32
	;; [unrolled: 1-line block ×8, first 2 shown]
	v_mov_b32_e32 v1, 0
	s_and_b32 vcc_lo, exec_lo, s20
	ds_load_b128 v[62:65], v1 offset:208
	s_clause 0x1
	scratch_load_b128 v[66:69], off, off offset:144
	scratch_load_b128 v[70:73], off, off
	ds_load_b128 v[74:77], v1 offset:224
	scratch_load_b128 v[78:81], off, off offset:160
	s_wait_loadcnt_dscnt 0xa01
	v_mul_f64_e32 v[10:11], v[64:65], v[4:5]
	v_mul_f64_e32 v[4:5], v[62:63], v[4:5]
	s_delay_alu instid0(VALU_DEP_2) | instskip(NEXT) | instid1(VALU_DEP_2)
	v_fma_f64 v[86:87], v[62:63], v[2:3], -v[10:11]
	v_fma_f64 v[88:89], v[64:65], v[2:3], v[4:5]
	ds_load_b128 v[2:5], v1 offset:240
	s_wait_loadcnt_dscnt 0x901
	v_mul_f64_e32 v[82:83], v[74:75], v[8:9]
	v_mul_f64_e32 v[84:85], v[76:77], v[8:9]
	scratch_load_b128 v[8:11], off, off offset:176
	ds_load_b128 v[62:65], v1 offset:256
	s_wait_loadcnt_dscnt 0x901
	v_mul_f64_e32 v[90:91], v[2:3], v[40:41]
	v_mul_f64_e32 v[40:41], v[4:5], v[40:41]
	v_fma_f64 v[76:77], v[76:77], v[6:7], v[82:83]
	v_fma_f64 v[6:7], v[74:75], v[6:7], -v[84:85]
	v_add_f64_e32 v[74:75], 0, v[86:87]
	v_add_f64_e32 v[82:83], 0, v[88:89]
	s_wait_loadcnt_dscnt 0x800
	v_mul_f64_e32 v[84:85], v[62:63], v[44:45]
	v_mul_f64_e32 v[44:45], v[64:65], v[44:45]
	v_fma_f64 v[86:87], v[4:5], v[38:39], v[90:91]
	v_fma_f64 v[88:89], v[2:3], v[38:39], -v[40:41]
	ds_load_b128 v[2:5], v1 offset:272
	ds_load_b128 v[38:41], v1 offset:288
	v_add_f64_e32 v[6:7], v[74:75], v[6:7]
	v_add_f64_e32 v[74:75], v[82:83], v[76:77]
	s_wait_loadcnt_dscnt 0x701
	v_mul_f64_e32 v[76:77], v[2:3], v[48:49]
	v_mul_f64_e32 v[48:49], v[4:5], v[48:49]
	v_fma_f64 v[64:65], v[64:65], v[42:43], v[84:85]
	v_fma_f64 v[42:43], v[62:63], v[42:43], -v[44:45]
	s_wait_loadcnt_dscnt 0x600
	v_mul_f64_e32 v[62:63], v[38:39], v[52:53]
	v_mul_f64_e32 v[52:53], v[40:41], v[52:53]
	v_add_f64_e32 v[6:7], v[6:7], v[88:89]
	v_add_f64_e32 v[44:45], v[74:75], v[86:87]
	v_fma_f64 v[74:75], v[4:5], v[46:47], v[76:77]
	v_fma_f64 v[46:47], v[2:3], v[46:47], -v[48:49]
	v_fma_f64 v[40:41], v[40:41], v[50:51], v[62:63]
	v_fma_f64 v[38:39], v[38:39], v[50:51], -v[52:53]
	v_add_f64_e32 v[6:7], v[6:7], v[42:43]
	v_add_f64_e32 v[48:49], v[44:45], v[64:65]
	ds_load_b128 v[2:5], v1 offset:304
	ds_load_b128 v[42:45], v1 offset:320
	s_wait_loadcnt_dscnt 0x501
	v_mul_f64_e32 v[64:65], v[2:3], v[56:57]
	v_mul_f64_e32 v[56:57], v[4:5], v[56:57]
	s_wait_loadcnt_dscnt 0x400
	v_mul_f64_e32 v[50:51], v[44:45], v[60:61]
	v_add_f64_e32 v[6:7], v[6:7], v[46:47]
	v_add_f64_e32 v[46:47], v[48:49], v[74:75]
	v_mul_f64_e32 v[48:49], v[42:43], v[60:61]
	v_fma_f64 v[52:53], v[4:5], v[54:55], v[64:65]
	v_fma_f64 v[54:55], v[2:3], v[54:55], -v[56:57]
	v_fma_f64 v[42:43], v[42:43], v[58:59], -v[50:51]
	v_add_f64_e32 v[6:7], v[6:7], v[38:39]
	v_add_f64_e32 v[46:47], v[46:47], v[40:41]
	ds_load_b128 v[2:5], v1 offset:336
	ds_load_b128 v[38:41], v1 offset:352
	v_fma_f64 v[44:45], v[44:45], v[58:59], v[48:49]
	s_wait_loadcnt_dscnt 0x301
	v_mul_f64_e32 v[56:57], v[2:3], v[68:69]
	v_mul_f64_e32 v[60:61], v[4:5], v[68:69]
	s_wait_loadcnt_dscnt 0x100
	v_mul_f64_e32 v[48:49], v[38:39], v[80:81]
	v_mul_f64_e32 v[50:51], v[40:41], v[80:81]
	v_add_f64_e32 v[6:7], v[6:7], v[54:55]
	v_add_f64_e32 v[46:47], v[46:47], v[52:53]
	v_fma_f64 v[52:53], v[4:5], v[66:67], v[56:57]
	v_fma_f64 v[54:55], v[2:3], v[66:67], -v[60:61]
	ds_load_b128 v[2:5], v1 offset:368
	v_fma_f64 v[40:41], v[40:41], v[78:79], v[48:49]
	v_fma_f64 v[38:39], v[38:39], v[78:79], -v[50:51]
	v_add_f64_e32 v[6:7], v[6:7], v[42:43]
	v_add_f64_e32 v[42:43], v[46:47], v[44:45]
	s_wait_loadcnt_dscnt 0x0
	v_mul_f64_e32 v[44:45], v[2:3], v[10:11]
	v_mul_f64_e32 v[10:11], v[4:5], v[10:11]
	s_delay_alu instid0(VALU_DEP_4) | instskip(NEXT) | instid1(VALU_DEP_4)
	v_add_f64_e32 v[6:7], v[6:7], v[54:55]
	v_add_f64_e32 v[42:43], v[42:43], v[52:53]
	s_delay_alu instid0(VALU_DEP_4) | instskip(NEXT) | instid1(VALU_DEP_4)
	v_fma_f64 v[4:5], v[4:5], v[8:9], v[44:45]
	v_fma_f64 v[2:3], v[2:3], v[8:9], -v[10:11]
	s_delay_alu instid0(VALU_DEP_4) | instskip(NEXT) | instid1(VALU_DEP_4)
	v_add_f64_e32 v[6:7], v[6:7], v[38:39]
	v_add_f64_e32 v[8:9], v[42:43], v[40:41]
	s_delay_alu instid0(VALU_DEP_2) | instskip(NEXT) | instid1(VALU_DEP_2)
	v_add_f64_e32 v[2:3], v[6:7], v[2:3]
	v_add_f64_e32 v[4:5], v[8:9], v[4:5]
	s_delay_alu instid0(VALU_DEP_2) | instskip(NEXT) | instid1(VALU_DEP_2)
	v_add_f64_e64 v[2:3], v[70:71], -v[2:3]
	v_add_f64_e64 v[4:5], v[72:73], -v[4:5]
	scratch_store_b128 off, v[2:5], off
	s_wait_alu 0xfffe
	s_cbranch_vccz .LBB11_108
; %bb.86:
	global_load_b32 v1, v1, s[16:17] offset:40
	s_load_b64 s[0:1], s[0:1], 0x4
	v_bfe_u32 v2, v0, 10, 10
	v_bfe_u32 v0, v0, 20, 10
	s_wait_kmcnt 0x0
	s_lshr_b32 s0, s0, 16
	s_delay_alu instid0(VALU_DEP_2) | instskip(SKIP_3) | instid1(VALU_DEP_1)
	v_mul_u32_u24_e32 v2, s1, v2
	s_mul_i32 s0, s0, s1
	s_wait_alu 0xfffe
	v_mul_u32_u24_e32 v3, s0, v37
	v_add3_u32 v0, v3, v2, v0
	s_delay_alu instid0(VALU_DEP_1)
	v_lshl_add_u32 v0, v0, 4, 0x188
	s_wait_loadcnt 0x0
	v_cmp_ne_u32_e32 vcc_lo, 11, v1
	s_cbranch_vccz .LBB11_88
; %bb.87:
	v_lshlrev_b32_e32 v1, 4, v1
	s_delay_alu instid0(VALU_DEP_1)
	v_mov_b32_e32 v9, v1
	s_clause 0x1
	scratch_load_b128 v[1:4], off, s21
	scratch_load_b128 v[5:8], v9, off offset:-16
	s_wait_loadcnt 0x1
	ds_store_2addr_b64 v0, v[1:2], v[3:4] offset1:1
	s_wait_loadcnt 0x0
	s_clause 0x1
	scratch_store_b128 off, v[5:8], s21
	scratch_store_b128 v9, v[1:4], off offset:-16
.LBB11_88:
	v_mov_b32_e32 v1, 0
	global_load_b32 v2, v1, s[16:17] offset:36
	s_wait_loadcnt 0x0
	v_cmp_eq_u32_e32 vcc_lo, 10, v2
	s_cbranch_vccnz .LBB11_90
; %bb.89:
	v_lshlrev_b32_e32 v2, 4, v2
	s_delay_alu instid0(VALU_DEP_1)
	v_mov_b32_e32 v10, v2
	s_clause 0x1
	scratch_load_b128 v[2:5], off, s13
	scratch_load_b128 v[6:9], v10, off offset:-16
	s_wait_loadcnt 0x1
	ds_store_2addr_b64 v0, v[2:3], v[4:5] offset1:1
	s_wait_loadcnt 0x0
	s_clause 0x1
	scratch_store_b128 off, v[6:9], s13
	scratch_store_b128 v10, v[2:5], off offset:-16
.LBB11_90:
	global_load_b32 v1, v1, s[16:17] offset:32
	s_wait_loadcnt 0x0
	v_cmp_eq_u32_e32 vcc_lo, 9, v1
	s_cbranch_vccnz .LBB11_92
; %bb.91:
	v_lshlrev_b32_e32 v1, 4, v1
	s_delay_alu instid0(VALU_DEP_1)
	v_mov_b32_e32 v9, v1
	s_clause 0x1
	scratch_load_b128 v[1:4], off, s14
	scratch_load_b128 v[5:8], v9, off offset:-16
	s_wait_loadcnt 0x1
	ds_store_2addr_b64 v0, v[1:2], v[3:4] offset1:1
	s_wait_loadcnt 0x0
	s_clause 0x1
	scratch_store_b128 off, v[5:8], s14
	scratch_store_b128 v9, v[1:4], off offset:-16
.LBB11_92:
	v_mov_b32_e32 v1, 0
	global_load_b32 v2, v1, s[16:17] offset:28
	s_wait_loadcnt 0x0
	v_cmp_eq_u32_e32 vcc_lo, 8, v2
	s_cbranch_vccnz .LBB11_94
; %bb.93:
	v_lshlrev_b32_e32 v2, 4, v2
	s_delay_alu instid0(VALU_DEP_1)
	v_mov_b32_e32 v10, v2
	s_clause 0x1
	scratch_load_b128 v[2:5], off, s11
	scratch_load_b128 v[6:9], v10, off offset:-16
	s_wait_loadcnt 0x1
	ds_store_2addr_b64 v0, v[2:3], v[4:5] offset1:1
	s_wait_loadcnt 0x0
	s_clause 0x1
	scratch_store_b128 off, v[6:9], s11
	scratch_store_b128 v10, v[2:5], off offset:-16
.LBB11_94:
	global_load_b32 v1, v1, s[16:17] offset:24
	s_wait_loadcnt 0x0
	v_cmp_eq_u32_e32 vcc_lo, 7, v1
	s_cbranch_vccnz .LBB11_96
; %bb.95:
	v_lshlrev_b32_e32 v1, 4, v1
	s_delay_alu instid0(VALU_DEP_1)
	v_mov_b32_e32 v9, v1
	s_clause 0x1
	scratch_load_b128 v[1:4], off, s12
	scratch_load_b128 v[5:8], v9, off offset:-16
	s_wait_loadcnt 0x1
	ds_store_2addr_b64 v0, v[1:2], v[3:4] offset1:1
	s_wait_loadcnt 0x0
	s_clause 0x1
	scratch_store_b128 off, v[5:8], s12
	scratch_store_b128 v9, v[1:4], off offset:-16
.LBB11_96:
	v_mov_b32_e32 v1, 0
	global_load_b32 v2, v1, s[16:17] offset:20
	s_wait_loadcnt 0x0
	v_cmp_eq_u32_e32 vcc_lo, 6, v2
	s_cbranch_vccnz .LBB11_98
; %bb.97:
	v_lshlrev_b32_e32 v2, 4, v2
	s_delay_alu instid0(VALU_DEP_1)
	v_mov_b32_e32 v10, v2
	s_clause 0x1
	scratch_load_b128 v[2:5], off, s9
	scratch_load_b128 v[6:9], v10, off offset:-16
	s_wait_loadcnt 0x1
	ds_store_2addr_b64 v0, v[2:3], v[4:5] offset1:1
	s_wait_loadcnt 0x0
	s_clause 0x1
	scratch_store_b128 off, v[6:9], s9
	scratch_store_b128 v10, v[2:5], off offset:-16
.LBB11_98:
	global_load_b32 v1, v1, s[16:17] offset:16
	s_wait_loadcnt 0x0
	v_cmp_eq_u32_e32 vcc_lo, 5, v1
	s_cbranch_vccnz .LBB11_100
; %bb.99:
	v_lshlrev_b32_e32 v1, 4, v1
	s_delay_alu instid0(VALU_DEP_1)
	v_mov_b32_e32 v9, v1
	s_clause 0x1
	scratch_load_b128 v[1:4], off, s10
	scratch_load_b128 v[5:8], v9, off offset:-16
	s_wait_loadcnt 0x1
	ds_store_2addr_b64 v0, v[1:2], v[3:4] offset1:1
	s_wait_loadcnt 0x0
	s_clause 0x1
	scratch_store_b128 off, v[5:8], s10
	scratch_store_b128 v9, v[1:4], off offset:-16
.LBB11_100:
	v_mov_b32_e32 v1, 0
	global_load_b32 v2, v1, s[16:17] offset:12
	s_wait_loadcnt 0x0
	v_cmp_eq_u32_e32 vcc_lo, 4, v2
	s_cbranch_vccnz .LBB11_102
; %bb.101:
	v_lshlrev_b32_e32 v2, 4, v2
	s_delay_alu instid0(VALU_DEP_1)
	v_mov_b32_e32 v10, v2
	s_clause 0x1
	scratch_load_b128 v[2:5], off, s5
	scratch_load_b128 v[6:9], v10, off offset:-16
	s_wait_loadcnt 0x1
	ds_store_2addr_b64 v0, v[2:3], v[4:5] offset1:1
	s_wait_loadcnt 0x0
	s_clause 0x1
	scratch_store_b128 off, v[6:9], s5
	scratch_store_b128 v10, v[2:5], off offset:-16
.LBB11_102:
	global_load_b32 v1, v1, s[16:17] offset:8
	s_wait_loadcnt 0x0
	v_cmp_eq_u32_e32 vcc_lo, 3, v1
	s_cbranch_vccnz .LBB11_104
; %bb.103:
	v_lshlrev_b32_e32 v1, 4, v1
	s_delay_alu instid0(VALU_DEP_1)
	v_mov_b32_e32 v9, v1
	s_clause 0x1
	scratch_load_b128 v[1:4], off, s8
	scratch_load_b128 v[5:8], v9, off offset:-16
	s_wait_loadcnt 0x1
	ds_store_2addr_b64 v0, v[1:2], v[3:4] offset1:1
	s_wait_loadcnt 0x0
	s_clause 0x1
	scratch_store_b128 off, v[5:8], s8
	scratch_store_b128 v9, v[1:4], off offset:-16
.LBB11_104:
	v_mov_b32_e32 v1, 0
	global_load_b32 v2, v1, s[16:17] offset:4
	s_wait_loadcnt 0x0
	v_cmp_eq_u32_e32 vcc_lo, 2, v2
	s_cbranch_vccnz .LBB11_106
; %bb.105:
	v_lshlrev_b32_e32 v2, 4, v2
	s_delay_alu instid0(VALU_DEP_1)
	v_mov_b32_e32 v10, v2
	s_clause 0x1
	scratch_load_b128 v[2:5], off, s4
	scratch_load_b128 v[6:9], v10, off offset:-16
	s_wait_loadcnt 0x1
	ds_store_2addr_b64 v0, v[2:3], v[4:5] offset1:1
	s_wait_loadcnt 0x0
	s_clause 0x1
	scratch_store_b128 off, v[6:9], s4
	scratch_store_b128 v10, v[2:5], off offset:-16
.LBB11_106:
	global_load_b32 v1, v1, s[16:17]
	s_wait_loadcnt 0x0
	v_cmp_eq_u32_e32 vcc_lo, 1, v1
	s_cbranch_vccnz .LBB11_108
; %bb.107:
	v_lshlrev_b32_e32 v1, 4, v1
	s_delay_alu instid0(VALU_DEP_1)
	v_mov_b32_e32 v9, v1
	scratch_load_b128 v[1:4], off, off
	scratch_load_b128 v[5:8], v9, off offset:-16
	s_wait_loadcnt 0x1
	ds_store_2addr_b64 v0, v[1:2], v[3:4] offset1:1
	s_wait_loadcnt 0x0
	scratch_store_b128 off, v[5:8], off
	scratch_store_b128 v9, v[1:4], off offset:-16
.LBB11_108:
	scratch_load_b128 v[0:3], off, off
	s_clause 0xa
	scratch_load_b128 v[4:7], off, s4
	scratch_load_b128 v[8:11], off, s8
	;; [unrolled: 1-line block ×11, first 2 shown]
	s_wait_loadcnt 0xb
	global_store_b128 v[13:14], v[0:3], off
	s_wait_loadcnt 0xa
	global_store_b128 v[15:16], v[4:7], off
	;; [unrolled: 2-line block ×12, first 2 shown]
	s_endpgm
	.section	.rodata,"a",@progbits
	.p2align	6, 0x0
	.amdhsa_kernel _ZN9rocsolver6v33100L18getri_kernel_smallILi12E19rocblas_complex_numIdEPS3_EEvT1_iilPiilS6_bb
		.amdhsa_group_segment_fixed_size 1416
		.amdhsa_private_segment_fixed_size 208
		.amdhsa_kernarg_size 60
		.amdhsa_user_sgpr_count 4
		.amdhsa_user_sgpr_dispatch_ptr 1
		.amdhsa_user_sgpr_queue_ptr 0
		.amdhsa_user_sgpr_kernarg_segment_ptr 1
		.amdhsa_user_sgpr_dispatch_id 0
		.amdhsa_user_sgpr_private_segment_size 0
		.amdhsa_wavefront_size32 1
		.amdhsa_uses_dynamic_stack 0
		.amdhsa_enable_private_segment 1
		.amdhsa_system_sgpr_workgroup_id_x 1
		.amdhsa_system_sgpr_workgroup_id_y 0
		.amdhsa_system_sgpr_workgroup_id_z 0
		.amdhsa_system_sgpr_workgroup_info 0
		.amdhsa_system_vgpr_workitem_id 2
		.amdhsa_next_free_vgpr 92
		.amdhsa_next_free_sgpr 25
		.amdhsa_reserve_vcc 1
		.amdhsa_float_round_mode_32 0
		.amdhsa_float_round_mode_16_64 0
		.amdhsa_float_denorm_mode_32 3
		.amdhsa_float_denorm_mode_16_64 3
		.amdhsa_fp16_overflow 0
		.amdhsa_workgroup_processor_mode 1
		.amdhsa_memory_ordered 1
		.amdhsa_forward_progress 1
		.amdhsa_inst_pref_size 96
		.amdhsa_round_robin_scheduling 0
		.amdhsa_exception_fp_ieee_invalid_op 0
		.amdhsa_exception_fp_denorm_src 0
		.amdhsa_exception_fp_ieee_div_zero 0
		.amdhsa_exception_fp_ieee_overflow 0
		.amdhsa_exception_fp_ieee_underflow 0
		.amdhsa_exception_fp_ieee_inexact 0
		.amdhsa_exception_int_div_zero 0
	.end_amdhsa_kernel
	.section	.text._ZN9rocsolver6v33100L18getri_kernel_smallILi12E19rocblas_complex_numIdEPS3_EEvT1_iilPiilS6_bb,"axG",@progbits,_ZN9rocsolver6v33100L18getri_kernel_smallILi12E19rocblas_complex_numIdEPS3_EEvT1_iilPiilS6_bb,comdat
.Lfunc_end11:
	.size	_ZN9rocsolver6v33100L18getri_kernel_smallILi12E19rocblas_complex_numIdEPS3_EEvT1_iilPiilS6_bb, .Lfunc_end11-_ZN9rocsolver6v33100L18getri_kernel_smallILi12E19rocblas_complex_numIdEPS3_EEvT1_iilPiilS6_bb
                                        ; -- End function
	.set _ZN9rocsolver6v33100L18getri_kernel_smallILi12E19rocblas_complex_numIdEPS3_EEvT1_iilPiilS6_bb.num_vgpr, 92
	.set _ZN9rocsolver6v33100L18getri_kernel_smallILi12E19rocblas_complex_numIdEPS3_EEvT1_iilPiilS6_bb.num_agpr, 0
	.set _ZN9rocsolver6v33100L18getri_kernel_smallILi12E19rocblas_complex_numIdEPS3_EEvT1_iilPiilS6_bb.numbered_sgpr, 25
	.set _ZN9rocsolver6v33100L18getri_kernel_smallILi12E19rocblas_complex_numIdEPS3_EEvT1_iilPiilS6_bb.num_named_barrier, 0
	.set _ZN9rocsolver6v33100L18getri_kernel_smallILi12E19rocblas_complex_numIdEPS3_EEvT1_iilPiilS6_bb.private_seg_size, 208
	.set _ZN9rocsolver6v33100L18getri_kernel_smallILi12E19rocblas_complex_numIdEPS3_EEvT1_iilPiilS6_bb.uses_vcc, 1
	.set _ZN9rocsolver6v33100L18getri_kernel_smallILi12E19rocblas_complex_numIdEPS3_EEvT1_iilPiilS6_bb.uses_flat_scratch, 1
	.set _ZN9rocsolver6v33100L18getri_kernel_smallILi12E19rocblas_complex_numIdEPS3_EEvT1_iilPiilS6_bb.has_dyn_sized_stack, 0
	.set _ZN9rocsolver6v33100L18getri_kernel_smallILi12E19rocblas_complex_numIdEPS3_EEvT1_iilPiilS6_bb.has_recursion, 0
	.set _ZN9rocsolver6v33100L18getri_kernel_smallILi12E19rocblas_complex_numIdEPS3_EEvT1_iilPiilS6_bb.has_indirect_call, 0
	.section	.AMDGPU.csdata,"",@progbits
; Kernel info:
; codeLenInByte = 12260
; TotalNumSgprs: 27
; NumVgprs: 92
; ScratchSize: 208
; MemoryBound: 0
; FloatMode: 240
; IeeeMode: 1
; LDSByteSize: 1416 bytes/workgroup (compile time only)
; SGPRBlocks: 0
; VGPRBlocks: 11
; NumSGPRsForWavesPerEU: 27
; NumVGPRsForWavesPerEU: 92
; Occupancy: 16
; WaveLimiterHint : 1
; COMPUTE_PGM_RSRC2:SCRATCH_EN: 1
; COMPUTE_PGM_RSRC2:USER_SGPR: 4
; COMPUTE_PGM_RSRC2:TRAP_HANDLER: 0
; COMPUTE_PGM_RSRC2:TGID_X_EN: 1
; COMPUTE_PGM_RSRC2:TGID_Y_EN: 0
; COMPUTE_PGM_RSRC2:TGID_Z_EN: 0
; COMPUTE_PGM_RSRC2:TIDIG_COMP_CNT: 2
	.section	.text._ZN9rocsolver6v33100L18getri_kernel_smallILi13E19rocblas_complex_numIdEPS3_EEvT1_iilPiilS6_bb,"axG",@progbits,_ZN9rocsolver6v33100L18getri_kernel_smallILi13E19rocblas_complex_numIdEPS3_EEvT1_iilPiilS6_bb,comdat
	.globl	_ZN9rocsolver6v33100L18getri_kernel_smallILi13E19rocblas_complex_numIdEPS3_EEvT1_iilPiilS6_bb ; -- Begin function _ZN9rocsolver6v33100L18getri_kernel_smallILi13E19rocblas_complex_numIdEPS3_EEvT1_iilPiilS6_bb
	.p2align	8
	.type	_ZN9rocsolver6v33100L18getri_kernel_smallILi13E19rocblas_complex_numIdEPS3_EEvT1_iilPiilS6_bb,@function
_ZN9rocsolver6v33100L18getri_kernel_smallILi13E19rocblas_complex_numIdEPS3_EEvT1_iilPiilS6_bb: ; @_ZN9rocsolver6v33100L18getri_kernel_smallILi13E19rocblas_complex_numIdEPS3_EEvT1_iilPiilS6_bb
; %bb.0:
	v_and_b32_e32 v39, 0x3ff, v0
	s_mov_b32 s4, exec_lo
	s_delay_alu instid0(VALU_DEP_1)
	v_cmpx_gt_u32_e32 13, v39
	s_cbranch_execz .LBB12_66
; %bb.1:
	s_clause 0x2
	s_load_b32 s8, s[2:3], 0x38
	s_load_b128 s[12:15], s[2:3], 0x10
	s_load_b128 s[4:7], s[2:3], 0x28
	s_mov_b32 s18, ttmp9
                                        ; implicit-def: $sgpr16_sgpr17
	s_wait_kmcnt 0x0
	s_bitcmp1_b32 s8, 8
	s_cselect_b32 s20, -1, 0
	s_bfe_u32 s8, s8, 0x10008
	s_ashr_i32 s19, ttmp9, 31
	s_cmp_eq_u32 s8, 0
	s_cbranch_scc1 .LBB12_3
; %bb.2:
	s_load_b32 s8, s[2:3], 0x20
	s_mul_u64 s[4:5], s[4:5], s[18:19]
	s_delay_alu instid0(SALU_CYCLE_1) | instskip(NEXT) | instid1(SALU_CYCLE_1)
	s_lshl_b64 s[4:5], s[4:5], 2
	s_add_nc_u64 s[4:5], s[14:15], s[4:5]
	s_wait_kmcnt 0x0
	s_ashr_i32 s9, s8, 31
	s_delay_alu instid0(SALU_CYCLE_1) | instskip(NEXT) | instid1(SALU_CYCLE_1)
	s_lshl_b64 s[8:9], s[8:9], 2
	s_add_nc_u64 s[16:17], s[4:5], s[8:9]
.LBB12_3:
	s_clause 0x1
	s_load_b128 s[8:11], s[2:3], 0x0
	s_load_b32 s23, s[2:3], 0x38
	s_mul_u64 s[2:3], s[12:13], s[18:19]
	v_lshlrev_b32_e32 v40, 4, v39
	s_lshl_b64 s[2:3], s[2:3], 4
	s_movk_i32 s12, 0x60
	s_movk_i32 s14, 0x80
	;; [unrolled: 1-line block ×6, first 2 shown]
	s_wait_kmcnt 0x0
	v_add3_u32 v5, s11, s11, v39
	s_ashr_i32 s5, s10, 31
	s_mov_b32 s4, s10
	s_add_nc_u64 s[2:3], s[8:9], s[2:3]
	s_lshl_b64 s[4:5], s[4:5], 4
	v_add_nc_u32_e32 v7, s11, v5
	v_ashrrev_i32_e32 v6, 31, v5
	s_add_nc_u64 s[2:3], s[2:3], s[4:5]
	s_ashr_i32 s9, s11, 31
	v_add_co_u32 v13, s4, s2, v40
	v_add_nc_u32_e32 v9, s11, v7
	s_mov_b32 s8, s11
	v_lshlrev_b64_e32 v[5:6], 4, v[5:6]
	v_add_co_ci_u32_e64 v14, null, s3, 0, s4
	s_delay_alu instid0(VALU_DEP_3)
	v_add_nc_u32_e32 v23, s11, v9
	v_ashrrev_i32_e32 v8, 31, v7
	s_lshl_b64 s[8:9], s[8:9], 4
	v_ashrrev_i32_e32 v10, 31, v9
	v_add_co_u32 v15, vcc_lo, v13, s8
	v_add_nc_u32_e32 v25, s11, v23
	v_ashrrev_i32_e32 v24, 31, v23
	v_add_co_ci_u32_e64 v16, null, s9, v14, vcc_lo
	v_lshlrev_b64_e32 v[7:8], 4, v[7:8]
	s_delay_alu instid0(VALU_DEP_4)
	v_add_nc_u32_e32 v28, s11, v25
	v_add_co_u32 v17, vcc_lo, s2, v5
	v_ashrrev_i32_e32 v26, 31, v25
	s_wait_alu 0xfffd
	v_add_co_ci_u32_e64 v18, null, s3, v6, vcc_lo
	v_lshlrev_b64_e32 v[5:6], 4, v[9:10]
	v_lshlrev_b64_e32 v[23:24], 4, v[23:24]
	v_add_nc_u32_e32 v30, s11, v28
	v_add_co_u32 v19, vcc_lo, s2, v7
	v_lshlrev_b64_e32 v[26:27], 4, v[25:26]
	s_wait_alu 0xfffd
	v_add_co_ci_u32_e64 v20, null, s3, v8, vcc_lo
	v_add_co_u32 v21, vcc_lo, s2, v5
	v_ashrrev_i32_e32 v29, 31, v28
	v_ashrrev_i32_e32 v31, 31, v30
	v_add_nc_u32_e32 v32, s11, v30
	s_wait_alu 0xfffd
	v_add_co_ci_u32_e64 v22, null, s3, v6, vcc_lo
	v_add_co_u32 v23, vcc_lo, s2, v23
	s_wait_alu 0xfffd
	v_add_co_ci_u32_e64 v24, null, s3, v24, vcc_lo
	v_add_co_u32 v25, vcc_lo, s2, v26
	s_wait_alu 0xfffd
	v_add_co_ci_u32_e64 v26, null, s3, v27, vcc_lo
	v_lshlrev_b64_e32 v[27:28], 4, v[28:29]
	v_lshlrev_b64_e32 v[29:30], 4, v[30:31]
	v_ashrrev_i32_e32 v33, 31, v32
	v_add_nc_u32_e32 v31, s11, v32
	s_clause 0x2
	global_load_b128 v[1:4], v40, s[2:3]
	global_load_b128 v[5:8], v[15:16], off
	global_load_b128 v[9:12], v[17:18], off
	v_add_co_u32 v27, vcc_lo, s2, v27
	v_lshlrev_b64_e32 v[33:34], 4, v[32:33]
	v_ashrrev_i32_e32 v32, 31, v31
	v_add_nc_u32_e32 v37, s11, v31
	s_wait_alu 0xfffd
	v_add_co_ci_u32_e64 v28, null, s3, v28, vcc_lo
	v_add_co_u32 v29, vcc_lo, s2, v29
	v_lshlrev_b64_e32 v[35:36], 4, v[31:32]
	v_add_nc_u32_e32 v73, s11, v37
	v_ashrrev_i32_e32 v38, 31, v37
	s_wait_alu 0xfffd
	v_add_co_ci_u32_e64 v30, null, s3, v30, vcc_lo
	v_add_co_u32 v31, vcc_lo, s2, v33
	v_ashrrev_i32_e32 v74, 31, v73
	s_wait_alu 0xfffd
	v_add_co_ci_u32_e64 v32, null, s3, v34, vcc_lo
	v_add_co_u32 v33, vcc_lo, s2, v35
	s_wait_alu 0xfffd
	v_add_co_ci_u32_e64 v34, null, s3, v36, vcc_lo
	v_lshlrev_b64_e32 v[35:36], 4, v[37:38]
	v_lshlrev_b64_e32 v[37:38], 4, v[73:74]
	s_clause 0x7
	global_load_b128 v[41:44], v[19:20], off
	global_load_b128 v[45:48], v[21:22], off
	;; [unrolled: 1-line block ×8, first 2 shown]
	s_mov_b32 s4, 16
	v_add_co_u32 v35, vcc_lo, s2, v35
	s_wait_alu 0xfffd
	v_add_co_ci_u32_e64 v36, null, s3, v36, vcc_lo
	v_add_co_u32 v37, vcc_lo, s2, v37
	s_wait_alu 0xfffd
	v_add_co_ci_u32_e64 v38, null, s3, v38, vcc_lo
	s_clause 0x1
	global_load_b128 v[73:76], v[35:36], off
	global_load_b128 v[77:80], v[37:38], off
	s_mov_b32 s8, 32
	s_mov_b32 s5, 48
	s_movk_i32 s9, 0x50
	s_mov_b32 s10, 64
	s_movk_i32 s11, 0x70
	s_bitcmp0_b32 s23, 0
	s_mov_b32 s3, -1
	s_wait_loadcnt 0xc
	scratch_store_b128 off, v[1:4], off
	s_wait_loadcnt 0xb
	scratch_store_b128 off, v[5:8], off offset:16
	s_wait_loadcnt 0xa
	scratch_store_b128 off, v[9:12], off offset:32
	;; [unrolled: 2-line block ×12, first 2 shown]
	s_cbranch_scc1 .LBB12_64
; %bb.4:
	v_cmp_eq_u32_e64 s2, 0, v39
	s_and_saveexec_b32 s3, s2
; %bb.5:
	v_mov_b32_e32 v1, 0
	ds_store_b32 v1, v1 offset:416
; %bb.6:
	s_wait_alu 0xfffe
	s_or_b32 exec_lo, exec_lo, s3
	s_wait_storecnt_dscnt 0x0
	s_barrier_signal -1
	s_barrier_wait -1
	global_inv scope:SCOPE_SE
	scratch_load_b128 v[1:4], v40, off
	s_wait_loadcnt 0x0
	v_cmp_eq_f64_e32 vcc_lo, 0, v[1:2]
	v_cmp_eq_f64_e64 s3, 0, v[3:4]
	s_and_b32 s3, vcc_lo, s3
	s_wait_alu 0xfffe
	s_and_saveexec_b32 s23, s3
	s_cbranch_execz .LBB12_10
; %bb.7:
	v_mov_b32_e32 v1, 0
	s_mov_b32 s24, 0
	ds_load_b32 v2, v1 offset:416
	s_wait_dscnt 0x0
	v_readfirstlane_b32 s3, v2
	v_add_nc_u32_e32 v2, 1, v39
	s_cmp_eq_u32 s3, 0
	s_delay_alu instid0(VALU_DEP_1) | instskip(SKIP_1) | instid1(SALU_CYCLE_1)
	v_cmp_gt_i32_e32 vcc_lo, s3, v2
	s_cselect_b32 s25, -1, 0
	s_or_b32 s25, s25, vcc_lo
	s_delay_alu instid0(SALU_CYCLE_1)
	s_and_b32 exec_lo, exec_lo, s25
	s_cbranch_execz .LBB12_10
; %bb.8:
	v_mov_b32_e32 v3, s3
.LBB12_9:                               ; =>This Inner Loop Header: Depth=1
	ds_cmpstore_rtn_b32 v3, v1, v2, v3 offset:416
	s_wait_dscnt 0x0
	v_cmp_ne_u32_e32 vcc_lo, 0, v3
	v_cmp_le_i32_e64 s3, v3, v2
	s_and_b32 s3, vcc_lo, s3
	s_wait_alu 0xfffe
	s_and_b32 s3, exec_lo, s3
	s_wait_alu 0xfffe
	s_or_b32 s24, s3, s24
	s_delay_alu instid0(SALU_CYCLE_1)
	s_and_not1_b32 exec_lo, exec_lo, s24
	s_cbranch_execnz .LBB12_9
.LBB12_10:
	s_or_b32 exec_lo, exec_lo, s23
	v_mov_b32_e32 v1, 0
	s_barrier_signal -1
	s_barrier_wait -1
	global_inv scope:SCOPE_SE
	ds_load_b32 v2, v1 offset:416
	s_and_saveexec_b32 s3, s2
	s_cbranch_execz .LBB12_12
; %bb.11:
	s_lshl_b64 s[24:25], s[18:19], 2
	s_delay_alu instid0(SALU_CYCLE_1)
	s_add_nc_u64 s[24:25], s[6:7], s[24:25]
	s_wait_dscnt 0x0
	global_store_b32 v1, v2, s[24:25]
.LBB12_12:
	s_wait_alu 0xfffe
	s_or_b32 exec_lo, exec_lo, s3
	s_wait_dscnt 0x0
	v_cmp_ne_u32_e32 vcc_lo, 0, v2
	s_mov_b32 s3, 0
	s_cbranch_vccnz .LBB12_64
; %bb.13:
	v_mov_b32_e32 v41, v40
                                        ; implicit-def: $vgpr1_vgpr2
                                        ; implicit-def: $vgpr9_vgpr10
	scratch_load_b128 v[5:8], v41, off
	s_wait_loadcnt 0x0
	v_cmp_ngt_f64_e64 s3, |v[5:6]|, |v[7:8]|
	s_wait_alu 0xfffe
	s_and_saveexec_b32 s23, s3
	s_delay_alu instid0(SALU_CYCLE_1)
	s_xor_b32 s3, exec_lo, s23
	s_cbranch_execz .LBB12_15
; %bb.14:
	v_div_scale_f64 v[1:2], null, v[7:8], v[7:8], v[5:6]
	v_div_scale_f64 v[11:12], vcc_lo, v[5:6], v[7:8], v[5:6]
	s_delay_alu instid0(VALU_DEP_2) | instskip(NEXT) | instid1(TRANS32_DEP_1)
	v_rcp_f64_e32 v[3:4], v[1:2]
	v_fma_f64 v[9:10], -v[1:2], v[3:4], 1.0
	s_delay_alu instid0(VALU_DEP_1) | instskip(NEXT) | instid1(VALU_DEP_1)
	v_fma_f64 v[3:4], v[3:4], v[9:10], v[3:4]
	v_fma_f64 v[9:10], -v[1:2], v[3:4], 1.0
	s_delay_alu instid0(VALU_DEP_1) | instskip(NEXT) | instid1(VALU_DEP_1)
	v_fma_f64 v[3:4], v[3:4], v[9:10], v[3:4]
	v_mul_f64_e32 v[9:10], v[11:12], v[3:4]
	s_delay_alu instid0(VALU_DEP_1) | instskip(SKIP_1) | instid1(VALU_DEP_1)
	v_fma_f64 v[1:2], -v[1:2], v[9:10], v[11:12]
	s_wait_alu 0xfffd
	v_div_fmas_f64 v[1:2], v[1:2], v[3:4], v[9:10]
	s_delay_alu instid0(VALU_DEP_1) | instskip(NEXT) | instid1(VALU_DEP_1)
	v_div_fixup_f64 v[1:2], v[1:2], v[7:8], v[5:6]
	v_fma_f64 v[3:4], v[5:6], v[1:2], v[7:8]
	s_delay_alu instid0(VALU_DEP_1) | instskip(SKIP_1) | instid1(VALU_DEP_2)
	v_div_scale_f64 v[5:6], null, v[3:4], v[3:4], 1.0
	v_div_scale_f64 v[11:12], vcc_lo, 1.0, v[3:4], 1.0
	v_rcp_f64_e32 v[7:8], v[5:6]
	s_delay_alu instid0(TRANS32_DEP_1) | instskip(NEXT) | instid1(VALU_DEP_1)
	v_fma_f64 v[9:10], -v[5:6], v[7:8], 1.0
	v_fma_f64 v[7:8], v[7:8], v[9:10], v[7:8]
	s_delay_alu instid0(VALU_DEP_1) | instskip(NEXT) | instid1(VALU_DEP_1)
	v_fma_f64 v[9:10], -v[5:6], v[7:8], 1.0
	v_fma_f64 v[7:8], v[7:8], v[9:10], v[7:8]
	s_delay_alu instid0(VALU_DEP_1) | instskip(NEXT) | instid1(VALU_DEP_1)
	v_mul_f64_e32 v[9:10], v[11:12], v[7:8]
	v_fma_f64 v[5:6], -v[5:6], v[9:10], v[11:12]
	s_wait_alu 0xfffd
	s_delay_alu instid0(VALU_DEP_1) | instskip(NEXT) | instid1(VALU_DEP_1)
	v_div_fmas_f64 v[5:6], v[5:6], v[7:8], v[9:10]
	v_div_fixup_f64 v[3:4], v[5:6], v[3:4], 1.0
                                        ; implicit-def: $vgpr5_vgpr6
	s_delay_alu instid0(VALU_DEP_1) | instskip(SKIP_1) | instid1(VALU_DEP_2)
	v_mul_f64_e32 v[1:2], v[1:2], v[3:4]
	v_xor_b32_e32 v4, 0x80000000, v4
	v_xor_b32_e32 v10, 0x80000000, v2
	s_delay_alu instid0(VALU_DEP_3)
	v_mov_b32_e32 v9, v1
.LBB12_15:
	s_wait_alu 0xfffe
	s_and_not1_saveexec_b32 s3, s3
	s_cbranch_execz .LBB12_17
; %bb.16:
	v_div_scale_f64 v[1:2], null, v[5:6], v[5:6], v[7:8]
	v_div_scale_f64 v[11:12], vcc_lo, v[7:8], v[5:6], v[7:8]
	s_delay_alu instid0(VALU_DEP_2) | instskip(NEXT) | instid1(TRANS32_DEP_1)
	v_rcp_f64_e32 v[3:4], v[1:2]
	v_fma_f64 v[9:10], -v[1:2], v[3:4], 1.0
	s_delay_alu instid0(VALU_DEP_1) | instskip(NEXT) | instid1(VALU_DEP_1)
	v_fma_f64 v[3:4], v[3:4], v[9:10], v[3:4]
	v_fma_f64 v[9:10], -v[1:2], v[3:4], 1.0
	s_delay_alu instid0(VALU_DEP_1) | instskip(NEXT) | instid1(VALU_DEP_1)
	v_fma_f64 v[3:4], v[3:4], v[9:10], v[3:4]
	v_mul_f64_e32 v[9:10], v[11:12], v[3:4]
	s_delay_alu instid0(VALU_DEP_1) | instskip(SKIP_1) | instid1(VALU_DEP_1)
	v_fma_f64 v[1:2], -v[1:2], v[9:10], v[11:12]
	s_wait_alu 0xfffd
	v_div_fmas_f64 v[1:2], v[1:2], v[3:4], v[9:10]
	s_delay_alu instid0(VALU_DEP_1) | instskip(NEXT) | instid1(VALU_DEP_1)
	v_div_fixup_f64 v[3:4], v[1:2], v[5:6], v[7:8]
	v_fma_f64 v[1:2], v[7:8], v[3:4], v[5:6]
	s_delay_alu instid0(VALU_DEP_1) | instskip(NEXT) | instid1(VALU_DEP_1)
	v_div_scale_f64 v[5:6], null, v[1:2], v[1:2], 1.0
	v_rcp_f64_e32 v[7:8], v[5:6]
	s_delay_alu instid0(TRANS32_DEP_1) | instskip(NEXT) | instid1(VALU_DEP_1)
	v_fma_f64 v[9:10], -v[5:6], v[7:8], 1.0
	v_fma_f64 v[7:8], v[7:8], v[9:10], v[7:8]
	s_delay_alu instid0(VALU_DEP_1) | instskip(NEXT) | instid1(VALU_DEP_1)
	v_fma_f64 v[9:10], -v[5:6], v[7:8], 1.0
	v_fma_f64 v[7:8], v[7:8], v[9:10], v[7:8]
	v_div_scale_f64 v[9:10], vcc_lo, 1.0, v[1:2], 1.0
	s_delay_alu instid0(VALU_DEP_1) | instskip(NEXT) | instid1(VALU_DEP_1)
	v_mul_f64_e32 v[11:12], v[9:10], v[7:8]
	v_fma_f64 v[5:6], -v[5:6], v[11:12], v[9:10]
	s_wait_alu 0xfffd
	s_delay_alu instid0(VALU_DEP_1) | instskip(NEXT) | instid1(VALU_DEP_1)
	v_div_fmas_f64 v[5:6], v[5:6], v[7:8], v[11:12]
	v_div_fixup_f64 v[1:2], v[5:6], v[1:2], 1.0
	s_delay_alu instid0(VALU_DEP_1)
	v_mul_f64_e64 v[3:4], v[3:4], -v[1:2]
	v_xor_b32_e32 v10, 0x80000000, v2
	v_mov_b32_e32 v9, v1
.LBB12_17:
	s_wait_alu 0xfffe
	s_or_b32 exec_lo, exec_lo, s3
	scratch_store_b128 v41, v[1:4], off
	scratch_load_b128 v[42:45], off, s4
	v_xor_b32_e32 v12, 0x80000000, v4
	v_mov_b32_e32 v11, v3
	v_add_nc_u32_e32 v5, 0xd0, v40
	ds_store_b128 v40, v[9:12]
	s_wait_loadcnt 0x0
	ds_store_b128 v40, v[42:45] offset:208
	s_wait_storecnt_dscnt 0x0
	s_barrier_signal -1
	s_barrier_wait -1
	global_inv scope:SCOPE_SE
	s_and_saveexec_b32 s3, s2
	s_cbranch_execz .LBB12_19
; %bb.18:
	scratch_load_b128 v[1:4], v41, off
	ds_load_b128 v[6:9], v5
	v_mov_b32_e32 v10, 0
	ds_load_b128 v[42:45], v10 offset:16
	s_wait_loadcnt_dscnt 0x1
	v_mul_f64_e32 v[10:11], v[6:7], v[3:4]
	v_mul_f64_e32 v[3:4], v[8:9], v[3:4]
	s_delay_alu instid0(VALU_DEP_2) | instskip(NEXT) | instid1(VALU_DEP_2)
	v_fma_f64 v[8:9], v[8:9], v[1:2], v[10:11]
	v_fma_f64 v[1:2], v[6:7], v[1:2], -v[3:4]
	s_delay_alu instid0(VALU_DEP_2) | instskip(NEXT) | instid1(VALU_DEP_2)
	v_add_f64_e32 v[3:4], 0, v[8:9]
	v_add_f64_e32 v[1:2], 0, v[1:2]
	s_wait_dscnt 0x0
	s_delay_alu instid0(VALU_DEP_2) | instskip(NEXT) | instid1(VALU_DEP_2)
	v_mul_f64_e32 v[6:7], v[3:4], v[44:45]
	v_mul_f64_e32 v[8:9], v[1:2], v[44:45]
	s_delay_alu instid0(VALU_DEP_2) | instskip(NEXT) | instid1(VALU_DEP_2)
	v_fma_f64 v[1:2], v[1:2], v[42:43], -v[6:7]
	v_fma_f64 v[3:4], v[3:4], v[42:43], v[8:9]
	scratch_store_b128 off, v[1:4], off offset:16
.LBB12_19:
	s_wait_alu 0xfffe
	s_or_b32 exec_lo, exec_lo, s3
	s_wait_loadcnt 0x0
	s_wait_storecnt 0x0
	s_barrier_signal -1
	s_barrier_wait -1
	global_inv scope:SCOPE_SE
	scratch_load_b128 v[1:4], off, s8
	s_mov_b32 s3, exec_lo
	s_wait_loadcnt 0x0
	ds_store_b128 v5, v[1:4]
	s_wait_dscnt 0x0
	s_barrier_signal -1
	s_barrier_wait -1
	global_inv scope:SCOPE_SE
	v_cmpx_gt_u32_e32 2, v39
	s_cbranch_execz .LBB12_23
; %bb.20:
	scratch_load_b128 v[1:4], v41, off
	ds_load_b128 v[6:9], v5
	s_wait_loadcnt_dscnt 0x0
	v_mul_f64_e32 v[10:11], v[8:9], v[3:4]
	v_mul_f64_e32 v[3:4], v[6:7], v[3:4]
	s_delay_alu instid0(VALU_DEP_2) | instskip(NEXT) | instid1(VALU_DEP_2)
	v_fma_f64 v[6:7], v[6:7], v[1:2], -v[10:11]
	v_fma_f64 v[3:4], v[8:9], v[1:2], v[3:4]
	s_delay_alu instid0(VALU_DEP_2) | instskip(NEXT) | instid1(VALU_DEP_2)
	v_add_f64_e32 v[1:2], 0, v[6:7]
	v_add_f64_e32 v[3:4], 0, v[3:4]
	s_and_saveexec_b32 s23, s2
	s_cbranch_execz .LBB12_22
; %bb.21:
	scratch_load_b128 v[6:9], off, off offset:16
	v_mov_b32_e32 v10, 0
	ds_load_b128 v[42:45], v10 offset:224
	s_wait_loadcnt_dscnt 0x0
	v_mul_f64_e32 v[10:11], v[42:43], v[8:9]
	v_mul_f64_e32 v[8:9], v[44:45], v[8:9]
	s_delay_alu instid0(VALU_DEP_2) | instskip(NEXT) | instid1(VALU_DEP_2)
	v_fma_f64 v[10:11], v[44:45], v[6:7], v[10:11]
	v_fma_f64 v[6:7], v[42:43], v[6:7], -v[8:9]
	s_delay_alu instid0(VALU_DEP_2) | instskip(NEXT) | instid1(VALU_DEP_2)
	v_add_f64_e32 v[3:4], v[3:4], v[10:11]
	v_add_f64_e32 v[1:2], v[1:2], v[6:7]
.LBB12_22:
	s_or_b32 exec_lo, exec_lo, s23
	v_mov_b32_e32 v6, 0
	ds_load_b128 v[6:9], v6 offset:32
	s_wait_dscnt 0x0
	v_mul_f64_e32 v[10:11], v[3:4], v[8:9]
	v_mul_f64_e32 v[8:9], v[1:2], v[8:9]
	s_delay_alu instid0(VALU_DEP_2) | instskip(NEXT) | instid1(VALU_DEP_2)
	v_fma_f64 v[1:2], v[1:2], v[6:7], -v[10:11]
	v_fma_f64 v[3:4], v[3:4], v[6:7], v[8:9]
	scratch_store_b128 off, v[1:4], off offset:32
.LBB12_23:
	s_wait_alu 0xfffe
	s_or_b32 exec_lo, exec_lo, s3
	s_wait_loadcnt 0x0
	s_wait_storecnt 0x0
	s_barrier_signal -1
	s_barrier_wait -1
	global_inv scope:SCOPE_SE
	scratch_load_b128 v[1:4], off, s5
	v_add_nc_u32_e32 v6, -1, v39
	s_mov_b32 s2, exec_lo
	s_wait_loadcnt 0x0
	ds_store_b128 v5, v[1:4]
	s_wait_dscnt 0x0
	s_barrier_signal -1
	s_barrier_wait -1
	global_inv scope:SCOPE_SE
	v_cmpx_gt_u32_e32 3, v39
	s_cbranch_execz .LBB12_27
; %bb.24:
	v_dual_mov_b32 v1, 0 :: v_dual_add_nc_u32 v8, 0xd0, v40
	v_mov_b32_e32 v3, 0
	v_dual_mov_b32 v2, 0 :: v_dual_add_nc_u32 v7, -1, v39
	v_mov_b32_e32 v4, 0
	v_or_b32_e32 v9, 8, v41
	s_mov_b32 s3, 0
.LBB12_25:                              ; =>This Inner Loop Header: Depth=1
	scratch_load_b128 v[42:45], v9, off offset:-8
	ds_load_b128 v[46:49], v8
	v_add_nc_u32_e32 v7, 1, v7
	v_add_nc_u32_e32 v8, 16, v8
	v_add_nc_u32_e32 v9, 16, v9
	s_delay_alu instid0(VALU_DEP_3)
	v_cmp_lt_u32_e32 vcc_lo, 1, v7
	s_wait_alu 0xfffe
	s_or_b32 s3, vcc_lo, s3
	s_wait_loadcnt_dscnt 0x0
	v_mul_f64_e32 v[10:11], v[48:49], v[44:45]
	v_mul_f64_e32 v[44:45], v[46:47], v[44:45]
	s_delay_alu instid0(VALU_DEP_2) | instskip(NEXT) | instid1(VALU_DEP_2)
	v_fma_f64 v[10:11], v[46:47], v[42:43], -v[10:11]
	v_fma_f64 v[42:43], v[48:49], v[42:43], v[44:45]
	s_delay_alu instid0(VALU_DEP_2) | instskip(NEXT) | instid1(VALU_DEP_2)
	v_add_f64_e32 v[3:4], v[3:4], v[10:11]
	v_add_f64_e32 v[1:2], v[1:2], v[42:43]
	s_wait_alu 0xfffe
	s_and_not1_b32 exec_lo, exec_lo, s3
	s_cbranch_execnz .LBB12_25
; %bb.26:
	s_or_b32 exec_lo, exec_lo, s3
	v_mov_b32_e32 v7, 0
	ds_load_b128 v[7:10], v7 offset:48
	s_wait_dscnt 0x0
	v_mul_f64_e32 v[11:12], v[1:2], v[9:10]
	v_mul_f64_e32 v[42:43], v[3:4], v[9:10]
	s_delay_alu instid0(VALU_DEP_2) | instskip(NEXT) | instid1(VALU_DEP_2)
	v_fma_f64 v[9:10], v[3:4], v[7:8], -v[11:12]
	v_fma_f64 v[11:12], v[1:2], v[7:8], v[42:43]
	scratch_store_b128 off, v[9:12], off offset:48
.LBB12_27:
	s_wait_alu 0xfffe
	s_or_b32 exec_lo, exec_lo, s2
	s_wait_loadcnt 0x0
	s_wait_storecnt 0x0
	s_barrier_signal -1
	s_barrier_wait -1
	global_inv scope:SCOPE_SE
	scratch_load_b128 v[1:4], off, s10
	s_mov_b32 s2, exec_lo
	s_wait_loadcnt 0x0
	ds_store_b128 v5, v[1:4]
	s_wait_dscnt 0x0
	s_barrier_signal -1
	s_barrier_wait -1
	global_inv scope:SCOPE_SE
	v_cmpx_gt_u32_e32 4, v39
	s_cbranch_execz .LBB12_31
; %bb.28:
	v_dual_mov_b32 v1, 0 :: v_dual_add_nc_u32 v8, 0xd0, v40
	v_mov_b32_e32 v3, 0
	v_dual_mov_b32 v2, 0 :: v_dual_add_nc_u32 v7, -1, v39
	v_mov_b32_e32 v4, 0
	v_or_b32_e32 v9, 8, v41
	s_mov_b32 s3, 0
.LBB12_29:                              ; =>This Inner Loop Header: Depth=1
	scratch_load_b128 v[42:45], v9, off offset:-8
	ds_load_b128 v[46:49], v8
	v_add_nc_u32_e32 v7, 1, v7
	v_add_nc_u32_e32 v8, 16, v8
	v_add_nc_u32_e32 v9, 16, v9
	s_delay_alu instid0(VALU_DEP_3)
	v_cmp_lt_u32_e32 vcc_lo, 2, v7
	s_wait_alu 0xfffe
	s_or_b32 s3, vcc_lo, s3
	s_wait_loadcnt_dscnt 0x0
	v_mul_f64_e32 v[10:11], v[48:49], v[44:45]
	v_mul_f64_e32 v[44:45], v[46:47], v[44:45]
	s_delay_alu instid0(VALU_DEP_2) | instskip(NEXT) | instid1(VALU_DEP_2)
	v_fma_f64 v[10:11], v[46:47], v[42:43], -v[10:11]
	v_fma_f64 v[42:43], v[48:49], v[42:43], v[44:45]
	s_delay_alu instid0(VALU_DEP_2) | instskip(NEXT) | instid1(VALU_DEP_2)
	v_add_f64_e32 v[3:4], v[3:4], v[10:11]
	v_add_f64_e32 v[1:2], v[1:2], v[42:43]
	s_wait_alu 0xfffe
	s_and_not1_b32 exec_lo, exec_lo, s3
	s_cbranch_execnz .LBB12_29
; %bb.30:
	s_or_b32 exec_lo, exec_lo, s3
	v_mov_b32_e32 v7, 0
	ds_load_b128 v[7:10], v7 offset:64
	s_wait_dscnt 0x0
	v_mul_f64_e32 v[11:12], v[1:2], v[9:10]
	v_mul_f64_e32 v[42:43], v[3:4], v[9:10]
	s_delay_alu instid0(VALU_DEP_2) | instskip(NEXT) | instid1(VALU_DEP_2)
	v_fma_f64 v[9:10], v[3:4], v[7:8], -v[11:12]
	v_fma_f64 v[11:12], v[1:2], v[7:8], v[42:43]
	scratch_store_b128 off, v[9:12], off offset:64
.LBB12_31:
	s_wait_alu 0xfffe
	s_or_b32 exec_lo, exec_lo, s2
	s_wait_loadcnt 0x0
	s_wait_storecnt 0x0
	s_barrier_signal -1
	s_barrier_wait -1
	global_inv scope:SCOPE_SE
	scratch_load_b128 v[1:4], off, s9
	;; [unrolled: 58-line block ×9, first 2 shown]
	s_mov_b32 s2, exec_lo
	s_wait_loadcnt 0x0
	ds_store_b128 v5, v[1:4]
	s_wait_dscnt 0x0
	s_barrier_signal -1
	s_barrier_wait -1
	global_inv scope:SCOPE_SE
	v_cmpx_ne_u32_e32 12, v39
	s_cbranch_execz .LBB12_63
; %bb.60:
	v_mov_b32_e32 v1, 0
	v_dual_mov_b32 v2, 0 :: v_dual_mov_b32 v3, 0
	v_mov_b32_e32 v4, 0
	v_or_b32_e32 v7, 8, v41
	s_mov_b32 s3, 0
.LBB12_61:                              ; =>This Inner Loop Header: Depth=1
	scratch_load_b128 v[8:11], v7, off offset:-8
	ds_load_b128 v[40:43], v5
	v_add_nc_u32_e32 v6, 1, v6
	v_add_nc_u32_e32 v5, 16, v5
	;; [unrolled: 1-line block ×3, first 2 shown]
	s_delay_alu instid0(VALU_DEP_3)
	v_cmp_lt_u32_e32 vcc_lo, 10, v6
	s_wait_alu 0xfffe
	s_or_b32 s3, vcc_lo, s3
	s_wait_loadcnt_dscnt 0x0
	v_mul_f64_e32 v[44:45], v[42:43], v[10:11]
	v_mul_f64_e32 v[10:11], v[40:41], v[10:11]
	s_delay_alu instid0(VALU_DEP_2) | instskip(NEXT) | instid1(VALU_DEP_2)
	v_fma_f64 v[40:41], v[40:41], v[8:9], -v[44:45]
	v_fma_f64 v[8:9], v[42:43], v[8:9], v[10:11]
	s_delay_alu instid0(VALU_DEP_2) | instskip(NEXT) | instid1(VALU_DEP_2)
	v_add_f64_e32 v[3:4], v[3:4], v[40:41]
	v_add_f64_e32 v[1:2], v[1:2], v[8:9]
	s_wait_alu 0xfffe
	s_and_not1_b32 exec_lo, exec_lo, s3
	s_cbranch_execnz .LBB12_61
; %bb.62:
	s_or_b32 exec_lo, exec_lo, s3
	v_mov_b32_e32 v5, 0
	ds_load_b128 v[5:8], v5 offset:192
	s_wait_dscnt 0x0
	v_mul_f64_e32 v[9:10], v[1:2], v[7:8]
	v_mul_f64_e32 v[7:8], v[3:4], v[7:8]
	s_delay_alu instid0(VALU_DEP_2) | instskip(NEXT) | instid1(VALU_DEP_2)
	v_fma_f64 v[3:4], v[3:4], v[5:6], -v[9:10]
	v_fma_f64 v[5:6], v[1:2], v[5:6], v[7:8]
	scratch_store_b128 off, v[3:6], off offset:192
.LBB12_63:
	s_wait_alu 0xfffe
	s_or_b32 exec_lo, exec_lo, s2
	s_mov_b32 s3, -1
	s_wait_loadcnt 0x0
	s_wait_storecnt 0x0
	s_barrier_signal -1
	s_barrier_wait -1
	global_inv scope:SCOPE_SE
.LBB12_64:
	s_wait_alu 0xfffe
	s_and_b32 vcc_lo, exec_lo, s3
	s_wait_alu 0xfffe
	s_cbranch_vccz .LBB12_66
; %bb.65:
	v_mov_b32_e32 v1, 0
	s_lshl_b64 s[2:3], s[18:19], 2
	s_wait_alu 0xfffe
	s_add_nc_u64 s[2:3], s[6:7], s[2:3]
	global_load_b32 v1, v1, s[2:3]
	s_wait_loadcnt 0x0
	v_cmp_ne_u32_e32 vcc_lo, 0, v1
	s_cbranch_vccz .LBB12_67
.LBB12_66:
	s_endpgm
.LBB12_67:
	v_lshl_add_u32 v5, v39, 4, 0xd0
	s_mov_b32 s2, exec_lo
	v_cmpx_eq_u32_e32 12, v39
	s_cbranch_execz .LBB12_69
; %bb.68:
	scratch_load_b128 v[1:4], off, s15
	v_mov_b32_e32 v6, 0
	s_delay_alu instid0(VALU_DEP_1)
	v_dual_mov_b32 v7, v6 :: v_dual_mov_b32 v8, v6
	v_mov_b32_e32 v9, v6
	scratch_store_b128 off, v[6:9], off offset:176
	s_wait_loadcnt 0x0
	ds_store_b128 v5, v[1:4]
.LBB12_69:
	s_wait_alu 0xfffe
	s_or_b32 exec_lo, exec_lo, s2
	s_wait_storecnt_dscnt 0x0
	s_barrier_signal -1
	s_barrier_wait -1
	global_inv scope:SCOPE_SE
	s_clause 0x1
	scratch_load_b128 v[6:9], off, off offset:192
	scratch_load_b128 v[40:43], off, off offset:176
	v_mov_b32_e32 v1, 0
	s_mov_b32 s2, exec_lo
	ds_load_b128 v[44:47], v1 offset:400
	s_wait_loadcnt_dscnt 0x100
	v_mul_f64_e32 v[2:3], v[46:47], v[8:9]
	v_mul_f64_e32 v[8:9], v[44:45], v[8:9]
	s_delay_alu instid0(VALU_DEP_2) | instskip(NEXT) | instid1(VALU_DEP_2)
	v_fma_f64 v[2:3], v[44:45], v[6:7], -v[2:3]
	v_fma_f64 v[6:7], v[46:47], v[6:7], v[8:9]
	s_delay_alu instid0(VALU_DEP_2) | instskip(NEXT) | instid1(VALU_DEP_2)
	v_add_f64_e32 v[2:3], 0, v[2:3]
	v_add_f64_e32 v[8:9], 0, v[6:7]
	s_wait_loadcnt 0x0
	s_delay_alu instid0(VALU_DEP_2) | instskip(NEXT) | instid1(VALU_DEP_2)
	v_add_f64_e64 v[6:7], v[40:41], -v[2:3]
	v_add_f64_e64 v[8:9], v[42:43], -v[8:9]
	scratch_store_b128 off, v[6:9], off offset:176
	v_cmpx_lt_u32_e32 10, v39
	s_cbranch_execz .LBB12_71
; %bb.70:
	scratch_load_b128 v[6:9], off, s21
	v_dual_mov_b32 v2, v1 :: v_dual_mov_b32 v3, v1
	v_mov_b32_e32 v4, v1
	scratch_store_b128 off, v[1:4], off offset:160
	s_wait_loadcnt 0x0
	ds_store_b128 v5, v[6:9]
.LBB12_71:
	s_wait_alu 0xfffe
	s_or_b32 exec_lo, exec_lo, s2
	s_wait_storecnt_dscnt 0x0
	s_barrier_signal -1
	s_barrier_wait -1
	global_inv scope:SCOPE_SE
	s_clause 0x2
	scratch_load_b128 v[6:9], off, off offset:176
	scratch_load_b128 v[40:43], off, off offset:192
	scratch_load_b128 v[44:47], off, off offset:160
	ds_load_b128 v[48:51], v1 offset:384
	ds_load_b128 v[1:4], v1 offset:400
	s_mov_b32 s2, exec_lo
	s_wait_loadcnt_dscnt 0x201
	v_mul_f64_e32 v[10:11], v[50:51], v[8:9]
	v_mul_f64_e32 v[8:9], v[48:49], v[8:9]
	s_wait_loadcnt_dscnt 0x100
	v_mul_f64_e32 v[52:53], v[1:2], v[42:43]
	v_mul_f64_e32 v[42:43], v[3:4], v[42:43]
	s_delay_alu instid0(VALU_DEP_4) | instskip(NEXT) | instid1(VALU_DEP_4)
	v_fma_f64 v[10:11], v[48:49], v[6:7], -v[10:11]
	v_fma_f64 v[6:7], v[50:51], v[6:7], v[8:9]
	s_delay_alu instid0(VALU_DEP_4) | instskip(NEXT) | instid1(VALU_DEP_4)
	v_fma_f64 v[3:4], v[3:4], v[40:41], v[52:53]
	v_fma_f64 v[1:2], v[1:2], v[40:41], -v[42:43]
	s_delay_alu instid0(VALU_DEP_4) | instskip(NEXT) | instid1(VALU_DEP_4)
	v_add_f64_e32 v[8:9], 0, v[10:11]
	v_add_f64_e32 v[6:7], 0, v[6:7]
	s_delay_alu instid0(VALU_DEP_2) | instskip(NEXT) | instid1(VALU_DEP_2)
	v_add_f64_e32 v[1:2], v[8:9], v[1:2]
	v_add_f64_e32 v[3:4], v[6:7], v[3:4]
	s_wait_loadcnt 0x0
	s_delay_alu instid0(VALU_DEP_2) | instskip(NEXT) | instid1(VALU_DEP_2)
	v_add_f64_e64 v[1:2], v[44:45], -v[1:2]
	v_add_f64_e64 v[3:4], v[46:47], -v[3:4]
	scratch_store_b128 off, v[1:4], off offset:160
	v_cmpx_lt_u32_e32 9, v39
	s_cbranch_execz .LBB12_73
; %bb.72:
	scratch_load_b128 v[1:4], off, s13
	v_mov_b32_e32 v6, 0
	s_delay_alu instid0(VALU_DEP_1)
	v_dual_mov_b32 v7, v6 :: v_dual_mov_b32 v8, v6
	v_mov_b32_e32 v9, v6
	scratch_store_b128 off, v[6:9], off offset:144
	s_wait_loadcnt 0x0
	ds_store_b128 v5, v[1:4]
.LBB12_73:
	s_wait_alu 0xfffe
	s_or_b32 exec_lo, exec_lo, s2
	s_wait_storecnt_dscnt 0x0
	s_barrier_signal -1
	s_barrier_wait -1
	global_inv scope:SCOPE_SE
	s_clause 0x3
	scratch_load_b128 v[6:9], off, off offset:160
	scratch_load_b128 v[40:43], off, off offset:176
	;; [unrolled: 1-line block ×4, first 2 shown]
	v_mov_b32_e32 v1, 0
	ds_load_b128 v[52:55], v1 offset:368
	ds_load_b128 v[56:59], v1 offset:384
	s_mov_b32 s2, exec_lo
	s_wait_loadcnt_dscnt 0x301
	v_mul_f64_e32 v[2:3], v[54:55], v[8:9]
	v_mul_f64_e32 v[8:9], v[52:53], v[8:9]
	s_wait_loadcnt_dscnt 0x200
	v_mul_f64_e32 v[10:11], v[56:57], v[42:43]
	v_mul_f64_e32 v[42:43], v[58:59], v[42:43]
	s_delay_alu instid0(VALU_DEP_4) | instskip(NEXT) | instid1(VALU_DEP_4)
	v_fma_f64 v[2:3], v[52:53], v[6:7], -v[2:3]
	v_fma_f64 v[52:53], v[54:55], v[6:7], v[8:9]
	ds_load_b128 v[6:9], v1 offset:400
	v_fma_f64 v[10:11], v[58:59], v[40:41], v[10:11]
	v_fma_f64 v[40:41], v[56:57], v[40:41], -v[42:43]
	s_wait_loadcnt_dscnt 0x100
	v_mul_f64_e32 v[54:55], v[6:7], v[46:47]
	v_mul_f64_e32 v[46:47], v[8:9], v[46:47]
	v_add_f64_e32 v[2:3], 0, v[2:3]
	v_add_f64_e32 v[42:43], 0, v[52:53]
	s_delay_alu instid0(VALU_DEP_4) | instskip(NEXT) | instid1(VALU_DEP_4)
	v_fma_f64 v[8:9], v[8:9], v[44:45], v[54:55]
	v_fma_f64 v[6:7], v[6:7], v[44:45], -v[46:47]
	s_delay_alu instid0(VALU_DEP_4) | instskip(NEXT) | instid1(VALU_DEP_4)
	v_add_f64_e32 v[2:3], v[2:3], v[40:41]
	v_add_f64_e32 v[10:11], v[42:43], v[10:11]
	s_delay_alu instid0(VALU_DEP_2) | instskip(NEXT) | instid1(VALU_DEP_2)
	v_add_f64_e32 v[2:3], v[2:3], v[6:7]
	v_add_f64_e32 v[8:9], v[10:11], v[8:9]
	s_wait_loadcnt 0x0
	s_delay_alu instid0(VALU_DEP_2) | instskip(NEXT) | instid1(VALU_DEP_2)
	v_add_f64_e64 v[6:7], v[48:49], -v[2:3]
	v_add_f64_e64 v[8:9], v[50:51], -v[8:9]
	scratch_store_b128 off, v[6:9], off offset:144
	v_cmpx_lt_u32_e32 8, v39
	s_cbranch_execz .LBB12_75
; %bb.74:
	scratch_load_b128 v[6:9], off, s14
	v_dual_mov_b32 v2, v1 :: v_dual_mov_b32 v3, v1
	v_mov_b32_e32 v4, v1
	scratch_store_b128 off, v[1:4], off offset:128
	s_wait_loadcnt 0x0
	ds_store_b128 v5, v[6:9]
.LBB12_75:
	s_wait_alu 0xfffe
	s_or_b32 exec_lo, exec_lo, s2
	s_wait_storecnt_dscnt 0x0
	s_barrier_signal -1
	s_barrier_wait -1
	global_inv scope:SCOPE_SE
	s_clause 0x4
	scratch_load_b128 v[6:9], off, off offset:144
	scratch_load_b128 v[40:43], off, off offset:160
	;; [unrolled: 1-line block ×5, first 2 shown]
	ds_load_b128 v[56:59], v1 offset:352
	ds_load_b128 v[60:63], v1 offset:368
	s_mov_b32 s2, exec_lo
	s_wait_loadcnt_dscnt 0x401
	v_mul_f64_e32 v[2:3], v[58:59], v[8:9]
	v_mul_f64_e32 v[8:9], v[56:57], v[8:9]
	s_wait_loadcnt_dscnt 0x300
	v_mul_f64_e32 v[10:11], v[60:61], v[42:43]
	v_mul_f64_e32 v[42:43], v[62:63], v[42:43]
	s_delay_alu instid0(VALU_DEP_4) | instskip(NEXT) | instid1(VALU_DEP_4)
	v_fma_f64 v[56:57], v[56:57], v[6:7], -v[2:3]
	v_fma_f64 v[58:59], v[58:59], v[6:7], v[8:9]
	ds_load_b128 v[6:9], v1 offset:384
	ds_load_b128 v[1:4], v1 offset:400
	v_fma_f64 v[10:11], v[62:63], v[40:41], v[10:11]
	v_fma_f64 v[40:41], v[60:61], v[40:41], -v[42:43]
	s_wait_loadcnt_dscnt 0x201
	v_mul_f64_e32 v[64:65], v[6:7], v[46:47]
	v_mul_f64_e32 v[46:47], v[8:9], v[46:47]
	v_add_f64_e32 v[42:43], 0, v[56:57]
	v_add_f64_e32 v[56:57], 0, v[58:59]
	s_wait_loadcnt_dscnt 0x100
	v_mul_f64_e32 v[58:59], v[1:2], v[50:51]
	v_mul_f64_e32 v[50:51], v[3:4], v[50:51]
	v_fma_f64 v[8:9], v[8:9], v[44:45], v[64:65]
	v_fma_f64 v[6:7], v[6:7], v[44:45], -v[46:47]
	v_add_f64_e32 v[40:41], v[42:43], v[40:41]
	v_add_f64_e32 v[10:11], v[56:57], v[10:11]
	v_fma_f64 v[3:4], v[3:4], v[48:49], v[58:59]
	v_fma_f64 v[1:2], v[1:2], v[48:49], -v[50:51]
	s_delay_alu instid0(VALU_DEP_4) | instskip(NEXT) | instid1(VALU_DEP_4)
	v_add_f64_e32 v[6:7], v[40:41], v[6:7]
	v_add_f64_e32 v[8:9], v[10:11], v[8:9]
	s_delay_alu instid0(VALU_DEP_2) | instskip(NEXT) | instid1(VALU_DEP_2)
	v_add_f64_e32 v[1:2], v[6:7], v[1:2]
	v_add_f64_e32 v[3:4], v[8:9], v[3:4]
	s_wait_loadcnt 0x0
	s_delay_alu instid0(VALU_DEP_2) | instskip(NEXT) | instid1(VALU_DEP_2)
	v_add_f64_e64 v[1:2], v[52:53], -v[1:2]
	v_add_f64_e64 v[3:4], v[54:55], -v[3:4]
	scratch_store_b128 off, v[1:4], off offset:128
	v_cmpx_lt_u32_e32 7, v39
	s_cbranch_execz .LBB12_77
; %bb.76:
	scratch_load_b128 v[1:4], off, s11
	v_mov_b32_e32 v6, 0
	s_delay_alu instid0(VALU_DEP_1)
	v_dual_mov_b32 v7, v6 :: v_dual_mov_b32 v8, v6
	v_mov_b32_e32 v9, v6
	scratch_store_b128 off, v[6:9], off offset:112
	s_wait_loadcnt 0x0
	ds_store_b128 v5, v[1:4]
.LBB12_77:
	s_wait_alu 0xfffe
	s_or_b32 exec_lo, exec_lo, s2
	s_wait_storecnt_dscnt 0x0
	s_barrier_signal -1
	s_barrier_wait -1
	global_inv scope:SCOPE_SE
	s_clause 0x5
	scratch_load_b128 v[6:9], off, off offset:128
	scratch_load_b128 v[40:43], off, off offset:144
	;; [unrolled: 1-line block ×6, first 2 shown]
	v_mov_b32_e32 v1, 0
	ds_load_b128 v[60:63], v1 offset:336
	ds_load_b128 v[64:67], v1 offset:352
	s_mov_b32 s2, exec_lo
	s_wait_loadcnt_dscnt 0x501
	v_mul_f64_e32 v[2:3], v[62:63], v[8:9]
	v_mul_f64_e32 v[8:9], v[60:61], v[8:9]
	s_wait_loadcnt_dscnt 0x400
	v_mul_f64_e32 v[10:11], v[64:65], v[42:43]
	v_mul_f64_e32 v[42:43], v[66:67], v[42:43]
	s_delay_alu instid0(VALU_DEP_4) | instskip(NEXT) | instid1(VALU_DEP_4)
	v_fma_f64 v[2:3], v[60:61], v[6:7], -v[2:3]
	v_fma_f64 v[68:69], v[62:63], v[6:7], v[8:9]
	ds_load_b128 v[6:9], v1 offset:368
	ds_load_b128 v[60:63], v1 offset:384
	v_fma_f64 v[10:11], v[66:67], v[40:41], v[10:11]
	v_fma_f64 v[40:41], v[64:65], v[40:41], -v[42:43]
	s_wait_loadcnt_dscnt 0x301
	v_mul_f64_e32 v[70:71], v[6:7], v[46:47]
	v_mul_f64_e32 v[46:47], v[8:9], v[46:47]
	s_wait_loadcnt_dscnt 0x200
	v_mul_f64_e32 v[64:65], v[60:61], v[50:51]
	v_mul_f64_e32 v[50:51], v[62:63], v[50:51]
	v_add_f64_e32 v[2:3], 0, v[2:3]
	v_add_f64_e32 v[42:43], 0, v[68:69]
	v_fma_f64 v[66:67], v[8:9], v[44:45], v[70:71]
	v_fma_f64 v[44:45], v[6:7], v[44:45], -v[46:47]
	ds_load_b128 v[6:9], v1 offset:400
	v_fma_f64 v[46:47], v[62:63], v[48:49], v[64:65]
	v_fma_f64 v[48:49], v[60:61], v[48:49], -v[50:51]
	v_add_f64_e32 v[2:3], v[2:3], v[40:41]
	v_add_f64_e32 v[10:11], v[42:43], v[10:11]
	s_wait_loadcnt_dscnt 0x100
	v_mul_f64_e32 v[40:41], v[6:7], v[54:55]
	v_mul_f64_e32 v[42:43], v[8:9], v[54:55]
	s_delay_alu instid0(VALU_DEP_4) | instskip(NEXT) | instid1(VALU_DEP_4)
	v_add_f64_e32 v[2:3], v[2:3], v[44:45]
	v_add_f64_e32 v[10:11], v[10:11], v[66:67]
	s_delay_alu instid0(VALU_DEP_4) | instskip(NEXT) | instid1(VALU_DEP_4)
	v_fma_f64 v[8:9], v[8:9], v[52:53], v[40:41]
	v_fma_f64 v[6:7], v[6:7], v[52:53], -v[42:43]
	s_delay_alu instid0(VALU_DEP_4) | instskip(NEXT) | instid1(VALU_DEP_4)
	v_add_f64_e32 v[2:3], v[2:3], v[48:49]
	v_add_f64_e32 v[10:11], v[10:11], v[46:47]
	s_delay_alu instid0(VALU_DEP_2) | instskip(NEXT) | instid1(VALU_DEP_2)
	v_add_f64_e32 v[2:3], v[2:3], v[6:7]
	v_add_f64_e32 v[8:9], v[10:11], v[8:9]
	s_wait_loadcnt 0x0
	s_delay_alu instid0(VALU_DEP_2) | instskip(NEXT) | instid1(VALU_DEP_2)
	v_add_f64_e64 v[6:7], v[56:57], -v[2:3]
	v_add_f64_e64 v[8:9], v[58:59], -v[8:9]
	scratch_store_b128 off, v[6:9], off offset:112
	v_cmpx_lt_u32_e32 6, v39
	s_cbranch_execz .LBB12_79
; %bb.78:
	scratch_load_b128 v[6:9], off, s12
	v_dual_mov_b32 v2, v1 :: v_dual_mov_b32 v3, v1
	v_mov_b32_e32 v4, v1
	scratch_store_b128 off, v[1:4], off offset:96
	s_wait_loadcnt 0x0
	ds_store_b128 v5, v[6:9]
.LBB12_79:
	s_wait_alu 0xfffe
	s_or_b32 exec_lo, exec_lo, s2
	s_wait_storecnt_dscnt 0x0
	s_barrier_signal -1
	s_barrier_wait -1
	global_inv scope:SCOPE_SE
	s_clause 0x5
	scratch_load_b128 v[6:9], off, off offset:112
	scratch_load_b128 v[40:43], off, off offset:128
	scratch_load_b128 v[44:47], off, off offset:144
	scratch_load_b128 v[48:51], off, off offset:160
	scratch_load_b128 v[52:55], off, off offset:176
	scratch_load_b128 v[56:59], off, off offset:192
	ds_load_b128 v[60:63], v1 offset:320
	ds_load_b128 v[68:71], v1 offset:336
	scratch_load_b128 v[64:67], off, off offset:96
	s_mov_b32 s2, exec_lo
	s_wait_loadcnt_dscnt 0x601
	v_mul_f64_e32 v[2:3], v[62:63], v[8:9]
	v_mul_f64_e32 v[8:9], v[60:61], v[8:9]
	s_wait_loadcnt_dscnt 0x500
	v_mul_f64_e32 v[10:11], v[68:69], v[42:43]
	v_mul_f64_e32 v[42:43], v[70:71], v[42:43]
	s_delay_alu instid0(VALU_DEP_4) | instskip(NEXT) | instid1(VALU_DEP_4)
	v_fma_f64 v[2:3], v[60:61], v[6:7], -v[2:3]
	v_fma_f64 v[72:73], v[62:63], v[6:7], v[8:9]
	ds_load_b128 v[6:9], v1 offset:352
	ds_load_b128 v[60:63], v1 offset:368
	v_fma_f64 v[10:11], v[70:71], v[40:41], v[10:11]
	v_fma_f64 v[40:41], v[68:69], v[40:41], -v[42:43]
	s_wait_loadcnt_dscnt 0x401
	v_mul_f64_e32 v[74:75], v[6:7], v[46:47]
	v_mul_f64_e32 v[46:47], v[8:9], v[46:47]
	s_wait_loadcnt_dscnt 0x300
	v_mul_f64_e32 v[68:69], v[60:61], v[50:51]
	v_mul_f64_e32 v[50:51], v[62:63], v[50:51]
	v_add_f64_e32 v[2:3], 0, v[2:3]
	v_add_f64_e32 v[42:43], 0, v[72:73]
	v_fma_f64 v[70:71], v[8:9], v[44:45], v[74:75]
	v_fma_f64 v[44:45], v[6:7], v[44:45], -v[46:47]
	s_delay_alu instid0(VALU_DEP_4) | instskip(NEXT) | instid1(VALU_DEP_4)
	v_add_f64_e32 v[40:41], v[2:3], v[40:41]
	v_add_f64_e32 v[10:11], v[42:43], v[10:11]
	ds_load_b128 v[6:9], v1 offset:384
	ds_load_b128 v[1:4], v1 offset:400
	s_wait_loadcnt_dscnt 0x201
	v_mul_f64_e32 v[42:43], v[6:7], v[54:55]
	v_mul_f64_e32 v[46:47], v[8:9], v[54:55]
	v_fma_f64 v[54:55], v[62:63], v[48:49], v[68:69]
	v_fma_f64 v[48:49], v[60:61], v[48:49], -v[50:51]
	s_wait_loadcnt_dscnt 0x100
	v_mul_f64_e32 v[50:51], v[3:4], v[58:59]
	v_add_f64_e32 v[40:41], v[40:41], v[44:45]
	v_add_f64_e32 v[10:11], v[10:11], v[70:71]
	v_mul_f64_e32 v[44:45], v[1:2], v[58:59]
	v_fma_f64 v[8:9], v[8:9], v[52:53], v[42:43]
	v_fma_f64 v[6:7], v[6:7], v[52:53], -v[46:47]
	v_fma_f64 v[1:2], v[1:2], v[56:57], -v[50:51]
	v_add_f64_e32 v[40:41], v[40:41], v[48:49]
	v_add_f64_e32 v[10:11], v[10:11], v[54:55]
	v_fma_f64 v[3:4], v[3:4], v[56:57], v[44:45]
	s_delay_alu instid0(VALU_DEP_3) | instskip(NEXT) | instid1(VALU_DEP_3)
	v_add_f64_e32 v[6:7], v[40:41], v[6:7]
	v_add_f64_e32 v[8:9], v[10:11], v[8:9]
	s_delay_alu instid0(VALU_DEP_2) | instskip(NEXT) | instid1(VALU_DEP_2)
	v_add_f64_e32 v[1:2], v[6:7], v[1:2]
	v_add_f64_e32 v[3:4], v[8:9], v[3:4]
	s_wait_loadcnt 0x0
	s_delay_alu instid0(VALU_DEP_2) | instskip(NEXT) | instid1(VALU_DEP_2)
	v_add_f64_e64 v[1:2], v[64:65], -v[1:2]
	v_add_f64_e64 v[3:4], v[66:67], -v[3:4]
	scratch_store_b128 off, v[1:4], off offset:96
	v_cmpx_lt_u32_e32 5, v39
	s_cbranch_execz .LBB12_81
; %bb.80:
	scratch_load_b128 v[1:4], off, s9
	v_mov_b32_e32 v6, 0
	s_delay_alu instid0(VALU_DEP_1)
	v_dual_mov_b32 v7, v6 :: v_dual_mov_b32 v8, v6
	v_mov_b32_e32 v9, v6
	scratch_store_b128 off, v[6:9], off offset:80
	s_wait_loadcnt 0x0
	ds_store_b128 v5, v[1:4]
.LBB12_81:
	s_wait_alu 0xfffe
	s_or_b32 exec_lo, exec_lo, s2
	s_wait_storecnt_dscnt 0x0
	s_barrier_signal -1
	s_barrier_wait -1
	global_inv scope:SCOPE_SE
	s_clause 0x6
	scratch_load_b128 v[6:9], off, off offset:96
	scratch_load_b128 v[40:43], off, off offset:112
	;; [unrolled: 1-line block ×7, first 2 shown]
	v_mov_b32_e32 v1, 0
	scratch_load_b128 v[68:71], off, off offset:80
	s_mov_b32 s2, exec_lo
	ds_load_b128 v[64:67], v1 offset:304
	ds_load_b128 v[72:75], v1 offset:320
	s_wait_loadcnt_dscnt 0x701
	v_mul_f64_e32 v[2:3], v[66:67], v[8:9]
	v_mul_f64_e32 v[8:9], v[64:65], v[8:9]
	s_wait_loadcnt_dscnt 0x600
	v_mul_f64_e32 v[10:11], v[72:73], v[42:43]
	v_mul_f64_e32 v[42:43], v[74:75], v[42:43]
	s_delay_alu instid0(VALU_DEP_4) | instskip(NEXT) | instid1(VALU_DEP_4)
	v_fma_f64 v[2:3], v[64:65], v[6:7], -v[2:3]
	v_fma_f64 v[76:77], v[66:67], v[6:7], v[8:9]
	ds_load_b128 v[6:9], v1 offset:336
	ds_load_b128 v[64:67], v1 offset:352
	v_fma_f64 v[10:11], v[74:75], v[40:41], v[10:11]
	v_fma_f64 v[40:41], v[72:73], v[40:41], -v[42:43]
	s_wait_loadcnt_dscnt 0x501
	v_mul_f64_e32 v[78:79], v[6:7], v[46:47]
	v_mul_f64_e32 v[46:47], v[8:9], v[46:47]
	s_wait_loadcnt_dscnt 0x400
	v_mul_f64_e32 v[72:73], v[64:65], v[50:51]
	v_mul_f64_e32 v[50:51], v[66:67], v[50:51]
	v_add_f64_e32 v[2:3], 0, v[2:3]
	v_add_f64_e32 v[42:43], 0, v[76:77]
	v_fma_f64 v[74:75], v[8:9], v[44:45], v[78:79]
	v_fma_f64 v[44:45], v[6:7], v[44:45], -v[46:47]
	v_fma_f64 v[66:67], v[66:67], v[48:49], v[72:73]
	v_fma_f64 v[48:49], v[64:65], v[48:49], -v[50:51]
	v_add_f64_e32 v[2:3], v[2:3], v[40:41]
	v_add_f64_e32 v[10:11], v[42:43], v[10:11]
	ds_load_b128 v[6:9], v1 offset:368
	ds_load_b128 v[40:43], v1 offset:384
	s_wait_loadcnt_dscnt 0x301
	v_mul_f64_e32 v[46:47], v[6:7], v[54:55]
	v_mul_f64_e32 v[54:55], v[8:9], v[54:55]
	s_wait_loadcnt_dscnt 0x200
	v_mul_f64_e32 v[50:51], v[42:43], v[58:59]
	v_add_f64_e32 v[2:3], v[2:3], v[44:45]
	v_add_f64_e32 v[10:11], v[10:11], v[74:75]
	v_mul_f64_e32 v[44:45], v[40:41], v[58:59]
	v_fma_f64 v[46:47], v[8:9], v[52:53], v[46:47]
	v_fma_f64 v[52:53], v[6:7], v[52:53], -v[54:55]
	ds_load_b128 v[6:9], v1 offset:400
	v_fma_f64 v[40:41], v[40:41], v[56:57], -v[50:51]
	v_add_f64_e32 v[2:3], v[2:3], v[48:49]
	v_add_f64_e32 v[10:11], v[10:11], v[66:67]
	v_fma_f64 v[42:43], v[42:43], v[56:57], v[44:45]
	s_wait_loadcnt_dscnt 0x100
	v_mul_f64_e32 v[48:49], v[6:7], v[62:63]
	v_mul_f64_e32 v[54:55], v[8:9], v[62:63]
	v_add_f64_e32 v[2:3], v[2:3], v[52:53]
	v_add_f64_e32 v[10:11], v[10:11], v[46:47]
	s_delay_alu instid0(VALU_DEP_4) | instskip(NEXT) | instid1(VALU_DEP_4)
	v_fma_f64 v[8:9], v[8:9], v[60:61], v[48:49]
	v_fma_f64 v[6:7], v[6:7], v[60:61], -v[54:55]
	s_delay_alu instid0(VALU_DEP_4) | instskip(NEXT) | instid1(VALU_DEP_4)
	v_add_f64_e32 v[2:3], v[2:3], v[40:41]
	v_add_f64_e32 v[10:11], v[10:11], v[42:43]
	s_delay_alu instid0(VALU_DEP_2) | instskip(NEXT) | instid1(VALU_DEP_2)
	v_add_f64_e32 v[2:3], v[2:3], v[6:7]
	v_add_f64_e32 v[8:9], v[10:11], v[8:9]
	s_wait_loadcnt 0x0
	s_delay_alu instid0(VALU_DEP_2) | instskip(NEXT) | instid1(VALU_DEP_2)
	v_add_f64_e64 v[6:7], v[68:69], -v[2:3]
	v_add_f64_e64 v[8:9], v[70:71], -v[8:9]
	scratch_store_b128 off, v[6:9], off offset:80
	v_cmpx_lt_u32_e32 4, v39
	s_cbranch_execz .LBB12_83
; %bb.82:
	scratch_load_b128 v[6:9], off, s10
	v_dual_mov_b32 v2, v1 :: v_dual_mov_b32 v3, v1
	v_mov_b32_e32 v4, v1
	scratch_store_b128 off, v[1:4], off offset:64
	s_wait_loadcnt 0x0
	ds_store_b128 v5, v[6:9]
.LBB12_83:
	s_wait_alu 0xfffe
	s_or_b32 exec_lo, exec_lo, s2
	s_wait_storecnt_dscnt 0x0
	s_barrier_signal -1
	s_barrier_wait -1
	global_inv scope:SCOPE_SE
	s_clause 0x7
	scratch_load_b128 v[6:9], off, off offset:80
	scratch_load_b128 v[40:43], off, off offset:96
	;; [unrolled: 1-line block ×8, first 2 shown]
	ds_load_b128 v[68:71], v1 offset:288
	ds_load_b128 v[72:75], v1 offset:304
	scratch_load_b128 v[76:79], off, off offset:64
	s_mov_b32 s2, exec_lo
	s_wait_loadcnt_dscnt 0x801
	v_mul_f64_e32 v[2:3], v[70:71], v[8:9]
	v_mul_f64_e32 v[8:9], v[68:69], v[8:9]
	s_wait_loadcnt_dscnt 0x700
	v_mul_f64_e32 v[10:11], v[72:73], v[42:43]
	v_mul_f64_e32 v[42:43], v[74:75], v[42:43]
	s_delay_alu instid0(VALU_DEP_4) | instskip(NEXT) | instid1(VALU_DEP_4)
	v_fma_f64 v[2:3], v[68:69], v[6:7], -v[2:3]
	v_fma_f64 v[80:81], v[70:71], v[6:7], v[8:9]
	ds_load_b128 v[6:9], v1 offset:320
	ds_load_b128 v[68:71], v1 offset:336
	v_fma_f64 v[10:11], v[74:75], v[40:41], v[10:11]
	v_fma_f64 v[40:41], v[72:73], v[40:41], -v[42:43]
	s_wait_loadcnt_dscnt 0x601
	v_mul_f64_e32 v[82:83], v[6:7], v[46:47]
	v_mul_f64_e32 v[46:47], v[8:9], v[46:47]
	s_wait_loadcnt_dscnt 0x500
	v_mul_f64_e32 v[72:73], v[68:69], v[50:51]
	v_mul_f64_e32 v[50:51], v[70:71], v[50:51]
	v_add_f64_e32 v[2:3], 0, v[2:3]
	v_add_f64_e32 v[42:43], 0, v[80:81]
	v_fma_f64 v[74:75], v[8:9], v[44:45], v[82:83]
	v_fma_f64 v[44:45], v[6:7], v[44:45], -v[46:47]
	v_fma_f64 v[70:71], v[70:71], v[48:49], v[72:73]
	v_fma_f64 v[48:49], v[68:69], v[48:49], -v[50:51]
	v_add_f64_e32 v[2:3], v[2:3], v[40:41]
	v_add_f64_e32 v[10:11], v[42:43], v[10:11]
	ds_load_b128 v[6:9], v1 offset:352
	ds_load_b128 v[40:43], v1 offset:368
	s_wait_loadcnt_dscnt 0x401
	v_mul_f64_e32 v[46:47], v[6:7], v[54:55]
	v_mul_f64_e32 v[54:55], v[8:9], v[54:55]
	s_wait_loadcnt_dscnt 0x300
	v_mul_f64_e32 v[50:51], v[42:43], v[58:59]
	v_add_f64_e32 v[2:3], v[2:3], v[44:45]
	v_add_f64_e32 v[10:11], v[10:11], v[74:75]
	v_mul_f64_e32 v[44:45], v[40:41], v[58:59]
	v_fma_f64 v[46:47], v[8:9], v[52:53], v[46:47]
	v_fma_f64 v[52:53], v[6:7], v[52:53], -v[54:55]
	v_fma_f64 v[40:41], v[40:41], v[56:57], -v[50:51]
	v_add_f64_e32 v[48:49], v[2:3], v[48:49]
	v_add_f64_e32 v[10:11], v[10:11], v[70:71]
	ds_load_b128 v[6:9], v1 offset:384
	ds_load_b128 v[1:4], v1 offset:400
	v_fma_f64 v[42:43], v[42:43], v[56:57], v[44:45]
	s_wait_loadcnt_dscnt 0x201
	v_mul_f64_e32 v[54:55], v[6:7], v[62:63]
	v_mul_f64_e32 v[58:59], v[8:9], v[62:63]
	v_add_f64_e32 v[44:45], v[48:49], v[52:53]
	v_add_f64_e32 v[10:11], v[10:11], v[46:47]
	s_wait_loadcnt_dscnt 0x100
	v_mul_f64_e32 v[46:47], v[1:2], v[66:67]
	v_mul_f64_e32 v[48:49], v[3:4], v[66:67]
	v_fma_f64 v[8:9], v[8:9], v[60:61], v[54:55]
	v_fma_f64 v[6:7], v[6:7], v[60:61], -v[58:59]
	v_add_f64_e32 v[40:41], v[44:45], v[40:41]
	v_add_f64_e32 v[10:11], v[10:11], v[42:43]
	v_fma_f64 v[3:4], v[3:4], v[64:65], v[46:47]
	v_fma_f64 v[1:2], v[1:2], v[64:65], -v[48:49]
	s_delay_alu instid0(VALU_DEP_4) | instskip(NEXT) | instid1(VALU_DEP_4)
	v_add_f64_e32 v[6:7], v[40:41], v[6:7]
	v_add_f64_e32 v[8:9], v[10:11], v[8:9]
	s_delay_alu instid0(VALU_DEP_2) | instskip(NEXT) | instid1(VALU_DEP_2)
	v_add_f64_e32 v[1:2], v[6:7], v[1:2]
	v_add_f64_e32 v[3:4], v[8:9], v[3:4]
	s_wait_loadcnt 0x0
	s_delay_alu instid0(VALU_DEP_2) | instskip(NEXT) | instid1(VALU_DEP_2)
	v_add_f64_e64 v[1:2], v[76:77], -v[1:2]
	v_add_f64_e64 v[3:4], v[78:79], -v[3:4]
	scratch_store_b128 off, v[1:4], off offset:64
	v_cmpx_lt_u32_e32 3, v39
	s_cbranch_execz .LBB12_85
; %bb.84:
	scratch_load_b128 v[1:4], off, s5
	v_mov_b32_e32 v6, 0
	s_delay_alu instid0(VALU_DEP_1)
	v_dual_mov_b32 v7, v6 :: v_dual_mov_b32 v8, v6
	v_mov_b32_e32 v9, v6
	scratch_store_b128 off, v[6:9], off offset:48
	s_wait_loadcnt 0x0
	ds_store_b128 v5, v[1:4]
.LBB12_85:
	s_wait_alu 0xfffe
	s_or_b32 exec_lo, exec_lo, s2
	s_wait_storecnt_dscnt 0x0
	s_barrier_signal -1
	s_barrier_wait -1
	global_inv scope:SCOPE_SE
	s_clause 0x7
	scratch_load_b128 v[6:9], off, off offset:64
	scratch_load_b128 v[40:43], off, off offset:80
	;; [unrolled: 1-line block ×8, first 2 shown]
	v_mov_b32_e32 v1, 0
	s_mov_b32 s2, exec_lo
	ds_load_b128 v[68:71], v1 offset:272
	s_clause 0x1
	scratch_load_b128 v[72:75], off, off offset:192
	scratch_load_b128 v[76:79], off, off offset:48
	ds_load_b128 v[80:83], v1 offset:288
	s_wait_loadcnt_dscnt 0x901
	v_mul_f64_e32 v[2:3], v[70:71], v[8:9]
	v_mul_f64_e32 v[8:9], v[68:69], v[8:9]
	s_wait_loadcnt_dscnt 0x800
	v_mul_f64_e32 v[10:11], v[80:81], v[42:43]
	v_mul_f64_e32 v[42:43], v[82:83], v[42:43]
	s_delay_alu instid0(VALU_DEP_4) | instskip(NEXT) | instid1(VALU_DEP_4)
	v_fma_f64 v[2:3], v[68:69], v[6:7], -v[2:3]
	v_fma_f64 v[84:85], v[70:71], v[6:7], v[8:9]
	ds_load_b128 v[6:9], v1 offset:304
	ds_load_b128 v[68:71], v1 offset:320
	v_fma_f64 v[10:11], v[82:83], v[40:41], v[10:11]
	v_fma_f64 v[40:41], v[80:81], v[40:41], -v[42:43]
	s_wait_loadcnt_dscnt 0x701
	v_mul_f64_e32 v[86:87], v[6:7], v[46:47]
	v_mul_f64_e32 v[46:47], v[8:9], v[46:47]
	s_wait_loadcnt_dscnt 0x600
	v_mul_f64_e32 v[80:81], v[68:69], v[50:51]
	v_mul_f64_e32 v[50:51], v[70:71], v[50:51]
	v_add_f64_e32 v[2:3], 0, v[2:3]
	v_add_f64_e32 v[42:43], 0, v[84:85]
	v_fma_f64 v[82:83], v[8:9], v[44:45], v[86:87]
	v_fma_f64 v[44:45], v[6:7], v[44:45], -v[46:47]
	v_fma_f64 v[70:71], v[70:71], v[48:49], v[80:81]
	v_fma_f64 v[48:49], v[68:69], v[48:49], -v[50:51]
	v_add_f64_e32 v[2:3], v[2:3], v[40:41]
	v_add_f64_e32 v[10:11], v[42:43], v[10:11]
	ds_load_b128 v[6:9], v1 offset:336
	ds_load_b128 v[40:43], v1 offset:352
	s_wait_loadcnt_dscnt 0x501
	v_mul_f64_e32 v[46:47], v[6:7], v[54:55]
	v_mul_f64_e32 v[54:55], v[8:9], v[54:55]
	s_wait_loadcnt_dscnt 0x400
	v_mul_f64_e32 v[50:51], v[40:41], v[58:59]
	v_mul_f64_e32 v[58:59], v[42:43], v[58:59]
	v_add_f64_e32 v[2:3], v[2:3], v[44:45]
	v_add_f64_e32 v[10:11], v[10:11], v[82:83]
	v_fma_f64 v[68:69], v[8:9], v[52:53], v[46:47]
	v_fma_f64 v[52:53], v[6:7], v[52:53], -v[54:55]
	ds_load_b128 v[6:9], v1 offset:368
	ds_load_b128 v[44:47], v1 offset:384
	v_fma_f64 v[42:43], v[42:43], v[56:57], v[50:51]
	v_fma_f64 v[40:41], v[40:41], v[56:57], -v[58:59]
	v_add_f64_e32 v[2:3], v[2:3], v[48:49]
	v_add_f64_e32 v[10:11], v[10:11], v[70:71]
	s_wait_loadcnt_dscnt 0x301
	v_mul_f64_e32 v[48:49], v[6:7], v[62:63]
	v_mul_f64_e32 v[54:55], v[8:9], v[62:63]
	s_wait_loadcnt_dscnt 0x200
	v_mul_f64_e32 v[50:51], v[44:45], v[66:67]
	v_add_f64_e32 v[2:3], v[2:3], v[52:53]
	v_add_f64_e32 v[10:11], v[10:11], v[68:69]
	v_mul_f64_e32 v[52:53], v[46:47], v[66:67]
	v_fma_f64 v[48:49], v[8:9], v[60:61], v[48:49]
	v_fma_f64 v[54:55], v[6:7], v[60:61], -v[54:55]
	ds_load_b128 v[6:9], v1 offset:400
	v_fma_f64 v[46:47], v[46:47], v[64:65], v[50:51]
	v_add_f64_e32 v[2:3], v[2:3], v[40:41]
	v_add_f64_e32 v[10:11], v[10:11], v[42:43]
	s_wait_loadcnt_dscnt 0x100
	v_mul_f64_e32 v[40:41], v[6:7], v[74:75]
	v_mul_f64_e32 v[42:43], v[8:9], v[74:75]
	v_fma_f64 v[44:45], v[44:45], v[64:65], -v[52:53]
	v_add_f64_e32 v[2:3], v[2:3], v[54:55]
	v_add_f64_e32 v[10:11], v[10:11], v[48:49]
	v_fma_f64 v[8:9], v[8:9], v[72:73], v[40:41]
	v_fma_f64 v[6:7], v[6:7], v[72:73], -v[42:43]
	s_delay_alu instid0(VALU_DEP_4) | instskip(NEXT) | instid1(VALU_DEP_4)
	v_add_f64_e32 v[2:3], v[2:3], v[44:45]
	v_add_f64_e32 v[10:11], v[10:11], v[46:47]
	s_delay_alu instid0(VALU_DEP_2) | instskip(NEXT) | instid1(VALU_DEP_2)
	v_add_f64_e32 v[2:3], v[2:3], v[6:7]
	v_add_f64_e32 v[8:9], v[10:11], v[8:9]
	s_wait_loadcnt 0x0
	s_delay_alu instid0(VALU_DEP_2) | instskip(NEXT) | instid1(VALU_DEP_2)
	v_add_f64_e64 v[6:7], v[76:77], -v[2:3]
	v_add_f64_e64 v[8:9], v[78:79], -v[8:9]
	scratch_store_b128 off, v[6:9], off offset:48
	v_cmpx_lt_u32_e32 2, v39
	s_cbranch_execz .LBB12_87
; %bb.86:
	scratch_load_b128 v[6:9], off, s8
	v_dual_mov_b32 v2, v1 :: v_dual_mov_b32 v3, v1
	v_mov_b32_e32 v4, v1
	scratch_store_b128 off, v[1:4], off offset:32
	s_wait_loadcnt 0x0
	ds_store_b128 v5, v[6:9]
.LBB12_87:
	s_wait_alu 0xfffe
	s_or_b32 exec_lo, exec_lo, s2
	s_wait_storecnt_dscnt 0x0
	s_barrier_signal -1
	s_barrier_wait -1
	global_inv scope:SCOPE_SE
	s_clause 0x8
	scratch_load_b128 v[6:9], off, off offset:48
	scratch_load_b128 v[40:43], off, off offset:64
	;; [unrolled: 1-line block ×9, first 2 shown]
	ds_load_b128 v[72:75], v1 offset:256
	ds_load_b128 v[76:79], v1 offset:272
	scratch_load_b128 v[80:83], off, off offset:32
	s_mov_b32 s2, exec_lo
	s_wait_loadcnt_dscnt 0x901
	v_mul_f64_e32 v[2:3], v[74:75], v[8:9]
	v_mul_f64_e32 v[84:85], v[72:73], v[8:9]
	scratch_load_b128 v[8:11], off, off offset:192
	s_wait_loadcnt_dscnt 0x900
	v_mul_f64_e32 v[88:89], v[76:77], v[42:43]
	v_mul_f64_e32 v[42:43], v[78:79], v[42:43]
	v_fma_f64 v[2:3], v[72:73], v[6:7], -v[2:3]
	v_fma_f64 v[6:7], v[74:75], v[6:7], v[84:85]
	ds_load_b128 v[72:75], v1 offset:288
	ds_load_b128 v[84:87], v1 offset:304
	v_fma_f64 v[78:79], v[78:79], v[40:41], v[88:89]
	v_fma_f64 v[40:41], v[76:77], v[40:41], -v[42:43]
	s_wait_loadcnt_dscnt 0x801
	v_mul_f64_e32 v[90:91], v[72:73], v[46:47]
	v_mul_f64_e32 v[46:47], v[74:75], v[46:47]
	s_wait_loadcnt_dscnt 0x700
	v_mul_f64_e32 v[76:77], v[84:85], v[50:51]
	v_mul_f64_e32 v[50:51], v[86:87], v[50:51]
	v_add_f64_e32 v[2:3], 0, v[2:3]
	v_add_f64_e32 v[6:7], 0, v[6:7]
	v_fma_f64 v[74:75], v[74:75], v[44:45], v[90:91]
	v_fma_f64 v[72:73], v[72:73], v[44:45], -v[46:47]
	v_fma_f64 v[76:77], v[86:87], v[48:49], v[76:77]
	v_fma_f64 v[48:49], v[84:85], v[48:49], -v[50:51]
	v_add_f64_e32 v[2:3], v[2:3], v[40:41]
	v_add_f64_e32 v[6:7], v[6:7], v[78:79]
	ds_load_b128 v[40:43], v1 offset:320
	ds_load_b128 v[44:47], v1 offset:336
	s_wait_loadcnt_dscnt 0x601
	v_mul_f64_e32 v[78:79], v[40:41], v[54:55]
	v_mul_f64_e32 v[54:55], v[42:43], v[54:55]
	v_add_f64_e32 v[2:3], v[2:3], v[72:73]
	v_add_f64_e32 v[6:7], v[6:7], v[74:75]
	s_wait_loadcnt_dscnt 0x500
	v_mul_f64_e32 v[72:73], v[44:45], v[58:59]
	v_mul_f64_e32 v[58:59], v[46:47], v[58:59]
	v_fma_f64 v[74:75], v[42:43], v[52:53], v[78:79]
	v_fma_f64 v[52:53], v[40:41], v[52:53], -v[54:55]
	v_add_f64_e32 v[2:3], v[2:3], v[48:49]
	v_add_f64_e32 v[6:7], v[6:7], v[76:77]
	ds_load_b128 v[40:43], v1 offset:352
	ds_load_b128 v[48:51], v1 offset:368
	v_fma_f64 v[46:47], v[46:47], v[56:57], v[72:73]
	v_fma_f64 v[44:45], v[44:45], v[56:57], -v[58:59]
	s_wait_loadcnt_dscnt 0x401
	v_mul_f64_e32 v[54:55], v[40:41], v[62:63]
	v_mul_f64_e32 v[62:63], v[42:43], v[62:63]
	s_wait_loadcnt_dscnt 0x300
	v_mul_f64_e32 v[56:57], v[50:51], v[66:67]
	v_add_f64_e32 v[2:3], v[2:3], v[52:53]
	v_add_f64_e32 v[6:7], v[6:7], v[74:75]
	v_mul_f64_e32 v[52:53], v[48:49], v[66:67]
	v_fma_f64 v[54:55], v[42:43], v[60:61], v[54:55]
	v_fma_f64 v[58:59], v[40:41], v[60:61], -v[62:63]
	v_fma_f64 v[48:49], v[48:49], v[64:65], -v[56:57]
	v_add_f64_e32 v[44:45], v[2:3], v[44:45]
	v_add_f64_e32 v[6:7], v[6:7], v[46:47]
	ds_load_b128 v[40:43], v1 offset:384
	ds_load_b128 v[1:4], v1 offset:400
	v_fma_f64 v[50:51], v[50:51], v[64:65], v[52:53]
	s_wait_loadcnt_dscnt 0x201
	v_mul_f64_e32 v[46:47], v[40:41], v[70:71]
	v_mul_f64_e32 v[60:61], v[42:43], v[70:71]
	v_add_f64_e32 v[44:45], v[44:45], v[58:59]
	v_add_f64_e32 v[6:7], v[6:7], v[54:55]
	s_wait_loadcnt_dscnt 0x0
	v_mul_f64_e32 v[52:53], v[1:2], v[10:11]
	v_mul_f64_e32 v[10:11], v[3:4], v[10:11]
	v_fma_f64 v[42:43], v[42:43], v[68:69], v[46:47]
	v_fma_f64 v[40:41], v[40:41], v[68:69], -v[60:61]
	v_add_f64_e32 v[44:45], v[44:45], v[48:49]
	v_add_f64_e32 v[6:7], v[6:7], v[50:51]
	v_fma_f64 v[3:4], v[3:4], v[8:9], v[52:53]
	v_fma_f64 v[1:2], v[1:2], v[8:9], -v[10:11]
	s_delay_alu instid0(VALU_DEP_4) | instskip(NEXT) | instid1(VALU_DEP_4)
	v_add_f64_e32 v[8:9], v[44:45], v[40:41]
	v_add_f64_e32 v[6:7], v[6:7], v[42:43]
	s_delay_alu instid0(VALU_DEP_2) | instskip(NEXT) | instid1(VALU_DEP_2)
	v_add_f64_e32 v[1:2], v[8:9], v[1:2]
	v_add_f64_e32 v[3:4], v[6:7], v[3:4]
	s_delay_alu instid0(VALU_DEP_2) | instskip(NEXT) | instid1(VALU_DEP_2)
	v_add_f64_e64 v[1:2], v[80:81], -v[1:2]
	v_add_f64_e64 v[3:4], v[82:83], -v[3:4]
	scratch_store_b128 off, v[1:4], off offset:32
	v_cmpx_lt_u32_e32 1, v39
	s_cbranch_execz .LBB12_89
; %bb.88:
	scratch_load_b128 v[1:4], off, s4
	v_mov_b32_e32 v6, 0
	s_delay_alu instid0(VALU_DEP_1)
	v_dual_mov_b32 v7, v6 :: v_dual_mov_b32 v8, v6
	v_mov_b32_e32 v9, v6
	scratch_store_b128 off, v[6:9], off offset:16
	s_wait_loadcnt 0x0
	ds_store_b128 v5, v[1:4]
.LBB12_89:
	s_wait_alu 0xfffe
	s_or_b32 exec_lo, exec_lo, s2
	s_wait_storecnt_dscnt 0x0
	s_barrier_signal -1
	s_barrier_wait -1
	global_inv scope:SCOPE_SE
	s_clause 0x7
	scratch_load_b128 v[6:9], off, off offset:32
	scratch_load_b128 v[40:43], off, off offset:48
	;; [unrolled: 1-line block ×8, first 2 shown]
	v_mov_b32_e32 v1, 0
	s_mov_b32 s2, exec_lo
	ds_load_b128 v[68:71], v1 offset:240
	s_clause 0x1
	scratch_load_b128 v[72:75], off, off offset:160
	scratch_load_b128 v[76:79], off, off offset:16
	ds_load_b128 v[80:83], v1 offset:256
	ds_load_b128 v[88:91], v1 offset:288
	s_wait_loadcnt_dscnt 0x902
	v_mul_f64_e32 v[2:3], v[70:71], v[8:9]
	v_mul_f64_e32 v[84:85], v[68:69], v[8:9]
	scratch_load_b128 v[8:11], off, off offset:176
	v_fma_f64 v[2:3], v[68:69], v[6:7], -v[2:3]
	v_fma_f64 v[6:7], v[70:71], v[6:7], v[84:85]
	ds_load_b128 v[68:71], v1 offset:272
	s_wait_loadcnt_dscnt 0x902
	v_mul_f64_e32 v[92:93], v[80:81], v[42:43]
	v_mul_f64_e32 v[42:43], v[82:83], v[42:43]
	scratch_load_b128 v[84:87], off, off offset:192
	s_wait_loadcnt_dscnt 0x900
	v_mul_f64_e32 v[94:95], v[68:69], v[46:47]
	v_mul_f64_e32 v[46:47], v[70:71], v[46:47]
	v_add_f64_e32 v[2:3], 0, v[2:3]
	v_add_f64_e32 v[6:7], 0, v[6:7]
	v_fma_f64 v[82:83], v[82:83], v[40:41], v[92:93]
	v_fma_f64 v[40:41], v[80:81], v[40:41], -v[42:43]
	s_wait_loadcnt 0x8
	v_mul_f64_e32 v[80:81], v[88:89], v[50:51]
	v_mul_f64_e32 v[50:51], v[90:91], v[50:51]
	v_fma_f64 v[70:71], v[70:71], v[44:45], v[94:95]
	v_fma_f64 v[68:69], v[68:69], v[44:45], -v[46:47]
	v_add_f64_e32 v[6:7], v[6:7], v[82:83]
	v_add_f64_e32 v[2:3], v[2:3], v[40:41]
	ds_load_b128 v[40:43], v1 offset:304
	ds_load_b128 v[44:47], v1 offset:320
	v_fma_f64 v[80:81], v[90:91], v[48:49], v[80:81]
	v_fma_f64 v[48:49], v[88:89], v[48:49], -v[50:51]
	s_wait_loadcnt_dscnt 0x701
	v_mul_f64_e32 v[82:83], v[40:41], v[54:55]
	v_mul_f64_e32 v[54:55], v[42:43], v[54:55]
	v_add_f64_e32 v[6:7], v[6:7], v[70:71]
	v_add_f64_e32 v[2:3], v[2:3], v[68:69]
	s_wait_loadcnt_dscnt 0x600
	v_mul_f64_e32 v[68:69], v[44:45], v[58:59]
	v_mul_f64_e32 v[58:59], v[46:47], v[58:59]
	v_fma_f64 v[70:71], v[42:43], v[52:53], v[82:83]
	v_fma_f64 v[52:53], v[40:41], v[52:53], -v[54:55]
	v_add_f64_e32 v[6:7], v[6:7], v[80:81]
	v_add_f64_e32 v[2:3], v[2:3], v[48:49]
	ds_load_b128 v[40:43], v1 offset:336
	ds_load_b128 v[48:51], v1 offset:352
	v_fma_f64 v[46:47], v[46:47], v[56:57], v[68:69]
	v_fma_f64 v[44:45], v[44:45], v[56:57], -v[58:59]
	s_wait_loadcnt_dscnt 0x501
	v_mul_f64_e32 v[54:55], v[40:41], v[62:63]
	v_mul_f64_e32 v[62:63], v[42:43], v[62:63]
	s_wait_loadcnt_dscnt 0x400
	v_mul_f64_e32 v[56:57], v[50:51], v[66:67]
	v_add_f64_e32 v[6:7], v[6:7], v[70:71]
	v_add_f64_e32 v[2:3], v[2:3], v[52:53]
	v_mul_f64_e32 v[52:53], v[48:49], v[66:67]
	v_fma_f64 v[54:55], v[42:43], v[60:61], v[54:55]
	v_fma_f64 v[58:59], v[40:41], v[60:61], -v[62:63]
	v_fma_f64 v[48:49], v[48:49], v[64:65], -v[56:57]
	v_add_f64_e32 v[6:7], v[6:7], v[46:47]
	v_add_f64_e32 v[2:3], v[2:3], v[44:45]
	ds_load_b128 v[40:43], v1 offset:368
	ds_load_b128 v[44:47], v1 offset:384
	v_fma_f64 v[50:51], v[50:51], v[64:65], v[52:53]
	s_wait_loadcnt_dscnt 0x301
	v_mul_f64_e32 v[60:61], v[40:41], v[74:75]
	v_mul_f64_e32 v[62:63], v[42:43], v[74:75]
	v_add_f64_e32 v[6:7], v[6:7], v[54:55]
	v_add_f64_e32 v[2:3], v[2:3], v[58:59]
	s_wait_loadcnt_dscnt 0x100
	v_mul_f64_e32 v[52:53], v[44:45], v[10:11]
	v_mul_f64_e32 v[10:11], v[46:47], v[10:11]
	v_fma_f64 v[54:55], v[42:43], v[72:73], v[60:61]
	v_fma_f64 v[56:57], v[40:41], v[72:73], -v[62:63]
	ds_load_b128 v[40:43], v1 offset:400
	v_add_f64_e32 v[6:7], v[6:7], v[50:51]
	v_add_f64_e32 v[2:3], v[2:3], v[48:49]
	v_fma_f64 v[46:47], v[46:47], v[8:9], v[52:53]
	v_fma_f64 v[8:9], v[44:45], v[8:9], -v[10:11]
	s_wait_loadcnt_dscnt 0x0
	v_mul_f64_e32 v[48:49], v[40:41], v[86:87]
	v_mul_f64_e32 v[50:51], v[42:43], v[86:87]
	v_add_f64_e32 v[6:7], v[6:7], v[54:55]
	v_add_f64_e32 v[2:3], v[2:3], v[56:57]
	s_delay_alu instid0(VALU_DEP_4) | instskip(NEXT) | instid1(VALU_DEP_4)
	v_fma_f64 v[10:11], v[42:43], v[84:85], v[48:49]
	v_fma_f64 v[40:41], v[40:41], v[84:85], -v[50:51]
	s_delay_alu instid0(VALU_DEP_4) | instskip(NEXT) | instid1(VALU_DEP_4)
	v_add_f64_e32 v[6:7], v[6:7], v[46:47]
	v_add_f64_e32 v[2:3], v[2:3], v[8:9]
	s_delay_alu instid0(VALU_DEP_2) | instskip(NEXT) | instid1(VALU_DEP_2)
	v_add_f64_e32 v[8:9], v[6:7], v[10:11]
	v_add_f64_e32 v[2:3], v[2:3], v[40:41]
	s_delay_alu instid0(VALU_DEP_2) | instskip(NEXT) | instid1(VALU_DEP_2)
	v_add_f64_e64 v[8:9], v[78:79], -v[8:9]
	v_add_f64_e64 v[6:7], v[76:77], -v[2:3]
	scratch_store_b128 off, v[6:9], off offset:16
	v_cmpx_ne_u32_e32 0, v39
	s_cbranch_execz .LBB12_91
; %bb.90:
	scratch_load_b128 v[6:9], off, off
	v_dual_mov_b32 v2, v1 :: v_dual_mov_b32 v3, v1
	v_mov_b32_e32 v4, v1
	scratch_store_b128 off, v[1:4], off
	s_wait_loadcnt 0x0
	ds_store_b128 v5, v[6:9]
.LBB12_91:
	s_wait_alu 0xfffe
	s_or_b32 exec_lo, exec_lo, s2
	s_wait_storecnt_dscnt 0x0
	s_barrier_signal -1
	s_barrier_wait -1
	global_inv scope:SCOPE_SE
	s_clause 0x8
	scratch_load_b128 v[2:5], off, off offset:16
	scratch_load_b128 v[6:9], off, off offset:32
	scratch_load_b128 v[40:43], off, off offset:48
	scratch_load_b128 v[44:47], off, off offset:64
	scratch_load_b128 v[48:51], off, off offset:80
	scratch_load_b128 v[52:55], off, off offset:96
	scratch_load_b128 v[56:59], off, off offset:112
	scratch_load_b128 v[60:63], off, off offset:128
	scratch_load_b128 v[64:67], off, off offset:144
	ds_load_b128 v[68:71], v1 offset:224
	ds_load_b128 v[72:75], v1 offset:240
	s_clause 0x1
	scratch_load_b128 v[76:79], off, off
	scratch_load_b128 v[80:83], off, off offset:160
	s_and_b32 vcc_lo, exec_lo, s20
	s_wait_loadcnt_dscnt 0xa01
	v_mul_f64_e32 v[10:11], v[70:71], v[4:5]
	v_mul_f64_e32 v[4:5], v[68:69], v[4:5]
	s_wait_loadcnt_dscnt 0x900
	v_mul_f64_e32 v[84:85], v[72:73], v[8:9]
	v_mul_f64_e32 v[86:87], v[74:75], v[8:9]
	s_delay_alu instid0(VALU_DEP_4) | instskip(NEXT) | instid1(VALU_DEP_4)
	v_fma_f64 v[88:89], v[68:69], v[2:3], -v[10:11]
	v_fma_f64 v[90:91], v[70:71], v[2:3], v[4:5]
	ds_load_b128 v[2:5], v1 offset:256
	ds_load_b128 v[68:71], v1 offset:272
	scratch_load_b128 v[8:11], off, off offset:176
	v_fma_f64 v[84:85], v[74:75], v[6:7], v[84:85]
	v_fma_f64 v[6:7], v[72:73], v[6:7], -v[86:87]
	scratch_load_b128 v[72:75], off, off offset:192
	s_wait_loadcnt_dscnt 0xa01
	v_mul_f64_e32 v[92:93], v[2:3], v[42:43]
	v_mul_f64_e32 v[42:43], v[4:5], v[42:43]
	v_add_f64_e32 v[86:87], 0, v[88:89]
	v_add_f64_e32 v[88:89], 0, v[90:91]
	s_wait_loadcnt_dscnt 0x900
	v_mul_f64_e32 v[90:91], v[68:69], v[46:47]
	v_mul_f64_e32 v[46:47], v[70:71], v[46:47]
	v_fma_f64 v[92:93], v[4:5], v[40:41], v[92:93]
	v_fma_f64 v[94:95], v[2:3], v[40:41], -v[42:43]
	ds_load_b128 v[2:5], v1 offset:288
	ds_load_b128 v[40:43], v1 offset:304
	v_add_f64_e32 v[6:7], v[86:87], v[6:7]
	v_add_f64_e32 v[84:85], v[88:89], v[84:85]
	v_fma_f64 v[70:71], v[70:71], v[44:45], v[90:91]
	v_fma_f64 v[44:45], v[68:69], v[44:45], -v[46:47]
	s_wait_loadcnt_dscnt 0x801
	v_mul_f64_e32 v[86:87], v[2:3], v[50:51]
	v_mul_f64_e32 v[50:51], v[4:5], v[50:51]
	s_wait_loadcnt_dscnt 0x700
	v_mul_f64_e32 v[68:69], v[40:41], v[54:55]
	v_mul_f64_e32 v[54:55], v[42:43], v[54:55]
	v_add_f64_e32 v[6:7], v[6:7], v[94:95]
	v_add_f64_e32 v[46:47], v[84:85], v[92:93]
	v_fma_f64 v[84:85], v[4:5], v[48:49], v[86:87]
	v_fma_f64 v[48:49], v[2:3], v[48:49], -v[50:51]
	v_fma_f64 v[42:43], v[42:43], v[52:53], v[68:69]
	v_fma_f64 v[40:41], v[40:41], v[52:53], -v[54:55]
	v_add_f64_e32 v[6:7], v[6:7], v[44:45]
	v_add_f64_e32 v[50:51], v[46:47], v[70:71]
	ds_load_b128 v[2:5], v1 offset:320
	ds_load_b128 v[44:47], v1 offset:336
	s_wait_loadcnt_dscnt 0x601
	v_mul_f64_e32 v[70:71], v[2:3], v[58:59]
	v_mul_f64_e32 v[58:59], v[4:5], v[58:59]
	s_wait_loadcnt_dscnt 0x500
	v_mul_f64_e32 v[52:53], v[46:47], v[62:63]
	v_add_f64_e32 v[6:7], v[6:7], v[48:49]
	v_add_f64_e32 v[48:49], v[50:51], v[84:85]
	v_mul_f64_e32 v[50:51], v[44:45], v[62:63]
	v_fma_f64 v[54:55], v[4:5], v[56:57], v[70:71]
	v_fma_f64 v[56:57], v[2:3], v[56:57], -v[58:59]
	v_fma_f64 v[44:45], v[44:45], v[60:61], -v[52:53]
	v_add_f64_e32 v[6:7], v[6:7], v[40:41]
	v_add_f64_e32 v[48:49], v[48:49], v[42:43]
	ds_load_b128 v[2:5], v1 offset:352
	ds_load_b128 v[40:43], v1 offset:368
	v_fma_f64 v[46:47], v[46:47], v[60:61], v[50:51]
	s_wait_loadcnt_dscnt 0x401
	v_mul_f64_e32 v[58:59], v[2:3], v[66:67]
	v_mul_f64_e32 v[62:63], v[4:5], v[66:67]
	s_wait_loadcnt_dscnt 0x200
	v_mul_f64_e32 v[50:51], v[40:41], v[82:83]
	v_mul_f64_e32 v[52:53], v[42:43], v[82:83]
	v_add_f64_e32 v[6:7], v[6:7], v[56:57]
	v_add_f64_e32 v[48:49], v[48:49], v[54:55]
	v_fma_f64 v[54:55], v[4:5], v[64:65], v[58:59]
	v_fma_f64 v[56:57], v[2:3], v[64:65], -v[62:63]
	v_fma_f64 v[42:43], v[42:43], v[80:81], v[50:51]
	v_fma_f64 v[40:41], v[40:41], v[80:81], -v[52:53]
	v_add_f64_e32 v[6:7], v[6:7], v[44:45]
	v_add_f64_e32 v[48:49], v[48:49], v[46:47]
	ds_load_b128 v[2:5], v1 offset:384
	ds_load_b128 v[44:47], v1 offset:400
	s_wait_loadcnt_dscnt 0x101
	v_mul_f64_e32 v[58:59], v[2:3], v[10:11]
	v_mul_f64_e32 v[10:11], v[4:5], v[10:11]
	s_wait_loadcnt_dscnt 0x0
	v_mul_f64_e32 v[50:51], v[44:45], v[74:75]
	v_mul_f64_e32 v[52:53], v[46:47], v[74:75]
	v_add_f64_e32 v[6:7], v[6:7], v[56:57]
	v_add_f64_e32 v[48:49], v[48:49], v[54:55]
	v_fma_f64 v[4:5], v[4:5], v[8:9], v[58:59]
	v_fma_f64 v[1:2], v[2:3], v[8:9], -v[10:11]
	v_fma_f64 v[10:11], v[46:47], v[72:73], v[50:51]
	v_add_f64_e32 v[6:7], v[6:7], v[40:41]
	v_add_f64_e32 v[8:9], v[48:49], v[42:43]
	v_fma_f64 v[40:41], v[44:45], v[72:73], -v[52:53]
	s_delay_alu instid0(VALU_DEP_3) | instskip(NEXT) | instid1(VALU_DEP_3)
	v_add_f64_e32 v[1:2], v[6:7], v[1:2]
	v_add_f64_e32 v[3:4], v[8:9], v[4:5]
	s_delay_alu instid0(VALU_DEP_2) | instskip(NEXT) | instid1(VALU_DEP_2)
	v_add_f64_e32 v[1:2], v[1:2], v[40:41]
	v_add_f64_e32 v[3:4], v[3:4], v[10:11]
	s_delay_alu instid0(VALU_DEP_2) | instskip(NEXT) | instid1(VALU_DEP_2)
	v_add_f64_e64 v[1:2], v[76:77], -v[1:2]
	v_add_f64_e64 v[3:4], v[78:79], -v[3:4]
	scratch_store_b128 off, v[1:4], off
	s_wait_alu 0xfffe
	s_cbranch_vccz .LBB12_116
; %bb.92:
	v_mov_b32_e32 v1, 0
	s_load_b64 s[0:1], s[0:1], 0x4
	v_bfe_u32 v3, v0, 10, 10
	v_bfe_u32 v0, v0, 20, 10
	global_load_b32 v2, v1, s[16:17] offset:44
	s_wait_kmcnt 0x0
	s_lshr_b32 s0, s0, 16
	v_mul_u32_u24_e32 v3, s1, v3
	s_mul_i32 s0, s0, s1
	s_wait_alu 0xfffe
	v_mul_u32_u24_e32 v4, s0, v39
	s_delay_alu instid0(VALU_DEP_1) | instskip(NEXT) | instid1(VALU_DEP_1)
	v_add3_u32 v0, v4, v3, v0
	v_lshl_add_u32 v0, v0, 4, 0x1a8
	s_wait_loadcnt 0x0
	v_cmp_ne_u32_e32 vcc_lo, 12, v2
	s_cbranch_vccz .LBB12_94
; %bb.93:
	v_lshlrev_b32_e32 v2, 4, v2
	s_delay_alu instid0(VALU_DEP_1)
	v_mov_b32_e32 v10, v2
	s_clause 0x1
	scratch_load_b128 v[2:5], off, s15
	scratch_load_b128 v[6:9], v10, off offset:-16
	s_wait_loadcnt 0x1
	ds_store_2addr_b64 v0, v[2:3], v[4:5] offset1:1
	s_wait_loadcnt 0x0
	s_clause 0x1
	scratch_store_b128 off, v[6:9], s15
	scratch_store_b128 v10, v[2:5], off offset:-16
.LBB12_94:
	global_load_b32 v1, v1, s[16:17] offset:40
	s_wait_loadcnt 0x0
	v_cmp_eq_u32_e32 vcc_lo, 11, v1
	s_cbranch_vccnz .LBB12_96
; %bb.95:
	v_lshlrev_b32_e32 v1, 4, v1
	s_delay_alu instid0(VALU_DEP_1)
	v_mov_b32_e32 v9, v1
	s_clause 0x1
	scratch_load_b128 v[1:4], off, s21
	scratch_load_b128 v[5:8], v9, off offset:-16
	s_wait_loadcnt 0x1
	ds_store_2addr_b64 v0, v[1:2], v[3:4] offset1:1
	s_wait_loadcnt 0x0
	s_clause 0x1
	scratch_store_b128 off, v[5:8], s21
	scratch_store_b128 v9, v[1:4], off offset:-16
.LBB12_96:
	v_mov_b32_e32 v1, 0
	global_load_b32 v2, v1, s[16:17] offset:36
	s_wait_loadcnt 0x0
	v_cmp_eq_u32_e32 vcc_lo, 10, v2
	s_cbranch_vccnz .LBB12_98
; %bb.97:
	v_lshlrev_b32_e32 v2, 4, v2
	s_delay_alu instid0(VALU_DEP_1)
	v_mov_b32_e32 v10, v2
	s_clause 0x1
	scratch_load_b128 v[2:5], off, s13
	scratch_load_b128 v[6:9], v10, off offset:-16
	s_wait_loadcnt 0x1
	ds_store_2addr_b64 v0, v[2:3], v[4:5] offset1:1
	s_wait_loadcnt 0x0
	s_clause 0x1
	scratch_store_b128 off, v[6:9], s13
	scratch_store_b128 v10, v[2:5], off offset:-16
.LBB12_98:
	global_load_b32 v1, v1, s[16:17] offset:32
	s_wait_loadcnt 0x0
	v_cmp_eq_u32_e32 vcc_lo, 9, v1
	s_cbranch_vccnz .LBB12_100
; %bb.99:
	v_lshlrev_b32_e32 v1, 4, v1
	s_delay_alu instid0(VALU_DEP_1)
	v_mov_b32_e32 v9, v1
	s_clause 0x1
	scratch_load_b128 v[1:4], off, s14
	scratch_load_b128 v[5:8], v9, off offset:-16
	s_wait_loadcnt 0x1
	ds_store_2addr_b64 v0, v[1:2], v[3:4] offset1:1
	s_wait_loadcnt 0x0
	s_clause 0x1
	scratch_store_b128 off, v[5:8], s14
	scratch_store_b128 v9, v[1:4], off offset:-16
.LBB12_100:
	v_mov_b32_e32 v1, 0
	global_load_b32 v2, v1, s[16:17] offset:28
	s_wait_loadcnt 0x0
	v_cmp_eq_u32_e32 vcc_lo, 8, v2
	s_cbranch_vccnz .LBB12_102
; %bb.101:
	v_lshlrev_b32_e32 v2, 4, v2
	s_delay_alu instid0(VALU_DEP_1)
	v_mov_b32_e32 v10, v2
	s_clause 0x1
	scratch_load_b128 v[2:5], off, s11
	scratch_load_b128 v[6:9], v10, off offset:-16
	s_wait_loadcnt 0x1
	ds_store_2addr_b64 v0, v[2:3], v[4:5] offset1:1
	s_wait_loadcnt 0x0
	s_clause 0x1
	scratch_store_b128 off, v[6:9], s11
	scratch_store_b128 v10, v[2:5], off offset:-16
.LBB12_102:
	;; [unrolled: 37-line block ×5, first 2 shown]
	global_load_b32 v1, v1, s[16:17]
	s_wait_loadcnt 0x0
	v_cmp_eq_u32_e32 vcc_lo, 1, v1
	s_cbranch_vccnz .LBB12_116
; %bb.115:
	v_lshlrev_b32_e32 v1, 4, v1
	s_delay_alu instid0(VALU_DEP_1)
	v_mov_b32_e32 v9, v1
	scratch_load_b128 v[1:4], off, off
	scratch_load_b128 v[5:8], v9, off offset:-16
	s_wait_loadcnt 0x1
	ds_store_2addr_b64 v0, v[1:2], v[3:4] offset1:1
	s_wait_loadcnt 0x0
	scratch_store_b128 off, v[5:8], off
	scratch_store_b128 v9, v[1:4], off offset:-16
.LBB12_116:
	scratch_load_b128 v[0:3], off, off
	s_clause 0xb
	scratch_load_b128 v[4:7], off, s4
	scratch_load_b128 v[8:11], off, s8
	scratch_load_b128 v[39:42], off, s5
	scratch_load_b128 v[43:46], off, s10
	scratch_load_b128 v[47:50], off, s9
	scratch_load_b128 v[51:54], off, s12
	scratch_load_b128 v[55:58], off, s11
	scratch_load_b128 v[59:62], off, s14
	scratch_load_b128 v[63:66], off, s13
	scratch_load_b128 v[67:70], off, s21
	scratch_load_b128 v[71:74], off, s15
	scratch_load_b128 v[75:78], off, s22
	s_wait_loadcnt 0xc
	global_store_b128 v[13:14], v[0:3], off
	s_wait_loadcnt 0xb
	global_store_b128 v[15:16], v[4:7], off
	;; [unrolled: 2-line block ×13, first 2 shown]
	s_endpgm
	.section	.rodata,"a",@progbits
	.p2align	6, 0x0
	.amdhsa_kernel _ZN9rocsolver6v33100L18getri_kernel_smallILi13E19rocblas_complex_numIdEPS3_EEvT1_iilPiilS6_bb
		.amdhsa_group_segment_fixed_size 1448
		.amdhsa_private_segment_fixed_size 224
		.amdhsa_kernarg_size 60
		.amdhsa_user_sgpr_count 4
		.amdhsa_user_sgpr_dispatch_ptr 1
		.amdhsa_user_sgpr_queue_ptr 0
		.amdhsa_user_sgpr_kernarg_segment_ptr 1
		.amdhsa_user_sgpr_dispatch_id 0
		.amdhsa_user_sgpr_private_segment_size 0
		.amdhsa_wavefront_size32 1
		.amdhsa_uses_dynamic_stack 0
		.amdhsa_enable_private_segment 1
		.amdhsa_system_sgpr_workgroup_id_x 1
		.amdhsa_system_sgpr_workgroup_id_y 0
		.amdhsa_system_sgpr_workgroup_id_z 0
		.amdhsa_system_sgpr_workgroup_info 0
		.amdhsa_system_vgpr_workitem_id 2
		.amdhsa_next_free_vgpr 96
		.amdhsa_next_free_sgpr 26
		.amdhsa_reserve_vcc 1
		.amdhsa_float_round_mode_32 0
		.amdhsa_float_round_mode_16_64 0
		.amdhsa_float_denorm_mode_32 3
		.amdhsa_float_denorm_mode_16_64 3
		.amdhsa_fp16_overflow 0
		.amdhsa_workgroup_processor_mode 1
		.amdhsa_memory_ordered 1
		.amdhsa_forward_progress 1
		.amdhsa_inst_pref_size 107
		.amdhsa_round_robin_scheduling 0
		.amdhsa_exception_fp_ieee_invalid_op 0
		.amdhsa_exception_fp_denorm_src 0
		.amdhsa_exception_fp_ieee_div_zero 0
		.amdhsa_exception_fp_ieee_overflow 0
		.amdhsa_exception_fp_ieee_underflow 0
		.amdhsa_exception_fp_ieee_inexact 0
		.amdhsa_exception_int_div_zero 0
	.end_amdhsa_kernel
	.section	.text._ZN9rocsolver6v33100L18getri_kernel_smallILi13E19rocblas_complex_numIdEPS3_EEvT1_iilPiilS6_bb,"axG",@progbits,_ZN9rocsolver6v33100L18getri_kernel_smallILi13E19rocblas_complex_numIdEPS3_EEvT1_iilPiilS6_bb,comdat
.Lfunc_end12:
	.size	_ZN9rocsolver6v33100L18getri_kernel_smallILi13E19rocblas_complex_numIdEPS3_EEvT1_iilPiilS6_bb, .Lfunc_end12-_ZN9rocsolver6v33100L18getri_kernel_smallILi13E19rocblas_complex_numIdEPS3_EEvT1_iilPiilS6_bb
                                        ; -- End function
	.set _ZN9rocsolver6v33100L18getri_kernel_smallILi13E19rocblas_complex_numIdEPS3_EEvT1_iilPiilS6_bb.num_vgpr, 96
	.set _ZN9rocsolver6v33100L18getri_kernel_smallILi13E19rocblas_complex_numIdEPS3_EEvT1_iilPiilS6_bb.num_agpr, 0
	.set _ZN9rocsolver6v33100L18getri_kernel_smallILi13E19rocblas_complex_numIdEPS3_EEvT1_iilPiilS6_bb.numbered_sgpr, 26
	.set _ZN9rocsolver6v33100L18getri_kernel_smallILi13E19rocblas_complex_numIdEPS3_EEvT1_iilPiilS6_bb.num_named_barrier, 0
	.set _ZN9rocsolver6v33100L18getri_kernel_smallILi13E19rocblas_complex_numIdEPS3_EEvT1_iilPiilS6_bb.private_seg_size, 224
	.set _ZN9rocsolver6v33100L18getri_kernel_smallILi13E19rocblas_complex_numIdEPS3_EEvT1_iilPiilS6_bb.uses_vcc, 1
	.set _ZN9rocsolver6v33100L18getri_kernel_smallILi13E19rocblas_complex_numIdEPS3_EEvT1_iilPiilS6_bb.uses_flat_scratch, 1
	.set _ZN9rocsolver6v33100L18getri_kernel_smallILi13E19rocblas_complex_numIdEPS3_EEvT1_iilPiilS6_bb.has_dyn_sized_stack, 0
	.set _ZN9rocsolver6v33100L18getri_kernel_smallILi13E19rocblas_complex_numIdEPS3_EEvT1_iilPiilS6_bb.has_recursion, 0
	.set _ZN9rocsolver6v33100L18getri_kernel_smallILi13E19rocblas_complex_numIdEPS3_EEvT1_iilPiilS6_bb.has_indirect_call, 0
	.section	.AMDGPU.csdata,"",@progbits
; Kernel info:
; codeLenInByte = 13580
; TotalNumSgprs: 28
; NumVgprs: 96
; ScratchSize: 224
; MemoryBound: 0
; FloatMode: 240
; IeeeMode: 1
; LDSByteSize: 1448 bytes/workgroup (compile time only)
; SGPRBlocks: 0
; VGPRBlocks: 11
; NumSGPRsForWavesPerEU: 28
; NumVGPRsForWavesPerEU: 96
; Occupancy: 16
; WaveLimiterHint : 1
; COMPUTE_PGM_RSRC2:SCRATCH_EN: 1
; COMPUTE_PGM_RSRC2:USER_SGPR: 4
; COMPUTE_PGM_RSRC2:TRAP_HANDLER: 0
; COMPUTE_PGM_RSRC2:TGID_X_EN: 1
; COMPUTE_PGM_RSRC2:TGID_Y_EN: 0
; COMPUTE_PGM_RSRC2:TGID_Z_EN: 0
; COMPUTE_PGM_RSRC2:TIDIG_COMP_CNT: 2
	.section	.text._ZN9rocsolver6v33100L18getri_kernel_smallILi14E19rocblas_complex_numIdEPS3_EEvT1_iilPiilS6_bb,"axG",@progbits,_ZN9rocsolver6v33100L18getri_kernel_smallILi14E19rocblas_complex_numIdEPS3_EEvT1_iilPiilS6_bb,comdat
	.globl	_ZN9rocsolver6v33100L18getri_kernel_smallILi14E19rocblas_complex_numIdEPS3_EEvT1_iilPiilS6_bb ; -- Begin function _ZN9rocsolver6v33100L18getri_kernel_smallILi14E19rocblas_complex_numIdEPS3_EEvT1_iilPiilS6_bb
	.p2align	8
	.type	_ZN9rocsolver6v33100L18getri_kernel_smallILi14E19rocblas_complex_numIdEPS3_EEvT1_iilPiilS6_bb,@function
_ZN9rocsolver6v33100L18getri_kernel_smallILi14E19rocblas_complex_numIdEPS3_EEvT1_iilPiilS6_bb: ; @_ZN9rocsolver6v33100L18getri_kernel_smallILi14E19rocblas_complex_numIdEPS3_EEvT1_iilPiilS6_bb
; %bb.0:
	v_and_b32_e32 v41, 0x3ff, v0
	s_mov_b32 s4, exec_lo
	s_delay_alu instid0(VALU_DEP_1)
	v_cmpx_gt_u32_e32 14, v41
	s_cbranch_execz .LBB13_70
; %bb.1:
	s_clause 0x2
	s_load_b32 s8, s[2:3], 0x38
	s_load_b128 s[12:15], s[2:3], 0x10
	s_load_b128 s[4:7], s[2:3], 0x28
	s_mov_b32 s18, ttmp9
                                        ; implicit-def: $sgpr16_sgpr17
	s_wait_kmcnt 0x0
	s_bitcmp1_b32 s8, 8
	s_cselect_b32 s20, -1, 0
	s_bfe_u32 s8, s8, 0x10008
	s_ashr_i32 s19, ttmp9, 31
	s_cmp_eq_u32 s8, 0
	s_cbranch_scc1 .LBB13_3
; %bb.2:
	s_load_b32 s8, s[2:3], 0x20
	s_mul_u64 s[4:5], s[4:5], s[18:19]
	s_delay_alu instid0(SALU_CYCLE_1) | instskip(NEXT) | instid1(SALU_CYCLE_1)
	s_lshl_b64 s[4:5], s[4:5], 2
	s_add_nc_u64 s[4:5], s[14:15], s[4:5]
	s_wait_kmcnt 0x0
	s_ashr_i32 s9, s8, 31
	s_delay_alu instid0(SALU_CYCLE_1) | instskip(NEXT) | instid1(SALU_CYCLE_1)
	s_lshl_b64 s[8:9], s[8:9], 2
	s_add_nc_u64 s[16:17], s[4:5], s[8:9]
.LBB13_3:
	s_clause 0x1
	s_load_b128 s[8:11], s[2:3], 0x0
	s_load_b32 s24, s[2:3], 0x38
	s_mul_u64 s[2:3], s[12:13], s[18:19]
	v_lshlrev_b32_e32 v42, 4, v41
	s_lshl_b64 s[2:3], s[2:3], 4
	s_movk_i32 s12, 0x60
	s_movk_i32 s14, 0x80
	;; [unrolled: 1-line block ×7, first 2 shown]
	s_wait_kmcnt 0x0
	v_add3_u32 v5, s11, s11, v41
	s_ashr_i32 s5, s10, 31
	s_mov_b32 s4, s10
	s_add_nc_u64 s[2:3], s[8:9], s[2:3]
	s_lshl_b64 s[4:5], s[4:5], 4
	v_add_nc_u32_e32 v7, s11, v5
	v_ashrrev_i32_e32 v6, 31, v5
	s_add_nc_u64 s[2:3], s[2:3], s[4:5]
	s_ashr_i32 s9, s11, 31
	v_add_co_u32 v13, s4, s2, v42
	v_add_nc_u32_e32 v9, s11, v7
	v_ashrrev_i32_e32 v8, 31, v7
	s_mov_b32 s8, s11
	v_lshlrev_b64_e32 v[5:6], 4, v[5:6]
	v_add_co_ci_u32_e64 v14, null, s3, 0, s4
	v_add_nc_u32_e32 v21, s11, v9
	v_ashrrev_i32_e32 v10, 31, v9
	s_lshl_b64 s[8:9], s[8:9], 4
	v_lshlrev_b64_e32 v[19:20], 4, v[7:8]
	v_add_co_u32 v15, vcc_lo, v13, s8
	v_ashrrev_i32_e32 v22, 31, v21
	v_add_nc_u32_e32 v25, s11, v21
	v_lshlrev_b64_e32 v[23:24], 4, v[9:10]
	v_add_co_ci_u32_e64 v16, null, s9, v14, vcc_lo
	v_add_co_u32 v17, vcc_lo, s2, v5
	v_lshlrev_b64_e32 v[27:28], 4, v[21:22]
	v_add_nc_u32_e32 v31, s11, v25
	s_wait_alu 0xfffd
	v_add_co_ci_u32_e64 v18, null, s3, v6, vcc_lo
	v_add_co_u32 v19, vcc_lo, s2, v19
	s_wait_alu 0xfffd
	v_add_co_ci_u32_e64 v20, null, s3, v20, vcc_lo
	v_add_co_u32 v21, vcc_lo, s2, v23
	;; [unrolled: 3-line block ×3, first 2 shown]
	v_add_nc_u32_e32 v27, s11, v31
	v_ashrrev_i32_e32 v26, 31, v25
	v_ashrrev_i32_e32 v32, 31, v31
	s_wait_alu 0xfffd
	v_add_co_ci_u32_e64 v24, null, s3, v28, vcc_lo
	v_add_nc_u32_e32 v33, s11, v27
	v_lshlrev_b64_e32 v[29:30], 4, v[25:26]
	v_ashrrev_i32_e32 v28, 31, v27
	s_clause 0x2
	global_load_b128 v[1:4], v42, s[2:3]
	global_load_b128 v[5:8], v[15:16], off
	global_load_b128 v[9:12], v[17:18], off
	v_add_nc_u32_e32 v35, s11, v33
	v_ashrrev_i32_e32 v34, 31, v33
	v_add_co_u32 v25, vcc_lo, s2, v29
	s_wait_alu 0xfffd
	v_add_co_ci_u32_e64 v26, null, s3, v30, vcc_lo
	v_lshlrev_b64_e32 v[29:30], 4, v[31:32]
	v_add_nc_u32_e32 v37, s11, v35
	v_lshlrev_b64_e32 v[31:32], 4, v[27:28]
	v_ashrrev_i32_e32 v36, 31, v35
	s_clause 0x3
	global_load_b128 v[43:46], v[19:20], off
	global_load_b128 v[47:50], v[21:22], off
	;; [unrolled: 1-line block ×4, first 2 shown]
	v_ashrrev_i32_e32 v38, 31, v37
	v_add_co_u32 v27, vcc_lo, s2, v29
	s_wait_alu 0xfffd
	v_add_co_ci_u32_e64 v28, null, s3, v30, vcc_lo
	v_add_co_u32 v29, vcc_lo, s2, v31
	s_wait_alu 0xfffd
	v_add_co_ci_u32_e64 v30, null, s3, v32, vcc_lo
	v_lshlrev_b64_e32 v[31:32], 4, v[33:34]
	v_lshlrev_b64_e32 v[33:34], 4, v[35:36]
	;; [unrolled: 1-line block ×3, first 2 shown]
	v_add_nc_u32_e32 v37, s11, v37
	s_clause 0x1
	global_load_b128 v[59:62], v[27:28], off
	global_load_b128 v[63:66], v[29:30], off
	s_mov_b32 s4, 16
	v_add_co_u32 v31, vcc_lo, s2, v31
	v_add_nc_u32_e32 v39, s11, v37
	v_ashrrev_i32_e32 v38, 31, v37
	s_wait_alu 0xfffd
	v_add_co_ci_u32_e64 v32, null, s3, v32, vcc_lo
	v_add_co_u32 v33, vcc_lo, s2, v33
	v_ashrrev_i32_e32 v40, 31, v39
	v_lshlrev_b64_e32 v[37:38], 4, v[37:38]
	s_wait_alu 0xfffd
	v_add_co_ci_u32_e64 v34, null, s3, v34, vcc_lo
	v_add_co_u32 v35, vcc_lo, s2, v35
	v_lshlrev_b64_e32 v[39:40], 4, v[39:40]
	s_wait_alu 0xfffd
	v_add_co_ci_u32_e64 v36, null, s3, v36, vcc_lo
	v_add_co_u32 v37, vcc_lo, s2, v37
	s_wait_alu 0xfffd
	v_add_co_ci_u32_e64 v38, null, s3, v38, vcc_lo
	v_add_co_u32 v39, vcc_lo, s2, v39
	s_wait_alu 0xfffd
	v_add_co_ci_u32_e64 v40, null, s3, v40, vcc_lo
	s_clause 0x4
	global_load_b128 v[67:70], v[31:32], off
	global_load_b128 v[71:74], v[33:34], off
	;; [unrolled: 1-line block ×5, first 2 shown]
	s_mov_b32 s8, 32
	s_mov_b32 s5, 48
	s_movk_i32 s9, 0x50
	s_mov_b32 s10, 64
	s_movk_i32 s11, 0x70
	s_mov_b32 s3, -1
	s_bitcmp0_b32 s24, 0
	s_wait_loadcnt 0xd
	scratch_store_b128 off, v[1:4], off
	s_wait_loadcnt 0xc
	scratch_store_b128 off, v[5:8], off offset:16
	s_wait_loadcnt 0xb
	scratch_store_b128 off, v[9:12], off offset:32
	;; [unrolled: 2-line block ×13, first 2 shown]
	s_cbranch_scc1 .LBB13_68
; %bb.4:
	v_cmp_eq_u32_e64 s2, 0, v41
	s_and_saveexec_b32 s3, s2
; %bb.5:
	v_mov_b32_e32 v1, 0
	ds_store_b32 v1, v1 offset:448
; %bb.6:
	s_wait_alu 0xfffe
	s_or_b32 exec_lo, exec_lo, s3
	s_wait_storecnt_dscnt 0x0
	s_barrier_signal -1
	s_barrier_wait -1
	global_inv scope:SCOPE_SE
	scratch_load_b128 v[1:4], v42, off
	s_wait_loadcnt 0x0
	v_cmp_eq_f64_e32 vcc_lo, 0, v[1:2]
	v_cmp_eq_f64_e64 s3, 0, v[3:4]
	s_and_b32 s3, vcc_lo, s3
	s_wait_alu 0xfffe
	s_and_saveexec_b32 s24, s3
	s_cbranch_execz .LBB13_10
; %bb.7:
	v_mov_b32_e32 v1, 0
	s_mov_b32 s25, 0
	ds_load_b32 v2, v1 offset:448
	s_wait_dscnt 0x0
	v_readfirstlane_b32 s3, v2
	v_add_nc_u32_e32 v2, 1, v41
	s_cmp_eq_u32 s3, 0
	s_delay_alu instid0(VALU_DEP_1) | instskip(SKIP_1) | instid1(SALU_CYCLE_1)
	v_cmp_gt_i32_e32 vcc_lo, s3, v2
	s_cselect_b32 s26, -1, 0
	s_or_b32 s26, s26, vcc_lo
	s_delay_alu instid0(SALU_CYCLE_1)
	s_and_b32 exec_lo, exec_lo, s26
	s_cbranch_execz .LBB13_10
; %bb.8:
	v_mov_b32_e32 v3, s3
.LBB13_9:                               ; =>This Inner Loop Header: Depth=1
	ds_cmpstore_rtn_b32 v3, v1, v2, v3 offset:448
	s_wait_dscnt 0x0
	v_cmp_ne_u32_e32 vcc_lo, 0, v3
	v_cmp_le_i32_e64 s3, v3, v2
	s_and_b32 s3, vcc_lo, s3
	s_wait_alu 0xfffe
	s_and_b32 s3, exec_lo, s3
	s_wait_alu 0xfffe
	s_or_b32 s25, s3, s25
	s_delay_alu instid0(SALU_CYCLE_1)
	s_and_not1_b32 exec_lo, exec_lo, s25
	s_cbranch_execnz .LBB13_9
.LBB13_10:
	s_or_b32 exec_lo, exec_lo, s24
	v_mov_b32_e32 v1, 0
	s_barrier_signal -1
	s_barrier_wait -1
	global_inv scope:SCOPE_SE
	ds_load_b32 v2, v1 offset:448
	s_and_saveexec_b32 s3, s2
	s_cbranch_execz .LBB13_12
; %bb.11:
	s_lshl_b64 s[24:25], s[18:19], 2
	s_delay_alu instid0(SALU_CYCLE_1)
	s_add_nc_u64 s[24:25], s[6:7], s[24:25]
	s_wait_dscnt 0x0
	global_store_b32 v1, v2, s[24:25]
.LBB13_12:
	s_wait_alu 0xfffe
	s_or_b32 exec_lo, exec_lo, s3
	s_wait_dscnt 0x0
	v_cmp_ne_u32_e32 vcc_lo, 0, v2
	s_mov_b32 s3, 0
	s_cbranch_vccnz .LBB13_68
; %bb.13:
	v_mov_b32_e32 v43, v42
                                        ; implicit-def: $vgpr1_vgpr2
                                        ; implicit-def: $vgpr9_vgpr10
	scratch_load_b128 v[5:8], v43, off
	s_wait_loadcnt 0x0
	v_cmp_ngt_f64_e64 s3, |v[5:6]|, |v[7:8]|
	s_wait_alu 0xfffe
	s_and_saveexec_b32 s24, s3
	s_delay_alu instid0(SALU_CYCLE_1)
	s_xor_b32 s3, exec_lo, s24
	s_cbranch_execz .LBB13_15
; %bb.14:
	v_div_scale_f64 v[1:2], null, v[7:8], v[7:8], v[5:6]
	v_div_scale_f64 v[11:12], vcc_lo, v[5:6], v[7:8], v[5:6]
	s_delay_alu instid0(VALU_DEP_2) | instskip(NEXT) | instid1(TRANS32_DEP_1)
	v_rcp_f64_e32 v[3:4], v[1:2]
	v_fma_f64 v[9:10], -v[1:2], v[3:4], 1.0
	s_delay_alu instid0(VALU_DEP_1) | instskip(NEXT) | instid1(VALU_DEP_1)
	v_fma_f64 v[3:4], v[3:4], v[9:10], v[3:4]
	v_fma_f64 v[9:10], -v[1:2], v[3:4], 1.0
	s_delay_alu instid0(VALU_DEP_1) | instskip(NEXT) | instid1(VALU_DEP_1)
	v_fma_f64 v[3:4], v[3:4], v[9:10], v[3:4]
	v_mul_f64_e32 v[9:10], v[11:12], v[3:4]
	s_delay_alu instid0(VALU_DEP_1) | instskip(SKIP_1) | instid1(VALU_DEP_1)
	v_fma_f64 v[1:2], -v[1:2], v[9:10], v[11:12]
	s_wait_alu 0xfffd
	v_div_fmas_f64 v[1:2], v[1:2], v[3:4], v[9:10]
	s_delay_alu instid0(VALU_DEP_1) | instskip(NEXT) | instid1(VALU_DEP_1)
	v_div_fixup_f64 v[1:2], v[1:2], v[7:8], v[5:6]
	v_fma_f64 v[3:4], v[5:6], v[1:2], v[7:8]
	s_delay_alu instid0(VALU_DEP_1) | instskip(SKIP_1) | instid1(VALU_DEP_2)
	v_div_scale_f64 v[5:6], null, v[3:4], v[3:4], 1.0
	v_div_scale_f64 v[11:12], vcc_lo, 1.0, v[3:4], 1.0
	v_rcp_f64_e32 v[7:8], v[5:6]
	s_delay_alu instid0(TRANS32_DEP_1) | instskip(NEXT) | instid1(VALU_DEP_1)
	v_fma_f64 v[9:10], -v[5:6], v[7:8], 1.0
	v_fma_f64 v[7:8], v[7:8], v[9:10], v[7:8]
	s_delay_alu instid0(VALU_DEP_1) | instskip(NEXT) | instid1(VALU_DEP_1)
	v_fma_f64 v[9:10], -v[5:6], v[7:8], 1.0
	v_fma_f64 v[7:8], v[7:8], v[9:10], v[7:8]
	s_delay_alu instid0(VALU_DEP_1) | instskip(NEXT) | instid1(VALU_DEP_1)
	v_mul_f64_e32 v[9:10], v[11:12], v[7:8]
	v_fma_f64 v[5:6], -v[5:6], v[9:10], v[11:12]
	s_wait_alu 0xfffd
	s_delay_alu instid0(VALU_DEP_1) | instskip(NEXT) | instid1(VALU_DEP_1)
	v_div_fmas_f64 v[5:6], v[5:6], v[7:8], v[9:10]
	v_div_fixup_f64 v[3:4], v[5:6], v[3:4], 1.0
                                        ; implicit-def: $vgpr5_vgpr6
	s_delay_alu instid0(VALU_DEP_1) | instskip(SKIP_1) | instid1(VALU_DEP_2)
	v_mul_f64_e32 v[1:2], v[1:2], v[3:4]
	v_xor_b32_e32 v4, 0x80000000, v4
	v_xor_b32_e32 v10, 0x80000000, v2
	s_delay_alu instid0(VALU_DEP_3)
	v_mov_b32_e32 v9, v1
.LBB13_15:
	s_wait_alu 0xfffe
	s_and_not1_saveexec_b32 s3, s3
	s_cbranch_execz .LBB13_17
; %bb.16:
	v_div_scale_f64 v[1:2], null, v[5:6], v[5:6], v[7:8]
	v_div_scale_f64 v[11:12], vcc_lo, v[7:8], v[5:6], v[7:8]
	s_delay_alu instid0(VALU_DEP_2) | instskip(NEXT) | instid1(TRANS32_DEP_1)
	v_rcp_f64_e32 v[3:4], v[1:2]
	v_fma_f64 v[9:10], -v[1:2], v[3:4], 1.0
	s_delay_alu instid0(VALU_DEP_1) | instskip(NEXT) | instid1(VALU_DEP_1)
	v_fma_f64 v[3:4], v[3:4], v[9:10], v[3:4]
	v_fma_f64 v[9:10], -v[1:2], v[3:4], 1.0
	s_delay_alu instid0(VALU_DEP_1) | instskip(NEXT) | instid1(VALU_DEP_1)
	v_fma_f64 v[3:4], v[3:4], v[9:10], v[3:4]
	v_mul_f64_e32 v[9:10], v[11:12], v[3:4]
	s_delay_alu instid0(VALU_DEP_1) | instskip(SKIP_1) | instid1(VALU_DEP_1)
	v_fma_f64 v[1:2], -v[1:2], v[9:10], v[11:12]
	s_wait_alu 0xfffd
	v_div_fmas_f64 v[1:2], v[1:2], v[3:4], v[9:10]
	s_delay_alu instid0(VALU_DEP_1) | instskip(NEXT) | instid1(VALU_DEP_1)
	v_div_fixup_f64 v[3:4], v[1:2], v[5:6], v[7:8]
	v_fma_f64 v[1:2], v[7:8], v[3:4], v[5:6]
	s_delay_alu instid0(VALU_DEP_1) | instskip(NEXT) | instid1(VALU_DEP_1)
	v_div_scale_f64 v[5:6], null, v[1:2], v[1:2], 1.0
	v_rcp_f64_e32 v[7:8], v[5:6]
	s_delay_alu instid0(TRANS32_DEP_1) | instskip(NEXT) | instid1(VALU_DEP_1)
	v_fma_f64 v[9:10], -v[5:6], v[7:8], 1.0
	v_fma_f64 v[7:8], v[7:8], v[9:10], v[7:8]
	s_delay_alu instid0(VALU_DEP_1) | instskip(NEXT) | instid1(VALU_DEP_1)
	v_fma_f64 v[9:10], -v[5:6], v[7:8], 1.0
	v_fma_f64 v[7:8], v[7:8], v[9:10], v[7:8]
	v_div_scale_f64 v[9:10], vcc_lo, 1.0, v[1:2], 1.0
	s_delay_alu instid0(VALU_DEP_1) | instskip(NEXT) | instid1(VALU_DEP_1)
	v_mul_f64_e32 v[11:12], v[9:10], v[7:8]
	v_fma_f64 v[5:6], -v[5:6], v[11:12], v[9:10]
	s_wait_alu 0xfffd
	s_delay_alu instid0(VALU_DEP_1) | instskip(NEXT) | instid1(VALU_DEP_1)
	v_div_fmas_f64 v[5:6], v[5:6], v[7:8], v[11:12]
	v_div_fixup_f64 v[1:2], v[5:6], v[1:2], 1.0
	s_delay_alu instid0(VALU_DEP_1)
	v_mul_f64_e64 v[3:4], v[3:4], -v[1:2]
	v_xor_b32_e32 v10, 0x80000000, v2
	v_mov_b32_e32 v9, v1
.LBB13_17:
	s_wait_alu 0xfffe
	s_or_b32 exec_lo, exec_lo, s3
	scratch_store_b128 v43, v[1:4], off
	scratch_load_b128 v[44:47], off, s4
	v_xor_b32_e32 v12, 0x80000000, v4
	v_mov_b32_e32 v11, v3
	v_add_nc_u32_e32 v5, 0xe0, v42
	ds_store_b128 v42, v[9:12]
	s_wait_loadcnt 0x0
	ds_store_b128 v42, v[44:47] offset:224
	s_wait_storecnt_dscnt 0x0
	s_barrier_signal -1
	s_barrier_wait -1
	global_inv scope:SCOPE_SE
	s_and_saveexec_b32 s3, s2
	s_cbranch_execz .LBB13_19
; %bb.18:
	scratch_load_b128 v[1:4], v43, off
	ds_load_b128 v[6:9], v5
	v_mov_b32_e32 v10, 0
	ds_load_b128 v[44:47], v10 offset:16
	s_wait_loadcnt_dscnt 0x1
	v_mul_f64_e32 v[10:11], v[6:7], v[3:4]
	v_mul_f64_e32 v[3:4], v[8:9], v[3:4]
	s_delay_alu instid0(VALU_DEP_2) | instskip(NEXT) | instid1(VALU_DEP_2)
	v_fma_f64 v[8:9], v[8:9], v[1:2], v[10:11]
	v_fma_f64 v[1:2], v[6:7], v[1:2], -v[3:4]
	s_delay_alu instid0(VALU_DEP_2) | instskip(NEXT) | instid1(VALU_DEP_2)
	v_add_f64_e32 v[3:4], 0, v[8:9]
	v_add_f64_e32 v[1:2], 0, v[1:2]
	s_wait_dscnt 0x0
	s_delay_alu instid0(VALU_DEP_2) | instskip(NEXT) | instid1(VALU_DEP_2)
	v_mul_f64_e32 v[6:7], v[3:4], v[46:47]
	v_mul_f64_e32 v[8:9], v[1:2], v[46:47]
	s_delay_alu instid0(VALU_DEP_2) | instskip(NEXT) | instid1(VALU_DEP_2)
	v_fma_f64 v[1:2], v[1:2], v[44:45], -v[6:7]
	v_fma_f64 v[3:4], v[3:4], v[44:45], v[8:9]
	scratch_store_b128 off, v[1:4], off offset:16
.LBB13_19:
	s_wait_alu 0xfffe
	s_or_b32 exec_lo, exec_lo, s3
	s_wait_loadcnt 0x0
	s_wait_storecnt 0x0
	s_barrier_signal -1
	s_barrier_wait -1
	global_inv scope:SCOPE_SE
	scratch_load_b128 v[1:4], off, s8
	s_mov_b32 s3, exec_lo
	s_wait_loadcnt 0x0
	ds_store_b128 v5, v[1:4]
	s_wait_dscnt 0x0
	s_barrier_signal -1
	s_barrier_wait -1
	global_inv scope:SCOPE_SE
	v_cmpx_gt_u32_e32 2, v41
	s_cbranch_execz .LBB13_23
; %bb.20:
	scratch_load_b128 v[1:4], v43, off
	ds_load_b128 v[6:9], v5
	s_wait_loadcnt_dscnt 0x0
	v_mul_f64_e32 v[10:11], v[8:9], v[3:4]
	v_mul_f64_e32 v[3:4], v[6:7], v[3:4]
	s_delay_alu instid0(VALU_DEP_2) | instskip(NEXT) | instid1(VALU_DEP_2)
	v_fma_f64 v[6:7], v[6:7], v[1:2], -v[10:11]
	v_fma_f64 v[3:4], v[8:9], v[1:2], v[3:4]
	s_delay_alu instid0(VALU_DEP_2) | instskip(NEXT) | instid1(VALU_DEP_2)
	v_add_f64_e32 v[1:2], 0, v[6:7]
	v_add_f64_e32 v[3:4], 0, v[3:4]
	s_and_saveexec_b32 s24, s2
	s_cbranch_execz .LBB13_22
; %bb.21:
	scratch_load_b128 v[6:9], off, off offset:16
	v_mov_b32_e32 v10, 0
	ds_load_b128 v[44:47], v10 offset:240
	s_wait_loadcnt_dscnt 0x0
	v_mul_f64_e32 v[10:11], v[44:45], v[8:9]
	v_mul_f64_e32 v[8:9], v[46:47], v[8:9]
	s_delay_alu instid0(VALU_DEP_2) | instskip(NEXT) | instid1(VALU_DEP_2)
	v_fma_f64 v[10:11], v[46:47], v[6:7], v[10:11]
	v_fma_f64 v[6:7], v[44:45], v[6:7], -v[8:9]
	s_delay_alu instid0(VALU_DEP_2) | instskip(NEXT) | instid1(VALU_DEP_2)
	v_add_f64_e32 v[3:4], v[3:4], v[10:11]
	v_add_f64_e32 v[1:2], v[1:2], v[6:7]
.LBB13_22:
	s_or_b32 exec_lo, exec_lo, s24
	v_mov_b32_e32 v6, 0
	ds_load_b128 v[6:9], v6 offset:32
	s_wait_dscnt 0x0
	v_mul_f64_e32 v[10:11], v[3:4], v[8:9]
	v_mul_f64_e32 v[8:9], v[1:2], v[8:9]
	s_delay_alu instid0(VALU_DEP_2) | instskip(NEXT) | instid1(VALU_DEP_2)
	v_fma_f64 v[1:2], v[1:2], v[6:7], -v[10:11]
	v_fma_f64 v[3:4], v[3:4], v[6:7], v[8:9]
	scratch_store_b128 off, v[1:4], off offset:32
.LBB13_23:
	s_wait_alu 0xfffe
	s_or_b32 exec_lo, exec_lo, s3
	s_wait_loadcnt 0x0
	s_wait_storecnt 0x0
	s_barrier_signal -1
	s_barrier_wait -1
	global_inv scope:SCOPE_SE
	scratch_load_b128 v[1:4], off, s5
	v_add_nc_u32_e32 v6, -1, v41
	s_mov_b32 s2, exec_lo
	s_wait_loadcnt 0x0
	ds_store_b128 v5, v[1:4]
	s_wait_dscnt 0x0
	s_barrier_signal -1
	s_barrier_wait -1
	global_inv scope:SCOPE_SE
	v_cmpx_gt_u32_e32 3, v41
	s_cbranch_execz .LBB13_27
; %bb.24:
	v_dual_mov_b32 v1, 0 :: v_dual_add_nc_u32 v8, 0xe0, v42
	v_mov_b32_e32 v3, 0
	v_dual_mov_b32 v2, 0 :: v_dual_add_nc_u32 v7, -1, v41
	v_mov_b32_e32 v4, 0
	v_or_b32_e32 v9, 8, v43
	s_mov_b32 s3, 0
.LBB13_25:                              ; =>This Inner Loop Header: Depth=1
	scratch_load_b128 v[44:47], v9, off offset:-8
	ds_load_b128 v[48:51], v8
	v_add_nc_u32_e32 v7, 1, v7
	v_add_nc_u32_e32 v8, 16, v8
	v_add_nc_u32_e32 v9, 16, v9
	s_delay_alu instid0(VALU_DEP_3)
	v_cmp_lt_u32_e32 vcc_lo, 1, v7
	s_wait_alu 0xfffe
	s_or_b32 s3, vcc_lo, s3
	s_wait_loadcnt_dscnt 0x0
	v_mul_f64_e32 v[10:11], v[50:51], v[46:47]
	v_mul_f64_e32 v[46:47], v[48:49], v[46:47]
	s_delay_alu instid0(VALU_DEP_2) | instskip(NEXT) | instid1(VALU_DEP_2)
	v_fma_f64 v[10:11], v[48:49], v[44:45], -v[10:11]
	v_fma_f64 v[44:45], v[50:51], v[44:45], v[46:47]
	s_delay_alu instid0(VALU_DEP_2) | instskip(NEXT) | instid1(VALU_DEP_2)
	v_add_f64_e32 v[3:4], v[3:4], v[10:11]
	v_add_f64_e32 v[1:2], v[1:2], v[44:45]
	s_wait_alu 0xfffe
	s_and_not1_b32 exec_lo, exec_lo, s3
	s_cbranch_execnz .LBB13_25
; %bb.26:
	s_or_b32 exec_lo, exec_lo, s3
	v_mov_b32_e32 v7, 0
	ds_load_b128 v[7:10], v7 offset:48
	s_wait_dscnt 0x0
	v_mul_f64_e32 v[11:12], v[1:2], v[9:10]
	v_mul_f64_e32 v[44:45], v[3:4], v[9:10]
	s_delay_alu instid0(VALU_DEP_2) | instskip(NEXT) | instid1(VALU_DEP_2)
	v_fma_f64 v[9:10], v[3:4], v[7:8], -v[11:12]
	v_fma_f64 v[11:12], v[1:2], v[7:8], v[44:45]
	scratch_store_b128 off, v[9:12], off offset:48
.LBB13_27:
	s_wait_alu 0xfffe
	s_or_b32 exec_lo, exec_lo, s2
	s_wait_loadcnt 0x0
	s_wait_storecnt 0x0
	s_barrier_signal -1
	s_barrier_wait -1
	global_inv scope:SCOPE_SE
	scratch_load_b128 v[1:4], off, s10
	s_mov_b32 s2, exec_lo
	s_wait_loadcnt 0x0
	ds_store_b128 v5, v[1:4]
	s_wait_dscnt 0x0
	s_barrier_signal -1
	s_barrier_wait -1
	global_inv scope:SCOPE_SE
	v_cmpx_gt_u32_e32 4, v41
	s_cbranch_execz .LBB13_31
; %bb.28:
	v_dual_mov_b32 v1, 0 :: v_dual_add_nc_u32 v8, 0xe0, v42
	v_mov_b32_e32 v3, 0
	v_dual_mov_b32 v2, 0 :: v_dual_add_nc_u32 v7, -1, v41
	v_mov_b32_e32 v4, 0
	v_or_b32_e32 v9, 8, v43
	s_mov_b32 s3, 0
.LBB13_29:                              ; =>This Inner Loop Header: Depth=1
	scratch_load_b128 v[44:47], v9, off offset:-8
	ds_load_b128 v[48:51], v8
	v_add_nc_u32_e32 v7, 1, v7
	v_add_nc_u32_e32 v8, 16, v8
	v_add_nc_u32_e32 v9, 16, v9
	s_delay_alu instid0(VALU_DEP_3)
	v_cmp_lt_u32_e32 vcc_lo, 2, v7
	s_wait_alu 0xfffe
	s_or_b32 s3, vcc_lo, s3
	s_wait_loadcnt_dscnt 0x0
	v_mul_f64_e32 v[10:11], v[50:51], v[46:47]
	v_mul_f64_e32 v[46:47], v[48:49], v[46:47]
	s_delay_alu instid0(VALU_DEP_2) | instskip(NEXT) | instid1(VALU_DEP_2)
	v_fma_f64 v[10:11], v[48:49], v[44:45], -v[10:11]
	v_fma_f64 v[44:45], v[50:51], v[44:45], v[46:47]
	s_delay_alu instid0(VALU_DEP_2) | instskip(NEXT) | instid1(VALU_DEP_2)
	v_add_f64_e32 v[3:4], v[3:4], v[10:11]
	v_add_f64_e32 v[1:2], v[1:2], v[44:45]
	s_wait_alu 0xfffe
	s_and_not1_b32 exec_lo, exec_lo, s3
	s_cbranch_execnz .LBB13_29
; %bb.30:
	s_or_b32 exec_lo, exec_lo, s3
	v_mov_b32_e32 v7, 0
	ds_load_b128 v[7:10], v7 offset:64
	s_wait_dscnt 0x0
	v_mul_f64_e32 v[11:12], v[1:2], v[9:10]
	v_mul_f64_e32 v[44:45], v[3:4], v[9:10]
	s_delay_alu instid0(VALU_DEP_2) | instskip(NEXT) | instid1(VALU_DEP_2)
	v_fma_f64 v[9:10], v[3:4], v[7:8], -v[11:12]
	v_fma_f64 v[11:12], v[1:2], v[7:8], v[44:45]
	scratch_store_b128 off, v[9:12], off offset:64
.LBB13_31:
	s_wait_alu 0xfffe
	s_or_b32 exec_lo, exec_lo, s2
	s_wait_loadcnt 0x0
	s_wait_storecnt 0x0
	s_barrier_signal -1
	s_barrier_wait -1
	global_inv scope:SCOPE_SE
	scratch_load_b128 v[1:4], off, s9
	;; [unrolled: 58-line block ×10, first 2 shown]
	s_mov_b32 s2, exec_lo
	s_wait_loadcnt 0x0
	ds_store_b128 v5, v[1:4]
	s_wait_dscnt 0x0
	s_barrier_signal -1
	s_barrier_wait -1
	global_inv scope:SCOPE_SE
	v_cmpx_ne_u32_e32 13, v41
	s_cbranch_execz .LBB13_67
; %bb.64:
	v_mov_b32_e32 v1, 0
	v_dual_mov_b32 v2, 0 :: v_dual_mov_b32 v3, 0
	v_mov_b32_e32 v4, 0
	v_or_b32_e32 v7, 8, v43
	s_mov_b32 s3, 0
.LBB13_65:                              ; =>This Inner Loop Header: Depth=1
	scratch_load_b128 v[8:11], v7, off offset:-8
	ds_load_b128 v[42:45], v5
	v_add_nc_u32_e32 v6, 1, v6
	v_add_nc_u32_e32 v5, 16, v5
	;; [unrolled: 1-line block ×3, first 2 shown]
	s_delay_alu instid0(VALU_DEP_3)
	v_cmp_lt_u32_e32 vcc_lo, 11, v6
	s_wait_alu 0xfffe
	s_or_b32 s3, vcc_lo, s3
	s_wait_loadcnt_dscnt 0x0
	v_mul_f64_e32 v[46:47], v[44:45], v[10:11]
	v_mul_f64_e32 v[10:11], v[42:43], v[10:11]
	s_delay_alu instid0(VALU_DEP_2) | instskip(NEXT) | instid1(VALU_DEP_2)
	v_fma_f64 v[42:43], v[42:43], v[8:9], -v[46:47]
	v_fma_f64 v[8:9], v[44:45], v[8:9], v[10:11]
	s_delay_alu instid0(VALU_DEP_2) | instskip(NEXT) | instid1(VALU_DEP_2)
	v_add_f64_e32 v[3:4], v[3:4], v[42:43]
	v_add_f64_e32 v[1:2], v[1:2], v[8:9]
	s_wait_alu 0xfffe
	s_and_not1_b32 exec_lo, exec_lo, s3
	s_cbranch_execnz .LBB13_65
; %bb.66:
	s_or_b32 exec_lo, exec_lo, s3
	v_mov_b32_e32 v5, 0
	ds_load_b128 v[5:8], v5 offset:208
	s_wait_dscnt 0x0
	v_mul_f64_e32 v[9:10], v[1:2], v[7:8]
	v_mul_f64_e32 v[7:8], v[3:4], v[7:8]
	s_delay_alu instid0(VALU_DEP_2) | instskip(NEXT) | instid1(VALU_DEP_2)
	v_fma_f64 v[3:4], v[3:4], v[5:6], -v[9:10]
	v_fma_f64 v[5:6], v[1:2], v[5:6], v[7:8]
	scratch_store_b128 off, v[3:6], off offset:208
.LBB13_67:
	s_wait_alu 0xfffe
	s_or_b32 exec_lo, exec_lo, s2
	s_mov_b32 s3, -1
	s_wait_loadcnt 0x0
	s_wait_storecnt 0x0
	s_barrier_signal -1
	s_barrier_wait -1
	global_inv scope:SCOPE_SE
.LBB13_68:
	s_wait_alu 0xfffe
	s_and_b32 vcc_lo, exec_lo, s3
	s_wait_alu 0xfffe
	s_cbranch_vccz .LBB13_70
; %bb.69:
	v_mov_b32_e32 v1, 0
	s_lshl_b64 s[2:3], s[18:19], 2
	s_wait_alu 0xfffe
	s_add_nc_u64 s[2:3], s[6:7], s[2:3]
	global_load_b32 v1, v1, s[2:3]
	s_wait_loadcnt 0x0
	v_cmp_ne_u32_e32 vcc_lo, 0, v1
	s_cbranch_vccz .LBB13_71
.LBB13_70:
	s_nop 0
	s_sendmsg sendmsg(MSG_DEALLOC_VGPRS)
	s_endpgm
.LBB13_71:
	v_lshl_add_u32 v5, v41, 4, 0xe0
	s_mov_b32 s2, exec_lo
	v_cmpx_eq_u32_e32 13, v41
	s_cbranch_execz .LBB13_73
; %bb.72:
	scratch_load_b128 v[1:4], off, s23
	v_mov_b32_e32 v6, 0
	s_delay_alu instid0(VALU_DEP_1)
	v_dual_mov_b32 v7, v6 :: v_dual_mov_b32 v8, v6
	v_mov_b32_e32 v9, v6
	scratch_store_b128 off, v[6:9], off offset:192
	s_wait_loadcnt 0x0
	ds_store_b128 v5, v[1:4]
.LBB13_73:
	s_wait_alu 0xfffe
	s_or_b32 exec_lo, exec_lo, s2
	s_wait_storecnt_dscnt 0x0
	s_barrier_signal -1
	s_barrier_wait -1
	global_inv scope:SCOPE_SE
	s_clause 0x1
	scratch_load_b128 v[6:9], off, off offset:208
	scratch_load_b128 v[42:45], off, off offset:192
	v_mov_b32_e32 v1, 0
	s_mov_b32 s2, exec_lo
	ds_load_b128 v[46:49], v1 offset:432
	s_wait_loadcnt_dscnt 0x100
	v_mul_f64_e32 v[2:3], v[48:49], v[8:9]
	v_mul_f64_e32 v[8:9], v[46:47], v[8:9]
	s_delay_alu instid0(VALU_DEP_2) | instskip(NEXT) | instid1(VALU_DEP_2)
	v_fma_f64 v[2:3], v[46:47], v[6:7], -v[2:3]
	v_fma_f64 v[6:7], v[48:49], v[6:7], v[8:9]
	s_delay_alu instid0(VALU_DEP_2) | instskip(NEXT) | instid1(VALU_DEP_2)
	v_add_f64_e32 v[2:3], 0, v[2:3]
	v_add_f64_e32 v[8:9], 0, v[6:7]
	s_wait_loadcnt 0x0
	s_delay_alu instid0(VALU_DEP_2) | instskip(NEXT) | instid1(VALU_DEP_2)
	v_add_f64_e64 v[6:7], v[42:43], -v[2:3]
	v_add_f64_e64 v[8:9], v[44:45], -v[8:9]
	scratch_store_b128 off, v[6:9], off offset:192
	v_cmpx_lt_u32_e32 11, v41
	s_cbranch_execz .LBB13_75
; %bb.74:
	scratch_load_b128 v[6:9], off, s15
	v_dual_mov_b32 v2, v1 :: v_dual_mov_b32 v3, v1
	v_mov_b32_e32 v4, v1
	scratch_store_b128 off, v[1:4], off offset:176
	s_wait_loadcnt 0x0
	ds_store_b128 v5, v[6:9]
.LBB13_75:
	s_wait_alu 0xfffe
	s_or_b32 exec_lo, exec_lo, s2
	s_wait_storecnt_dscnt 0x0
	s_barrier_signal -1
	s_barrier_wait -1
	global_inv scope:SCOPE_SE
	s_clause 0x2
	scratch_load_b128 v[6:9], off, off offset:192
	scratch_load_b128 v[42:45], off, off offset:208
	;; [unrolled: 1-line block ×3, first 2 shown]
	ds_load_b128 v[50:53], v1 offset:416
	ds_load_b128 v[1:4], v1 offset:432
	s_mov_b32 s2, exec_lo
	s_wait_loadcnt_dscnt 0x201
	v_mul_f64_e32 v[10:11], v[52:53], v[8:9]
	v_mul_f64_e32 v[8:9], v[50:51], v[8:9]
	s_wait_loadcnt_dscnt 0x100
	v_mul_f64_e32 v[54:55], v[1:2], v[44:45]
	v_mul_f64_e32 v[44:45], v[3:4], v[44:45]
	s_delay_alu instid0(VALU_DEP_4) | instskip(NEXT) | instid1(VALU_DEP_4)
	v_fma_f64 v[10:11], v[50:51], v[6:7], -v[10:11]
	v_fma_f64 v[6:7], v[52:53], v[6:7], v[8:9]
	s_delay_alu instid0(VALU_DEP_4) | instskip(NEXT) | instid1(VALU_DEP_4)
	v_fma_f64 v[3:4], v[3:4], v[42:43], v[54:55]
	v_fma_f64 v[1:2], v[1:2], v[42:43], -v[44:45]
	s_delay_alu instid0(VALU_DEP_4) | instskip(NEXT) | instid1(VALU_DEP_4)
	v_add_f64_e32 v[8:9], 0, v[10:11]
	v_add_f64_e32 v[6:7], 0, v[6:7]
	s_delay_alu instid0(VALU_DEP_2) | instskip(NEXT) | instid1(VALU_DEP_2)
	v_add_f64_e32 v[1:2], v[8:9], v[1:2]
	v_add_f64_e32 v[3:4], v[6:7], v[3:4]
	s_wait_loadcnt 0x0
	s_delay_alu instid0(VALU_DEP_2) | instskip(NEXT) | instid1(VALU_DEP_2)
	v_add_f64_e64 v[1:2], v[46:47], -v[1:2]
	v_add_f64_e64 v[3:4], v[48:49], -v[3:4]
	scratch_store_b128 off, v[1:4], off offset:176
	v_cmpx_lt_u32_e32 10, v41
	s_cbranch_execz .LBB13_77
; %bb.76:
	scratch_load_b128 v[1:4], off, s21
	v_mov_b32_e32 v6, 0
	s_delay_alu instid0(VALU_DEP_1)
	v_dual_mov_b32 v7, v6 :: v_dual_mov_b32 v8, v6
	v_mov_b32_e32 v9, v6
	scratch_store_b128 off, v[6:9], off offset:160
	s_wait_loadcnt 0x0
	ds_store_b128 v5, v[1:4]
.LBB13_77:
	s_wait_alu 0xfffe
	s_or_b32 exec_lo, exec_lo, s2
	s_wait_storecnt_dscnt 0x0
	s_barrier_signal -1
	s_barrier_wait -1
	global_inv scope:SCOPE_SE
	s_clause 0x3
	scratch_load_b128 v[6:9], off, off offset:176
	scratch_load_b128 v[42:45], off, off offset:192
	;; [unrolled: 1-line block ×4, first 2 shown]
	v_mov_b32_e32 v1, 0
	ds_load_b128 v[54:57], v1 offset:400
	ds_load_b128 v[58:61], v1 offset:416
	s_mov_b32 s2, exec_lo
	s_wait_loadcnt_dscnt 0x301
	v_mul_f64_e32 v[2:3], v[56:57], v[8:9]
	v_mul_f64_e32 v[8:9], v[54:55], v[8:9]
	s_wait_loadcnt_dscnt 0x200
	v_mul_f64_e32 v[10:11], v[58:59], v[44:45]
	v_mul_f64_e32 v[44:45], v[60:61], v[44:45]
	s_delay_alu instid0(VALU_DEP_4) | instskip(NEXT) | instid1(VALU_DEP_4)
	v_fma_f64 v[2:3], v[54:55], v[6:7], -v[2:3]
	v_fma_f64 v[54:55], v[56:57], v[6:7], v[8:9]
	ds_load_b128 v[6:9], v1 offset:432
	v_fma_f64 v[10:11], v[60:61], v[42:43], v[10:11]
	v_fma_f64 v[42:43], v[58:59], v[42:43], -v[44:45]
	s_wait_loadcnt_dscnt 0x100
	v_mul_f64_e32 v[56:57], v[6:7], v[48:49]
	v_mul_f64_e32 v[48:49], v[8:9], v[48:49]
	v_add_f64_e32 v[2:3], 0, v[2:3]
	v_add_f64_e32 v[44:45], 0, v[54:55]
	s_delay_alu instid0(VALU_DEP_4) | instskip(NEXT) | instid1(VALU_DEP_4)
	v_fma_f64 v[8:9], v[8:9], v[46:47], v[56:57]
	v_fma_f64 v[6:7], v[6:7], v[46:47], -v[48:49]
	s_delay_alu instid0(VALU_DEP_4) | instskip(NEXT) | instid1(VALU_DEP_4)
	v_add_f64_e32 v[2:3], v[2:3], v[42:43]
	v_add_f64_e32 v[10:11], v[44:45], v[10:11]
	s_delay_alu instid0(VALU_DEP_2) | instskip(NEXT) | instid1(VALU_DEP_2)
	v_add_f64_e32 v[2:3], v[2:3], v[6:7]
	v_add_f64_e32 v[8:9], v[10:11], v[8:9]
	s_wait_loadcnt 0x0
	s_delay_alu instid0(VALU_DEP_2) | instskip(NEXT) | instid1(VALU_DEP_2)
	v_add_f64_e64 v[6:7], v[50:51], -v[2:3]
	v_add_f64_e64 v[8:9], v[52:53], -v[8:9]
	scratch_store_b128 off, v[6:9], off offset:160
	v_cmpx_lt_u32_e32 9, v41
	s_cbranch_execz .LBB13_79
; %bb.78:
	scratch_load_b128 v[6:9], off, s13
	v_dual_mov_b32 v2, v1 :: v_dual_mov_b32 v3, v1
	v_mov_b32_e32 v4, v1
	scratch_store_b128 off, v[1:4], off offset:144
	s_wait_loadcnt 0x0
	ds_store_b128 v5, v[6:9]
.LBB13_79:
	s_wait_alu 0xfffe
	s_or_b32 exec_lo, exec_lo, s2
	s_wait_storecnt_dscnt 0x0
	s_barrier_signal -1
	s_barrier_wait -1
	global_inv scope:SCOPE_SE
	s_clause 0x4
	scratch_load_b128 v[6:9], off, off offset:160
	scratch_load_b128 v[42:45], off, off offset:176
	;; [unrolled: 1-line block ×5, first 2 shown]
	ds_load_b128 v[58:61], v1 offset:384
	ds_load_b128 v[62:65], v1 offset:400
	s_mov_b32 s2, exec_lo
	s_wait_loadcnt_dscnt 0x401
	v_mul_f64_e32 v[2:3], v[60:61], v[8:9]
	v_mul_f64_e32 v[8:9], v[58:59], v[8:9]
	s_wait_loadcnt_dscnt 0x300
	v_mul_f64_e32 v[10:11], v[62:63], v[44:45]
	v_mul_f64_e32 v[44:45], v[64:65], v[44:45]
	s_delay_alu instid0(VALU_DEP_4) | instskip(NEXT) | instid1(VALU_DEP_4)
	v_fma_f64 v[58:59], v[58:59], v[6:7], -v[2:3]
	v_fma_f64 v[60:61], v[60:61], v[6:7], v[8:9]
	ds_load_b128 v[6:9], v1 offset:416
	ds_load_b128 v[1:4], v1 offset:432
	v_fma_f64 v[10:11], v[64:65], v[42:43], v[10:11]
	v_fma_f64 v[42:43], v[62:63], v[42:43], -v[44:45]
	s_wait_loadcnt_dscnt 0x201
	v_mul_f64_e32 v[66:67], v[6:7], v[48:49]
	v_mul_f64_e32 v[48:49], v[8:9], v[48:49]
	v_add_f64_e32 v[44:45], 0, v[58:59]
	v_add_f64_e32 v[58:59], 0, v[60:61]
	s_wait_loadcnt_dscnt 0x100
	v_mul_f64_e32 v[60:61], v[1:2], v[52:53]
	v_mul_f64_e32 v[52:53], v[3:4], v[52:53]
	v_fma_f64 v[8:9], v[8:9], v[46:47], v[66:67]
	v_fma_f64 v[6:7], v[6:7], v[46:47], -v[48:49]
	v_add_f64_e32 v[42:43], v[44:45], v[42:43]
	v_add_f64_e32 v[10:11], v[58:59], v[10:11]
	v_fma_f64 v[3:4], v[3:4], v[50:51], v[60:61]
	v_fma_f64 v[1:2], v[1:2], v[50:51], -v[52:53]
	s_delay_alu instid0(VALU_DEP_4) | instskip(NEXT) | instid1(VALU_DEP_4)
	v_add_f64_e32 v[6:7], v[42:43], v[6:7]
	v_add_f64_e32 v[8:9], v[10:11], v[8:9]
	s_delay_alu instid0(VALU_DEP_2) | instskip(NEXT) | instid1(VALU_DEP_2)
	v_add_f64_e32 v[1:2], v[6:7], v[1:2]
	v_add_f64_e32 v[3:4], v[8:9], v[3:4]
	s_wait_loadcnt 0x0
	s_delay_alu instid0(VALU_DEP_2) | instskip(NEXT) | instid1(VALU_DEP_2)
	v_add_f64_e64 v[1:2], v[54:55], -v[1:2]
	v_add_f64_e64 v[3:4], v[56:57], -v[3:4]
	scratch_store_b128 off, v[1:4], off offset:144
	v_cmpx_lt_u32_e32 8, v41
	s_cbranch_execz .LBB13_81
; %bb.80:
	scratch_load_b128 v[1:4], off, s14
	v_mov_b32_e32 v6, 0
	s_delay_alu instid0(VALU_DEP_1)
	v_dual_mov_b32 v7, v6 :: v_dual_mov_b32 v8, v6
	v_mov_b32_e32 v9, v6
	scratch_store_b128 off, v[6:9], off offset:128
	s_wait_loadcnt 0x0
	ds_store_b128 v5, v[1:4]
.LBB13_81:
	s_wait_alu 0xfffe
	s_or_b32 exec_lo, exec_lo, s2
	s_wait_storecnt_dscnt 0x0
	s_barrier_signal -1
	s_barrier_wait -1
	global_inv scope:SCOPE_SE
	s_clause 0x5
	scratch_load_b128 v[6:9], off, off offset:144
	scratch_load_b128 v[42:45], off, off offset:160
	;; [unrolled: 1-line block ×6, first 2 shown]
	v_mov_b32_e32 v1, 0
	ds_load_b128 v[62:65], v1 offset:368
	ds_load_b128 v[66:69], v1 offset:384
	s_mov_b32 s2, exec_lo
	s_wait_loadcnt_dscnt 0x501
	v_mul_f64_e32 v[2:3], v[64:65], v[8:9]
	v_mul_f64_e32 v[8:9], v[62:63], v[8:9]
	s_wait_loadcnt_dscnt 0x400
	v_mul_f64_e32 v[10:11], v[66:67], v[44:45]
	v_mul_f64_e32 v[44:45], v[68:69], v[44:45]
	s_delay_alu instid0(VALU_DEP_4) | instskip(NEXT) | instid1(VALU_DEP_4)
	v_fma_f64 v[2:3], v[62:63], v[6:7], -v[2:3]
	v_fma_f64 v[70:71], v[64:65], v[6:7], v[8:9]
	ds_load_b128 v[6:9], v1 offset:400
	ds_load_b128 v[62:65], v1 offset:416
	v_fma_f64 v[10:11], v[68:69], v[42:43], v[10:11]
	v_fma_f64 v[42:43], v[66:67], v[42:43], -v[44:45]
	s_wait_loadcnt_dscnt 0x301
	v_mul_f64_e32 v[72:73], v[6:7], v[48:49]
	v_mul_f64_e32 v[48:49], v[8:9], v[48:49]
	s_wait_loadcnt_dscnt 0x200
	v_mul_f64_e32 v[66:67], v[62:63], v[52:53]
	v_mul_f64_e32 v[52:53], v[64:65], v[52:53]
	v_add_f64_e32 v[2:3], 0, v[2:3]
	v_add_f64_e32 v[44:45], 0, v[70:71]
	v_fma_f64 v[68:69], v[8:9], v[46:47], v[72:73]
	v_fma_f64 v[46:47], v[6:7], v[46:47], -v[48:49]
	ds_load_b128 v[6:9], v1 offset:432
	v_fma_f64 v[48:49], v[64:65], v[50:51], v[66:67]
	v_fma_f64 v[50:51], v[62:63], v[50:51], -v[52:53]
	v_add_f64_e32 v[2:3], v[2:3], v[42:43]
	v_add_f64_e32 v[10:11], v[44:45], v[10:11]
	s_wait_loadcnt_dscnt 0x100
	v_mul_f64_e32 v[42:43], v[6:7], v[56:57]
	v_mul_f64_e32 v[44:45], v[8:9], v[56:57]
	s_delay_alu instid0(VALU_DEP_4) | instskip(NEXT) | instid1(VALU_DEP_4)
	v_add_f64_e32 v[2:3], v[2:3], v[46:47]
	v_add_f64_e32 v[10:11], v[10:11], v[68:69]
	s_delay_alu instid0(VALU_DEP_4) | instskip(NEXT) | instid1(VALU_DEP_4)
	v_fma_f64 v[8:9], v[8:9], v[54:55], v[42:43]
	v_fma_f64 v[6:7], v[6:7], v[54:55], -v[44:45]
	s_delay_alu instid0(VALU_DEP_4) | instskip(NEXT) | instid1(VALU_DEP_4)
	v_add_f64_e32 v[2:3], v[2:3], v[50:51]
	v_add_f64_e32 v[10:11], v[10:11], v[48:49]
	s_delay_alu instid0(VALU_DEP_2) | instskip(NEXT) | instid1(VALU_DEP_2)
	v_add_f64_e32 v[2:3], v[2:3], v[6:7]
	v_add_f64_e32 v[8:9], v[10:11], v[8:9]
	s_wait_loadcnt 0x0
	s_delay_alu instid0(VALU_DEP_2) | instskip(NEXT) | instid1(VALU_DEP_2)
	v_add_f64_e64 v[6:7], v[58:59], -v[2:3]
	v_add_f64_e64 v[8:9], v[60:61], -v[8:9]
	scratch_store_b128 off, v[6:9], off offset:128
	v_cmpx_lt_u32_e32 7, v41
	s_cbranch_execz .LBB13_83
; %bb.82:
	scratch_load_b128 v[6:9], off, s11
	v_dual_mov_b32 v2, v1 :: v_dual_mov_b32 v3, v1
	v_mov_b32_e32 v4, v1
	scratch_store_b128 off, v[1:4], off offset:112
	s_wait_loadcnt 0x0
	ds_store_b128 v5, v[6:9]
.LBB13_83:
	s_wait_alu 0xfffe
	s_or_b32 exec_lo, exec_lo, s2
	s_wait_storecnt_dscnt 0x0
	s_barrier_signal -1
	s_barrier_wait -1
	global_inv scope:SCOPE_SE
	s_clause 0x5
	scratch_load_b128 v[6:9], off, off offset:128
	scratch_load_b128 v[42:45], off, off offset:144
	;; [unrolled: 1-line block ×6, first 2 shown]
	ds_load_b128 v[62:65], v1 offset:352
	ds_load_b128 v[70:73], v1 offset:368
	scratch_load_b128 v[66:69], off, off offset:112
	s_mov_b32 s2, exec_lo
	s_wait_loadcnt_dscnt 0x601
	v_mul_f64_e32 v[2:3], v[64:65], v[8:9]
	v_mul_f64_e32 v[8:9], v[62:63], v[8:9]
	s_wait_loadcnt_dscnt 0x500
	v_mul_f64_e32 v[10:11], v[70:71], v[44:45]
	v_mul_f64_e32 v[44:45], v[72:73], v[44:45]
	s_delay_alu instid0(VALU_DEP_4) | instskip(NEXT) | instid1(VALU_DEP_4)
	v_fma_f64 v[2:3], v[62:63], v[6:7], -v[2:3]
	v_fma_f64 v[74:75], v[64:65], v[6:7], v[8:9]
	ds_load_b128 v[6:9], v1 offset:384
	ds_load_b128 v[62:65], v1 offset:400
	v_fma_f64 v[10:11], v[72:73], v[42:43], v[10:11]
	v_fma_f64 v[42:43], v[70:71], v[42:43], -v[44:45]
	s_wait_loadcnt_dscnt 0x401
	v_mul_f64_e32 v[76:77], v[6:7], v[48:49]
	v_mul_f64_e32 v[48:49], v[8:9], v[48:49]
	s_wait_loadcnt_dscnt 0x300
	v_mul_f64_e32 v[70:71], v[62:63], v[52:53]
	v_mul_f64_e32 v[52:53], v[64:65], v[52:53]
	v_add_f64_e32 v[2:3], 0, v[2:3]
	v_add_f64_e32 v[44:45], 0, v[74:75]
	v_fma_f64 v[72:73], v[8:9], v[46:47], v[76:77]
	v_fma_f64 v[46:47], v[6:7], v[46:47], -v[48:49]
	s_delay_alu instid0(VALU_DEP_4) | instskip(NEXT) | instid1(VALU_DEP_4)
	v_add_f64_e32 v[42:43], v[2:3], v[42:43]
	v_add_f64_e32 v[10:11], v[44:45], v[10:11]
	ds_load_b128 v[6:9], v1 offset:416
	ds_load_b128 v[1:4], v1 offset:432
	s_wait_loadcnt_dscnt 0x201
	v_mul_f64_e32 v[44:45], v[6:7], v[56:57]
	v_mul_f64_e32 v[48:49], v[8:9], v[56:57]
	v_fma_f64 v[56:57], v[64:65], v[50:51], v[70:71]
	v_fma_f64 v[50:51], v[62:63], v[50:51], -v[52:53]
	s_wait_loadcnt_dscnt 0x100
	v_mul_f64_e32 v[52:53], v[3:4], v[60:61]
	v_add_f64_e32 v[42:43], v[42:43], v[46:47]
	v_add_f64_e32 v[10:11], v[10:11], v[72:73]
	v_mul_f64_e32 v[46:47], v[1:2], v[60:61]
	v_fma_f64 v[8:9], v[8:9], v[54:55], v[44:45]
	v_fma_f64 v[6:7], v[6:7], v[54:55], -v[48:49]
	v_fma_f64 v[1:2], v[1:2], v[58:59], -v[52:53]
	v_add_f64_e32 v[42:43], v[42:43], v[50:51]
	v_add_f64_e32 v[10:11], v[10:11], v[56:57]
	v_fma_f64 v[3:4], v[3:4], v[58:59], v[46:47]
	s_delay_alu instid0(VALU_DEP_3) | instskip(NEXT) | instid1(VALU_DEP_3)
	v_add_f64_e32 v[6:7], v[42:43], v[6:7]
	v_add_f64_e32 v[8:9], v[10:11], v[8:9]
	s_delay_alu instid0(VALU_DEP_2) | instskip(NEXT) | instid1(VALU_DEP_2)
	v_add_f64_e32 v[1:2], v[6:7], v[1:2]
	v_add_f64_e32 v[3:4], v[8:9], v[3:4]
	s_wait_loadcnt 0x0
	s_delay_alu instid0(VALU_DEP_2) | instskip(NEXT) | instid1(VALU_DEP_2)
	v_add_f64_e64 v[1:2], v[66:67], -v[1:2]
	v_add_f64_e64 v[3:4], v[68:69], -v[3:4]
	scratch_store_b128 off, v[1:4], off offset:112
	v_cmpx_lt_u32_e32 6, v41
	s_cbranch_execz .LBB13_85
; %bb.84:
	scratch_load_b128 v[1:4], off, s12
	v_mov_b32_e32 v6, 0
	s_delay_alu instid0(VALU_DEP_1)
	v_dual_mov_b32 v7, v6 :: v_dual_mov_b32 v8, v6
	v_mov_b32_e32 v9, v6
	scratch_store_b128 off, v[6:9], off offset:96
	s_wait_loadcnt 0x0
	ds_store_b128 v5, v[1:4]
.LBB13_85:
	s_wait_alu 0xfffe
	s_or_b32 exec_lo, exec_lo, s2
	s_wait_storecnt_dscnt 0x0
	s_barrier_signal -1
	s_barrier_wait -1
	global_inv scope:SCOPE_SE
	s_clause 0x6
	scratch_load_b128 v[6:9], off, off offset:112
	scratch_load_b128 v[42:45], off, off offset:128
	;; [unrolled: 1-line block ×7, first 2 shown]
	v_mov_b32_e32 v1, 0
	scratch_load_b128 v[70:73], off, off offset:96
	s_mov_b32 s2, exec_lo
	ds_load_b128 v[66:69], v1 offset:336
	ds_load_b128 v[74:77], v1 offset:352
	s_wait_loadcnt_dscnt 0x701
	v_mul_f64_e32 v[2:3], v[68:69], v[8:9]
	v_mul_f64_e32 v[8:9], v[66:67], v[8:9]
	s_wait_loadcnt_dscnt 0x600
	v_mul_f64_e32 v[10:11], v[74:75], v[44:45]
	v_mul_f64_e32 v[44:45], v[76:77], v[44:45]
	s_delay_alu instid0(VALU_DEP_4) | instskip(NEXT) | instid1(VALU_DEP_4)
	v_fma_f64 v[2:3], v[66:67], v[6:7], -v[2:3]
	v_fma_f64 v[78:79], v[68:69], v[6:7], v[8:9]
	ds_load_b128 v[6:9], v1 offset:368
	ds_load_b128 v[66:69], v1 offset:384
	v_fma_f64 v[10:11], v[76:77], v[42:43], v[10:11]
	v_fma_f64 v[42:43], v[74:75], v[42:43], -v[44:45]
	s_wait_loadcnt_dscnt 0x501
	v_mul_f64_e32 v[80:81], v[6:7], v[48:49]
	v_mul_f64_e32 v[48:49], v[8:9], v[48:49]
	s_wait_loadcnt_dscnt 0x400
	v_mul_f64_e32 v[74:75], v[66:67], v[52:53]
	v_mul_f64_e32 v[52:53], v[68:69], v[52:53]
	v_add_f64_e32 v[2:3], 0, v[2:3]
	v_add_f64_e32 v[44:45], 0, v[78:79]
	v_fma_f64 v[76:77], v[8:9], v[46:47], v[80:81]
	v_fma_f64 v[46:47], v[6:7], v[46:47], -v[48:49]
	v_fma_f64 v[68:69], v[68:69], v[50:51], v[74:75]
	v_fma_f64 v[50:51], v[66:67], v[50:51], -v[52:53]
	v_add_f64_e32 v[2:3], v[2:3], v[42:43]
	v_add_f64_e32 v[10:11], v[44:45], v[10:11]
	ds_load_b128 v[6:9], v1 offset:400
	ds_load_b128 v[42:45], v1 offset:416
	s_wait_loadcnt_dscnt 0x301
	v_mul_f64_e32 v[48:49], v[6:7], v[56:57]
	v_mul_f64_e32 v[56:57], v[8:9], v[56:57]
	s_wait_loadcnt_dscnt 0x200
	v_mul_f64_e32 v[52:53], v[44:45], v[60:61]
	v_add_f64_e32 v[2:3], v[2:3], v[46:47]
	v_add_f64_e32 v[10:11], v[10:11], v[76:77]
	v_mul_f64_e32 v[46:47], v[42:43], v[60:61]
	v_fma_f64 v[48:49], v[8:9], v[54:55], v[48:49]
	v_fma_f64 v[54:55], v[6:7], v[54:55], -v[56:57]
	ds_load_b128 v[6:9], v1 offset:432
	v_fma_f64 v[42:43], v[42:43], v[58:59], -v[52:53]
	v_add_f64_e32 v[2:3], v[2:3], v[50:51]
	v_add_f64_e32 v[10:11], v[10:11], v[68:69]
	v_fma_f64 v[44:45], v[44:45], v[58:59], v[46:47]
	s_wait_loadcnt_dscnt 0x100
	v_mul_f64_e32 v[50:51], v[6:7], v[64:65]
	v_mul_f64_e32 v[56:57], v[8:9], v[64:65]
	v_add_f64_e32 v[2:3], v[2:3], v[54:55]
	v_add_f64_e32 v[10:11], v[10:11], v[48:49]
	s_delay_alu instid0(VALU_DEP_4) | instskip(NEXT) | instid1(VALU_DEP_4)
	v_fma_f64 v[8:9], v[8:9], v[62:63], v[50:51]
	v_fma_f64 v[6:7], v[6:7], v[62:63], -v[56:57]
	s_delay_alu instid0(VALU_DEP_4) | instskip(NEXT) | instid1(VALU_DEP_4)
	v_add_f64_e32 v[2:3], v[2:3], v[42:43]
	v_add_f64_e32 v[10:11], v[10:11], v[44:45]
	s_delay_alu instid0(VALU_DEP_2) | instskip(NEXT) | instid1(VALU_DEP_2)
	v_add_f64_e32 v[2:3], v[2:3], v[6:7]
	v_add_f64_e32 v[8:9], v[10:11], v[8:9]
	s_wait_loadcnt 0x0
	s_delay_alu instid0(VALU_DEP_2) | instskip(NEXT) | instid1(VALU_DEP_2)
	v_add_f64_e64 v[6:7], v[70:71], -v[2:3]
	v_add_f64_e64 v[8:9], v[72:73], -v[8:9]
	scratch_store_b128 off, v[6:9], off offset:96
	v_cmpx_lt_u32_e32 5, v41
	s_cbranch_execz .LBB13_87
; %bb.86:
	scratch_load_b128 v[6:9], off, s9
	v_dual_mov_b32 v2, v1 :: v_dual_mov_b32 v3, v1
	v_mov_b32_e32 v4, v1
	scratch_store_b128 off, v[1:4], off offset:80
	s_wait_loadcnt 0x0
	ds_store_b128 v5, v[6:9]
.LBB13_87:
	s_wait_alu 0xfffe
	s_or_b32 exec_lo, exec_lo, s2
	s_wait_storecnt_dscnt 0x0
	s_barrier_signal -1
	s_barrier_wait -1
	global_inv scope:SCOPE_SE
	s_clause 0x7
	scratch_load_b128 v[6:9], off, off offset:96
	scratch_load_b128 v[42:45], off, off offset:112
	;; [unrolled: 1-line block ×8, first 2 shown]
	ds_load_b128 v[70:73], v1 offset:320
	ds_load_b128 v[74:77], v1 offset:336
	scratch_load_b128 v[78:81], off, off offset:80
	s_mov_b32 s2, exec_lo
	s_wait_loadcnt_dscnt 0x801
	v_mul_f64_e32 v[2:3], v[72:73], v[8:9]
	v_mul_f64_e32 v[8:9], v[70:71], v[8:9]
	s_wait_loadcnt_dscnt 0x700
	v_mul_f64_e32 v[10:11], v[74:75], v[44:45]
	v_mul_f64_e32 v[44:45], v[76:77], v[44:45]
	s_delay_alu instid0(VALU_DEP_4) | instskip(NEXT) | instid1(VALU_DEP_4)
	v_fma_f64 v[2:3], v[70:71], v[6:7], -v[2:3]
	v_fma_f64 v[82:83], v[72:73], v[6:7], v[8:9]
	ds_load_b128 v[6:9], v1 offset:352
	ds_load_b128 v[70:73], v1 offset:368
	v_fma_f64 v[10:11], v[76:77], v[42:43], v[10:11]
	v_fma_f64 v[42:43], v[74:75], v[42:43], -v[44:45]
	s_wait_loadcnt_dscnt 0x601
	v_mul_f64_e32 v[84:85], v[6:7], v[48:49]
	v_mul_f64_e32 v[48:49], v[8:9], v[48:49]
	s_wait_loadcnt_dscnt 0x500
	v_mul_f64_e32 v[74:75], v[70:71], v[52:53]
	v_mul_f64_e32 v[52:53], v[72:73], v[52:53]
	v_add_f64_e32 v[2:3], 0, v[2:3]
	v_add_f64_e32 v[44:45], 0, v[82:83]
	v_fma_f64 v[76:77], v[8:9], v[46:47], v[84:85]
	v_fma_f64 v[46:47], v[6:7], v[46:47], -v[48:49]
	v_fma_f64 v[72:73], v[72:73], v[50:51], v[74:75]
	v_fma_f64 v[50:51], v[70:71], v[50:51], -v[52:53]
	v_add_f64_e32 v[2:3], v[2:3], v[42:43]
	v_add_f64_e32 v[10:11], v[44:45], v[10:11]
	ds_load_b128 v[6:9], v1 offset:384
	ds_load_b128 v[42:45], v1 offset:400
	s_wait_loadcnt_dscnt 0x401
	v_mul_f64_e32 v[48:49], v[6:7], v[56:57]
	v_mul_f64_e32 v[56:57], v[8:9], v[56:57]
	s_wait_loadcnt_dscnt 0x300
	v_mul_f64_e32 v[52:53], v[44:45], v[60:61]
	v_add_f64_e32 v[2:3], v[2:3], v[46:47]
	v_add_f64_e32 v[10:11], v[10:11], v[76:77]
	v_mul_f64_e32 v[46:47], v[42:43], v[60:61]
	v_fma_f64 v[48:49], v[8:9], v[54:55], v[48:49]
	v_fma_f64 v[54:55], v[6:7], v[54:55], -v[56:57]
	v_fma_f64 v[42:43], v[42:43], v[58:59], -v[52:53]
	v_add_f64_e32 v[50:51], v[2:3], v[50:51]
	v_add_f64_e32 v[10:11], v[10:11], v[72:73]
	ds_load_b128 v[6:9], v1 offset:416
	ds_load_b128 v[1:4], v1 offset:432
	v_fma_f64 v[44:45], v[44:45], v[58:59], v[46:47]
	s_wait_loadcnt_dscnt 0x201
	v_mul_f64_e32 v[56:57], v[6:7], v[64:65]
	v_mul_f64_e32 v[60:61], v[8:9], v[64:65]
	v_add_f64_e32 v[46:47], v[50:51], v[54:55]
	v_add_f64_e32 v[10:11], v[10:11], v[48:49]
	s_wait_loadcnt_dscnt 0x100
	v_mul_f64_e32 v[48:49], v[1:2], v[68:69]
	v_mul_f64_e32 v[50:51], v[3:4], v[68:69]
	v_fma_f64 v[8:9], v[8:9], v[62:63], v[56:57]
	v_fma_f64 v[6:7], v[6:7], v[62:63], -v[60:61]
	v_add_f64_e32 v[42:43], v[46:47], v[42:43]
	v_add_f64_e32 v[10:11], v[10:11], v[44:45]
	v_fma_f64 v[3:4], v[3:4], v[66:67], v[48:49]
	v_fma_f64 v[1:2], v[1:2], v[66:67], -v[50:51]
	s_delay_alu instid0(VALU_DEP_4) | instskip(NEXT) | instid1(VALU_DEP_4)
	v_add_f64_e32 v[6:7], v[42:43], v[6:7]
	v_add_f64_e32 v[8:9], v[10:11], v[8:9]
	s_delay_alu instid0(VALU_DEP_2) | instskip(NEXT) | instid1(VALU_DEP_2)
	v_add_f64_e32 v[1:2], v[6:7], v[1:2]
	v_add_f64_e32 v[3:4], v[8:9], v[3:4]
	s_wait_loadcnt 0x0
	s_delay_alu instid0(VALU_DEP_2) | instskip(NEXT) | instid1(VALU_DEP_2)
	v_add_f64_e64 v[1:2], v[78:79], -v[1:2]
	v_add_f64_e64 v[3:4], v[80:81], -v[3:4]
	scratch_store_b128 off, v[1:4], off offset:80
	v_cmpx_lt_u32_e32 4, v41
	s_cbranch_execz .LBB13_89
; %bb.88:
	scratch_load_b128 v[1:4], off, s10
	v_mov_b32_e32 v6, 0
	s_delay_alu instid0(VALU_DEP_1)
	v_dual_mov_b32 v7, v6 :: v_dual_mov_b32 v8, v6
	v_mov_b32_e32 v9, v6
	scratch_store_b128 off, v[6:9], off offset:64
	s_wait_loadcnt 0x0
	ds_store_b128 v5, v[1:4]
.LBB13_89:
	s_wait_alu 0xfffe
	s_or_b32 exec_lo, exec_lo, s2
	s_wait_storecnt_dscnt 0x0
	s_barrier_signal -1
	s_barrier_wait -1
	global_inv scope:SCOPE_SE
	s_clause 0x7
	scratch_load_b128 v[6:9], off, off offset:80
	scratch_load_b128 v[42:45], off, off offset:96
	;; [unrolled: 1-line block ×8, first 2 shown]
	v_mov_b32_e32 v1, 0
	s_mov_b32 s2, exec_lo
	ds_load_b128 v[70:73], v1 offset:304
	s_clause 0x1
	scratch_load_b128 v[74:77], off, off offset:208
	scratch_load_b128 v[78:81], off, off offset:64
	ds_load_b128 v[82:85], v1 offset:320
	s_wait_loadcnt_dscnt 0x901
	v_mul_f64_e32 v[2:3], v[72:73], v[8:9]
	v_mul_f64_e32 v[8:9], v[70:71], v[8:9]
	s_wait_loadcnt_dscnt 0x800
	v_mul_f64_e32 v[10:11], v[82:83], v[44:45]
	v_mul_f64_e32 v[44:45], v[84:85], v[44:45]
	s_delay_alu instid0(VALU_DEP_4) | instskip(NEXT) | instid1(VALU_DEP_4)
	v_fma_f64 v[2:3], v[70:71], v[6:7], -v[2:3]
	v_fma_f64 v[86:87], v[72:73], v[6:7], v[8:9]
	ds_load_b128 v[6:9], v1 offset:336
	ds_load_b128 v[70:73], v1 offset:352
	v_fma_f64 v[10:11], v[84:85], v[42:43], v[10:11]
	v_fma_f64 v[42:43], v[82:83], v[42:43], -v[44:45]
	s_wait_loadcnt_dscnt 0x701
	v_mul_f64_e32 v[88:89], v[6:7], v[48:49]
	v_mul_f64_e32 v[48:49], v[8:9], v[48:49]
	s_wait_loadcnt_dscnt 0x600
	v_mul_f64_e32 v[82:83], v[70:71], v[52:53]
	v_mul_f64_e32 v[52:53], v[72:73], v[52:53]
	v_add_f64_e32 v[2:3], 0, v[2:3]
	v_add_f64_e32 v[44:45], 0, v[86:87]
	v_fma_f64 v[84:85], v[8:9], v[46:47], v[88:89]
	v_fma_f64 v[46:47], v[6:7], v[46:47], -v[48:49]
	v_fma_f64 v[72:73], v[72:73], v[50:51], v[82:83]
	v_fma_f64 v[50:51], v[70:71], v[50:51], -v[52:53]
	v_add_f64_e32 v[2:3], v[2:3], v[42:43]
	v_add_f64_e32 v[10:11], v[44:45], v[10:11]
	ds_load_b128 v[6:9], v1 offset:368
	ds_load_b128 v[42:45], v1 offset:384
	s_wait_loadcnt_dscnt 0x501
	v_mul_f64_e32 v[48:49], v[6:7], v[56:57]
	v_mul_f64_e32 v[56:57], v[8:9], v[56:57]
	s_wait_loadcnt_dscnt 0x400
	v_mul_f64_e32 v[52:53], v[42:43], v[60:61]
	v_mul_f64_e32 v[60:61], v[44:45], v[60:61]
	v_add_f64_e32 v[2:3], v[2:3], v[46:47]
	v_add_f64_e32 v[10:11], v[10:11], v[84:85]
	v_fma_f64 v[70:71], v[8:9], v[54:55], v[48:49]
	v_fma_f64 v[54:55], v[6:7], v[54:55], -v[56:57]
	ds_load_b128 v[6:9], v1 offset:400
	ds_load_b128 v[46:49], v1 offset:416
	v_fma_f64 v[44:45], v[44:45], v[58:59], v[52:53]
	v_fma_f64 v[42:43], v[42:43], v[58:59], -v[60:61]
	v_add_f64_e32 v[2:3], v[2:3], v[50:51]
	v_add_f64_e32 v[10:11], v[10:11], v[72:73]
	s_wait_loadcnt_dscnt 0x301
	v_mul_f64_e32 v[50:51], v[6:7], v[64:65]
	v_mul_f64_e32 v[56:57], v[8:9], v[64:65]
	s_wait_loadcnt_dscnt 0x200
	v_mul_f64_e32 v[52:53], v[46:47], v[68:69]
	v_add_f64_e32 v[2:3], v[2:3], v[54:55]
	v_add_f64_e32 v[10:11], v[10:11], v[70:71]
	v_mul_f64_e32 v[54:55], v[48:49], v[68:69]
	v_fma_f64 v[50:51], v[8:9], v[62:63], v[50:51]
	v_fma_f64 v[56:57], v[6:7], v[62:63], -v[56:57]
	ds_load_b128 v[6:9], v1 offset:432
	v_fma_f64 v[48:49], v[48:49], v[66:67], v[52:53]
	v_add_f64_e32 v[2:3], v[2:3], v[42:43]
	v_add_f64_e32 v[10:11], v[10:11], v[44:45]
	s_wait_loadcnt_dscnt 0x100
	v_mul_f64_e32 v[42:43], v[6:7], v[76:77]
	v_mul_f64_e32 v[44:45], v[8:9], v[76:77]
	v_fma_f64 v[46:47], v[46:47], v[66:67], -v[54:55]
	v_add_f64_e32 v[2:3], v[2:3], v[56:57]
	v_add_f64_e32 v[10:11], v[10:11], v[50:51]
	v_fma_f64 v[8:9], v[8:9], v[74:75], v[42:43]
	v_fma_f64 v[6:7], v[6:7], v[74:75], -v[44:45]
	s_delay_alu instid0(VALU_DEP_4) | instskip(NEXT) | instid1(VALU_DEP_4)
	v_add_f64_e32 v[2:3], v[2:3], v[46:47]
	v_add_f64_e32 v[10:11], v[10:11], v[48:49]
	s_delay_alu instid0(VALU_DEP_2) | instskip(NEXT) | instid1(VALU_DEP_2)
	v_add_f64_e32 v[2:3], v[2:3], v[6:7]
	v_add_f64_e32 v[8:9], v[10:11], v[8:9]
	s_wait_loadcnt 0x0
	s_delay_alu instid0(VALU_DEP_2) | instskip(NEXT) | instid1(VALU_DEP_2)
	v_add_f64_e64 v[6:7], v[78:79], -v[2:3]
	v_add_f64_e64 v[8:9], v[80:81], -v[8:9]
	scratch_store_b128 off, v[6:9], off offset:64
	v_cmpx_lt_u32_e32 3, v41
	s_cbranch_execz .LBB13_91
; %bb.90:
	scratch_load_b128 v[6:9], off, s5
	v_dual_mov_b32 v2, v1 :: v_dual_mov_b32 v3, v1
	v_mov_b32_e32 v4, v1
	scratch_store_b128 off, v[1:4], off offset:48
	s_wait_loadcnt 0x0
	ds_store_b128 v5, v[6:9]
.LBB13_91:
	s_wait_alu 0xfffe
	s_or_b32 exec_lo, exec_lo, s2
	s_wait_storecnt_dscnt 0x0
	s_barrier_signal -1
	s_barrier_wait -1
	global_inv scope:SCOPE_SE
	s_clause 0x8
	scratch_load_b128 v[6:9], off, off offset:64
	scratch_load_b128 v[42:45], off, off offset:80
	;; [unrolled: 1-line block ×9, first 2 shown]
	ds_load_b128 v[74:77], v1 offset:288
	ds_load_b128 v[78:81], v1 offset:304
	scratch_load_b128 v[82:85], off, off offset:48
	s_mov_b32 s2, exec_lo
	s_wait_loadcnt_dscnt 0x901
	v_mul_f64_e32 v[2:3], v[76:77], v[8:9]
	v_mul_f64_e32 v[86:87], v[74:75], v[8:9]
	scratch_load_b128 v[8:11], off, off offset:208
	s_wait_loadcnt_dscnt 0x900
	v_mul_f64_e32 v[90:91], v[78:79], v[44:45]
	v_mul_f64_e32 v[44:45], v[80:81], v[44:45]
	v_fma_f64 v[2:3], v[74:75], v[6:7], -v[2:3]
	v_fma_f64 v[6:7], v[76:77], v[6:7], v[86:87]
	ds_load_b128 v[74:77], v1 offset:320
	ds_load_b128 v[86:89], v1 offset:336
	v_fma_f64 v[80:81], v[80:81], v[42:43], v[90:91]
	v_fma_f64 v[42:43], v[78:79], v[42:43], -v[44:45]
	s_wait_loadcnt_dscnt 0x801
	v_mul_f64_e32 v[92:93], v[74:75], v[48:49]
	v_mul_f64_e32 v[48:49], v[76:77], v[48:49]
	s_wait_loadcnt_dscnt 0x700
	v_mul_f64_e32 v[78:79], v[86:87], v[52:53]
	v_mul_f64_e32 v[52:53], v[88:89], v[52:53]
	v_add_f64_e32 v[2:3], 0, v[2:3]
	v_add_f64_e32 v[6:7], 0, v[6:7]
	v_fma_f64 v[76:77], v[76:77], v[46:47], v[92:93]
	v_fma_f64 v[74:75], v[74:75], v[46:47], -v[48:49]
	v_fma_f64 v[78:79], v[88:89], v[50:51], v[78:79]
	v_fma_f64 v[50:51], v[86:87], v[50:51], -v[52:53]
	v_add_f64_e32 v[2:3], v[2:3], v[42:43]
	v_add_f64_e32 v[6:7], v[6:7], v[80:81]
	ds_load_b128 v[42:45], v1 offset:352
	ds_load_b128 v[46:49], v1 offset:368
	s_wait_loadcnt_dscnt 0x601
	v_mul_f64_e32 v[80:81], v[42:43], v[56:57]
	v_mul_f64_e32 v[56:57], v[44:45], v[56:57]
	v_add_f64_e32 v[2:3], v[2:3], v[74:75]
	v_add_f64_e32 v[6:7], v[6:7], v[76:77]
	s_wait_loadcnt_dscnt 0x500
	v_mul_f64_e32 v[74:75], v[46:47], v[60:61]
	v_mul_f64_e32 v[60:61], v[48:49], v[60:61]
	v_fma_f64 v[76:77], v[44:45], v[54:55], v[80:81]
	v_fma_f64 v[54:55], v[42:43], v[54:55], -v[56:57]
	v_add_f64_e32 v[2:3], v[2:3], v[50:51]
	v_add_f64_e32 v[6:7], v[6:7], v[78:79]
	ds_load_b128 v[42:45], v1 offset:384
	ds_load_b128 v[50:53], v1 offset:400
	v_fma_f64 v[48:49], v[48:49], v[58:59], v[74:75]
	v_fma_f64 v[46:47], v[46:47], v[58:59], -v[60:61]
	s_wait_loadcnt_dscnt 0x401
	v_mul_f64_e32 v[56:57], v[42:43], v[64:65]
	v_mul_f64_e32 v[64:65], v[44:45], v[64:65]
	s_wait_loadcnt_dscnt 0x300
	v_mul_f64_e32 v[58:59], v[52:53], v[68:69]
	v_add_f64_e32 v[2:3], v[2:3], v[54:55]
	v_add_f64_e32 v[6:7], v[6:7], v[76:77]
	v_mul_f64_e32 v[54:55], v[50:51], v[68:69]
	v_fma_f64 v[56:57], v[44:45], v[62:63], v[56:57]
	v_fma_f64 v[60:61], v[42:43], v[62:63], -v[64:65]
	v_fma_f64 v[50:51], v[50:51], v[66:67], -v[58:59]
	v_add_f64_e32 v[46:47], v[2:3], v[46:47]
	v_add_f64_e32 v[6:7], v[6:7], v[48:49]
	ds_load_b128 v[42:45], v1 offset:416
	ds_load_b128 v[1:4], v1 offset:432
	v_fma_f64 v[52:53], v[52:53], v[66:67], v[54:55]
	s_wait_loadcnt_dscnt 0x201
	v_mul_f64_e32 v[48:49], v[42:43], v[72:73]
	v_mul_f64_e32 v[62:63], v[44:45], v[72:73]
	v_add_f64_e32 v[46:47], v[46:47], v[60:61]
	v_add_f64_e32 v[6:7], v[6:7], v[56:57]
	s_wait_loadcnt_dscnt 0x0
	v_mul_f64_e32 v[54:55], v[1:2], v[10:11]
	v_mul_f64_e32 v[10:11], v[3:4], v[10:11]
	v_fma_f64 v[44:45], v[44:45], v[70:71], v[48:49]
	v_fma_f64 v[42:43], v[42:43], v[70:71], -v[62:63]
	v_add_f64_e32 v[46:47], v[46:47], v[50:51]
	v_add_f64_e32 v[6:7], v[6:7], v[52:53]
	v_fma_f64 v[3:4], v[3:4], v[8:9], v[54:55]
	v_fma_f64 v[1:2], v[1:2], v[8:9], -v[10:11]
	s_delay_alu instid0(VALU_DEP_4) | instskip(NEXT) | instid1(VALU_DEP_4)
	v_add_f64_e32 v[8:9], v[46:47], v[42:43]
	v_add_f64_e32 v[6:7], v[6:7], v[44:45]
	s_delay_alu instid0(VALU_DEP_2) | instskip(NEXT) | instid1(VALU_DEP_2)
	v_add_f64_e32 v[1:2], v[8:9], v[1:2]
	v_add_f64_e32 v[3:4], v[6:7], v[3:4]
	s_delay_alu instid0(VALU_DEP_2) | instskip(NEXT) | instid1(VALU_DEP_2)
	v_add_f64_e64 v[1:2], v[82:83], -v[1:2]
	v_add_f64_e64 v[3:4], v[84:85], -v[3:4]
	scratch_store_b128 off, v[1:4], off offset:48
	v_cmpx_lt_u32_e32 2, v41
	s_cbranch_execz .LBB13_93
; %bb.92:
	scratch_load_b128 v[1:4], off, s8
	v_mov_b32_e32 v6, 0
	s_delay_alu instid0(VALU_DEP_1)
	v_dual_mov_b32 v7, v6 :: v_dual_mov_b32 v8, v6
	v_mov_b32_e32 v9, v6
	scratch_store_b128 off, v[6:9], off offset:32
	s_wait_loadcnt 0x0
	ds_store_b128 v5, v[1:4]
.LBB13_93:
	s_wait_alu 0xfffe
	s_or_b32 exec_lo, exec_lo, s2
	s_wait_storecnt_dscnt 0x0
	s_barrier_signal -1
	s_barrier_wait -1
	global_inv scope:SCOPE_SE
	s_clause 0x7
	scratch_load_b128 v[6:9], off, off offset:48
	scratch_load_b128 v[42:45], off, off offset:64
	;; [unrolled: 1-line block ×8, first 2 shown]
	v_mov_b32_e32 v1, 0
	s_mov_b32 s2, exec_lo
	ds_load_b128 v[70:73], v1 offset:272
	s_clause 0x1
	scratch_load_b128 v[74:77], off, off offset:176
	scratch_load_b128 v[78:81], off, off offset:32
	ds_load_b128 v[82:85], v1 offset:288
	ds_load_b128 v[90:93], v1 offset:320
	s_wait_loadcnt_dscnt 0x902
	v_mul_f64_e32 v[2:3], v[72:73], v[8:9]
	v_mul_f64_e32 v[86:87], v[70:71], v[8:9]
	scratch_load_b128 v[8:11], off, off offset:192
	v_fma_f64 v[2:3], v[70:71], v[6:7], -v[2:3]
	v_fma_f64 v[6:7], v[72:73], v[6:7], v[86:87]
	ds_load_b128 v[70:73], v1 offset:304
	s_wait_loadcnt_dscnt 0x902
	v_mul_f64_e32 v[94:95], v[82:83], v[44:45]
	v_mul_f64_e32 v[44:45], v[84:85], v[44:45]
	scratch_load_b128 v[86:89], off, off offset:208
	s_wait_loadcnt_dscnt 0x900
	v_mul_f64_e32 v[96:97], v[70:71], v[48:49]
	v_mul_f64_e32 v[48:49], v[72:73], v[48:49]
	v_add_f64_e32 v[2:3], 0, v[2:3]
	v_add_f64_e32 v[6:7], 0, v[6:7]
	v_fma_f64 v[84:85], v[84:85], v[42:43], v[94:95]
	v_fma_f64 v[42:43], v[82:83], v[42:43], -v[44:45]
	s_wait_loadcnt 0x8
	v_mul_f64_e32 v[82:83], v[90:91], v[52:53]
	v_mul_f64_e32 v[52:53], v[92:93], v[52:53]
	v_fma_f64 v[72:73], v[72:73], v[46:47], v[96:97]
	v_fma_f64 v[70:71], v[70:71], v[46:47], -v[48:49]
	v_add_f64_e32 v[6:7], v[6:7], v[84:85]
	v_add_f64_e32 v[2:3], v[2:3], v[42:43]
	ds_load_b128 v[42:45], v1 offset:336
	ds_load_b128 v[46:49], v1 offset:352
	v_fma_f64 v[82:83], v[92:93], v[50:51], v[82:83]
	v_fma_f64 v[50:51], v[90:91], v[50:51], -v[52:53]
	s_wait_loadcnt_dscnt 0x701
	v_mul_f64_e32 v[84:85], v[42:43], v[56:57]
	v_mul_f64_e32 v[56:57], v[44:45], v[56:57]
	v_add_f64_e32 v[6:7], v[6:7], v[72:73]
	v_add_f64_e32 v[2:3], v[2:3], v[70:71]
	s_wait_loadcnt_dscnt 0x600
	v_mul_f64_e32 v[70:71], v[46:47], v[60:61]
	v_mul_f64_e32 v[60:61], v[48:49], v[60:61]
	v_fma_f64 v[72:73], v[44:45], v[54:55], v[84:85]
	v_fma_f64 v[54:55], v[42:43], v[54:55], -v[56:57]
	v_add_f64_e32 v[6:7], v[6:7], v[82:83]
	v_add_f64_e32 v[2:3], v[2:3], v[50:51]
	ds_load_b128 v[42:45], v1 offset:368
	ds_load_b128 v[50:53], v1 offset:384
	v_fma_f64 v[48:49], v[48:49], v[58:59], v[70:71]
	v_fma_f64 v[46:47], v[46:47], v[58:59], -v[60:61]
	s_wait_loadcnt_dscnt 0x501
	v_mul_f64_e32 v[56:57], v[42:43], v[64:65]
	v_mul_f64_e32 v[64:65], v[44:45], v[64:65]
	s_wait_loadcnt_dscnt 0x400
	v_mul_f64_e32 v[58:59], v[52:53], v[68:69]
	v_add_f64_e32 v[6:7], v[6:7], v[72:73]
	v_add_f64_e32 v[2:3], v[2:3], v[54:55]
	v_mul_f64_e32 v[54:55], v[50:51], v[68:69]
	v_fma_f64 v[56:57], v[44:45], v[62:63], v[56:57]
	v_fma_f64 v[60:61], v[42:43], v[62:63], -v[64:65]
	v_fma_f64 v[50:51], v[50:51], v[66:67], -v[58:59]
	v_add_f64_e32 v[6:7], v[6:7], v[48:49]
	v_add_f64_e32 v[2:3], v[2:3], v[46:47]
	ds_load_b128 v[42:45], v1 offset:400
	ds_load_b128 v[46:49], v1 offset:416
	v_fma_f64 v[52:53], v[52:53], v[66:67], v[54:55]
	s_wait_loadcnt_dscnt 0x301
	v_mul_f64_e32 v[62:63], v[42:43], v[76:77]
	v_mul_f64_e32 v[64:65], v[44:45], v[76:77]
	v_add_f64_e32 v[6:7], v[6:7], v[56:57]
	v_add_f64_e32 v[2:3], v[2:3], v[60:61]
	s_wait_loadcnt_dscnt 0x100
	v_mul_f64_e32 v[54:55], v[46:47], v[10:11]
	v_mul_f64_e32 v[10:11], v[48:49], v[10:11]
	v_fma_f64 v[56:57], v[44:45], v[74:75], v[62:63]
	v_fma_f64 v[58:59], v[42:43], v[74:75], -v[64:65]
	ds_load_b128 v[42:45], v1 offset:432
	v_add_f64_e32 v[6:7], v[6:7], v[52:53]
	v_add_f64_e32 v[2:3], v[2:3], v[50:51]
	v_fma_f64 v[48:49], v[48:49], v[8:9], v[54:55]
	v_fma_f64 v[8:9], v[46:47], v[8:9], -v[10:11]
	s_wait_loadcnt_dscnt 0x0
	v_mul_f64_e32 v[50:51], v[42:43], v[88:89]
	v_mul_f64_e32 v[52:53], v[44:45], v[88:89]
	v_add_f64_e32 v[6:7], v[6:7], v[56:57]
	v_add_f64_e32 v[2:3], v[2:3], v[58:59]
	s_delay_alu instid0(VALU_DEP_4) | instskip(NEXT) | instid1(VALU_DEP_4)
	v_fma_f64 v[10:11], v[44:45], v[86:87], v[50:51]
	v_fma_f64 v[42:43], v[42:43], v[86:87], -v[52:53]
	s_delay_alu instid0(VALU_DEP_4) | instskip(NEXT) | instid1(VALU_DEP_4)
	v_add_f64_e32 v[6:7], v[6:7], v[48:49]
	v_add_f64_e32 v[2:3], v[2:3], v[8:9]
	s_delay_alu instid0(VALU_DEP_2) | instskip(NEXT) | instid1(VALU_DEP_2)
	v_add_f64_e32 v[8:9], v[6:7], v[10:11]
	v_add_f64_e32 v[2:3], v[2:3], v[42:43]
	s_delay_alu instid0(VALU_DEP_2) | instskip(NEXT) | instid1(VALU_DEP_2)
	v_add_f64_e64 v[8:9], v[80:81], -v[8:9]
	v_add_f64_e64 v[6:7], v[78:79], -v[2:3]
	scratch_store_b128 off, v[6:9], off offset:32
	v_cmpx_lt_u32_e32 1, v41
	s_cbranch_execz .LBB13_95
; %bb.94:
	scratch_load_b128 v[6:9], off, s4
	v_dual_mov_b32 v2, v1 :: v_dual_mov_b32 v3, v1
	v_mov_b32_e32 v4, v1
	scratch_store_b128 off, v[1:4], off offset:16
	s_wait_loadcnt 0x0
	ds_store_b128 v5, v[6:9]
.LBB13_95:
	s_wait_alu 0xfffe
	s_or_b32 exec_lo, exec_lo, s2
	s_wait_storecnt_dscnt 0x0
	s_barrier_signal -1
	s_barrier_wait -1
	global_inv scope:SCOPE_SE
	s_clause 0x8
	scratch_load_b128 v[6:9], off, off offset:32
	scratch_load_b128 v[42:45], off, off offset:48
	;; [unrolled: 1-line block ×9, first 2 shown]
	ds_load_b128 v[74:77], v1 offset:256
	ds_load_b128 v[78:81], v1 offset:272
	scratch_load_b128 v[82:85], off, off offset:16
	s_mov_b32 s2, exec_lo
	ds_load_b128 v[90:93], v1 offset:304
	s_wait_loadcnt_dscnt 0x902
	v_mul_f64_e32 v[2:3], v[76:77], v[8:9]
	v_mul_f64_e32 v[86:87], v[74:75], v[8:9]
	scratch_load_b128 v[8:11], off, off offset:176
	s_wait_loadcnt_dscnt 0x901
	v_mul_f64_e32 v[94:95], v[78:79], v[44:45]
	v_mul_f64_e32 v[44:45], v[80:81], v[44:45]
	v_fma_f64 v[2:3], v[74:75], v[6:7], -v[2:3]
	v_fma_f64 v[6:7], v[76:77], v[6:7], v[86:87]
	ds_load_b128 v[74:77], v1 offset:288
	scratch_load_b128 v[86:89], off, off offset:192
	v_fma_f64 v[80:81], v[80:81], v[42:43], v[94:95]
	v_fma_f64 v[78:79], v[78:79], v[42:43], -v[44:45]
	scratch_load_b128 v[42:45], off, off offset:208
	s_wait_loadcnt_dscnt 0x901
	v_mul_f64_e32 v[94:95], v[90:91], v[52:53]
	v_mul_f64_e32 v[52:53], v[92:93], v[52:53]
	s_wait_dscnt 0x0
	v_mul_f64_e32 v[96:97], v[74:75], v[48:49]
	v_mul_f64_e32 v[48:49], v[76:77], v[48:49]
	v_add_f64_e32 v[2:3], 0, v[2:3]
	v_add_f64_e32 v[6:7], 0, v[6:7]
	s_delay_alu instid0(VALU_DEP_4) | instskip(NEXT) | instid1(VALU_DEP_4)
	v_fma_f64 v[96:97], v[76:77], v[46:47], v[96:97]
	v_fma_f64 v[98:99], v[74:75], v[46:47], -v[48:49]
	ds_load_b128 v[46:49], v1 offset:320
	ds_load_b128 v[74:77], v1 offset:336
	v_add_f64_e32 v[2:3], v[2:3], v[78:79]
	v_add_f64_e32 v[6:7], v[6:7], v[80:81]
	v_fma_f64 v[80:81], v[92:93], v[50:51], v[94:95]
	v_fma_f64 v[50:51], v[90:91], v[50:51], -v[52:53]
	s_wait_loadcnt_dscnt 0x801
	v_mul_f64_e32 v[78:79], v[46:47], v[56:57]
	v_mul_f64_e32 v[56:57], v[48:49], v[56:57]
	s_wait_loadcnt_dscnt 0x700
	v_mul_f64_e32 v[90:91], v[74:75], v[60:61]
	v_mul_f64_e32 v[60:61], v[76:77], v[60:61]
	v_add_f64_e32 v[2:3], v[2:3], v[98:99]
	v_add_f64_e32 v[6:7], v[6:7], v[96:97]
	v_fma_f64 v[78:79], v[48:49], v[54:55], v[78:79]
	v_fma_f64 v[54:55], v[46:47], v[54:55], -v[56:57]
	v_fma_f64 v[76:77], v[76:77], v[58:59], v[90:91]
	v_fma_f64 v[58:59], v[74:75], v[58:59], -v[60:61]
	v_add_f64_e32 v[2:3], v[2:3], v[50:51]
	v_add_f64_e32 v[6:7], v[6:7], v[80:81]
	ds_load_b128 v[46:49], v1 offset:352
	ds_load_b128 v[50:53], v1 offset:368
	s_wait_loadcnt_dscnt 0x601
	v_mul_f64_e32 v[56:57], v[46:47], v[64:65]
	v_mul_f64_e32 v[64:65], v[48:49], v[64:65]
	s_wait_loadcnt_dscnt 0x500
	v_mul_f64_e32 v[60:61], v[50:51], v[68:69]
	v_mul_f64_e32 v[68:69], v[52:53], v[68:69]
	v_add_f64_e32 v[2:3], v[2:3], v[54:55]
	v_add_f64_e32 v[6:7], v[6:7], v[78:79]
	v_fma_f64 v[74:75], v[48:49], v[62:63], v[56:57]
	v_fma_f64 v[62:63], v[46:47], v[62:63], -v[64:65]
	ds_load_b128 v[46:49], v1 offset:384
	ds_load_b128 v[54:57], v1 offset:400
	v_fma_f64 v[52:53], v[52:53], v[66:67], v[60:61]
	v_fma_f64 v[50:51], v[50:51], v[66:67], -v[68:69]
	v_add_f64_e32 v[2:3], v[2:3], v[58:59]
	v_add_f64_e32 v[6:7], v[6:7], v[76:77]
	s_wait_loadcnt_dscnt 0x401
	v_mul_f64_e32 v[58:59], v[46:47], v[72:73]
	v_mul_f64_e32 v[64:65], v[48:49], v[72:73]
	s_delay_alu instid0(VALU_DEP_4) | instskip(NEXT) | instid1(VALU_DEP_4)
	v_add_f64_e32 v[2:3], v[2:3], v[62:63]
	v_add_f64_e32 v[6:7], v[6:7], v[74:75]
	s_delay_alu instid0(VALU_DEP_4) | instskip(NEXT) | instid1(VALU_DEP_4)
	v_fma_f64 v[58:59], v[48:49], v[70:71], v[58:59]
	v_fma_f64 v[62:63], v[46:47], v[70:71], -v[64:65]
	s_wait_loadcnt_dscnt 0x200
	v_mul_f64_e32 v[60:61], v[54:55], v[10:11]
	v_mul_f64_e32 v[10:11], v[56:57], v[10:11]
	v_add_f64_e32 v[50:51], v[2:3], v[50:51]
	v_add_f64_e32 v[6:7], v[6:7], v[52:53]
	ds_load_b128 v[46:49], v1 offset:416
	ds_load_b128 v[1:4], v1 offset:432
	v_fma_f64 v[56:57], v[56:57], v[8:9], v[60:61]
	v_fma_f64 v[8:9], v[54:55], v[8:9], -v[10:11]
	s_wait_loadcnt_dscnt 0x101
	v_mul_f64_e32 v[52:53], v[46:47], v[88:89]
	v_mul_f64_e32 v[64:65], v[48:49], v[88:89]
	v_add_f64_e32 v[10:11], v[50:51], v[62:63]
	v_add_f64_e32 v[6:7], v[6:7], v[58:59]
	s_wait_loadcnt_dscnt 0x0
	v_mul_f64_e32 v[50:51], v[1:2], v[44:45]
	v_mul_f64_e32 v[44:45], v[3:4], v[44:45]
	v_fma_f64 v[48:49], v[48:49], v[86:87], v[52:53]
	v_fma_f64 v[46:47], v[46:47], v[86:87], -v[64:65]
	v_add_f64_e32 v[8:9], v[10:11], v[8:9]
	v_add_f64_e32 v[6:7], v[6:7], v[56:57]
	v_fma_f64 v[3:4], v[3:4], v[42:43], v[50:51]
	v_fma_f64 v[1:2], v[1:2], v[42:43], -v[44:45]
	s_delay_alu instid0(VALU_DEP_4) | instskip(NEXT) | instid1(VALU_DEP_4)
	v_add_f64_e32 v[8:9], v[8:9], v[46:47]
	v_add_f64_e32 v[6:7], v[6:7], v[48:49]
	s_delay_alu instid0(VALU_DEP_2) | instskip(NEXT) | instid1(VALU_DEP_2)
	v_add_f64_e32 v[1:2], v[8:9], v[1:2]
	v_add_f64_e32 v[3:4], v[6:7], v[3:4]
	s_delay_alu instid0(VALU_DEP_2) | instskip(NEXT) | instid1(VALU_DEP_2)
	v_add_f64_e64 v[1:2], v[82:83], -v[1:2]
	v_add_f64_e64 v[3:4], v[84:85], -v[3:4]
	scratch_store_b128 off, v[1:4], off offset:16
	v_cmpx_ne_u32_e32 0, v41
	s_cbranch_execz .LBB13_97
; %bb.96:
	scratch_load_b128 v[1:4], off, off
	v_mov_b32_e32 v6, 0
	s_delay_alu instid0(VALU_DEP_1)
	v_dual_mov_b32 v7, v6 :: v_dual_mov_b32 v8, v6
	v_mov_b32_e32 v9, v6
	scratch_store_b128 off, v[6:9], off
	s_wait_loadcnt 0x0
	ds_store_b128 v5, v[1:4]
.LBB13_97:
	s_wait_alu 0xfffe
	s_or_b32 exec_lo, exec_lo, s2
	s_wait_storecnt_dscnt 0x0
	s_barrier_signal -1
	s_barrier_wait -1
	global_inv scope:SCOPE_SE
	s_clause 0x7
	scratch_load_b128 v[2:5], off, off offset:16
	scratch_load_b128 v[6:9], off, off offset:32
	;; [unrolled: 1-line block ×8, first 2 shown]
	v_mov_b32_e32 v1, 0
	s_and_b32 vcc_lo, exec_lo, s20
	ds_load_b128 v[66:69], v1 offset:240
	s_clause 0x1
	scratch_load_b128 v[70:73], off, off offset:144
	scratch_load_b128 v[74:77], off, off
	ds_load_b128 v[78:81], v1 offset:256
	scratch_load_b128 v[82:85], off, off offset:160
	s_wait_loadcnt_dscnt 0xa01
	v_mul_f64_e32 v[10:11], v[68:69], v[4:5]
	v_mul_f64_e32 v[4:5], v[66:67], v[4:5]
	s_delay_alu instid0(VALU_DEP_2) | instskip(NEXT) | instid1(VALU_DEP_2)
	v_fma_f64 v[90:91], v[66:67], v[2:3], -v[10:11]
	v_fma_f64 v[92:93], v[68:69], v[2:3], v[4:5]
	ds_load_b128 v[2:5], v1 offset:272
	s_wait_loadcnt_dscnt 0x901
	v_mul_f64_e32 v[86:87], v[78:79], v[8:9]
	v_mul_f64_e32 v[88:89], v[80:81], v[8:9]
	scratch_load_b128 v[8:11], off, off offset:176
	ds_load_b128 v[66:69], v1 offset:288
	s_wait_loadcnt_dscnt 0x901
	v_mul_f64_e32 v[94:95], v[2:3], v[44:45]
	v_mul_f64_e32 v[44:45], v[4:5], v[44:45]
	v_fma_f64 v[86:87], v[80:81], v[6:7], v[86:87]
	v_fma_f64 v[6:7], v[78:79], v[6:7], -v[88:89]
	v_add_f64_e32 v[88:89], 0, v[90:91]
	v_add_f64_e32 v[90:91], 0, v[92:93]
	scratch_load_b128 v[78:81], off, off offset:192
	v_fma_f64 v[94:95], v[4:5], v[42:43], v[94:95]
	v_fma_f64 v[96:97], v[2:3], v[42:43], -v[44:45]
	ds_load_b128 v[2:5], v1 offset:304
	s_wait_loadcnt_dscnt 0x901
	v_mul_f64_e32 v[92:93], v[66:67], v[48:49]
	v_mul_f64_e32 v[48:49], v[68:69], v[48:49]
	scratch_load_b128 v[42:45], off, off offset:208
	v_add_f64_e32 v[6:7], v[88:89], v[6:7]
	v_add_f64_e32 v[90:91], v[90:91], v[86:87]
	s_wait_loadcnt_dscnt 0x900
	v_mul_f64_e32 v[98:99], v[2:3], v[52:53]
	v_mul_f64_e32 v[52:53], v[4:5], v[52:53]
	ds_load_b128 v[86:89], v1 offset:320
	v_fma_f64 v[68:69], v[68:69], v[46:47], v[92:93]
	v_fma_f64 v[46:47], v[66:67], v[46:47], -v[48:49]
	s_wait_loadcnt_dscnt 0x800
	v_mul_f64_e32 v[66:67], v[86:87], v[56:57]
	v_mul_f64_e32 v[56:57], v[88:89], v[56:57]
	v_add_f64_e32 v[6:7], v[6:7], v[96:97]
	v_add_f64_e32 v[48:49], v[90:91], v[94:95]
	v_fma_f64 v[90:91], v[4:5], v[50:51], v[98:99]
	v_fma_f64 v[50:51], v[2:3], v[50:51], -v[52:53]
	v_fma_f64 v[66:67], v[88:89], v[54:55], v[66:67]
	v_fma_f64 v[54:55], v[86:87], v[54:55], -v[56:57]
	v_add_f64_e32 v[6:7], v[6:7], v[46:47]
	v_add_f64_e32 v[52:53], v[48:49], v[68:69]
	ds_load_b128 v[2:5], v1 offset:336
	ds_load_b128 v[46:49], v1 offset:352
	s_wait_loadcnt_dscnt 0x701
	v_mul_f64_e32 v[68:69], v[2:3], v[60:61]
	v_mul_f64_e32 v[60:61], v[4:5], v[60:61]
	s_wait_loadcnt_dscnt 0x600
	v_mul_f64_e32 v[56:57], v[46:47], v[64:65]
	v_mul_f64_e32 v[64:65], v[48:49], v[64:65]
	v_add_f64_e32 v[6:7], v[6:7], v[50:51]
	v_add_f64_e32 v[50:51], v[52:53], v[90:91]
	v_fma_f64 v[68:69], v[4:5], v[58:59], v[68:69]
	v_fma_f64 v[58:59], v[2:3], v[58:59], -v[60:61]
	v_fma_f64 v[48:49], v[48:49], v[62:63], v[56:57]
	v_fma_f64 v[46:47], v[46:47], v[62:63], -v[64:65]
	v_add_f64_e32 v[6:7], v[6:7], v[54:55]
	v_add_f64_e32 v[54:55], v[50:51], v[66:67]
	ds_load_b128 v[2:5], v1 offset:368
	ds_load_b128 v[50:53], v1 offset:384
	s_wait_loadcnt_dscnt 0x501
	v_mul_f64_e32 v[60:61], v[2:3], v[72:73]
	v_mul_f64_e32 v[66:67], v[4:5], v[72:73]
	s_wait_loadcnt_dscnt 0x300
	v_mul_f64_e32 v[56:57], v[50:51], v[84:85]
	v_add_f64_e32 v[6:7], v[6:7], v[58:59]
	v_add_f64_e32 v[54:55], v[54:55], v[68:69]
	v_mul_f64_e32 v[58:59], v[52:53], v[84:85]
	v_fma_f64 v[60:61], v[4:5], v[70:71], v[60:61]
	v_fma_f64 v[62:63], v[2:3], v[70:71], -v[66:67]
	v_fma_f64 v[52:53], v[52:53], v[82:83], v[56:57]
	v_add_f64_e32 v[6:7], v[6:7], v[46:47]
	v_add_f64_e32 v[54:55], v[54:55], v[48:49]
	ds_load_b128 v[2:5], v1 offset:400
	ds_load_b128 v[46:49], v1 offset:416
	v_fma_f64 v[50:51], v[50:51], v[82:83], -v[58:59]
	s_wait_loadcnt_dscnt 0x201
	v_mul_f64_e32 v[64:65], v[2:3], v[10:11]
	v_mul_f64_e32 v[10:11], v[4:5], v[10:11]
	v_add_f64_e32 v[6:7], v[6:7], v[62:63]
	v_add_f64_e32 v[54:55], v[54:55], v[60:61]
	s_wait_loadcnt_dscnt 0x100
	v_mul_f64_e32 v[56:57], v[46:47], v[80:81]
	v_mul_f64_e32 v[58:59], v[48:49], v[80:81]
	v_fma_f64 v[60:61], v[4:5], v[8:9], v[64:65]
	v_fma_f64 v[8:9], v[2:3], v[8:9], -v[10:11]
	ds_load_b128 v[2:5], v1 offset:432
	v_add_f64_e32 v[6:7], v[6:7], v[50:51]
	v_add_f64_e32 v[10:11], v[54:55], v[52:53]
	s_wait_loadcnt_dscnt 0x0
	v_mul_f64_e32 v[50:51], v[2:3], v[44:45]
	v_mul_f64_e32 v[44:45], v[4:5], v[44:45]
	v_fma_f64 v[48:49], v[48:49], v[78:79], v[56:57]
	v_fma_f64 v[46:47], v[46:47], v[78:79], -v[58:59]
	v_add_f64_e32 v[6:7], v[6:7], v[8:9]
	v_add_f64_e32 v[8:9], v[10:11], v[60:61]
	v_fma_f64 v[4:5], v[4:5], v[42:43], v[50:51]
	v_fma_f64 v[2:3], v[2:3], v[42:43], -v[44:45]
	s_delay_alu instid0(VALU_DEP_4) | instskip(NEXT) | instid1(VALU_DEP_4)
	v_add_f64_e32 v[6:7], v[6:7], v[46:47]
	v_add_f64_e32 v[8:9], v[8:9], v[48:49]
	s_delay_alu instid0(VALU_DEP_2) | instskip(NEXT) | instid1(VALU_DEP_2)
	v_add_f64_e32 v[2:3], v[6:7], v[2:3]
	v_add_f64_e32 v[4:5], v[8:9], v[4:5]
	s_delay_alu instid0(VALU_DEP_2) | instskip(NEXT) | instid1(VALU_DEP_2)
	v_add_f64_e64 v[2:3], v[74:75], -v[2:3]
	v_add_f64_e64 v[4:5], v[76:77], -v[4:5]
	scratch_store_b128 off, v[2:5], off
	s_wait_alu 0xfffe
	s_cbranch_vccz .LBB13_124
; %bb.98:
	global_load_b32 v1, v1, s[16:17] offset:48
	s_load_b64 s[0:1], s[0:1], 0x4
	v_bfe_u32 v2, v0, 10, 10
	v_bfe_u32 v0, v0, 20, 10
	s_wait_kmcnt 0x0
	s_lshr_b32 s0, s0, 16
	s_delay_alu instid0(VALU_DEP_2) | instskip(SKIP_3) | instid1(VALU_DEP_1)
	v_mul_u32_u24_e32 v2, s1, v2
	s_mul_i32 s0, s0, s1
	s_wait_alu 0xfffe
	v_mul_u32_u24_e32 v3, s0, v41
	v_add3_u32 v0, v3, v2, v0
	s_delay_alu instid0(VALU_DEP_1)
	v_lshl_add_u32 v0, v0, 4, 0x1c8
	s_wait_loadcnt 0x0
	v_cmp_ne_u32_e32 vcc_lo, 13, v1
	s_cbranch_vccz .LBB13_100
; %bb.99:
	v_lshlrev_b32_e32 v1, 4, v1
	s_delay_alu instid0(VALU_DEP_1)
	v_mov_b32_e32 v9, v1
	s_clause 0x1
	scratch_load_b128 v[1:4], off, s23
	scratch_load_b128 v[5:8], v9, off offset:-16
	s_wait_loadcnt 0x1
	ds_store_2addr_b64 v0, v[1:2], v[3:4] offset1:1
	s_wait_loadcnt 0x0
	s_clause 0x1
	scratch_store_b128 off, v[5:8], s23
	scratch_store_b128 v9, v[1:4], off offset:-16
.LBB13_100:
	v_mov_b32_e32 v1, 0
	global_load_b32 v2, v1, s[16:17] offset:44
	s_wait_loadcnt 0x0
	v_cmp_eq_u32_e32 vcc_lo, 12, v2
	s_cbranch_vccnz .LBB13_102
; %bb.101:
	v_lshlrev_b32_e32 v2, 4, v2
	s_delay_alu instid0(VALU_DEP_1)
	v_mov_b32_e32 v10, v2
	s_clause 0x1
	scratch_load_b128 v[2:5], off, s15
	scratch_load_b128 v[6:9], v10, off offset:-16
	s_wait_loadcnt 0x1
	ds_store_2addr_b64 v0, v[2:3], v[4:5] offset1:1
	s_wait_loadcnt 0x0
	s_clause 0x1
	scratch_store_b128 off, v[6:9], s15
	scratch_store_b128 v10, v[2:5], off offset:-16
.LBB13_102:
	global_load_b32 v1, v1, s[16:17] offset:40
	s_wait_loadcnt 0x0
	v_cmp_eq_u32_e32 vcc_lo, 11, v1
	s_cbranch_vccnz .LBB13_104
; %bb.103:
	v_lshlrev_b32_e32 v1, 4, v1
	s_delay_alu instid0(VALU_DEP_1)
	v_mov_b32_e32 v9, v1
	s_clause 0x1
	scratch_load_b128 v[1:4], off, s21
	scratch_load_b128 v[5:8], v9, off offset:-16
	s_wait_loadcnt 0x1
	ds_store_2addr_b64 v0, v[1:2], v[3:4] offset1:1
	s_wait_loadcnt 0x0
	s_clause 0x1
	scratch_store_b128 off, v[5:8], s21
	scratch_store_b128 v9, v[1:4], off offset:-16
.LBB13_104:
	v_mov_b32_e32 v1, 0
	global_load_b32 v2, v1, s[16:17] offset:36
	s_wait_loadcnt 0x0
	v_cmp_eq_u32_e32 vcc_lo, 10, v2
	s_cbranch_vccnz .LBB13_106
; %bb.105:
	v_lshlrev_b32_e32 v2, 4, v2
	s_delay_alu instid0(VALU_DEP_1)
	v_mov_b32_e32 v10, v2
	s_clause 0x1
	scratch_load_b128 v[2:5], off, s13
	scratch_load_b128 v[6:9], v10, off offset:-16
	s_wait_loadcnt 0x1
	ds_store_2addr_b64 v0, v[2:3], v[4:5] offset1:1
	s_wait_loadcnt 0x0
	s_clause 0x1
	scratch_store_b128 off, v[6:9], s13
	scratch_store_b128 v10, v[2:5], off offset:-16
.LBB13_106:
	global_load_b32 v1, v1, s[16:17] offset:32
	s_wait_loadcnt 0x0
	v_cmp_eq_u32_e32 vcc_lo, 9, v1
	s_cbranch_vccnz .LBB13_108
; %bb.107:
	v_lshlrev_b32_e32 v1, 4, v1
	s_delay_alu instid0(VALU_DEP_1)
	v_mov_b32_e32 v9, v1
	s_clause 0x1
	scratch_load_b128 v[1:4], off, s14
	scratch_load_b128 v[5:8], v9, off offset:-16
	s_wait_loadcnt 0x1
	ds_store_2addr_b64 v0, v[1:2], v[3:4] offset1:1
	s_wait_loadcnt 0x0
	s_clause 0x1
	scratch_store_b128 off, v[5:8], s14
	scratch_store_b128 v9, v[1:4], off offset:-16
.LBB13_108:
	;; [unrolled: 37-line block ×5, first 2 shown]
	v_mov_b32_e32 v1, 0
	global_load_b32 v2, v1, s[16:17] offset:4
	s_wait_loadcnt 0x0
	v_cmp_eq_u32_e32 vcc_lo, 2, v2
	s_cbranch_vccnz .LBB13_122
; %bb.121:
	v_lshlrev_b32_e32 v2, 4, v2
	s_delay_alu instid0(VALU_DEP_1)
	v_mov_b32_e32 v10, v2
	s_clause 0x1
	scratch_load_b128 v[2:5], off, s4
	scratch_load_b128 v[6:9], v10, off offset:-16
	s_wait_loadcnt 0x1
	ds_store_2addr_b64 v0, v[2:3], v[4:5] offset1:1
	s_wait_loadcnt 0x0
	s_clause 0x1
	scratch_store_b128 off, v[6:9], s4
	scratch_store_b128 v10, v[2:5], off offset:-16
.LBB13_122:
	global_load_b32 v1, v1, s[16:17]
	s_wait_loadcnt 0x0
	v_cmp_eq_u32_e32 vcc_lo, 1, v1
	s_cbranch_vccnz .LBB13_124
; %bb.123:
	v_lshlrev_b32_e32 v1, 4, v1
	s_delay_alu instid0(VALU_DEP_1)
	v_mov_b32_e32 v9, v1
	scratch_load_b128 v[1:4], off, off
	scratch_load_b128 v[5:8], v9, off offset:-16
	s_wait_loadcnt 0x1
	ds_store_2addr_b64 v0, v[1:2], v[3:4] offset1:1
	s_wait_loadcnt 0x0
	scratch_store_b128 off, v[5:8], off
	scratch_store_b128 v9, v[1:4], off offset:-16
.LBB13_124:
	scratch_load_b128 v[0:3], off, off
	s_clause 0xc
	scratch_load_b128 v[4:7], off, s4
	scratch_load_b128 v[8:11], off, s8
	;; [unrolled: 1-line block ×13, first 2 shown]
	s_wait_loadcnt 0xd
	global_store_b128 v[13:14], v[0:3], off
	s_wait_loadcnt 0xc
	global_store_b128 v[15:16], v[4:7], off
	;; [unrolled: 2-line block ×14, first 2 shown]
	s_nop 0
	s_sendmsg sendmsg(MSG_DEALLOC_VGPRS)
	s_endpgm
	.section	.rodata,"a",@progbits
	.p2align	6, 0x0
	.amdhsa_kernel _ZN9rocsolver6v33100L18getri_kernel_smallILi14E19rocblas_complex_numIdEPS3_EEvT1_iilPiilS6_bb
		.amdhsa_group_segment_fixed_size 1480
		.amdhsa_private_segment_fixed_size 240
		.amdhsa_kernarg_size 60
		.amdhsa_user_sgpr_count 4
		.amdhsa_user_sgpr_dispatch_ptr 1
		.amdhsa_user_sgpr_queue_ptr 0
		.amdhsa_user_sgpr_kernarg_segment_ptr 1
		.amdhsa_user_sgpr_dispatch_id 0
		.amdhsa_user_sgpr_private_segment_size 0
		.amdhsa_wavefront_size32 1
		.amdhsa_uses_dynamic_stack 0
		.amdhsa_enable_private_segment 1
		.amdhsa_system_sgpr_workgroup_id_x 1
		.amdhsa_system_sgpr_workgroup_id_y 0
		.amdhsa_system_sgpr_workgroup_id_z 0
		.amdhsa_system_sgpr_workgroup_info 0
		.amdhsa_system_vgpr_workitem_id 2
		.amdhsa_next_free_vgpr 100
		.amdhsa_next_free_sgpr 27
		.amdhsa_reserve_vcc 1
		.amdhsa_float_round_mode_32 0
		.amdhsa_float_round_mode_16_64 0
		.amdhsa_float_denorm_mode_32 3
		.amdhsa_float_denorm_mode_16_64 3
		.amdhsa_fp16_overflow 0
		.amdhsa_workgroup_processor_mode 1
		.amdhsa_memory_ordered 1
		.amdhsa_forward_progress 1
		.amdhsa_inst_pref_size 118
		.amdhsa_round_robin_scheduling 0
		.amdhsa_exception_fp_ieee_invalid_op 0
		.amdhsa_exception_fp_denorm_src 0
		.amdhsa_exception_fp_ieee_div_zero 0
		.amdhsa_exception_fp_ieee_overflow 0
		.amdhsa_exception_fp_ieee_underflow 0
		.amdhsa_exception_fp_ieee_inexact 0
		.amdhsa_exception_int_div_zero 0
	.end_amdhsa_kernel
	.section	.text._ZN9rocsolver6v33100L18getri_kernel_smallILi14E19rocblas_complex_numIdEPS3_EEvT1_iilPiilS6_bb,"axG",@progbits,_ZN9rocsolver6v33100L18getri_kernel_smallILi14E19rocblas_complex_numIdEPS3_EEvT1_iilPiilS6_bb,comdat
.Lfunc_end13:
	.size	_ZN9rocsolver6v33100L18getri_kernel_smallILi14E19rocblas_complex_numIdEPS3_EEvT1_iilPiilS6_bb, .Lfunc_end13-_ZN9rocsolver6v33100L18getri_kernel_smallILi14E19rocblas_complex_numIdEPS3_EEvT1_iilPiilS6_bb
                                        ; -- End function
	.set _ZN9rocsolver6v33100L18getri_kernel_smallILi14E19rocblas_complex_numIdEPS3_EEvT1_iilPiilS6_bb.num_vgpr, 100
	.set _ZN9rocsolver6v33100L18getri_kernel_smallILi14E19rocblas_complex_numIdEPS3_EEvT1_iilPiilS6_bb.num_agpr, 0
	.set _ZN9rocsolver6v33100L18getri_kernel_smallILi14E19rocblas_complex_numIdEPS3_EEvT1_iilPiilS6_bb.numbered_sgpr, 27
	.set _ZN9rocsolver6v33100L18getri_kernel_smallILi14E19rocblas_complex_numIdEPS3_EEvT1_iilPiilS6_bb.num_named_barrier, 0
	.set _ZN9rocsolver6v33100L18getri_kernel_smallILi14E19rocblas_complex_numIdEPS3_EEvT1_iilPiilS6_bb.private_seg_size, 240
	.set _ZN9rocsolver6v33100L18getri_kernel_smallILi14E19rocblas_complex_numIdEPS3_EEvT1_iilPiilS6_bb.uses_vcc, 1
	.set _ZN9rocsolver6v33100L18getri_kernel_smallILi14E19rocblas_complex_numIdEPS3_EEvT1_iilPiilS6_bb.uses_flat_scratch, 1
	.set _ZN9rocsolver6v33100L18getri_kernel_smallILi14E19rocblas_complex_numIdEPS3_EEvT1_iilPiilS6_bb.has_dyn_sized_stack, 0
	.set _ZN9rocsolver6v33100L18getri_kernel_smallILi14E19rocblas_complex_numIdEPS3_EEvT1_iilPiilS6_bb.has_recursion, 0
	.set _ZN9rocsolver6v33100L18getri_kernel_smallILi14E19rocblas_complex_numIdEPS3_EEvT1_iilPiilS6_bb.has_indirect_call, 0
	.section	.AMDGPU.csdata,"",@progbits
; Kernel info:
; codeLenInByte = 14992
; TotalNumSgprs: 29
; NumVgprs: 100
; ScratchSize: 240
; MemoryBound: 0
; FloatMode: 240
; IeeeMode: 1
; LDSByteSize: 1480 bytes/workgroup (compile time only)
; SGPRBlocks: 0
; VGPRBlocks: 12
; NumSGPRsForWavesPerEU: 29
; NumVGPRsForWavesPerEU: 100
; Occupancy: 12
; WaveLimiterHint : 1
; COMPUTE_PGM_RSRC2:SCRATCH_EN: 1
; COMPUTE_PGM_RSRC2:USER_SGPR: 4
; COMPUTE_PGM_RSRC2:TRAP_HANDLER: 0
; COMPUTE_PGM_RSRC2:TGID_X_EN: 1
; COMPUTE_PGM_RSRC2:TGID_Y_EN: 0
; COMPUTE_PGM_RSRC2:TGID_Z_EN: 0
; COMPUTE_PGM_RSRC2:TIDIG_COMP_CNT: 2
	.section	.text._ZN9rocsolver6v33100L18getri_kernel_smallILi15E19rocblas_complex_numIdEPS3_EEvT1_iilPiilS6_bb,"axG",@progbits,_ZN9rocsolver6v33100L18getri_kernel_smallILi15E19rocblas_complex_numIdEPS3_EEvT1_iilPiilS6_bb,comdat
	.globl	_ZN9rocsolver6v33100L18getri_kernel_smallILi15E19rocblas_complex_numIdEPS3_EEvT1_iilPiilS6_bb ; -- Begin function _ZN9rocsolver6v33100L18getri_kernel_smallILi15E19rocblas_complex_numIdEPS3_EEvT1_iilPiilS6_bb
	.p2align	8
	.type	_ZN9rocsolver6v33100L18getri_kernel_smallILi15E19rocblas_complex_numIdEPS3_EEvT1_iilPiilS6_bb,@function
_ZN9rocsolver6v33100L18getri_kernel_smallILi15E19rocblas_complex_numIdEPS3_EEvT1_iilPiilS6_bb: ; @_ZN9rocsolver6v33100L18getri_kernel_smallILi15E19rocblas_complex_numIdEPS3_EEvT1_iilPiilS6_bb
; %bb.0:
	v_and_b32_e32 v43, 0x3ff, v0
	s_mov_b32 s4, exec_lo
	s_delay_alu instid0(VALU_DEP_1)
	v_cmpx_gt_u32_e32 15, v43
	s_cbranch_execz .LBB14_74
; %bb.1:
	s_clause 0x2
	s_load_b32 s8, s[2:3], 0x38
	s_load_b128 s[12:15], s[2:3], 0x10
	s_load_b128 s[4:7], s[2:3], 0x28
	s_mov_b32 s18, ttmp9
                                        ; implicit-def: $sgpr16_sgpr17
	s_wait_kmcnt 0x0
	s_bitcmp1_b32 s8, 8
	s_cselect_b32 s20, -1, 0
	s_bfe_u32 s8, s8, 0x10008
	s_ashr_i32 s19, ttmp9, 31
	s_cmp_eq_u32 s8, 0
	s_cbranch_scc1 .LBB14_3
; %bb.2:
	s_load_b32 s8, s[2:3], 0x20
	s_mul_u64 s[4:5], s[4:5], s[18:19]
	s_delay_alu instid0(SALU_CYCLE_1) | instskip(NEXT) | instid1(SALU_CYCLE_1)
	s_lshl_b64 s[4:5], s[4:5], 2
	s_add_nc_u64 s[4:5], s[14:15], s[4:5]
	s_wait_kmcnt 0x0
	s_ashr_i32 s9, s8, 31
	s_delay_alu instid0(SALU_CYCLE_1) | instskip(NEXT) | instid1(SALU_CYCLE_1)
	s_lshl_b64 s[8:9], s[8:9], 2
	s_add_nc_u64 s[16:17], s[4:5], s[8:9]
.LBB14_3:
	s_clause 0x1
	s_load_b128 s[8:11], s[2:3], 0x0
	s_load_b32 s25, s[2:3], 0x38
	s_mul_u64 s[2:3], s[12:13], s[18:19]
	v_lshlrev_b32_e32 v44, 4, v43
	s_lshl_b64 s[2:3], s[2:3], 4
	s_movk_i32 s12, 0x60
	s_movk_i32 s14, 0x80
	;; [unrolled: 1-line block ×8, first 2 shown]
	s_wait_kmcnt 0x0
	v_add3_u32 v5, s11, s11, v43
	s_ashr_i32 s5, s10, 31
	s_mov_b32 s4, s10
	s_add_nc_u64 s[2:3], s[8:9], s[2:3]
	s_lshl_b64 s[4:5], s[4:5], 4
	v_add_nc_u32_e32 v7, s11, v5
	v_ashrrev_i32_e32 v6, 31, v5
	s_add_nc_u64 s[2:3], s[2:3], s[4:5]
	s_ashr_i32 s9, s11, 31
	v_add_co_u32 v13, s4, s2, v44
	v_add_nc_u32_e32 v9, s11, v7
	v_ashrrev_i32_e32 v8, 31, v7
	s_mov_b32 s8, s11
	v_lshlrev_b64_e32 v[5:6], 4, v[5:6]
	v_add_co_ci_u32_e64 v14, null, s3, 0, s4
	v_add_nc_u32_e32 v21, s11, v9
	v_ashrrev_i32_e32 v10, 31, v9
	s_lshl_b64 s[8:9], s[8:9], 4
	v_lshlrev_b64_e32 v[19:20], 4, v[7:8]
	v_add_co_u32 v15, vcc_lo, v13, s8
	v_ashrrev_i32_e32 v22, 31, v21
	v_add_nc_u32_e32 v25, s11, v21
	v_lshlrev_b64_e32 v[23:24], 4, v[9:10]
	v_add_co_ci_u32_e64 v16, null, s9, v14, vcc_lo
	v_add_co_u32 v17, vcc_lo, s2, v5
	v_lshlrev_b64_e32 v[27:28], 4, v[21:22]
	v_add_nc_u32_e32 v31, s11, v25
	s_wait_alu 0xfffd
	v_add_co_ci_u32_e64 v18, null, s3, v6, vcc_lo
	v_add_co_u32 v19, vcc_lo, s2, v19
	v_ashrrev_i32_e32 v26, 31, v25
	s_wait_alu 0xfffd
	v_add_co_ci_u32_e64 v20, null, s3, v20, vcc_lo
	v_add_co_u32 v21, vcc_lo, s2, v23
	s_wait_alu 0xfffd
	v_add_co_ci_u32_e64 v22, null, s3, v24, vcc_lo
	v_add_co_u32 v23, vcc_lo, s2, v27
	v_add_nc_u32_e32 v27, s11, v31
	v_lshlrev_b64_e32 v[29:30], 4, v[25:26]
	v_ashrrev_i32_e32 v32, 31, v31
	s_wait_alu 0xfffd
	v_add_co_ci_u32_e64 v24, null, s3, v28, vcc_lo
	v_add_nc_u32_e32 v33, s11, v27
	v_ashrrev_i32_e32 v28, 31, v27
	v_add_co_u32 v25, vcc_lo, s2, v29
	s_wait_alu 0xfffd
	v_add_co_ci_u32_e64 v26, null, s3, v30, vcc_lo
	v_lshlrev_b64_e32 v[29:30], 4, v[31:32]
	v_add_nc_u32_e32 v35, s11, v33
	v_lshlrev_b64_e32 v[31:32], 4, v[27:28]
	v_ashrrev_i32_e32 v34, 31, v33
	s_clause 0x2
	global_load_b128 v[1:4], v44, s[2:3]
	global_load_b128 v[5:8], v[15:16], off
	global_load_b128 v[9:12], v[17:18], off
	v_ashrrev_i32_e32 v36, 31, v35
	v_add_nc_u32_e32 v37, s11, v35
	v_add_co_u32 v27, vcc_lo, s2, v29
	s_wait_alu 0xfffd
	v_add_co_ci_u32_e64 v28, null, s3, v30, vcc_lo
	v_add_co_u32 v29, vcc_lo, s2, v31
	s_wait_alu 0xfffd
	v_add_co_ci_u32_e64 v30, null, s3, v32, vcc_lo
	v_lshlrev_b64_e32 v[31:32], 4, v[33:34]
	v_lshlrev_b64_e32 v[33:34], 4, v[35:36]
	v_add_nc_u32_e32 v35, s11, v37
	v_ashrrev_i32_e32 v38, 31, v37
	s_clause 0x3
	global_load_b128 v[45:48], v[19:20], off
	global_load_b128 v[49:52], v[21:22], off
	;; [unrolled: 1-line block ×4, first 2 shown]
	v_add_co_u32 v31, vcc_lo, s2, v31
	v_ashrrev_i32_e32 v36, 31, v35
	v_add_nc_u32_e32 v41, s11, v35
	v_lshlrev_b64_e32 v[37:38], 4, v[37:38]
	s_wait_alu 0xfffd
	v_add_co_ci_u32_e64 v32, null, s3, v32, vcc_lo
	v_lshlrev_b64_e32 v[39:40], 4, v[35:36]
	v_add_nc_u32_e32 v85, s11, v41
	v_add_co_u32 v33, vcc_lo, s2, v33
	v_ashrrev_i32_e32 v42, 31, v41
	s_wait_alu 0xfffd
	v_add_co_ci_u32_e64 v34, null, s3, v34, vcc_lo
	v_add_co_u32 v35, vcc_lo, s2, v37
	v_ashrrev_i32_e32 v86, 31, v85
	s_wait_alu 0xfffd
	v_add_co_ci_u32_e64 v36, null, s3, v38, vcc_lo
	v_add_co_u32 v37, vcc_lo, s2, v39
	s_wait_alu 0xfffd
	v_add_co_ci_u32_e64 v38, null, s3, v40, vcc_lo
	v_lshlrev_b64_e32 v[39:40], 4, v[41:42]
	v_lshlrev_b64_e32 v[41:42], 4, v[85:86]
	s_clause 0x5
	global_load_b128 v[61:64], v[27:28], off
	global_load_b128 v[65:68], v[29:30], off
	;; [unrolled: 1-line block ×6, first 2 shown]
	s_mov_b32 s4, 16
	s_mov_b32 s8, 32
	v_add_co_u32 v39, vcc_lo, s2, v39
	s_wait_alu 0xfffd
	v_add_co_ci_u32_e64 v40, null, s3, v40, vcc_lo
	v_add_co_u32 v41, vcc_lo, s2, v41
	s_wait_alu 0xfffd
	v_add_co_ci_u32_e64 v42, null, s3, v42, vcc_lo
	s_clause 0x1
	global_load_b128 v[85:88], v[39:40], off
	global_load_b128 v[89:92], v[41:42], off
	s_mov_b32 s5, 48
	s_movk_i32 s9, 0x50
	s_mov_b32 s10, 64
	s_movk_i32 s11, 0x70
	s_bitcmp0_b32 s25, 0
	s_mov_b32 s3, -1
	s_wait_loadcnt 0xe
	scratch_store_b128 off, v[1:4], off
	s_wait_loadcnt 0xd
	scratch_store_b128 off, v[5:8], off offset:16
	s_wait_loadcnt 0xc
	scratch_store_b128 off, v[9:12], off offset:32
	;; [unrolled: 2-line block ×14, first 2 shown]
	s_cbranch_scc1 .LBB14_72
; %bb.4:
	v_cmp_eq_u32_e64 s2, 0, v43
	s_and_saveexec_b32 s3, s2
; %bb.5:
	v_mov_b32_e32 v1, 0
	ds_store_b32 v1, v1 offset:480
; %bb.6:
	s_wait_alu 0xfffe
	s_or_b32 exec_lo, exec_lo, s3
	s_wait_storecnt_dscnt 0x0
	s_barrier_signal -1
	s_barrier_wait -1
	global_inv scope:SCOPE_SE
	scratch_load_b128 v[1:4], v44, off
	s_wait_loadcnt 0x0
	v_cmp_eq_f64_e32 vcc_lo, 0, v[1:2]
	v_cmp_eq_f64_e64 s3, 0, v[3:4]
	s_and_b32 s3, vcc_lo, s3
	s_wait_alu 0xfffe
	s_and_saveexec_b32 s25, s3
	s_cbranch_execz .LBB14_10
; %bb.7:
	v_mov_b32_e32 v1, 0
	s_mov_b32 s26, 0
	ds_load_b32 v2, v1 offset:480
	s_wait_dscnt 0x0
	v_readfirstlane_b32 s3, v2
	v_add_nc_u32_e32 v2, 1, v43
	s_cmp_eq_u32 s3, 0
	s_delay_alu instid0(VALU_DEP_1) | instskip(SKIP_1) | instid1(SALU_CYCLE_1)
	v_cmp_gt_i32_e32 vcc_lo, s3, v2
	s_cselect_b32 s27, -1, 0
	s_or_b32 s27, s27, vcc_lo
	s_delay_alu instid0(SALU_CYCLE_1)
	s_and_b32 exec_lo, exec_lo, s27
	s_cbranch_execz .LBB14_10
; %bb.8:
	v_mov_b32_e32 v3, s3
.LBB14_9:                               ; =>This Inner Loop Header: Depth=1
	ds_cmpstore_rtn_b32 v3, v1, v2, v3 offset:480
	s_wait_dscnt 0x0
	v_cmp_ne_u32_e32 vcc_lo, 0, v3
	v_cmp_le_i32_e64 s3, v3, v2
	s_and_b32 s3, vcc_lo, s3
	s_wait_alu 0xfffe
	s_and_b32 s3, exec_lo, s3
	s_wait_alu 0xfffe
	s_or_b32 s26, s3, s26
	s_delay_alu instid0(SALU_CYCLE_1)
	s_and_not1_b32 exec_lo, exec_lo, s26
	s_cbranch_execnz .LBB14_9
.LBB14_10:
	s_or_b32 exec_lo, exec_lo, s25
	v_mov_b32_e32 v1, 0
	s_barrier_signal -1
	s_barrier_wait -1
	global_inv scope:SCOPE_SE
	ds_load_b32 v2, v1 offset:480
	s_and_saveexec_b32 s3, s2
	s_cbranch_execz .LBB14_12
; %bb.11:
	s_lshl_b64 s[26:27], s[18:19], 2
	s_delay_alu instid0(SALU_CYCLE_1)
	s_add_nc_u64 s[26:27], s[6:7], s[26:27]
	s_wait_dscnt 0x0
	global_store_b32 v1, v2, s[26:27]
.LBB14_12:
	s_wait_alu 0xfffe
	s_or_b32 exec_lo, exec_lo, s3
	s_wait_dscnt 0x0
	v_cmp_ne_u32_e32 vcc_lo, 0, v2
	s_mov_b32 s3, 0
	s_cbranch_vccnz .LBB14_72
; %bb.13:
	v_mov_b32_e32 v45, v44
                                        ; implicit-def: $vgpr1_vgpr2
                                        ; implicit-def: $vgpr9_vgpr10
	scratch_load_b128 v[5:8], v45, off
	s_wait_loadcnt 0x0
	v_cmp_ngt_f64_e64 s3, |v[5:6]|, |v[7:8]|
	s_wait_alu 0xfffe
	s_and_saveexec_b32 s25, s3
	s_delay_alu instid0(SALU_CYCLE_1)
	s_xor_b32 s3, exec_lo, s25
	s_cbranch_execz .LBB14_15
; %bb.14:
	v_div_scale_f64 v[1:2], null, v[7:8], v[7:8], v[5:6]
	v_div_scale_f64 v[11:12], vcc_lo, v[5:6], v[7:8], v[5:6]
	s_delay_alu instid0(VALU_DEP_2) | instskip(NEXT) | instid1(TRANS32_DEP_1)
	v_rcp_f64_e32 v[3:4], v[1:2]
	v_fma_f64 v[9:10], -v[1:2], v[3:4], 1.0
	s_delay_alu instid0(VALU_DEP_1) | instskip(NEXT) | instid1(VALU_DEP_1)
	v_fma_f64 v[3:4], v[3:4], v[9:10], v[3:4]
	v_fma_f64 v[9:10], -v[1:2], v[3:4], 1.0
	s_delay_alu instid0(VALU_DEP_1) | instskip(NEXT) | instid1(VALU_DEP_1)
	v_fma_f64 v[3:4], v[3:4], v[9:10], v[3:4]
	v_mul_f64_e32 v[9:10], v[11:12], v[3:4]
	s_delay_alu instid0(VALU_DEP_1) | instskip(SKIP_1) | instid1(VALU_DEP_1)
	v_fma_f64 v[1:2], -v[1:2], v[9:10], v[11:12]
	s_wait_alu 0xfffd
	v_div_fmas_f64 v[1:2], v[1:2], v[3:4], v[9:10]
	s_delay_alu instid0(VALU_DEP_1) | instskip(NEXT) | instid1(VALU_DEP_1)
	v_div_fixup_f64 v[1:2], v[1:2], v[7:8], v[5:6]
	v_fma_f64 v[3:4], v[5:6], v[1:2], v[7:8]
	s_delay_alu instid0(VALU_DEP_1) | instskip(SKIP_1) | instid1(VALU_DEP_2)
	v_div_scale_f64 v[5:6], null, v[3:4], v[3:4], 1.0
	v_div_scale_f64 v[11:12], vcc_lo, 1.0, v[3:4], 1.0
	v_rcp_f64_e32 v[7:8], v[5:6]
	s_delay_alu instid0(TRANS32_DEP_1) | instskip(NEXT) | instid1(VALU_DEP_1)
	v_fma_f64 v[9:10], -v[5:6], v[7:8], 1.0
	v_fma_f64 v[7:8], v[7:8], v[9:10], v[7:8]
	s_delay_alu instid0(VALU_DEP_1) | instskip(NEXT) | instid1(VALU_DEP_1)
	v_fma_f64 v[9:10], -v[5:6], v[7:8], 1.0
	v_fma_f64 v[7:8], v[7:8], v[9:10], v[7:8]
	s_delay_alu instid0(VALU_DEP_1) | instskip(NEXT) | instid1(VALU_DEP_1)
	v_mul_f64_e32 v[9:10], v[11:12], v[7:8]
	v_fma_f64 v[5:6], -v[5:6], v[9:10], v[11:12]
	s_wait_alu 0xfffd
	s_delay_alu instid0(VALU_DEP_1) | instskip(NEXT) | instid1(VALU_DEP_1)
	v_div_fmas_f64 v[5:6], v[5:6], v[7:8], v[9:10]
	v_div_fixup_f64 v[3:4], v[5:6], v[3:4], 1.0
                                        ; implicit-def: $vgpr5_vgpr6
	s_delay_alu instid0(VALU_DEP_1) | instskip(SKIP_1) | instid1(VALU_DEP_2)
	v_mul_f64_e32 v[1:2], v[1:2], v[3:4]
	v_xor_b32_e32 v4, 0x80000000, v4
	v_xor_b32_e32 v10, 0x80000000, v2
	s_delay_alu instid0(VALU_DEP_3)
	v_mov_b32_e32 v9, v1
.LBB14_15:
	s_wait_alu 0xfffe
	s_and_not1_saveexec_b32 s3, s3
	s_cbranch_execz .LBB14_17
; %bb.16:
	v_div_scale_f64 v[1:2], null, v[5:6], v[5:6], v[7:8]
	v_div_scale_f64 v[11:12], vcc_lo, v[7:8], v[5:6], v[7:8]
	s_delay_alu instid0(VALU_DEP_2) | instskip(NEXT) | instid1(TRANS32_DEP_1)
	v_rcp_f64_e32 v[3:4], v[1:2]
	v_fma_f64 v[9:10], -v[1:2], v[3:4], 1.0
	s_delay_alu instid0(VALU_DEP_1) | instskip(NEXT) | instid1(VALU_DEP_1)
	v_fma_f64 v[3:4], v[3:4], v[9:10], v[3:4]
	v_fma_f64 v[9:10], -v[1:2], v[3:4], 1.0
	s_delay_alu instid0(VALU_DEP_1) | instskip(NEXT) | instid1(VALU_DEP_1)
	v_fma_f64 v[3:4], v[3:4], v[9:10], v[3:4]
	v_mul_f64_e32 v[9:10], v[11:12], v[3:4]
	s_delay_alu instid0(VALU_DEP_1) | instskip(SKIP_1) | instid1(VALU_DEP_1)
	v_fma_f64 v[1:2], -v[1:2], v[9:10], v[11:12]
	s_wait_alu 0xfffd
	v_div_fmas_f64 v[1:2], v[1:2], v[3:4], v[9:10]
	s_delay_alu instid0(VALU_DEP_1) | instskip(NEXT) | instid1(VALU_DEP_1)
	v_div_fixup_f64 v[3:4], v[1:2], v[5:6], v[7:8]
	v_fma_f64 v[1:2], v[7:8], v[3:4], v[5:6]
	s_delay_alu instid0(VALU_DEP_1) | instskip(NEXT) | instid1(VALU_DEP_1)
	v_div_scale_f64 v[5:6], null, v[1:2], v[1:2], 1.0
	v_rcp_f64_e32 v[7:8], v[5:6]
	s_delay_alu instid0(TRANS32_DEP_1) | instskip(NEXT) | instid1(VALU_DEP_1)
	v_fma_f64 v[9:10], -v[5:6], v[7:8], 1.0
	v_fma_f64 v[7:8], v[7:8], v[9:10], v[7:8]
	s_delay_alu instid0(VALU_DEP_1) | instskip(NEXT) | instid1(VALU_DEP_1)
	v_fma_f64 v[9:10], -v[5:6], v[7:8], 1.0
	v_fma_f64 v[7:8], v[7:8], v[9:10], v[7:8]
	v_div_scale_f64 v[9:10], vcc_lo, 1.0, v[1:2], 1.0
	s_delay_alu instid0(VALU_DEP_1) | instskip(NEXT) | instid1(VALU_DEP_1)
	v_mul_f64_e32 v[11:12], v[9:10], v[7:8]
	v_fma_f64 v[5:6], -v[5:6], v[11:12], v[9:10]
	s_wait_alu 0xfffd
	s_delay_alu instid0(VALU_DEP_1) | instskip(NEXT) | instid1(VALU_DEP_1)
	v_div_fmas_f64 v[5:6], v[5:6], v[7:8], v[11:12]
	v_div_fixup_f64 v[1:2], v[5:6], v[1:2], 1.0
	s_delay_alu instid0(VALU_DEP_1)
	v_mul_f64_e64 v[3:4], v[3:4], -v[1:2]
	v_xor_b32_e32 v10, 0x80000000, v2
	v_mov_b32_e32 v9, v1
.LBB14_17:
	s_wait_alu 0xfffe
	s_or_b32 exec_lo, exec_lo, s3
	scratch_store_b128 v45, v[1:4], off
	scratch_load_b128 v[46:49], off, s4
	v_xor_b32_e32 v12, 0x80000000, v4
	v_mov_b32_e32 v11, v3
	v_add_nc_u32_e32 v5, 0xf0, v44
	ds_store_b128 v44, v[9:12]
	s_wait_loadcnt 0x0
	ds_store_b128 v44, v[46:49] offset:240
	s_wait_storecnt_dscnt 0x0
	s_barrier_signal -1
	s_barrier_wait -1
	global_inv scope:SCOPE_SE
	s_and_saveexec_b32 s3, s2
	s_cbranch_execz .LBB14_19
; %bb.18:
	scratch_load_b128 v[1:4], v45, off
	ds_load_b128 v[6:9], v5
	v_mov_b32_e32 v10, 0
	ds_load_b128 v[46:49], v10 offset:16
	s_wait_loadcnt_dscnt 0x1
	v_mul_f64_e32 v[10:11], v[6:7], v[3:4]
	v_mul_f64_e32 v[3:4], v[8:9], v[3:4]
	s_delay_alu instid0(VALU_DEP_2) | instskip(NEXT) | instid1(VALU_DEP_2)
	v_fma_f64 v[8:9], v[8:9], v[1:2], v[10:11]
	v_fma_f64 v[1:2], v[6:7], v[1:2], -v[3:4]
	s_delay_alu instid0(VALU_DEP_2) | instskip(NEXT) | instid1(VALU_DEP_2)
	v_add_f64_e32 v[3:4], 0, v[8:9]
	v_add_f64_e32 v[1:2], 0, v[1:2]
	s_wait_dscnt 0x0
	s_delay_alu instid0(VALU_DEP_2) | instskip(NEXT) | instid1(VALU_DEP_2)
	v_mul_f64_e32 v[6:7], v[3:4], v[48:49]
	v_mul_f64_e32 v[8:9], v[1:2], v[48:49]
	s_delay_alu instid0(VALU_DEP_2) | instskip(NEXT) | instid1(VALU_DEP_2)
	v_fma_f64 v[1:2], v[1:2], v[46:47], -v[6:7]
	v_fma_f64 v[3:4], v[3:4], v[46:47], v[8:9]
	scratch_store_b128 off, v[1:4], off offset:16
.LBB14_19:
	s_wait_alu 0xfffe
	s_or_b32 exec_lo, exec_lo, s3
	s_wait_loadcnt 0x0
	s_wait_storecnt 0x0
	s_barrier_signal -1
	s_barrier_wait -1
	global_inv scope:SCOPE_SE
	scratch_load_b128 v[1:4], off, s8
	s_mov_b32 s3, exec_lo
	s_wait_loadcnt 0x0
	ds_store_b128 v5, v[1:4]
	s_wait_dscnt 0x0
	s_barrier_signal -1
	s_barrier_wait -1
	global_inv scope:SCOPE_SE
	v_cmpx_gt_u32_e32 2, v43
	s_cbranch_execz .LBB14_23
; %bb.20:
	scratch_load_b128 v[1:4], v45, off
	ds_load_b128 v[6:9], v5
	s_wait_loadcnt_dscnt 0x0
	v_mul_f64_e32 v[10:11], v[8:9], v[3:4]
	v_mul_f64_e32 v[3:4], v[6:7], v[3:4]
	s_delay_alu instid0(VALU_DEP_2) | instskip(NEXT) | instid1(VALU_DEP_2)
	v_fma_f64 v[6:7], v[6:7], v[1:2], -v[10:11]
	v_fma_f64 v[3:4], v[8:9], v[1:2], v[3:4]
	s_delay_alu instid0(VALU_DEP_2) | instskip(NEXT) | instid1(VALU_DEP_2)
	v_add_f64_e32 v[1:2], 0, v[6:7]
	v_add_f64_e32 v[3:4], 0, v[3:4]
	s_and_saveexec_b32 s25, s2
	s_cbranch_execz .LBB14_22
; %bb.21:
	scratch_load_b128 v[6:9], off, off offset:16
	v_mov_b32_e32 v10, 0
	ds_load_b128 v[46:49], v10 offset:256
	s_wait_loadcnt_dscnt 0x0
	v_mul_f64_e32 v[10:11], v[46:47], v[8:9]
	v_mul_f64_e32 v[8:9], v[48:49], v[8:9]
	s_delay_alu instid0(VALU_DEP_2) | instskip(NEXT) | instid1(VALU_DEP_2)
	v_fma_f64 v[10:11], v[48:49], v[6:7], v[10:11]
	v_fma_f64 v[6:7], v[46:47], v[6:7], -v[8:9]
	s_delay_alu instid0(VALU_DEP_2) | instskip(NEXT) | instid1(VALU_DEP_2)
	v_add_f64_e32 v[3:4], v[3:4], v[10:11]
	v_add_f64_e32 v[1:2], v[1:2], v[6:7]
.LBB14_22:
	s_or_b32 exec_lo, exec_lo, s25
	v_mov_b32_e32 v6, 0
	ds_load_b128 v[6:9], v6 offset:32
	s_wait_dscnt 0x0
	v_mul_f64_e32 v[10:11], v[3:4], v[8:9]
	v_mul_f64_e32 v[8:9], v[1:2], v[8:9]
	s_delay_alu instid0(VALU_DEP_2) | instskip(NEXT) | instid1(VALU_DEP_2)
	v_fma_f64 v[1:2], v[1:2], v[6:7], -v[10:11]
	v_fma_f64 v[3:4], v[3:4], v[6:7], v[8:9]
	scratch_store_b128 off, v[1:4], off offset:32
.LBB14_23:
	s_wait_alu 0xfffe
	s_or_b32 exec_lo, exec_lo, s3
	s_wait_loadcnt 0x0
	s_wait_storecnt 0x0
	s_barrier_signal -1
	s_barrier_wait -1
	global_inv scope:SCOPE_SE
	scratch_load_b128 v[1:4], off, s5
	v_add_nc_u32_e32 v6, -1, v43
	s_mov_b32 s2, exec_lo
	s_wait_loadcnt 0x0
	ds_store_b128 v5, v[1:4]
	s_wait_dscnt 0x0
	s_barrier_signal -1
	s_barrier_wait -1
	global_inv scope:SCOPE_SE
	v_cmpx_gt_u32_e32 3, v43
	s_cbranch_execz .LBB14_27
; %bb.24:
	v_dual_mov_b32 v1, 0 :: v_dual_add_nc_u32 v8, 0xf0, v44
	v_mov_b32_e32 v3, 0
	v_dual_mov_b32 v2, 0 :: v_dual_add_nc_u32 v7, -1, v43
	v_mov_b32_e32 v4, 0
	v_or_b32_e32 v9, 8, v45
	s_mov_b32 s3, 0
.LBB14_25:                              ; =>This Inner Loop Header: Depth=1
	scratch_load_b128 v[46:49], v9, off offset:-8
	ds_load_b128 v[50:53], v8
	v_add_nc_u32_e32 v7, 1, v7
	v_add_nc_u32_e32 v8, 16, v8
	v_add_nc_u32_e32 v9, 16, v9
	s_delay_alu instid0(VALU_DEP_3)
	v_cmp_lt_u32_e32 vcc_lo, 1, v7
	s_wait_alu 0xfffe
	s_or_b32 s3, vcc_lo, s3
	s_wait_loadcnt_dscnt 0x0
	v_mul_f64_e32 v[10:11], v[52:53], v[48:49]
	v_mul_f64_e32 v[48:49], v[50:51], v[48:49]
	s_delay_alu instid0(VALU_DEP_2) | instskip(NEXT) | instid1(VALU_DEP_2)
	v_fma_f64 v[10:11], v[50:51], v[46:47], -v[10:11]
	v_fma_f64 v[46:47], v[52:53], v[46:47], v[48:49]
	s_delay_alu instid0(VALU_DEP_2) | instskip(NEXT) | instid1(VALU_DEP_2)
	v_add_f64_e32 v[3:4], v[3:4], v[10:11]
	v_add_f64_e32 v[1:2], v[1:2], v[46:47]
	s_wait_alu 0xfffe
	s_and_not1_b32 exec_lo, exec_lo, s3
	s_cbranch_execnz .LBB14_25
; %bb.26:
	s_or_b32 exec_lo, exec_lo, s3
	v_mov_b32_e32 v7, 0
	ds_load_b128 v[7:10], v7 offset:48
	s_wait_dscnt 0x0
	v_mul_f64_e32 v[11:12], v[1:2], v[9:10]
	v_mul_f64_e32 v[46:47], v[3:4], v[9:10]
	s_delay_alu instid0(VALU_DEP_2) | instskip(NEXT) | instid1(VALU_DEP_2)
	v_fma_f64 v[9:10], v[3:4], v[7:8], -v[11:12]
	v_fma_f64 v[11:12], v[1:2], v[7:8], v[46:47]
	scratch_store_b128 off, v[9:12], off offset:48
.LBB14_27:
	s_wait_alu 0xfffe
	s_or_b32 exec_lo, exec_lo, s2
	s_wait_loadcnt 0x0
	s_wait_storecnt 0x0
	s_barrier_signal -1
	s_barrier_wait -1
	global_inv scope:SCOPE_SE
	scratch_load_b128 v[1:4], off, s10
	s_mov_b32 s2, exec_lo
	s_wait_loadcnt 0x0
	ds_store_b128 v5, v[1:4]
	s_wait_dscnt 0x0
	s_barrier_signal -1
	s_barrier_wait -1
	global_inv scope:SCOPE_SE
	v_cmpx_gt_u32_e32 4, v43
	s_cbranch_execz .LBB14_31
; %bb.28:
	v_dual_mov_b32 v1, 0 :: v_dual_add_nc_u32 v8, 0xf0, v44
	v_mov_b32_e32 v3, 0
	v_dual_mov_b32 v2, 0 :: v_dual_add_nc_u32 v7, -1, v43
	v_mov_b32_e32 v4, 0
	v_or_b32_e32 v9, 8, v45
	s_mov_b32 s3, 0
.LBB14_29:                              ; =>This Inner Loop Header: Depth=1
	scratch_load_b128 v[46:49], v9, off offset:-8
	ds_load_b128 v[50:53], v8
	v_add_nc_u32_e32 v7, 1, v7
	v_add_nc_u32_e32 v8, 16, v8
	v_add_nc_u32_e32 v9, 16, v9
	s_delay_alu instid0(VALU_DEP_3)
	v_cmp_lt_u32_e32 vcc_lo, 2, v7
	s_wait_alu 0xfffe
	s_or_b32 s3, vcc_lo, s3
	s_wait_loadcnt_dscnt 0x0
	v_mul_f64_e32 v[10:11], v[52:53], v[48:49]
	v_mul_f64_e32 v[48:49], v[50:51], v[48:49]
	s_delay_alu instid0(VALU_DEP_2) | instskip(NEXT) | instid1(VALU_DEP_2)
	v_fma_f64 v[10:11], v[50:51], v[46:47], -v[10:11]
	v_fma_f64 v[46:47], v[52:53], v[46:47], v[48:49]
	s_delay_alu instid0(VALU_DEP_2) | instskip(NEXT) | instid1(VALU_DEP_2)
	v_add_f64_e32 v[3:4], v[3:4], v[10:11]
	v_add_f64_e32 v[1:2], v[1:2], v[46:47]
	s_wait_alu 0xfffe
	s_and_not1_b32 exec_lo, exec_lo, s3
	s_cbranch_execnz .LBB14_29
; %bb.30:
	s_or_b32 exec_lo, exec_lo, s3
	v_mov_b32_e32 v7, 0
	ds_load_b128 v[7:10], v7 offset:64
	s_wait_dscnt 0x0
	v_mul_f64_e32 v[11:12], v[1:2], v[9:10]
	v_mul_f64_e32 v[46:47], v[3:4], v[9:10]
	s_delay_alu instid0(VALU_DEP_2) | instskip(NEXT) | instid1(VALU_DEP_2)
	v_fma_f64 v[9:10], v[3:4], v[7:8], -v[11:12]
	v_fma_f64 v[11:12], v[1:2], v[7:8], v[46:47]
	scratch_store_b128 off, v[9:12], off offset:64
.LBB14_31:
	s_wait_alu 0xfffe
	s_or_b32 exec_lo, exec_lo, s2
	s_wait_loadcnt 0x0
	s_wait_storecnt 0x0
	s_barrier_signal -1
	s_barrier_wait -1
	global_inv scope:SCOPE_SE
	scratch_load_b128 v[1:4], off, s9
	;; [unrolled: 58-line block ×11, first 2 shown]
	s_mov_b32 s2, exec_lo
	s_wait_loadcnt 0x0
	ds_store_b128 v5, v[1:4]
	s_wait_dscnt 0x0
	s_barrier_signal -1
	s_barrier_wait -1
	global_inv scope:SCOPE_SE
	v_cmpx_ne_u32_e32 14, v43
	s_cbranch_execz .LBB14_71
; %bb.68:
	v_mov_b32_e32 v1, 0
	v_dual_mov_b32 v2, 0 :: v_dual_mov_b32 v3, 0
	v_mov_b32_e32 v4, 0
	v_or_b32_e32 v7, 8, v45
	s_mov_b32 s3, 0
.LBB14_69:                              ; =>This Inner Loop Header: Depth=1
	scratch_load_b128 v[8:11], v7, off offset:-8
	ds_load_b128 v[44:47], v5
	v_add_nc_u32_e32 v6, 1, v6
	v_add_nc_u32_e32 v5, 16, v5
	;; [unrolled: 1-line block ×3, first 2 shown]
	s_delay_alu instid0(VALU_DEP_3)
	v_cmp_lt_u32_e32 vcc_lo, 12, v6
	s_wait_alu 0xfffe
	s_or_b32 s3, vcc_lo, s3
	s_wait_loadcnt_dscnt 0x0
	v_mul_f64_e32 v[48:49], v[46:47], v[10:11]
	v_mul_f64_e32 v[10:11], v[44:45], v[10:11]
	s_delay_alu instid0(VALU_DEP_2) | instskip(NEXT) | instid1(VALU_DEP_2)
	v_fma_f64 v[44:45], v[44:45], v[8:9], -v[48:49]
	v_fma_f64 v[8:9], v[46:47], v[8:9], v[10:11]
	s_delay_alu instid0(VALU_DEP_2) | instskip(NEXT) | instid1(VALU_DEP_2)
	v_add_f64_e32 v[3:4], v[3:4], v[44:45]
	v_add_f64_e32 v[1:2], v[1:2], v[8:9]
	s_wait_alu 0xfffe
	s_and_not1_b32 exec_lo, exec_lo, s3
	s_cbranch_execnz .LBB14_69
; %bb.70:
	s_or_b32 exec_lo, exec_lo, s3
	v_mov_b32_e32 v5, 0
	ds_load_b128 v[5:8], v5 offset:224
	s_wait_dscnt 0x0
	v_mul_f64_e32 v[9:10], v[1:2], v[7:8]
	v_mul_f64_e32 v[7:8], v[3:4], v[7:8]
	s_delay_alu instid0(VALU_DEP_2) | instskip(NEXT) | instid1(VALU_DEP_2)
	v_fma_f64 v[3:4], v[3:4], v[5:6], -v[9:10]
	v_fma_f64 v[5:6], v[1:2], v[5:6], v[7:8]
	scratch_store_b128 off, v[3:6], off offset:224
.LBB14_71:
	s_wait_alu 0xfffe
	s_or_b32 exec_lo, exec_lo, s2
	s_mov_b32 s3, -1
	s_wait_loadcnt 0x0
	s_wait_storecnt 0x0
	s_barrier_signal -1
	s_barrier_wait -1
	global_inv scope:SCOPE_SE
.LBB14_72:
	s_wait_alu 0xfffe
	s_and_b32 vcc_lo, exec_lo, s3
	s_wait_alu 0xfffe
	s_cbranch_vccz .LBB14_74
; %bb.73:
	v_mov_b32_e32 v1, 0
	s_lshl_b64 s[2:3], s[18:19], 2
	s_wait_alu 0xfffe
	s_add_nc_u64 s[2:3], s[6:7], s[2:3]
	global_load_b32 v1, v1, s[2:3]
	s_wait_loadcnt 0x0
	v_cmp_ne_u32_e32 vcc_lo, 0, v1
	s_cbranch_vccz .LBB14_75
.LBB14_74:
	s_nop 0
	s_sendmsg sendmsg(MSG_DEALLOC_VGPRS)
	s_endpgm
.LBB14_75:
	v_lshl_add_u32 v5, v43, 4, 0xf0
	s_mov_b32 s2, exec_lo
	v_cmpx_eq_u32_e32 14, v43
	s_cbranch_execz .LBB14_77
; %bb.76:
	scratch_load_b128 v[1:4], off, s22
	v_mov_b32_e32 v6, 0
	s_delay_alu instid0(VALU_DEP_1)
	v_dual_mov_b32 v7, v6 :: v_dual_mov_b32 v8, v6
	v_mov_b32_e32 v9, v6
	scratch_store_b128 off, v[6:9], off offset:208
	s_wait_loadcnt 0x0
	ds_store_b128 v5, v[1:4]
.LBB14_77:
	s_wait_alu 0xfffe
	s_or_b32 exec_lo, exec_lo, s2
	s_wait_storecnt_dscnt 0x0
	s_barrier_signal -1
	s_barrier_wait -1
	global_inv scope:SCOPE_SE
	s_clause 0x1
	scratch_load_b128 v[6:9], off, off offset:224
	scratch_load_b128 v[44:47], off, off offset:208
	v_mov_b32_e32 v1, 0
	s_mov_b32 s2, exec_lo
	ds_load_b128 v[48:51], v1 offset:464
	s_wait_loadcnt_dscnt 0x100
	v_mul_f64_e32 v[2:3], v[50:51], v[8:9]
	v_mul_f64_e32 v[8:9], v[48:49], v[8:9]
	s_delay_alu instid0(VALU_DEP_2) | instskip(NEXT) | instid1(VALU_DEP_2)
	v_fma_f64 v[2:3], v[48:49], v[6:7], -v[2:3]
	v_fma_f64 v[6:7], v[50:51], v[6:7], v[8:9]
	s_delay_alu instid0(VALU_DEP_2) | instskip(NEXT) | instid1(VALU_DEP_2)
	v_add_f64_e32 v[2:3], 0, v[2:3]
	v_add_f64_e32 v[8:9], 0, v[6:7]
	s_wait_loadcnt 0x0
	s_delay_alu instid0(VALU_DEP_2) | instskip(NEXT) | instid1(VALU_DEP_2)
	v_add_f64_e64 v[6:7], v[44:45], -v[2:3]
	v_add_f64_e64 v[8:9], v[46:47], -v[8:9]
	scratch_store_b128 off, v[6:9], off offset:208
	v_cmpx_lt_u32_e32 12, v43
	s_cbranch_execz .LBB14_79
; %bb.78:
	scratch_load_b128 v[6:9], off, s23
	v_dual_mov_b32 v2, v1 :: v_dual_mov_b32 v3, v1
	v_mov_b32_e32 v4, v1
	scratch_store_b128 off, v[1:4], off offset:192
	s_wait_loadcnt 0x0
	ds_store_b128 v5, v[6:9]
.LBB14_79:
	s_wait_alu 0xfffe
	s_or_b32 exec_lo, exec_lo, s2
	s_wait_storecnt_dscnt 0x0
	s_barrier_signal -1
	s_barrier_wait -1
	global_inv scope:SCOPE_SE
	s_clause 0x2
	scratch_load_b128 v[6:9], off, off offset:208
	scratch_load_b128 v[44:47], off, off offset:224
	;; [unrolled: 1-line block ×3, first 2 shown]
	ds_load_b128 v[52:55], v1 offset:448
	ds_load_b128 v[1:4], v1 offset:464
	s_mov_b32 s2, exec_lo
	s_wait_loadcnt_dscnt 0x201
	v_mul_f64_e32 v[10:11], v[54:55], v[8:9]
	v_mul_f64_e32 v[8:9], v[52:53], v[8:9]
	s_wait_loadcnt_dscnt 0x100
	v_mul_f64_e32 v[56:57], v[1:2], v[46:47]
	v_mul_f64_e32 v[46:47], v[3:4], v[46:47]
	s_delay_alu instid0(VALU_DEP_4) | instskip(NEXT) | instid1(VALU_DEP_4)
	v_fma_f64 v[10:11], v[52:53], v[6:7], -v[10:11]
	v_fma_f64 v[6:7], v[54:55], v[6:7], v[8:9]
	s_delay_alu instid0(VALU_DEP_4) | instskip(NEXT) | instid1(VALU_DEP_4)
	v_fma_f64 v[3:4], v[3:4], v[44:45], v[56:57]
	v_fma_f64 v[1:2], v[1:2], v[44:45], -v[46:47]
	s_delay_alu instid0(VALU_DEP_4) | instskip(NEXT) | instid1(VALU_DEP_4)
	v_add_f64_e32 v[8:9], 0, v[10:11]
	v_add_f64_e32 v[6:7], 0, v[6:7]
	s_delay_alu instid0(VALU_DEP_2) | instskip(NEXT) | instid1(VALU_DEP_2)
	v_add_f64_e32 v[1:2], v[8:9], v[1:2]
	v_add_f64_e32 v[3:4], v[6:7], v[3:4]
	s_wait_loadcnt 0x0
	s_delay_alu instid0(VALU_DEP_2) | instskip(NEXT) | instid1(VALU_DEP_2)
	v_add_f64_e64 v[1:2], v[48:49], -v[1:2]
	v_add_f64_e64 v[3:4], v[50:51], -v[3:4]
	scratch_store_b128 off, v[1:4], off offset:192
	v_cmpx_lt_u32_e32 11, v43
	s_cbranch_execz .LBB14_81
; %bb.80:
	scratch_load_b128 v[1:4], off, s15
	v_mov_b32_e32 v6, 0
	s_delay_alu instid0(VALU_DEP_1)
	v_dual_mov_b32 v7, v6 :: v_dual_mov_b32 v8, v6
	v_mov_b32_e32 v9, v6
	scratch_store_b128 off, v[6:9], off offset:176
	s_wait_loadcnt 0x0
	ds_store_b128 v5, v[1:4]
.LBB14_81:
	s_wait_alu 0xfffe
	s_or_b32 exec_lo, exec_lo, s2
	s_wait_storecnt_dscnt 0x0
	s_barrier_signal -1
	s_barrier_wait -1
	global_inv scope:SCOPE_SE
	s_clause 0x3
	scratch_load_b128 v[6:9], off, off offset:192
	scratch_load_b128 v[44:47], off, off offset:208
	;; [unrolled: 1-line block ×4, first 2 shown]
	v_mov_b32_e32 v1, 0
	ds_load_b128 v[56:59], v1 offset:432
	ds_load_b128 v[60:63], v1 offset:448
	s_mov_b32 s2, exec_lo
	s_wait_loadcnt_dscnt 0x301
	v_mul_f64_e32 v[2:3], v[58:59], v[8:9]
	v_mul_f64_e32 v[8:9], v[56:57], v[8:9]
	s_wait_loadcnt_dscnt 0x200
	v_mul_f64_e32 v[10:11], v[60:61], v[46:47]
	v_mul_f64_e32 v[46:47], v[62:63], v[46:47]
	s_delay_alu instid0(VALU_DEP_4) | instskip(NEXT) | instid1(VALU_DEP_4)
	v_fma_f64 v[2:3], v[56:57], v[6:7], -v[2:3]
	v_fma_f64 v[56:57], v[58:59], v[6:7], v[8:9]
	ds_load_b128 v[6:9], v1 offset:464
	v_fma_f64 v[10:11], v[62:63], v[44:45], v[10:11]
	v_fma_f64 v[44:45], v[60:61], v[44:45], -v[46:47]
	s_wait_loadcnt_dscnt 0x100
	v_mul_f64_e32 v[58:59], v[6:7], v[50:51]
	v_mul_f64_e32 v[50:51], v[8:9], v[50:51]
	v_add_f64_e32 v[2:3], 0, v[2:3]
	v_add_f64_e32 v[46:47], 0, v[56:57]
	s_delay_alu instid0(VALU_DEP_4) | instskip(NEXT) | instid1(VALU_DEP_4)
	v_fma_f64 v[8:9], v[8:9], v[48:49], v[58:59]
	v_fma_f64 v[6:7], v[6:7], v[48:49], -v[50:51]
	s_delay_alu instid0(VALU_DEP_4) | instskip(NEXT) | instid1(VALU_DEP_4)
	v_add_f64_e32 v[2:3], v[2:3], v[44:45]
	v_add_f64_e32 v[10:11], v[46:47], v[10:11]
	s_delay_alu instid0(VALU_DEP_2) | instskip(NEXT) | instid1(VALU_DEP_2)
	v_add_f64_e32 v[2:3], v[2:3], v[6:7]
	v_add_f64_e32 v[8:9], v[10:11], v[8:9]
	s_wait_loadcnt 0x0
	s_delay_alu instid0(VALU_DEP_2) | instskip(NEXT) | instid1(VALU_DEP_2)
	v_add_f64_e64 v[6:7], v[52:53], -v[2:3]
	v_add_f64_e64 v[8:9], v[54:55], -v[8:9]
	scratch_store_b128 off, v[6:9], off offset:176
	v_cmpx_lt_u32_e32 10, v43
	s_cbranch_execz .LBB14_83
; %bb.82:
	scratch_load_b128 v[6:9], off, s21
	v_dual_mov_b32 v2, v1 :: v_dual_mov_b32 v3, v1
	v_mov_b32_e32 v4, v1
	scratch_store_b128 off, v[1:4], off offset:160
	s_wait_loadcnt 0x0
	ds_store_b128 v5, v[6:9]
.LBB14_83:
	s_wait_alu 0xfffe
	s_or_b32 exec_lo, exec_lo, s2
	s_wait_storecnt_dscnt 0x0
	s_barrier_signal -1
	s_barrier_wait -1
	global_inv scope:SCOPE_SE
	s_clause 0x4
	scratch_load_b128 v[6:9], off, off offset:176
	scratch_load_b128 v[44:47], off, off offset:192
	;; [unrolled: 1-line block ×5, first 2 shown]
	ds_load_b128 v[60:63], v1 offset:416
	ds_load_b128 v[64:67], v1 offset:432
	s_mov_b32 s2, exec_lo
	s_wait_loadcnt_dscnt 0x401
	v_mul_f64_e32 v[2:3], v[62:63], v[8:9]
	v_mul_f64_e32 v[8:9], v[60:61], v[8:9]
	s_wait_loadcnt_dscnt 0x300
	v_mul_f64_e32 v[10:11], v[64:65], v[46:47]
	v_mul_f64_e32 v[46:47], v[66:67], v[46:47]
	s_delay_alu instid0(VALU_DEP_4) | instskip(NEXT) | instid1(VALU_DEP_4)
	v_fma_f64 v[60:61], v[60:61], v[6:7], -v[2:3]
	v_fma_f64 v[62:63], v[62:63], v[6:7], v[8:9]
	ds_load_b128 v[6:9], v1 offset:448
	ds_load_b128 v[1:4], v1 offset:464
	v_fma_f64 v[10:11], v[66:67], v[44:45], v[10:11]
	v_fma_f64 v[44:45], v[64:65], v[44:45], -v[46:47]
	s_wait_loadcnt_dscnt 0x201
	v_mul_f64_e32 v[68:69], v[6:7], v[50:51]
	v_mul_f64_e32 v[50:51], v[8:9], v[50:51]
	v_add_f64_e32 v[46:47], 0, v[60:61]
	v_add_f64_e32 v[60:61], 0, v[62:63]
	s_wait_loadcnt_dscnt 0x100
	v_mul_f64_e32 v[62:63], v[1:2], v[54:55]
	v_mul_f64_e32 v[54:55], v[3:4], v[54:55]
	v_fma_f64 v[8:9], v[8:9], v[48:49], v[68:69]
	v_fma_f64 v[6:7], v[6:7], v[48:49], -v[50:51]
	v_add_f64_e32 v[44:45], v[46:47], v[44:45]
	v_add_f64_e32 v[10:11], v[60:61], v[10:11]
	v_fma_f64 v[3:4], v[3:4], v[52:53], v[62:63]
	v_fma_f64 v[1:2], v[1:2], v[52:53], -v[54:55]
	s_delay_alu instid0(VALU_DEP_4) | instskip(NEXT) | instid1(VALU_DEP_4)
	v_add_f64_e32 v[6:7], v[44:45], v[6:7]
	v_add_f64_e32 v[8:9], v[10:11], v[8:9]
	s_delay_alu instid0(VALU_DEP_2) | instskip(NEXT) | instid1(VALU_DEP_2)
	v_add_f64_e32 v[1:2], v[6:7], v[1:2]
	v_add_f64_e32 v[3:4], v[8:9], v[3:4]
	s_wait_loadcnt 0x0
	s_delay_alu instid0(VALU_DEP_2) | instskip(NEXT) | instid1(VALU_DEP_2)
	v_add_f64_e64 v[1:2], v[56:57], -v[1:2]
	v_add_f64_e64 v[3:4], v[58:59], -v[3:4]
	scratch_store_b128 off, v[1:4], off offset:160
	v_cmpx_lt_u32_e32 9, v43
	s_cbranch_execz .LBB14_85
; %bb.84:
	scratch_load_b128 v[1:4], off, s13
	v_mov_b32_e32 v6, 0
	s_delay_alu instid0(VALU_DEP_1)
	v_dual_mov_b32 v7, v6 :: v_dual_mov_b32 v8, v6
	v_mov_b32_e32 v9, v6
	scratch_store_b128 off, v[6:9], off offset:144
	s_wait_loadcnt 0x0
	ds_store_b128 v5, v[1:4]
.LBB14_85:
	s_wait_alu 0xfffe
	s_or_b32 exec_lo, exec_lo, s2
	s_wait_storecnt_dscnt 0x0
	s_barrier_signal -1
	s_barrier_wait -1
	global_inv scope:SCOPE_SE
	s_clause 0x5
	scratch_load_b128 v[6:9], off, off offset:160
	scratch_load_b128 v[44:47], off, off offset:176
	;; [unrolled: 1-line block ×6, first 2 shown]
	v_mov_b32_e32 v1, 0
	ds_load_b128 v[64:67], v1 offset:400
	ds_load_b128 v[68:71], v1 offset:416
	s_mov_b32 s2, exec_lo
	s_wait_loadcnt_dscnt 0x501
	v_mul_f64_e32 v[2:3], v[66:67], v[8:9]
	v_mul_f64_e32 v[8:9], v[64:65], v[8:9]
	s_wait_loadcnt_dscnt 0x400
	v_mul_f64_e32 v[10:11], v[68:69], v[46:47]
	v_mul_f64_e32 v[46:47], v[70:71], v[46:47]
	s_delay_alu instid0(VALU_DEP_4) | instskip(NEXT) | instid1(VALU_DEP_4)
	v_fma_f64 v[2:3], v[64:65], v[6:7], -v[2:3]
	v_fma_f64 v[72:73], v[66:67], v[6:7], v[8:9]
	ds_load_b128 v[6:9], v1 offset:432
	ds_load_b128 v[64:67], v1 offset:448
	v_fma_f64 v[10:11], v[70:71], v[44:45], v[10:11]
	v_fma_f64 v[44:45], v[68:69], v[44:45], -v[46:47]
	s_wait_loadcnt_dscnt 0x301
	v_mul_f64_e32 v[74:75], v[6:7], v[50:51]
	v_mul_f64_e32 v[50:51], v[8:9], v[50:51]
	s_wait_loadcnt_dscnt 0x200
	v_mul_f64_e32 v[68:69], v[64:65], v[54:55]
	v_mul_f64_e32 v[54:55], v[66:67], v[54:55]
	v_add_f64_e32 v[2:3], 0, v[2:3]
	v_add_f64_e32 v[46:47], 0, v[72:73]
	v_fma_f64 v[70:71], v[8:9], v[48:49], v[74:75]
	v_fma_f64 v[48:49], v[6:7], v[48:49], -v[50:51]
	ds_load_b128 v[6:9], v1 offset:464
	v_fma_f64 v[50:51], v[66:67], v[52:53], v[68:69]
	v_fma_f64 v[52:53], v[64:65], v[52:53], -v[54:55]
	v_add_f64_e32 v[2:3], v[2:3], v[44:45]
	v_add_f64_e32 v[10:11], v[46:47], v[10:11]
	s_wait_loadcnt_dscnt 0x100
	v_mul_f64_e32 v[44:45], v[6:7], v[58:59]
	v_mul_f64_e32 v[46:47], v[8:9], v[58:59]
	s_delay_alu instid0(VALU_DEP_4) | instskip(NEXT) | instid1(VALU_DEP_4)
	v_add_f64_e32 v[2:3], v[2:3], v[48:49]
	v_add_f64_e32 v[10:11], v[10:11], v[70:71]
	s_delay_alu instid0(VALU_DEP_4) | instskip(NEXT) | instid1(VALU_DEP_4)
	v_fma_f64 v[8:9], v[8:9], v[56:57], v[44:45]
	v_fma_f64 v[6:7], v[6:7], v[56:57], -v[46:47]
	s_delay_alu instid0(VALU_DEP_4) | instskip(NEXT) | instid1(VALU_DEP_4)
	v_add_f64_e32 v[2:3], v[2:3], v[52:53]
	v_add_f64_e32 v[10:11], v[10:11], v[50:51]
	s_delay_alu instid0(VALU_DEP_2) | instskip(NEXT) | instid1(VALU_DEP_2)
	v_add_f64_e32 v[2:3], v[2:3], v[6:7]
	v_add_f64_e32 v[8:9], v[10:11], v[8:9]
	s_wait_loadcnt 0x0
	s_delay_alu instid0(VALU_DEP_2) | instskip(NEXT) | instid1(VALU_DEP_2)
	v_add_f64_e64 v[6:7], v[60:61], -v[2:3]
	v_add_f64_e64 v[8:9], v[62:63], -v[8:9]
	scratch_store_b128 off, v[6:9], off offset:144
	v_cmpx_lt_u32_e32 8, v43
	s_cbranch_execz .LBB14_87
; %bb.86:
	scratch_load_b128 v[6:9], off, s14
	v_dual_mov_b32 v2, v1 :: v_dual_mov_b32 v3, v1
	v_mov_b32_e32 v4, v1
	scratch_store_b128 off, v[1:4], off offset:128
	s_wait_loadcnt 0x0
	ds_store_b128 v5, v[6:9]
.LBB14_87:
	s_wait_alu 0xfffe
	s_or_b32 exec_lo, exec_lo, s2
	s_wait_storecnt_dscnt 0x0
	s_barrier_signal -1
	s_barrier_wait -1
	global_inv scope:SCOPE_SE
	s_clause 0x5
	scratch_load_b128 v[6:9], off, off offset:144
	scratch_load_b128 v[44:47], off, off offset:160
	;; [unrolled: 1-line block ×6, first 2 shown]
	ds_load_b128 v[64:67], v1 offset:384
	ds_load_b128 v[72:75], v1 offset:400
	scratch_load_b128 v[68:71], off, off offset:128
	s_mov_b32 s2, exec_lo
	s_wait_loadcnt_dscnt 0x601
	v_mul_f64_e32 v[2:3], v[66:67], v[8:9]
	v_mul_f64_e32 v[8:9], v[64:65], v[8:9]
	s_wait_loadcnt_dscnt 0x500
	v_mul_f64_e32 v[10:11], v[72:73], v[46:47]
	v_mul_f64_e32 v[46:47], v[74:75], v[46:47]
	s_delay_alu instid0(VALU_DEP_4) | instskip(NEXT) | instid1(VALU_DEP_4)
	v_fma_f64 v[2:3], v[64:65], v[6:7], -v[2:3]
	v_fma_f64 v[76:77], v[66:67], v[6:7], v[8:9]
	ds_load_b128 v[6:9], v1 offset:416
	ds_load_b128 v[64:67], v1 offset:432
	v_fma_f64 v[10:11], v[74:75], v[44:45], v[10:11]
	v_fma_f64 v[44:45], v[72:73], v[44:45], -v[46:47]
	s_wait_loadcnt_dscnt 0x401
	v_mul_f64_e32 v[78:79], v[6:7], v[50:51]
	v_mul_f64_e32 v[50:51], v[8:9], v[50:51]
	s_wait_loadcnt_dscnt 0x300
	v_mul_f64_e32 v[72:73], v[64:65], v[54:55]
	v_mul_f64_e32 v[54:55], v[66:67], v[54:55]
	v_add_f64_e32 v[2:3], 0, v[2:3]
	v_add_f64_e32 v[46:47], 0, v[76:77]
	v_fma_f64 v[74:75], v[8:9], v[48:49], v[78:79]
	v_fma_f64 v[48:49], v[6:7], v[48:49], -v[50:51]
	s_delay_alu instid0(VALU_DEP_4) | instskip(NEXT) | instid1(VALU_DEP_4)
	v_add_f64_e32 v[44:45], v[2:3], v[44:45]
	v_add_f64_e32 v[10:11], v[46:47], v[10:11]
	ds_load_b128 v[6:9], v1 offset:448
	ds_load_b128 v[1:4], v1 offset:464
	s_wait_loadcnt_dscnt 0x201
	v_mul_f64_e32 v[46:47], v[6:7], v[58:59]
	v_mul_f64_e32 v[50:51], v[8:9], v[58:59]
	v_fma_f64 v[58:59], v[66:67], v[52:53], v[72:73]
	v_fma_f64 v[52:53], v[64:65], v[52:53], -v[54:55]
	s_wait_loadcnt_dscnt 0x100
	v_mul_f64_e32 v[54:55], v[3:4], v[62:63]
	v_add_f64_e32 v[44:45], v[44:45], v[48:49]
	v_add_f64_e32 v[10:11], v[10:11], v[74:75]
	v_mul_f64_e32 v[48:49], v[1:2], v[62:63]
	v_fma_f64 v[8:9], v[8:9], v[56:57], v[46:47]
	v_fma_f64 v[6:7], v[6:7], v[56:57], -v[50:51]
	v_fma_f64 v[1:2], v[1:2], v[60:61], -v[54:55]
	v_add_f64_e32 v[44:45], v[44:45], v[52:53]
	v_add_f64_e32 v[10:11], v[10:11], v[58:59]
	v_fma_f64 v[3:4], v[3:4], v[60:61], v[48:49]
	s_delay_alu instid0(VALU_DEP_3) | instskip(NEXT) | instid1(VALU_DEP_3)
	v_add_f64_e32 v[6:7], v[44:45], v[6:7]
	v_add_f64_e32 v[8:9], v[10:11], v[8:9]
	s_delay_alu instid0(VALU_DEP_2) | instskip(NEXT) | instid1(VALU_DEP_2)
	v_add_f64_e32 v[1:2], v[6:7], v[1:2]
	v_add_f64_e32 v[3:4], v[8:9], v[3:4]
	s_wait_loadcnt 0x0
	s_delay_alu instid0(VALU_DEP_2) | instskip(NEXT) | instid1(VALU_DEP_2)
	v_add_f64_e64 v[1:2], v[68:69], -v[1:2]
	v_add_f64_e64 v[3:4], v[70:71], -v[3:4]
	scratch_store_b128 off, v[1:4], off offset:128
	v_cmpx_lt_u32_e32 7, v43
	s_cbranch_execz .LBB14_89
; %bb.88:
	scratch_load_b128 v[1:4], off, s11
	v_mov_b32_e32 v6, 0
	s_delay_alu instid0(VALU_DEP_1)
	v_dual_mov_b32 v7, v6 :: v_dual_mov_b32 v8, v6
	v_mov_b32_e32 v9, v6
	scratch_store_b128 off, v[6:9], off offset:112
	s_wait_loadcnt 0x0
	ds_store_b128 v5, v[1:4]
.LBB14_89:
	s_wait_alu 0xfffe
	s_or_b32 exec_lo, exec_lo, s2
	s_wait_storecnt_dscnt 0x0
	s_barrier_signal -1
	s_barrier_wait -1
	global_inv scope:SCOPE_SE
	s_clause 0x6
	scratch_load_b128 v[6:9], off, off offset:128
	scratch_load_b128 v[44:47], off, off offset:144
	;; [unrolled: 1-line block ×7, first 2 shown]
	v_mov_b32_e32 v1, 0
	scratch_load_b128 v[72:75], off, off offset:112
	s_mov_b32 s2, exec_lo
	ds_load_b128 v[68:71], v1 offset:368
	ds_load_b128 v[76:79], v1 offset:384
	s_wait_loadcnt_dscnt 0x701
	v_mul_f64_e32 v[2:3], v[70:71], v[8:9]
	v_mul_f64_e32 v[8:9], v[68:69], v[8:9]
	s_wait_loadcnt_dscnt 0x600
	v_mul_f64_e32 v[10:11], v[76:77], v[46:47]
	v_mul_f64_e32 v[46:47], v[78:79], v[46:47]
	s_delay_alu instid0(VALU_DEP_4) | instskip(NEXT) | instid1(VALU_DEP_4)
	v_fma_f64 v[2:3], v[68:69], v[6:7], -v[2:3]
	v_fma_f64 v[80:81], v[70:71], v[6:7], v[8:9]
	ds_load_b128 v[6:9], v1 offset:400
	ds_load_b128 v[68:71], v1 offset:416
	v_fma_f64 v[10:11], v[78:79], v[44:45], v[10:11]
	v_fma_f64 v[44:45], v[76:77], v[44:45], -v[46:47]
	s_wait_loadcnt_dscnt 0x501
	v_mul_f64_e32 v[82:83], v[6:7], v[50:51]
	v_mul_f64_e32 v[50:51], v[8:9], v[50:51]
	s_wait_loadcnt_dscnt 0x400
	v_mul_f64_e32 v[76:77], v[68:69], v[54:55]
	v_mul_f64_e32 v[54:55], v[70:71], v[54:55]
	v_add_f64_e32 v[2:3], 0, v[2:3]
	v_add_f64_e32 v[46:47], 0, v[80:81]
	v_fma_f64 v[78:79], v[8:9], v[48:49], v[82:83]
	v_fma_f64 v[48:49], v[6:7], v[48:49], -v[50:51]
	v_fma_f64 v[70:71], v[70:71], v[52:53], v[76:77]
	v_fma_f64 v[52:53], v[68:69], v[52:53], -v[54:55]
	v_add_f64_e32 v[2:3], v[2:3], v[44:45]
	v_add_f64_e32 v[10:11], v[46:47], v[10:11]
	ds_load_b128 v[6:9], v1 offset:432
	ds_load_b128 v[44:47], v1 offset:448
	s_wait_loadcnt_dscnt 0x301
	v_mul_f64_e32 v[50:51], v[6:7], v[58:59]
	v_mul_f64_e32 v[58:59], v[8:9], v[58:59]
	s_wait_loadcnt_dscnt 0x200
	v_mul_f64_e32 v[54:55], v[46:47], v[62:63]
	v_add_f64_e32 v[2:3], v[2:3], v[48:49]
	v_add_f64_e32 v[10:11], v[10:11], v[78:79]
	v_mul_f64_e32 v[48:49], v[44:45], v[62:63]
	v_fma_f64 v[50:51], v[8:9], v[56:57], v[50:51]
	v_fma_f64 v[56:57], v[6:7], v[56:57], -v[58:59]
	ds_load_b128 v[6:9], v1 offset:464
	v_fma_f64 v[44:45], v[44:45], v[60:61], -v[54:55]
	v_add_f64_e32 v[2:3], v[2:3], v[52:53]
	v_add_f64_e32 v[10:11], v[10:11], v[70:71]
	v_fma_f64 v[46:47], v[46:47], v[60:61], v[48:49]
	s_wait_loadcnt_dscnt 0x100
	v_mul_f64_e32 v[52:53], v[6:7], v[66:67]
	v_mul_f64_e32 v[58:59], v[8:9], v[66:67]
	v_add_f64_e32 v[2:3], v[2:3], v[56:57]
	v_add_f64_e32 v[10:11], v[10:11], v[50:51]
	s_delay_alu instid0(VALU_DEP_4) | instskip(NEXT) | instid1(VALU_DEP_4)
	v_fma_f64 v[8:9], v[8:9], v[64:65], v[52:53]
	v_fma_f64 v[6:7], v[6:7], v[64:65], -v[58:59]
	s_delay_alu instid0(VALU_DEP_4) | instskip(NEXT) | instid1(VALU_DEP_4)
	v_add_f64_e32 v[2:3], v[2:3], v[44:45]
	v_add_f64_e32 v[10:11], v[10:11], v[46:47]
	s_delay_alu instid0(VALU_DEP_2) | instskip(NEXT) | instid1(VALU_DEP_2)
	v_add_f64_e32 v[2:3], v[2:3], v[6:7]
	v_add_f64_e32 v[8:9], v[10:11], v[8:9]
	s_wait_loadcnt 0x0
	s_delay_alu instid0(VALU_DEP_2) | instskip(NEXT) | instid1(VALU_DEP_2)
	v_add_f64_e64 v[6:7], v[72:73], -v[2:3]
	v_add_f64_e64 v[8:9], v[74:75], -v[8:9]
	scratch_store_b128 off, v[6:9], off offset:112
	v_cmpx_lt_u32_e32 6, v43
	s_cbranch_execz .LBB14_91
; %bb.90:
	scratch_load_b128 v[6:9], off, s12
	v_dual_mov_b32 v2, v1 :: v_dual_mov_b32 v3, v1
	v_mov_b32_e32 v4, v1
	scratch_store_b128 off, v[1:4], off offset:96
	s_wait_loadcnt 0x0
	ds_store_b128 v5, v[6:9]
.LBB14_91:
	s_wait_alu 0xfffe
	s_or_b32 exec_lo, exec_lo, s2
	s_wait_storecnt_dscnt 0x0
	s_barrier_signal -1
	s_barrier_wait -1
	global_inv scope:SCOPE_SE
	s_clause 0x7
	scratch_load_b128 v[6:9], off, off offset:112
	scratch_load_b128 v[44:47], off, off offset:128
	;; [unrolled: 1-line block ×8, first 2 shown]
	ds_load_b128 v[72:75], v1 offset:352
	ds_load_b128 v[76:79], v1 offset:368
	scratch_load_b128 v[80:83], off, off offset:96
	s_mov_b32 s2, exec_lo
	s_wait_loadcnt_dscnt 0x801
	v_mul_f64_e32 v[2:3], v[74:75], v[8:9]
	v_mul_f64_e32 v[8:9], v[72:73], v[8:9]
	s_wait_loadcnt_dscnt 0x700
	v_mul_f64_e32 v[10:11], v[76:77], v[46:47]
	v_mul_f64_e32 v[46:47], v[78:79], v[46:47]
	s_delay_alu instid0(VALU_DEP_4) | instskip(NEXT) | instid1(VALU_DEP_4)
	v_fma_f64 v[2:3], v[72:73], v[6:7], -v[2:3]
	v_fma_f64 v[84:85], v[74:75], v[6:7], v[8:9]
	ds_load_b128 v[6:9], v1 offset:384
	ds_load_b128 v[72:75], v1 offset:400
	v_fma_f64 v[10:11], v[78:79], v[44:45], v[10:11]
	v_fma_f64 v[44:45], v[76:77], v[44:45], -v[46:47]
	s_wait_loadcnt_dscnt 0x601
	v_mul_f64_e32 v[86:87], v[6:7], v[50:51]
	v_mul_f64_e32 v[50:51], v[8:9], v[50:51]
	s_wait_loadcnt_dscnt 0x500
	v_mul_f64_e32 v[76:77], v[72:73], v[54:55]
	v_mul_f64_e32 v[54:55], v[74:75], v[54:55]
	v_add_f64_e32 v[2:3], 0, v[2:3]
	v_add_f64_e32 v[46:47], 0, v[84:85]
	v_fma_f64 v[78:79], v[8:9], v[48:49], v[86:87]
	v_fma_f64 v[48:49], v[6:7], v[48:49], -v[50:51]
	v_fma_f64 v[74:75], v[74:75], v[52:53], v[76:77]
	v_fma_f64 v[52:53], v[72:73], v[52:53], -v[54:55]
	v_add_f64_e32 v[2:3], v[2:3], v[44:45]
	v_add_f64_e32 v[10:11], v[46:47], v[10:11]
	ds_load_b128 v[6:9], v1 offset:416
	ds_load_b128 v[44:47], v1 offset:432
	s_wait_loadcnt_dscnt 0x401
	v_mul_f64_e32 v[50:51], v[6:7], v[58:59]
	v_mul_f64_e32 v[58:59], v[8:9], v[58:59]
	s_wait_loadcnt_dscnt 0x300
	v_mul_f64_e32 v[54:55], v[46:47], v[62:63]
	v_add_f64_e32 v[2:3], v[2:3], v[48:49]
	v_add_f64_e32 v[10:11], v[10:11], v[78:79]
	v_mul_f64_e32 v[48:49], v[44:45], v[62:63]
	v_fma_f64 v[50:51], v[8:9], v[56:57], v[50:51]
	v_fma_f64 v[56:57], v[6:7], v[56:57], -v[58:59]
	v_fma_f64 v[44:45], v[44:45], v[60:61], -v[54:55]
	v_add_f64_e32 v[52:53], v[2:3], v[52:53]
	v_add_f64_e32 v[10:11], v[10:11], v[74:75]
	ds_load_b128 v[6:9], v1 offset:448
	ds_load_b128 v[1:4], v1 offset:464
	v_fma_f64 v[46:47], v[46:47], v[60:61], v[48:49]
	s_wait_loadcnt_dscnt 0x201
	v_mul_f64_e32 v[58:59], v[6:7], v[66:67]
	v_mul_f64_e32 v[62:63], v[8:9], v[66:67]
	v_add_f64_e32 v[48:49], v[52:53], v[56:57]
	v_add_f64_e32 v[10:11], v[10:11], v[50:51]
	s_wait_loadcnt_dscnt 0x100
	v_mul_f64_e32 v[50:51], v[1:2], v[70:71]
	v_mul_f64_e32 v[52:53], v[3:4], v[70:71]
	v_fma_f64 v[8:9], v[8:9], v[64:65], v[58:59]
	v_fma_f64 v[6:7], v[6:7], v[64:65], -v[62:63]
	v_add_f64_e32 v[44:45], v[48:49], v[44:45]
	v_add_f64_e32 v[10:11], v[10:11], v[46:47]
	v_fma_f64 v[3:4], v[3:4], v[68:69], v[50:51]
	v_fma_f64 v[1:2], v[1:2], v[68:69], -v[52:53]
	s_delay_alu instid0(VALU_DEP_4) | instskip(NEXT) | instid1(VALU_DEP_4)
	v_add_f64_e32 v[6:7], v[44:45], v[6:7]
	v_add_f64_e32 v[8:9], v[10:11], v[8:9]
	s_delay_alu instid0(VALU_DEP_2) | instskip(NEXT) | instid1(VALU_DEP_2)
	v_add_f64_e32 v[1:2], v[6:7], v[1:2]
	v_add_f64_e32 v[3:4], v[8:9], v[3:4]
	s_wait_loadcnt 0x0
	s_delay_alu instid0(VALU_DEP_2) | instskip(NEXT) | instid1(VALU_DEP_2)
	v_add_f64_e64 v[1:2], v[80:81], -v[1:2]
	v_add_f64_e64 v[3:4], v[82:83], -v[3:4]
	scratch_store_b128 off, v[1:4], off offset:96
	v_cmpx_lt_u32_e32 5, v43
	s_cbranch_execz .LBB14_93
; %bb.92:
	scratch_load_b128 v[1:4], off, s9
	v_mov_b32_e32 v6, 0
	s_delay_alu instid0(VALU_DEP_1)
	v_dual_mov_b32 v7, v6 :: v_dual_mov_b32 v8, v6
	v_mov_b32_e32 v9, v6
	scratch_store_b128 off, v[6:9], off offset:80
	s_wait_loadcnt 0x0
	ds_store_b128 v5, v[1:4]
.LBB14_93:
	s_wait_alu 0xfffe
	s_or_b32 exec_lo, exec_lo, s2
	s_wait_storecnt_dscnt 0x0
	s_barrier_signal -1
	s_barrier_wait -1
	global_inv scope:SCOPE_SE
	s_clause 0x7
	scratch_load_b128 v[6:9], off, off offset:96
	scratch_load_b128 v[44:47], off, off offset:112
	;; [unrolled: 1-line block ×8, first 2 shown]
	v_mov_b32_e32 v1, 0
	s_mov_b32 s2, exec_lo
	ds_load_b128 v[72:75], v1 offset:336
	s_clause 0x1
	scratch_load_b128 v[76:79], off, off offset:224
	scratch_load_b128 v[80:83], off, off offset:80
	ds_load_b128 v[84:87], v1 offset:352
	s_wait_loadcnt_dscnt 0x901
	v_mul_f64_e32 v[2:3], v[74:75], v[8:9]
	v_mul_f64_e32 v[8:9], v[72:73], v[8:9]
	s_wait_loadcnt_dscnt 0x800
	v_mul_f64_e32 v[10:11], v[84:85], v[46:47]
	v_mul_f64_e32 v[46:47], v[86:87], v[46:47]
	s_delay_alu instid0(VALU_DEP_4) | instskip(NEXT) | instid1(VALU_DEP_4)
	v_fma_f64 v[2:3], v[72:73], v[6:7], -v[2:3]
	v_fma_f64 v[88:89], v[74:75], v[6:7], v[8:9]
	ds_load_b128 v[6:9], v1 offset:368
	ds_load_b128 v[72:75], v1 offset:384
	v_fma_f64 v[10:11], v[86:87], v[44:45], v[10:11]
	v_fma_f64 v[44:45], v[84:85], v[44:45], -v[46:47]
	s_wait_loadcnt_dscnt 0x701
	v_mul_f64_e32 v[90:91], v[6:7], v[50:51]
	v_mul_f64_e32 v[50:51], v[8:9], v[50:51]
	s_wait_loadcnt_dscnt 0x600
	v_mul_f64_e32 v[84:85], v[72:73], v[54:55]
	v_mul_f64_e32 v[54:55], v[74:75], v[54:55]
	v_add_f64_e32 v[2:3], 0, v[2:3]
	v_add_f64_e32 v[46:47], 0, v[88:89]
	v_fma_f64 v[86:87], v[8:9], v[48:49], v[90:91]
	v_fma_f64 v[48:49], v[6:7], v[48:49], -v[50:51]
	v_fma_f64 v[74:75], v[74:75], v[52:53], v[84:85]
	v_fma_f64 v[52:53], v[72:73], v[52:53], -v[54:55]
	v_add_f64_e32 v[2:3], v[2:3], v[44:45]
	v_add_f64_e32 v[10:11], v[46:47], v[10:11]
	ds_load_b128 v[6:9], v1 offset:400
	ds_load_b128 v[44:47], v1 offset:416
	s_wait_loadcnt_dscnt 0x501
	v_mul_f64_e32 v[50:51], v[6:7], v[58:59]
	v_mul_f64_e32 v[58:59], v[8:9], v[58:59]
	s_wait_loadcnt_dscnt 0x400
	v_mul_f64_e32 v[54:55], v[44:45], v[62:63]
	v_mul_f64_e32 v[62:63], v[46:47], v[62:63]
	v_add_f64_e32 v[2:3], v[2:3], v[48:49]
	v_add_f64_e32 v[10:11], v[10:11], v[86:87]
	v_fma_f64 v[72:73], v[8:9], v[56:57], v[50:51]
	v_fma_f64 v[56:57], v[6:7], v[56:57], -v[58:59]
	ds_load_b128 v[6:9], v1 offset:432
	ds_load_b128 v[48:51], v1 offset:448
	v_fma_f64 v[46:47], v[46:47], v[60:61], v[54:55]
	v_fma_f64 v[44:45], v[44:45], v[60:61], -v[62:63]
	v_add_f64_e32 v[2:3], v[2:3], v[52:53]
	v_add_f64_e32 v[10:11], v[10:11], v[74:75]
	s_wait_loadcnt_dscnt 0x301
	v_mul_f64_e32 v[52:53], v[6:7], v[66:67]
	v_mul_f64_e32 v[58:59], v[8:9], v[66:67]
	s_wait_loadcnt_dscnt 0x200
	v_mul_f64_e32 v[54:55], v[48:49], v[70:71]
	v_add_f64_e32 v[2:3], v[2:3], v[56:57]
	v_add_f64_e32 v[10:11], v[10:11], v[72:73]
	v_mul_f64_e32 v[56:57], v[50:51], v[70:71]
	v_fma_f64 v[52:53], v[8:9], v[64:65], v[52:53]
	v_fma_f64 v[58:59], v[6:7], v[64:65], -v[58:59]
	ds_load_b128 v[6:9], v1 offset:464
	v_fma_f64 v[50:51], v[50:51], v[68:69], v[54:55]
	v_add_f64_e32 v[2:3], v[2:3], v[44:45]
	v_add_f64_e32 v[10:11], v[10:11], v[46:47]
	s_wait_loadcnt_dscnt 0x100
	v_mul_f64_e32 v[44:45], v[6:7], v[78:79]
	v_mul_f64_e32 v[46:47], v[8:9], v[78:79]
	v_fma_f64 v[48:49], v[48:49], v[68:69], -v[56:57]
	v_add_f64_e32 v[2:3], v[2:3], v[58:59]
	v_add_f64_e32 v[10:11], v[10:11], v[52:53]
	v_fma_f64 v[8:9], v[8:9], v[76:77], v[44:45]
	v_fma_f64 v[6:7], v[6:7], v[76:77], -v[46:47]
	s_delay_alu instid0(VALU_DEP_4) | instskip(NEXT) | instid1(VALU_DEP_4)
	v_add_f64_e32 v[2:3], v[2:3], v[48:49]
	v_add_f64_e32 v[10:11], v[10:11], v[50:51]
	s_delay_alu instid0(VALU_DEP_2) | instskip(NEXT) | instid1(VALU_DEP_2)
	v_add_f64_e32 v[2:3], v[2:3], v[6:7]
	v_add_f64_e32 v[8:9], v[10:11], v[8:9]
	s_wait_loadcnt 0x0
	s_delay_alu instid0(VALU_DEP_2) | instskip(NEXT) | instid1(VALU_DEP_2)
	v_add_f64_e64 v[6:7], v[80:81], -v[2:3]
	v_add_f64_e64 v[8:9], v[82:83], -v[8:9]
	scratch_store_b128 off, v[6:9], off offset:80
	v_cmpx_lt_u32_e32 4, v43
	s_cbranch_execz .LBB14_95
; %bb.94:
	scratch_load_b128 v[6:9], off, s10
	v_dual_mov_b32 v2, v1 :: v_dual_mov_b32 v3, v1
	v_mov_b32_e32 v4, v1
	scratch_store_b128 off, v[1:4], off offset:64
	s_wait_loadcnt 0x0
	ds_store_b128 v5, v[6:9]
.LBB14_95:
	s_wait_alu 0xfffe
	s_or_b32 exec_lo, exec_lo, s2
	s_wait_storecnt_dscnt 0x0
	s_barrier_signal -1
	s_barrier_wait -1
	global_inv scope:SCOPE_SE
	s_clause 0x8
	scratch_load_b128 v[6:9], off, off offset:80
	scratch_load_b128 v[44:47], off, off offset:96
	;; [unrolled: 1-line block ×9, first 2 shown]
	ds_load_b128 v[76:79], v1 offset:320
	ds_load_b128 v[80:83], v1 offset:336
	scratch_load_b128 v[84:87], off, off offset:64
	s_mov_b32 s2, exec_lo
	s_wait_loadcnt_dscnt 0x901
	v_mul_f64_e32 v[2:3], v[78:79], v[8:9]
	v_mul_f64_e32 v[88:89], v[76:77], v[8:9]
	scratch_load_b128 v[8:11], off, off offset:224
	s_wait_loadcnt_dscnt 0x900
	v_mul_f64_e32 v[92:93], v[80:81], v[46:47]
	v_mul_f64_e32 v[46:47], v[82:83], v[46:47]
	v_fma_f64 v[2:3], v[76:77], v[6:7], -v[2:3]
	v_fma_f64 v[6:7], v[78:79], v[6:7], v[88:89]
	ds_load_b128 v[76:79], v1 offset:352
	ds_load_b128 v[88:91], v1 offset:368
	v_fma_f64 v[82:83], v[82:83], v[44:45], v[92:93]
	v_fma_f64 v[44:45], v[80:81], v[44:45], -v[46:47]
	s_wait_loadcnt_dscnt 0x801
	v_mul_f64_e32 v[94:95], v[76:77], v[50:51]
	v_mul_f64_e32 v[50:51], v[78:79], v[50:51]
	s_wait_loadcnt_dscnt 0x700
	v_mul_f64_e32 v[80:81], v[88:89], v[54:55]
	v_mul_f64_e32 v[54:55], v[90:91], v[54:55]
	v_add_f64_e32 v[2:3], 0, v[2:3]
	v_add_f64_e32 v[6:7], 0, v[6:7]
	v_fma_f64 v[78:79], v[78:79], v[48:49], v[94:95]
	v_fma_f64 v[76:77], v[76:77], v[48:49], -v[50:51]
	v_fma_f64 v[80:81], v[90:91], v[52:53], v[80:81]
	v_fma_f64 v[52:53], v[88:89], v[52:53], -v[54:55]
	v_add_f64_e32 v[2:3], v[2:3], v[44:45]
	v_add_f64_e32 v[6:7], v[6:7], v[82:83]
	ds_load_b128 v[44:47], v1 offset:384
	ds_load_b128 v[48:51], v1 offset:400
	s_wait_loadcnt_dscnt 0x601
	v_mul_f64_e32 v[82:83], v[44:45], v[58:59]
	v_mul_f64_e32 v[58:59], v[46:47], v[58:59]
	v_add_f64_e32 v[2:3], v[2:3], v[76:77]
	v_add_f64_e32 v[6:7], v[6:7], v[78:79]
	s_wait_loadcnt_dscnt 0x500
	v_mul_f64_e32 v[76:77], v[48:49], v[62:63]
	v_mul_f64_e32 v[62:63], v[50:51], v[62:63]
	v_fma_f64 v[78:79], v[46:47], v[56:57], v[82:83]
	v_fma_f64 v[56:57], v[44:45], v[56:57], -v[58:59]
	v_add_f64_e32 v[2:3], v[2:3], v[52:53]
	v_add_f64_e32 v[6:7], v[6:7], v[80:81]
	ds_load_b128 v[44:47], v1 offset:416
	ds_load_b128 v[52:55], v1 offset:432
	v_fma_f64 v[50:51], v[50:51], v[60:61], v[76:77]
	v_fma_f64 v[48:49], v[48:49], v[60:61], -v[62:63]
	s_wait_loadcnt_dscnt 0x401
	v_mul_f64_e32 v[58:59], v[44:45], v[66:67]
	v_mul_f64_e32 v[66:67], v[46:47], v[66:67]
	s_wait_loadcnt_dscnt 0x300
	v_mul_f64_e32 v[60:61], v[54:55], v[70:71]
	v_add_f64_e32 v[2:3], v[2:3], v[56:57]
	v_add_f64_e32 v[6:7], v[6:7], v[78:79]
	v_mul_f64_e32 v[56:57], v[52:53], v[70:71]
	v_fma_f64 v[58:59], v[46:47], v[64:65], v[58:59]
	v_fma_f64 v[62:63], v[44:45], v[64:65], -v[66:67]
	v_fma_f64 v[52:53], v[52:53], v[68:69], -v[60:61]
	v_add_f64_e32 v[48:49], v[2:3], v[48:49]
	v_add_f64_e32 v[6:7], v[6:7], v[50:51]
	ds_load_b128 v[44:47], v1 offset:448
	ds_load_b128 v[1:4], v1 offset:464
	v_fma_f64 v[54:55], v[54:55], v[68:69], v[56:57]
	s_wait_loadcnt_dscnt 0x201
	v_mul_f64_e32 v[50:51], v[44:45], v[74:75]
	v_mul_f64_e32 v[64:65], v[46:47], v[74:75]
	v_add_f64_e32 v[48:49], v[48:49], v[62:63]
	v_add_f64_e32 v[6:7], v[6:7], v[58:59]
	s_wait_loadcnt_dscnt 0x0
	v_mul_f64_e32 v[56:57], v[1:2], v[10:11]
	v_mul_f64_e32 v[10:11], v[3:4], v[10:11]
	v_fma_f64 v[46:47], v[46:47], v[72:73], v[50:51]
	v_fma_f64 v[44:45], v[44:45], v[72:73], -v[64:65]
	v_add_f64_e32 v[48:49], v[48:49], v[52:53]
	v_add_f64_e32 v[6:7], v[6:7], v[54:55]
	v_fma_f64 v[3:4], v[3:4], v[8:9], v[56:57]
	v_fma_f64 v[1:2], v[1:2], v[8:9], -v[10:11]
	s_delay_alu instid0(VALU_DEP_4) | instskip(NEXT) | instid1(VALU_DEP_4)
	v_add_f64_e32 v[8:9], v[48:49], v[44:45]
	v_add_f64_e32 v[6:7], v[6:7], v[46:47]
	s_delay_alu instid0(VALU_DEP_2) | instskip(NEXT) | instid1(VALU_DEP_2)
	v_add_f64_e32 v[1:2], v[8:9], v[1:2]
	v_add_f64_e32 v[3:4], v[6:7], v[3:4]
	s_delay_alu instid0(VALU_DEP_2) | instskip(NEXT) | instid1(VALU_DEP_2)
	v_add_f64_e64 v[1:2], v[84:85], -v[1:2]
	v_add_f64_e64 v[3:4], v[86:87], -v[3:4]
	scratch_store_b128 off, v[1:4], off offset:64
	v_cmpx_lt_u32_e32 3, v43
	s_cbranch_execz .LBB14_97
; %bb.96:
	scratch_load_b128 v[1:4], off, s5
	v_mov_b32_e32 v6, 0
	s_delay_alu instid0(VALU_DEP_1)
	v_dual_mov_b32 v7, v6 :: v_dual_mov_b32 v8, v6
	v_mov_b32_e32 v9, v6
	scratch_store_b128 off, v[6:9], off offset:48
	s_wait_loadcnt 0x0
	ds_store_b128 v5, v[1:4]
.LBB14_97:
	s_wait_alu 0xfffe
	s_or_b32 exec_lo, exec_lo, s2
	s_wait_storecnt_dscnt 0x0
	s_barrier_signal -1
	s_barrier_wait -1
	global_inv scope:SCOPE_SE
	s_clause 0x7
	scratch_load_b128 v[6:9], off, off offset:64
	scratch_load_b128 v[44:47], off, off offset:80
	;; [unrolled: 1-line block ×8, first 2 shown]
	v_mov_b32_e32 v1, 0
	s_mov_b32 s2, exec_lo
	ds_load_b128 v[72:75], v1 offset:304
	s_clause 0x1
	scratch_load_b128 v[76:79], off, off offset:192
	scratch_load_b128 v[80:83], off, off offset:48
	ds_load_b128 v[84:87], v1 offset:320
	ds_load_b128 v[92:95], v1 offset:352
	s_wait_loadcnt_dscnt 0x902
	v_mul_f64_e32 v[2:3], v[74:75], v[8:9]
	v_mul_f64_e32 v[88:89], v[72:73], v[8:9]
	scratch_load_b128 v[8:11], off, off offset:208
	v_fma_f64 v[2:3], v[72:73], v[6:7], -v[2:3]
	v_fma_f64 v[6:7], v[74:75], v[6:7], v[88:89]
	ds_load_b128 v[72:75], v1 offset:336
	s_wait_loadcnt_dscnt 0x902
	v_mul_f64_e32 v[96:97], v[84:85], v[46:47]
	v_mul_f64_e32 v[46:47], v[86:87], v[46:47]
	scratch_load_b128 v[88:91], off, off offset:224
	s_wait_loadcnt_dscnt 0x900
	v_mul_f64_e32 v[98:99], v[72:73], v[50:51]
	v_mul_f64_e32 v[50:51], v[74:75], v[50:51]
	v_add_f64_e32 v[2:3], 0, v[2:3]
	v_add_f64_e32 v[6:7], 0, v[6:7]
	v_fma_f64 v[86:87], v[86:87], v[44:45], v[96:97]
	v_fma_f64 v[44:45], v[84:85], v[44:45], -v[46:47]
	s_wait_loadcnt 0x8
	v_mul_f64_e32 v[84:85], v[92:93], v[54:55]
	v_mul_f64_e32 v[54:55], v[94:95], v[54:55]
	v_fma_f64 v[74:75], v[74:75], v[48:49], v[98:99]
	v_fma_f64 v[72:73], v[72:73], v[48:49], -v[50:51]
	v_add_f64_e32 v[6:7], v[6:7], v[86:87]
	v_add_f64_e32 v[2:3], v[2:3], v[44:45]
	ds_load_b128 v[44:47], v1 offset:368
	ds_load_b128 v[48:51], v1 offset:384
	v_fma_f64 v[84:85], v[94:95], v[52:53], v[84:85]
	v_fma_f64 v[52:53], v[92:93], v[52:53], -v[54:55]
	s_wait_loadcnt_dscnt 0x701
	v_mul_f64_e32 v[86:87], v[44:45], v[58:59]
	v_mul_f64_e32 v[58:59], v[46:47], v[58:59]
	v_add_f64_e32 v[6:7], v[6:7], v[74:75]
	v_add_f64_e32 v[2:3], v[2:3], v[72:73]
	s_wait_loadcnt_dscnt 0x600
	v_mul_f64_e32 v[72:73], v[48:49], v[62:63]
	v_mul_f64_e32 v[62:63], v[50:51], v[62:63]
	v_fma_f64 v[74:75], v[46:47], v[56:57], v[86:87]
	v_fma_f64 v[56:57], v[44:45], v[56:57], -v[58:59]
	v_add_f64_e32 v[6:7], v[6:7], v[84:85]
	v_add_f64_e32 v[2:3], v[2:3], v[52:53]
	ds_load_b128 v[44:47], v1 offset:400
	ds_load_b128 v[52:55], v1 offset:416
	v_fma_f64 v[50:51], v[50:51], v[60:61], v[72:73]
	v_fma_f64 v[48:49], v[48:49], v[60:61], -v[62:63]
	s_wait_loadcnt_dscnt 0x501
	v_mul_f64_e32 v[58:59], v[44:45], v[66:67]
	v_mul_f64_e32 v[66:67], v[46:47], v[66:67]
	s_wait_loadcnt_dscnt 0x400
	v_mul_f64_e32 v[60:61], v[54:55], v[70:71]
	v_add_f64_e32 v[6:7], v[6:7], v[74:75]
	v_add_f64_e32 v[2:3], v[2:3], v[56:57]
	v_mul_f64_e32 v[56:57], v[52:53], v[70:71]
	v_fma_f64 v[58:59], v[46:47], v[64:65], v[58:59]
	v_fma_f64 v[62:63], v[44:45], v[64:65], -v[66:67]
	v_fma_f64 v[52:53], v[52:53], v[68:69], -v[60:61]
	v_add_f64_e32 v[6:7], v[6:7], v[50:51]
	v_add_f64_e32 v[2:3], v[2:3], v[48:49]
	ds_load_b128 v[44:47], v1 offset:432
	ds_load_b128 v[48:51], v1 offset:448
	v_fma_f64 v[54:55], v[54:55], v[68:69], v[56:57]
	s_wait_loadcnt_dscnt 0x301
	v_mul_f64_e32 v[64:65], v[44:45], v[78:79]
	v_mul_f64_e32 v[66:67], v[46:47], v[78:79]
	v_add_f64_e32 v[6:7], v[6:7], v[58:59]
	v_add_f64_e32 v[2:3], v[2:3], v[62:63]
	s_wait_loadcnt_dscnt 0x100
	v_mul_f64_e32 v[56:57], v[48:49], v[10:11]
	v_mul_f64_e32 v[10:11], v[50:51], v[10:11]
	v_fma_f64 v[58:59], v[46:47], v[76:77], v[64:65]
	v_fma_f64 v[60:61], v[44:45], v[76:77], -v[66:67]
	ds_load_b128 v[44:47], v1 offset:464
	v_add_f64_e32 v[6:7], v[6:7], v[54:55]
	v_add_f64_e32 v[2:3], v[2:3], v[52:53]
	v_fma_f64 v[50:51], v[50:51], v[8:9], v[56:57]
	v_fma_f64 v[8:9], v[48:49], v[8:9], -v[10:11]
	s_wait_loadcnt_dscnt 0x0
	v_mul_f64_e32 v[52:53], v[44:45], v[90:91]
	v_mul_f64_e32 v[54:55], v[46:47], v[90:91]
	v_add_f64_e32 v[6:7], v[6:7], v[58:59]
	v_add_f64_e32 v[2:3], v[2:3], v[60:61]
	s_delay_alu instid0(VALU_DEP_4) | instskip(NEXT) | instid1(VALU_DEP_4)
	v_fma_f64 v[10:11], v[46:47], v[88:89], v[52:53]
	v_fma_f64 v[44:45], v[44:45], v[88:89], -v[54:55]
	s_delay_alu instid0(VALU_DEP_4) | instskip(NEXT) | instid1(VALU_DEP_4)
	v_add_f64_e32 v[6:7], v[6:7], v[50:51]
	v_add_f64_e32 v[2:3], v[2:3], v[8:9]
	s_delay_alu instid0(VALU_DEP_2) | instskip(NEXT) | instid1(VALU_DEP_2)
	v_add_f64_e32 v[8:9], v[6:7], v[10:11]
	v_add_f64_e32 v[2:3], v[2:3], v[44:45]
	s_delay_alu instid0(VALU_DEP_2) | instskip(NEXT) | instid1(VALU_DEP_2)
	v_add_f64_e64 v[8:9], v[82:83], -v[8:9]
	v_add_f64_e64 v[6:7], v[80:81], -v[2:3]
	scratch_store_b128 off, v[6:9], off offset:48
	v_cmpx_lt_u32_e32 2, v43
	s_cbranch_execz .LBB14_99
; %bb.98:
	scratch_load_b128 v[6:9], off, s8
	v_dual_mov_b32 v2, v1 :: v_dual_mov_b32 v3, v1
	v_mov_b32_e32 v4, v1
	scratch_store_b128 off, v[1:4], off offset:32
	s_wait_loadcnt 0x0
	ds_store_b128 v5, v[6:9]
.LBB14_99:
	s_wait_alu 0xfffe
	s_or_b32 exec_lo, exec_lo, s2
	s_wait_storecnt_dscnt 0x0
	s_barrier_signal -1
	s_barrier_wait -1
	global_inv scope:SCOPE_SE
	s_clause 0x8
	scratch_load_b128 v[6:9], off, off offset:48
	scratch_load_b128 v[44:47], off, off offset:64
	;; [unrolled: 1-line block ×9, first 2 shown]
	ds_load_b128 v[76:79], v1 offset:288
	ds_load_b128 v[80:83], v1 offset:304
	scratch_load_b128 v[84:87], off, off offset:32
	s_mov_b32 s2, exec_lo
	ds_load_b128 v[92:95], v1 offset:336
	s_wait_loadcnt_dscnt 0x902
	v_mul_f64_e32 v[2:3], v[78:79], v[8:9]
	v_mul_f64_e32 v[88:89], v[76:77], v[8:9]
	scratch_load_b128 v[8:11], off, off offset:192
	s_wait_loadcnt_dscnt 0x901
	v_mul_f64_e32 v[96:97], v[80:81], v[46:47]
	v_mul_f64_e32 v[46:47], v[82:83], v[46:47]
	v_fma_f64 v[2:3], v[76:77], v[6:7], -v[2:3]
	v_fma_f64 v[6:7], v[78:79], v[6:7], v[88:89]
	ds_load_b128 v[76:79], v1 offset:320
	scratch_load_b128 v[88:91], off, off offset:208
	v_fma_f64 v[82:83], v[82:83], v[44:45], v[96:97]
	v_fma_f64 v[80:81], v[80:81], v[44:45], -v[46:47]
	scratch_load_b128 v[44:47], off, off offset:224
	s_wait_loadcnt_dscnt 0x901
	v_mul_f64_e32 v[96:97], v[92:93], v[54:55]
	v_mul_f64_e32 v[54:55], v[94:95], v[54:55]
	s_wait_dscnt 0x0
	v_mul_f64_e32 v[98:99], v[76:77], v[50:51]
	v_mul_f64_e32 v[50:51], v[78:79], v[50:51]
	v_add_f64_e32 v[2:3], 0, v[2:3]
	v_add_f64_e32 v[6:7], 0, v[6:7]
	s_delay_alu instid0(VALU_DEP_4) | instskip(NEXT) | instid1(VALU_DEP_4)
	v_fma_f64 v[98:99], v[78:79], v[48:49], v[98:99]
	v_fma_f64 v[100:101], v[76:77], v[48:49], -v[50:51]
	ds_load_b128 v[48:51], v1 offset:352
	ds_load_b128 v[76:79], v1 offset:368
	v_add_f64_e32 v[2:3], v[2:3], v[80:81]
	v_add_f64_e32 v[6:7], v[6:7], v[82:83]
	v_fma_f64 v[82:83], v[94:95], v[52:53], v[96:97]
	v_fma_f64 v[52:53], v[92:93], v[52:53], -v[54:55]
	s_wait_loadcnt_dscnt 0x801
	v_mul_f64_e32 v[80:81], v[48:49], v[58:59]
	v_mul_f64_e32 v[58:59], v[50:51], v[58:59]
	s_wait_loadcnt_dscnt 0x700
	v_mul_f64_e32 v[92:93], v[76:77], v[62:63]
	v_mul_f64_e32 v[62:63], v[78:79], v[62:63]
	v_add_f64_e32 v[2:3], v[2:3], v[100:101]
	v_add_f64_e32 v[6:7], v[6:7], v[98:99]
	v_fma_f64 v[80:81], v[50:51], v[56:57], v[80:81]
	v_fma_f64 v[56:57], v[48:49], v[56:57], -v[58:59]
	v_fma_f64 v[78:79], v[78:79], v[60:61], v[92:93]
	v_fma_f64 v[60:61], v[76:77], v[60:61], -v[62:63]
	v_add_f64_e32 v[2:3], v[2:3], v[52:53]
	v_add_f64_e32 v[6:7], v[6:7], v[82:83]
	ds_load_b128 v[48:51], v1 offset:384
	ds_load_b128 v[52:55], v1 offset:400
	s_wait_loadcnt_dscnt 0x601
	v_mul_f64_e32 v[58:59], v[48:49], v[66:67]
	v_mul_f64_e32 v[66:67], v[50:51], v[66:67]
	s_wait_loadcnt_dscnt 0x500
	v_mul_f64_e32 v[62:63], v[52:53], v[70:71]
	v_mul_f64_e32 v[70:71], v[54:55], v[70:71]
	v_add_f64_e32 v[2:3], v[2:3], v[56:57]
	v_add_f64_e32 v[6:7], v[6:7], v[80:81]
	v_fma_f64 v[76:77], v[50:51], v[64:65], v[58:59]
	v_fma_f64 v[64:65], v[48:49], v[64:65], -v[66:67]
	ds_load_b128 v[48:51], v1 offset:416
	ds_load_b128 v[56:59], v1 offset:432
	v_fma_f64 v[54:55], v[54:55], v[68:69], v[62:63]
	v_fma_f64 v[52:53], v[52:53], v[68:69], -v[70:71]
	v_add_f64_e32 v[2:3], v[2:3], v[60:61]
	v_add_f64_e32 v[6:7], v[6:7], v[78:79]
	s_wait_loadcnt_dscnt 0x401
	v_mul_f64_e32 v[60:61], v[48:49], v[74:75]
	v_mul_f64_e32 v[66:67], v[50:51], v[74:75]
	s_delay_alu instid0(VALU_DEP_4) | instskip(NEXT) | instid1(VALU_DEP_4)
	v_add_f64_e32 v[2:3], v[2:3], v[64:65]
	v_add_f64_e32 v[6:7], v[6:7], v[76:77]
	s_delay_alu instid0(VALU_DEP_4) | instskip(NEXT) | instid1(VALU_DEP_4)
	v_fma_f64 v[60:61], v[50:51], v[72:73], v[60:61]
	v_fma_f64 v[64:65], v[48:49], v[72:73], -v[66:67]
	s_wait_loadcnt_dscnt 0x200
	v_mul_f64_e32 v[62:63], v[56:57], v[10:11]
	v_mul_f64_e32 v[10:11], v[58:59], v[10:11]
	v_add_f64_e32 v[52:53], v[2:3], v[52:53]
	v_add_f64_e32 v[6:7], v[6:7], v[54:55]
	ds_load_b128 v[48:51], v1 offset:448
	ds_load_b128 v[1:4], v1 offset:464
	v_fma_f64 v[58:59], v[58:59], v[8:9], v[62:63]
	v_fma_f64 v[8:9], v[56:57], v[8:9], -v[10:11]
	s_wait_loadcnt_dscnt 0x101
	v_mul_f64_e32 v[54:55], v[48:49], v[90:91]
	v_mul_f64_e32 v[66:67], v[50:51], v[90:91]
	v_add_f64_e32 v[10:11], v[52:53], v[64:65]
	v_add_f64_e32 v[6:7], v[6:7], v[60:61]
	s_wait_loadcnt_dscnt 0x0
	v_mul_f64_e32 v[52:53], v[1:2], v[46:47]
	v_mul_f64_e32 v[46:47], v[3:4], v[46:47]
	v_fma_f64 v[50:51], v[50:51], v[88:89], v[54:55]
	v_fma_f64 v[48:49], v[48:49], v[88:89], -v[66:67]
	v_add_f64_e32 v[8:9], v[10:11], v[8:9]
	v_add_f64_e32 v[6:7], v[6:7], v[58:59]
	v_fma_f64 v[3:4], v[3:4], v[44:45], v[52:53]
	v_fma_f64 v[1:2], v[1:2], v[44:45], -v[46:47]
	s_delay_alu instid0(VALU_DEP_4) | instskip(NEXT) | instid1(VALU_DEP_4)
	v_add_f64_e32 v[8:9], v[8:9], v[48:49]
	v_add_f64_e32 v[6:7], v[6:7], v[50:51]
	s_delay_alu instid0(VALU_DEP_2) | instskip(NEXT) | instid1(VALU_DEP_2)
	v_add_f64_e32 v[1:2], v[8:9], v[1:2]
	v_add_f64_e32 v[3:4], v[6:7], v[3:4]
	s_delay_alu instid0(VALU_DEP_2) | instskip(NEXT) | instid1(VALU_DEP_2)
	v_add_f64_e64 v[1:2], v[84:85], -v[1:2]
	v_add_f64_e64 v[3:4], v[86:87], -v[3:4]
	scratch_store_b128 off, v[1:4], off offset:32
	v_cmpx_lt_u32_e32 1, v43
	s_cbranch_execz .LBB14_101
; %bb.100:
	scratch_load_b128 v[1:4], off, s4
	v_mov_b32_e32 v6, 0
	s_delay_alu instid0(VALU_DEP_1)
	v_dual_mov_b32 v7, v6 :: v_dual_mov_b32 v8, v6
	v_mov_b32_e32 v9, v6
	scratch_store_b128 off, v[6:9], off offset:16
	s_wait_loadcnt 0x0
	ds_store_b128 v5, v[1:4]
.LBB14_101:
	s_wait_alu 0xfffe
	s_or_b32 exec_lo, exec_lo, s2
	s_wait_storecnt_dscnt 0x0
	s_barrier_signal -1
	s_barrier_wait -1
	global_inv scope:SCOPE_SE
	s_clause 0x7
	scratch_load_b128 v[6:9], off, off offset:32
	scratch_load_b128 v[44:47], off, off offset:48
	;; [unrolled: 1-line block ×8, first 2 shown]
	v_mov_b32_e32 v1, 0
	s_mov_b32 s2, exec_lo
	ds_load_b128 v[72:75], v1 offset:272
	s_clause 0x1
	scratch_load_b128 v[76:79], off, off offset:160
	scratch_load_b128 v[80:83], off, off offset:16
	ds_load_b128 v[84:87], v1 offset:288
	ds_load_b128 v[92:95], v1 offset:320
	s_wait_loadcnt_dscnt 0x902
	v_mul_f64_e32 v[2:3], v[74:75], v[8:9]
	v_mul_f64_e32 v[88:89], v[72:73], v[8:9]
	scratch_load_b128 v[8:11], off, off offset:176
	v_fma_f64 v[2:3], v[72:73], v[6:7], -v[2:3]
	v_fma_f64 v[6:7], v[74:75], v[6:7], v[88:89]
	ds_load_b128 v[72:75], v1 offset:304
	s_wait_loadcnt_dscnt 0x902
	v_mul_f64_e32 v[96:97], v[84:85], v[46:47]
	v_mul_f64_e32 v[46:47], v[86:87], v[46:47]
	scratch_load_b128 v[88:91], off, off offset:192
	s_wait_loadcnt_dscnt 0x900
	v_mul_f64_e32 v[98:99], v[72:73], v[50:51]
	v_mul_f64_e32 v[50:51], v[74:75], v[50:51]
	v_add_f64_e32 v[2:3], 0, v[2:3]
	v_add_f64_e32 v[6:7], 0, v[6:7]
	v_fma_f64 v[86:87], v[86:87], v[44:45], v[96:97]
	v_fma_f64 v[84:85], v[84:85], v[44:45], -v[46:47]
	scratch_load_b128 v[44:47], off, off offset:208
	v_fma_f64 v[98:99], v[74:75], v[48:49], v[98:99]
	v_fma_f64 v[100:101], v[72:73], v[48:49], -v[50:51]
	ds_load_b128 v[48:51], v1 offset:336
	s_wait_loadcnt 0x9
	v_mul_f64_e32 v[96:97], v[92:93], v[54:55]
	v_mul_f64_e32 v[54:55], v[94:95], v[54:55]
	scratch_load_b128 v[72:75], off, off offset:224
	v_add_f64_e32 v[6:7], v[6:7], v[86:87]
	v_add_f64_e32 v[2:3], v[2:3], v[84:85]
	ds_load_b128 v[84:87], v1 offset:352
	s_wait_loadcnt_dscnt 0x901
	v_mul_f64_e32 v[102:103], v[48:49], v[58:59]
	v_mul_f64_e32 v[58:59], v[50:51], v[58:59]
	v_fma_f64 v[94:95], v[94:95], v[52:53], v[96:97]
	v_fma_f64 v[52:53], v[92:93], v[52:53], -v[54:55]
	s_wait_loadcnt_dscnt 0x800
	v_mul_f64_e32 v[92:93], v[84:85], v[62:63]
	v_mul_f64_e32 v[62:63], v[86:87], v[62:63]
	v_add_f64_e32 v[6:7], v[6:7], v[98:99]
	v_add_f64_e32 v[2:3], v[2:3], v[100:101]
	v_fma_f64 v[96:97], v[50:51], v[56:57], v[102:103]
	v_fma_f64 v[56:57], v[48:49], v[56:57], -v[58:59]
	v_fma_f64 v[86:87], v[86:87], v[60:61], v[92:93]
	v_fma_f64 v[60:61], v[84:85], v[60:61], -v[62:63]
	v_add_f64_e32 v[6:7], v[6:7], v[94:95]
	v_add_f64_e32 v[2:3], v[2:3], v[52:53]
	ds_load_b128 v[48:51], v1 offset:368
	ds_load_b128 v[52:55], v1 offset:384
	s_wait_loadcnt_dscnt 0x701
	v_mul_f64_e32 v[58:59], v[48:49], v[66:67]
	v_mul_f64_e32 v[66:67], v[50:51], v[66:67]
	s_wait_loadcnt_dscnt 0x600
	v_mul_f64_e32 v[62:63], v[52:53], v[70:71]
	v_mul_f64_e32 v[70:71], v[54:55], v[70:71]
	v_add_f64_e32 v[6:7], v[6:7], v[96:97]
	v_add_f64_e32 v[2:3], v[2:3], v[56:57]
	v_fma_f64 v[84:85], v[50:51], v[64:65], v[58:59]
	v_fma_f64 v[64:65], v[48:49], v[64:65], -v[66:67]
	ds_load_b128 v[48:51], v1 offset:400
	ds_load_b128 v[56:59], v1 offset:416
	v_fma_f64 v[54:55], v[54:55], v[68:69], v[62:63]
	v_fma_f64 v[52:53], v[52:53], v[68:69], -v[70:71]
	v_add_f64_e32 v[6:7], v[6:7], v[86:87]
	v_add_f64_e32 v[2:3], v[2:3], v[60:61]
	s_wait_loadcnt_dscnt 0x501
	v_mul_f64_e32 v[60:61], v[48:49], v[78:79]
	v_mul_f64_e32 v[66:67], v[50:51], v[78:79]
	s_delay_alu instid0(VALU_DEP_4) | instskip(NEXT) | instid1(VALU_DEP_4)
	v_add_f64_e32 v[6:7], v[6:7], v[84:85]
	v_add_f64_e32 v[2:3], v[2:3], v[64:65]
	s_delay_alu instid0(VALU_DEP_4) | instskip(NEXT) | instid1(VALU_DEP_4)
	v_fma_f64 v[60:61], v[50:51], v[76:77], v[60:61]
	v_fma_f64 v[64:65], v[48:49], v[76:77], -v[66:67]
	s_wait_loadcnt_dscnt 0x300
	v_mul_f64_e32 v[62:63], v[56:57], v[10:11]
	v_mul_f64_e32 v[10:11], v[58:59], v[10:11]
	v_add_f64_e32 v[6:7], v[6:7], v[54:55]
	v_add_f64_e32 v[2:3], v[2:3], v[52:53]
	ds_load_b128 v[48:51], v1 offset:432
	ds_load_b128 v[52:55], v1 offset:448
	v_fma_f64 v[58:59], v[58:59], v[8:9], v[62:63]
	v_fma_f64 v[8:9], v[56:57], v[8:9], -v[10:11]
	s_wait_loadcnt_dscnt 0x201
	v_mul_f64_e32 v[66:67], v[48:49], v[90:91]
	v_mul_f64_e32 v[68:69], v[50:51], v[90:91]
	v_add_f64_e32 v[6:7], v[6:7], v[60:61]
	v_add_f64_e32 v[2:3], v[2:3], v[64:65]
	s_wait_loadcnt_dscnt 0x100
	v_mul_f64_e32 v[10:11], v[52:53], v[46:47]
	v_mul_f64_e32 v[46:47], v[54:55], v[46:47]
	v_fma_f64 v[50:51], v[50:51], v[88:89], v[66:67]
	v_fma_f64 v[48:49], v[48:49], v[88:89], -v[68:69]
	v_add_f64_e32 v[56:57], v[6:7], v[58:59]
	v_add_f64_e32 v[2:3], v[2:3], v[8:9]
	ds_load_b128 v[6:9], v1 offset:464
	v_fma_f64 v[10:11], v[54:55], v[44:45], v[10:11]
	v_fma_f64 v[44:45], v[52:53], v[44:45], -v[46:47]
	s_wait_loadcnt_dscnt 0x0
	v_mul_f64_e32 v[58:59], v[6:7], v[74:75]
	v_mul_f64_e32 v[60:61], v[8:9], v[74:75]
	v_add_f64_e32 v[46:47], v[56:57], v[50:51]
	v_add_f64_e32 v[2:3], v[2:3], v[48:49]
	s_delay_alu instid0(VALU_DEP_4) | instskip(NEXT) | instid1(VALU_DEP_4)
	v_fma_f64 v[8:9], v[8:9], v[72:73], v[58:59]
	v_fma_f64 v[6:7], v[6:7], v[72:73], -v[60:61]
	s_delay_alu instid0(VALU_DEP_4) | instskip(NEXT) | instid1(VALU_DEP_4)
	v_add_f64_e32 v[10:11], v[46:47], v[10:11]
	v_add_f64_e32 v[2:3], v[2:3], v[44:45]
	s_delay_alu instid0(VALU_DEP_2) | instskip(NEXT) | instid1(VALU_DEP_2)
	v_add_f64_e32 v[8:9], v[10:11], v[8:9]
	v_add_f64_e32 v[2:3], v[2:3], v[6:7]
	s_delay_alu instid0(VALU_DEP_2) | instskip(NEXT) | instid1(VALU_DEP_2)
	v_add_f64_e64 v[8:9], v[82:83], -v[8:9]
	v_add_f64_e64 v[6:7], v[80:81], -v[2:3]
	scratch_store_b128 off, v[6:9], off offset:16
	v_cmpx_ne_u32_e32 0, v43
	s_cbranch_execz .LBB14_103
; %bb.102:
	scratch_load_b128 v[6:9], off, off
	v_dual_mov_b32 v2, v1 :: v_dual_mov_b32 v3, v1
	v_mov_b32_e32 v4, v1
	scratch_store_b128 off, v[1:4], off
	s_wait_loadcnt 0x0
	ds_store_b128 v5, v[6:9]
.LBB14_103:
	s_wait_alu 0xfffe
	s_or_b32 exec_lo, exec_lo, s2
	s_wait_storecnt_dscnt 0x0
	s_barrier_signal -1
	s_barrier_wait -1
	global_inv scope:SCOPE_SE
	s_clause 0x8
	scratch_load_b128 v[2:5], off, off offset:16
	scratch_load_b128 v[6:9], off, off offset:32
	scratch_load_b128 v[44:47], off, off offset:48
	scratch_load_b128 v[48:51], off, off offset:64
	scratch_load_b128 v[52:55], off, off offset:80
	scratch_load_b128 v[56:59], off, off offset:96
	scratch_load_b128 v[60:63], off, off offset:112
	scratch_load_b128 v[64:67], off, off offset:128
	scratch_load_b128 v[68:71], off, off offset:144
	ds_load_b128 v[72:75], v1 offset:256
	ds_load_b128 v[76:79], v1 offset:272
	s_clause 0x1
	scratch_load_b128 v[80:83], off, off
	scratch_load_b128 v[84:87], off, off offset:160
	s_and_b32 vcc_lo, exec_lo, s20
	s_wait_loadcnt_dscnt 0xa01
	v_mul_f64_e32 v[10:11], v[74:75], v[4:5]
	v_mul_f64_e32 v[4:5], v[72:73], v[4:5]
	s_wait_loadcnt_dscnt 0x900
	v_mul_f64_e32 v[88:89], v[76:77], v[8:9]
	v_mul_f64_e32 v[90:91], v[78:79], v[8:9]
	s_delay_alu instid0(VALU_DEP_4) | instskip(NEXT) | instid1(VALU_DEP_4)
	v_fma_f64 v[92:93], v[72:73], v[2:3], -v[10:11]
	v_fma_f64 v[94:95], v[74:75], v[2:3], v[4:5]
	ds_load_b128 v[2:5], v1 offset:288
	ds_load_b128 v[72:75], v1 offset:304
	scratch_load_b128 v[8:11], off, off offset:176
	v_fma_f64 v[88:89], v[78:79], v[6:7], v[88:89]
	v_fma_f64 v[6:7], v[76:77], v[6:7], -v[90:91]
	scratch_load_b128 v[76:79], off, off offset:192
	s_wait_loadcnt_dscnt 0xa01
	v_mul_f64_e32 v[96:97], v[2:3], v[46:47]
	v_mul_f64_e32 v[46:47], v[4:5], v[46:47]
	v_add_f64_e32 v[90:91], 0, v[92:93]
	v_add_f64_e32 v[92:93], 0, v[94:95]
	s_wait_loadcnt_dscnt 0x900
	v_mul_f64_e32 v[94:95], v[72:73], v[50:51]
	v_mul_f64_e32 v[50:51], v[74:75], v[50:51]
	v_fma_f64 v[96:97], v[4:5], v[44:45], v[96:97]
	v_fma_f64 v[98:99], v[2:3], v[44:45], -v[46:47]
	ds_load_b128 v[2:5], v1 offset:320
	scratch_load_b128 v[44:47], off, off offset:208
	v_add_f64_e32 v[6:7], v[90:91], v[6:7]
	v_add_f64_e32 v[92:93], v[92:93], v[88:89]
	ds_load_b128 v[88:91], v1 offset:336
	v_fma_f64 v[74:75], v[74:75], v[48:49], v[94:95]
	v_fma_f64 v[72:73], v[72:73], v[48:49], -v[50:51]
	scratch_load_b128 v[48:51], off, off offset:224
	s_wait_loadcnt_dscnt 0xa01
	v_mul_f64_e32 v[100:101], v[2:3], v[54:55]
	v_mul_f64_e32 v[54:55], v[4:5], v[54:55]
	s_wait_loadcnt_dscnt 0x900
	v_mul_f64_e32 v[94:95], v[88:89], v[58:59]
	v_mul_f64_e32 v[58:59], v[90:91], v[58:59]
	v_add_f64_e32 v[6:7], v[6:7], v[98:99]
	v_add_f64_e32 v[92:93], v[92:93], v[96:97]
	v_fma_f64 v[96:97], v[4:5], v[52:53], v[100:101]
	v_fma_f64 v[98:99], v[2:3], v[52:53], -v[54:55]
	ds_load_b128 v[2:5], v1 offset:352
	ds_load_b128 v[52:55], v1 offset:368
	v_fma_f64 v[90:91], v[90:91], v[56:57], v[94:95]
	v_fma_f64 v[56:57], v[88:89], v[56:57], -v[58:59]
	v_add_f64_e32 v[6:7], v[6:7], v[72:73]
	v_add_f64_e32 v[72:73], v[92:93], v[74:75]
	s_wait_loadcnt_dscnt 0x801
	v_mul_f64_e32 v[74:75], v[2:3], v[62:63]
	v_mul_f64_e32 v[62:63], v[4:5], v[62:63]
	s_delay_alu instid0(VALU_DEP_4) | instskip(NEXT) | instid1(VALU_DEP_4)
	v_add_f64_e32 v[6:7], v[6:7], v[98:99]
	v_add_f64_e32 v[58:59], v[72:73], v[96:97]
	s_wait_loadcnt_dscnt 0x700
	v_mul_f64_e32 v[72:73], v[52:53], v[66:67]
	v_mul_f64_e32 v[66:67], v[54:55], v[66:67]
	v_fma_f64 v[74:75], v[4:5], v[60:61], v[74:75]
	v_fma_f64 v[60:61], v[2:3], v[60:61], -v[62:63]
	v_add_f64_e32 v[6:7], v[6:7], v[56:57]
	v_add_f64_e32 v[62:63], v[58:59], v[90:91]
	ds_load_b128 v[2:5], v1 offset:384
	ds_load_b128 v[56:59], v1 offset:400
	v_fma_f64 v[54:55], v[54:55], v[64:65], v[72:73]
	v_fma_f64 v[52:53], v[52:53], v[64:65], -v[66:67]
	s_wait_loadcnt_dscnt 0x601
	v_mul_f64_e32 v[88:89], v[2:3], v[70:71]
	v_mul_f64_e32 v[70:71], v[4:5], v[70:71]
	s_wait_loadcnt_dscnt 0x400
	v_mul_f64_e32 v[64:65], v[58:59], v[86:87]
	v_add_f64_e32 v[6:7], v[6:7], v[60:61]
	v_add_f64_e32 v[60:61], v[62:63], v[74:75]
	v_mul_f64_e32 v[62:63], v[56:57], v[86:87]
	v_fma_f64 v[66:67], v[4:5], v[68:69], v[88:89]
	v_fma_f64 v[68:69], v[2:3], v[68:69], -v[70:71]
	v_fma_f64 v[56:57], v[56:57], v[84:85], -v[64:65]
	v_add_f64_e32 v[6:7], v[6:7], v[52:53]
	v_add_f64_e32 v[60:61], v[60:61], v[54:55]
	ds_load_b128 v[2:5], v1 offset:416
	ds_load_b128 v[52:55], v1 offset:432
	v_fma_f64 v[58:59], v[58:59], v[84:85], v[62:63]
	s_wait_loadcnt_dscnt 0x301
	v_mul_f64_e32 v[70:71], v[2:3], v[10:11]
	v_mul_f64_e32 v[10:11], v[4:5], v[10:11]
	s_wait_loadcnt_dscnt 0x200
	v_mul_f64_e32 v[62:63], v[52:53], v[78:79]
	v_mul_f64_e32 v[64:65], v[54:55], v[78:79]
	v_add_f64_e32 v[6:7], v[6:7], v[68:69]
	v_add_f64_e32 v[60:61], v[60:61], v[66:67]
	v_fma_f64 v[66:67], v[4:5], v[8:9], v[70:71]
	v_fma_f64 v[10:11], v[2:3], v[8:9], -v[10:11]
	v_fma_f64 v[54:55], v[54:55], v[76:77], v[62:63]
	v_fma_f64 v[52:53], v[52:53], v[76:77], -v[64:65]
	v_add_f64_e32 v[56:57], v[6:7], v[56:57]
	v_add_f64_e32 v[58:59], v[60:61], v[58:59]
	ds_load_b128 v[2:5], v1 offset:448
	ds_load_b128 v[6:9], v1 offset:464
	s_wait_loadcnt_dscnt 0x101
	v_mul_f64_e32 v[60:61], v[2:3], v[46:47]
	v_mul_f64_e32 v[46:47], v[4:5], v[46:47]
	v_add_f64_e32 v[10:11], v[56:57], v[10:11]
	v_add_f64_e32 v[56:57], v[58:59], v[66:67]
	s_wait_loadcnt_dscnt 0x0
	v_mul_f64_e32 v[58:59], v[6:7], v[50:51]
	v_mul_f64_e32 v[50:51], v[8:9], v[50:51]
	v_fma_f64 v[4:5], v[4:5], v[44:45], v[60:61]
	v_fma_f64 v[1:2], v[2:3], v[44:45], -v[46:47]
	v_add_f64_e32 v[10:11], v[10:11], v[52:53]
	v_add_f64_e32 v[44:45], v[56:57], v[54:55]
	v_fma_f64 v[8:9], v[8:9], v[48:49], v[58:59]
	v_fma_f64 v[6:7], v[6:7], v[48:49], -v[50:51]
	s_delay_alu instid0(VALU_DEP_4) | instskip(NEXT) | instid1(VALU_DEP_4)
	v_add_f64_e32 v[1:2], v[10:11], v[1:2]
	v_add_f64_e32 v[3:4], v[44:45], v[4:5]
	s_delay_alu instid0(VALU_DEP_2) | instskip(NEXT) | instid1(VALU_DEP_2)
	v_add_f64_e32 v[1:2], v[1:2], v[6:7]
	v_add_f64_e32 v[3:4], v[3:4], v[8:9]
	s_delay_alu instid0(VALU_DEP_2) | instskip(NEXT) | instid1(VALU_DEP_2)
	v_add_f64_e64 v[1:2], v[80:81], -v[1:2]
	v_add_f64_e64 v[3:4], v[82:83], -v[3:4]
	scratch_store_b128 off, v[1:4], off
	s_wait_alu 0xfffe
	s_cbranch_vccz .LBB14_132
; %bb.104:
	v_mov_b32_e32 v1, 0
	s_load_b64 s[0:1], s[0:1], 0x4
	v_bfe_u32 v3, v0, 10, 10
	v_bfe_u32 v0, v0, 20, 10
	global_load_b32 v2, v1, s[16:17] offset:52
	s_wait_kmcnt 0x0
	s_lshr_b32 s0, s0, 16
	v_mul_u32_u24_e32 v3, s1, v3
	s_mul_i32 s0, s0, s1
	s_wait_alu 0xfffe
	v_mul_u32_u24_e32 v4, s0, v43
	s_delay_alu instid0(VALU_DEP_1) | instskip(NEXT) | instid1(VALU_DEP_1)
	v_add3_u32 v0, v4, v3, v0
	v_lshl_add_u32 v0, v0, 4, 0x1e8
	s_wait_loadcnt 0x0
	v_cmp_ne_u32_e32 vcc_lo, 14, v2
	s_cbranch_vccz .LBB14_106
; %bb.105:
	v_lshlrev_b32_e32 v2, 4, v2
	s_delay_alu instid0(VALU_DEP_1)
	v_mov_b32_e32 v10, v2
	s_clause 0x1
	scratch_load_b128 v[2:5], off, s22
	scratch_load_b128 v[6:9], v10, off offset:-16
	s_wait_loadcnt 0x1
	ds_store_2addr_b64 v0, v[2:3], v[4:5] offset1:1
	s_wait_loadcnt 0x0
	s_clause 0x1
	scratch_store_b128 off, v[6:9], s22
	scratch_store_b128 v10, v[2:5], off offset:-16
.LBB14_106:
	global_load_b32 v1, v1, s[16:17] offset:48
	s_wait_loadcnt 0x0
	v_cmp_eq_u32_e32 vcc_lo, 13, v1
	s_cbranch_vccnz .LBB14_108
; %bb.107:
	v_lshlrev_b32_e32 v1, 4, v1
	s_delay_alu instid0(VALU_DEP_1)
	v_mov_b32_e32 v9, v1
	s_clause 0x1
	scratch_load_b128 v[1:4], off, s23
	scratch_load_b128 v[5:8], v9, off offset:-16
	s_wait_loadcnt 0x1
	ds_store_2addr_b64 v0, v[1:2], v[3:4] offset1:1
	s_wait_loadcnt 0x0
	s_clause 0x1
	scratch_store_b128 off, v[5:8], s23
	scratch_store_b128 v9, v[1:4], off offset:-16
.LBB14_108:
	v_mov_b32_e32 v1, 0
	global_load_b32 v2, v1, s[16:17] offset:44
	s_wait_loadcnt 0x0
	v_cmp_eq_u32_e32 vcc_lo, 12, v2
	s_cbranch_vccnz .LBB14_110
; %bb.109:
	v_lshlrev_b32_e32 v2, 4, v2
	s_delay_alu instid0(VALU_DEP_1)
	v_mov_b32_e32 v10, v2
	s_clause 0x1
	scratch_load_b128 v[2:5], off, s15
	scratch_load_b128 v[6:9], v10, off offset:-16
	s_wait_loadcnt 0x1
	ds_store_2addr_b64 v0, v[2:3], v[4:5] offset1:1
	s_wait_loadcnt 0x0
	s_clause 0x1
	scratch_store_b128 off, v[6:9], s15
	scratch_store_b128 v10, v[2:5], off offset:-16
.LBB14_110:
	global_load_b32 v1, v1, s[16:17] offset:40
	s_wait_loadcnt 0x0
	v_cmp_eq_u32_e32 vcc_lo, 11, v1
	s_cbranch_vccnz .LBB14_112
; %bb.111:
	v_lshlrev_b32_e32 v1, 4, v1
	s_delay_alu instid0(VALU_DEP_1)
	v_mov_b32_e32 v9, v1
	s_clause 0x1
	scratch_load_b128 v[1:4], off, s21
	scratch_load_b128 v[5:8], v9, off offset:-16
	s_wait_loadcnt 0x1
	ds_store_2addr_b64 v0, v[1:2], v[3:4] offset1:1
	s_wait_loadcnt 0x0
	s_clause 0x1
	scratch_store_b128 off, v[5:8], s21
	scratch_store_b128 v9, v[1:4], off offset:-16
.LBB14_112:
	v_mov_b32_e32 v1, 0
	global_load_b32 v2, v1, s[16:17] offset:36
	s_wait_loadcnt 0x0
	v_cmp_eq_u32_e32 vcc_lo, 10, v2
	s_cbranch_vccnz .LBB14_114
; %bb.113:
	v_lshlrev_b32_e32 v2, 4, v2
	s_delay_alu instid0(VALU_DEP_1)
	v_mov_b32_e32 v10, v2
	s_clause 0x1
	scratch_load_b128 v[2:5], off, s13
	scratch_load_b128 v[6:9], v10, off offset:-16
	s_wait_loadcnt 0x1
	ds_store_2addr_b64 v0, v[2:3], v[4:5] offset1:1
	s_wait_loadcnt 0x0
	s_clause 0x1
	scratch_store_b128 off, v[6:9], s13
	scratch_store_b128 v10, v[2:5], off offset:-16
.LBB14_114:
	;; [unrolled: 37-line block ×6, first 2 shown]
	global_load_b32 v1, v1, s[16:17]
	s_wait_loadcnt 0x0
	v_cmp_eq_u32_e32 vcc_lo, 1, v1
	s_cbranch_vccnz .LBB14_132
; %bb.131:
	v_lshlrev_b32_e32 v1, 4, v1
	s_delay_alu instid0(VALU_DEP_1)
	v_mov_b32_e32 v9, v1
	scratch_load_b128 v[1:4], off, off
	scratch_load_b128 v[5:8], v9, off offset:-16
	s_wait_loadcnt 0x1
	ds_store_2addr_b64 v0, v[1:2], v[3:4] offset1:1
	s_wait_loadcnt 0x0
	scratch_store_b128 off, v[5:8], off
	scratch_store_b128 v9, v[1:4], off offset:-16
.LBB14_132:
	scratch_load_b128 v[0:3], off, off
	s_clause 0xd
	scratch_load_b128 v[4:7], off, s4
	scratch_load_b128 v[8:11], off, s8
	scratch_load_b128 v[43:46], off, s5
	scratch_load_b128 v[47:50], off, s10
	scratch_load_b128 v[51:54], off, s9
	scratch_load_b128 v[55:58], off, s12
	scratch_load_b128 v[59:62], off, s11
	scratch_load_b128 v[63:66], off, s14
	scratch_load_b128 v[67:70], off, s13
	scratch_load_b128 v[71:74], off, s21
	scratch_load_b128 v[75:78], off, s15
	scratch_load_b128 v[79:82], off, s23
	scratch_load_b128 v[83:86], off, s22
	scratch_load_b128 v[87:90], off, s24
	s_wait_loadcnt 0xe
	global_store_b128 v[13:14], v[0:3], off
	s_wait_loadcnt 0xd
	global_store_b128 v[15:16], v[4:7], off
	;; [unrolled: 2-line block ×15, first 2 shown]
	s_nop 0
	s_sendmsg sendmsg(MSG_DEALLOC_VGPRS)
	s_endpgm
	.section	.rodata,"a",@progbits
	.p2align	6, 0x0
	.amdhsa_kernel _ZN9rocsolver6v33100L18getri_kernel_smallILi15E19rocblas_complex_numIdEPS3_EEvT1_iilPiilS6_bb
		.amdhsa_group_segment_fixed_size 1512
		.amdhsa_private_segment_fixed_size 256
		.amdhsa_kernarg_size 60
		.amdhsa_user_sgpr_count 4
		.amdhsa_user_sgpr_dispatch_ptr 1
		.amdhsa_user_sgpr_queue_ptr 0
		.amdhsa_user_sgpr_kernarg_segment_ptr 1
		.amdhsa_user_sgpr_dispatch_id 0
		.amdhsa_user_sgpr_private_segment_size 0
		.amdhsa_wavefront_size32 1
		.amdhsa_uses_dynamic_stack 0
		.amdhsa_enable_private_segment 1
		.amdhsa_system_sgpr_workgroup_id_x 1
		.amdhsa_system_sgpr_workgroup_id_y 0
		.amdhsa_system_sgpr_workgroup_id_z 0
		.amdhsa_system_sgpr_workgroup_info 0
		.amdhsa_system_vgpr_workitem_id 2
		.amdhsa_next_free_vgpr 104
		.amdhsa_next_free_sgpr 28
		.amdhsa_reserve_vcc 1
		.amdhsa_float_round_mode_32 0
		.amdhsa_float_round_mode_16_64 0
		.amdhsa_float_denorm_mode_32 3
		.amdhsa_float_denorm_mode_16_64 3
		.amdhsa_fp16_overflow 0
		.amdhsa_workgroup_processor_mode 1
		.amdhsa_memory_ordered 1
		.amdhsa_forward_progress 1
		.amdhsa_inst_pref_size 129
		.amdhsa_round_robin_scheduling 0
		.amdhsa_exception_fp_ieee_invalid_op 0
		.amdhsa_exception_fp_denorm_src 0
		.amdhsa_exception_fp_ieee_div_zero 0
		.amdhsa_exception_fp_ieee_overflow 0
		.amdhsa_exception_fp_ieee_underflow 0
		.amdhsa_exception_fp_ieee_inexact 0
		.amdhsa_exception_int_div_zero 0
	.end_amdhsa_kernel
	.section	.text._ZN9rocsolver6v33100L18getri_kernel_smallILi15E19rocblas_complex_numIdEPS3_EEvT1_iilPiilS6_bb,"axG",@progbits,_ZN9rocsolver6v33100L18getri_kernel_smallILi15E19rocblas_complex_numIdEPS3_EEvT1_iilPiilS6_bb,comdat
.Lfunc_end14:
	.size	_ZN9rocsolver6v33100L18getri_kernel_smallILi15E19rocblas_complex_numIdEPS3_EEvT1_iilPiilS6_bb, .Lfunc_end14-_ZN9rocsolver6v33100L18getri_kernel_smallILi15E19rocblas_complex_numIdEPS3_EEvT1_iilPiilS6_bb
                                        ; -- End function
	.set _ZN9rocsolver6v33100L18getri_kernel_smallILi15E19rocblas_complex_numIdEPS3_EEvT1_iilPiilS6_bb.num_vgpr, 104
	.set _ZN9rocsolver6v33100L18getri_kernel_smallILi15E19rocblas_complex_numIdEPS3_EEvT1_iilPiilS6_bb.num_agpr, 0
	.set _ZN9rocsolver6v33100L18getri_kernel_smallILi15E19rocblas_complex_numIdEPS3_EEvT1_iilPiilS6_bb.numbered_sgpr, 28
	.set _ZN9rocsolver6v33100L18getri_kernel_smallILi15E19rocblas_complex_numIdEPS3_EEvT1_iilPiilS6_bb.num_named_barrier, 0
	.set _ZN9rocsolver6v33100L18getri_kernel_smallILi15E19rocblas_complex_numIdEPS3_EEvT1_iilPiilS6_bb.private_seg_size, 256
	.set _ZN9rocsolver6v33100L18getri_kernel_smallILi15E19rocblas_complex_numIdEPS3_EEvT1_iilPiilS6_bb.uses_vcc, 1
	.set _ZN9rocsolver6v33100L18getri_kernel_smallILi15E19rocblas_complex_numIdEPS3_EEvT1_iilPiilS6_bb.uses_flat_scratch, 1
	.set _ZN9rocsolver6v33100L18getri_kernel_smallILi15E19rocblas_complex_numIdEPS3_EEvT1_iilPiilS6_bb.has_dyn_sized_stack, 0
	.set _ZN9rocsolver6v33100L18getri_kernel_smallILi15E19rocblas_complex_numIdEPS3_EEvT1_iilPiilS6_bb.has_recursion, 0
	.set _ZN9rocsolver6v33100L18getri_kernel_smallILi15E19rocblas_complex_numIdEPS3_EEvT1_iilPiilS6_bb.has_indirect_call, 0
	.section	.AMDGPU.csdata,"",@progbits
; Kernel info:
; codeLenInByte = 16440
; TotalNumSgprs: 30
; NumVgprs: 104
; ScratchSize: 256
; MemoryBound: 0
; FloatMode: 240
; IeeeMode: 1
; LDSByteSize: 1512 bytes/workgroup (compile time only)
; SGPRBlocks: 0
; VGPRBlocks: 12
; NumSGPRsForWavesPerEU: 30
; NumVGPRsForWavesPerEU: 104
; Occupancy: 12
; WaveLimiterHint : 1
; COMPUTE_PGM_RSRC2:SCRATCH_EN: 1
; COMPUTE_PGM_RSRC2:USER_SGPR: 4
; COMPUTE_PGM_RSRC2:TRAP_HANDLER: 0
; COMPUTE_PGM_RSRC2:TGID_X_EN: 1
; COMPUTE_PGM_RSRC2:TGID_Y_EN: 0
; COMPUTE_PGM_RSRC2:TGID_Z_EN: 0
; COMPUTE_PGM_RSRC2:TIDIG_COMP_CNT: 2
	.section	.text._ZN9rocsolver6v33100L18getri_kernel_smallILi16E19rocblas_complex_numIdEPS3_EEvT1_iilPiilS6_bb,"axG",@progbits,_ZN9rocsolver6v33100L18getri_kernel_smallILi16E19rocblas_complex_numIdEPS3_EEvT1_iilPiilS6_bb,comdat
	.globl	_ZN9rocsolver6v33100L18getri_kernel_smallILi16E19rocblas_complex_numIdEPS3_EEvT1_iilPiilS6_bb ; -- Begin function _ZN9rocsolver6v33100L18getri_kernel_smallILi16E19rocblas_complex_numIdEPS3_EEvT1_iilPiilS6_bb
	.p2align	8
	.type	_ZN9rocsolver6v33100L18getri_kernel_smallILi16E19rocblas_complex_numIdEPS3_EEvT1_iilPiilS6_bb,@function
_ZN9rocsolver6v33100L18getri_kernel_smallILi16E19rocblas_complex_numIdEPS3_EEvT1_iilPiilS6_bb: ; @_ZN9rocsolver6v33100L18getri_kernel_smallILi16E19rocblas_complex_numIdEPS3_EEvT1_iilPiilS6_bb
; %bb.0:
	v_and_b32_e32 v45, 0x3ff, v0
	s_mov_b32 s4, exec_lo
	s_delay_alu instid0(VALU_DEP_1)
	v_cmpx_gt_u32_e32 16, v45
	s_cbranch_execz .LBB15_78
; %bb.1:
	s_clause 0x2
	s_load_b32 s8, s[2:3], 0x38
	s_load_b128 s[12:15], s[2:3], 0x10
	s_load_b128 s[4:7], s[2:3], 0x28
	s_mov_b32 s18, ttmp9
                                        ; implicit-def: $sgpr16_sgpr17
	s_wait_kmcnt 0x0
	s_bitcmp1_b32 s8, 8
	s_cselect_b32 s20, -1, 0
	s_bfe_u32 s8, s8, 0x10008
	s_ashr_i32 s19, ttmp9, 31
	s_cmp_eq_u32 s8, 0
	s_cbranch_scc1 .LBB15_3
; %bb.2:
	s_load_b32 s8, s[2:3], 0x20
	s_mul_u64 s[4:5], s[4:5], s[18:19]
	s_delay_alu instid0(SALU_CYCLE_1) | instskip(NEXT) | instid1(SALU_CYCLE_1)
	s_lshl_b64 s[4:5], s[4:5], 2
	s_add_nc_u64 s[4:5], s[14:15], s[4:5]
	s_wait_kmcnt 0x0
	s_ashr_i32 s9, s8, 31
	s_delay_alu instid0(SALU_CYCLE_1) | instskip(NEXT) | instid1(SALU_CYCLE_1)
	s_lshl_b64 s[8:9], s[8:9], 2
	s_add_nc_u64 s[16:17], s[4:5], s[8:9]
.LBB15_3:
	s_clause 0x1
	s_load_b128 s[8:11], s[2:3], 0x0
	s_load_b32 s26, s[2:3], 0x38
	s_mul_u64 s[2:3], s[12:13], s[18:19]
	v_lshlrev_b32_e32 v46, 4, v45
	s_lshl_b64 s[2:3], s[2:3], 4
	s_movk_i32 s12, 0x60
	s_movk_i32 s14, 0x80
	;; [unrolled: 1-line block ×9, first 2 shown]
	s_wait_kmcnt 0x0
	v_add3_u32 v5, s11, s11, v45
	s_ashr_i32 s5, s10, 31
	s_mov_b32 s4, s10
	s_add_nc_u64 s[2:3], s[8:9], s[2:3]
	s_lshl_b64 s[4:5], s[4:5], 4
	v_add_nc_u32_e32 v7, s11, v5
	v_ashrrev_i32_e32 v6, 31, v5
	s_add_nc_u64 s[2:3], s[2:3], s[4:5]
	s_ashr_i32 s9, s11, 31
	v_add_co_u32 v13, s4, s2, v46
	v_add_nc_u32_e32 v9, s11, v7
	v_ashrrev_i32_e32 v8, 31, v7
	s_mov_b32 s8, s11
	v_lshlrev_b64_e32 v[5:6], 4, v[5:6]
	v_add_co_ci_u32_e64 v14, null, s3, 0, s4
	v_add_nc_u32_e32 v21, s11, v9
	v_ashrrev_i32_e32 v10, 31, v9
	s_lshl_b64 s[8:9], s[8:9], 4
	v_lshlrev_b64_e32 v[19:20], 4, v[7:8]
	v_add_co_u32 v15, vcc_lo, v13, s8
	v_add_nc_u32_e32 v25, s11, v21
	v_ashrrev_i32_e32 v22, 31, v21
	v_lshlrev_b64_e32 v[23:24], 4, v[9:10]
	v_add_co_ci_u32_e64 v16, null, s9, v14, vcc_lo
	s_delay_alu instid0(VALU_DEP_4)
	v_add_nc_u32_e32 v29, s11, v25
	v_add_co_u32 v17, vcc_lo, s2, v5
	v_lshlrev_b64_e32 v[27:28], 4, v[21:22]
	s_wait_alu 0xfffd
	v_add_co_ci_u32_e64 v18, null, s3, v6, vcc_lo
	v_add_co_u32 v19, vcc_lo, s2, v19
	v_ashrrev_i32_e32 v30, 31, v29
	v_add_nc_u32_e32 v31, s11, v29
	s_wait_alu 0xfffd
	v_add_co_ci_u32_e64 v20, null, s3, v20, vcc_lo
	v_add_co_u32 v21, vcc_lo, s2, v23
	s_wait_alu 0xfffd
	v_add_co_ci_u32_e64 v22, null, s3, v24, vcc_lo
	v_add_co_u32 v23, vcc_lo, s2, v27
	s_wait_alu 0xfffd
	v_add_co_ci_u32_e64 v24, null, s3, v28, vcc_lo
	v_lshlrev_b64_e32 v[27:28], 4, v[29:30]
	v_add_nc_u32_e32 v29, s11, v31
	v_ashrrev_i32_e32 v26, 31, v25
	v_ashrrev_i32_e32 v32, 31, v31
	s_clause 0x2
	global_load_b128 v[1:4], v46, s[2:3]
	global_load_b128 v[5:8], v[15:16], off
	global_load_b128 v[9:12], v[17:18], off
	v_add_nc_u32_e32 v33, s11, v29
	v_lshlrev_b64_e32 v[25:26], 4, v[25:26]
	v_ashrrev_i32_e32 v30, 31, v29
	v_lshlrev_b64_e32 v[31:32], 4, v[31:32]
	s_clause 0x1
	global_load_b128 v[47:50], v[19:20], off
	global_load_b128 v[51:54], v[21:22], off
	v_add_nc_u32_e32 v37, s11, v33
	v_ashrrev_i32_e32 v34, 31, v33
	v_add_co_u32 v25, vcc_lo, s2, v25
	v_lshlrev_b64_e32 v[35:36], 4, v[29:30]
	s_wait_alu 0xfffd
	v_add_co_ci_u32_e64 v26, null, s3, v26, vcc_lo
	v_add_co_u32 v27, vcc_lo, s2, v27
	v_ashrrev_i32_e32 v38, 31, v37
	v_add_nc_u32_e32 v39, s11, v37
	s_wait_alu 0xfffd
	v_add_co_ci_u32_e64 v28, null, s3, v28, vcc_lo
	v_add_co_u32 v29, vcc_lo, s2, v31
	s_wait_alu 0xfffd
	v_add_co_ci_u32_e64 v30, null, s3, v32, vcc_lo
	v_add_co_u32 v31, vcc_lo, s2, v35
	s_wait_alu 0xfffd
	v_add_co_ci_u32_e64 v32, null, s3, v36, vcc_lo
	v_lshlrev_b64_e32 v[35:36], 4, v[37:38]
	v_add_nc_u32_e32 v37, s11, v39
	v_ashrrev_i32_e32 v40, 31, v39
	v_lshlrev_b64_e32 v[33:34], 4, v[33:34]
	s_clause 0x3
	global_load_b128 v[55:58], v[23:24], off
	global_load_b128 v[59:62], v[25:26], off
	;; [unrolled: 1-line block ×4, first 2 shown]
	v_add_nc_u32_e32 v41, s11, v37
	v_ashrrev_i32_e32 v38, 31, v37
	v_lshlrev_b64_e32 v[39:40], 4, v[39:40]
	v_add_co_u32 v33, vcc_lo, s2, v33
	s_delay_alu instid0(VALU_DEP_4) | instskip(NEXT) | instid1(VALU_DEP_4)
	v_add_nc_u32_e32 v87, s11, v41
	v_lshlrev_b64_e32 v[43:44], 4, v[37:38]
	v_ashrrev_i32_e32 v42, 31, v41
	s_wait_alu 0xfffd
	v_add_co_ci_u32_e64 v34, null, s3, v34, vcc_lo
	v_add_co_u32 v35, vcc_lo, s2, v35
	v_ashrrev_i32_e32 v88, 31, v87
	s_wait_alu 0xfffd
	v_add_co_ci_u32_e64 v36, null, s3, v36, vcc_lo
	v_add_co_u32 v37, vcc_lo, s2, v39
	s_wait_alu 0xfffd
	v_add_co_ci_u32_e64 v38, null, s3, v40, vcc_lo
	v_add_co_u32 v39, vcc_lo, s2, v43
	v_lshlrev_b64_e32 v[41:42], 4, v[41:42]
	s_wait_alu 0xfffd
	v_add_co_ci_u32_e64 v40, null, s3, v44, vcc_lo
	v_lshlrev_b64_e32 v[43:44], 4, v[87:88]
	s_clause 0x3
	global_load_b128 v[71:74], v[31:32], off
	global_load_b128 v[75:78], v[33:34], off
	;; [unrolled: 1-line block ×4, first 2 shown]
	v_add_co_u32 v41, vcc_lo, s2, v41
	s_wait_alu 0xfffd
	v_add_co_ci_u32_e64 v42, null, s3, v42, vcc_lo
	v_add_co_u32 v43, vcc_lo, s2, v43
	s_wait_alu 0xfffd
	v_add_co_ci_u32_e64 v44, null, s3, v44, vcc_lo
	s_clause 0x2
	global_load_b128 v[87:90], v[39:40], off
	global_load_b128 v[91:94], v[41:42], off
	;; [unrolled: 1-line block ×3, first 2 shown]
	s_mov_b32 s9, 16
	s_mov_b32 s5, 32
	;; [unrolled: 1-line block ×3, first 2 shown]
	s_movk_i32 s8, 0x50
	s_mov_b32 s10, 64
	s_movk_i32 s11, 0x70
	s_mov_b32 s3, -1
	s_bitcmp0_b32 s26, 0
	s_wait_loadcnt 0xf
	scratch_store_b128 off, v[1:4], off
	s_wait_loadcnt 0xe
	scratch_store_b128 off, v[5:8], off offset:16
	s_wait_loadcnt 0xd
	scratch_store_b128 off, v[9:12], off offset:32
	;; [unrolled: 2-line block ×15, first 2 shown]
	s_cbranch_scc1 .LBB15_76
; %bb.4:
	v_cmp_eq_u32_e64 s2, 0, v45
	s_and_saveexec_b32 s3, s2
; %bb.5:
	v_mov_b32_e32 v1, 0
	ds_store_b32 v1, v1 offset:512
; %bb.6:
	s_wait_alu 0xfffe
	s_or_b32 exec_lo, exec_lo, s3
	s_wait_storecnt_dscnt 0x0
	s_barrier_signal -1
	s_barrier_wait -1
	global_inv scope:SCOPE_SE
	scratch_load_b128 v[1:4], v46, off
	s_wait_loadcnt 0x0
	v_cmp_eq_f64_e32 vcc_lo, 0, v[1:2]
	v_cmp_eq_f64_e64 s3, 0, v[3:4]
	s_and_b32 s3, vcc_lo, s3
	s_wait_alu 0xfffe
	s_and_saveexec_b32 s26, s3
	s_cbranch_execz .LBB15_10
; %bb.7:
	v_mov_b32_e32 v1, 0
	s_mov_b32 s27, 0
	ds_load_b32 v2, v1 offset:512
	s_wait_dscnt 0x0
	v_readfirstlane_b32 s3, v2
	v_add_nc_u32_e32 v2, 1, v45
	s_cmp_eq_u32 s3, 0
	s_delay_alu instid0(VALU_DEP_1) | instskip(SKIP_1) | instid1(SALU_CYCLE_1)
	v_cmp_gt_i32_e32 vcc_lo, s3, v2
	s_cselect_b32 s28, -1, 0
	s_or_b32 s28, s28, vcc_lo
	s_delay_alu instid0(SALU_CYCLE_1)
	s_and_b32 exec_lo, exec_lo, s28
	s_cbranch_execz .LBB15_10
; %bb.8:
	v_mov_b32_e32 v3, s3
.LBB15_9:                               ; =>This Inner Loop Header: Depth=1
	ds_cmpstore_rtn_b32 v3, v1, v2, v3 offset:512
	s_wait_dscnt 0x0
	v_cmp_ne_u32_e32 vcc_lo, 0, v3
	v_cmp_le_i32_e64 s3, v3, v2
	s_and_b32 s3, vcc_lo, s3
	s_wait_alu 0xfffe
	s_and_b32 s3, exec_lo, s3
	s_wait_alu 0xfffe
	s_or_b32 s27, s3, s27
	s_delay_alu instid0(SALU_CYCLE_1)
	s_and_not1_b32 exec_lo, exec_lo, s27
	s_cbranch_execnz .LBB15_9
.LBB15_10:
	s_or_b32 exec_lo, exec_lo, s26
	v_mov_b32_e32 v1, 0
	s_barrier_signal -1
	s_barrier_wait -1
	global_inv scope:SCOPE_SE
	ds_load_b32 v2, v1 offset:512
	s_and_saveexec_b32 s3, s2
	s_cbranch_execz .LBB15_12
; %bb.11:
	s_lshl_b64 s[26:27], s[18:19], 2
	s_delay_alu instid0(SALU_CYCLE_1)
	s_add_nc_u64 s[26:27], s[6:7], s[26:27]
	s_wait_dscnt 0x0
	global_store_b32 v1, v2, s[26:27]
.LBB15_12:
	s_wait_alu 0xfffe
	s_or_b32 exec_lo, exec_lo, s3
	s_wait_dscnt 0x0
	v_cmp_ne_u32_e32 vcc_lo, 0, v2
	s_mov_b32 s3, 0
	s_cbranch_vccnz .LBB15_76
; %bb.13:
	v_mov_b32_e32 v47, v46
                                        ; implicit-def: $vgpr1_vgpr2
                                        ; implicit-def: $vgpr9_vgpr10
	scratch_load_b128 v[5:8], v47, off
	s_wait_loadcnt 0x0
	v_cmp_ngt_f64_e64 s3, |v[5:6]|, |v[7:8]|
	s_wait_alu 0xfffe
	s_and_saveexec_b32 s26, s3
	s_delay_alu instid0(SALU_CYCLE_1)
	s_xor_b32 s3, exec_lo, s26
	s_cbranch_execz .LBB15_15
; %bb.14:
	v_div_scale_f64 v[1:2], null, v[7:8], v[7:8], v[5:6]
	v_div_scale_f64 v[11:12], vcc_lo, v[5:6], v[7:8], v[5:6]
	s_delay_alu instid0(VALU_DEP_2) | instskip(NEXT) | instid1(TRANS32_DEP_1)
	v_rcp_f64_e32 v[3:4], v[1:2]
	v_fma_f64 v[9:10], -v[1:2], v[3:4], 1.0
	s_delay_alu instid0(VALU_DEP_1) | instskip(NEXT) | instid1(VALU_DEP_1)
	v_fma_f64 v[3:4], v[3:4], v[9:10], v[3:4]
	v_fma_f64 v[9:10], -v[1:2], v[3:4], 1.0
	s_delay_alu instid0(VALU_DEP_1) | instskip(NEXT) | instid1(VALU_DEP_1)
	v_fma_f64 v[3:4], v[3:4], v[9:10], v[3:4]
	v_mul_f64_e32 v[9:10], v[11:12], v[3:4]
	s_delay_alu instid0(VALU_DEP_1) | instskip(SKIP_1) | instid1(VALU_DEP_1)
	v_fma_f64 v[1:2], -v[1:2], v[9:10], v[11:12]
	s_wait_alu 0xfffd
	v_div_fmas_f64 v[1:2], v[1:2], v[3:4], v[9:10]
	s_delay_alu instid0(VALU_DEP_1) | instskip(NEXT) | instid1(VALU_DEP_1)
	v_div_fixup_f64 v[1:2], v[1:2], v[7:8], v[5:6]
	v_fma_f64 v[3:4], v[5:6], v[1:2], v[7:8]
	s_delay_alu instid0(VALU_DEP_1) | instskip(SKIP_1) | instid1(VALU_DEP_2)
	v_div_scale_f64 v[5:6], null, v[3:4], v[3:4], 1.0
	v_div_scale_f64 v[11:12], vcc_lo, 1.0, v[3:4], 1.0
	v_rcp_f64_e32 v[7:8], v[5:6]
	s_delay_alu instid0(TRANS32_DEP_1) | instskip(NEXT) | instid1(VALU_DEP_1)
	v_fma_f64 v[9:10], -v[5:6], v[7:8], 1.0
	v_fma_f64 v[7:8], v[7:8], v[9:10], v[7:8]
	s_delay_alu instid0(VALU_DEP_1) | instskip(NEXT) | instid1(VALU_DEP_1)
	v_fma_f64 v[9:10], -v[5:6], v[7:8], 1.0
	v_fma_f64 v[7:8], v[7:8], v[9:10], v[7:8]
	s_delay_alu instid0(VALU_DEP_1) | instskip(NEXT) | instid1(VALU_DEP_1)
	v_mul_f64_e32 v[9:10], v[11:12], v[7:8]
	v_fma_f64 v[5:6], -v[5:6], v[9:10], v[11:12]
	s_wait_alu 0xfffd
	s_delay_alu instid0(VALU_DEP_1) | instskip(NEXT) | instid1(VALU_DEP_1)
	v_div_fmas_f64 v[5:6], v[5:6], v[7:8], v[9:10]
	v_div_fixup_f64 v[3:4], v[5:6], v[3:4], 1.0
                                        ; implicit-def: $vgpr5_vgpr6
	s_delay_alu instid0(VALU_DEP_1) | instskip(SKIP_1) | instid1(VALU_DEP_2)
	v_mul_f64_e32 v[1:2], v[1:2], v[3:4]
	v_xor_b32_e32 v4, 0x80000000, v4
	v_xor_b32_e32 v10, 0x80000000, v2
	s_delay_alu instid0(VALU_DEP_3)
	v_mov_b32_e32 v9, v1
.LBB15_15:
	s_wait_alu 0xfffe
	s_and_not1_saveexec_b32 s3, s3
	s_cbranch_execz .LBB15_17
; %bb.16:
	v_div_scale_f64 v[1:2], null, v[5:6], v[5:6], v[7:8]
	v_div_scale_f64 v[11:12], vcc_lo, v[7:8], v[5:6], v[7:8]
	s_delay_alu instid0(VALU_DEP_2) | instskip(NEXT) | instid1(TRANS32_DEP_1)
	v_rcp_f64_e32 v[3:4], v[1:2]
	v_fma_f64 v[9:10], -v[1:2], v[3:4], 1.0
	s_delay_alu instid0(VALU_DEP_1) | instskip(NEXT) | instid1(VALU_DEP_1)
	v_fma_f64 v[3:4], v[3:4], v[9:10], v[3:4]
	v_fma_f64 v[9:10], -v[1:2], v[3:4], 1.0
	s_delay_alu instid0(VALU_DEP_1) | instskip(NEXT) | instid1(VALU_DEP_1)
	v_fma_f64 v[3:4], v[3:4], v[9:10], v[3:4]
	v_mul_f64_e32 v[9:10], v[11:12], v[3:4]
	s_delay_alu instid0(VALU_DEP_1) | instskip(SKIP_1) | instid1(VALU_DEP_1)
	v_fma_f64 v[1:2], -v[1:2], v[9:10], v[11:12]
	s_wait_alu 0xfffd
	v_div_fmas_f64 v[1:2], v[1:2], v[3:4], v[9:10]
	s_delay_alu instid0(VALU_DEP_1) | instskip(NEXT) | instid1(VALU_DEP_1)
	v_div_fixup_f64 v[3:4], v[1:2], v[5:6], v[7:8]
	v_fma_f64 v[1:2], v[7:8], v[3:4], v[5:6]
	s_delay_alu instid0(VALU_DEP_1) | instskip(NEXT) | instid1(VALU_DEP_1)
	v_div_scale_f64 v[5:6], null, v[1:2], v[1:2], 1.0
	v_rcp_f64_e32 v[7:8], v[5:6]
	s_delay_alu instid0(TRANS32_DEP_1) | instskip(NEXT) | instid1(VALU_DEP_1)
	v_fma_f64 v[9:10], -v[5:6], v[7:8], 1.0
	v_fma_f64 v[7:8], v[7:8], v[9:10], v[7:8]
	s_delay_alu instid0(VALU_DEP_1) | instskip(NEXT) | instid1(VALU_DEP_1)
	v_fma_f64 v[9:10], -v[5:6], v[7:8], 1.0
	v_fma_f64 v[7:8], v[7:8], v[9:10], v[7:8]
	v_div_scale_f64 v[9:10], vcc_lo, 1.0, v[1:2], 1.0
	s_delay_alu instid0(VALU_DEP_1) | instskip(NEXT) | instid1(VALU_DEP_1)
	v_mul_f64_e32 v[11:12], v[9:10], v[7:8]
	v_fma_f64 v[5:6], -v[5:6], v[11:12], v[9:10]
	s_wait_alu 0xfffd
	s_delay_alu instid0(VALU_DEP_1) | instskip(NEXT) | instid1(VALU_DEP_1)
	v_div_fmas_f64 v[5:6], v[5:6], v[7:8], v[11:12]
	v_div_fixup_f64 v[1:2], v[5:6], v[1:2], 1.0
	s_delay_alu instid0(VALU_DEP_1)
	v_mul_f64_e64 v[3:4], v[3:4], -v[1:2]
	v_xor_b32_e32 v10, 0x80000000, v2
	v_mov_b32_e32 v9, v1
.LBB15_17:
	s_wait_alu 0xfffe
	s_or_b32 exec_lo, exec_lo, s3
	scratch_store_b128 v47, v[1:4], off
	scratch_load_b128 v[48:51], off, s9
	v_xor_b32_e32 v12, 0x80000000, v4
	v_mov_b32_e32 v11, v3
	v_add_nc_u32_e32 v5, 0x100, v46
	ds_store_b128 v46, v[9:12]
	s_wait_loadcnt 0x0
	ds_store_b128 v46, v[48:51] offset:256
	s_wait_storecnt_dscnt 0x0
	s_barrier_signal -1
	s_barrier_wait -1
	global_inv scope:SCOPE_SE
	s_and_saveexec_b32 s3, s2
	s_cbranch_execz .LBB15_19
; %bb.18:
	scratch_load_b128 v[1:4], v47, off
	ds_load_b128 v[6:9], v5
	v_mov_b32_e32 v10, 0
	ds_load_b128 v[48:51], v10 offset:16
	s_wait_loadcnt_dscnt 0x1
	v_mul_f64_e32 v[10:11], v[6:7], v[3:4]
	v_mul_f64_e32 v[3:4], v[8:9], v[3:4]
	s_delay_alu instid0(VALU_DEP_2) | instskip(NEXT) | instid1(VALU_DEP_2)
	v_fma_f64 v[8:9], v[8:9], v[1:2], v[10:11]
	v_fma_f64 v[1:2], v[6:7], v[1:2], -v[3:4]
	s_delay_alu instid0(VALU_DEP_2) | instskip(NEXT) | instid1(VALU_DEP_2)
	v_add_f64_e32 v[3:4], 0, v[8:9]
	v_add_f64_e32 v[1:2], 0, v[1:2]
	s_wait_dscnt 0x0
	s_delay_alu instid0(VALU_DEP_2) | instskip(NEXT) | instid1(VALU_DEP_2)
	v_mul_f64_e32 v[6:7], v[3:4], v[50:51]
	v_mul_f64_e32 v[8:9], v[1:2], v[50:51]
	s_delay_alu instid0(VALU_DEP_2) | instskip(NEXT) | instid1(VALU_DEP_2)
	v_fma_f64 v[1:2], v[1:2], v[48:49], -v[6:7]
	v_fma_f64 v[3:4], v[3:4], v[48:49], v[8:9]
	scratch_store_b128 off, v[1:4], off offset:16
.LBB15_19:
	s_wait_alu 0xfffe
	s_or_b32 exec_lo, exec_lo, s3
	s_wait_loadcnt 0x0
	s_wait_storecnt 0x0
	s_barrier_signal -1
	s_barrier_wait -1
	global_inv scope:SCOPE_SE
	scratch_load_b128 v[1:4], off, s5
	s_mov_b32 s3, exec_lo
	s_wait_loadcnt 0x0
	ds_store_b128 v5, v[1:4]
	s_wait_dscnt 0x0
	s_barrier_signal -1
	s_barrier_wait -1
	global_inv scope:SCOPE_SE
	v_cmpx_gt_u32_e32 2, v45
	s_cbranch_execz .LBB15_23
; %bb.20:
	scratch_load_b128 v[1:4], v47, off
	ds_load_b128 v[6:9], v5
	s_wait_loadcnt_dscnt 0x0
	v_mul_f64_e32 v[10:11], v[8:9], v[3:4]
	v_mul_f64_e32 v[3:4], v[6:7], v[3:4]
	s_delay_alu instid0(VALU_DEP_2) | instskip(NEXT) | instid1(VALU_DEP_2)
	v_fma_f64 v[6:7], v[6:7], v[1:2], -v[10:11]
	v_fma_f64 v[3:4], v[8:9], v[1:2], v[3:4]
	s_delay_alu instid0(VALU_DEP_2) | instskip(NEXT) | instid1(VALU_DEP_2)
	v_add_f64_e32 v[1:2], 0, v[6:7]
	v_add_f64_e32 v[3:4], 0, v[3:4]
	s_and_saveexec_b32 s26, s2
	s_cbranch_execz .LBB15_22
; %bb.21:
	scratch_load_b128 v[6:9], off, off offset:16
	v_mov_b32_e32 v10, 0
	ds_load_b128 v[48:51], v10 offset:272
	s_wait_loadcnt_dscnt 0x0
	v_mul_f64_e32 v[10:11], v[48:49], v[8:9]
	v_mul_f64_e32 v[8:9], v[50:51], v[8:9]
	s_delay_alu instid0(VALU_DEP_2) | instskip(NEXT) | instid1(VALU_DEP_2)
	v_fma_f64 v[10:11], v[50:51], v[6:7], v[10:11]
	v_fma_f64 v[6:7], v[48:49], v[6:7], -v[8:9]
	s_delay_alu instid0(VALU_DEP_2) | instskip(NEXT) | instid1(VALU_DEP_2)
	v_add_f64_e32 v[3:4], v[3:4], v[10:11]
	v_add_f64_e32 v[1:2], v[1:2], v[6:7]
.LBB15_22:
	s_or_b32 exec_lo, exec_lo, s26
	v_mov_b32_e32 v6, 0
	ds_load_b128 v[6:9], v6 offset:32
	s_wait_dscnt 0x0
	v_mul_f64_e32 v[10:11], v[3:4], v[8:9]
	v_mul_f64_e32 v[8:9], v[1:2], v[8:9]
	s_delay_alu instid0(VALU_DEP_2) | instskip(NEXT) | instid1(VALU_DEP_2)
	v_fma_f64 v[1:2], v[1:2], v[6:7], -v[10:11]
	v_fma_f64 v[3:4], v[3:4], v[6:7], v[8:9]
	scratch_store_b128 off, v[1:4], off offset:32
.LBB15_23:
	s_wait_alu 0xfffe
	s_or_b32 exec_lo, exec_lo, s3
	s_wait_loadcnt 0x0
	s_wait_storecnt 0x0
	s_barrier_signal -1
	s_barrier_wait -1
	global_inv scope:SCOPE_SE
	scratch_load_b128 v[1:4], off, s4
	v_add_nc_u32_e32 v6, -1, v45
	s_mov_b32 s2, exec_lo
	s_wait_loadcnt 0x0
	ds_store_b128 v5, v[1:4]
	s_wait_dscnt 0x0
	s_barrier_signal -1
	s_barrier_wait -1
	global_inv scope:SCOPE_SE
	v_cmpx_gt_u32_e32 3, v45
	s_cbranch_execz .LBB15_27
; %bb.24:
	v_dual_mov_b32 v1, 0 :: v_dual_add_nc_u32 v8, 0x100, v46
	v_mov_b32_e32 v3, 0
	v_dual_mov_b32 v2, 0 :: v_dual_add_nc_u32 v7, -1, v45
	v_mov_b32_e32 v4, 0
	v_or_b32_e32 v9, 8, v47
	s_mov_b32 s3, 0
.LBB15_25:                              ; =>This Inner Loop Header: Depth=1
	scratch_load_b128 v[48:51], v9, off offset:-8
	ds_load_b128 v[52:55], v8
	v_add_nc_u32_e32 v7, 1, v7
	v_add_nc_u32_e32 v8, 16, v8
	v_add_nc_u32_e32 v9, 16, v9
	s_delay_alu instid0(VALU_DEP_3)
	v_cmp_lt_u32_e32 vcc_lo, 1, v7
	s_wait_alu 0xfffe
	s_or_b32 s3, vcc_lo, s3
	s_wait_loadcnt_dscnt 0x0
	v_mul_f64_e32 v[10:11], v[54:55], v[50:51]
	v_mul_f64_e32 v[50:51], v[52:53], v[50:51]
	s_delay_alu instid0(VALU_DEP_2) | instskip(NEXT) | instid1(VALU_DEP_2)
	v_fma_f64 v[10:11], v[52:53], v[48:49], -v[10:11]
	v_fma_f64 v[48:49], v[54:55], v[48:49], v[50:51]
	s_delay_alu instid0(VALU_DEP_2) | instskip(NEXT) | instid1(VALU_DEP_2)
	v_add_f64_e32 v[3:4], v[3:4], v[10:11]
	v_add_f64_e32 v[1:2], v[1:2], v[48:49]
	s_wait_alu 0xfffe
	s_and_not1_b32 exec_lo, exec_lo, s3
	s_cbranch_execnz .LBB15_25
; %bb.26:
	s_or_b32 exec_lo, exec_lo, s3
	v_mov_b32_e32 v7, 0
	ds_load_b128 v[7:10], v7 offset:48
	s_wait_dscnt 0x0
	v_mul_f64_e32 v[11:12], v[1:2], v[9:10]
	v_mul_f64_e32 v[48:49], v[3:4], v[9:10]
	s_delay_alu instid0(VALU_DEP_2) | instskip(NEXT) | instid1(VALU_DEP_2)
	v_fma_f64 v[9:10], v[3:4], v[7:8], -v[11:12]
	v_fma_f64 v[11:12], v[1:2], v[7:8], v[48:49]
	scratch_store_b128 off, v[9:12], off offset:48
.LBB15_27:
	s_wait_alu 0xfffe
	s_or_b32 exec_lo, exec_lo, s2
	s_wait_loadcnt 0x0
	s_wait_storecnt 0x0
	s_barrier_signal -1
	s_barrier_wait -1
	global_inv scope:SCOPE_SE
	scratch_load_b128 v[1:4], off, s10
	s_mov_b32 s2, exec_lo
	s_wait_loadcnt 0x0
	ds_store_b128 v5, v[1:4]
	s_wait_dscnt 0x0
	s_barrier_signal -1
	s_barrier_wait -1
	global_inv scope:SCOPE_SE
	v_cmpx_gt_u32_e32 4, v45
	s_cbranch_execz .LBB15_31
; %bb.28:
	v_dual_mov_b32 v1, 0 :: v_dual_add_nc_u32 v8, 0x100, v46
	v_mov_b32_e32 v3, 0
	v_dual_mov_b32 v2, 0 :: v_dual_add_nc_u32 v7, -1, v45
	v_mov_b32_e32 v4, 0
	v_or_b32_e32 v9, 8, v47
	s_mov_b32 s3, 0
.LBB15_29:                              ; =>This Inner Loop Header: Depth=1
	scratch_load_b128 v[48:51], v9, off offset:-8
	ds_load_b128 v[52:55], v8
	v_add_nc_u32_e32 v7, 1, v7
	v_add_nc_u32_e32 v8, 16, v8
	v_add_nc_u32_e32 v9, 16, v9
	s_delay_alu instid0(VALU_DEP_3)
	v_cmp_lt_u32_e32 vcc_lo, 2, v7
	s_wait_alu 0xfffe
	s_or_b32 s3, vcc_lo, s3
	s_wait_loadcnt_dscnt 0x0
	v_mul_f64_e32 v[10:11], v[54:55], v[50:51]
	v_mul_f64_e32 v[50:51], v[52:53], v[50:51]
	s_delay_alu instid0(VALU_DEP_2) | instskip(NEXT) | instid1(VALU_DEP_2)
	v_fma_f64 v[10:11], v[52:53], v[48:49], -v[10:11]
	v_fma_f64 v[48:49], v[54:55], v[48:49], v[50:51]
	s_delay_alu instid0(VALU_DEP_2) | instskip(NEXT) | instid1(VALU_DEP_2)
	v_add_f64_e32 v[3:4], v[3:4], v[10:11]
	v_add_f64_e32 v[1:2], v[1:2], v[48:49]
	s_wait_alu 0xfffe
	s_and_not1_b32 exec_lo, exec_lo, s3
	s_cbranch_execnz .LBB15_29
; %bb.30:
	s_or_b32 exec_lo, exec_lo, s3
	v_mov_b32_e32 v7, 0
	ds_load_b128 v[7:10], v7 offset:64
	s_wait_dscnt 0x0
	v_mul_f64_e32 v[11:12], v[1:2], v[9:10]
	v_mul_f64_e32 v[48:49], v[3:4], v[9:10]
	s_delay_alu instid0(VALU_DEP_2) | instskip(NEXT) | instid1(VALU_DEP_2)
	v_fma_f64 v[9:10], v[3:4], v[7:8], -v[11:12]
	v_fma_f64 v[11:12], v[1:2], v[7:8], v[48:49]
	scratch_store_b128 off, v[9:12], off offset:64
.LBB15_31:
	s_wait_alu 0xfffe
	s_or_b32 exec_lo, exec_lo, s2
	s_wait_loadcnt 0x0
	s_wait_storecnt 0x0
	s_barrier_signal -1
	s_barrier_wait -1
	global_inv scope:SCOPE_SE
	scratch_load_b128 v[1:4], off, s8
	;; [unrolled: 58-line block ×12, first 2 shown]
	s_mov_b32 s2, exec_lo
	s_wait_loadcnt 0x0
	ds_store_b128 v5, v[1:4]
	s_wait_dscnt 0x0
	s_barrier_signal -1
	s_barrier_wait -1
	global_inv scope:SCOPE_SE
	v_cmpx_ne_u32_e32 15, v45
	s_cbranch_execz .LBB15_75
; %bb.72:
	v_mov_b32_e32 v1, 0
	v_dual_mov_b32 v2, 0 :: v_dual_mov_b32 v3, 0
	v_mov_b32_e32 v4, 0
	v_or_b32_e32 v7, 8, v47
	s_mov_b32 s3, 0
.LBB15_73:                              ; =>This Inner Loop Header: Depth=1
	scratch_load_b128 v[8:11], v7, off offset:-8
	ds_load_b128 v[46:49], v5
	v_add_nc_u32_e32 v6, 1, v6
	v_add_nc_u32_e32 v5, 16, v5
	;; [unrolled: 1-line block ×3, first 2 shown]
	s_delay_alu instid0(VALU_DEP_3)
	v_cmp_lt_u32_e32 vcc_lo, 13, v6
	s_wait_alu 0xfffe
	s_or_b32 s3, vcc_lo, s3
	s_wait_loadcnt_dscnt 0x0
	v_mul_f64_e32 v[50:51], v[48:49], v[10:11]
	v_mul_f64_e32 v[10:11], v[46:47], v[10:11]
	s_delay_alu instid0(VALU_DEP_2) | instskip(NEXT) | instid1(VALU_DEP_2)
	v_fma_f64 v[46:47], v[46:47], v[8:9], -v[50:51]
	v_fma_f64 v[8:9], v[48:49], v[8:9], v[10:11]
	s_delay_alu instid0(VALU_DEP_2) | instskip(NEXT) | instid1(VALU_DEP_2)
	v_add_f64_e32 v[3:4], v[3:4], v[46:47]
	v_add_f64_e32 v[1:2], v[1:2], v[8:9]
	s_wait_alu 0xfffe
	s_and_not1_b32 exec_lo, exec_lo, s3
	s_cbranch_execnz .LBB15_73
; %bb.74:
	s_or_b32 exec_lo, exec_lo, s3
	v_mov_b32_e32 v5, 0
	ds_load_b128 v[5:8], v5 offset:240
	s_wait_dscnt 0x0
	v_mul_f64_e32 v[9:10], v[1:2], v[7:8]
	v_mul_f64_e32 v[7:8], v[3:4], v[7:8]
	s_delay_alu instid0(VALU_DEP_2) | instskip(NEXT) | instid1(VALU_DEP_2)
	v_fma_f64 v[3:4], v[3:4], v[5:6], -v[9:10]
	v_fma_f64 v[5:6], v[1:2], v[5:6], v[7:8]
	scratch_store_b128 off, v[3:6], off offset:240
.LBB15_75:
	s_wait_alu 0xfffe
	s_or_b32 exec_lo, exec_lo, s2
	s_mov_b32 s3, -1
	s_wait_loadcnt 0x0
	s_wait_storecnt 0x0
	s_barrier_signal -1
	s_barrier_wait -1
	global_inv scope:SCOPE_SE
.LBB15_76:
	s_wait_alu 0xfffe
	s_and_b32 vcc_lo, exec_lo, s3
	s_wait_alu 0xfffe
	s_cbranch_vccz .LBB15_78
; %bb.77:
	v_mov_b32_e32 v1, 0
	s_lshl_b64 s[2:3], s[18:19], 2
	s_wait_alu 0xfffe
	s_add_nc_u64 s[2:3], s[6:7], s[2:3]
	global_load_b32 v1, v1, s[2:3]
	s_wait_loadcnt 0x0
	v_cmp_ne_u32_e32 vcc_lo, 0, v1
	s_cbranch_vccz .LBB15_79
.LBB15_78:
	s_nop 0
	s_sendmsg sendmsg(MSG_DEALLOC_VGPRS)
	s_endpgm
.LBB15_79:
	v_lshl_add_u32 v5, v45, 4, 0x100
	s_mov_b32 s2, exec_lo
	v_cmpx_eq_u32_e32 15, v45
	s_cbranch_execz .LBB15_81
; %bb.80:
	scratch_load_b128 v[1:4], off, s25
	v_mov_b32_e32 v6, 0
	s_delay_alu instid0(VALU_DEP_1)
	v_dual_mov_b32 v7, v6 :: v_dual_mov_b32 v8, v6
	v_mov_b32_e32 v9, v6
	scratch_store_b128 off, v[6:9], off offset:224
	s_wait_loadcnt 0x0
	ds_store_b128 v5, v[1:4]
.LBB15_81:
	s_wait_alu 0xfffe
	s_or_b32 exec_lo, exec_lo, s2
	s_wait_storecnt_dscnt 0x0
	s_barrier_signal -1
	s_barrier_wait -1
	global_inv scope:SCOPE_SE
	s_clause 0x1
	scratch_load_b128 v[6:9], off, off offset:240
	scratch_load_b128 v[46:49], off, off offset:224
	v_mov_b32_e32 v1, 0
	s_mov_b32 s2, exec_lo
	ds_load_b128 v[50:53], v1 offset:496
	s_wait_loadcnt_dscnt 0x100
	v_mul_f64_e32 v[2:3], v[52:53], v[8:9]
	v_mul_f64_e32 v[8:9], v[50:51], v[8:9]
	s_delay_alu instid0(VALU_DEP_2) | instskip(NEXT) | instid1(VALU_DEP_2)
	v_fma_f64 v[2:3], v[50:51], v[6:7], -v[2:3]
	v_fma_f64 v[6:7], v[52:53], v[6:7], v[8:9]
	s_delay_alu instid0(VALU_DEP_2) | instskip(NEXT) | instid1(VALU_DEP_2)
	v_add_f64_e32 v[2:3], 0, v[2:3]
	v_add_f64_e32 v[8:9], 0, v[6:7]
	s_wait_loadcnt 0x0
	s_delay_alu instid0(VALU_DEP_2) | instskip(NEXT) | instid1(VALU_DEP_2)
	v_add_f64_e64 v[6:7], v[46:47], -v[2:3]
	v_add_f64_e64 v[8:9], v[48:49], -v[8:9]
	scratch_store_b128 off, v[6:9], off offset:224
	v_cmpx_lt_u32_e32 13, v45
	s_cbranch_execz .LBB15_83
; %bb.82:
	scratch_load_b128 v[6:9], off, s22
	v_dual_mov_b32 v2, v1 :: v_dual_mov_b32 v3, v1
	v_mov_b32_e32 v4, v1
	scratch_store_b128 off, v[1:4], off offset:208
	s_wait_loadcnt 0x0
	ds_store_b128 v5, v[6:9]
.LBB15_83:
	s_wait_alu 0xfffe
	s_or_b32 exec_lo, exec_lo, s2
	s_wait_storecnt_dscnt 0x0
	s_barrier_signal -1
	s_barrier_wait -1
	global_inv scope:SCOPE_SE
	s_clause 0x2
	scratch_load_b128 v[6:9], off, off offset:224
	scratch_load_b128 v[46:49], off, off offset:240
	scratch_load_b128 v[50:53], off, off offset:208
	ds_load_b128 v[54:57], v1 offset:480
	ds_load_b128 v[1:4], v1 offset:496
	s_mov_b32 s2, exec_lo
	s_wait_loadcnt_dscnt 0x201
	v_mul_f64_e32 v[10:11], v[56:57], v[8:9]
	v_mul_f64_e32 v[8:9], v[54:55], v[8:9]
	s_wait_loadcnt_dscnt 0x100
	v_mul_f64_e32 v[58:59], v[1:2], v[48:49]
	v_mul_f64_e32 v[48:49], v[3:4], v[48:49]
	s_delay_alu instid0(VALU_DEP_4) | instskip(NEXT) | instid1(VALU_DEP_4)
	v_fma_f64 v[10:11], v[54:55], v[6:7], -v[10:11]
	v_fma_f64 v[6:7], v[56:57], v[6:7], v[8:9]
	s_delay_alu instid0(VALU_DEP_4) | instskip(NEXT) | instid1(VALU_DEP_4)
	v_fma_f64 v[3:4], v[3:4], v[46:47], v[58:59]
	v_fma_f64 v[1:2], v[1:2], v[46:47], -v[48:49]
	s_delay_alu instid0(VALU_DEP_4) | instskip(NEXT) | instid1(VALU_DEP_4)
	v_add_f64_e32 v[8:9], 0, v[10:11]
	v_add_f64_e32 v[6:7], 0, v[6:7]
	s_delay_alu instid0(VALU_DEP_2) | instskip(NEXT) | instid1(VALU_DEP_2)
	v_add_f64_e32 v[1:2], v[8:9], v[1:2]
	v_add_f64_e32 v[3:4], v[6:7], v[3:4]
	s_wait_loadcnt 0x0
	s_delay_alu instid0(VALU_DEP_2) | instskip(NEXT) | instid1(VALU_DEP_2)
	v_add_f64_e64 v[1:2], v[50:51], -v[1:2]
	v_add_f64_e64 v[3:4], v[52:53], -v[3:4]
	scratch_store_b128 off, v[1:4], off offset:208
	v_cmpx_lt_u32_e32 12, v45
	s_cbranch_execz .LBB15_85
; %bb.84:
	scratch_load_b128 v[1:4], off, s23
	v_mov_b32_e32 v6, 0
	s_delay_alu instid0(VALU_DEP_1)
	v_dual_mov_b32 v7, v6 :: v_dual_mov_b32 v8, v6
	v_mov_b32_e32 v9, v6
	scratch_store_b128 off, v[6:9], off offset:192
	s_wait_loadcnt 0x0
	ds_store_b128 v5, v[1:4]
.LBB15_85:
	s_wait_alu 0xfffe
	s_or_b32 exec_lo, exec_lo, s2
	s_wait_storecnt_dscnt 0x0
	s_barrier_signal -1
	s_barrier_wait -1
	global_inv scope:SCOPE_SE
	s_clause 0x3
	scratch_load_b128 v[6:9], off, off offset:208
	scratch_load_b128 v[46:49], off, off offset:224
	scratch_load_b128 v[50:53], off, off offset:240
	scratch_load_b128 v[54:57], off, off offset:192
	v_mov_b32_e32 v1, 0
	ds_load_b128 v[58:61], v1 offset:464
	ds_load_b128 v[62:65], v1 offset:480
	s_mov_b32 s2, exec_lo
	s_wait_loadcnt_dscnt 0x301
	v_mul_f64_e32 v[2:3], v[60:61], v[8:9]
	v_mul_f64_e32 v[8:9], v[58:59], v[8:9]
	s_wait_loadcnt_dscnt 0x200
	v_mul_f64_e32 v[10:11], v[62:63], v[48:49]
	v_mul_f64_e32 v[48:49], v[64:65], v[48:49]
	s_delay_alu instid0(VALU_DEP_4) | instskip(NEXT) | instid1(VALU_DEP_4)
	v_fma_f64 v[2:3], v[58:59], v[6:7], -v[2:3]
	v_fma_f64 v[58:59], v[60:61], v[6:7], v[8:9]
	ds_load_b128 v[6:9], v1 offset:496
	v_fma_f64 v[10:11], v[64:65], v[46:47], v[10:11]
	v_fma_f64 v[46:47], v[62:63], v[46:47], -v[48:49]
	s_wait_loadcnt_dscnt 0x100
	v_mul_f64_e32 v[60:61], v[6:7], v[52:53]
	v_mul_f64_e32 v[52:53], v[8:9], v[52:53]
	v_add_f64_e32 v[2:3], 0, v[2:3]
	v_add_f64_e32 v[48:49], 0, v[58:59]
	s_delay_alu instid0(VALU_DEP_4) | instskip(NEXT) | instid1(VALU_DEP_4)
	v_fma_f64 v[8:9], v[8:9], v[50:51], v[60:61]
	v_fma_f64 v[6:7], v[6:7], v[50:51], -v[52:53]
	s_delay_alu instid0(VALU_DEP_4) | instskip(NEXT) | instid1(VALU_DEP_4)
	v_add_f64_e32 v[2:3], v[2:3], v[46:47]
	v_add_f64_e32 v[10:11], v[48:49], v[10:11]
	s_delay_alu instid0(VALU_DEP_2) | instskip(NEXT) | instid1(VALU_DEP_2)
	v_add_f64_e32 v[2:3], v[2:3], v[6:7]
	v_add_f64_e32 v[8:9], v[10:11], v[8:9]
	s_wait_loadcnt 0x0
	s_delay_alu instid0(VALU_DEP_2) | instskip(NEXT) | instid1(VALU_DEP_2)
	v_add_f64_e64 v[6:7], v[54:55], -v[2:3]
	v_add_f64_e64 v[8:9], v[56:57], -v[8:9]
	scratch_store_b128 off, v[6:9], off offset:192
	v_cmpx_lt_u32_e32 11, v45
	s_cbranch_execz .LBB15_87
; %bb.86:
	scratch_load_b128 v[6:9], off, s15
	v_dual_mov_b32 v2, v1 :: v_dual_mov_b32 v3, v1
	v_mov_b32_e32 v4, v1
	scratch_store_b128 off, v[1:4], off offset:176
	s_wait_loadcnt 0x0
	ds_store_b128 v5, v[6:9]
.LBB15_87:
	s_wait_alu 0xfffe
	s_or_b32 exec_lo, exec_lo, s2
	s_wait_storecnt_dscnt 0x0
	s_barrier_signal -1
	s_barrier_wait -1
	global_inv scope:SCOPE_SE
	s_clause 0x4
	scratch_load_b128 v[6:9], off, off offset:192
	scratch_load_b128 v[46:49], off, off offset:208
	;; [unrolled: 1-line block ×5, first 2 shown]
	ds_load_b128 v[62:65], v1 offset:448
	ds_load_b128 v[66:69], v1 offset:464
	s_mov_b32 s2, exec_lo
	s_wait_loadcnt_dscnt 0x401
	v_mul_f64_e32 v[2:3], v[64:65], v[8:9]
	v_mul_f64_e32 v[8:9], v[62:63], v[8:9]
	s_wait_loadcnt_dscnt 0x300
	v_mul_f64_e32 v[10:11], v[66:67], v[48:49]
	v_mul_f64_e32 v[48:49], v[68:69], v[48:49]
	s_delay_alu instid0(VALU_DEP_4) | instskip(NEXT) | instid1(VALU_DEP_4)
	v_fma_f64 v[62:63], v[62:63], v[6:7], -v[2:3]
	v_fma_f64 v[64:65], v[64:65], v[6:7], v[8:9]
	ds_load_b128 v[6:9], v1 offset:480
	ds_load_b128 v[1:4], v1 offset:496
	v_fma_f64 v[10:11], v[68:69], v[46:47], v[10:11]
	v_fma_f64 v[46:47], v[66:67], v[46:47], -v[48:49]
	s_wait_loadcnt_dscnt 0x201
	v_mul_f64_e32 v[70:71], v[6:7], v[52:53]
	v_mul_f64_e32 v[52:53], v[8:9], v[52:53]
	v_add_f64_e32 v[48:49], 0, v[62:63]
	v_add_f64_e32 v[62:63], 0, v[64:65]
	s_wait_loadcnt_dscnt 0x100
	v_mul_f64_e32 v[64:65], v[1:2], v[56:57]
	v_mul_f64_e32 v[56:57], v[3:4], v[56:57]
	v_fma_f64 v[8:9], v[8:9], v[50:51], v[70:71]
	v_fma_f64 v[6:7], v[6:7], v[50:51], -v[52:53]
	v_add_f64_e32 v[46:47], v[48:49], v[46:47]
	v_add_f64_e32 v[10:11], v[62:63], v[10:11]
	v_fma_f64 v[3:4], v[3:4], v[54:55], v[64:65]
	v_fma_f64 v[1:2], v[1:2], v[54:55], -v[56:57]
	s_delay_alu instid0(VALU_DEP_4) | instskip(NEXT) | instid1(VALU_DEP_4)
	v_add_f64_e32 v[6:7], v[46:47], v[6:7]
	v_add_f64_e32 v[8:9], v[10:11], v[8:9]
	s_delay_alu instid0(VALU_DEP_2) | instskip(NEXT) | instid1(VALU_DEP_2)
	v_add_f64_e32 v[1:2], v[6:7], v[1:2]
	v_add_f64_e32 v[3:4], v[8:9], v[3:4]
	s_wait_loadcnt 0x0
	s_delay_alu instid0(VALU_DEP_2) | instskip(NEXT) | instid1(VALU_DEP_2)
	v_add_f64_e64 v[1:2], v[58:59], -v[1:2]
	v_add_f64_e64 v[3:4], v[60:61], -v[3:4]
	scratch_store_b128 off, v[1:4], off offset:176
	v_cmpx_lt_u32_e32 10, v45
	s_cbranch_execz .LBB15_89
; %bb.88:
	scratch_load_b128 v[1:4], off, s21
	v_mov_b32_e32 v6, 0
	s_delay_alu instid0(VALU_DEP_1)
	v_dual_mov_b32 v7, v6 :: v_dual_mov_b32 v8, v6
	v_mov_b32_e32 v9, v6
	scratch_store_b128 off, v[6:9], off offset:160
	s_wait_loadcnt 0x0
	ds_store_b128 v5, v[1:4]
.LBB15_89:
	s_wait_alu 0xfffe
	s_or_b32 exec_lo, exec_lo, s2
	s_wait_storecnt_dscnt 0x0
	s_barrier_signal -1
	s_barrier_wait -1
	global_inv scope:SCOPE_SE
	s_clause 0x5
	scratch_load_b128 v[6:9], off, off offset:176
	scratch_load_b128 v[46:49], off, off offset:192
	;; [unrolled: 1-line block ×6, first 2 shown]
	v_mov_b32_e32 v1, 0
	ds_load_b128 v[66:69], v1 offset:432
	ds_load_b128 v[70:73], v1 offset:448
	s_mov_b32 s2, exec_lo
	s_wait_loadcnt_dscnt 0x501
	v_mul_f64_e32 v[2:3], v[68:69], v[8:9]
	v_mul_f64_e32 v[8:9], v[66:67], v[8:9]
	s_wait_loadcnt_dscnt 0x400
	v_mul_f64_e32 v[10:11], v[70:71], v[48:49]
	v_mul_f64_e32 v[48:49], v[72:73], v[48:49]
	s_delay_alu instid0(VALU_DEP_4) | instskip(NEXT) | instid1(VALU_DEP_4)
	v_fma_f64 v[2:3], v[66:67], v[6:7], -v[2:3]
	v_fma_f64 v[74:75], v[68:69], v[6:7], v[8:9]
	ds_load_b128 v[6:9], v1 offset:464
	ds_load_b128 v[66:69], v1 offset:480
	v_fma_f64 v[10:11], v[72:73], v[46:47], v[10:11]
	v_fma_f64 v[46:47], v[70:71], v[46:47], -v[48:49]
	s_wait_loadcnt_dscnt 0x301
	v_mul_f64_e32 v[76:77], v[6:7], v[52:53]
	v_mul_f64_e32 v[52:53], v[8:9], v[52:53]
	s_wait_loadcnt_dscnt 0x200
	v_mul_f64_e32 v[70:71], v[66:67], v[56:57]
	v_mul_f64_e32 v[56:57], v[68:69], v[56:57]
	v_add_f64_e32 v[2:3], 0, v[2:3]
	v_add_f64_e32 v[48:49], 0, v[74:75]
	v_fma_f64 v[72:73], v[8:9], v[50:51], v[76:77]
	v_fma_f64 v[50:51], v[6:7], v[50:51], -v[52:53]
	ds_load_b128 v[6:9], v1 offset:496
	v_fma_f64 v[52:53], v[68:69], v[54:55], v[70:71]
	v_fma_f64 v[54:55], v[66:67], v[54:55], -v[56:57]
	v_add_f64_e32 v[2:3], v[2:3], v[46:47]
	v_add_f64_e32 v[10:11], v[48:49], v[10:11]
	s_wait_loadcnt_dscnt 0x100
	v_mul_f64_e32 v[46:47], v[6:7], v[60:61]
	v_mul_f64_e32 v[48:49], v[8:9], v[60:61]
	s_delay_alu instid0(VALU_DEP_4) | instskip(NEXT) | instid1(VALU_DEP_4)
	v_add_f64_e32 v[2:3], v[2:3], v[50:51]
	v_add_f64_e32 v[10:11], v[10:11], v[72:73]
	s_delay_alu instid0(VALU_DEP_4) | instskip(NEXT) | instid1(VALU_DEP_4)
	v_fma_f64 v[8:9], v[8:9], v[58:59], v[46:47]
	v_fma_f64 v[6:7], v[6:7], v[58:59], -v[48:49]
	s_delay_alu instid0(VALU_DEP_4) | instskip(NEXT) | instid1(VALU_DEP_4)
	v_add_f64_e32 v[2:3], v[2:3], v[54:55]
	v_add_f64_e32 v[10:11], v[10:11], v[52:53]
	s_delay_alu instid0(VALU_DEP_2) | instskip(NEXT) | instid1(VALU_DEP_2)
	v_add_f64_e32 v[2:3], v[2:3], v[6:7]
	v_add_f64_e32 v[8:9], v[10:11], v[8:9]
	s_wait_loadcnt 0x0
	s_delay_alu instid0(VALU_DEP_2) | instskip(NEXT) | instid1(VALU_DEP_2)
	v_add_f64_e64 v[6:7], v[62:63], -v[2:3]
	v_add_f64_e64 v[8:9], v[64:65], -v[8:9]
	scratch_store_b128 off, v[6:9], off offset:160
	v_cmpx_lt_u32_e32 9, v45
	s_cbranch_execz .LBB15_91
; %bb.90:
	scratch_load_b128 v[6:9], off, s13
	v_dual_mov_b32 v2, v1 :: v_dual_mov_b32 v3, v1
	v_mov_b32_e32 v4, v1
	scratch_store_b128 off, v[1:4], off offset:144
	s_wait_loadcnt 0x0
	ds_store_b128 v5, v[6:9]
.LBB15_91:
	s_wait_alu 0xfffe
	s_or_b32 exec_lo, exec_lo, s2
	s_wait_storecnt_dscnt 0x0
	s_barrier_signal -1
	s_barrier_wait -1
	global_inv scope:SCOPE_SE
	s_clause 0x5
	scratch_load_b128 v[6:9], off, off offset:160
	scratch_load_b128 v[46:49], off, off offset:176
	;; [unrolled: 1-line block ×6, first 2 shown]
	ds_load_b128 v[66:69], v1 offset:416
	ds_load_b128 v[74:77], v1 offset:432
	scratch_load_b128 v[70:73], off, off offset:144
	s_mov_b32 s2, exec_lo
	s_wait_loadcnt_dscnt 0x601
	v_mul_f64_e32 v[2:3], v[68:69], v[8:9]
	v_mul_f64_e32 v[8:9], v[66:67], v[8:9]
	s_wait_loadcnt_dscnt 0x500
	v_mul_f64_e32 v[10:11], v[74:75], v[48:49]
	v_mul_f64_e32 v[48:49], v[76:77], v[48:49]
	s_delay_alu instid0(VALU_DEP_4) | instskip(NEXT) | instid1(VALU_DEP_4)
	v_fma_f64 v[2:3], v[66:67], v[6:7], -v[2:3]
	v_fma_f64 v[78:79], v[68:69], v[6:7], v[8:9]
	ds_load_b128 v[6:9], v1 offset:448
	ds_load_b128 v[66:69], v1 offset:464
	v_fma_f64 v[10:11], v[76:77], v[46:47], v[10:11]
	v_fma_f64 v[46:47], v[74:75], v[46:47], -v[48:49]
	s_wait_loadcnt_dscnt 0x401
	v_mul_f64_e32 v[80:81], v[6:7], v[52:53]
	v_mul_f64_e32 v[52:53], v[8:9], v[52:53]
	s_wait_loadcnt_dscnt 0x300
	v_mul_f64_e32 v[74:75], v[66:67], v[56:57]
	v_mul_f64_e32 v[56:57], v[68:69], v[56:57]
	v_add_f64_e32 v[2:3], 0, v[2:3]
	v_add_f64_e32 v[48:49], 0, v[78:79]
	v_fma_f64 v[76:77], v[8:9], v[50:51], v[80:81]
	v_fma_f64 v[50:51], v[6:7], v[50:51], -v[52:53]
	s_delay_alu instid0(VALU_DEP_4) | instskip(NEXT) | instid1(VALU_DEP_4)
	v_add_f64_e32 v[46:47], v[2:3], v[46:47]
	v_add_f64_e32 v[10:11], v[48:49], v[10:11]
	ds_load_b128 v[6:9], v1 offset:480
	ds_load_b128 v[1:4], v1 offset:496
	s_wait_loadcnt_dscnt 0x201
	v_mul_f64_e32 v[48:49], v[6:7], v[60:61]
	v_mul_f64_e32 v[52:53], v[8:9], v[60:61]
	v_fma_f64 v[60:61], v[68:69], v[54:55], v[74:75]
	v_fma_f64 v[54:55], v[66:67], v[54:55], -v[56:57]
	s_wait_loadcnt_dscnt 0x100
	v_mul_f64_e32 v[56:57], v[3:4], v[64:65]
	v_add_f64_e32 v[46:47], v[46:47], v[50:51]
	v_add_f64_e32 v[10:11], v[10:11], v[76:77]
	v_mul_f64_e32 v[50:51], v[1:2], v[64:65]
	v_fma_f64 v[8:9], v[8:9], v[58:59], v[48:49]
	v_fma_f64 v[6:7], v[6:7], v[58:59], -v[52:53]
	v_fma_f64 v[1:2], v[1:2], v[62:63], -v[56:57]
	v_add_f64_e32 v[46:47], v[46:47], v[54:55]
	v_add_f64_e32 v[10:11], v[10:11], v[60:61]
	v_fma_f64 v[3:4], v[3:4], v[62:63], v[50:51]
	s_delay_alu instid0(VALU_DEP_3) | instskip(NEXT) | instid1(VALU_DEP_3)
	v_add_f64_e32 v[6:7], v[46:47], v[6:7]
	v_add_f64_e32 v[8:9], v[10:11], v[8:9]
	s_delay_alu instid0(VALU_DEP_2) | instskip(NEXT) | instid1(VALU_DEP_2)
	v_add_f64_e32 v[1:2], v[6:7], v[1:2]
	v_add_f64_e32 v[3:4], v[8:9], v[3:4]
	s_wait_loadcnt 0x0
	s_delay_alu instid0(VALU_DEP_2) | instskip(NEXT) | instid1(VALU_DEP_2)
	v_add_f64_e64 v[1:2], v[70:71], -v[1:2]
	v_add_f64_e64 v[3:4], v[72:73], -v[3:4]
	scratch_store_b128 off, v[1:4], off offset:144
	v_cmpx_lt_u32_e32 8, v45
	s_cbranch_execz .LBB15_93
; %bb.92:
	scratch_load_b128 v[1:4], off, s14
	v_mov_b32_e32 v6, 0
	s_delay_alu instid0(VALU_DEP_1)
	v_dual_mov_b32 v7, v6 :: v_dual_mov_b32 v8, v6
	v_mov_b32_e32 v9, v6
	scratch_store_b128 off, v[6:9], off offset:128
	s_wait_loadcnt 0x0
	ds_store_b128 v5, v[1:4]
.LBB15_93:
	s_wait_alu 0xfffe
	s_or_b32 exec_lo, exec_lo, s2
	s_wait_storecnt_dscnt 0x0
	s_barrier_signal -1
	s_barrier_wait -1
	global_inv scope:SCOPE_SE
	s_clause 0x6
	scratch_load_b128 v[6:9], off, off offset:144
	scratch_load_b128 v[46:49], off, off offset:160
	;; [unrolled: 1-line block ×7, first 2 shown]
	v_mov_b32_e32 v1, 0
	scratch_load_b128 v[74:77], off, off offset:128
	s_mov_b32 s2, exec_lo
	ds_load_b128 v[70:73], v1 offset:400
	ds_load_b128 v[78:81], v1 offset:416
	s_wait_loadcnt_dscnt 0x701
	v_mul_f64_e32 v[2:3], v[72:73], v[8:9]
	v_mul_f64_e32 v[8:9], v[70:71], v[8:9]
	s_wait_loadcnt_dscnt 0x600
	v_mul_f64_e32 v[10:11], v[78:79], v[48:49]
	v_mul_f64_e32 v[48:49], v[80:81], v[48:49]
	s_delay_alu instid0(VALU_DEP_4) | instskip(NEXT) | instid1(VALU_DEP_4)
	v_fma_f64 v[2:3], v[70:71], v[6:7], -v[2:3]
	v_fma_f64 v[82:83], v[72:73], v[6:7], v[8:9]
	ds_load_b128 v[6:9], v1 offset:432
	ds_load_b128 v[70:73], v1 offset:448
	v_fma_f64 v[10:11], v[80:81], v[46:47], v[10:11]
	v_fma_f64 v[46:47], v[78:79], v[46:47], -v[48:49]
	s_wait_loadcnt_dscnt 0x501
	v_mul_f64_e32 v[84:85], v[6:7], v[52:53]
	v_mul_f64_e32 v[52:53], v[8:9], v[52:53]
	s_wait_loadcnt_dscnt 0x400
	v_mul_f64_e32 v[78:79], v[70:71], v[56:57]
	v_mul_f64_e32 v[56:57], v[72:73], v[56:57]
	v_add_f64_e32 v[2:3], 0, v[2:3]
	v_add_f64_e32 v[48:49], 0, v[82:83]
	v_fma_f64 v[80:81], v[8:9], v[50:51], v[84:85]
	v_fma_f64 v[50:51], v[6:7], v[50:51], -v[52:53]
	v_fma_f64 v[72:73], v[72:73], v[54:55], v[78:79]
	v_fma_f64 v[54:55], v[70:71], v[54:55], -v[56:57]
	v_add_f64_e32 v[2:3], v[2:3], v[46:47]
	v_add_f64_e32 v[10:11], v[48:49], v[10:11]
	ds_load_b128 v[6:9], v1 offset:464
	ds_load_b128 v[46:49], v1 offset:480
	s_wait_loadcnt_dscnt 0x301
	v_mul_f64_e32 v[52:53], v[6:7], v[60:61]
	v_mul_f64_e32 v[60:61], v[8:9], v[60:61]
	s_wait_loadcnt_dscnt 0x200
	v_mul_f64_e32 v[56:57], v[48:49], v[64:65]
	v_add_f64_e32 v[2:3], v[2:3], v[50:51]
	v_add_f64_e32 v[10:11], v[10:11], v[80:81]
	v_mul_f64_e32 v[50:51], v[46:47], v[64:65]
	v_fma_f64 v[52:53], v[8:9], v[58:59], v[52:53]
	v_fma_f64 v[58:59], v[6:7], v[58:59], -v[60:61]
	ds_load_b128 v[6:9], v1 offset:496
	v_fma_f64 v[46:47], v[46:47], v[62:63], -v[56:57]
	v_add_f64_e32 v[2:3], v[2:3], v[54:55]
	v_add_f64_e32 v[10:11], v[10:11], v[72:73]
	v_fma_f64 v[48:49], v[48:49], v[62:63], v[50:51]
	s_wait_loadcnt_dscnt 0x100
	v_mul_f64_e32 v[54:55], v[6:7], v[68:69]
	v_mul_f64_e32 v[60:61], v[8:9], v[68:69]
	v_add_f64_e32 v[2:3], v[2:3], v[58:59]
	v_add_f64_e32 v[10:11], v[10:11], v[52:53]
	s_delay_alu instid0(VALU_DEP_4) | instskip(NEXT) | instid1(VALU_DEP_4)
	v_fma_f64 v[8:9], v[8:9], v[66:67], v[54:55]
	v_fma_f64 v[6:7], v[6:7], v[66:67], -v[60:61]
	s_delay_alu instid0(VALU_DEP_4) | instskip(NEXT) | instid1(VALU_DEP_4)
	v_add_f64_e32 v[2:3], v[2:3], v[46:47]
	v_add_f64_e32 v[10:11], v[10:11], v[48:49]
	s_delay_alu instid0(VALU_DEP_2) | instskip(NEXT) | instid1(VALU_DEP_2)
	v_add_f64_e32 v[2:3], v[2:3], v[6:7]
	v_add_f64_e32 v[8:9], v[10:11], v[8:9]
	s_wait_loadcnt 0x0
	s_delay_alu instid0(VALU_DEP_2) | instskip(NEXT) | instid1(VALU_DEP_2)
	v_add_f64_e64 v[6:7], v[74:75], -v[2:3]
	v_add_f64_e64 v[8:9], v[76:77], -v[8:9]
	scratch_store_b128 off, v[6:9], off offset:128
	v_cmpx_lt_u32_e32 7, v45
	s_cbranch_execz .LBB15_95
; %bb.94:
	scratch_load_b128 v[6:9], off, s11
	v_dual_mov_b32 v2, v1 :: v_dual_mov_b32 v3, v1
	v_mov_b32_e32 v4, v1
	scratch_store_b128 off, v[1:4], off offset:112
	s_wait_loadcnt 0x0
	ds_store_b128 v5, v[6:9]
.LBB15_95:
	s_wait_alu 0xfffe
	s_or_b32 exec_lo, exec_lo, s2
	s_wait_storecnt_dscnt 0x0
	s_barrier_signal -1
	s_barrier_wait -1
	global_inv scope:SCOPE_SE
	s_clause 0x7
	scratch_load_b128 v[6:9], off, off offset:128
	scratch_load_b128 v[46:49], off, off offset:144
	;; [unrolled: 1-line block ×8, first 2 shown]
	ds_load_b128 v[74:77], v1 offset:384
	ds_load_b128 v[78:81], v1 offset:400
	scratch_load_b128 v[82:85], off, off offset:112
	s_mov_b32 s2, exec_lo
	s_wait_loadcnt_dscnt 0x801
	v_mul_f64_e32 v[2:3], v[76:77], v[8:9]
	v_mul_f64_e32 v[8:9], v[74:75], v[8:9]
	s_wait_loadcnt_dscnt 0x700
	v_mul_f64_e32 v[10:11], v[78:79], v[48:49]
	v_mul_f64_e32 v[48:49], v[80:81], v[48:49]
	s_delay_alu instid0(VALU_DEP_4) | instskip(NEXT) | instid1(VALU_DEP_4)
	v_fma_f64 v[2:3], v[74:75], v[6:7], -v[2:3]
	v_fma_f64 v[86:87], v[76:77], v[6:7], v[8:9]
	ds_load_b128 v[6:9], v1 offset:416
	ds_load_b128 v[74:77], v1 offset:432
	v_fma_f64 v[10:11], v[80:81], v[46:47], v[10:11]
	v_fma_f64 v[46:47], v[78:79], v[46:47], -v[48:49]
	s_wait_loadcnt_dscnt 0x601
	v_mul_f64_e32 v[88:89], v[6:7], v[52:53]
	v_mul_f64_e32 v[52:53], v[8:9], v[52:53]
	s_wait_loadcnt_dscnt 0x500
	v_mul_f64_e32 v[78:79], v[74:75], v[56:57]
	v_mul_f64_e32 v[56:57], v[76:77], v[56:57]
	v_add_f64_e32 v[2:3], 0, v[2:3]
	v_add_f64_e32 v[48:49], 0, v[86:87]
	v_fma_f64 v[80:81], v[8:9], v[50:51], v[88:89]
	v_fma_f64 v[50:51], v[6:7], v[50:51], -v[52:53]
	v_fma_f64 v[76:77], v[76:77], v[54:55], v[78:79]
	v_fma_f64 v[54:55], v[74:75], v[54:55], -v[56:57]
	v_add_f64_e32 v[2:3], v[2:3], v[46:47]
	v_add_f64_e32 v[10:11], v[48:49], v[10:11]
	ds_load_b128 v[6:9], v1 offset:448
	ds_load_b128 v[46:49], v1 offset:464
	s_wait_loadcnt_dscnt 0x401
	v_mul_f64_e32 v[52:53], v[6:7], v[60:61]
	v_mul_f64_e32 v[60:61], v[8:9], v[60:61]
	s_wait_loadcnt_dscnt 0x300
	v_mul_f64_e32 v[56:57], v[48:49], v[64:65]
	v_add_f64_e32 v[2:3], v[2:3], v[50:51]
	v_add_f64_e32 v[10:11], v[10:11], v[80:81]
	v_mul_f64_e32 v[50:51], v[46:47], v[64:65]
	v_fma_f64 v[52:53], v[8:9], v[58:59], v[52:53]
	v_fma_f64 v[58:59], v[6:7], v[58:59], -v[60:61]
	v_fma_f64 v[46:47], v[46:47], v[62:63], -v[56:57]
	v_add_f64_e32 v[54:55], v[2:3], v[54:55]
	v_add_f64_e32 v[10:11], v[10:11], v[76:77]
	ds_load_b128 v[6:9], v1 offset:480
	ds_load_b128 v[1:4], v1 offset:496
	v_fma_f64 v[48:49], v[48:49], v[62:63], v[50:51]
	s_wait_loadcnt_dscnt 0x201
	v_mul_f64_e32 v[60:61], v[6:7], v[68:69]
	v_mul_f64_e32 v[64:65], v[8:9], v[68:69]
	v_add_f64_e32 v[50:51], v[54:55], v[58:59]
	v_add_f64_e32 v[10:11], v[10:11], v[52:53]
	s_wait_loadcnt_dscnt 0x100
	v_mul_f64_e32 v[52:53], v[1:2], v[72:73]
	v_mul_f64_e32 v[54:55], v[3:4], v[72:73]
	v_fma_f64 v[8:9], v[8:9], v[66:67], v[60:61]
	v_fma_f64 v[6:7], v[6:7], v[66:67], -v[64:65]
	v_add_f64_e32 v[46:47], v[50:51], v[46:47]
	v_add_f64_e32 v[10:11], v[10:11], v[48:49]
	v_fma_f64 v[3:4], v[3:4], v[70:71], v[52:53]
	v_fma_f64 v[1:2], v[1:2], v[70:71], -v[54:55]
	s_delay_alu instid0(VALU_DEP_4) | instskip(NEXT) | instid1(VALU_DEP_4)
	v_add_f64_e32 v[6:7], v[46:47], v[6:7]
	v_add_f64_e32 v[8:9], v[10:11], v[8:9]
	s_delay_alu instid0(VALU_DEP_2) | instskip(NEXT) | instid1(VALU_DEP_2)
	v_add_f64_e32 v[1:2], v[6:7], v[1:2]
	v_add_f64_e32 v[3:4], v[8:9], v[3:4]
	s_wait_loadcnt 0x0
	s_delay_alu instid0(VALU_DEP_2) | instskip(NEXT) | instid1(VALU_DEP_2)
	v_add_f64_e64 v[1:2], v[82:83], -v[1:2]
	v_add_f64_e64 v[3:4], v[84:85], -v[3:4]
	scratch_store_b128 off, v[1:4], off offset:112
	v_cmpx_lt_u32_e32 6, v45
	s_cbranch_execz .LBB15_97
; %bb.96:
	scratch_load_b128 v[1:4], off, s12
	v_mov_b32_e32 v6, 0
	s_delay_alu instid0(VALU_DEP_1)
	v_dual_mov_b32 v7, v6 :: v_dual_mov_b32 v8, v6
	v_mov_b32_e32 v9, v6
	scratch_store_b128 off, v[6:9], off offset:96
	s_wait_loadcnt 0x0
	ds_store_b128 v5, v[1:4]
.LBB15_97:
	s_wait_alu 0xfffe
	s_or_b32 exec_lo, exec_lo, s2
	s_wait_storecnt_dscnt 0x0
	s_barrier_signal -1
	s_barrier_wait -1
	global_inv scope:SCOPE_SE
	s_clause 0x7
	scratch_load_b128 v[6:9], off, off offset:112
	scratch_load_b128 v[46:49], off, off offset:128
	;; [unrolled: 1-line block ×8, first 2 shown]
	v_mov_b32_e32 v1, 0
	s_mov_b32 s2, exec_lo
	ds_load_b128 v[74:77], v1 offset:368
	s_clause 0x1
	scratch_load_b128 v[78:81], off, off offset:240
	scratch_load_b128 v[82:85], off, off offset:96
	ds_load_b128 v[86:89], v1 offset:384
	s_wait_loadcnt_dscnt 0x901
	v_mul_f64_e32 v[2:3], v[76:77], v[8:9]
	v_mul_f64_e32 v[8:9], v[74:75], v[8:9]
	s_wait_loadcnt_dscnt 0x800
	v_mul_f64_e32 v[10:11], v[86:87], v[48:49]
	v_mul_f64_e32 v[48:49], v[88:89], v[48:49]
	s_delay_alu instid0(VALU_DEP_4) | instskip(NEXT) | instid1(VALU_DEP_4)
	v_fma_f64 v[2:3], v[74:75], v[6:7], -v[2:3]
	v_fma_f64 v[90:91], v[76:77], v[6:7], v[8:9]
	ds_load_b128 v[6:9], v1 offset:400
	ds_load_b128 v[74:77], v1 offset:416
	v_fma_f64 v[10:11], v[88:89], v[46:47], v[10:11]
	v_fma_f64 v[46:47], v[86:87], v[46:47], -v[48:49]
	s_wait_loadcnt_dscnt 0x701
	v_mul_f64_e32 v[92:93], v[6:7], v[52:53]
	v_mul_f64_e32 v[52:53], v[8:9], v[52:53]
	s_wait_loadcnt_dscnt 0x600
	v_mul_f64_e32 v[86:87], v[74:75], v[56:57]
	v_mul_f64_e32 v[56:57], v[76:77], v[56:57]
	v_add_f64_e32 v[2:3], 0, v[2:3]
	v_add_f64_e32 v[48:49], 0, v[90:91]
	v_fma_f64 v[88:89], v[8:9], v[50:51], v[92:93]
	v_fma_f64 v[50:51], v[6:7], v[50:51], -v[52:53]
	v_fma_f64 v[76:77], v[76:77], v[54:55], v[86:87]
	v_fma_f64 v[54:55], v[74:75], v[54:55], -v[56:57]
	v_add_f64_e32 v[2:3], v[2:3], v[46:47]
	v_add_f64_e32 v[10:11], v[48:49], v[10:11]
	ds_load_b128 v[6:9], v1 offset:432
	ds_load_b128 v[46:49], v1 offset:448
	s_wait_loadcnt_dscnt 0x501
	v_mul_f64_e32 v[52:53], v[6:7], v[60:61]
	v_mul_f64_e32 v[60:61], v[8:9], v[60:61]
	s_wait_loadcnt_dscnt 0x400
	v_mul_f64_e32 v[56:57], v[46:47], v[64:65]
	v_mul_f64_e32 v[64:65], v[48:49], v[64:65]
	v_add_f64_e32 v[2:3], v[2:3], v[50:51]
	v_add_f64_e32 v[10:11], v[10:11], v[88:89]
	v_fma_f64 v[74:75], v[8:9], v[58:59], v[52:53]
	v_fma_f64 v[58:59], v[6:7], v[58:59], -v[60:61]
	ds_load_b128 v[6:9], v1 offset:464
	ds_load_b128 v[50:53], v1 offset:480
	v_fma_f64 v[48:49], v[48:49], v[62:63], v[56:57]
	v_fma_f64 v[46:47], v[46:47], v[62:63], -v[64:65]
	v_add_f64_e32 v[2:3], v[2:3], v[54:55]
	v_add_f64_e32 v[10:11], v[10:11], v[76:77]
	s_wait_loadcnt_dscnt 0x301
	v_mul_f64_e32 v[54:55], v[6:7], v[68:69]
	v_mul_f64_e32 v[60:61], v[8:9], v[68:69]
	s_wait_loadcnt_dscnt 0x200
	v_mul_f64_e32 v[56:57], v[50:51], v[72:73]
	v_add_f64_e32 v[2:3], v[2:3], v[58:59]
	v_add_f64_e32 v[10:11], v[10:11], v[74:75]
	v_mul_f64_e32 v[58:59], v[52:53], v[72:73]
	v_fma_f64 v[54:55], v[8:9], v[66:67], v[54:55]
	v_fma_f64 v[60:61], v[6:7], v[66:67], -v[60:61]
	ds_load_b128 v[6:9], v1 offset:496
	v_fma_f64 v[52:53], v[52:53], v[70:71], v[56:57]
	v_add_f64_e32 v[2:3], v[2:3], v[46:47]
	v_add_f64_e32 v[10:11], v[10:11], v[48:49]
	s_wait_loadcnt_dscnt 0x100
	v_mul_f64_e32 v[46:47], v[6:7], v[80:81]
	v_mul_f64_e32 v[48:49], v[8:9], v[80:81]
	v_fma_f64 v[50:51], v[50:51], v[70:71], -v[58:59]
	v_add_f64_e32 v[2:3], v[2:3], v[60:61]
	v_add_f64_e32 v[10:11], v[10:11], v[54:55]
	v_fma_f64 v[8:9], v[8:9], v[78:79], v[46:47]
	v_fma_f64 v[6:7], v[6:7], v[78:79], -v[48:49]
	s_delay_alu instid0(VALU_DEP_4) | instskip(NEXT) | instid1(VALU_DEP_4)
	v_add_f64_e32 v[2:3], v[2:3], v[50:51]
	v_add_f64_e32 v[10:11], v[10:11], v[52:53]
	s_delay_alu instid0(VALU_DEP_2) | instskip(NEXT) | instid1(VALU_DEP_2)
	v_add_f64_e32 v[2:3], v[2:3], v[6:7]
	v_add_f64_e32 v[8:9], v[10:11], v[8:9]
	s_wait_loadcnt 0x0
	s_delay_alu instid0(VALU_DEP_2) | instskip(NEXT) | instid1(VALU_DEP_2)
	v_add_f64_e64 v[6:7], v[82:83], -v[2:3]
	v_add_f64_e64 v[8:9], v[84:85], -v[8:9]
	scratch_store_b128 off, v[6:9], off offset:96
	v_cmpx_lt_u32_e32 5, v45
	s_cbranch_execz .LBB15_99
; %bb.98:
	scratch_load_b128 v[6:9], off, s8
	v_dual_mov_b32 v2, v1 :: v_dual_mov_b32 v3, v1
	v_mov_b32_e32 v4, v1
	scratch_store_b128 off, v[1:4], off offset:80
	s_wait_loadcnt 0x0
	ds_store_b128 v5, v[6:9]
.LBB15_99:
	s_wait_alu 0xfffe
	s_or_b32 exec_lo, exec_lo, s2
	s_wait_storecnt_dscnt 0x0
	s_barrier_signal -1
	s_barrier_wait -1
	global_inv scope:SCOPE_SE
	s_clause 0x7
	scratch_load_b128 v[6:9], off, off offset:96
	scratch_load_b128 v[46:49], off, off offset:112
	scratch_load_b128 v[50:53], off, off offset:128
	scratch_load_b128 v[54:57], off, off offset:144
	scratch_load_b128 v[58:61], off, off offset:160
	scratch_load_b128 v[62:65], off, off offset:176
	scratch_load_b128 v[66:69], off, off offset:192
	scratch_load_b128 v[70:73], off, off offset:208
	ds_load_b128 v[74:77], v1 offset:352
	s_clause 0x1
	scratch_load_b128 v[78:81], off, off offset:224
	scratch_load_b128 v[82:85], off, off offset:240
	s_mov_b32 s2, exec_lo
	s_wait_loadcnt_dscnt 0x900
	v_mul_f64_e32 v[2:3], v[76:77], v[8:9]
	v_mul_f64_e32 v[86:87], v[74:75], v[8:9]
	ds_load_b128 v[8:11], v1 offset:368
	v_fma_f64 v[2:3], v[74:75], v[6:7], -v[2:3]
	v_fma_f64 v[6:7], v[76:77], v[6:7], v[86:87]
	ds_load_b128 v[74:77], v1 offset:384
	s_wait_loadcnt_dscnt 0x801
	v_mul_f64_e32 v[88:89], v[8:9], v[48:49]
	v_mul_f64_e32 v[48:49], v[10:11], v[48:49]
	s_wait_loadcnt_dscnt 0x700
	v_mul_f64_e32 v[86:87], v[74:75], v[52:53]
	v_mul_f64_e32 v[52:53], v[76:77], v[52:53]
	v_add_f64_e32 v[2:3], 0, v[2:3]
	v_fma_f64 v[10:11], v[10:11], v[46:47], v[88:89]
	v_fma_f64 v[46:47], v[8:9], v[46:47], -v[48:49]
	v_add_f64_e32 v[48:49], 0, v[6:7]
	ds_load_b128 v[6:9], v1 offset:400
	v_fma_f64 v[76:77], v[76:77], v[50:51], v[86:87]
	v_fma_f64 v[74:75], v[74:75], v[50:51], -v[52:53]
	scratch_load_b128 v[50:53], off, off offset:80
	v_add_f64_e32 v[2:3], v[2:3], v[46:47]
	v_add_f64_e32 v[10:11], v[48:49], v[10:11]
	ds_load_b128 v[46:49], v1 offset:416
	s_wait_loadcnt_dscnt 0x701
	v_mul_f64_e32 v[88:89], v[6:7], v[56:57]
	v_mul_f64_e32 v[56:57], v[8:9], v[56:57]
	s_wait_loadcnt_dscnt 0x600
	v_mul_f64_e32 v[86:87], v[46:47], v[60:61]
	v_mul_f64_e32 v[60:61], v[48:49], v[60:61]
	v_add_f64_e32 v[2:3], v[2:3], v[74:75]
	v_add_f64_e32 v[10:11], v[10:11], v[76:77]
	v_fma_f64 v[88:89], v[8:9], v[54:55], v[88:89]
	v_fma_f64 v[54:55], v[6:7], v[54:55], -v[56:57]
	ds_load_b128 v[6:9], v1 offset:432
	v_fma_f64 v[74:75], v[48:49], v[58:59], v[86:87]
	v_fma_f64 v[58:59], v[46:47], v[58:59], -v[60:61]
	ds_load_b128 v[46:49], v1 offset:448
	s_wait_loadcnt_dscnt 0x501
	v_mul_f64_e32 v[56:57], v[6:7], v[64:65]
	v_mul_f64_e32 v[64:65], v[8:9], v[64:65]
	v_add_f64_e32 v[10:11], v[10:11], v[88:89]
	v_add_f64_e32 v[2:3], v[2:3], v[54:55]
	s_wait_loadcnt_dscnt 0x400
	v_mul_f64_e32 v[54:55], v[46:47], v[68:69]
	v_mul_f64_e32 v[60:61], v[48:49], v[68:69]
	v_fma_f64 v[56:57], v[8:9], v[62:63], v[56:57]
	v_fma_f64 v[62:63], v[6:7], v[62:63], -v[64:65]
	ds_load_b128 v[6:9], v1 offset:464
	v_add_f64_e32 v[10:11], v[10:11], v[74:75]
	v_add_f64_e32 v[2:3], v[2:3], v[58:59]
	v_fma_f64 v[54:55], v[48:49], v[66:67], v[54:55]
	v_fma_f64 v[60:61], v[46:47], v[66:67], -v[60:61]
	ds_load_b128 v[46:49], v1 offset:480
	s_wait_loadcnt_dscnt 0x301
	v_mul_f64_e32 v[58:59], v[6:7], v[72:73]
	v_mul_f64_e32 v[64:65], v[8:9], v[72:73]
	v_add_f64_e32 v[10:11], v[10:11], v[56:57]
	v_add_f64_e32 v[2:3], v[2:3], v[62:63]
	s_wait_loadcnt_dscnt 0x200
	v_mul_f64_e32 v[56:57], v[46:47], v[80:81]
	v_mul_f64_e32 v[62:63], v[48:49], v[80:81]
	v_fma_f64 v[8:9], v[8:9], v[70:71], v[58:59]
	v_fma_f64 v[6:7], v[6:7], v[70:71], -v[64:65]
	v_add_f64_e32 v[10:11], v[10:11], v[54:55]
	v_add_f64_e32 v[58:59], v[2:3], v[60:61]
	ds_load_b128 v[1:4], v1 offset:496
	v_fma_f64 v[48:49], v[48:49], v[78:79], v[56:57]
	v_fma_f64 v[46:47], v[46:47], v[78:79], -v[62:63]
	s_wait_loadcnt_dscnt 0x100
	v_mul_f64_e32 v[54:55], v[1:2], v[84:85]
	v_mul_f64_e32 v[60:61], v[3:4], v[84:85]
	v_add_f64_e32 v[8:9], v[10:11], v[8:9]
	v_add_f64_e32 v[6:7], v[58:59], v[6:7]
	s_delay_alu instid0(VALU_DEP_4) | instskip(NEXT) | instid1(VALU_DEP_4)
	v_fma_f64 v[3:4], v[3:4], v[82:83], v[54:55]
	v_fma_f64 v[1:2], v[1:2], v[82:83], -v[60:61]
	s_delay_alu instid0(VALU_DEP_4) | instskip(NEXT) | instid1(VALU_DEP_4)
	v_add_f64_e32 v[8:9], v[8:9], v[48:49]
	v_add_f64_e32 v[6:7], v[6:7], v[46:47]
	s_delay_alu instid0(VALU_DEP_2) | instskip(NEXT) | instid1(VALU_DEP_2)
	v_add_f64_e32 v[3:4], v[8:9], v[3:4]
	v_add_f64_e32 v[1:2], v[6:7], v[1:2]
	s_wait_loadcnt 0x0
	s_delay_alu instid0(VALU_DEP_2) | instskip(NEXT) | instid1(VALU_DEP_2)
	v_add_f64_e64 v[3:4], v[52:53], -v[3:4]
	v_add_f64_e64 v[1:2], v[50:51], -v[1:2]
	scratch_store_b128 off, v[1:4], off offset:80
	v_cmpx_lt_u32_e32 4, v45
	s_cbranch_execz .LBB15_101
; %bb.100:
	scratch_load_b128 v[1:4], off, s10
	v_mov_b32_e32 v6, 0
	s_delay_alu instid0(VALU_DEP_1)
	v_dual_mov_b32 v7, v6 :: v_dual_mov_b32 v8, v6
	v_mov_b32_e32 v9, v6
	scratch_store_b128 off, v[6:9], off offset:64
	s_wait_loadcnt 0x0
	ds_store_b128 v5, v[1:4]
.LBB15_101:
	s_wait_alu 0xfffe
	s_or_b32 exec_lo, exec_lo, s2
	s_wait_storecnt_dscnt 0x0
	s_barrier_signal -1
	s_barrier_wait -1
	global_inv scope:SCOPE_SE
	s_clause 0x7
	scratch_load_b128 v[6:9], off, off offset:80
	scratch_load_b128 v[46:49], off, off offset:96
	;; [unrolled: 1-line block ×8, first 2 shown]
	v_mov_b32_e32 v1, 0
	s_clause 0x1
	scratch_load_b128 v[78:81], off, off offset:208
	scratch_load_b128 v[82:85], off, off offset:224
	s_mov_b32 s2, exec_lo
	ds_load_b128 v[74:77], v1 offset:336
	s_wait_loadcnt_dscnt 0x900
	v_mul_f64_e32 v[2:3], v[76:77], v[8:9]
	v_mul_f64_e32 v[86:87], v[74:75], v[8:9]
	ds_load_b128 v[8:11], v1 offset:352
	v_fma_f64 v[2:3], v[74:75], v[6:7], -v[2:3]
	v_fma_f64 v[6:7], v[76:77], v[6:7], v[86:87]
	ds_load_b128 v[74:77], v1 offset:368
	s_wait_loadcnt_dscnt 0x801
	v_mul_f64_e32 v[90:91], v[8:9], v[48:49]
	v_mul_f64_e32 v[48:49], v[10:11], v[48:49]
	scratch_load_b128 v[86:89], off, off offset:240
	s_wait_loadcnt_dscnt 0x800
	v_mul_f64_e32 v[92:93], v[74:75], v[52:53]
	v_mul_f64_e32 v[52:53], v[76:77], v[52:53]
	v_add_f64_e32 v[2:3], 0, v[2:3]
	v_fma_f64 v[10:11], v[10:11], v[46:47], v[90:91]
	v_fma_f64 v[46:47], v[8:9], v[46:47], -v[48:49]
	v_add_f64_e32 v[48:49], 0, v[6:7]
	ds_load_b128 v[6:9], v1 offset:384
	v_fma_f64 v[76:77], v[76:77], v[50:51], v[92:93]
	v_fma_f64 v[50:51], v[74:75], v[50:51], -v[52:53]
	v_add_f64_e32 v[2:3], v[2:3], v[46:47]
	v_add_f64_e32 v[10:11], v[48:49], v[10:11]
	ds_load_b128 v[46:49], v1 offset:400
	s_wait_loadcnt_dscnt 0x701
	v_mul_f64_e32 v[90:91], v[6:7], v[56:57]
	v_mul_f64_e32 v[56:57], v[8:9], v[56:57]
	s_wait_loadcnt_dscnt 0x600
	v_mul_f64_e32 v[74:75], v[46:47], v[60:61]
	v_mul_f64_e32 v[60:61], v[48:49], v[60:61]
	v_add_f64_e32 v[2:3], v[2:3], v[50:51]
	v_add_f64_e32 v[10:11], v[10:11], v[76:77]
	scratch_load_b128 v[50:53], off, off offset:64
	v_fma_f64 v[90:91], v[8:9], v[54:55], v[90:91]
	v_fma_f64 v[54:55], v[6:7], v[54:55], -v[56:57]
	ds_load_b128 v[6:9], v1 offset:416
	v_fma_f64 v[74:75], v[48:49], v[58:59], v[74:75]
	v_fma_f64 v[58:59], v[46:47], v[58:59], -v[60:61]
	ds_load_b128 v[46:49], v1 offset:432
	s_wait_loadcnt_dscnt 0x601
	v_mul_f64_e32 v[56:57], v[6:7], v[64:65]
	v_mul_f64_e32 v[64:65], v[8:9], v[64:65]
	v_add_f64_e32 v[10:11], v[10:11], v[90:91]
	v_add_f64_e32 v[2:3], v[2:3], v[54:55]
	s_wait_loadcnt_dscnt 0x500
	v_mul_f64_e32 v[54:55], v[46:47], v[68:69]
	v_mul_f64_e32 v[60:61], v[48:49], v[68:69]
	v_fma_f64 v[56:57], v[8:9], v[62:63], v[56:57]
	v_fma_f64 v[62:63], v[6:7], v[62:63], -v[64:65]
	ds_load_b128 v[6:9], v1 offset:448
	v_add_f64_e32 v[10:11], v[10:11], v[74:75]
	v_add_f64_e32 v[2:3], v[2:3], v[58:59]
	v_fma_f64 v[54:55], v[48:49], v[66:67], v[54:55]
	v_fma_f64 v[60:61], v[46:47], v[66:67], -v[60:61]
	ds_load_b128 v[46:49], v1 offset:464
	s_wait_loadcnt_dscnt 0x401
	v_mul_f64_e32 v[58:59], v[6:7], v[72:73]
	v_mul_f64_e32 v[64:65], v[8:9], v[72:73]
	v_add_f64_e32 v[10:11], v[10:11], v[56:57]
	v_add_f64_e32 v[2:3], v[2:3], v[62:63]
	s_wait_loadcnt_dscnt 0x300
	v_mul_f64_e32 v[56:57], v[46:47], v[80:81]
	v_mul_f64_e32 v[62:63], v[48:49], v[80:81]
	v_fma_f64 v[58:59], v[8:9], v[70:71], v[58:59]
	v_fma_f64 v[64:65], v[6:7], v[70:71], -v[64:65]
	ds_load_b128 v[6:9], v1 offset:480
	v_add_f64_e32 v[10:11], v[10:11], v[54:55]
	v_add_f64_e32 v[2:3], v[2:3], v[60:61]
	v_fma_f64 v[56:57], v[48:49], v[78:79], v[56:57]
	v_fma_f64 v[62:63], v[46:47], v[78:79], -v[62:63]
	ds_load_b128 v[46:49], v1 offset:496
	s_wait_loadcnt_dscnt 0x201
	v_mul_f64_e32 v[54:55], v[6:7], v[84:85]
	v_mul_f64_e32 v[60:61], v[8:9], v[84:85]
	v_add_f64_e32 v[10:11], v[10:11], v[58:59]
	v_add_f64_e32 v[2:3], v[2:3], v[64:65]
	s_delay_alu instid0(VALU_DEP_4) | instskip(NEXT) | instid1(VALU_DEP_4)
	v_fma_f64 v[8:9], v[8:9], v[82:83], v[54:55]
	v_fma_f64 v[6:7], v[6:7], v[82:83], -v[60:61]
	s_wait_loadcnt_dscnt 0x100
	v_mul_f64_e32 v[58:59], v[46:47], v[88:89]
	v_mul_f64_e32 v[64:65], v[48:49], v[88:89]
	v_add_f64_e32 v[10:11], v[10:11], v[56:57]
	v_add_f64_e32 v[2:3], v[2:3], v[62:63]
	s_delay_alu instid0(VALU_DEP_4) | instskip(NEXT) | instid1(VALU_DEP_4)
	v_fma_f64 v[48:49], v[48:49], v[86:87], v[58:59]
	v_fma_f64 v[46:47], v[46:47], v[86:87], -v[64:65]
	s_delay_alu instid0(VALU_DEP_3) | instskip(SKIP_1) | instid1(VALU_DEP_2)
	v_add_f64_e32 v[2:3], v[2:3], v[6:7]
	v_add_f64_e32 v[6:7], v[10:11], v[8:9]
	;; [unrolled: 1-line block ×3, first 2 shown]
	s_delay_alu instid0(VALU_DEP_2) | instskip(SKIP_1) | instid1(VALU_DEP_2)
	v_add_f64_e32 v[8:9], v[6:7], v[48:49]
	s_wait_loadcnt 0x0
	v_add_f64_e64 v[6:7], v[50:51], -v[2:3]
	s_delay_alu instid0(VALU_DEP_2)
	v_add_f64_e64 v[8:9], v[52:53], -v[8:9]
	scratch_store_b128 off, v[6:9], off offset:64
	v_cmpx_lt_u32_e32 3, v45
	s_cbranch_execz .LBB15_103
; %bb.102:
	scratch_load_b128 v[6:9], off, s4
	v_dual_mov_b32 v2, v1 :: v_dual_mov_b32 v3, v1
	v_mov_b32_e32 v4, v1
	scratch_store_b128 off, v[1:4], off offset:48
	s_wait_loadcnt 0x0
	ds_store_b128 v5, v[6:9]
.LBB15_103:
	s_wait_alu 0xfffe
	s_or_b32 exec_lo, exec_lo, s2
	s_wait_storecnt_dscnt 0x0
	s_barrier_signal -1
	s_barrier_wait -1
	global_inv scope:SCOPE_SE
	s_clause 0x7
	scratch_load_b128 v[6:9], off, off offset:64
	scratch_load_b128 v[46:49], off, off offset:80
	;; [unrolled: 1-line block ×8, first 2 shown]
	ds_load_b128 v[74:77], v1 offset:320
	s_clause 0x1
	scratch_load_b128 v[78:81], off, off offset:192
	scratch_load_b128 v[82:85], off, off offset:208
	s_mov_b32 s2, exec_lo
	s_wait_loadcnt_dscnt 0x900
	v_mul_f64_e32 v[2:3], v[76:77], v[8:9]
	v_mul_f64_e32 v[86:87], v[74:75], v[8:9]
	ds_load_b128 v[8:11], v1 offset:336
	v_fma_f64 v[2:3], v[74:75], v[6:7], -v[2:3]
	v_fma_f64 v[6:7], v[76:77], v[6:7], v[86:87]
	ds_load_b128 v[74:77], v1 offset:352
	s_wait_loadcnt_dscnt 0x801
	v_mul_f64_e32 v[90:91], v[8:9], v[48:49]
	v_mul_f64_e32 v[48:49], v[10:11], v[48:49]
	scratch_load_b128 v[86:89], off, off offset:224
	s_wait_loadcnt_dscnt 0x800
	v_mul_f64_e32 v[92:93], v[74:75], v[52:53]
	v_mul_f64_e32 v[52:53], v[76:77], v[52:53]
	v_add_f64_e32 v[2:3], 0, v[2:3]
	v_add_f64_e32 v[94:95], 0, v[6:7]
	v_fma_f64 v[10:11], v[10:11], v[46:47], v[90:91]
	v_fma_f64 v[90:91], v[8:9], v[46:47], -v[48:49]
	ds_load_b128 v[6:9], v1 offset:368
	scratch_load_b128 v[46:49], off, off offset:240
	v_fma_f64 v[76:77], v[76:77], v[50:51], v[92:93]
	v_fma_f64 v[74:75], v[74:75], v[50:51], -v[52:53]
	ds_load_b128 v[50:53], v1 offset:384
	s_wait_loadcnt_dscnt 0x801
	v_mul_f64_e32 v[96:97], v[6:7], v[56:57]
	v_mul_f64_e32 v[56:57], v[8:9], v[56:57]
	v_add_f64_e32 v[10:11], v[94:95], v[10:11]
	v_add_f64_e32 v[2:3], v[2:3], v[90:91]
	s_wait_loadcnt_dscnt 0x700
	v_mul_f64_e32 v[90:91], v[50:51], v[60:61]
	v_mul_f64_e32 v[60:61], v[52:53], v[60:61]
	v_fma_f64 v[92:93], v[8:9], v[54:55], v[96:97]
	v_fma_f64 v[54:55], v[6:7], v[54:55], -v[56:57]
	ds_load_b128 v[6:9], v1 offset:400
	v_add_f64_e32 v[10:11], v[10:11], v[76:77]
	v_add_f64_e32 v[2:3], v[2:3], v[74:75]
	v_fma_f64 v[76:77], v[52:53], v[58:59], v[90:91]
	v_fma_f64 v[58:59], v[50:51], v[58:59], -v[60:61]
	ds_load_b128 v[50:53], v1 offset:416
	s_wait_loadcnt_dscnt 0x601
	v_mul_f64_e32 v[74:75], v[6:7], v[64:65]
	v_mul_f64_e32 v[64:65], v[8:9], v[64:65]
	s_wait_loadcnt_dscnt 0x500
	v_mul_f64_e32 v[60:61], v[50:51], v[68:69]
	v_mul_f64_e32 v[68:69], v[52:53], v[68:69]
	v_add_f64_e32 v[10:11], v[10:11], v[92:93]
	v_add_f64_e32 v[2:3], v[2:3], v[54:55]
	scratch_load_b128 v[54:57], off, off offset:48
	v_fma_f64 v[74:75], v[8:9], v[62:63], v[74:75]
	v_fma_f64 v[62:63], v[6:7], v[62:63], -v[64:65]
	ds_load_b128 v[6:9], v1 offset:432
	v_fma_f64 v[60:61], v[52:53], v[66:67], v[60:61]
	v_fma_f64 v[66:67], v[50:51], v[66:67], -v[68:69]
	ds_load_b128 v[50:53], v1 offset:448
	s_wait_loadcnt_dscnt 0x501
	v_mul_f64_e32 v[64:65], v[8:9], v[72:73]
	v_add_f64_e32 v[10:11], v[10:11], v[76:77]
	v_add_f64_e32 v[2:3], v[2:3], v[58:59]
	v_mul_f64_e32 v[58:59], v[6:7], v[72:73]
	s_wait_loadcnt_dscnt 0x400
	v_mul_f64_e32 v[68:69], v[52:53], v[80:81]
	v_fma_f64 v[64:65], v[6:7], v[70:71], -v[64:65]
	v_add_f64_e32 v[10:11], v[10:11], v[74:75]
	v_add_f64_e32 v[2:3], v[2:3], v[62:63]
	v_mul_f64_e32 v[62:63], v[50:51], v[80:81]
	v_fma_f64 v[58:59], v[8:9], v[70:71], v[58:59]
	ds_load_b128 v[6:9], v1 offset:464
	v_fma_f64 v[68:69], v[50:51], v[78:79], -v[68:69]
	v_add_f64_e32 v[10:11], v[10:11], v[60:61]
	v_add_f64_e32 v[2:3], v[2:3], v[66:67]
	v_fma_f64 v[62:63], v[52:53], v[78:79], v[62:63]
	ds_load_b128 v[50:53], v1 offset:480
	s_wait_loadcnt_dscnt 0x301
	v_mul_f64_e32 v[60:61], v[6:7], v[84:85]
	v_mul_f64_e32 v[66:67], v[8:9], v[84:85]
	v_add_f64_e32 v[10:11], v[10:11], v[58:59]
	v_add_f64_e32 v[2:3], v[2:3], v[64:65]
	s_delay_alu instid0(VALU_DEP_4) | instskip(NEXT) | instid1(VALU_DEP_4)
	v_fma_f64 v[8:9], v[8:9], v[82:83], v[60:61]
	v_fma_f64 v[6:7], v[6:7], v[82:83], -v[66:67]
	s_wait_loadcnt_dscnt 0x200
	v_mul_f64_e32 v[58:59], v[50:51], v[88:89]
	v_mul_f64_e32 v[64:65], v[52:53], v[88:89]
	v_add_f64_e32 v[10:11], v[10:11], v[62:63]
	v_add_f64_e32 v[60:61], v[2:3], v[68:69]
	ds_load_b128 v[1:4], v1 offset:496
	v_fma_f64 v[52:53], v[52:53], v[86:87], v[58:59]
	v_fma_f64 v[50:51], v[50:51], v[86:87], -v[64:65]
	s_wait_loadcnt_dscnt 0x100
	v_mul_f64_e32 v[62:63], v[1:2], v[48:49]
	v_mul_f64_e32 v[48:49], v[3:4], v[48:49]
	v_add_f64_e32 v[8:9], v[10:11], v[8:9]
	v_add_f64_e32 v[6:7], v[60:61], v[6:7]
	s_delay_alu instid0(VALU_DEP_4) | instskip(NEXT) | instid1(VALU_DEP_4)
	v_fma_f64 v[3:4], v[3:4], v[46:47], v[62:63]
	v_fma_f64 v[1:2], v[1:2], v[46:47], -v[48:49]
	s_delay_alu instid0(VALU_DEP_4) | instskip(NEXT) | instid1(VALU_DEP_4)
	v_add_f64_e32 v[8:9], v[8:9], v[52:53]
	v_add_f64_e32 v[6:7], v[6:7], v[50:51]
	s_delay_alu instid0(VALU_DEP_2) | instskip(NEXT) | instid1(VALU_DEP_2)
	v_add_f64_e32 v[3:4], v[8:9], v[3:4]
	v_add_f64_e32 v[1:2], v[6:7], v[1:2]
	s_wait_loadcnt 0x0
	s_delay_alu instid0(VALU_DEP_2) | instskip(NEXT) | instid1(VALU_DEP_2)
	v_add_f64_e64 v[3:4], v[56:57], -v[3:4]
	v_add_f64_e64 v[1:2], v[54:55], -v[1:2]
	scratch_store_b128 off, v[1:4], off offset:48
	v_cmpx_lt_u32_e32 2, v45
	s_cbranch_execz .LBB15_105
; %bb.104:
	scratch_load_b128 v[1:4], off, s5
	v_mov_b32_e32 v6, 0
	s_delay_alu instid0(VALU_DEP_1)
	v_dual_mov_b32 v7, v6 :: v_dual_mov_b32 v8, v6
	v_mov_b32_e32 v9, v6
	scratch_store_b128 off, v[6:9], off offset:32
	s_wait_loadcnt 0x0
	ds_store_b128 v5, v[1:4]
.LBB15_105:
	s_wait_alu 0xfffe
	s_or_b32 exec_lo, exec_lo, s2
	s_wait_storecnt_dscnt 0x0
	s_barrier_signal -1
	s_barrier_wait -1
	global_inv scope:SCOPE_SE
	s_clause 0x7
	scratch_load_b128 v[6:9], off, off offset:48
	scratch_load_b128 v[46:49], off, off offset:64
	;; [unrolled: 1-line block ×8, first 2 shown]
	v_mov_b32_e32 v1, 0
	s_mov_b32 s2, exec_lo
	ds_load_b128 v[74:77], v1 offset:304
	s_clause 0x1
	scratch_load_b128 v[78:81], off, off offset:176
	scratch_load_b128 v[82:85], off, off offset:32
	ds_load_b128 v[86:89], v1 offset:320
	ds_load_b128 v[94:97], v1 offset:352
	s_wait_loadcnt_dscnt 0x902
	v_mul_f64_e32 v[2:3], v[76:77], v[8:9]
	v_mul_f64_e32 v[90:91], v[74:75], v[8:9]
	scratch_load_b128 v[8:11], off, off offset:192
	v_fma_f64 v[2:3], v[74:75], v[6:7], -v[2:3]
	v_fma_f64 v[6:7], v[76:77], v[6:7], v[90:91]
	ds_load_b128 v[74:77], v1 offset:336
	s_wait_loadcnt_dscnt 0x902
	v_mul_f64_e32 v[98:99], v[86:87], v[48:49]
	v_mul_f64_e32 v[48:49], v[88:89], v[48:49]
	scratch_load_b128 v[90:93], off, off offset:208
	s_wait_loadcnt_dscnt 0x900
	v_mul_f64_e32 v[100:101], v[74:75], v[52:53]
	v_mul_f64_e32 v[52:53], v[76:77], v[52:53]
	v_add_f64_e32 v[2:3], 0, v[2:3]
	v_add_f64_e32 v[6:7], 0, v[6:7]
	v_fma_f64 v[88:89], v[88:89], v[46:47], v[98:99]
	v_fma_f64 v[86:87], v[86:87], v[46:47], -v[48:49]
	scratch_load_b128 v[46:49], off, off offset:224
	v_fma_f64 v[100:101], v[76:77], v[50:51], v[100:101]
	v_fma_f64 v[102:103], v[74:75], v[50:51], -v[52:53]
	ds_load_b128 v[50:53], v1 offset:368
	s_wait_loadcnt 0x9
	v_mul_f64_e32 v[98:99], v[94:95], v[56:57]
	v_mul_f64_e32 v[56:57], v[96:97], v[56:57]
	scratch_load_b128 v[74:77], off, off offset:240
	v_add_f64_e32 v[6:7], v[6:7], v[88:89]
	v_add_f64_e32 v[2:3], v[2:3], v[86:87]
	ds_load_b128 v[86:89], v1 offset:384
	s_wait_loadcnt_dscnt 0x901
	v_mul_f64_e32 v[104:105], v[50:51], v[60:61]
	v_mul_f64_e32 v[60:61], v[52:53], v[60:61]
	v_fma_f64 v[96:97], v[96:97], v[54:55], v[98:99]
	v_fma_f64 v[54:55], v[94:95], v[54:55], -v[56:57]
	s_wait_loadcnt_dscnt 0x800
	v_mul_f64_e32 v[94:95], v[86:87], v[64:65]
	v_mul_f64_e32 v[64:65], v[88:89], v[64:65]
	v_add_f64_e32 v[6:7], v[6:7], v[100:101]
	v_add_f64_e32 v[2:3], v[2:3], v[102:103]
	v_fma_f64 v[98:99], v[52:53], v[58:59], v[104:105]
	v_fma_f64 v[58:59], v[50:51], v[58:59], -v[60:61]
	v_fma_f64 v[88:89], v[88:89], v[62:63], v[94:95]
	v_fma_f64 v[62:63], v[86:87], v[62:63], -v[64:65]
	v_add_f64_e32 v[6:7], v[6:7], v[96:97]
	v_add_f64_e32 v[2:3], v[2:3], v[54:55]
	ds_load_b128 v[50:53], v1 offset:400
	ds_load_b128 v[54:57], v1 offset:416
	s_wait_loadcnt_dscnt 0x701
	v_mul_f64_e32 v[60:61], v[50:51], v[68:69]
	v_mul_f64_e32 v[68:69], v[52:53], v[68:69]
	s_wait_loadcnt_dscnt 0x600
	v_mul_f64_e32 v[64:65], v[54:55], v[72:73]
	v_mul_f64_e32 v[72:73], v[56:57], v[72:73]
	v_add_f64_e32 v[6:7], v[6:7], v[98:99]
	v_add_f64_e32 v[2:3], v[2:3], v[58:59]
	v_fma_f64 v[86:87], v[52:53], v[66:67], v[60:61]
	v_fma_f64 v[66:67], v[50:51], v[66:67], -v[68:69]
	ds_load_b128 v[50:53], v1 offset:432
	ds_load_b128 v[58:61], v1 offset:448
	v_fma_f64 v[56:57], v[56:57], v[70:71], v[64:65]
	v_fma_f64 v[54:55], v[54:55], v[70:71], -v[72:73]
	v_add_f64_e32 v[6:7], v[6:7], v[88:89]
	v_add_f64_e32 v[2:3], v[2:3], v[62:63]
	s_wait_loadcnt_dscnt 0x501
	v_mul_f64_e32 v[62:63], v[50:51], v[80:81]
	v_mul_f64_e32 v[68:69], v[52:53], v[80:81]
	s_delay_alu instid0(VALU_DEP_4) | instskip(NEXT) | instid1(VALU_DEP_4)
	v_add_f64_e32 v[6:7], v[6:7], v[86:87]
	v_add_f64_e32 v[2:3], v[2:3], v[66:67]
	s_delay_alu instid0(VALU_DEP_4) | instskip(NEXT) | instid1(VALU_DEP_4)
	v_fma_f64 v[62:63], v[52:53], v[78:79], v[62:63]
	v_fma_f64 v[66:67], v[50:51], v[78:79], -v[68:69]
	s_wait_loadcnt_dscnt 0x300
	v_mul_f64_e32 v[64:65], v[58:59], v[10:11]
	v_mul_f64_e32 v[10:11], v[60:61], v[10:11]
	v_add_f64_e32 v[6:7], v[6:7], v[56:57]
	v_add_f64_e32 v[2:3], v[2:3], v[54:55]
	ds_load_b128 v[50:53], v1 offset:464
	ds_load_b128 v[54:57], v1 offset:480
	v_fma_f64 v[60:61], v[60:61], v[8:9], v[64:65]
	v_fma_f64 v[8:9], v[58:59], v[8:9], -v[10:11]
	s_wait_loadcnt_dscnt 0x201
	v_mul_f64_e32 v[68:69], v[50:51], v[92:93]
	v_mul_f64_e32 v[70:71], v[52:53], v[92:93]
	v_add_f64_e32 v[6:7], v[6:7], v[62:63]
	v_add_f64_e32 v[2:3], v[2:3], v[66:67]
	s_wait_loadcnt_dscnt 0x100
	v_mul_f64_e32 v[10:11], v[54:55], v[48:49]
	v_mul_f64_e32 v[48:49], v[56:57], v[48:49]
	v_fma_f64 v[52:53], v[52:53], v[90:91], v[68:69]
	v_fma_f64 v[50:51], v[50:51], v[90:91], -v[70:71]
	v_add_f64_e32 v[58:59], v[6:7], v[60:61]
	v_add_f64_e32 v[2:3], v[2:3], v[8:9]
	ds_load_b128 v[6:9], v1 offset:496
	v_fma_f64 v[10:11], v[56:57], v[46:47], v[10:11]
	v_fma_f64 v[46:47], v[54:55], v[46:47], -v[48:49]
	s_wait_loadcnt_dscnt 0x0
	v_mul_f64_e32 v[60:61], v[6:7], v[76:77]
	v_mul_f64_e32 v[62:63], v[8:9], v[76:77]
	v_add_f64_e32 v[48:49], v[58:59], v[52:53]
	v_add_f64_e32 v[2:3], v[2:3], v[50:51]
	s_delay_alu instid0(VALU_DEP_4) | instskip(NEXT) | instid1(VALU_DEP_4)
	v_fma_f64 v[8:9], v[8:9], v[74:75], v[60:61]
	v_fma_f64 v[6:7], v[6:7], v[74:75], -v[62:63]
	s_delay_alu instid0(VALU_DEP_4) | instskip(NEXT) | instid1(VALU_DEP_4)
	v_add_f64_e32 v[10:11], v[48:49], v[10:11]
	v_add_f64_e32 v[2:3], v[2:3], v[46:47]
	s_delay_alu instid0(VALU_DEP_2) | instskip(NEXT) | instid1(VALU_DEP_2)
	v_add_f64_e32 v[8:9], v[10:11], v[8:9]
	v_add_f64_e32 v[2:3], v[2:3], v[6:7]
	s_delay_alu instid0(VALU_DEP_2) | instskip(NEXT) | instid1(VALU_DEP_2)
	v_add_f64_e64 v[8:9], v[84:85], -v[8:9]
	v_add_f64_e64 v[6:7], v[82:83], -v[2:3]
	scratch_store_b128 off, v[6:9], off offset:32
	v_cmpx_lt_u32_e32 1, v45
	s_cbranch_execz .LBB15_107
; %bb.106:
	scratch_load_b128 v[6:9], off, s9
	v_dual_mov_b32 v2, v1 :: v_dual_mov_b32 v3, v1
	v_mov_b32_e32 v4, v1
	scratch_store_b128 off, v[1:4], off offset:16
	s_wait_loadcnt 0x0
	ds_store_b128 v5, v[6:9]
.LBB15_107:
	s_wait_alu 0xfffe
	s_or_b32 exec_lo, exec_lo, s2
	s_wait_storecnt_dscnt 0x0
	s_barrier_signal -1
	s_barrier_wait -1
	global_inv scope:SCOPE_SE
	s_clause 0x8
	scratch_load_b128 v[6:9], off, off offset:32
	scratch_load_b128 v[46:49], off, off offset:48
	;; [unrolled: 1-line block ×9, first 2 shown]
	ds_load_b128 v[78:81], v1 offset:288
	ds_load_b128 v[82:85], v1 offset:304
	scratch_load_b128 v[86:89], off, off offset:16
	s_mov_b32 s2, exec_lo
	ds_load_b128 v[94:97], v1 offset:336
	s_wait_loadcnt_dscnt 0x902
	v_mul_f64_e32 v[2:3], v[80:81], v[8:9]
	v_mul_f64_e32 v[90:91], v[78:79], v[8:9]
	scratch_load_b128 v[8:11], off, off offset:176
	s_wait_loadcnt_dscnt 0x901
	v_mul_f64_e32 v[98:99], v[82:83], v[48:49]
	v_mul_f64_e32 v[48:49], v[84:85], v[48:49]
	v_fma_f64 v[2:3], v[78:79], v[6:7], -v[2:3]
	v_fma_f64 v[6:7], v[80:81], v[6:7], v[90:91]
	ds_load_b128 v[78:81], v1 offset:320
	scratch_load_b128 v[90:93], off, off offset:192
	v_fma_f64 v[84:85], v[84:85], v[46:47], v[98:99]
	v_fma_f64 v[82:83], v[82:83], v[46:47], -v[48:49]
	scratch_load_b128 v[46:49], off, off offset:208
	s_wait_loadcnt_dscnt 0x901
	v_mul_f64_e32 v[98:99], v[94:95], v[56:57]
	v_mul_f64_e32 v[56:57], v[96:97], v[56:57]
	s_wait_dscnt 0x0
	v_mul_f64_e32 v[100:101], v[78:79], v[52:53]
	v_mul_f64_e32 v[52:53], v[80:81], v[52:53]
	v_add_f64_e32 v[2:3], 0, v[2:3]
	v_add_f64_e32 v[6:7], 0, v[6:7]
	v_fma_f64 v[96:97], v[96:97], v[54:55], v[98:99]
	v_fma_f64 v[94:95], v[94:95], v[54:55], -v[56:57]
	scratch_load_b128 v[54:57], off, off offset:240
	v_fma_f64 v[100:101], v[80:81], v[50:51], v[100:101]
	v_fma_f64 v[102:103], v[78:79], v[50:51], -v[52:53]
	ds_load_b128 v[50:53], v1 offset:352
	scratch_load_b128 v[78:81], off, off offset:224
	v_add_f64_e32 v[2:3], v[2:3], v[82:83]
	v_add_f64_e32 v[6:7], v[6:7], v[84:85]
	ds_load_b128 v[82:85], v1 offset:368
	s_wait_loadcnt_dscnt 0xa01
	v_mul_f64_e32 v[104:105], v[50:51], v[60:61]
	v_mul_f64_e32 v[60:61], v[52:53], v[60:61]
	s_wait_loadcnt_dscnt 0x900
	v_mul_f64_e32 v[98:99], v[82:83], v[64:65]
	v_mul_f64_e32 v[64:65], v[84:85], v[64:65]
	v_add_f64_e32 v[2:3], v[2:3], v[102:103]
	v_add_f64_e32 v[6:7], v[6:7], v[100:101]
	v_fma_f64 v[100:101], v[52:53], v[58:59], v[104:105]
	v_fma_f64 v[102:103], v[50:51], v[58:59], -v[60:61]
	ds_load_b128 v[50:53], v1 offset:384
	ds_load_b128 v[58:61], v1 offset:400
	v_fma_f64 v[84:85], v[84:85], v[62:63], v[98:99]
	v_fma_f64 v[62:63], v[82:83], v[62:63], -v[64:65]
	s_wait_loadcnt_dscnt 0x700
	v_mul_f64_e32 v[82:83], v[58:59], v[72:73]
	v_mul_f64_e32 v[72:73], v[60:61], v[72:73]
	v_add_f64_e32 v[2:3], v[2:3], v[94:95]
	v_add_f64_e32 v[6:7], v[6:7], v[96:97]
	v_mul_f64_e32 v[94:95], v[50:51], v[68:69]
	v_mul_f64_e32 v[68:69], v[52:53], v[68:69]
	v_fma_f64 v[60:61], v[60:61], v[70:71], v[82:83]
	v_fma_f64 v[58:59], v[58:59], v[70:71], -v[72:73]
	v_add_f64_e32 v[2:3], v[2:3], v[102:103]
	v_add_f64_e32 v[6:7], v[6:7], v[100:101]
	v_fma_f64 v[94:95], v[52:53], v[66:67], v[94:95]
	v_fma_f64 v[66:67], v[50:51], v[66:67], -v[68:69]
	s_delay_alu instid0(VALU_DEP_4) | instskip(NEXT) | instid1(VALU_DEP_4)
	v_add_f64_e32 v[2:3], v[2:3], v[62:63]
	v_add_f64_e32 v[6:7], v[6:7], v[84:85]
	ds_load_b128 v[50:53], v1 offset:416
	ds_load_b128 v[62:65], v1 offset:432
	s_wait_loadcnt_dscnt 0x601
	v_mul_f64_e32 v[68:69], v[50:51], v[76:77]
	v_mul_f64_e32 v[76:77], v[52:53], v[76:77]
	v_add_f64_e32 v[2:3], v[2:3], v[66:67]
	v_add_f64_e32 v[6:7], v[6:7], v[94:95]
	s_wait_loadcnt_dscnt 0x400
	v_mul_f64_e32 v[66:67], v[62:63], v[10:11]
	v_mul_f64_e32 v[10:11], v[64:65], v[10:11]
	v_fma_f64 v[68:69], v[52:53], v[74:75], v[68:69]
	v_fma_f64 v[70:71], v[50:51], v[74:75], -v[76:77]
	v_add_f64_e32 v[2:3], v[2:3], v[58:59]
	v_add_f64_e32 v[6:7], v[6:7], v[60:61]
	ds_load_b128 v[50:53], v1 offset:448
	ds_load_b128 v[58:61], v1 offset:464
	v_fma_f64 v[64:65], v[64:65], v[8:9], v[66:67]
	v_fma_f64 v[8:9], v[62:63], v[8:9], -v[10:11]
	s_wait_loadcnt_dscnt 0x301
	v_mul_f64_e32 v[72:73], v[50:51], v[92:93]
	v_mul_f64_e32 v[74:75], v[52:53], v[92:93]
	s_wait_loadcnt_dscnt 0x200
	v_mul_f64_e32 v[10:11], v[58:59], v[48:49]
	v_mul_f64_e32 v[48:49], v[60:61], v[48:49]
	v_add_f64_e32 v[2:3], v[2:3], v[70:71]
	v_add_f64_e32 v[6:7], v[6:7], v[68:69]
	v_fma_f64 v[52:53], v[52:53], v[90:91], v[72:73]
	v_fma_f64 v[50:51], v[50:51], v[90:91], -v[74:75]
	v_fma_f64 v[10:11], v[60:61], v[46:47], v[10:11]
	v_fma_f64 v[46:47], v[58:59], v[46:47], -v[48:49]
	v_add_f64_e32 v[62:63], v[2:3], v[8:9]
	v_add_f64_e32 v[64:65], v[6:7], v[64:65]
	ds_load_b128 v[6:9], v1 offset:480
	ds_load_b128 v[1:4], v1 offset:496
	s_wait_loadcnt_dscnt 0x1
	v_mul_f64_e32 v[66:67], v[6:7], v[80:81]
	v_mul_f64_e32 v[68:69], v[8:9], v[80:81]
	v_add_f64_e32 v[48:49], v[62:63], v[50:51]
	v_add_f64_e32 v[50:51], v[64:65], v[52:53]
	s_wait_dscnt 0x0
	v_mul_f64_e32 v[52:53], v[1:2], v[56:57]
	v_mul_f64_e32 v[56:57], v[3:4], v[56:57]
	v_fma_f64 v[8:9], v[8:9], v[78:79], v[66:67]
	v_fma_f64 v[6:7], v[6:7], v[78:79], -v[68:69]
	v_add_f64_e32 v[46:47], v[48:49], v[46:47]
	v_add_f64_e32 v[10:11], v[50:51], v[10:11]
	v_fma_f64 v[3:4], v[3:4], v[54:55], v[52:53]
	v_fma_f64 v[1:2], v[1:2], v[54:55], -v[56:57]
	s_delay_alu instid0(VALU_DEP_4) | instskip(NEXT) | instid1(VALU_DEP_4)
	v_add_f64_e32 v[6:7], v[46:47], v[6:7]
	v_add_f64_e32 v[8:9], v[10:11], v[8:9]
	s_delay_alu instid0(VALU_DEP_2) | instskip(NEXT) | instid1(VALU_DEP_2)
	v_add_f64_e32 v[1:2], v[6:7], v[1:2]
	v_add_f64_e32 v[3:4], v[8:9], v[3:4]
	s_delay_alu instid0(VALU_DEP_2) | instskip(NEXT) | instid1(VALU_DEP_2)
	v_add_f64_e64 v[1:2], v[86:87], -v[1:2]
	v_add_f64_e64 v[3:4], v[88:89], -v[3:4]
	scratch_store_b128 off, v[1:4], off offset:16
	v_cmpx_ne_u32_e32 0, v45
	s_cbranch_execz .LBB15_109
; %bb.108:
	scratch_load_b128 v[1:4], off, off
	v_mov_b32_e32 v6, 0
	s_delay_alu instid0(VALU_DEP_1)
	v_dual_mov_b32 v7, v6 :: v_dual_mov_b32 v8, v6
	v_mov_b32_e32 v9, v6
	scratch_store_b128 off, v[6:9], off
	s_wait_loadcnt 0x0
	ds_store_b128 v5, v[1:4]
.LBB15_109:
	s_wait_alu 0xfffe
	s_or_b32 exec_lo, exec_lo, s2
	s_wait_storecnt_dscnt 0x0
	s_barrier_signal -1
	s_barrier_wait -1
	global_inv scope:SCOPE_SE
	s_clause 0x7
	scratch_load_b128 v[2:5], off, off offset:16
	scratch_load_b128 v[6:9], off, off offset:32
	;; [unrolled: 1-line block ×8, first 2 shown]
	v_mov_b32_e32 v1, 0
	s_and_b32 vcc_lo, exec_lo, s20
	ds_load_b128 v[70:73], v1 offset:272
	s_clause 0x1
	scratch_load_b128 v[74:77], off, off offset:144
	scratch_load_b128 v[78:81], off, off
	ds_load_b128 v[82:85], v1 offset:288
	scratch_load_b128 v[86:89], off, off offset:160
	s_wait_loadcnt_dscnt 0xa01
	v_mul_f64_e32 v[10:11], v[72:73], v[4:5]
	v_mul_f64_e32 v[4:5], v[70:71], v[4:5]
	s_delay_alu instid0(VALU_DEP_2) | instskip(NEXT) | instid1(VALU_DEP_2)
	v_fma_f64 v[94:95], v[70:71], v[2:3], -v[10:11]
	v_fma_f64 v[96:97], v[72:73], v[2:3], v[4:5]
	ds_load_b128 v[2:5], v1 offset:304
	s_wait_loadcnt_dscnt 0x901
	v_mul_f64_e32 v[90:91], v[82:83], v[8:9]
	v_mul_f64_e32 v[92:93], v[84:85], v[8:9]
	scratch_load_b128 v[8:11], off, off offset:176
	ds_load_b128 v[70:73], v1 offset:320
	s_wait_loadcnt_dscnt 0x901
	v_mul_f64_e32 v[98:99], v[2:3], v[48:49]
	v_mul_f64_e32 v[48:49], v[4:5], v[48:49]
	v_fma_f64 v[90:91], v[84:85], v[6:7], v[90:91]
	v_fma_f64 v[6:7], v[82:83], v[6:7], -v[92:93]
	v_add_f64_e32 v[92:93], 0, v[94:95]
	v_add_f64_e32 v[94:95], 0, v[96:97]
	scratch_load_b128 v[82:85], off, off offset:192
	v_fma_f64 v[98:99], v[4:5], v[46:47], v[98:99]
	v_fma_f64 v[100:101], v[2:3], v[46:47], -v[48:49]
	ds_load_b128 v[2:5], v1 offset:336
	s_wait_loadcnt_dscnt 0x901
	v_mul_f64_e32 v[96:97], v[70:71], v[52:53]
	v_mul_f64_e32 v[52:53], v[72:73], v[52:53]
	scratch_load_b128 v[46:49], off, off offset:208
	v_add_f64_e32 v[6:7], v[92:93], v[6:7]
	v_add_f64_e32 v[94:95], v[94:95], v[90:91]
	s_wait_loadcnt_dscnt 0x900
	v_mul_f64_e32 v[102:103], v[2:3], v[56:57]
	v_mul_f64_e32 v[56:57], v[4:5], v[56:57]
	ds_load_b128 v[90:93], v1 offset:352
	v_fma_f64 v[72:73], v[72:73], v[50:51], v[96:97]
	v_fma_f64 v[70:71], v[70:71], v[50:51], -v[52:53]
	scratch_load_b128 v[50:53], off, off offset:224
	v_add_f64_e32 v[6:7], v[6:7], v[100:101]
	v_add_f64_e32 v[94:95], v[94:95], v[98:99]
	v_fma_f64 v[98:99], v[4:5], v[54:55], v[102:103]
	v_fma_f64 v[100:101], v[2:3], v[54:55], -v[56:57]
	ds_load_b128 v[2:5], v1 offset:368
	s_wait_loadcnt_dscnt 0x901
	v_mul_f64_e32 v[96:97], v[90:91], v[60:61]
	v_mul_f64_e32 v[60:61], v[92:93], v[60:61]
	scratch_load_b128 v[54:57], off, off offset:240
	s_wait_loadcnt_dscnt 0x900
	v_mul_f64_e32 v[102:103], v[2:3], v[64:65]
	v_mul_f64_e32 v[64:65], v[4:5], v[64:65]
	v_add_f64_e32 v[6:7], v[6:7], v[70:71]
	v_add_f64_e32 v[94:95], v[94:95], v[72:73]
	ds_load_b128 v[70:73], v1 offset:384
	v_fma_f64 v[92:93], v[92:93], v[58:59], v[96:97]
	v_fma_f64 v[58:59], v[90:91], v[58:59], -v[60:61]
	s_wait_loadcnt_dscnt 0x800
	v_mul_f64_e32 v[90:91], v[70:71], v[68:69]
	v_mul_f64_e32 v[68:69], v[72:73], v[68:69]
	v_add_f64_e32 v[6:7], v[6:7], v[100:101]
	v_add_f64_e32 v[60:61], v[94:95], v[98:99]
	v_fma_f64 v[94:95], v[4:5], v[62:63], v[102:103]
	v_fma_f64 v[62:63], v[2:3], v[62:63], -v[64:65]
	v_fma_f64 v[72:73], v[72:73], v[66:67], v[90:91]
	v_fma_f64 v[66:67], v[70:71], v[66:67], -v[68:69]
	v_add_f64_e32 v[6:7], v[6:7], v[58:59]
	v_add_f64_e32 v[64:65], v[60:61], v[92:93]
	ds_load_b128 v[2:5], v1 offset:400
	ds_load_b128 v[58:61], v1 offset:416
	s_wait_loadcnt_dscnt 0x701
	v_mul_f64_e32 v[92:93], v[2:3], v[76:77]
	v_mul_f64_e32 v[76:77], v[4:5], v[76:77]
	s_wait_loadcnt_dscnt 0x500
	v_mul_f64_e32 v[68:69], v[58:59], v[88:89]
	v_mul_f64_e32 v[70:71], v[60:61], v[88:89]
	v_add_f64_e32 v[6:7], v[6:7], v[62:63]
	v_add_f64_e32 v[62:63], v[64:65], v[94:95]
	v_fma_f64 v[88:89], v[4:5], v[74:75], v[92:93]
	v_fma_f64 v[74:75], v[2:3], v[74:75], -v[76:77]
	v_fma_f64 v[60:61], v[60:61], v[86:87], v[68:69]
	v_fma_f64 v[58:59], v[58:59], v[86:87], -v[70:71]
	v_add_f64_e32 v[6:7], v[6:7], v[66:67]
	v_add_f64_e32 v[66:67], v[62:63], v[72:73]
	ds_load_b128 v[2:5], v1 offset:432
	ds_load_b128 v[62:65], v1 offset:448
	s_wait_loadcnt_dscnt 0x401
	v_mul_f64_e32 v[72:73], v[2:3], v[10:11]
	v_mul_f64_e32 v[10:11], v[4:5], v[10:11]
	v_add_f64_e32 v[6:7], v[6:7], v[74:75]
	v_add_f64_e32 v[66:67], v[66:67], v[88:89]
	s_wait_loadcnt_dscnt 0x300
	v_mul_f64_e32 v[68:69], v[62:63], v[84:85]
	v_mul_f64_e32 v[70:71], v[64:65], v[84:85]
	v_fma_f64 v[72:73], v[4:5], v[8:9], v[72:73]
	v_fma_f64 v[10:11], v[2:3], v[8:9], -v[10:11]
	v_add_f64_e32 v[58:59], v[6:7], v[58:59]
	v_add_f64_e32 v[60:61], v[66:67], v[60:61]
	ds_load_b128 v[2:5], v1 offset:464
	ds_load_b128 v[6:9], v1 offset:480
	v_fma_f64 v[64:65], v[64:65], v[82:83], v[68:69]
	v_fma_f64 v[62:63], v[62:63], v[82:83], -v[70:71]
	s_wait_loadcnt_dscnt 0x201
	v_mul_f64_e32 v[66:67], v[2:3], v[48:49]
	v_mul_f64_e32 v[48:49], v[4:5], v[48:49]
	v_add_f64_e32 v[10:11], v[58:59], v[10:11]
	v_add_f64_e32 v[58:59], v[60:61], v[72:73]
	s_wait_loadcnt_dscnt 0x100
	v_mul_f64_e32 v[60:61], v[6:7], v[52:53]
	v_mul_f64_e32 v[52:53], v[8:9], v[52:53]
	v_fma_f64 v[66:67], v[4:5], v[46:47], v[66:67]
	v_fma_f64 v[46:47], v[2:3], v[46:47], -v[48:49]
	ds_load_b128 v[2:5], v1 offset:496
	v_add_f64_e32 v[10:11], v[10:11], v[62:63]
	v_add_f64_e32 v[48:49], v[58:59], v[64:65]
	v_fma_f64 v[8:9], v[8:9], v[50:51], v[60:61]
	v_fma_f64 v[6:7], v[6:7], v[50:51], -v[52:53]
	s_wait_loadcnt_dscnt 0x0
	v_mul_f64_e32 v[58:59], v[2:3], v[56:57]
	v_mul_f64_e32 v[56:57], v[4:5], v[56:57]
	v_add_f64_e32 v[10:11], v[10:11], v[46:47]
	v_add_f64_e32 v[46:47], v[48:49], v[66:67]
	s_delay_alu instid0(VALU_DEP_4) | instskip(NEXT) | instid1(VALU_DEP_4)
	v_fma_f64 v[4:5], v[4:5], v[54:55], v[58:59]
	v_fma_f64 v[2:3], v[2:3], v[54:55], -v[56:57]
	s_delay_alu instid0(VALU_DEP_4) | instskip(NEXT) | instid1(VALU_DEP_4)
	v_add_f64_e32 v[6:7], v[10:11], v[6:7]
	v_add_f64_e32 v[8:9], v[46:47], v[8:9]
	s_delay_alu instid0(VALU_DEP_2) | instskip(NEXT) | instid1(VALU_DEP_2)
	v_add_f64_e32 v[2:3], v[6:7], v[2:3]
	v_add_f64_e32 v[4:5], v[8:9], v[4:5]
	s_delay_alu instid0(VALU_DEP_2) | instskip(NEXT) | instid1(VALU_DEP_2)
	v_add_f64_e64 v[2:3], v[78:79], -v[2:3]
	v_add_f64_e64 v[4:5], v[80:81], -v[4:5]
	scratch_store_b128 off, v[2:5], off
	s_wait_alu 0xfffe
	s_cbranch_vccz .LBB15_140
; %bb.110:
	global_load_b32 v1, v1, s[16:17] offset:56
	s_load_b64 s[0:1], s[0:1], 0x4
	v_bfe_u32 v2, v0, 10, 10
	v_bfe_u32 v0, v0, 20, 10
	s_wait_kmcnt 0x0
	s_lshr_b32 s0, s0, 16
	s_delay_alu instid0(VALU_DEP_2) | instskip(SKIP_3) | instid1(VALU_DEP_1)
	v_mul_u32_u24_e32 v2, s1, v2
	s_mul_i32 s0, s0, s1
	s_wait_alu 0xfffe
	v_mul_u32_u24_e32 v3, s0, v45
	v_add3_u32 v0, v3, v2, v0
	s_delay_alu instid0(VALU_DEP_1)
	v_lshl_add_u32 v0, v0, 4, 0x208
	s_wait_loadcnt 0x0
	v_cmp_ne_u32_e32 vcc_lo, 15, v1
	s_cbranch_vccz .LBB15_112
; %bb.111:
	v_lshlrev_b32_e32 v1, 4, v1
	s_delay_alu instid0(VALU_DEP_1)
	v_mov_b32_e32 v9, v1
	s_clause 0x1
	scratch_load_b128 v[1:4], off, s25
	scratch_load_b128 v[5:8], v9, off offset:-16
	s_wait_loadcnt 0x1
	ds_store_2addr_b64 v0, v[1:2], v[3:4] offset1:1
	s_wait_loadcnt 0x0
	s_clause 0x1
	scratch_store_b128 off, v[5:8], s25
	scratch_store_b128 v9, v[1:4], off offset:-16
.LBB15_112:
	v_mov_b32_e32 v1, 0
	global_load_b32 v2, v1, s[16:17] offset:52
	s_wait_loadcnt 0x0
	v_cmp_eq_u32_e32 vcc_lo, 14, v2
	s_cbranch_vccnz .LBB15_114
; %bb.113:
	v_lshlrev_b32_e32 v2, 4, v2
	s_delay_alu instid0(VALU_DEP_1)
	v_mov_b32_e32 v10, v2
	s_clause 0x1
	scratch_load_b128 v[2:5], off, s22
	scratch_load_b128 v[6:9], v10, off offset:-16
	s_wait_loadcnt 0x1
	ds_store_2addr_b64 v0, v[2:3], v[4:5] offset1:1
	s_wait_loadcnt 0x0
	s_clause 0x1
	scratch_store_b128 off, v[6:9], s22
	scratch_store_b128 v10, v[2:5], off offset:-16
.LBB15_114:
	global_load_b32 v1, v1, s[16:17] offset:48
	s_wait_loadcnt 0x0
	v_cmp_eq_u32_e32 vcc_lo, 13, v1
	s_cbranch_vccnz .LBB15_116
; %bb.115:
	v_lshlrev_b32_e32 v1, 4, v1
	s_delay_alu instid0(VALU_DEP_1)
	v_mov_b32_e32 v9, v1
	s_clause 0x1
	scratch_load_b128 v[1:4], off, s23
	scratch_load_b128 v[5:8], v9, off offset:-16
	s_wait_loadcnt 0x1
	ds_store_2addr_b64 v0, v[1:2], v[3:4] offset1:1
	s_wait_loadcnt 0x0
	s_clause 0x1
	scratch_store_b128 off, v[5:8], s23
	scratch_store_b128 v9, v[1:4], off offset:-16
.LBB15_116:
	v_mov_b32_e32 v1, 0
	global_load_b32 v2, v1, s[16:17] offset:44
	s_wait_loadcnt 0x0
	v_cmp_eq_u32_e32 vcc_lo, 12, v2
	s_cbranch_vccnz .LBB15_118
; %bb.117:
	v_lshlrev_b32_e32 v2, 4, v2
	s_delay_alu instid0(VALU_DEP_1)
	v_mov_b32_e32 v10, v2
	s_clause 0x1
	scratch_load_b128 v[2:5], off, s15
	scratch_load_b128 v[6:9], v10, off offset:-16
	s_wait_loadcnt 0x1
	ds_store_2addr_b64 v0, v[2:3], v[4:5] offset1:1
	s_wait_loadcnt 0x0
	s_clause 0x1
	scratch_store_b128 off, v[6:9], s15
	scratch_store_b128 v10, v[2:5], off offset:-16
.LBB15_118:
	global_load_b32 v1, v1, s[16:17] offset:40
	s_wait_loadcnt 0x0
	v_cmp_eq_u32_e32 vcc_lo, 11, v1
	s_cbranch_vccnz .LBB15_120
; %bb.119:
	v_lshlrev_b32_e32 v1, 4, v1
	s_delay_alu instid0(VALU_DEP_1)
	v_mov_b32_e32 v9, v1
	s_clause 0x1
	scratch_load_b128 v[1:4], off, s21
	scratch_load_b128 v[5:8], v9, off offset:-16
	s_wait_loadcnt 0x1
	ds_store_2addr_b64 v0, v[1:2], v[3:4] offset1:1
	s_wait_loadcnt 0x0
	s_clause 0x1
	scratch_store_b128 off, v[5:8], s21
	scratch_store_b128 v9, v[1:4], off offset:-16
.LBB15_120:
	;; [unrolled: 37-line block ×6, first 2 shown]
	v_mov_b32_e32 v1, 0
	global_load_b32 v2, v1, s[16:17] offset:4
	s_wait_loadcnt 0x0
	v_cmp_eq_u32_e32 vcc_lo, 2, v2
	s_cbranch_vccnz .LBB15_138
; %bb.137:
	v_lshlrev_b32_e32 v2, 4, v2
	s_delay_alu instid0(VALU_DEP_1)
	v_mov_b32_e32 v10, v2
	s_clause 0x1
	scratch_load_b128 v[2:5], off, s9
	scratch_load_b128 v[6:9], v10, off offset:-16
	s_wait_loadcnt 0x1
	ds_store_2addr_b64 v0, v[2:3], v[4:5] offset1:1
	s_wait_loadcnt 0x0
	s_clause 0x1
	scratch_store_b128 off, v[6:9], s9
	scratch_store_b128 v10, v[2:5], off offset:-16
.LBB15_138:
	global_load_b32 v1, v1, s[16:17]
	s_wait_loadcnt 0x0
	v_cmp_eq_u32_e32 vcc_lo, 1, v1
	s_cbranch_vccnz .LBB15_140
; %bb.139:
	v_lshlrev_b32_e32 v1, 4, v1
	s_delay_alu instid0(VALU_DEP_1)
	v_mov_b32_e32 v9, v1
	scratch_load_b128 v[1:4], off, off
	scratch_load_b128 v[5:8], v9, off offset:-16
	s_wait_loadcnt 0x1
	ds_store_2addr_b64 v0, v[1:2], v[3:4] offset1:1
	s_wait_loadcnt 0x0
	scratch_store_b128 off, v[5:8], off
	scratch_store_b128 v9, v[1:4], off offset:-16
.LBB15_140:
	scratch_load_b128 v[0:3], off, off
	s_clause 0xe
	scratch_load_b128 v[4:7], off, s9
	scratch_load_b128 v[8:11], off, s5
	;; [unrolled: 1-line block ×15, first 2 shown]
	s_wait_loadcnt 0xf
	global_store_b128 v[13:14], v[0:3], off
	s_wait_loadcnt 0xe
	global_store_b128 v[15:16], v[4:7], off
	s_wait_loadcnt 0xd
	global_store_b128 v[17:18], v[8:11], off
	s_wait_loadcnt 0xc
	global_store_b128 v[19:20], v[45:48], off
	s_wait_loadcnt 0xb
	global_store_b128 v[21:22], v[49:52], off
	s_wait_loadcnt 0xa
	global_store_b128 v[23:24], v[53:56], off
	s_wait_loadcnt 0x9
	global_store_b128 v[25:26], v[57:60], off
	s_wait_loadcnt 0x8
	global_store_b128 v[27:28], v[61:64], off
	s_wait_loadcnt 0x7
	global_store_b128 v[29:30], v[65:68], off
	s_wait_loadcnt 0x6
	global_store_b128 v[31:32], v[69:72], off
	s_wait_loadcnt 0x5
	global_store_b128 v[33:34], v[73:76], off
	s_wait_loadcnt 0x4
	global_store_b128 v[35:36], v[77:80], off
	s_wait_loadcnt 0x3
	global_store_b128 v[37:38], v[81:84], off
	s_wait_loadcnt 0x2
	global_store_b128 v[39:40], v[85:88], off
	s_wait_loadcnt 0x1
	global_store_b128 v[41:42], v[89:92], off
	s_wait_loadcnt 0x0
	global_store_b128 v[43:44], v[93:96], off
	s_nop 0
	s_sendmsg sendmsg(MSG_DEALLOC_VGPRS)
	s_endpgm
	.section	.rodata,"a",@progbits
	.p2align	6, 0x0
	.amdhsa_kernel _ZN9rocsolver6v33100L18getri_kernel_smallILi16E19rocblas_complex_numIdEPS3_EEvT1_iilPiilS6_bb
		.amdhsa_group_segment_fixed_size 1544
		.amdhsa_private_segment_fixed_size 272
		.amdhsa_kernarg_size 60
		.amdhsa_user_sgpr_count 4
		.amdhsa_user_sgpr_dispatch_ptr 1
		.amdhsa_user_sgpr_queue_ptr 0
		.amdhsa_user_sgpr_kernarg_segment_ptr 1
		.amdhsa_user_sgpr_dispatch_id 0
		.amdhsa_user_sgpr_private_segment_size 0
		.amdhsa_wavefront_size32 1
		.amdhsa_uses_dynamic_stack 0
		.amdhsa_enable_private_segment 1
		.amdhsa_system_sgpr_workgroup_id_x 1
		.amdhsa_system_sgpr_workgroup_id_y 0
		.amdhsa_system_sgpr_workgroup_id_z 0
		.amdhsa_system_sgpr_workgroup_info 0
		.amdhsa_system_vgpr_workitem_id 2
		.amdhsa_next_free_vgpr 106
		.amdhsa_next_free_sgpr 29
		.amdhsa_reserve_vcc 1
		.amdhsa_float_round_mode_32 0
		.amdhsa_float_round_mode_16_64 0
		.amdhsa_float_denorm_mode_32 3
		.amdhsa_float_denorm_mode_16_64 3
		.amdhsa_fp16_overflow 0
		.amdhsa_workgroup_processor_mode 1
		.amdhsa_memory_ordered 1
		.amdhsa_forward_progress 1
		.amdhsa_inst_pref_size 141
		.amdhsa_round_robin_scheduling 0
		.amdhsa_exception_fp_ieee_invalid_op 0
		.amdhsa_exception_fp_denorm_src 0
		.amdhsa_exception_fp_ieee_div_zero 0
		.amdhsa_exception_fp_ieee_overflow 0
		.amdhsa_exception_fp_ieee_underflow 0
		.amdhsa_exception_fp_ieee_inexact 0
		.amdhsa_exception_int_div_zero 0
	.end_amdhsa_kernel
	.section	.text._ZN9rocsolver6v33100L18getri_kernel_smallILi16E19rocblas_complex_numIdEPS3_EEvT1_iilPiilS6_bb,"axG",@progbits,_ZN9rocsolver6v33100L18getri_kernel_smallILi16E19rocblas_complex_numIdEPS3_EEvT1_iilPiilS6_bb,comdat
.Lfunc_end15:
	.size	_ZN9rocsolver6v33100L18getri_kernel_smallILi16E19rocblas_complex_numIdEPS3_EEvT1_iilPiilS6_bb, .Lfunc_end15-_ZN9rocsolver6v33100L18getri_kernel_smallILi16E19rocblas_complex_numIdEPS3_EEvT1_iilPiilS6_bb
                                        ; -- End function
	.set _ZN9rocsolver6v33100L18getri_kernel_smallILi16E19rocblas_complex_numIdEPS3_EEvT1_iilPiilS6_bb.num_vgpr, 106
	.set _ZN9rocsolver6v33100L18getri_kernel_smallILi16E19rocblas_complex_numIdEPS3_EEvT1_iilPiilS6_bb.num_agpr, 0
	.set _ZN9rocsolver6v33100L18getri_kernel_smallILi16E19rocblas_complex_numIdEPS3_EEvT1_iilPiilS6_bb.numbered_sgpr, 29
	.set _ZN9rocsolver6v33100L18getri_kernel_smallILi16E19rocblas_complex_numIdEPS3_EEvT1_iilPiilS6_bb.num_named_barrier, 0
	.set _ZN9rocsolver6v33100L18getri_kernel_smallILi16E19rocblas_complex_numIdEPS3_EEvT1_iilPiilS6_bb.private_seg_size, 272
	.set _ZN9rocsolver6v33100L18getri_kernel_smallILi16E19rocblas_complex_numIdEPS3_EEvT1_iilPiilS6_bb.uses_vcc, 1
	.set _ZN9rocsolver6v33100L18getri_kernel_smallILi16E19rocblas_complex_numIdEPS3_EEvT1_iilPiilS6_bb.uses_flat_scratch, 1
	.set _ZN9rocsolver6v33100L18getri_kernel_smallILi16E19rocblas_complex_numIdEPS3_EEvT1_iilPiilS6_bb.has_dyn_sized_stack, 0
	.set _ZN9rocsolver6v33100L18getri_kernel_smallILi16E19rocblas_complex_numIdEPS3_EEvT1_iilPiilS6_bb.has_recursion, 0
	.set _ZN9rocsolver6v33100L18getri_kernel_smallILi16E19rocblas_complex_numIdEPS3_EEvT1_iilPiilS6_bb.has_indirect_call, 0
	.section	.AMDGPU.csdata,"",@progbits
; Kernel info:
; codeLenInByte = 17976
; TotalNumSgprs: 31
; NumVgprs: 106
; ScratchSize: 272
; MemoryBound: 0
; FloatMode: 240
; IeeeMode: 1
; LDSByteSize: 1544 bytes/workgroup (compile time only)
; SGPRBlocks: 0
; VGPRBlocks: 13
; NumSGPRsForWavesPerEU: 31
; NumVGPRsForWavesPerEU: 106
; Occupancy: 12
; WaveLimiterHint : 1
; COMPUTE_PGM_RSRC2:SCRATCH_EN: 1
; COMPUTE_PGM_RSRC2:USER_SGPR: 4
; COMPUTE_PGM_RSRC2:TRAP_HANDLER: 0
; COMPUTE_PGM_RSRC2:TGID_X_EN: 1
; COMPUTE_PGM_RSRC2:TGID_Y_EN: 0
; COMPUTE_PGM_RSRC2:TGID_Z_EN: 0
; COMPUTE_PGM_RSRC2:TIDIG_COMP_CNT: 2
	.section	.text._ZN9rocsolver6v33100L18getri_kernel_smallILi17E19rocblas_complex_numIdEPS3_EEvT1_iilPiilS6_bb,"axG",@progbits,_ZN9rocsolver6v33100L18getri_kernel_smallILi17E19rocblas_complex_numIdEPS3_EEvT1_iilPiilS6_bb,comdat
	.globl	_ZN9rocsolver6v33100L18getri_kernel_smallILi17E19rocblas_complex_numIdEPS3_EEvT1_iilPiilS6_bb ; -- Begin function _ZN9rocsolver6v33100L18getri_kernel_smallILi17E19rocblas_complex_numIdEPS3_EEvT1_iilPiilS6_bb
	.p2align	8
	.type	_ZN9rocsolver6v33100L18getri_kernel_smallILi17E19rocblas_complex_numIdEPS3_EEvT1_iilPiilS6_bb,@function
_ZN9rocsolver6v33100L18getri_kernel_smallILi17E19rocblas_complex_numIdEPS3_EEvT1_iilPiilS6_bb: ; @_ZN9rocsolver6v33100L18getri_kernel_smallILi17E19rocblas_complex_numIdEPS3_EEvT1_iilPiilS6_bb
; %bb.0:
	s_mov_b32 s2, exec_lo
	v_cmpx_gt_u32_e32 17, v0
	s_cbranch_execz .LBB16_82
; %bb.1:
	s_clause 0x2
	s_load_b32 s2, s[0:1], 0x38
	s_load_b128 s[12:15], s[0:1], 0x10
	s_load_b128 s[4:7], s[0:1], 0x28
	s_mov_b32 s16, ttmp9
	s_wait_kmcnt 0x0
	s_bitcmp1_b32 s2, 8
	s_cselect_b32 s18, -1, 0
	s_bfe_u32 s2, s2, 0x10008
	s_ashr_i32 s17, ttmp9, 31
	s_cmp_eq_u32 s2, 0
                                        ; implicit-def: $sgpr2_sgpr3
	s_cbranch_scc1 .LBB16_3
; %bb.2:
	s_load_b32 s2, s[0:1], 0x20
	s_mul_u64 s[4:5], s[4:5], s[16:17]
	s_delay_alu instid0(SALU_CYCLE_1) | instskip(NEXT) | instid1(SALU_CYCLE_1)
	s_lshl_b64 s[4:5], s[4:5], 2
	s_add_nc_u64 s[4:5], s[14:15], s[4:5]
	s_wait_kmcnt 0x0
	s_ashr_i32 s3, s2, 31
	s_delay_alu instid0(SALU_CYCLE_1) | instskip(NEXT) | instid1(SALU_CYCLE_1)
	s_lshl_b64 s[2:3], s[2:3], 2
	s_add_nc_u64 s[2:3], s[4:5], s[2:3]
.LBB16_3:
	s_clause 0x1
	s_load_b128 s[8:11], s[0:1], 0x0
	s_load_b32 s25, s[0:1], 0x38
	s_mul_u64 s[0:1], s[12:13], s[16:17]
	v_lshlrev_b32_e32 v47, 4, v0
	s_lshl_b64 s[0:1], s[0:1], 4
	s_wait_kmcnt 0x0
	v_add3_u32 v5, s11, s11, v0
	s_ashr_i32 s5, s10, 31
	s_mov_b32 s4, s10
	s_add_nc_u64 s[0:1], s[8:9], s[0:1]
	s_lshl_b64 s[4:5], s[4:5], 4
	v_add_nc_u32_e32 v7, s11, v5
	v_ashrrev_i32_e32 v6, 31, v5
	s_add_nc_u64 s[0:1], s[0:1], s[4:5]
	s_ashr_i32 s9, s11, 31
	v_add_co_u32 v13, s4, s0, v47
	v_add_nc_u32_e32 v9, s11, v7
	v_ashrrev_i32_e32 v8, 31, v7
	s_mov_b32 s8, s11
	v_lshlrev_b64_e32 v[5:6], 4, v[5:6]
	v_add_co_ci_u32_e64 v14, null, s1, 0, s4
	v_add_nc_u32_e32 v21, s11, v9
	v_ashrrev_i32_e32 v10, 31, v9
	s_lshl_b64 s[8:9], s[8:9], 4
	v_lshlrev_b64_e32 v[19:20], 4, v[7:8]
	v_add_co_u32 v15, vcc_lo, v13, s8
	v_add_nc_u32_e32 v25, s11, v21
	v_ashrrev_i32_e32 v22, 31, v21
	v_lshlrev_b64_e32 v[23:24], 4, v[9:10]
	v_add_co_ci_u32_e64 v16, null, s9, v14, vcc_lo
	s_delay_alu instid0(VALU_DEP_4)
	v_add_nc_u32_e32 v29, s11, v25
	v_add_co_u32 v17, vcc_lo, s0, v5
	v_lshlrev_b64_e32 v[27:28], 4, v[21:22]
	s_wait_alu 0xfffd
	v_add_co_ci_u32_e64 v18, null, s1, v6, vcc_lo
	v_add_co_u32 v19, vcc_lo, s0, v19
	v_ashrrev_i32_e32 v30, 31, v29
	v_add_nc_u32_e32 v31, s11, v29
	s_wait_alu 0xfffd
	v_add_co_ci_u32_e64 v20, null, s1, v20, vcc_lo
	v_add_co_u32 v21, vcc_lo, s0, v23
	s_wait_alu 0xfffd
	v_add_co_ci_u32_e64 v22, null, s1, v24, vcc_lo
	v_add_co_u32 v23, vcc_lo, s0, v27
	s_wait_alu 0xfffd
	v_add_co_ci_u32_e64 v24, null, s1, v28, vcc_lo
	v_lshlrev_b64_e32 v[27:28], 4, v[29:30]
	v_add_nc_u32_e32 v29, s11, v31
	v_ashrrev_i32_e32 v26, 31, v25
	v_ashrrev_i32_e32 v32, 31, v31
	s_clause 0x2
	global_load_b128 v[1:4], v47, s[0:1]
	global_load_b128 v[5:8], v[15:16], off
	global_load_b128 v[9:12], v[17:18], off
	v_add_nc_u32_e32 v33, s11, v29
	v_lshlrev_b64_e32 v[25:26], 4, v[25:26]
	v_ashrrev_i32_e32 v30, 31, v29
	v_lshlrev_b64_e32 v[31:32], 4, v[31:32]
	s_clause 0x1
	global_load_b128 v[48:51], v[19:20], off
	global_load_b128 v[52:55], v[21:22], off
	v_add_nc_u32_e32 v37, s11, v33
	v_ashrrev_i32_e32 v34, 31, v33
	v_add_co_u32 v25, vcc_lo, s0, v25
	v_lshlrev_b64_e32 v[35:36], 4, v[29:30]
	s_wait_alu 0xfffd
	v_add_co_ci_u32_e64 v26, null, s1, v26, vcc_lo
	v_add_co_u32 v27, vcc_lo, s0, v27
	v_ashrrev_i32_e32 v38, 31, v37
	v_add_nc_u32_e32 v39, s11, v37
	s_wait_alu 0xfffd
	v_add_co_ci_u32_e64 v28, null, s1, v28, vcc_lo
	v_add_co_u32 v29, vcc_lo, s0, v31
	s_wait_alu 0xfffd
	v_add_co_ci_u32_e64 v30, null, s1, v32, vcc_lo
	v_add_co_u32 v31, vcc_lo, s0, v35
	s_wait_alu 0xfffd
	v_add_co_ci_u32_e64 v32, null, s1, v36, vcc_lo
	v_lshlrev_b64_e32 v[35:36], 4, v[37:38]
	v_add_nc_u32_e32 v37, s11, v39
	v_ashrrev_i32_e32 v40, 31, v39
	v_lshlrev_b64_e32 v[33:34], 4, v[33:34]
	s_clause 0x3
	global_load_b128 v[56:59], v[23:24], off
	global_load_b128 v[60:63], v[25:26], off
	;; [unrolled: 1-line block ×4, first 2 shown]
	v_add_nc_u32_e32 v41, s11, v37
	v_ashrrev_i32_e32 v38, 31, v37
	v_lshlrev_b64_e32 v[39:40], 4, v[39:40]
	v_add_co_u32 v33, vcc_lo, s0, v33
	s_delay_alu instid0(VALU_DEP_4) | instskip(NEXT) | instid1(VALU_DEP_4)
	v_add_nc_u32_e32 v45, s11, v41
	v_lshlrev_b64_e32 v[43:44], 4, v[37:38]
	v_ashrrev_i32_e32 v42, 31, v41
	s_wait_alu 0xfffd
	v_add_co_ci_u32_e64 v34, null, s1, v34, vcc_lo
	v_add_nc_u32_e32 v88, s11, v45
	v_add_co_u32 v35, vcc_lo, s0, v35
	v_ashrrev_i32_e32 v46, 31, v45
	s_wait_alu 0xfffd
	v_add_co_ci_u32_e64 v36, null, s1, v36, vcc_lo
	v_add_co_u32 v37, vcc_lo, s0, v39
	v_ashrrev_i32_e32 v89, 31, v88
	s_wait_alu 0xfffd
	v_add_co_ci_u32_e64 v38, null, s1, v40, vcc_lo
	v_lshlrev_b64_e32 v[41:42], 4, v[41:42]
	v_add_co_u32 v39, vcc_lo, s0, v43
	s_wait_alu 0xfffd
	v_add_co_ci_u32_e64 v40, null, s1, v44, vcc_lo
	v_lshlrev_b64_e32 v[43:44], 4, v[45:46]
	v_lshlrev_b64_e32 v[45:46], 4, v[88:89]
	v_add_co_u32 v41, vcc_lo, s0, v41
	s_wait_alu 0xfffd
	v_add_co_ci_u32_e64 v42, null, s1, v42, vcc_lo
	s_delay_alu instid0(VALU_DEP_4)
	v_add_co_u32 v43, vcc_lo, s0, v43
	s_wait_alu 0xfffd
	v_add_co_ci_u32_e64 v44, null, s1, v44, vcc_lo
	v_add_co_u32 v45, vcc_lo, s0, v45
	s_wait_alu 0xfffd
	v_add_co_ci_u32_e64 v46, null, s1, v46, vcc_lo
	s_clause 0x7
	global_load_b128 v[72:75], v[31:32], off
	global_load_b128 v[76:79], v[33:34], off
	;; [unrolled: 1-line block ×8, first 2 shown]
	s_movk_i32 s0, 0x50
	s_movk_i32 s1, 0x70
	s_wait_alu 0xfffe
	s_add_co_i32 s8, s0, 16
	s_movk_i32 s0, 0x60
	s_add_co_i32 s11, s1, 16
	s_wait_alu 0xfffe
	s_add_co_i32 s12, s0, 16
	s_movk_i32 s0, 0x80
	s_movk_i32 s1, 0x90
	s_wait_alu 0xfffe
	s_add_co_i32 s14, s0, 16
	s_movk_i32 s0, 0xa0
	s_add_co_i32 s13, s1, 16
	s_movk_i32 s1, 0xb0
	s_wait_alu 0xfffe
	s_add_co_i32 s19, s0, 16
	s_movk_i32 s0, 0xc0
	s_add_co_i32 s15, s1, 16
	;; [unrolled: 5-line block ×4, first 2 shown]
	s_wait_alu 0xfffe
	s_add_co_i32 s24, s0, 16
	s_mov_b32 s9, 32
	s_mov_b32 s5, 48
	;; [unrolled: 1-line block ×3, first 2 shown]
	s_movk_i32 s10, 0x50
	s_bitcmp0_b32 s25, 0
	s_mov_b32 s1, -1
	s_wait_loadcnt 0x10
	scratch_store_b128 off, v[1:4], off offset:16
	s_wait_loadcnt 0xf
	scratch_store_b128 off, v[5:8], off offset:32
	;; [unrolled: 2-line block ×17, first 2 shown]
	s_cbranch_scc1 .LBB16_80
; %bb.4:
	v_cmp_eq_u32_e64 s0, 0, v0
	s_and_saveexec_b32 s1, s0
; %bb.5:
	v_mov_b32_e32 v1, 0
	ds_store_b32 v1, v1 offset:544
; %bb.6:
	s_wait_alu 0xfffe
	s_or_b32 exec_lo, exec_lo, s1
	s_wait_storecnt_dscnt 0x0
	s_barrier_signal -1
	s_barrier_wait -1
	global_inv scope:SCOPE_SE
	scratch_load_b128 v[1:4], v47, off offset:16
	s_wait_loadcnt 0x0
	v_cmp_eq_f64_e32 vcc_lo, 0, v[1:2]
	v_cmp_eq_f64_e64 s1, 0, v[3:4]
	s_and_b32 s1, vcc_lo, s1
	s_wait_alu 0xfffe
	s_and_saveexec_b32 s25, s1
	s_cbranch_execz .LBB16_10
; %bb.7:
	v_mov_b32_e32 v1, 0
	s_mov_b32 s26, 0
	ds_load_b32 v2, v1 offset:544
	s_wait_dscnt 0x0
	v_readfirstlane_b32 s1, v2
	v_add_nc_u32_e32 v2, 1, v0
	s_cmp_eq_u32 s1, 0
	s_delay_alu instid0(VALU_DEP_1) | instskip(SKIP_1) | instid1(SALU_CYCLE_1)
	v_cmp_gt_i32_e32 vcc_lo, s1, v2
	s_cselect_b32 s27, -1, 0
	s_or_b32 s27, s27, vcc_lo
	s_delay_alu instid0(SALU_CYCLE_1)
	s_and_b32 exec_lo, exec_lo, s27
	s_cbranch_execz .LBB16_10
; %bb.8:
	v_mov_b32_e32 v3, s1
.LBB16_9:                               ; =>This Inner Loop Header: Depth=1
	ds_cmpstore_rtn_b32 v3, v1, v2, v3 offset:544
	s_wait_dscnt 0x0
	v_cmp_ne_u32_e32 vcc_lo, 0, v3
	v_cmp_le_i32_e64 s1, v3, v2
	s_and_b32 s1, vcc_lo, s1
	s_wait_alu 0xfffe
	s_and_b32 s1, exec_lo, s1
	s_wait_alu 0xfffe
	s_or_b32 s26, s1, s26
	s_delay_alu instid0(SALU_CYCLE_1)
	s_and_not1_b32 exec_lo, exec_lo, s26
	s_cbranch_execnz .LBB16_9
.LBB16_10:
	s_or_b32 exec_lo, exec_lo, s25
	v_mov_b32_e32 v1, 0
	s_barrier_signal -1
	s_barrier_wait -1
	global_inv scope:SCOPE_SE
	ds_load_b32 v2, v1 offset:544
	s_and_saveexec_b32 s1, s0
	s_cbranch_execz .LBB16_12
; %bb.11:
	s_lshl_b64 s[26:27], s[16:17], 2
	s_delay_alu instid0(SALU_CYCLE_1)
	s_add_nc_u64 s[26:27], s[6:7], s[26:27]
	s_wait_dscnt 0x0
	global_store_b32 v1, v2, s[26:27]
.LBB16_12:
	s_wait_alu 0xfffe
	s_or_b32 exec_lo, exec_lo, s1
	s_wait_dscnt 0x0
	v_cmp_ne_u32_e32 vcc_lo, 0, v2
	s_mov_b32 s1, 0
	s_cbranch_vccnz .LBB16_80
; %bb.13:
	v_add_nc_u32_e32 v48, 16, v47
                                        ; implicit-def: $vgpr1_vgpr2
                                        ; implicit-def: $vgpr9_vgpr10
	scratch_load_b128 v[5:8], v48, off
	s_wait_loadcnt 0x0
	v_cmp_ngt_f64_e64 s1, |v[5:6]|, |v[7:8]|
	s_wait_alu 0xfffe
	s_and_saveexec_b32 s25, s1
	s_delay_alu instid0(SALU_CYCLE_1)
	s_xor_b32 s1, exec_lo, s25
	s_cbranch_execz .LBB16_15
; %bb.14:
	v_div_scale_f64 v[1:2], null, v[7:8], v[7:8], v[5:6]
	v_div_scale_f64 v[11:12], vcc_lo, v[5:6], v[7:8], v[5:6]
	s_delay_alu instid0(VALU_DEP_2) | instskip(NEXT) | instid1(TRANS32_DEP_1)
	v_rcp_f64_e32 v[3:4], v[1:2]
	v_fma_f64 v[9:10], -v[1:2], v[3:4], 1.0
	s_delay_alu instid0(VALU_DEP_1) | instskip(NEXT) | instid1(VALU_DEP_1)
	v_fma_f64 v[3:4], v[3:4], v[9:10], v[3:4]
	v_fma_f64 v[9:10], -v[1:2], v[3:4], 1.0
	s_delay_alu instid0(VALU_DEP_1) | instskip(NEXT) | instid1(VALU_DEP_1)
	v_fma_f64 v[3:4], v[3:4], v[9:10], v[3:4]
	v_mul_f64_e32 v[9:10], v[11:12], v[3:4]
	s_delay_alu instid0(VALU_DEP_1) | instskip(SKIP_1) | instid1(VALU_DEP_1)
	v_fma_f64 v[1:2], -v[1:2], v[9:10], v[11:12]
	s_wait_alu 0xfffd
	v_div_fmas_f64 v[1:2], v[1:2], v[3:4], v[9:10]
	s_delay_alu instid0(VALU_DEP_1) | instskip(NEXT) | instid1(VALU_DEP_1)
	v_div_fixup_f64 v[1:2], v[1:2], v[7:8], v[5:6]
	v_fma_f64 v[3:4], v[5:6], v[1:2], v[7:8]
	s_delay_alu instid0(VALU_DEP_1) | instskip(SKIP_1) | instid1(VALU_DEP_2)
	v_div_scale_f64 v[5:6], null, v[3:4], v[3:4], 1.0
	v_div_scale_f64 v[11:12], vcc_lo, 1.0, v[3:4], 1.0
	v_rcp_f64_e32 v[7:8], v[5:6]
	s_delay_alu instid0(TRANS32_DEP_1) | instskip(NEXT) | instid1(VALU_DEP_1)
	v_fma_f64 v[9:10], -v[5:6], v[7:8], 1.0
	v_fma_f64 v[7:8], v[7:8], v[9:10], v[7:8]
	s_delay_alu instid0(VALU_DEP_1) | instskip(NEXT) | instid1(VALU_DEP_1)
	v_fma_f64 v[9:10], -v[5:6], v[7:8], 1.0
	v_fma_f64 v[7:8], v[7:8], v[9:10], v[7:8]
	s_delay_alu instid0(VALU_DEP_1) | instskip(NEXT) | instid1(VALU_DEP_1)
	v_mul_f64_e32 v[9:10], v[11:12], v[7:8]
	v_fma_f64 v[5:6], -v[5:6], v[9:10], v[11:12]
	s_wait_alu 0xfffd
	s_delay_alu instid0(VALU_DEP_1) | instskip(NEXT) | instid1(VALU_DEP_1)
	v_div_fmas_f64 v[5:6], v[5:6], v[7:8], v[9:10]
	v_div_fixup_f64 v[3:4], v[5:6], v[3:4], 1.0
                                        ; implicit-def: $vgpr5_vgpr6
	s_delay_alu instid0(VALU_DEP_1) | instskip(SKIP_1) | instid1(VALU_DEP_2)
	v_mul_f64_e32 v[1:2], v[1:2], v[3:4]
	v_xor_b32_e32 v4, 0x80000000, v4
	v_xor_b32_e32 v10, 0x80000000, v2
	s_delay_alu instid0(VALU_DEP_3)
	v_mov_b32_e32 v9, v1
.LBB16_15:
	s_wait_alu 0xfffe
	s_and_not1_saveexec_b32 s1, s1
	s_cbranch_execz .LBB16_17
; %bb.16:
	v_div_scale_f64 v[1:2], null, v[5:6], v[5:6], v[7:8]
	v_div_scale_f64 v[11:12], vcc_lo, v[7:8], v[5:6], v[7:8]
	s_delay_alu instid0(VALU_DEP_2) | instskip(NEXT) | instid1(TRANS32_DEP_1)
	v_rcp_f64_e32 v[3:4], v[1:2]
	v_fma_f64 v[9:10], -v[1:2], v[3:4], 1.0
	s_delay_alu instid0(VALU_DEP_1) | instskip(NEXT) | instid1(VALU_DEP_1)
	v_fma_f64 v[3:4], v[3:4], v[9:10], v[3:4]
	v_fma_f64 v[9:10], -v[1:2], v[3:4], 1.0
	s_delay_alu instid0(VALU_DEP_1) | instskip(NEXT) | instid1(VALU_DEP_1)
	v_fma_f64 v[3:4], v[3:4], v[9:10], v[3:4]
	v_mul_f64_e32 v[9:10], v[11:12], v[3:4]
	s_delay_alu instid0(VALU_DEP_1) | instskip(SKIP_1) | instid1(VALU_DEP_1)
	v_fma_f64 v[1:2], -v[1:2], v[9:10], v[11:12]
	s_wait_alu 0xfffd
	v_div_fmas_f64 v[1:2], v[1:2], v[3:4], v[9:10]
	s_delay_alu instid0(VALU_DEP_1) | instskip(NEXT) | instid1(VALU_DEP_1)
	v_div_fixup_f64 v[3:4], v[1:2], v[5:6], v[7:8]
	v_fma_f64 v[1:2], v[7:8], v[3:4], v[5:6]
	s_delay_alu instid0(VALU_DEP_1) | instskip(NEXT) | instid1(VALU_DEP_1)
	v_div_scale_f64 v[5:6], null, v[1:2], v[1:2], 1.0
	v_rcp_f64_e32 v[7:8], v[5:6]
	s_delay_alu instid0(TRANS32_DEP_1) | instskip(NEXT) | instid1(VALU_DEP_1)
	v_fma_f64 v[9:10], -v[5:6], v[7:8], 1.0
	v_fma_f64 v[7:8], v[7:8], v[9:10], v[7:8]
	s_delay_alu instid0(VALU_DEP_1) | instskip(NEXT) | instid1(VALU_DEP_1)
	v_fma_f64 v[9:10], -v[5:6], v[7:8], 1.0
	v_fma_f64 v[7:8], v[7:8], v[9:10], v[7:8]
	v_div_scale_f64 v[9:10], vcc_lo, 1.0, v[1:2], 1.0
	s_delay_alu instid0(VALU_DEP_1) | instskip(NEXT) | instid1(VALU_DEP_1)
	v_mul_f64_e32 v[11:12], v[9:10], v[7:8]
	v_fma_f64 v[5:6], -v[5:6], v[11:12], v[9:10]
	s_wait_alu 0xfffd
	s_delay_alu instid0(VALU_DEP_1) | instskip(NEXT) | instid1(VALU_DEP_1)
	v_div_fmas_f64 v[5:6], v[5:6], v[7:8], v[11:12]
	v_div_fixup_f64 v[1:2], v[5:6], v[1:2], 1.0
	s_delay_alu instid0(VALU_DEP_1)
	v_mul_f64_e64 v[3:4], v[3:4], -v[1:2]
	v_xor_b32_e32 v10, 0x80000000, v2
	v_mov_b32_e32 v9, v1
.LBB16_17:
	s_wait_alu 0xfffe
	s_or_b32 exec_lo, exec_lo, s1
	scratch_store_b128 v48, v[1:4], off
	scratch_load_b128 v[49:52], off, s9
	v_xor_b32_e32 v12, 0x80000000, v4
	v_mov_b32_e32 v11, v3
	v_add_nc_u32_e32 v5, 0x110, v47
	ds_store_b128 v47, v[9:12]
	s_wait_loadcnt 0x0
	ds_store_b128 v47, v[49:52] offset:272
	s_wait_storecnt_dscnt 0x0
	s_barrier_signal -1
	s_barrier_wait -1
	global_inv scope:SCOPE_SE
	s_and_saveexec_b32 s1, s0
	s_cbranch_execz .LBB16_19
; %bb.18:
	scratch_load_b128 v[1:4], v48, off
	ds_load_b128 v[6:9], v5
	v_mov_b32_e32 v10, 0
	ds_load_b128 v[49:52], v10 offset:16
	s_wait_loadcnt_dscnt 0x1
	v_mul_f64_e32 v[10:11], v[6:7], v[3:4]
	v_mul_f64_e32 v[3:4], v[8:9], v[3:4]
	s_delay_alu instid0(VALU_DEP_2) | instskip(NEXT) | instid1(VALU_DEP_2)
	v_fma_f64 v[8:9], v[8:9], v[1:2], v[10:11]
	v_fma_f64 v[1:2], v[6:7], v[1:2], -v[3:4]
	s_delay_alu instid0(VALU_DEP_2) | instskip(NEXT) | instid1(VALU_DEP_2)
	v_add_f64_e32 v[3:4], 0, v[8:9]
	v_add_f64_e32 v[1:2], 0, v[1:2]
	s_wait_dscnt 0x0
	s_delay_alu instid0(VALU_DEP_2) | instskip(NEXT) | instid1(VALU_DEP_2)
	v_mul_f64_e32 v[6:7], v[3:4], v[51:52]
	v_mul_f64_e32 v[8:9], v[1:2], v[51:52]
	s_delay_alu instid0(VALU_DEP_2) | instskip(NEXT) | instid1(VALU_DEP_2)
	v_fma_f64 v[1:2], v[1:2], v[49:50], -v[6:7]
	v_fma_f64 v[3:4], v[3:4], v[49:50], v[8:9]
	scratch_store_b128 off, v[1:4], off offset:32
.LBB16_19:
	s_wait_alu 0xfffe
	s_or_b32 exec_lo, exec_lo, s1
	s_wait_loadcnt 0x0
	s_wait_storecnt 0x0
	s_barrier_signal -1
	s_barrier_wait -1
	global_inv scope:SCOPE_SE
	scratch_load_b128 v[1:4], off, s5
	s_mov_b32 s1, exec_lo
	s_wait_loadcnt 0x0
	ds_store_b128 v5, v[1:4]
	s_wait_dscnt 0x0
	s_barrier_signal -1
	s_barrier_wait -1
	global_inv scope:SCOPE_SE
	v_cmpx_gt_u32_e32 2, v0
	s_cbranch_execz .LBB16_23
; %bb.20:
	scratch_load_b128 v[1:4], v48, off
	ds_load_b128 v[6:9], v5
	s_wait_loadcnt_dscnt 0x0
	v_mul_f64_e32 v[10:11], v[8:9], v[3:4]
	v_mul_f64_e32 v[3:4], v[6:7], v[3:4]
	s_delay_alu instid0(VALU_DEP_2) | instskip(NEXT) | instid1(VALU_DEP_2)
	v_fma_f64 v[6:7], v[6:7], v[1:2], -v[10:11]
	v_fma_f64 v[3:4], v[8:9], v[1:2], v[3:4]
	s_delay_alu instid0(VALU_DEP_2) | instskip(NEXT) | instid1(VALU_DEP_2)
	v_add_f64_e32 v[1:2], 0, v[6:7]
	v_add_f64_e32 v[3:4], 0, v[3:4]
	s_and_saveexec_b32 s25, s0
	s_cbranch_execz .LBB16_22
; %bb.21:
	scratch_load_b128 v[6:9], off, off offset:32
	v_mov_b32_e32 v10, 0
	ds_load_b128 v[49:52], v10 offset:288
	s_wait_loadcnt_dscnt 0x0
	v_mul_f64_e32 v[10:11], v[49:50], v[8:9]
	v_mul_f64_e32 v[8:9], v[51:52], v[8:9]
	s_delay_alu instid0(VALU_DEP_2) | instskip(NEXT) | instid1(VALU_DEP_2)
	v_fma_f64 v[10:11], v[51:52], v[6:7], v[10:11]
	v_fma_f64 v[6:7], v[49:50], v[6:7], -v[8:9]
	s_delay_alu instid0(VALU_DEP_2) | instskip(NEXT) | instid1(VALU_DEP_2)
	v_add_f64_e32 v[3:4], v[3:4], v[10:11]
	v_add_f64_e32 v[1:2], v[1:2], v[6:7]
.LBB16_22:
	s_or_b32 exec_lo, exec_lo, s25
	v_mov_b32_e32 v6, 0
	ds_load_b128 v[6:9], v6 offset:32
	s_wait_dscnt 0x0
	v_mul_f64_e32 v[10:11], v[3:4], v[8:9]
	v_mul_f64_e32 v[8:9], v[1:2], v[8:9]
	s_delay_alu instid0(VALU_DEP_2) | instskip(NEXT) | instid1(VALU_DEP_2)
	v_fma_f64 v[1:2], v[1:2], v[6:7], -v[10:11]
	v_fma_f64 v[3:4], v[3:4], v[6:7], v[8:9]
	scratch_store_b128 off, v[1:4], off offset:48
.LBB16_23:
	s_wait_alu 0xfffe
	s_or_b32 exec_lo, exec_lo, s1
	s_wait_loadcnt 0x0
	s_wait_storecnt 0x0
	s_barrier_signal -1
	s_barrier_wait -1
	global_inv scope:SCOPE_SE
	scratch_load_b128 v[1:4], off, s4
	v_add_nc_u32_e32 v6, -1, v0
	s_mov_b32 s0, exec_lo
	s_wait_loadcnt 0x0
	ds_store_b128 v5, v[1:4]
	s_wait_dscnt 0x0
	s_barrier_signal -1
	s_barrier_wait -1
	global_inv scope:SCOPE_SE
	v_cmpx_gt_u32_e32 3, v0
	s_cbranch_execz .LBB16_27
; %bb.24:
	v_dual_mov_b32 v1, 0 :: v_dual_add_nc_u32 v8, 0x110, v47
	v_mov_b32_e32 v3, 0
	v_dual_mov_b32 v2, 0 :: v_dual_add_nc_u32 v7, -1, v0
	v_mov_b32_e32 v4, 0
	v_or_b32_e32 v9, 8, v48
	s_mov_b32 s1, 0
.LBB16_25:                              ; =>This Inner Loop Header: Depth=1
	scratch_load_b128 v[49:52], v9, off offset:-8
	ds_load_b128 v[53:56], v8
	v_add_nc_u32_e32 v7, 1, v7
	v_add_nc_u32_e32 v8, 16, v8
	v_add_nc_u32_e32 v9, 16, v9
	s_delay_alu instid0(VALU_DEP_3)
	v_cmp_lt_u32_e32 vcc_lo, 1, v7
	s_wait_alu 0xfffe
	s_or_b32 s1, vcc_lo, s1
	s_wait_loadcnt_dscnt 0x0
	v_mul_f64_e32 v[10:11], v[55:56], v[51:52]
	v_mul_f64_e32 v[51:52], v[53:54], v[51:52]
	s_delay_alu instid0(VALU_DEP_2) | instskip(NEXT) | instid1(VALU_DEP_2)
	v_fma_f64 v[10:11], v[53:54], v[49:50], -v[10:11]
	v_fma_f64 v[49:50], v[55:56], v[49:50], v[51:52]
	s_delay_alu instid0(VALU_DEP_2) | instskip(NEXT) | instid1(VALU_DEP_2)
	v_add_f64_e32 v[3:4], v[3:4], v[10:11]
	v_add_f64_e32 v[1:2], v[1:2], v[49:50]
	s_wait_alu 0xfffe
	s_and_not1_b32 exec_lo, exec_lo, s1
	s_cbranch_execnz .LBB16_25
; %bb.26:
	s_or_b32 exec_lo, exec_lo, s1
	v_mov_b32_e32 v7, 0
	ds_load_b128 v[7:10], v7 offset:48
	s_wait_dscnt 0x0
	v_mul_f64_e32 v[11:12], v[1:2], v[9:10]
	v_mul_f64_e32 v[49:50], v[3:4], v[9:10]
	s_delay_alu instid0(VALU_DEP_2) | instskip(NEXT) | instid1(VALU_DEP_2)
	v_fma_f64 v[9:10], v[3:4], v[7:8], -v[11:12]
	v_fma_f64 v[11:12], v[1:2], v[7:8], v[49:50]
	scratch_store_b128 off, v[9:12], off offset:64
.LBB16_27:
	s_wait_alu 0xfffe
	s_or_b32 exec_lo, exec_lo, s0
	s_wait_loadcnt 0x0
	s_wait_storecnt 0x0
	s_barrier_signal -1
	s_barrier_wait -1
	global_inv scope:SCOPE_SE
	scratch_load_b128 v[1:4], off, s10
	s_mov_b32 s0, exec_lo
	s_wait_loadcnt 0x0
	ds_store_b128 v5, v[1:4]
	s_wait_dscnt 0x0
	s_barrier_signal -1
	s_barrier_wait -1
	global_inv scope:SCOPE_SE
	v_cmpx_gt_u32_e32 4, v0
	s_cbranch_execz .LBB16_31
; %bb.28:
	v_dual_mov_b32 v1, 0 :: v_dual_add_nc_u32 v8, 0x110, v47
	v_mov_b32_e32 v3, 0
	v_dual_mov_b32 v2, 0 :: v_dual_add_nc_u32 v7, -1, v0
	v_mov_b32_e32 v4, 0
	v_or_b32_e32 v9, 8, v48
	s_mov_b32 s1, 0
.LBB16_29:                              ; =>This Inner Loop Header: Depth=1
	scratch_load_b128 v[49:52], v9, off offset:-8
	ds_load_b128 v[53:56], v8
	v_add_nc_u32_e32 v7, 1, v7
	v_add_nc_u32_e32 v8, 16, v8
	v_add_nc_u32_e32 v9, 16, v9
	s_delay_alu instid0(VALU_DEP_3)
	v_cmp_lt_u32_e32 vcc_lo, 2, v7
	s_wait_alu 0xfffe
	s_or_b32 s1, vcc_lo, s1
	s_wait_loadcnt_dscnt 0x0
	v_mul_f64_e32 v[10:11], v[55:56], v[51:52]
	v_mul_f64_e32 v[51:52], v[53:54], v[51:52]
	s_delay_alu instid0(VALU_DEP_2) | instskip(NEXT) | instid1(VALU_DEP_2)
	v_fma_f64 v[10:11], v[53:54], v[49:50], -v[10:11]
	v_fma_f64 v[49:50], v[55:56], v[49:50], v[51:52]
	s_delay_alu instid0(VALU_DEP_2) | instskip(NEXT) | instid1(VALU_DEP_2)
	v_add_f64_e32 v[3:4], v[3:4], v[10:11]
	v_add_f64_e32 v[1:2], v[1:2], v[49:50]
	s_wait_alu 0xfffe
	s_and_not1_b32 exec_lo, exec_lo, s1
	s_cbranch_execnz .LBB16_29
; %bb.30:
	s_or_b32 exec_lo, exec_lo, s1
	v_mov_b32_e32 v7, 0
	ds_load_b128 v[7:10], v7 offset:64
	s_wait_dscnt 0x0
	v_mul_f64_e32 v[11:12], v[1:2], v[9:10]
	v_mul_f64_e32 v[49:50], v[3:4], v[9:10]
	s_delay_alu instid0(VALU_DEP_2) | instskip(NEXT) | instid1(VALU_DEP_2)
	v_fma_f64 v[9:10], v[3:4], v[7:8], -v[11:12]
	v_fma_f64 v[11:12], v[1:2], v[7:8], v[49:50]
	scratch_store_b128 off, v[9:12], off offset:80
.LBB16_31:
	s_wait_alu 0xfffe
	s_or_b32 exec_lo, exec_lo, s0
	s_wait_loadcnt 0x0
	s_wait_storecnt 0x0
	s_barrier_signal -1
	s_barrier_wait -1
	global_inv scope:SCOPE_SE
	scratch_load_b128 v[1:4], off, s8
	;; [unrolled: 58-line block ×13, first 2 shown]
	s_mov_b32 s0, exec_lo
	s_wait_loadcnt 0x0
	ds_store_b128 v5, v[1:4]
	s_wait_dscnt 0x0
	s_barrier_signal -1
	s_barrier_wait -1
	global_inv scope:SCOPE_SE
	v_cmpx_ne_u32_e32 16, v0
	s_cbranch_execz .LBB16_79
; %bb.76:
	v_mov_b32_e32 v1, 0
	v_dual_mov_b32 v2, 0 :: v_dual_mov_b32 v3, 0
	v_mov_b32_e32 v4, 0
	v_or_b32_e32 v7, 8, v48
	s_mov_b32 s1, 0
.LBB16_77:                              ; =>This Inner Loop Header: Depth=1
	scratch_load_b128 v[8:11], v7, off offset:-8
	ds_load_b128 v[47:50], v5
	v_add_nc_u32_e32 v6, 1, v6
	v_add_nc_u32_e32 v5, 16, v5
	;; [unrolled: 1-line block ×3, first 2 shown]
	s_delay_alu instid0(VALU_DEP_3)
	v_cmp_lt_u32_e32 vcc_lo, 14, v6
	s_wait_alu 0xfffe
	s_or_b32 s1, vcc_lo, s1
	s_wait_loadcnt_dscnt 0x0
	v_mul_f64_e32 v[51:52], v[49:50], v[10:11]
	v_mul_f64_e32 v[10:11], v[47:48], v[10:11]
	s_delay_alu instid0(VALU_DEP_2) | instskip(NEXT) | instid1(VALU_DEP_2)
	v_fma_f64 v[47:48], v[47:48], v[8:9], -v[51:52]
	v_fma_f64 v[8:9], v[49:50], v[8:9], v[10:11]
	s_delay_alu instid0(VALU_DEP_2) | instskip(NEXT) | instid1(VALU_DEP_2)
	v_add_f64_e32 v[3:4], v[3:4], v[47:48]
	v_add_f64_e32 v[1:2], v[1:2], v[8:9]
	s_wait_alu 0xfffe
	s_and_not1_b32 exec_lo, exec_lo, s1
	s_cbranch_execnz .LBB16_77
; %bb.78:
	s_or_b32 exec_lo, exec_lo, s1
	v_mov_b32_e32 v5, 0
	ds_load_b128 v[5:8], v5 offset:256
	s_wait_dscnt 0x0
	v_mul_f64_e32 v[9:10], v[1:2], v[7:8]
	v_mul_f64_e32 v[7:8], v[3:4], v[7:8]
	s_delay_alu instid0(VALU_DEP_2) | instskip(NEXT) | instid1(VALU_DEP_2)
	v_fma_f64 v[3:4], v[3:4], v[5:6], -v[9:10]
	v_fma_f64 v[5:6], v[1:2], v[5:6], v[7:8]
	scratch_store_b128 off, v[3:6], off offset:272
.LBB16_79:
	s_wait_alu 0xfffe
	s_or_b32 exec_lo, exec_lo, s0
	s_mov_b32 s1, -1
	s_wait_loadcnt 0x0
	s_wait_storecnt 0x0
	s_barrier_signal -1
	s_barrier_wait -1
	global_inv scope:SCOPE_SE
.LBB16_80:
	s_wait_alu 0xfffe
	s_and_b32 vcc_lo, exec_lo, s1
	s_wait_alu 0xfffe
	s_cbranch_vccz .LBB16_82
; %bb.81:
	v_mov_b32_e32 v1, 0
	s_lshl_b64 s[0:1], s[16:17], 2
	s_wait_alu 0xfffe
	s_add_nc_u64 s[0:1], s[6:7], s[0:1]
	global_load_b32 v1, v1, s[0:1]
	s_wait_loadcnt 0x0
	v_cmp_ne_u32_e32 vcc_lo, 0, v1
	s_cbranch_vccz .LBB16_83
.LBB16_82:
	s_nop 0
	s_sendmsg sendmsg(MSG_DEALLOC_VGPRS)
	s_endpgm
.LBB16_83:
	v_lshl_add_u32 v5, v0, 4, 0x110
	s_mov_b32 s0, exec_lo
	v_cmpx_eq_u32_e32 16, v0
	s_cbranch_execz .LBB16_85
; %bb.84:
	scratch_load_b128 v[1:4], off, s22
	v_mov_b32_e32 v6, 0
	s_delay_alu instid0(VALU_DEP_1)
	v_dual_mov_b32 v7, v6 :: v_dual_mov_b32 v8, v6
	v_mov_b32_e32 v9, v6
	scratch_store_b128 off, v[6:9], off offset:256
	s_wait_loadcnt 0x0
	ds_store_b128 v5, v[1:4]
.LBB16_85:
	s_wait_alu 0xfffe
	s_or_b32 exec_lo, exec_lo, s0
	s_wait_storecnt_dscnt 0x0
	s_barrier_signal -1
	s_barrier_wait -1
	global_inv scope:SCOPE_SE
	s_clause 0x1
	scratch_load_b128 v[6:9], off, off offset:272
	scratch_load_b128 v[47:50], off, off offset:256
	v_mov_b32_e32 v1, 0
	s_mov_b32 s0, exec_lo
	ds_load_b128 v[51:54], v1 offset:528
	s_wait_loadcnt_dscnt 0x100
	v_mul_f64_e32 v[2:3], v[53:54], v[8:9]
	v_mul_f64_e32 v[8:9], v[51:52], v[8:9]
	s_delay_alu instid0(VALU_DEP_2) | instskip(NEXT) | instid1(VALU_DEP_2)
	v_fma_f64 v[2:3], v[51:52], v[6:7], -v[2:3]
	v_fma_f64 v[6:7], v[53:54], v[6:7], v[8:9]
	s_delay_alu instid0(VALU_DEP_2) | instskip(NEXT) | instid1(VALU_DEP_2)
	v_add_f64_e32 v[2:3], 0, v[2:3]
	v_add_f64_e32 v[8:9], 0, v[6:7]
	s_wait_loadcnt 0x0
	s_delay_alu instid0(VALU_DEP_2) | instskip(NEXT) | instid1(VALU_DEP_2)
	v_add_f64_e64 v[6:7], v[47:48], -v[2:3]
	v_add_f64_e64 v[8:9], v[49:50], -v[8:9]
	scratch_store_b128 off, v[6:9], off offset:256
	v_cmpx_lt_u32_e32 14, v0
	s_cbranch_execz .LBB16_87
; %bb.86:
	scratch_load_b128 v[6:9], off, s23
	v_dual_mov_b32 v2, v1 :: v_dual_mov_b32 v3, v1
	v_mov_b32_e32 v4, v1
	scratch_store_b128 off, v[1:4], off offset:240
	s_wait_loadcnt 0x0
	ds_store_b128 v5, v[6:9]
.LBB16_87:
	s_wait_alu 0xfffe
	s_or_b32 exec_lo, exec_lo, s0
	s_wait_storecnt_dscnt 0x0
	s_barrier_signal -1
	s_barrier_wait -1
	global_inv scope:SCOPE_SE
	s_clause 0x2
	scratch_load_b128 v[6:9], off, off offset:256
	scratch_load_b128 v[47:50], off, off offset:272
	;; [unrolled: 1-line block ×3, first 2 shown]
	ds_load_b128 v[55:58], v1 offset:512
	ds_load_b128 v[1:4], v1 offset:528
	s_mov_b32 s0, exec_lo
	s_wait_loadcnt_dscnt 0x201
	v_mul_f64_e32 v[10:11], v[57:58], v[8:9]
	v_mul_f64_e32 v[8:9], v[55:56], v[8:9]
	s_wait_loadcnt_dscnt 0x100
	v_mul_f64_e32 v[59:60], v[1:2], v[49:50]
	v_mul_f64_e32 v[49:50], v[3:4], v[49:50]
	s_delay_alu instid0(VALU_DEP_4) | instskip(NEXT) | instid1(VALU_DEP_4)
	v_fma_f64 v[10:11], v[55:56], v[6:7], -v[10:11]
	v_fma_f64 v[6:7], v[57:58], v[6:7], v[8:9]
	s_delay_alu instid0(VALU_DEP_4) | instskip(NEXT) | instid1(VALU_DEP_4)
	v_fma_f64 v[3:4], v[3:4], v[47:48], v[59:60]
	v_fma_f64 v[1:2], v[1:2], v[47:48], -v[49:50]
	s_delay_alu instid0(VALU_DEP_4) | instskip(NEXT) | instid1(VALU_DEP_4)
	v_add_f64_e32 v[8:9], 0, v[10:11]
	v_add_f64_e32 v[6:7], 0, v[6:7]
	s_delay_alu instid0(VALU_DEP_2) | instskip(NEXT) | instid1(VALU_DEP_2)
	v_add_f64_e32 v[1:2], v[8:9], v[1:2]
	v_add_f64_e32 v[3:4], v[6:7], v[3:4]
	s_wait_loadcnt 0x0
	s_delay_alu instid0(VALU_DEP_2) | instskip(NEXT) | instid1(VALU_DEP_2)
	v_add_f64_e64 v[1:2], v[51:52], -v[1:2]
	v_add_f64_e64 v[3:4], v[53:54], -v[3:4]
	scratch_store_b128 off, v[1:4], off offset:240
	v_cmpx_lt_u32_e32 13, v0
	s_cbranch_execz .LBB16_89
; %bb.88:
	scratch_load_b128 v[1:4], off, s20
	v_mov_b32_e32 v6, 0
	s_delay_alu instid0(VALU_DEP_1)
	v_dual_mov_b32 v7, v6 :: v_dual_mov_b32 v8, v6
	v_mov_b32_e32 v9, v6
	scratch_store_b128 off, v[6:9], off offset:224
	s_wait_loadcnt 0x0
	ds_store_b128 v5, v[1:4]
.LBB16_89:
	s_wait_alu 0xfffe
	s_or_b32 exec_lo, exec_lo, s0
	s_wait_storecnt_dscnt 0x0
	s_barrier_signal -1
	s_barrier_wait -1
	global_inv scope:SCOPE_SE
	s_clause 0x3
	scratch_load_b128 v[6:9], off, off offset:240
	scratch_load_b128 v[47:50], off, off offset:256
	;; [unrolled: 1-line block ×4, first 2 shown]
	v_mov_b32_e32 v1, 0
	ds_load_b128 v[59:62], v1 offset:496
	ds_load_b128 v[63:66], v1 offset:512
	s_mov_b32 s0, exec_lo
	s_wait_loadcnt_dscnt 0x301
	v_mul_f64_e32 v[2:3], v[61:62], v[8:9]
	v_mul_f64_e32 v[8:9], v[59:60], v[8:9]
	s_wait_loadcnt_dscnt 0x200
	v_mul_f64_e32 v[10:11], v[63:64], v[49:50]
	v_mul_f64_e32 v[49:50], v[65:66], v[49:50]
	s_delay_alu instid0(VALU_DEP_4) | instskip(NEXT) | instid1(VALU_DEP_4)
	v_fma_f64 v[2:3], v[59:60], v[6:7], -v[2:3]
	v_fma_f64 v[59:60], v[61:62], v[6:7], v[8:9]
	ds_load_b128 v[6:9], v1 offset:528
	v_fma_f64 v[10:11], v[65:66], v[47:48], v[10:11]
	v_fma_f64 v[47:48], v[63:64], v[47:48], -v[49:50]
	s_wait_loadcnt_dscnt 0x100
	v_mul_f64_e32 v[61:62], v[6:7], v[53:54]
	v_mul_f64_e32 v[53:54], v[8:9], v[53:54]
	v_add_f64_e32 v[2:3], 0, v[2:3]
	v_add_f64_e32 v[49:50], 0, v[59:60]
	s_delay_alu instid0(VALU_DEP_4) | instskip(NEXT) | instid1(VALU_DEP_4)
	v_fma_f64 v[8:9], v[8:9], v[51:52], v[61:62]
	v_fma_f64 v[6:7], v[6:7], v[51:52], -v[53:54]
	s_delay_alu instid0(VALU_DEP_4) | instskip(NEXT) | instid1(VALU_DEP_4)
	v_add_f64_e32 v[2:3], v[2:3], v[47:48]
	v_add_f64_e32 v[10:11], v[49:50], v[10:11]
	s_delay_alu instid0(VALU_DEP_2) | instskip(NEXT) | instid1(VALU_DEP_2)
	v_add_f64_e32 v[2:3], v[2:3], v[6:7]
	v_add_f64_e32 v[8:9], v[10:11], v[8:9]
	s_wait_loadcnt 0x0
	s_delay_alu instid0(VALU_DEP_2) | instskip(NEXT) | instid1(VALU_DEP_2)
	v_add_f64_e64 v[6:7], v[55:56], -v[2:3]
	v_add_f64_e64 v[8:9], v[57:58], -v[8:9]
	scratch_store_b128 off, v[6:9], off offset:224
	v_cmpx_lt_u32_e32 12, v0
	s_cbranch_execz .LBB16_91
; %bb.90:
	scratch_load_b128 v[6:9], off, s21
	v_dual_mov_b32 v2, v1 :: v_dual_mov_b32 v3, v1
	v_mov_b32_e32 v4, v1
	scratch_store_b128 off, v[1:4], off offset:208
	s_wait_loadcnt 0x0
	ds_store_b128 v5, v[6:9]
.LBB16_91:
	s_wait_alu 0xfffe
	s_or_b32 exec_lo, exec_lo, s0
	s_wait_storecnt_dscnt 0x0
	s_barrier_signal -1
	s_barrier_wait -1
	global_inv scope:SCOPE_SE
	s_clause 0x4
	scratch_load_b128 v[6:9], off, off offset:224
	scratch_load_b128 v[47:50], off, off offset:240
	scratch_load_b128 v[51:54], off, off offset:256
	scratch_load_b128 v[55:58], off, off offset:272
	scratch_load_b128 v[59:62], off, off offset:208
	ds_load_b128 v[63:66], v1 offset:480
	ds_load_b128 v[67:70], v1 offset:496
	s_mov_b32 s0, exec_lo
	s_wait_loadcnt_dscnt 0x401
	v_mul_f64_e32 v[2:3], v[65:66], v[8:9]
	v_mul_f64_e32 v[8:9], v[63:64], v[8:9]
	s_wait_loadcnt_dscnt 0x300
	v_mul_f64_e32 v[10:11], v[67:68], v[49:50]
	v_mul_f64_e32 v[49:50], v[69:70], v[49:50]
	s_delay_alu instid0(VALU_DEP_4) | instskip(NEXT) | instid1(VALU_DEP_4)
	v_fma_f64 v[63:64], v[63:64], v[6:7], -v[2:3]
	v_fma_f64 v[65:66], v[65:66], v[6:7], v[8:9]
	ds_load_b128 v[6:9], v1 offset:512
	ds_load_b128 v[1:4], v1 offset:528
	v_fma_f64 v[10:11], v[69:70], v[47:48], v[10:11]
	v_fma_f64 v[47:48], v[67:68], v[47:48], -v[49:50]
	s_wait_loadcnt_dscnt 0x201
	v_mul_f64_e32 v[71:72], v[6:7], v[53:54]
	v_mul_f64_e32 v[53:54], v[8:9], v[53:54]
	v_add_f64_e32 v[49:50], 0, v[63:64]
	v_add_f64_e32 v[63:64], 0, v[65:66]
	s_wait_loadcnt_dscnt 0x100
	v_mul_f64_e32 v[65:66], v[1:2], v[57:58]
	v_mul_f64_e32 v[57:58], v[3:4], v[57:58]
	v_fma_f64 v[8:9], v[8:9], v[51:52], v[71:72]
	v_fma_f64 v[6:7], v[6:7], v[51:52], -v[53:54]
	v_add_f64_e32 v[47:48], v[49:50], v[47:48]
	v_add_f64_e32 v[10:11], v[63:64], v[10:11]
	v_fma_f64 v[3:4], v[3:4], v[55:56], v[65:66]
	v_fma_f64 v[1:2], v[1:2], v[55:56], -v[57:58]
	s_delay_alu instid0(VALU_DEP_4) | instskip(NEXT) | instid1(VALU_DEP_4)
	v_add_f64_e32 v[6:7], v[47:48], v[6:7]
	v_add_f64_e32 v[8:9], v[10:11], v[8:9]
	s_delay_alu instid0(VALU_DEP_2) | instskip(NEXT) | instid1(VALU_DEP_2)
	v_add_f64_e32 v[1:2], v[6:7], v[1:2]
	v_add_f64_e32 v[3:4], v[8:9], v[3:4]
	s_wait_loadcnt 0x0
	s_delay_alu instid0(VALU_DEP_2) | instskip(NEXT) | instid1(VALU_DEP_2)
	v_add_f64_e64 v[1:2], v[59:60], -v[1:2]
	v_add_f64_e64 v[3:4], v[61:62], -v[3:4]
	scratch_store_b128 off, v[1:4], off offset:208
	v_cmpx_lt_u32_e32 11, v0
	s_cbranch_execz .LBB16_93
; %bb.92:
	scratch_load_b128 v[1:4], off, s15
	v_mov_b32_e32 v6, 0
	s_delay_alu instid0(VALU_DEP_1)
	v_dual_mov_b32 v7, v6 :: v_dual_mov_b32 v8, v6
	v_mov_b32_e32 v9, v6
	scratch_store_b128 off, v[6:9], off offset:192
	s_wait_loadcnt 0x0
	ds_store_b128 v5, v[1:4]
.LBB16_93:
	s_wait_alu 0xfffe
	s_or_b32 exec_lo, exec_lo, s0
	s_wait_storecnt_dscnt 0x0
	s_barrier_signal -1
	s_barrier_wait -1
	global_inv scope:SCOPE_SE
	s_clause 0x5
	scratch_load_b128 v[6:9], off, off offset:208
	scratch_load_b128 v[47:50], off, off offset:224
	;; [unrolled: 1-line block ×6, first 2 shown]
	v_mov_b32_e32 v1, 0
	ds_load_b128 v[67:70], v1 offset:464
	ds_load_b128 v[71:74], v1 offset:480
	s_mov_b32 s0, exec_lo
	s_wait_loadcnt_dscnt 0x501
	v_mul_f64_e32 v[2:3], v[69:70], v[8:9]
	v_mul_f64_e32 v[8:9], v[67:68], v[8:9]
	s_wait_loadcnt_dscnt 0x400
	v_mul_f64_e32 v[10:11], v[71:72], v[49:50]
	v_mul_f64_e32 v[49:50], v[73:74], v[49:50]
	s_delay_alu instid0(VALU_DEP_4) | instskip(NEXT) | instid1(VALU_DEP_4)
	v_fma_f64 v[2:3], v[67:68], v[6:7], -v[2:3]
	v_fma_f64 v[75:76], v[69:70], v[6:7], v[8:9]
	ds_load_b128 v[6:9], v1 offset:496
	ds_load_b128 v[67:70], v1 offset:512
	v_fma_f64 v[10:11], v[73:74], v[47:48], v[10:11]
	v_fma_f64 v[47:48], v[71:72], v[47:48], -v[49:50]
	s_wait_loadcnt_dscnt 0x301
	v_mul_f64_e32 v[77:78], v[6:7], v[53:54]
	v_mul_f64_e32 v[53:54], v[8:9], v[53:54]
	s_wait_loadcnt_dscnt 0x200
	v_mul_f64_e32 v[71:72], v[67:68], v[57:58]
	v_mul_f64_e32 v[57:58], v[69:70], v[57:58]
	v_add_f64_e32 v[2:3], 0, v[2:3]
	v_add_f64_e32 v[49:50], 0, v[75:76]
	v_fma_f64 v[73:74], v[8:9], v[51:52], v[77:78]
	v_fma_f64 v[51:52], v[6:7], v[51:52], -v[53:54]
	ds_load_b128 v[6:9], v1 offset:528
	v_fma_f64 v[53:54], v[69:70], v[55:56], v[71:72]
	v_fma_f64 v[55:56], v[67:68], v[55:56], -v[57:58]
	v_add_f64_e32 v[2:3], v[2:3], v[47:48]
	v_add_f64_e32 v[10:11], v[49:50], v[10:11]
	s_wait_loadcnt_dscnt 0x100
	v_mul_f64_e32 v[47:48], v[6:7], v[61:62]
	v_mul_f64_e32 v[49:50], v[8:9], v[61:62]
	s_delay_alu instid0(VALU_DEP_4) | instskip(NEXT) | instid1(VALU_DEP_4)
	v_add_f64_e32 v[2:3], v[2:3], v[51:52]
	v_add_f64_e32 v[10:11], v[10:11], v[73:74]
	s_delay_alu instid0(VALU_DEP_4) | instskip(NEXT) | instid1(VALU_DEP_4)
	v_fma_f64 v[8:9], v[8:9], v[59:60], v[47:48]
	v_fma_f64 v[6:7], v[6:7], v[59:60], -v[49:50]
	s_delay_alu instid0(VALU_DEP_4) | instskip(NEXT) | instid1(VALU_DEP_4)
	v_add_f64_e32 v[2:3], v[2:3], v[55:56]
	v_add_f64_e32 v[10:11], v[10:11], v[53:54]
	s_delay_alu instid0(VALU_DEP_2) | instskip(NEXT) | instid1(VALU_DEP_2)
	v_add_f64_e32 v[2:3], v[2:3], v[6:7]
	v_add_f64_e32 v[8:9], v[10:11], v[8:9]
	s_wait_loadcnt 0x0
	s_delay_alu instid0(VALU_DEP_2) | instskip(NEXT) | instid1(VALU_DEP_2)
	v_add_f64_e64 v[6:7], v[63:64], -v[2:3]
	v_add_f64_e64 v[8:9], v[65:66], -v[8:9]
	scratch_store_b128 off, v[6:9], off offset:192
	v_cmpx_lt_u32_e32 10, v0
	s_cbranch_execz .LBB16_95
; %bb.94:
	scratch_load_b128 v[6:9], off, s19
	v_dual_mov_b32 v2, v1 :: v_dual_mov_b32 v3, v1
	v_mov_b32_e32 v4, v1
	scratch_store_b128 off, v[1:4], off offset:176
	s_wait_loadcnt 0x0
	ds_store_b128 v5, v[6:9]
.LBB16_95:
	s_wait_alu 0xfffe
	s_or_b32 exec_lo, exec_lo, s0
	s_wait_storecnt_dscnt 0x0
	s_barrier_signal -1
	s_barrier_wait -1
	global_inv scope:SCOPE_SE
	s_clause 0x5
	scratch_load_b128 v[6:9], off, off offset:192
	scratch_load_b128 v[47:50], off, off offset:208
	;; [unrolled: 1-line block ×6, first 2 shown]
	ds_load_b128 v[67:70], v1 offset:448
	ds_load_b128 v[75:78], v1 offset:464
	scratch_load_b128 v[71:74], off, off offset:176
	s_mov_b32 s0, exec_lo
	s_wait_loadcnt_dscnt 0x601
	v_mul_f64_e32 v[2:3], v[69:70], v[8:9]
	v_mul_f64_e32 v[8:9], v[67:68], v[8:9]
	s_wait_loadcnt_dscnt 0x500
	v_mul_f64_e32 v[10:11], v[75:76], v[49:50]
	v_mul_f64_e32 v[49:50], v[77:78], v[49:50]
	s_delay_alu instid0(VALU_DEP_4) | instskip(NEXT) | instid1(VALU_DEP_4)
	v_fma_f64 v[2:3], v[67:68], v[6:7], -v[2:3]
	v_fma_f64 v[79:80], v[69:70], v[6:7], v[8:9]
	ds_load_b128 v[6:9], v1 offset:480
	ds_load_b128 v[67:70], v1 offset:496
	v_fma_f64 v[10:11], v[77:78], v[47:48], v[10:11]
	v_fma_f64 v[47:48], v[75:76], v[47:48], -v[49:50]
	s_wait_loadcnt_dscnt 0x401
	v_mul_f64_e32 v[81:82], v[6:7], v[53:54]
	v_mul_f64_e32 v[53:54], v[8:9], v[53:54]
	s_wait_loadcnt_dscnt 0x300
	v_mul_f64_e32 v[75:76], v[67:68], v[57:58]
	v_mul_f64_e32 v[57:58], v[69:70], v[57:58]
	v_add_f64_e32 v[2:3], 0, v[2:3]
	v_add_f64_e32 v[49:50], 0, v[79:80]
	v_fma_f64 v[77:78], v[8:9], v[51:52], v[81:82]
	v_fma_f64 v[51:52], v[6:7], v[51:52], -v[53:54]
	s_delay_alu instid0(VALU_DEP_4) | instskip(NEXT) | instid1(VALU_DEP_4)
	v_add_f64_e32 v[47:48], v[2:3], v[47:48]
	v_add_f64_e32 v[10:11], v[49:50], v[10:11]
	ds_load_b128 v[6:9], v1 offset:512
	ds_load_b128 v[1:4], v1 offset:528
	s_wait_loadcnt_dscnt 0x201
	v_mul_f64_e32 v[49:50], v[6:7], v[61:62]
	v_mul_f64_e32 v[53:54], v[8:9], v[61:62]
	v_fma_f64 v[61:62], v[69:70], v[55:56], v[75:76]
	v_fma_f64 v[55:56], v[67:68], v[55:56], -v[57:58]
	s_wait_loadcnt_dscnt 0x100
	v_mul_f64_e32 v[57:58], v[3:4], v[65:66]
	v_add_f64_e32 v[47:48], v[47:48], v[51:52]
	v_add_f64_e32 v[10:11], v[10:11], v[77:78]
	v_mul_f64_e32 v[51:52], v[1:2], v[65:66]
	v_fma_f64 v[8:9], v[8:9], v[59:60], v[49:50]
	v_fma_f64 v[6:7], v[6:7], v[59:60], -v[53:54]
	v_fma_f64 v[1:2], v[1:2], v[63:64], -v[57:58]
	v_add_f64_e32 v[47:48], v[47:48], v[55:56]
	v_add_f64_e32 v[10:11], v[10:11], v[61:62]
	v_fma_f64 v[3:4], v[3:4], v[63:64], v[51:52]
	s_delay_alu instid0(VALU_DEP_3) | instskip(NEXT) | instid1(VALU_DEP_3)
	v_add_f64_e32 v[6:7], v[47:48], v[6:7]
	v_add_f64_e32 v[8:9], v[10:11], v[8:9]
	s_delay_alu instid0(VALU_DEP_2) | instskip(NEXT) | instid1(VALU_DEP_2)
	v_add_f64_e32 v[1:2], v[6:7], v[1:2]
	v_add_f64_e32 v[3:4], v[8:9], v[3:4]
	s_wait_loadcnt 0x0
	s_delay_alu instid0(VALU_DEP_2) | instskip(NEXT) | instid1(VALU_DEP_2)
	v_add_f64_e64 v[1:2], v[71:72], -v[1:2]
	v_add_f64_e64 v[3:4], v[73:74], -v[3:4]
	scratch_store_b128 off, v[1:4], off offset:176
	v_cmpx_lt_u32_e32 9, v0
	s_cbranch_execz .LBB16_97
; %bb.96:
	scratch_load_b128 v[1:4], off, s13
	v_mov_b32_e32 v6, 0
	s_delay_alu instid0(VALU_DEP_1)
	v_dual_mov_b32 v7, v6 :: v_dual_mov_b32 v8, v6
	v_mov_b32_e32 v9, v6
	scratch_store_b128 off, v[6:9], off offset:160
	s_wait_loadcnt 0x0
	ds_store_b128 v5, v[1:4]
.LBB16_97:
	s_wait_alu 0xfffe
	s_or_b32 exec_lo, exec_lo, s0
	s_wait_storecnt_dscnt 0x0
	s_barrier_signal -1
	s_barrier_wait -1
	global_inv scope:SCOPE_SE
	s_clause 0x6
	scratch_load_b128 v[6:9], off, off offset:176
	scratch_load_b128 v[47:50], off, off offset:192
	;; [unrolled: 1-line block ×7, first 2 shown]
	v_mov_b32_e32 v1, 0
	scratch_load_b128 v[75:78], off, off offset:160
	s_mov_b32 s0, exec_lo
	ds_load_b128 v[71:74], v1 offset:432
	ds_load_b128 v[79:82], v1 offset:448
	s_wait_loadcnt_dscnt 0x701
	v_mul_f64_e32 v[2:3], v[73:74], v[8:9]
	v_mul_f64_e32 v[8:9], v[71:72], v[8:9]
	s_wait_loadcnt_dscnt 0x600
	v_mul_f64_e32 v[10:11], v[79:80], v[49:50]
	v_mul_f64_e32 v[49:50], v[81:82], v[49:50]
	s_delay_alu instid0(VALU_DEP_4) | instskip(NEXT) | instid1(VALU_DEP_4)
	v_fma_f64 v[2:3], v[71:72], v[6:7], -v[2:3]
	v_fma_f64 v[83:84], v[73:74], v[6:7], v[8:9]
	ds_load_b128 v[6:9], v1 offset:464
	ds_load_b128 v[71:74], v1 offset:480
	v_fma_f64 v[10:11], v[81:82], v[47:48], v[10:11]
	v_fma_f64 v[47:48], v[79:80], v[47:48], -v[49:50]
	s_wait_loadcnt_dscnt 0x501
	v_mul_f64_e32 v[85:86], v[6:7], v[53:54]
	v_mul_f64_e32 v[53:54], v[8:9], v[53:54]
	s_wait_loadcnt_dscnt 0x400
	v_mul_f64_e32 v[79:80], v[71:72], v[57:58]
	v_mul_f64_e32 v[57:58], v[73:74], v[57:58]
	v_add_f64_e32 v[2:3], 0, v[2:3]
	v_add_f64_e32 v[49:50], 0, v[83:84]
	v_fma_f64 v[81:82], v[8:9], v[51:52], v[85:86]
	v_fma_f64 v[51:52], v[6:7], v[51:52], -v[53:54]
	v_fma_f64 v[73:74], v[73:74], v[55:56], v[79:80]
	v_fma_f64 v[55:56], v[71:72], v[55:56], -v[57:58]
	v_add_f64_e32 v[2:3], v[2:3], v[47:48]
	v_add_f64_e32 v[10:11], v[49:50], v[10:11]
	ds_load_b128 v[6:9], v1 offset:496
	ds_load_b128 v[47:50], v1 offset:512
	s_wait_loadcnt_dscnt 0x301
	v_mul_f64_e32 v[53:54], v[6:7], v[61:62]
	v_mul_f64_e32 v[61:62], v[8:9], v[61:62]
	s_wait_loadcnt_dscnt 0x200
	v_mul_f64_e32 v[57:58], v[49:50], v[65:66]
	v_add_f64_e32 v[2:3], v[2:3], v[51:52]
	v_add_f64_e32 v[10:11], v[10:11], v[81:82]
	v_mul_f64_e32 v[51:52], v[47:48], v[65:66]
	v_fma_f64 v[53:54], v[8:9], v[59:60], v[53:54]
	v_fma_f64 v[59:60], v[6:7], v[59:60], -v[61:62]
	ds_load_b128 v[6:9], v1 offset:528
	v_fma_f64 v[47:48], v[47:48], v[63:64], -v[57:58]
	v_add_f64_e32 v[2:3], v[2:3], v[55:56]
	v_add_f64_e32 v[10:11], v[10:11], v[73:74]
	v_fma_f64 v[49:50], v[49:50], v[63:64], v[51:52]
	s_wait_loadcnt_dscnt 0x100
	v_mul_f64_e32 v[55:56], v[6:7], v[69:70]
	v_mul_f64_e32 v[61:62], v[8:9], v[69:70]
	v_add_f64_e32 v[2:3], v[2:3], v[59:60]
	v_add_f64_e32 v[10:11], v[10:11], v[53:54]
	s_delay_alu instid0(VALU_DEP_4) | instskip(NEXT) | instid1(VALU_DEP_4)
	v_fma_f64 v[8:9], v[8:9], v[67:68], v[55:56]
	v_fma_f64 v[6:7], v[6:7], v[67:68], -v[61:62]
	s_delay_alu instid0(VALU_DEP_4) | instskip(NEXT) | instid1(VALU_DEP_4)
	v_add_f64_e32 v[2:3], v[2:3], v[47:48]
	v_add_f64_e32 v[10:11], v[10:11], v[49:50]
	s_delay_alu instid0(VALU_DEP_2) | instskip(NEXT) | instid1(VALU_DEP_2)
	v_add_f64_e32 v[2:3], v[2:3], v[6:7]
	v_add_f64_e32 v[8:9], v[10:11], v[8:9]
	s_wait_loadcnt 0x0
	s_delay_alu instid0(VALU_DEP_2) | instskip(NEXT) | instid1(VALU_DEP_2)
	v_add_f64_e64 v[6:7], v[75:76], -v[2:3]
	v_add_f64_e64 v[8:9], v[77:78], -v[8:9]
	scratch_store_b128 off, v[6:9], off offset:160
	v_cmpx_lt_u32_e32 8, v0
	s_cbranch_execz .LBB16_99
; %bb.98:
	scratch_load_b128 v[6:9], off, s14
	v_dual_mov_b32 v2, v1 :: v_dual_mov_b32 v3, v1
	v_mov_b32_e32 v4, v1
	scratch_store_b128 off, v[1:4], off offset:144
	s_wait_loadcnt 0x0
	ds_store_b128 v5, v[6:9]
.LBB16_99:
	s_wait_alu 0xfffe
	s_or_b32 exec_lo, exec_lo, s0
	s_wait_storecnt_dscnt 0x0
	s_barrier_signal -1
	s_barrier_wait -1
	global_inv scope:SCOPE_SE
	s_clause 0x7
	scratch_load_b128 v[6:9], off, off offset:160
	scratch_load_b128 v[47:50], off, off offset:176
	;; [unrolled: 1-line block ×8, first 2 shown]
	ds_load_b128 v[75:78], v1 offset:416
	ds_load_b128 v[79:82], v1 offset:432
	scratch_load_b128 v[83:86], off, off offset:144
	s_mov_b32 s0, exec_lo
	s_wait_loadcnt_dscnt 0x801
	v_mul_f64_e32 v[2:3], v[77:78], v[8:9]
	v_mul_f64_e32 v[8:9], v[75:76], v[8:9]
	s_wait_loadcnt_dscnt 0x700
	v_mul_f64_e32 v[10:11], v[79:80], v[49:50]
	v_mul_f64_e32 v[49:50], v[81:82], v[49:50]
	s_delay_alu instid0(VALU_DEP_4) | instskip(NEXT) | instid1(VALU_DEP_4)
	v_fma_f64 v[2:3], v[75:76], v[6:7], -v[2:3]
	v_fma_f64 v[87:88], v[77:78], v[6:7], v[8:9]
	ds_load_b128 v[6:9], v1 offset:448
	ds_load_b128 v[75:78], v1 offset:464
	v_fma_f64 v[10:11], v[81:82], v[47:48], v[10:11]
	v_fma_f64 v[47:48], v[79:80], v[47:48], -v[49:50]
	s_wait_loadcnt_dscnt 0x601
	v_mul_f64_e32 v[89:90], v[6:7], v[53:54]
	v_mul_f64_e32 v[53:54], v[8:9], v[53:54]
	s_wait_loadcnt_dscnt 0x500
	v_mul_f64_e32 v[79:80], v[75:76], v[57:58]
	v_mul_f64_e32 v[57:58], v[77:78], v[57:58]
	v_add_f64_e32 v[2:3], 0, v[2:3]
	v_add_f64_e32 v[49:50], 0, v[87:88]
	v_fma_f64 v[81:82], v[8:9], v[51:52], v[89:90]
	v_fma_f64 v[51:52], v[6:7], v[51:52], -v[53:54]
	v_fma_f64 v[77:78], v[77:78], v[55:56], v[79:80]
	v_fma_f64 v[55:56], v[75:76], v[55:56], -v[57:58]
	v_add_f64_e32 v[2:3], v[2:3], v[47:48]
	v_add_f64_e32 v[10:11], v[49:50], v[10:11]
	ds_load_b128 v[6:9], v1 offset:480
	ds_load_b128 v[47:50], v1 offset:496
	s_wait_loadcnt_dscnt 0x401
	v_mul_f64_e32 v[53:54], v[6:7], v[61:62]
	v_mul_f64_e32 v[61:62], v[8:9], v[61:62]
	s_wait_loadcnt_dscnt 0x300
	v_mul_f64_e32 v[57:58], v[49:50], v[65:66]
	v_add_f64_e32 v[2:3], v[2:3], v[51:52]
	v_add_f64_e32 v[10:11], v[10:11], v[81:82]
	v_mul_f64_e32 v[51:52], v[47:48], v[65:66]
	v_fma_f64 v[53:54], v[8:9], v[59:60], v[53:54]
	v_fma_f64 v[59:60], v[6:7], v[59:60], -v[61:62]
	v_fma_f64 v[47:48], v[47:48], v[63:64], -v[57:58]
	v_add_f64_e32 v[55:56], v[2:3], v[55:56]
	v_add_f64_e32 v[10:11], v[10:11], v[77:78]
	ds_load_b128 v[6:9], v1 offset:512
	ds_load_b128 v[1:4], v1 offset:528
	v_fma_f64 v[49:50], v[49:50], v[63:64], v[51:52]
	s_wait_loadcnt_dscnt 0x201
	v_mul_f64_e32 v[61:62], v[6:7], v[69:70]
	v_mul_f64_e32 v[65:66], v[8:9], v[69:70]
	v_add_f64_e32 v[51:52], v[55:56], v[59:60]
	v_add_f64_e32 v[10:11], v[10:11], v[53:54]
	s_wait_loadcnt_dscnt 0x100
	v_mul_f64_e32 v[53:54], v[1:2], v[73:74]
	v_mul_f64_e32 v[55:56], v[3:4], v[73:74]
	v_fma_f64 v[8:9], v[8:9], v[67:68], v[61:62]
	v_fma_f64 v[6:7], v[6:7], v[67:68], -v[65:66]
	v_add_f64_e32 v[47:48], v[51:52], v[47:48]
	v_add_f64_e32 v[10:11], v[10:11], v[49:50]
	v_fma_f64 v[3:4], v[3:4], v[71:72], v[53:54]
	v_fma_f64 v[1:2], v[1:2], v[71:72], -v[55:56]
	s_delay_alu instid0(VALU_DEP_4) | instskip(NEXT) | instid1(VALU_DEP_4)
	v_add_f64_e32 v[6:7], v[47:48], v[6:7]
	v_add_f64_e32 v[8:9], v[10:11], v[8:9]
	s_delay_alu instid0(VALU_DEP_2) | instskip(NEXT) | instid1(VALU_DEP_2)
	v_add_f64_e32 v[1:2], v[6:7], v[1:2]
	v_add_f64_e32 v[3:4], v[8:9], v[3:4]
	s_wait_loadcnt 0x0
	s_delay_alu instid0(VALU_DEP_2) | instskip(NEXT) | instid1(VALU_DEP_2)
	v_add_f64_e64 v[1:2], v[83:84], -v[1:2]
	v_add_f64_e64 v[3:4], v[85:86], -v[3:4]
	scratch_store_b128 off, v[1:4], off offset:144
	v_cmpx_lt_u32_e32 7, v0
	s_cbranch_execz .LBB16_101
; %bb.100:
	scratch_load_b128 v[1:4], off, s11
	v_mov_b32_e32 v6, 0
	s_delay_alu instid0(VALU_DEP_1)
	v_dual_mov_b32 v7, v6 :: v_dual_mov_b32 v8, v6
	v_mov_b32_e32 v9, v6
	scratch_store_b128 off, v[6:9], off offset:128
	s_wait_loadcnt 0x0
	ds_store_b128 v5, v[1:4]
.LBB16_101:
	s_wait_alu 0xfffe
	s_or_b32 exec_lo, exec_lo, s0
	s_wait_storecnt_dscnt 0x0
	s_barrier_signal -1
	s_barrier_wait -1
	global_inv scope:SCOPE_SE
	s_clause 0x7
	scratch_load_b128 v[6:9], off, off offset:144
	scratch_load_b128 v[47:50], off, off offset:160
	;; [unrolled: 1-line block ×8, first 2 shown]
	v_mov_b32_e32 v1, 0
	s_mov_b32 s0, exec_lo
	ds_load_b128 v[75:78], v1 offset:400
	s_clause 0x1
	scratch_load_b128 v[79:82], off, off offset:272
	scratch_load_b128 v[83:86], off, off offset:128
	ds_load_b128 v[87:90], v1 offset:416
	s_wait_loadcnt_dscnt 0x901
	v_mul_f64_e32 v[2:3], v[77:78], v[8:9]
	v_mul_f64_e32 v[8:9], v[75:76], v[8:9]
	s_wait_loadcnt_dscnt 0x800
	v_mul_f64_e32 v[10:11], v[87:88], v[49:50]
	v_mul_f64_e32 v[49:50], v[89:90], v[49:50]
	s_delay_alu instid0(VALU_DEP_4) | instskip(NEXT) | instid1(VALU_DEP_4)
	v_fma_f64 v[2:3], v[75:76], v[6:7], -v[2:3]
	v_fma_f64 v[91:92], v[77:78], v[6:7], v[8:9]
	ds_load_b128 v[6:9], v1 offset:432
	ds_load_b128 v[75:78], v1 offset:448
	v_fma_f64 v[10:11], v[89:90], v[47:48], v[10:11]
	v_fma_f64 v[47:48], v[87:88], v[47:48], -v[49:50]
	s_wait_loadcnt_dscnt 0x701
	v_mul_f64_e32 v[93:94], v[6:7], v[53:54]
	v_mul_f64_e32 v[53:54], v[8:9], v[53:54]
	s_wait_loadcnt_dscnt 0x600
	v_mul_f64_e32 v[87:88], v[75:76], v[57:58]
	v_mul_f64_e32 v[57:58], v[77:78], v[57:58]
	v_add_f64_e32 v[2:3], 0, v[2:3]
	v_add_f64_e32 v[49:50], 0, v[91:92]
	v_fma_f64 v[89:90], v[8:9], v[51:52], v[93:94]
	v_fma_f64 v[51:52], v[6:7], v[51:52], -v[53:54]
	v_fma_f64 v[77:78], v[77:78], v[55:56], v[87:88]
	v_fma_f64 v[55:56], v[75:76], v[55:56], -v[57:58]
	v_add_f64_e32 v[2:3], v[2:3], v[47:48]
	v_add_f64_e32 v[10:11], v[49:50], v[10:11]
	ds_load_b128 v[6:9], v1 offset:464
	ds_load_b128 v[47:50], v1 offset:480
	s_wait_loadcnt_dscnt 0x501
	v_mul_f64_e32 v[53:54], v[6:7], v[61:62]
	v_mul_f64_e32 v[61:62], v[8:9], v[61:62]
	s_wait_loadcnt_dscnt 0x400
	v_mul_f64_e32 v[57:58], v[47:48], v[65:66]
	v_mul_f64_e32 v[65:66], v[49:50], v[65:66]
	v_add_f64_e32 v[2:3], v[2:3], v[51:52]
	v_add_f64_e32 v[10:11], v[10:11], v[89:90]
	v_fma_f64 v[75:76], v[8:9], v[59:60], v[53:54]
	v_fma_f64 v[59:60], v[6:7], v[59:60], -v[61:62]
	ds_load_b128 v[6:9], v1 offset:496
	ds_load_b128 v[51:54], v1 offset:512
	v_fma_f64 v[49:50], v[49:50], v[63:64], v[57:58]
	v_fma_f64 v[47:48], v[47:48], v[63:64], -v[65:66]
	v_add_f64_e32 v[2:3], v[2:3], v[55:56]
	v_add_f64_e32 v[10:11], v[10:11], v[77:78]
	s_wait_loadcnt_dscnt 0x301
	v_mul_f64_e32 v[55:56], v[6:7], v[69:70]
	v_mul_f64_e32 v[61:62], v[8:9], v[69:70]
	s_wait_loadcnt_dscnt 0x200
	v_mul_f64_e32 v[57:58], v[51:52], v[73:74]
	v_add_f64_e32 v[2:3], v[2:3], v[59:60]
	v_add_f64_e32 v[10:11], v[10:11], v[75:76]
	v_mul_f64_e32 v[59:60], v[53:54], v[73:74]
	v_fma_f64 v[55:56], v[8:9], v[67:68], v[55:56]
	v_fma_f64 v[61:62], v[6:7], v[67:68], -v[61:62]
	ds_load_b128 v[6:9], v1 offset:528
	v_fma_f64 v[53:54], v[53:54], v[71:72], v[57:58]
	v_add_f64_e32 v[2:3], v[2:3], v[47:48]
	v_add_f64_e32 v[10:11], v[10:11], v[49:50]
	s_wait_loadcnt_dscnt 0x100
	v_mul_f64_e32 v[47:48], v[6:7], v[81:82]
	v_mul_f64_e32 v[49:50], v[8:9], v[81:82]
	v_fma_f64 v[51:52], v[51:52], v[71:72], -v[59:60]
	v_add_f64_e32 v[2:3], v[2:3], v[61:62]
	v_add_f64_e32 v[10:11], v[10:11], v[55:56]
	v_fma_f64 v[8:9], v[8:9], v[79:80], v[47:48]
	v_fma_f64 v[6:7], v[6:7], v[79:80], -v[49:50]
	s_delay_alu instid0(VALU_DEP_4) | instskip(NEXT) | instid1(VALU_DEP_4)
	v_add_f64_e32 v[2:3], v[2:3], v[51:52]
	v_add_f64_e32 v[10:11], v[10:11], v[53:54]
	s_delay_alu instid0(VALU_DEP_2) | instskip(NEXT) | instid1(VALU_DEP_2)
	v_add_f64_e32 v[2:3], v[2:3], v[6:7]
	v_add_f64_e32 v[8:9], v[10:11], v[8:9]
	s_wait_loadcnt 0x0
	s_delay_alu instid0(VALU_DEP_2) | instskip(NEXT) | instid1(VALU_DEP_2)
	v_add_f64_e64 v[6:7], v[83:84], -v[2:3]
	v_add_f64_e64 v[8:9], v[85:86], -v[8:9]
	scratch_store_b128 off, v[6:9], off offset:128
	v_cmpx_lt_u32_e32 6, v0
	s_cbranch_execz .LBB16_103
; %bb.102:
	scratch_load_b128 v[6:9], off, s12
	v_dual_mov_b32 v2, v1 :: v_dual_mov_b32 v3, v1
	v_mov_b32_e32 v4, v1
	scratch_store_b128 off, v[1:4], off offset:112
	s_wait_loadcnt 0x0
	ds_store_b128 v5, v[6:9]
.LBB16_103:
	s_wait_alu 0xfffe
	s_or_b32 exec_lo, exec_lo, s0
	s_wait_storecnt_dscnt 0x0
	s_barrier_signal -1
	s_barrier_wait -1
	global_inv scope:SCOPE_SE
	s_clause 0x7
	scratch_load_b128 v[6:9], off, off offset:128
	scratch_load_b128 v[47:50], off, off offset:144
	;; [unrolled: 1-line block ×8, first 2 shown]
	ds_load_b128 v[75:78], v1 offset:384
	s_clause 0x1
	scratch_load_b128 v[79:82], off, off offset:256
	scratch_load_b128 v[83:86], off, off offset:272
	s_mov_b32 s0, exec_lo
	s_wait_loadcnt_dscnt 0x900
	v_mul_f64_e32 v[2:3], v[77:78], v[8:9]
	v_mul_f64_e32 v[87:88], v[75:76], v[8:9]
	ds_load_b128 v[8:11], v1 offset:400
	v_fma_f64 v[2:3], v[75:76], v[6:7], -v[2:3]
	v_fma_f64 v[6:7], v[77:78], v[6:7], v[87:88]
	ds_load_b128 v[75:78], v1 offset:416
	s_wait_loadcnt_dscnt 0x801
	v_mul_f64_e32 v[89:90], v[8:9], v[49:50]
	v_mul_f64_e32 v[49:50], v[10:11], v[49:50]
	s_wait_loadcnt_dscnt 0x700
	v_mul_f64_e32 v[87:88], v[75:76], v[53:54]
	v_mul_f64_e32 v[53:54], v[77:78], v[53:54]
	v_add_f64_e32 v[2:3], 0, v[2:3]
	v_fma_f64 v[10:11], v[10:11], v[47:48], v[89:90]
	v_fma_f64 v[47:48], v[8:9], v[47:48], -v[49:50]
	v_add_f64_e32 v[49:50], 0, v[6:7]
	ds_load_b128 v[6:9], v1 offset:432
	v_fma_f64 v[77:78], v[77:78], v[51:52], v[87:88]
	v_fma_f64 v[75:76], v[75:76], v[51:52], -v[53:54]
	scratch_load_b128 v[51:54], off, off offset:112
	v_add_f64_e32 v[2:3], v[2:3], v[47:48]
	v_add_f64_e32 v[10:11], v[49:50], v[10:11]
	ds_load_b128 v[47:50], v1 offset:448
	s_wait_loadcnt_dscnt 0x701
	v_mul_f64_e32 v[89:90], v[6:7], v[57:58]
	v_mul_f64_e32 v[57:58], v[8:9], v[57:58]
	s_wait_loadcnt_dscnt 0x600
	v_mul_f64_e32 v[87:88], v[47:48], v[61:62]
	v_mul_f64_e32 v[61:62], v[49:50], v[61:62]
	v_add_f64_e32 v[2:3], v[2:3], v[75:76]
	v_add_f64_e32 v[10:11], v[10:11], v[77:78]
	v_fma_f64 v[89:90], v[8:9], v[55:56], v[89:90]
	v_fma_f64 v[55:56], v[6:7], v[55:56], -v[57:58]
	ds_load_b128 v[6:9], v1 offset:464
	v_fma_f64 v[75:76], v[49:50], v[59:60], v[87:88]
	v_fma_f64 v[59:60], v[47:48], v[59:60], -v[61:62]
	ds_load_b128 v[47:50], v1 offset:480
	s_wait_loadcnt_dscnt 0x501
	v_mul_f64_e32 v[57:58], v[6:7], v[65:66]
	v_mul_f64_e32 v[65:66], v[8:9], v[65:66]
	v_add_f64_e32 v[10:11], v[10:11], v[89:90]
	v_add_f64_e32 v[2:3], v[2:3], v[55:56]
	s_wait_loadcnt_dscnt 0x400
	v_mul_f64_e32 v[55:56], v[47:48], v[69:70]
	v_mul_f64_e32 v[61:62], v[49:50], v[69:70]
	v_fma_f64 v[57:58], v[8:9], v[63:64], v[57:58]
	v_fma_f64 v[63:64], v[6:7], v[63:64], -v[65:66]
	ds_load_b128 v[6:9], v1 offset:496
	v_add_f64_e32 v[10:11], v[10:11], v[75:76]
	v_add_f64_e32 v[2:3], v[2:3], v[59:60]
	v_fma_f64 v[55:56], v[49:50], v[67:68], v[55:56]
	v_fma_f64 v[61:62], v[47:48], v[67:68], -v[61:62]
	ds_load_b128 v[47:50], v1 offset:512
	s_wait_loadcnt_dscnt 0x301
	v_mul_f64_e32 v[59:60], v[6:7], v[73:74]
	v_mul_f64_e32 v[65:66], v[8:9], v[73:74]
	v_add_f64_e32 v[10:11], v[10:11], v[57:58]
	v_add_f64_e32 v[2:3], v[2:3], v[63:64]
	s_wait_loadcnt_dscnt 0x200
	v_mul_f64_e32 v[57:58], v[47:48], v[81:82]
	v_mul_f64_e32 v[63:64], v[49:50], v[81:82]
	v_fma_f64 v[8:9], v[8:9], v[71:72], v[59:60]
	v_fma_f64 v[6:7], v[6:7], v[71:72], -v[65:66]
	v_add_f64_e32 v[10:11], v[10:11], v[55:56]
	v_add_f64_e32 v[59:60], v[2:3], v[61:62]
	ds_load_b128 v[1:4], v1 offset:528
	v_fma_f64 v[49:50], v[49:50], v[79:80], v[57:58]
	v_fma_f64 v[47:48], v[47:48], v[79:80], -v[63:64]
	s_wait_loadcnt_dscnt 0x100
	v_mul_f64_e32 v[55:56], v[1:2], v[85:86]
	v_mul_f64_e32 v[61:62], v[3:4], v[85:86]
	v_add_f64_e32 v[8:9], v[10:11], v[8:9]
	v_add_f64_e32 v[6:7], v[59:60], v[6:7]
	s_delay_alu instid0(VALU_DEP_4) | instskip(NEXT) | instid1(VALU_DEP_4)
	v_fma_f64 v[3:4], v[3:4], v[83:84], v[55:56]
	v_fma_f64 v[1:2], v[1:2], v[83:84], -v[61:62]
	s_delay_alu instid0(VALU_DEP_4) | instskip(NEXT) | instid1(VALU_DEP_4)
	v_add_f64_e32 v[8:9], v[8:9], v[49:50]
	v_add_f64_e32 v[6:7], v[6:7], v[47:48]
	s_delay_alu instid0(VALU_DEP_2) | instskip(NEXT) | instid1(VALU_DEP_2)
	v_add_f64_e32 v[3:4], v[8:9], v[3:4]
	v_add_f64_e32 v[1:2], v[6:7], v[1:2]
	s_wait_loadcnt 0x0
	s_delay_alu instid0(VALU_DEP_2) | instskip(NEXT) | instid1(VALU_DEP_2)
	v_add_f64_e64 v[3:4], v[53:54], -v[3:4]
	v_add_f64_e64 v[1:2], v[51:52], -v[1:2]
	scratch_store_b128 off, v[1:4], off offset:112
	v_cmpx_lt_u32_e32 5, v0
	s_cbranch_execz .LBB16_105
; %bb.104:
	scratch_load_b128 v[1:4], off, s8
	v_mov_b32_e32 v6, 0
	s_delay_alu instid0(VALU_DEP_1)
	v_dual_mov_b32 v7, v6 :: v_dual_mov_b32 v8, v6
	v_mov_b32_e32 v9, v6
	scratch_store_b128 off, v[6:9], off offset:96
	s_wait_loadcnt 0x0
	ds_store_b128 v5, v[1:4]
.LBB16_105:
	s_wait_alu 0xfffe
	s_or_b32 exec_lo, exec_lo, s0
	s_wait_storecnt_dscnt 0x0
	s_barrier_signal -1
	s_barrier_wait -1
	global_inv scope:SCOPE_SE
	s_clause 0x7
	scratch_load_b128 v[6:9], off, off offset:112
	scratch_load_b128 v[47:50], off, off offset:128
	scratch_load_b128 v[51:54], off, off offset:144
	scratch_load_b128 v[55:58], off, off offset:160
	scratch_load_b128 v[59:62], off, off offset:176
	scratch_load_b128 v[63:66], off, off offset:192
	scratch_load_b128 v[67:70], off, off offset:208
	scratch_load_b128 v[71:74], off, off offset:224
	v_mov_b32_e32 v1, 0
	s_clause 0x1
	scratch_load_b128 v[79:82], off, off offset:240
	scratch_load_b128 v[83:86], off, off offset:256
	s_mov_b32 s0, exec_lo
	ds_load_b128 v[75:78], v1 offset:368
	s_wait_loadcnt_dscnt 0x900
	v_mul_f64_e32 v[2:3], v[77:78], v[8:9]
	v_mul_f64_e32 v[87:88], v[75:76], v[8:9]
	ds_load_b128 v[8:11], v1 offset:384
	v_fma_f64 v[2:3], v[75:76], v[6:7], -v[2:3]
	v_fma_f64 v[6:7], v[77:78], v[6:7], v[87:88]
	ds_load_b128 v[75:78], v1 offset:400
	s_wait_loadcnt_dscnt 0x801
	v_mul_f64_e32 v[91:92], v[8:9], v[49:50]
	v_mul_f64_e32 v[49:50], v[10:11], v[49:50]
	scratch_load_b128 v[87:90], off, off offset:272
	s_wait_loadcnt_dscnt 0x800
	v_mul_f64_e32 v[93:94], v[75:76], v[53:54]
	v_mul_f64_e32 v[53:54], v[77:78], v[53:54]
	v_add_f64_e32 v[2:3], 0, v[2:3]
	v_fma_f64 v[10:11], v[10:11], v[47:48], v[91:92]
	v_fma_f64 v[47:48], v[8:9], v[47:48], -v[49:50]
	v_add_f64_e32 v[49:50], 0, v[6:7]
	ds_load_b128 v[6:9], v1 offset:416
	v_fma_f64 v[77:78], v[77:78], v[51:52], v[93:94]
	v_fma_f64 v[51:52], v[75:76], v[51:52], -v[53:54]
	v_add_f64_e32 v[2:3], v[2:3], v[47:48]
	v_add_f64_e32 v[10:11], v[49:50], v[10:11]
	ds_load_b128 v[47:50], v1 offset:432
	s_wait_loadcnt_dscnt 0x701
	v_mul_f64_e32 v[91:92], v[6:7], v[57:58]
	v_mul_f64_e32 v[57:58], v[8:9], v[57:58]
	s_wait_loadcnt_dscnt 0x600
	v_mul_f64_e32 v[75:76], v[47:48], v[61:62]
	v_mul_f64_e32 v[61:62], v[49:50], v[61:62]
	v_add_f64_e32 v[2:3], v[2:3], v[51:52]
	v_add_f64_e32 v[10:11], v[10:11], v[77:78]
	scratch_load_b128 v[51:54], off, off offset:96
	v_fma_f64 v[91:92], v[8:9], v[55:56], v[91:92]
	v_fma_f64 v[55:56], v[6:7], v[55:56], -v[57:58]
	ds_load_b128 v[6:9], v1 offset:448
	v_fma_f64 v[75:76], v[49:50], v[59:60], v[75:76]
	v_fma_f64 v[59:60], v[47:48], v[59:60], -v[61:62]
	ds_load_b128 v[47:50], v1 offset:464
	s_wait_loadcnt_dscnt 0x601
	v_mul_f64_e32 v[57:58], v[6:7], v[65:66]
	v_mul_f64_e32 v[65:66], v[8:9], v[65:66]
	v_add_f64_e32 v[10:11], v[10:11], v[91:92]
	v_add_f64_e32 v[2:3], v[2:3], v[55:56]
	s_wait_loadcnt_dscnt 0x500
	v_mul_f64_e32 v[55:56], v[47:48], v[69:70]
	v_mul_f64_e32 v[61:62], v[49:50], v[69:70]
	v_fma_f64 v[57:58], v[8:9], v[63:64], v[57:58]
	v_fma_f64 v[63:64], v[6:7], v[63:64], -v[65:66]
	ds_load_b128 v[6:9], v1 offset:480
	v_add_f64_e32 v[10:11], v[10:11], v[75:76]
	v_add_f64_e32 v[2:3], v[2:3], v[59:60]
	v_fma_f64 v[55:56], v[49:50], v[67:68], v[55:56]
	v_fma_f64 v[61:62], v[47:48], v[67:68], -v[61:62]
	ds_load_b128 v[47:50], v1 offset:496
	s_wait_loadcnt_dscnt 0x401
	v_mul_f64_e32 v[59:60], v[6:7], v[73:74]
	v_mul_f64_e32 v[65:66], v[8:9], v[73:74]
	v_add_f64_e32 v[10:11], v[10:11], v[57:58]
	v_add_f64_e32 v[2:3], v[2:3], v[63:64]
	s_wait_loadcnt_dscnt 0x300
	v_mul_f64_e32 v[57:58], v[47:48], v[81:82]
	v_mul_f64_e32 v[63:64], v[49:50], v[81:82]
	v_fma_f64 v[59:60], v[8:9], v[71:72], v[59:60]
	v_fma_f64 v[65:66], v[6:7], v[71:72], -v[65:66]
	ds_load_b128 v[6:9], v1 offset:512
	v_add_f64_e32 v[10:11], v[10:11], v[55:56]
	v_add_f64_e32 v[2:3], v[2:3], v[61:62]
	v_fma_f64 v[57:58], v[49:50], v[79:80], v[57:58]
	v_fma_f64 v[63:64], v[47:48], v[79:80], -v[63:64]
	ds_load_b128 v[47:50], v1 offset:528
	s_wait_loadcnt_dscnt 0x201
	v_mul_f64_e32 v[55:56], v[6:7], v[85:86]
	v_mul_f64_e32 v[61:62], v[8:9], v[85:86]
	v_add_f64_e32 v[10:11], v[10:11], v[59:60]
	v_add_f64_e32 v[2:3], v[2:3], v[65:66]
	s_delay_alu instid0(VALU_DEP_4) | instskip(NEXT) | instid1(VALU_DEP_4)
	v_fma_f64 v[8:9], v[8:9], v[83:84], v[55:56]
	v_fma_f64 v[6:7], v[6:7], v[83:84], -v[61:62]
	s_wait_loadcnt_dscnt 0x100
	v_mul_f64_e32 v[59:60], v[47:48], v[89:90]
	v_mul_f64_e32 v[65:66], v[49:50], v[89:90]
	v_add_f64_e32 v[10:11], v[10:11], v[57:58]
	v_add_f64_e32 v[2:3], v[2:3], v[63:64]
	s_delay_alu instid0(VALU_DEP_4) | instskip(NEXT) | instid1(VALU_DEP_4)
	v_fma_f64 v[49:50], v[49:50], v[87:88], v[59:60]
	v_fma_f64 v[47:48], v[47:48], v[87:88], -v[65:66]
	s_delay_alu instid0(VALU_DEP_3) | instskip(SKIP_1) | instid1(VALU_DEP_2)
	v_add_f64_e32 v[2:3], v[2:3], v[6:7]
	v_add_f64_e32 v[6:7], v[10:11], v[8:9]
	;; [unrolled: 1-line block ×3, first 2 shown]
	s_delay_alu instid0(VALU_DEP_2) | instskip(SKIP_1) | instid1(VALU_DEP_2)
	v_add_f64_e32 v[8:9], v[6:7], v[49:50]
	s_wait_loadcnt 0x0
	v_add_f64_e64 v[6:7], v[51:52], -v[2:3]
	s_delay_alu instid0(VALU_DEP_2)
	v_add_f64_e64 v[8:9], v[53:54], -v[8:9]
	scratch_store_b128 off, v[6:9], off offset:96
	v_cmpx_lt_u32_e32 4, v0
	s_cbranch_execz .LBB16_107
; %bb.106:
	scratch_load_b128 v[6:9], off, s10
	v_dual_mov_b32 v2, v1 :: v_dual_mov_b32 v3, v1
	v_mov_b32_e32 v4, v1
	scratch_store_b128 off, v[1:4], off offset:80
	s_wait_loadcnt 0x0
	ds_store_b128 v5, v[6:9]
.LBB16_107:
	s_wait_alu 0xfffe
	s_or_b32 exec_lo, exec_lo, s0
	s_wait_storecnt_dscnt 0x0
	s_barrier_signal -1
	s_barrier_wait -1
	global_inv scope:SCOPE_SE
	s_clause 0x7
	scratch_load_b128 v[6:9], off, off offset:96
	scratch_load_b128 v[47:50], off, off offset:112
	;; [unrolled: 1-line block ×8, first 2 shown]
	ds_load_b128 v[75:78], v1 offset:352
	s_clause 0x1
	scratch_load_b128 v[79:82], off, off offset:224
	scratch_load_b128 v[83:86], off, off offset:240
	s_mov_b32 s0, exec_lo
	s_wait_loadcnt_dscnt 0x900
	v_mul_f64_e32 v[2:3], v[77:78], v[8:9]
	v_mul_f64_e32 v[87:88], v[75:76], v[8:9]
	ds_load_b128 v[8:11], v1 offset:368
	v_fma_f64 v[2:3], v[75:76], v[6:7], -v[2:3]
	v_fma_f64 v[6:7], v[77:78], v[6:7], v[87:88]
	ds_load_b128 v[75:78], v1 offset:384
	s_wait_loadcnt_dscnt 0x801
	v_mul_f64_e32 v[91:92], v[8:9], v[49:50]
	v_mul_f64_e32 v[49:50], v[10:11], v[49:50]
	scratch_load_b128 v[87:90], off, off offset:256
	s_wait_loadcnt_dscnt 0x800
	v_mul_f64_e32 v[93:94], v[75:76], v[53:54]
	v_mul_f64_e32 v[53:54], v[77:78], v[53:54]
	v_add_f64_e32 v[2:3], 0, v[2:3]
	v_add_f64_e32 v[95:96], 0, v[6:7]
	v_fma_f64 v[10:11], v[10:11], v[47:48], v[91:92]
	v_fma_f64 v[91:92], v[8:9], v[47:48], -v[49:50]
	ds_load_b128 v[6:9], v1 offset:400
	scratch_load_b128 v[47:50], off, off offset:272
	v_fma_f64 v[77:78], v[77:78], v[51:52], v[93:94]
	v_fma_f64 v[75:76], v[75:76], v[51:52], -v[53:54]
	ds_load_b128 v[51:54], v1 offset:416
	s_wait_loadcnt_dscnt 0x801
	v_mul_f64_e32 v[97:98], v[6:7], v[57:58]
	v_mul_f64_e32 v[57:58], v[8:9], v[57:58]
	v_add_f64_e32 v[10:11], v[95:96], v[10:11]
	v_add_f64_e32 v[2:3], v[2:3], v[91:92]
	s_wait_loadcnt_dscnt 0x700
	v_mul_f64_e32 v[91:92], v[51:52], v[61:62]
	v_mul_f64_e32 v[61:62], v[53:54], v[61:62]
	v_fma_f64 v[93:94], v[8:9], v[55:56], v[97:98]
	v_fma_f64 v[55:56], v[6:7], v[55:56], -v[57:58]
	ds_load_b128 v[6:9], v1 offset:432
	v_add_f64_e32 v[10:11], v[10:11], v[77:78]
	v_add_f64_e32 v[2:3], v[2:3], v[75:76]
	v_fma_f64 v[77:78], v[53:54], v[59:60], v[91:92]
	v_fma_f64 v[59:60], v[51:52], v[59:60], -v[61:62]
	ds_load_b128 v[51:54], v1 offset:448
	s_wait_loadcnt_dscnt 0x601
	v_mul_f64_e32 v[75:76], v[6:7], v[65:66]
	v_mul_f64_e32 v[65:66], v[8:9], v[65:66]
	s_wait_loadcnt_dscnt 0x500
	v_mul_f64_e32 v[61:62], v[51:52], v[69:70]
	v_mul_f64_e32 v[69:70], v[53:54], v[69:70]
	v_add_f64_e32 v[10:11], v[10:11], v[93:94]
	v_add_f64_e32 v[2:3], v[2:3], v[55:56]
	scratch_load_b128 v[55:58], off, off offset:80
	v_fma_f64 v[75:76], v[8:9], v[63:64], v[75:76]
	v_fma_f64 v[63:64], v[6:7], v[63:64], -v[65:66]
	ds_load_b128 v[6:9], v1 offset:464
	v_fma_f64 v[61:62], v[53:54], v[67:68], v[61:62]
	v_fma_f64 v[67:68], v[51:52], v[67:68], -v[69:70]
	ds_load_b128 v[51:54], v1 offset:480
	s_wait_loadcnt_dscnt 0x501
	v_mul_f64_e32 v[65:66], v[8:9], v[73:74]
	v_add_f64_e32 v[10:11], v[10:11], v[77:78]
	v_add_f64_e32 v[2:3], v[2:3], v[59:60]
	v_mul_f64_e32 v[59:60], v[6:7], v[73:74]
	s_wait_loadcnt_dscnt 0x400
	v_mul_f64_e32 v[69:70], v[53:54], v[81:82]
	v_fma_f64 v[65:66], v[6:7], v[71:72], -v[65:66]
	v_add_f64_e32 v[10:11], v[10:11], v[75:76]
	v_add_f64_e32 v[2:3], v[2:3], v[63:64]
	v_mul_f64_e32 v[63:64], v[51:52], v[81:82]
	v_fma_f64 v[59:60], v[8:9], v[71:72], v[59:60]
	ds_load_b128 v[6:9], v1 offset:496
	v_fma_f64 v[69:70], v[51:52], v[79:80], -v[69:70]
	v_add_f64_e32 v[10:11], v[10:11], v[61:62]
	v_add_f64_e32 v[2:3], v[2:3], v[67:68]
	v_fma_f64 v[63:64], v[53:54], v[79:80], v[63:64]
	ds_load_b128 v[51:54], v1 offset:512
	s_wait_loadcnt_dscnt 0x301
	v_mul_f64_e32 v[61:62], v[6:7], v[85:86]
	v_mul_f64_e32 v[67:68], v[8:9], v[85:86]
	v_add_f64_e32 v[10:11], v[10:11], v[59:60]
	v_add_f64_e32 v[2:3], v[2:3], v[65:66]
	s_delay_alu instid0(VALU_DEP_4) | instskip(NEXT) | instid1(VALU_DEP_4)
	v_fma_f64 v[8:9], v[8:9], v[83:84], v[61:62]
	v_fma_f64 v[6:7], v[6:7], v[83:84], -v[67:68]
	s_wait_loadcnt_dscnt 0x200
	v_mul_f64_e32 v[59:60], v[51:52], v[89:90]
	v_mul_f64_e32 v[65:66], v[53:54], v[89:90]
	v_add_f64_e32 v[10:11], v[10:11], v[63:64]
	v_add_f64_e32 v[61:62], v[2:3], v[69:70]
	ds_load_b128 v[1:4], v1 offset:528
	v_fma_f64 v[53:54], v[53:54], v[87:88], v[59:60]
	v_fma_f64 v[51:52], v[51:52], v[87:88], -v[65:66]
	s_wait_loadcnt_dscnt 0x100
	v_mul_f64_e32 v[63:64], v[1:2], v[49:50]
	v_mul_f64_e32 v[49:50], v[3:4], v[49:50]
	v_add_f64_e32 v[8:9], v[10:11], v[8:9]
	v_add_f64_e32 v[6:7], v[61:62], v[6:7]
	s_delay_alu instid0(VALU_DEP_4) | instskip(NEXT) | instid1(VALU_DEP_4)
	v_fma_f64 v[3:4], v[3:4], v[47:48], v[63:64]
	v_fma_f64 v[1:2], v[1:2], v[47:48], -v[49:50]
	s_delay_alu instid0(VALU_DEP_4) | instskip(NEXT) | instid1(VALU_DEP_4)
	v_add_f64_e32 v[8:9], v[8:9], v[53:54]
	v_add_f64_e32 v[6:7], v[6:7], v[51:52]
	s_delay_alu instid0(VALU_DEP_2) | instskip(NEXT) | instid1(VALU_DEP_2)
	v_add_f64_e32 v[3:4], v[8:9], v[3:4]
	v_add_f64_e32 v[1:2], v[6:7], v[1:2]
	s_wait_loadcnt 0x0
	s_delay_alu instid0(VALU_DEP_2) | instskip(NEXT) | instid1(VALU_DEP_2)
	v_add_f64_e64 v[3:4], v[57:58], -v[3:4]
	v_add_f64_e64 v[1:2], v[55:56], -v[1:2]
	scratch_store_b128 off, v[1:4], off offset:80
	v_cmpx_lt_u32_e32 3, v0
	s_cbranch_execz .LBB16_109
; %bb.108:
	scratch_load_b128 v[1:4], off, s4
	v_mov_b32_e32 v6, 0
	s_delay_alu instid0(VALU_DEP_1)
	v_dual_mov_b32 v7, v6 :: v_dual_mov_b32 v8, v6
	v_mov_b32_e32 v9, v6
	scratch_store_b128 off, v[6:9], off offset:64
	s_wait_loadcnt 0x0
	ds_store_b128 v5, v[1:4]
.LBB16_109:
	s_wait_alu 0xfffe
	s_or_b32 exec_lo, exec_lo, s0
	s_wait_storecnt_dscnt 0x0
	s_barrier_signal -1
	s_barrier_wait -1
	global_inv scope:SCOPE_SE
	s_clause 0x7
	scratch_load_b128 v[6:9], off, off offset:80
	scratch_load_b128 v[47:50], off, off offset:96
	scratch_load_b128 v[51:54], off, off offset:112
	scratch_load_b128 v[55:58], off, off offset:128
	scratch_load_b128 v[59:62], off, off offset:144
	scratch_load_b128 v[63:66], off, off offset:160
	scratch_load_b128 v[67:70], off, off offset:176
	scratch_load_b128 v[71:74], off, off offset:192
	v_mov_b32_e32 v1, 0
	s_mov_b32 s0, exec_lo
	ds_load_b128 v[75:78], v1 offset:336
	s_clause 0x1
	scratch_load_b128 v[79:82], off, off offset:208
	scratch_load_b128 v[83:86], off, off offset:64
	ds_load_b128 v[87:90], v1 offset:352
	ds_load_b128 v[95:98], v1 offset:384
	s_wait_loadcnt_dscnt 0x902
	v_mul_f64_e32 v[2:3], v[77:78], v[8:9]
	v_mul_f64_e32 v[91:92], v[75:76], v[8:9]
	scratch_load_b128 v[8:11], off, off offset:224
	v_fma_f64 v[2:3], v[75:76], v[6:7], -v[2:3]
	v_fma_f64 v[6:7], v[77:78], v[6:7], v[91:92]
	ds_load_b128 v[75:78], v1 offset:368
	s_wait_loadcnt_dscnt 0x902
	v_mul_f64_e32 v[99:100], v[87:88], v[49:50]
	v_mul_f64_e32 v[49:50], v[89:90], v[49:50]
	scratch_load_b128 v[91:94], off, off offset:240
	s_wait_loadcnt_dscnt 0x900
	v_mul_f64_e32 v[101:102], v[75:76], v[53:54]
	v_mul_f64_e32 v[53:54], v[77:78], v[53:54]
	v_add_f64_e32 v[2:3], 0, v[2:3]
	v_add_f64_e32 v[6:7], 0, v[6:7]
	v_fma_f64 v[89:90], v[89:90], v[47:48], v[99:100]
	v_fma_f64 v[87:88], v[87:88], v[47:48], -v[49:50]
	scratch_load_b128 v[47:50], off, off offset:256
	v_fma_f64 v[101:102], v[77:78], v[51:52], v[101:102]
	v_fma_f64 v[103:104], v[75:76], v[51:52], -v[53:54]
	ds_load_b128 v[51:54], v1 offset:400
	s_wait_loadcnt 0x9
	v_mul_f64_e32 v[99:100], v[95:96], v[57:58]
	v_mul_f64_e32 v[57:58], v[97:98], v[57:58]
	scratch_load_b128 v[75:78], off, off offset:272
	v_add_f64_e32 v[6:7], v[6:7], v[89:90]
	v_add_f64_e32 v[2:3], v[2:3], v[87:88]
	ds_load_b128 v[87:90], v1 offset:416
	s_wait_loadcnt_dscnt 0x901
	v_mul_f64_e32 v[105:106], v[51:52], v[61:62]
	v_mul_f64_e32 v[61:62], v[53:54], v[61:62]
	v_fma_f64 v[97:98], v[97:98], v[55:56], v[99:100]
	v_fma_f64 v[55:56], v[95:96], v[55:56], -v[57:58]
	s_wait_loadcnt_dscnt 0x800
	v_mul_f64_e32 v[95:96], v[87:88], v[65:66]
	v_mul_f64_e32 v[65:66], v[89:90], v[65:66]
	v_add_f64_e32 v[6:7], v[6:7], v[101:102]
	v_add_f64_e32 v[2:3], v[2:3], v[103:104]
	v_fma_f64 v[99:100], v[53:54], v[59:60], v[105:106]
	v_fma_f64 v[59:60], v[51:52], v[59:60], -v[61:62]
	v_fma_f64 v[89:90], v[89:90], v[63:64], v[95:96]
	v_fma_f64 v[63:64], v[87:88], v[63:64], -v[65:66]
	v_add_f64_e32 v[6:7], v[6:7], v[97:98]
	v_add_f64_e32 v[2:3], v[2:3], v[55:56]
	ds_load_b128 v[51:54], v1 offset:432
	ds_load_b128 v[55:58], v1 offset:448
	s_wait_loadcnt_dscnt 0x701
	v_mul_f64_e32 v[61:62], v[51:52], v[69:70]
	v_mul_f64_e32 v[69:70], v[53:54], v[69:70]
	s_wait_loadcnt_dscnt 0x600
	v_mul_f64_e32 v[65:66], v[55:56], v[73:74]
	v_mul_f64_e32 v[73:74], v[57:58], v[73:74]
	v_add_f64_e32 v[6:7], v[6:7], v[99:100]
	v_add_f64_e32 v[2:3], v[2:3], v[59:60]
	v_fma_f64 v[87:88], v[53:54], v[67:68], v[61:62]
	v_fma_f64 v[67:68], v[51:52], v[67:68], -v[69:70]
	ds_load_b128 v[51:54], v1 offset:464
	ds_load_b128 v[59:62], v1 offset:480
	v_fma_f64 v[57:58], v[57:58], v[71:72], v[65:66]
	v_fma_f64 v[55:56], v[55:56], v[71:72], -v[73:74]
	v_add_f64_e32 v[6:7], v[6:7], v[89:90]
	v_add_f64_e32 v[2:3], v[2:3], v[63:64]
	s_wait_loadcnt_dscnt 0x501
	v_mul_f64_e32 v[63:64], v[51:52], v[81:82]
	v_mul_f64_e32 v[69:70], v[53:54], v[81:82]
	s_delay_alu instid0(VALU_DEP_4) | instskip(NEXT) | instid1(VALU_DEP_4)
	v_add_f64_e32 v[6:7], v[6:7], v[87:88]
	v_add_f64_e32 v[2:3], v[2:3], v[67:68]
	s_delay_alu instid0(VALU_DEP_4) | instskip(NEXT) | instid1(VALU_DEP_4)
	v_fma_f64 v[63:64], v[53:54], v[79:80], v[63:64]
	v_fma_f64 v[67:68], v[51:52], v[79:80], -v[69:70]
	s_wait_loadcnt_dscnt 0x300
	v_mul_f64_e32 v[65:66], v[59:60], v[10:11]
	v_mul_f64_e32 v[10:11], v[61:62], v[10:11]
	v_add_f64_e32 v[6:7], v[6:7], v[57:58]
	v_add_f64_e32 v[2:3], v[2:3], v[55:56]
	ds_load_b128 v[51:54], v1 offset:496
	ds_load_b128 v[55:58], v1 offset:512
	v_fma_f64 v[61:62], v[61:62], v[8:9], v[65:66]
	v_fma_f64 v[8:9], v[59:60], v[8:9], -v[10:11]
	s_wait_loadcnt_dscnt 0x201
	v_mul_f64_e32 v[69:70], v[51:52], v[93:94]
	v_mul_f64_e32 v[71:72], v[53:54], v[93:94]
	v_add_f64_e32 v[6:7], v[6:7], v[63:64]
	v_add_f64_e32 v[2:3], v[2:3], v[67:68]
	s_wait_loadcnt_dscnt 0x100
	v_mul_f64_e32 v[10:11], v[55:56], v[49:50]
	v_mul_f64_e32 v[49:50], v[57:58], v[49:50]
	v_fma_f64 v[53:54], v[53:54], v[91:92], v[69:70]
	v_fma_f64 v[51:52], v[51:52], v[91:92], -v[71:72]
	v_add_f64_e32 v[59:60], v[6:7], v[61:62]
	v_add_f64_e32 v[2:3], v[2:3], v[8:9]
	ds_load_b128 v[6:9], v1 offset:528
	v_fma_f64 v[10:11], v[57:58], v[47:48], v[10:11]
	v_fma_f64 v[47:48], v[55:56], v[47:48], -v[49:50]
	s_wait_loadcnt_dscnt 0x0
	v_mul_f64_e32 v[61:62], v[6:7], v[77:78]
	v_mul_f64_e32 v[63:64], v[8:9], v[77:78]
	v_add_f64_e32 v[49:50], v[59:60], v[53:54]
	v_add_f64_e32 v[2:3], v[2:3], v[51:52]
	s_delay_alu instid0(VALU_DEP_4) | instskip(NEXT) | instid1(VALU_DEP_4)
	v_fma_f64 v[8:9], v[8:9], v[75:76], v[61:62]
	v_fma_f64 v[6:7], v[6:7], v[75:76], -v[63:64]
	s_delay_alu instid0(VALU_DEP_4) | instskip(NEXT) | instid1(VALU_DEP_4)
	v_add_f64_e32 v[10:11], v[49:50], v[10:11]
	v_add_f64_e32 v[2:3], v[2:3], v[47:48]
	s_delay_alu instid0(VALU_DEP_2) | instskip(NEXT) | instid1(VALU_DEP_2)
	v_add_f64_e32 v[8:9], v[10:11], v[8:9]
	v_add_f64_e32 v[2:3], v[2:3], v[6:7]
	s_delay_alu instid0(VALU_DEP_2) | instskip(NEXT) | instid1(VALU_DEP_2)
	v_add_f64_e64 v[8:9], v[85:86], -v[8:9]
	v_add_f64_e64 v[6:7], v[83:84], -v[2:3]
	scratch_store_b128 off, v[6:9], off offset:64
	v_cmpx_lt_u32_e32 2, v0
	s_cbranch_execz .LBB16_111
; %bb.110:
	scratch_load_b128 v[6:9], off, s5
	v_dual_mov_b32 v2, v1 :: v_dual_mov_b32 v3, v1
	v_mov_b32_e32 v4, v1
	scratch_store_b128 off, v[1:4], off offset:48
	s_wait_loadcnt 0x0
	ds_store_b128 v5, v[6:9]
.LBB16_111:
	s_wait_alu 0xfffe
	s_or_b32 exec_lo, exec_lo, s0
	s_wait_storecnt_dscnt 0x0
	s_barrier_signal -1
	s_barrier_wait -1
	global_inv scope:SCOPE_SE
	s_clause 0x8
	scratch_load_b128 v[6:9], off, off offset:64
	scratch_load_b128 v[47:50], off, off offset:80
	;; [unrolled: 1-line block ×9, first 2 shown]
	ds_load_b128 v[79:82], v1 offset:320
	ds_load_b128 v[83:86], v1 offset:336
	scratch_load_b128 v[87:90], off, off offset:48
	s_mov_b32 s0, exec_lo
	ds_load_b128 v[95:98], v1 offset:368
	s_wait_loadcnt_dscnt 0x902
	v_mul_f64_e32 v[2:3], v[81:82], v[8:9]
	v_mul_f64_e32 v[91:92], v[79:80], v[8:9]
	scratch_load_b128 v[8:11], off, off offset:208
	s_wait_loadcnt_dscnt 0x901
	v_mul_f64_e32 v[99:100], v[83:84], v[49:50]
	v_mul_f64_e32 v[49:50], v[85:86], v[49:50]
	v_fma_f64 v[2:3], v[79:80], v[6:7], -v[2:3]
	v_fma_f64 v[6:7], v[81:82], v[6:7], v[91:92]
	ds_load_b128 v[79:82], v1 offset:352
	scratch_load_b128 v[91:94], off, off offset:224
	v_fma_f64 v[85:86], v[85:86], v[47:48], v[99:100]
	v_fma_f64 v[83:84], v[83:84], v[47:48], -v[49:50]
	scratch_load_b128 v[47:50], off, off offset:240
	s_wait_loadcnt_dscnt 0x901
	v_mul_f64_e32 v[99:100], v[95:96], v[57:58]
	v_mul_f64_e32 v[57:58], v[97:98], v[57:58]
	s_wait_dscnt 0x0
	v_mul_f64_e32 v[101:102], v[79:80], v[53:54]
	v_mul_f64_e32 v[53:54], v[81:82], v[53:54]
	v_add_f64_e32 v[2:3], 0, v[2:3]
	v_add_f64_e32 v[6:7], 0, v[6:7]
	v_fma_f64 v[97:98], v[97:98], v[55:56], v[99:100]
	v_fma_f64 v[95:96], v[95:96], v[55:56], -v[57:58]
	scratch_load_b128 v[55:58], off, off offset:272
	v_fma_f64 v[101:102], v[81:82], v[51:52], v[101:102]
	v_fma_f64 v[103:104], v[79:80], v[51:52], -v[53:54]
	ds_load_b128 v[51:54], v1 offset:384
	scratch_load_b128 v[79:82], off, off offset:256
	v_add_f64_e32 v[2:3], v[2:3], v[83:84]
	v_add_f64_e32 v[6:7], v[6:7], v[85:86]
	ds_load_b128 v[83:86], v1 offset:400
	s_wait_loadcnt_dscnt 0xa01
	v_mul_f64_e32 v[105:106], v[51:52], v[61:62]
	v_mul_f64_e32 v[61:62], v[53:54], v[61:62]
	s_wait_loadcnt_dscnt 0x900
	v_mul_f64_e32 v[99:100], v[83:84], v[65:66]
	v_mul_f64_e32 v[65:66], v[85:86], v[65:66]
	v_add_f64_e32 v[2:3], v[2:3], v[103:104]
	v_add_f64_e32 v[6:7], v[6:7], v[101:102]
	v_fma_f64 v[101:102], v[53:54], v[59:60], v[105:106]
	v_fma_f64 v[103:104], v[51:52], v[59:60], -v[61:62]
	ds_load_b128 v[51:54], v1 offset:416
	ds_load_b128 v[59:62], v1 offset:432
	v_fma_f64 v[85:86], v[85:86], v[63:64], v[99:100]
	v_fma_f64 v[63:64], v[83:84], v[63:64], -v[65:66]
	s_wait_loadcnt_dscnt 0x700
	v_mul_f64_e32 v[83:84], v[59:60], v[73:74]
	v_mul_f64_e32 v[73:74], v[61:62], v[73:74]
	v_add_f64_e32 v[2:3], v[2:3], v[95:96]
	v_add_f64_e32 v[6:7], v[6:7], v[97:98]
	v_mul_f64_e32 v[95:96], v[51:52], v[69:70]
	v_mul_f64_e32 v[69:70], v[53:54], v[69:70]
	v_fma_f64 v[61:62], v[61:62], v[71:72], v[83:84]
	v_fma_f64 v[59:60], v[59:60], v[71:72], -v[73:74]
	v_add_f64_e32 v[2:3], v[2:3], v[103:104]
	v_add_f64_e32 v[6:7], v[6:7], v[101:102]
	v_fma_f64 v[95:96], v[53:54], v[67:68], v[95:96]
	v_fma_f64 v[67:68], v[51:52], v[67:68], -v[69:70]
	s_delay_alu instid0(VALU_DEP_4) | instskip(NEXT) | instid1(VALU_DEP_4)
	v_add_f64_e32 v[2:3], v[2:3], v[63:64]
	v_add_f64_e32 v[6:7], v[6:7], v[85:86]
	ds_load_b128 v[51:54], v1 offset:448
	ds_load_b128 v[63:66], v1 offset:464
	s_wait_loadcnt_dscnt 0x601
	v_mul_f64_e32 v[69:70], v[51:52], v[77:78]
	v_mul_f64_e32 v[77:78], v[53:54], v[77:78]
	v_add_f64_e32 v[2:3], v[2:3], v[67:68]
	v_add_f64_e32 v[6:7], v[6:7], v[95:96]
	s_wait_loadcnt_dscnt 0x400
	v_mul_f64_e32 v[67:68], v[63:64], v[10:11]
	v_mul_f64_e32 v[10:11], v[65:66], v[10:11]
	v_fma_f64 v[69:70], v[53:54], v[75:76], v[69:70]
	v_fma_f64 v[71:72], v[51:52], v[75:76], -v[77:78]
	v_add_f64_e32 v[2:3], v[2:3], v[59:60]
	v_add_f64_e32 v[6:7], v[6:7], v[61:62]
	ds_load_b128 v[51:54], v1 offset:480
	ds_load_b128 v[59:62], v1 offset:496
	v_fma_f64 v[65:66], v[65:66], v[8:9], v[67:68]
	v_fma_f64 v[8:9], v[63:64], v[8:9], -v[10:11]
	s_wait_loadcnt_dscnt 0x301
	v_mul_f64_e32 v[73:74], v[51:52], v[93:94]
	v_mul_f64_e32 v[75:76], v[53:54], v[93:94]
	s_wait_loadcnt_dscnt 0x200
	v_mul_f64_e32 v[10:11], v[59:60], v[49:50]
	v_mul_f64_e32 v[49:50], v[61:62], v[49:50]
	v_add_f64_e32 v[2:3], v[2:3], v[71:72]
	v_add_f64_e32 v[6:7], v[6:7], v[69:70]
	v_fma_f64 v[53:54], v[53:54], v[91:92], v[73:74]
	v_fma_f64 v[51:52], v[51:52], v[91:92], -v[75:76]
	v_fma_f64 v[10:11], v[61:62], v[47:48], v[10:11]
	v_fma_f64 v[47:48], v[59:60], v[47:48], -v[49:50]
	v_add_f64_e32 v[63:64], v[2:3], v[8:9]
	v_add_f64_e32 v[65:66], v[6:7], v[65:66]
	ds_load_b128 v[6:9], v1 offset:512
	ds_load_b128 v[1:4], v1 offset:528
	s_wait_loadcnt_dscnt 0x1
	v_mul_f64_e32 v[67:68], v[6:7], v[81:82]
	v_mul_f64_e32 v[69:70], v[8:9], v[81:82]
	v_add_f64_e32 v[49:50], v[63:64], v[51:52]
	v_add_f64_e32 v[51:52], v[65:66], v[53:54]
	s_wait_dscnt 0x0
	v_mul_f64_e32 v[53:54], v[1:2], v[57:58]
	v_mul_f64_e32 v[57:58], v[3:4], v[57:58]
	v_fma_f64 v[8:9], v[8:9], v[79:80], v[67:68]
	v_fma_f64 v[6:7], v[6:7], v[79:80], -v[69:70]
	v_add_f64_e32 v[47:48], v[49:50], v[47:48]
	v_add_f64_e32 v[10:11], v[51:52], v[10:11]
	v_fma_f64 v[3:4], v[3:4], v[55:56], v[53:54]
	v_fma_f64 v[1:2], v[1:2], v[55:56], -v[57:58]
	s_delay_alu instid0(VALU_DEP_4) | instskip(NEXT) | instid1(VALU_DEP_4)
	v_add_f64_e32 v[6:7], v[47:48], v[6:7]
	v_add_f64_e32 v[8:9], v[10:11], v[8:9]
	s_delay_alu instid0(VALU_DEP_2) | instskip(NEXT) | instid1(VALU_DEP_2)
	v_add_f64_e32 v[1:2], v[6:7], v[1:2]
	v_add_f64_e32 v[3:4], v[8:9], v[3:4]
	s_delay_alu instid0(VALU_DEP_2) | instskip(NEXT) | instid1(VALU_DEP_2)
	v_add_f64_e64 v[1:2], v[87:88], -v[1:2]
	v_add_f64_e64 v[3:4], v[89:90], -v[3:4]
	scratch_store_b128 off, v[1:4], off offset:48
	v_cmpx_lt_u32_e32 1, v0
	s_cbranch_execz .LBB16_113
; %bb.112:
	scratch_load_b128 v[1:4], off, s9
	v_mov_b32_e32 v6, 0
	s_delay_alu instid0(VALU_DEP_1)
	v_dual_mov_b32 v7, v6 :: v_dual_mov_b32 v8, v6
	v_mov_b32_e32 v9, v6
	scratch_store_b128 off, v[6:9], off offset:32
	s_wait_loadcnt 0x0
	ds_store_b128 v5, v[1:4]
.LBB16_113:
	s_wait_alu 0xfffe
	s_or_b32 exec_lo, exec_lo, s0
	s_wait_storecnt_dscnt 0x0
	s_barrier_signal -1
	s_barrier_wait -1
	global_inv scope:SCOPE_SE
	s_clause 0x7
	scratch_load_b128 v[6:9], off, off offset:48
	scratch_load_b128 v[47:50], off, off offset:64
	;; [unrolled: 1-line block ×8, first 2 shown]
	v_mov_b32_e32 v1, 0
	s_mov_b32 s0, exec_lo
	ds_load_b128 v[75:78], v1 offset:304
	s_clause 0x1
	scratch_load_b128 v[79:82], off, off offset:176
	scratch_load_b128 v[83:86], off, off offset:32
	ds_load_b128 v[87:90], v1 offset:320
	ds_load_b128 v[95:98], v1 offset:352
	s_wait_loadcnt_dscnt 0x902
	v_mul_f64_e32 v[2:3], v[77:78], v[8:9]
	v_mul_f64_e32 v[91:92], v[75:76], v[8:9]
	scratch_load_b128 v[8:11], off, off offset:192
	v_fma_f64 v[2:3], v[75:76], v[6:7], -v[2:3]
	v_fma_f64 v[6:7], v[77:78], v[6:7], v[91:92]
	ds_load_b128 v[75:78], v1 offset:336
	s_wait_loadcnt_dscnt 0x902
	v_mul_f64_e32 v[99:100], v[87:88], v[49:50]
	v_mul_f64_e32 v[49:50], v[89:90], v[49:50]
	scratch_load_b128 v[91:94], off, off offset:208
	s_wait_loadcnt_dscnt 0x900
	v_mul_f64_e32 v[101:102], v[75:76], v[53:54]
	v_mul_f64_e32 v[53:54], v[77:78], v[53:54]
	v_add_f64_e32 v[2:3], 0, v[2:3]
	v_add_f64_e32 v[6:7], 0, v[6:7]
	v_fma_f64 v[89:90], v[89:90], v[47:48], v[99:100]
	v_fma_f64 v[87:88], v[87:88], v[47:48], -v[49:50]
	scratch_load_b128 v[47:50], off, off offset:224
	v_fma_f64 v[101:102], v[77:78], v[51:52], v[101:102]
	v_fma_f64 v[103:104], v[75:76], v[51:52], -v[53:54]
	ds_load_b128 v[51:54], v1 offset:368
	s_wait_loadcnt 0x9
	v_mul_f64_e32 v[99:100], v[95:96], v[57:58]
	v_mul_f64_e32 v[57:58], v[97:98], v[57:58]
	scratch_load_b128 v[75:78], off, off offset:240
	v_add_f64_e32 v[6:7], v[6:7], v[89:90]
	v_add_f64_e32 v[2:3], v[2:3], v[87:88]
	ds_load_b128 v[87:90], v1 offset:384
	s_wait_loadcnt_dscnt 0x901
	v_mul_f64_e32 v[105:106], v[51:52], v[61:62]
	v_mul_f64_e32 v[61:62], v[53:54], v[61:62]
	v_fma_f64 v[97:98], v[97:98], v[55:56], v[99:100]
	v_fma_f64 v[95:96], v[95:96], v[55:56], -v[57:58]
	scratch_load_b128 v[55:58], off, off offset:256
	v_add_f64_e32 v[6:7], v[6:7], v[101:102]
	v_add_f64_e32 v[2:3], v[2:3], v[103:104]
	v_fma_f64 v[101:102], v[53:54], v[59:60], v[105:106]
	v_fma_f64 v[103:104], v[51:52], v[59:60], -v[61:62]
	ds_load_b128 v[51:54], v1 offset:400
	s_wait_loadcnt_dscnt 0x901
	v_mul_f64_e32 v[99:100], v[87:88], v[65:66]
	v_mul_f64_e32 v[65:66], v[89:90], v[65:66]
	scratch_load_b128 v[59:62], off, off offset:272
	s_wait_loadcnt_dscnt 0x900
	v_mul_f64_e32 v[105:106], v[51:52], v[69:70]
	v_mul_f64_e32 v[69:70], v[53:54], v[69:70]
	v_add_f64_e32 v[6:7], v[6:7], v[97:98]
	v_add_f64_e32 v[2:3], v[2:3], v[95:96]
	ds_load_b128 v[95:98], v1 offset:416
	v_fma_f64 v[89:90], v[89:90], v[63:64], v[99:100]
	v_fma_f64 v[63:64], v[87:88], v[63:64], -v[65:66]
	s_wait_loadcnt_dscnt 0x800
	v_mul_f64_e32 v[87:88], v[95:96], v[73:74]
	v_mul_f64_e32 v[73:74], v[97:98], v[73:74]
	v_fma_f64 v[99:100], v[53:54], v[67:68], v[105:106]
	v_fma_f64 v[67:68], v[51:52], v[67:68], -v[69:70]
	v_add_f64_e32 v[6:7], v[6:7], v[101:102]
	v_add_f64_e32 v[2:3], v[2:3], v[103:104]
	v_fma_f64 v[87:88], v[97:98], v[71:72], v[87:88]
	v_fma_f64 v[71:72], v[95:96], v[71:72], -v[73:74]
	s_delay_alu instid0(VALU_DEP_4) | instskip(NEXT) | instid1(VALU_DEP_4)
	v_add_f64_e32 v[6:7], v[6:7], v[89:90]
	v_add_f64_e32 v[2:3], v[2:3], v[63:64]
	ds_load_b128 v[51:54], v1 offset:432
	ds_load_b128 v[63:66], v1 offset:448
	s_wait_loadcnt_dscnt 0x701
	v_mul_f64_e32 v[69:70], v[51:52], v[81:82]
	v_mul_f64_e32 v[81:82], v[53:54], v[81:82]
	v_add_f64_e32 v[6:7], v[6:7], v[99:100]
	v_add_f64_e32 v[2:3], v[2:3], v[67:68]
	s_wait_loadcnt_dscnt 0x500
	v_mul_f64_e32 v[73:74], v[63:64], v[10:11]
	v_mul_f64_e32 v[10:11], v[65:66], v[10:11]
	v_fma_f64 v[89:90], v[53:54], v[79:80], v[69:70]
	v_fma_f64 v[79:80], v[51:52], v[79:80], -v[81:82]
	ds_load_b128 v[51:54], v1 offset:464
	ds_load_b128 v[67:70], v1 offset:480
	v_add_f64_e32 v[6:7], v[6:7], v[87:88]
	v_add_f64_e32 v[2:3], v[2:3], v[71:72]
	v_fma_f64 v[65:66], v[65:66], v[8:9], v[73:74]
	v_fma_f64 v[8:9], v[63:64], v[8:9], -v[10:11]
	s_wait_loadcnt_dscnt 0x401
	v_mul_f64_e32 v[71:72], v[51:52], v[93:94]
	v_mul_f64_e32 v[81:82], v[53:54], v[93:94]
	v_add_f64_e32 v[6:7], v[6:7], v[89:90]
	v_add_f64_e32 v[2:3], v[2:3], v[79:80]
	s_wait_loadcnt_dscnt 0x300
	v_mul_f64_e32 v[10:11], v[67:68], v[49:50]
	v_mul_f64_e32 v[63:64], v[69:70], v[49:50]
	v_fma_f64 v[53:54], v[53:54], v[91:92], v[71:72]
	v_fma_f64 v[71:72], v[51:52], v[91:92], -v[81:82]
	v_add_f64_e32 v[65:66], v[6:7], v[65:66]
	v_add_f64_e32 v[2:3], v[2:3], v[8:9]
	ds_load_b128 v[6:9], v1 offset:496
	ds_load_b128 v[49:52], v1 offset:512
	v_fma_f64 v[10:11], v[69:70], v[47:48], v[10:11]
	v_fma_f64 v[47:48], v[67:68], v[47:48], -v[63:64]
	s_wait_loadcnt_dscnt 0x201
	v_mul_f64_e32 v[73:74], v[6:7], v[77:78]
	v_mul_f64_e32 v[77:78], v[8:9], v[77:78]
	v_add_f64_e32 v[53:54], v[65:66], v[53:54]
	v_add_f64_e32 v[2:3], v[2:3], v[71:72]
	s_wait_loadcnt_dscnt 0x100
	v_mul_f64_e32 v[63:64], v[49:50], v[57:58]
	v_mul_f64_e32 v[57:58], v[51:52], v[57:58]
	v_fma_f64 v[65:66], v[8:9], v[75:76], v[73:74]
	v_fma_f64 v[67:68], v[6:7], v[75:76], -v[77:78]
	ds_load_b128 v[6:9], v1 offset:528
	v_add_f64_e32 v[10:11], v[53:54], v[10:11]
	v_add_f64_e32 v[2:3], v[2:3], v[47:48]
	v_fma_f64 v[51:52], v[51:52], v[55:56], v[63:64]
	v_fma_f64 v[49:50], v[49:50], v[55:56], -v[57:58]
	s_wait_loadcnt_dscnt 0x0
	v_mul_f64_e32 v[47:48], v[6:7], v[61:62]
	v_mul_f64_e32 v[53:54], v[8:9], v[61:62]
	v_add_f64_e32 v[10:11], v[10:11], v[65:66]
	v_add_f64_e32 v[2:3], v[2:3], v[67:68]
	s_delay_alu instid0(VALU_DEP_4) | instskip(NEXT) | instid1(VALU_DEP_4)
	v_fma_f64 v[8:9], v[8:9], v[59:60], v[47:48]
	v_fma_f64 v[6:7], v[6:7], v[59:60], -v[53:54]
	s_delay_alu instid0(VALU_DEP_4) | instskip(NEXT) | instid1(VALU_DEP_4)
	v_add_f64_e32 v[10:11], v[10:11], v[51:52]
	v_add_f64_e32 v[2:3], v[2:3], v[49:50]
	s_delay_alu instid0(VALU_DEP_2) | instskip(NEXT) | instid1(VALU_DEP_2)
	v_add_f64_e32 v[8:9], v[10:11], v[8:9]
	v_add_f64_e32 v[2:3], v[2:3], v[6:7]
	s_delay_alu instid0(VALU_DEP_2) | instskip(NEXT) | instid1(VALU_DEP_2)
	v_add_f64_e64 v[8:9], v[85:86], -v[8:9]
	v_add_f64_e64 v[6:7], v[83:84], -v[2:3]
	scratch_store_b128 off, v[6:9], off offset:32
	v_cmpx_ne_u32_e32 0, v0
	s_cbranch_execz .LBB16_115
; %bb.114:
	scratch_load_b128 v[6:9], off, off offset:16
	v_dual_mov_b32 v2, v1 :: v_dual_mov_b32 v3, v1
	v_mov_b32_e32 v4, v1
	scratch_store_b128 off, v[1:4], off offset:16
	s_wait_loadcnt 0x0
	ds_store_b128 v5, v[6:9]
.LBB16_115:
	s_wait_alu 0xfffe
	s_or_b32 exec_lo, exec_lo, s0
	s_wait_storecnt_dscnt 0x0
	s_barrier_signal -1
	s_barrier_wait -1
	global_inv scope:SCOPE_SE
	s_clause 0x8
	scratch_load_b128 v[2:5], off, off offset:32
	scratch_load_b128 v[6:9], off, off offset:48
	;; [unrolled: 1-line block ×9, first 2 shown]
	ds_load_b128 v[75:78], v1 offset:288
	ds_load_b128 v[79:82], v1 offset:304
	s_clause 0x1
	scratch_load_b128 v[83:86], off, off offset:16
	scratch_load_b128 v[87:90], off, off offset:176
	s_and_b32 vcc_lo, exec_lo, s18
	s_wait_loadcnt_dscnt 0xa01
	v_mul_f64_e32 v[10:11], v[77:78], v[4:5]
	v_mul_f64_e32 v[4:5], v[75:76], v[4:5]
	s_wait_loadcnt_dscnt 0x900
	v_mul_f64_e32 v[91:92], v[79:80], v[8:9]
	v_mul_f64_e32 v[93:94], v[81:82], v[8:9]
	s_delay_alu instid0(VALU_DEP_4) | instskip(NEXT) | instid1(VALU_DEP_4)
	v_fma_f64 v[95:96], v[75:76], v[2:3], -v[10:11]
	v_fma_f64 v[97:98], v[77:78], v[2:3], v[4:5]
	ds_load_b128 v[2:5], v1 offset:320
	ds_load_b128 v[75:78], v1 offset:336
	scratch_load_b128 v[8:11], off, off offset:192
	v_fma_f64 v[91:92], v[81:82], v[6:7], v[91:92]
	v_fma_f64 v[6:7], v[79:80], v[6:7], -v[93:94]
	scratch_load_b128 v[79:82], off, off offset:208
	s_wait_loadcnt_dscnt 0xa01
	v_mul_f64_e32 v[99:100], v[2:3], v[49:50]
	v_mul_f64_e32 v[49:50], v[4:5], v[49:50]
	v_add_f64_e32 v[93:94], 0, v[95:96]
	v_add_f64_e32 v[95:96], 0, v[97:98]
	s_wait_loadcnt_dscnt 0x900
	v_mul_f64_e32 v[97:98], v[75:76], v[53:54]
	v_mul_f64_e32 v[53:54], v[77:78], v[53:54]
	v_fma_f64 v[99:100], v[4:5], v[47:48], v[99:100]
	v_fma_f64 v[101:102], v[2:3], v[47:48], -v[49:50]
	ds_load_b128 v[2:5], v1 offset:352
	scratch_load_b128 v[47:50], off, off offset:224
	v_add_f64_e32 v[6:7], v[93:94], v[6:7]
	v_add_f64_e32 v[95:96], v[95:96], v[91:92]
	ds_load_b128 v[91:94], v1 offset:368
	v_fma_f64 v[77:78], v[77:78], v[51:52], v[97:98]
	v_fma_f64 v[75:76], v[75:76], v[51:52], -v[53:54]
	scratch_load_b128 v[51:54], off, off offset:240
	s_wait_loadcnt_dscnt 0xa01
	v_mul_f64_e32 v[103:104], v[2:3], v[57:58]
	v_mul_f64_e32 v[57:58], v[4:5], v[57:58]
	s_wait_loadcnt_dscnt 0x900
	v_mul_f64_e32 v[97:98], v[91:92], v[61:62]
	v_mul_f64_e32 v[61:62], v[93:94], v[61:62]
	v_add_f64_e32 v[6:7], v[6:7], v[101:102]
	v_add_f64_e32 v[95:96], v[95:96], v[99:100]
	v_fma_f64 v[99:100], v[4:5], v[55:56], v[103:104]
	v_fma_f64 v[101:102], v[2:3], v[55:56], -v[57:58]
	ds_load_b128 v[2:5], v1 offset:384
	scratch_load_b128 v[55:58], off, off offset:256
	v_fma_f64 v[93:94], v[93:94], v[59:60], v[97:98]
	v_fma_f64 v[91:92], v[91:92], v[59:60], -v[61:62]
	scratch_load_b128 v[59:62], off, off offset:272
	v_add_f64_e32 v[6:7], v[6:7], v[75:76]
	v_add_f64_e32 v[95:96], v[95:96], v[77:78]
	ds_load_b128 v[75:78], v1 offset:400
	s_wait_loadcnt_dscnt 0xa01
	v_mul_f64_e32 v[103:104], v[2:3], v[65:66]
	v_mul_f64_e32 v[65:66], v[4:5], v[65:66]
	s_wait_loadcnt_dscnt 0x900
	v_mul_f64_e32 v[97:98], v[75:76], v[69:70]
	v_mul_f64_e32 v[69:70], v[77:78], v[69:70]
	v_add_f64_e32 v[6:7], v[6:7], v[101:102]
	v_add_f64_e32 v[95:96], v[95:96], v[99:100]
	v_fma_f64 v[99:100], v[4:5], v[63:64], v[103:104]
	v_fma_f64 v[101:102], v[2:3], v[63:64], -v[65:66]
	ds_load_b128 v[2:5], v1 offset:416
	ds_load_b128 v[63:66], v1 offset:432
	v_fma_f64 v[77:78], v[77:78], v[67:68], v[97:98]
	v_fma_f64 v[67:68], v[75:76], v[67:68], -v[69:70]
	s_wait_loadcnt_dscnt 0x600
	v_mul_f64_e32 v[75:76], v[63:64], v[89:90]
	v_mul_f64_e32 v[89:90], v[65:66], v[89:90]
	v_add_f64_e32 v[6:7], v[6:7], v[91:92]
	v_add_f64_e32 v[91:92], v[95:96], v[93:94]
	v_mul_f64_e32 v[93:94], v[2:3], v[73:74]
	v_mul_f64_e32 v[73:74], v[4:5], v[73:74]
	v_fma_f64 v[65:66], v[65:66], v[87:88], v[75:76]
	v_fma_f64 v[63:64], v[63:64], v[87:88], -v[89:90]
	v_add_f64_e32 v[6:7], v[6:7], v[101:102]
	v_add_f64_e32 v[69:70], v[91:92], v[99:100]
	v_fma_f64 v[91:92], v[4:5], v[71:72], v[93:94]
	v_fma_f64 v[71:72], v[2:3], v[71:72], -v[73:74]
	s_delay_alu instid0(VALU_DEP_4) | instskip(NEXT) | instid1(VALU_DEP_4)
	v_add_f64_e32 v[6:7], v[6:7], v[67:68]
	v_add_f64_e32 v[73:74], v[69:70], v[77:78]
	ds_load_b128 v[2:5], v1 offset:448
	ds_load_b128 v[67:70], v1 offset:464
	s_wait_loadcnt_dscnt 0x501
	v_mul_f64_e32 v[77:78], v[2:3], v[10:11]
	v_mul_f64_e32 v[10:11], v[4:5], v[10:11]
	s_wait_loadcnt_dscnt 0x400
	v_mul_f64_e32 v[75:76], v[69:70], v[81:82]
	v_add_f64_e32 v[6:7], v[6:7], v[71:72]
	v_add_f64_e32 v[71:72], v[73:74], v[91:92]
	v_mul_f64_e32 v[73:74], v[67:68], v[81:82]
	v_fma_f64 v[77:78], v[4:5], v[8:9], v[77:78]
	v_fma_f64 v[10:11], v[2:3], v[8:9], -v[10:11]
	v_fma_f64 v[67:68], v[67:68], v[79:80], -v[75:76]
	v_add_f64_e32 v[63:64], v[6:7], v[63:64]
	v_add_f64_e32 v[65:66], v[71:72], v[65:66]
	ds_load_b128 v[2:5], v1 offset:480
	ds_load_b128 v[6:9], v1 offset:496
	v_fma_f64 v[69:70], v[69:70], v[79:80], v[73:74]
	s_wait_loadcnt_dscnt 0x301
	v_mul_f64_e32 v[71:72], v[2:3], v[49:50]
	v_mul_f64_e32 v[49:50], v[4:5], v[49:50]
	v_add_f64_e32 v[10:11], v[63:64], v[10:11]
	v_add_f64_e32 v[63:64], v[65:66], v[77:78]
	s_wait_loadcnt_dscnt 0x200
	v_mul_f64_e32 v[65:66], v[6:7], v[53:54]
	v_mul_f64_e32 v[53:54], v[8:9], v[53:54]
	v_fma_f64 v[71:72], v[4:5], v[47:48], v[71:72]
	v_fma_f64 v[73:74], v[2:3], v[47:48], -v[49:50]
	ds_load_b128 v[2:5], v1 offset:512
	ds_load_b128 v[47:50], v1 offset:528
	v_add_f64_e32 v[10:11], v[10:11], v[67:68]
	v_add_f64_e32 v[63:64], v[63:64], v[69:70]
	v_fma_f64 v[8:9], v[8:9], v[51:52], v[65:66]
	v_fma_f64 v[6:7], v[6:7], v[51:52], -v[53:54]
	s_wait_loadcnt_dscnt 0x101
	v_mul_f64_e32 v[0:1], v[2:3], v[57:58]
	v_mul_f64_e32 v[57:58], v[4:5], v[57:58]
	s_wait_loadcnt_dscnt 0x0
	v_mul_f64_e32 v[53:54], v[47:48], v[61:62]
	v_mul_f64_e32 v[61:62], v[49:50], v[61:62]
	v_add_f64_e32 v[10:11], v[10:11], v[73:74]
	v_add_f64_e32 v[51:52], v[63:64], v[71:72]
	v_fma_f64 v[0:1], v[4:5], v[55:56], v[0:1]
	v_fma_f64 v[2:3], v[2:3], v[55:56], -v[57:58]
	s_delay_alu instid0(VALU_DEP_4) | instskip(NEXT) | instid1(VALU_DEP_4)
	v_add_f64_e32 v[4:5], v[10:11], v[6:7]
	v_add_f64_e32 v[6:7], v[51:52], v[8:9]
	v_fma_f64 v[8:9], v[49:50], v[59:60], v[53:54]
	v_fma_f64 v[10:11], v[47:48], v[59:60], -v[61:62]
	s_delay_alu instid0(VALU_DEP_4) | instskip(NEXT) | instid1(VALU_DEP_4)
	v_add_f64_e32 v[2:3], v[4:5], v[2:3]
	v_add_f64_e32 v[0:1], v[6:7], v[0:1]
	s_delay_alu instid0(VALU_DEP_2) | instskip(NEXT) | instid1(VALU_DEP_2)
	v_add_f64_e32 v[2:3], v[2:3], v[10:11]
	v_add_f64_e32 v[4:5], v[0:1], v[8:9]
	s_delay_alu instid0(VALU_DEP_2) | instskip(NEXT) | instid1(VALU_DEP_2)
	v_add_f64_e64 v[0:1], v[83:84], -v[2:3]
	v_add_f64_e64 v[2:3], v[85:86], -v[4:5]
	scratch_store_b128 off, v[0:3], off offset:16
	s_wait_alu 0xfffe
	s_cbranch_vccz .LBB16_148
; %bb.116:
	v_mov_b32_e32 v0, 0
	global_load_b32 v1, v0, s[2:3] offset:60
	s_wait_loadcnt 0x0
	v_cmp_ne_u32_e32 vcc_lo, 16, v1
	s_cbranch_vccz .LBB16_118
; %bb.117:
	v_lshlrev_b32_e32 v1, 4, v1
	s_delay_alu instid0(VALU_DEP_1)
	v_add_nc_u32_e32 v9, 16, v1
	s_clause 0x1
	scratch_load_b128 v[1:4], v9, off offset:-16
	scratch_load_b128 v[5:8], off, s22
	s_wait_loadcnt 0x1
	scratch_store_b128 off, v[1:4], s22
	s_wait_loadcnt 0x0
	scratch_store_b128 v9, v[5:8], off offset:-16
.LBB16_118:
	global_load_b32 v0, v0, s[2:3] offset:56
	s_wait_loadcnt 0x0
	v_cmp_eq_u32_e32 vcc_lo, 15, v0
	s_cbranch_vccnz .LBB16_120
; %bb.119:
	v_lshlrev_b32_e32 v0, 4, v0
	s_delay_alu instid0(VALU_DEP_1)
	v_add_nc_u32_e32 v8, 16, v0
	s_clause 0x1
	scratch_load_b128 v[0:3], v8, off offset:-16
	scratch_load_b128 v[4:7], off, s23
	s_wait_loadcnt 0x1
	scratch_store_b128 off, v[0:3], s23
	s_wait_loadcnt 0x0
	scratch_store_b128 v8, v[4:7], off offset:-16
.LBB16_120:
	v_mov_b32_e32 v0, 0
	global_load_b32 v1, v0, s[2:3] offset:52
	s_wait_loadcnt 0x0
	v_cmp_eq_u32_e32 vcc_lo, 14, v1
	s_cbranch_vccnz .LBB16_122
; %bb.121:
	v_lshlrev_b32_e32 v1, 4, v1
	s_delay_alu instid0(VALU_DEP_1)
	v_add_nc_u32_e32 v9, 16, v1
	s_clause 0x1
	scratch_load_b128 v[1:4], v9, off offset:-16
	scratch_load_b128 v[5:8], off, s20
	s_wait_loadcnt 0x1
	scratch_store_b128 off, v[1:4], s20
	s_wait_loadcnt 0x0
	scratch_store_b128 v9, v[5:8], off offset:-16
.LBB16_122:
	global_load_b32 v0, v0, s[2:3] offset:48
	s_wait_loadcnt 0x0
	v_cmp_eq_u32_e32 vcc_lo, 13, v0
	s_cbranch_vccnz .LBB16_124
; %bb.123:
	v_lshlrev_b32_e32 v0, 4, v0
	s_delay_alu instid0(VALU_DEP_1)
	v_add_nc_u32_e32 v8, 16, v0
	s_clause 0x1
	scratch_load_b128 v[0:3], v8, off offset:-16
	scratch_load_b128 v[4:7], off, s21
	s_wait_loadcnt 0x1
	scratch_store_b128 off, v[0:3], s21
	s_wait_loadcnt 0x0
	scratch_store_b128 v8, v[4:7], off offset:-16
.LBB16_124:
	v_mov_b32_e32 v0, 0
	global_load_b32 v1, v0, s[2:3] offset:44
	s_wait_loadcnt 0x0
	v_cmp_eq_u32_e32 vcc_lo, 12, v1
	s_cbranch_vccnz .LBB16_126
; %bb.125:
	v_lshlrev_b32_e32 v1, 4, v1
	s_delay_alu instid0(VALU_DEP_1)
	v_add_nc_u32_e32 v9, 16, v1
	s_clause 0x1
	scratch_load_b128 v[1:4], v9, off offset:-16
	scratch_load_b128 v[5:8], off, s15
	s_wait_loadcnt 0x1
	scratch_store_b128 off, v[1:4], s15
	s_wait_loadcnt 0x0
	scratch_store_b128 v9, v[5:8], off offset:-16
.LBB16_126:
	;; [unrolled: 33-line block ×7, first 2 shown]
	global_load_b32 v0, v0, s[2:3]
	s_wait_loadcnt 0x0
	v_cmp_eq_u32_e32 vcc_lo, 1, v0
	s_cbranch_vccnz .LBB16_148
; %bb.147:
	v_lshlrev_b32_e32 v0, 4, v0
	s_delay_alu instid0(VALU_DEP_1)
	v_add_nc_u32_e32 v8, 16, v0
	scratch_load_b128 v[0:3], v8, off offset:-16
	scratch_load_b128 v[4:7], off, off offset:16
	s_wait_loadcnt 0x1
	scratch_store_b128 off, v[0:3], off offset:16
	s_wait_loadcnt 0x0
	scratch_store_b128 v8, v[4:7], off offset:-16
.LBB16_148:
	scratch_load_b128 v[0:3], off, off offset:16
	s_clause 0xf
	scratch_load_b128 v[4:7], off, s9
	scratch_load_b128 v[8:11], off, s5
	;; [unrolled: 1-line block ×16, first 2 shown]
	s_wait_loadcnt 0x10
	global_store_b128 v[13:14], v[0:3], off
	s_wait_loadcnt 0xf
	global_store_b128 v[15:16], v[4:7], off
	;; [unrolled: 2-line block ×17, first 2 shown]
	s_nop 0
	s_sendmsg sendmsg(MSG_DEALLOC_VGPRS)
	s_endpgm
	.section	.rodata,"a",@progbits
	.p2align	6, 0x0
	.amdhsa_kernel _ZN9rocsolver6v33100L18getri_kernel_smallILi17E19rocblas_complex_numIdEPS3_EEvT1_iilPiilS6_bb
		.amdhsa_group_segment_fixed_size 552
		.amdhsa_private_segment_fixed_size 304
		.amdhsa_kernarg_size 60
		.amdhsa_user_sgpr_count 2
		.amdhsa_user_sgpr_dispatch_ptr 0
		.amdhsa_user_sgpr_queue_ptr 0
		.amdhsa_user_sgpr_kernarg_segment_ptr 1
		.amdhsa_user_sgpr_dispatch_id 0
		.amdhsa_user_sgpr_private_segment_size 0
		.amdhsa_wavefront_size32 1
		.amdhsa_uses_dynamic_stack 0
		.amdhsa_enable_private_segment 1
		.amdhsa_system_sgpr_workgroup_id_x 1
		.amdhsa_system_sgpr_workgroup_id_y 0
		.amdhsa_system_sgpr_workgroup_id_z 0
		.amdhsa_system_sgpr_workgroup_info 0
		.amdhsa_system_vgpr_workitem_id 0
		.amdhsa_next_free_vgpr 107
		.amdhsa_next_free_sgpr 28
		.amdhsa_reserve_vcc 1
		.amdhsa_float_round_mode_32 0
		.amdhsa_float_round_mode_16_64 0
		.amdhsa_float_denorm_mode_32 3
		.amdhsa_float_denorm_mode_16_64 3
		.amdhsa_fp16_overflow 0
		.amdhsa_workgroup_processor_mode 1
		.amdhsa_memory_ordered 1
		.amdhsa_forward_progress 1
		.amdhsa_inst_pref_size 152
		.amdhsa_round_robin_scheduling 0
		.amdhsa_exception_fp_ieee_invalid_op 0
		.amdhsa_exception_fp_denorm_src 0
		.amdhsa_exception_fp_ieee_div_zero 0
		.amdhsa_exception_fp_ieee_overflow 0
		.amdhsa_exception_fp_ieee_underflow 0
		.amdhsa_exception_fp_ieee_inexact 0
		.amdhsa_exception_int_div_zero 0
	.end_amdhsa_kernel
	.section	.text._ZN9rocsolver6v33100L18getri_kernel_smallILi17E19rocblas_complex_numIdEPS3_EEvT1_iilPiilS6_bb,"axG",@progbits,_ZN9rocsolver6v33100L18getri_kernel_smallILi17E19rocblas_complex_numIdEPS3_EEvT1_iilPiilS6_bb,comdat
.Lfunc_end16:
	.size	_ZN9rocsolver6v33100L18getri_kernel_smallILi17E19rocblas_complex_numIdEPS3_EEvT1_iilPiilS6_bb, .Lfunc_end16-_ZN9rocsolver6v33100L18getri_kernel_smallILi17E19rocblas_complex_numIdEPS3_EEvT1_iilPiilS6_bb
                                        ; -- End function
	.set _ZN9rocsolver6v33100L18getri_kernel_smallILi17E19rocblas_complex_numIdEPS3_EEvT1_iilPiilS6_bb.num_vgpr, 107
	.set _ZN9rocsolver6v33100L18getri_kernel_smallILi17E19rocblas_complex_numIdEPS3_EEvT1_iilPiilS6_bb.num_agpr, 0
	.set _ZN9rocsolver6v33100L18getri_kernel_smallILi17E19rocblas_complex_numIdEPS3_EEvT1_iilPiilS6_bb.numbered_sgpr, 28
	.set _ZN9rocsolver6v33100L18getri_kernel_smallILi17E19rocblas_complex_numIdEPS3_EEvT1_iilPiilS6_bb.num_named_barrier, 0
	.set _ZN9rocsolver6v33100L18getri_kernel_smallILi17E19rocblas_complex_numIdEPS3_EEvT1_iilPiilS6_bb.private_seg_size, 304
	.set _ZN9rocsolver6v33100L18getri_kernel_smallILi17E19rocblas_complex_numIdEPS3_EEvT1_iilPiilS6_bb.uses_vcc, 1
	.set _ZN9rocsolver6v33100L18getri_kernel_smallILi17E19rocblas_complex_numIdEPS3_EEvT1_iilPiilS6_bb.uses_flat_scratch, 1
	.set _ZN9rocsolver6v33100L18getri_kernel_smallILi17E19rocblas_complex_numIdEPS3_EEvT1_iilPiilS6_bb.has_dyn_sized_stack, 0
	.set _ZN9rocsolver6v33100L18getri_kernel_smallILi17E19rocblas_complex_numIdEPS3_EEvT1_iilPiilS6_bb.has_recursion, 0
	.set _ZN9rocsolver6v33100L18getri_kernel_smallILi17E19rocblas_complex_numIdEPS3_EEvT1_iilPiilS6_bb.has_indirect_call, 0
	.section	.AMDGPU.csdata,"",@progbits
; Kernel info:
; codeLenInByte = 19332
; TotalNumSgprs: 30
; NumVgprs: 107
; ScratchSize: 304
; MemoryBound: 0
; FloatMode: 240
; IeeeMode: 1
; LDSByteSize: 552 bytes/workgroup (compile time only)
; SGPRBlocks: 0
; VGPRBlocks: 13
; NumSGPRsForWavesPerEU: 30
; NumVGPRsForWavesPerEU: 107
; Occupancy: 12
; WaveLimiterHint : 1
; COMPUTE_PGM_RSRC2:SCRATCH_EN: 1
; COMPUTE_PGM_RSRC2:USER_SGPR: 2
; COMPUTE_PGM_RSRC2:TRAP_HANDLER: 0
; COMPUTE_PGM_RSRC2:TGID_X_EN: 1
; COMPUTE_PGM_RSRC2:TGID_Y_EN: 0
; COMPUTE_PGM_RSRC2:TGID_Z_EN: 0
; COMPUTE_PGM_RSRC2:TIDIG_COMP_CNT: 0
	.section	.text._ZN9rocsolver6v33100L18getri_kernel_smallILi18E19rocblas_complex_numIdEPS3_EEvT1_iilPiilS6_bb,"axG",@progbits,_ZN9rocsolver6v33100L18getri_kernel_smallILi18E19rocblas_complex_numIdEPS3_EEvT1_iilPiilS6_bb,comdat
	.globl	_ZN9rocsolver6v33100L18getri_kernel_smallILi18E19rocblas_complex_numIdEPS3_EEvT1_iilPiilS6_bb ; -- Begin function _ZN9rocsolver6v33100L18getri_kernel_smallILi18E19rocblas_complex_numIdEPS3_EEvT1_iilPiilS6_bb
	.p2align	8
	.type	_ZN9rocsolver6v33100L18getri_kernel_smallILi18E19rocblas_complex_numIdEPS3_EEvT1_iilPiilS6_bb,@function
_ZN9rocsolver6v33100L18getri_kernel_smallILi18E19rocblas_complex_numIdEPS3_EEvT1_iilPiilS6_bb: ; @_ZN9rocsolver6v33100L18getri_kernel_smallILi18E19rocblas_complex_numIdEPS3_EEvT1_iilPiilS6_bb
; %bb.0:
	s_mov_b32 s2, exec_lo
	v_cmpx_gt_u32_e32 18, v0
	s_cbranch_execz .LBB17_86
; %bb.1:
	s_clause 0x2
	s_load_b32 s2, s[0:1], 0x38
	s_load_b128 s[12:15], s[0:1], 0x10
	s_load_b128 s[4:7], s[0:1], 0x28
	s_mov_b32 s16, ttmp9
	s_wait_kmcnt 0x0
	s_bitcmp1_b32 s2, 8
	s_cselect_b32 s18, -1, 0
	s_bfe_u32 s2, s2, 0x10008
	s_ashr_i32 s17, ttmp9, 31
	s_cmp_eq_u32 s2, 0
                                        ; implicit-def: $sgpr2_sgpr3
	s_cbranch_scc1 .LBB17_3
; %bb.2:
	s_load_b32 s2, s[0:1], 0x20
	s_mul_u64 s[4:5], s[4:5], s[16:17]
	s_delay_alu instid0(SALU_CYCLE_1) | instskip(NEXT) | instid1(SALU_CYCLE_1)
	s_lshl_b64 s[4:5], s[4:5], 2
	s_add_nc_u64 s[4:5], s[14:15], s[4:5]
	s_wait_kmcnt 0x0
	s_ashr_i32 s3, s2, 31
	s_delay_alu instid0(SALU_CYCLE_1) | instskip(NEXT) | instid1(SALU_CYCLE_1)
	s_lshl_b64 s[2:3], s[2:3], 2
	s_add_nc_u64 s[2:3], s[4:5], s[2:3]
.LBB17_3:
	s_clause 0x1
	s_load_b128 s[8:11], s[0:1], 0x0
	s_load_b32 s26, s[0:1], 0x38
	s_mul_u64 s[0:1], s[12:13], s[16:17]
	v_lshlrev_b32_e32 v49, 4, v0
	s_lshl_b64 s[0:1], s[0:1], 4
	s_wait_kmcnt 0x0
	v_add3_u32 v5, s11, s11, v0
	s_ashr_i32 s5, s10, 31
	s_mov_b32 s4, s10
	s_add_nc_u64 s[0:1], s[8:9], s[0:1]
	s_lshl_b64 s[4:5], s[4:5], 4
	v_add_nc_u32_e32 v7, s11, v5
	v_ashrrev_i32_e32 v6, 31, v5
	s_add_nc_u64 s[0:1], s[0:1], s[4:5]
	s_ashr_i32 s9, s11, 31
	v_add_co_u32 v13, s4, s0, v49
	v_add_nc_u32_e32 v9, s11, v7
	v_ashrrev_i32_e32 v8, 31, v7
	s_mov_b32 s8, s11
	v_lshlrev_b64_e32 v[5:6], 4, v[5:6]
	v_add_co_ci_u32_e64 v14, null, s1, 0, s4
	v_add_nc_u32_e32 v23, s11, v9
	v_ashrrev_i32_e32 v10, 31, v9
	s_lshl_b64 s[8:9], s[8:9], 4
	v_lshlrev_b64_e32 v[19:20], 4, v[7:8]
	v_add_co_u32 v15, vcc_lo, v13, s8
	v_add_nc_u32_e32 v25, s11, v23
	v_ashrrev_i32_e32 v24, 31, v23
	v_lshlrev_b64_e32 v[21:22], 4, v[9:10]
	v_add_co_ci_u32_e64 v16, null, s9, v14, vcc_lo
	s_delay_alu instid0(VALU_DEP_4) | instskip(SKIP_3) | instid1(VALU_DEP_4)
	v_add_nc_u32_e32 v27, s11, v25
	v_ashrrev_i32_e32 v26, 31, v25
	v_add_co_u32 v17, vcc_lo, s0, v5
	v_lshlrev_b64_e32 v[23:24], 4, v[23:24]
	v_add_nc_u32_e32 v29, s11, v27
	v_ashrrev_i32_e32 v28, 31, v27
	s_wait_alu 0xfffd
	v_add_co_ci_u32_e64 v18, null, s1, v6, vcc_lo
	v_add_co_u32 v19, vcc_lo, s0, v19
	v_add_nc_u32_e32 v31, s11, v29
	v_ashrrev_i32_e32 v30, 31, v29
	v_lshlrev_b64_e32 v[25:26], 4, v[25:26]
	s_wait_alu 0xfffd
	v_add_co_ci_u32_e64 v20, null, s1, v20, vcc_lo
	v_add_nc_u32_e32 v33, s11, v31
	v_ashrrev_i32_e32 v32, 31, v31
	v_add_co_u32 v21, vcc_lo, s0, v21
	v_lshlrev_b64_e32 v[27:28], 4, v[27:28]
	s_delay_alu instid0(VALU_DEP_4)
	v_add_nc_u32_e32 v35, s11, v33
	v_ashrrev_i32_e32 v34, 31, v33
	s_wait_alu 0xfffd
	v_add_co_ci_u32_e64 v22, null, s1, v22, vcc_lo
	v_add_co_u32 v23, vcc_lo, s0, v23
	v_add_nc_u32_e32 v37, s11, v35
	v_lshlrev_b64_e32 v[29:30], 4, v[29:30]
	v_ashrrev_i32_e32 v36, 31, v35
	s_wait_alu 0xfffd
	v_add_co_ci_u32_e64 v24, null, s1, v24, vcc_lo
	v_add_nc_u32_e32 v39, s11, v37
	v_add_co_u32 v25, vcc_lo, s0, v25
	v_lshlrev_b64_e32 v[31:32], 4, v[31:32]
	v_ashrrev_i32_e32 v38, 31, v37
	s_delay_alu instid0(VALU_DEP_4) | instskip(SKIP_3) | instid1(VALU_DEP_3)
	v_add_nc_u32_e32 v41, s11, v39
	s_wait_alu 0xfffd
	v_add_co_ci_u32_e64 v26, null, s1, v26, vcc_lo
	v_add_co_u32 v27, vcc_lo, s0, v27
	v_add_nc_u32_e32 v43, s11, v41
	v_lshlrev_b64_e32 v[33:34], 4, v[33:34]
	v_ashrrev_i32_e32 v40, 31, v39
	s_wait_alu 0xfffd
	v_add_co_ci_u32_e64 v28, null, s1, v28, vcc_lo
	v_add_nc_u32_e32 v45, s11, v43
	v_add_co_u32 v29, vcc_lo, s0, v29
	v_lshlrev_b64_e32 v[35:36], 4, v[35:36]
	v_ashrrev_i32_e32 v42, 31, v41
	s_wait_alu 0xfffd
	v_add_co_ci_u32_e64 v30, null, s1, v30, vcc_lo
	v_add_co_u32 v31, vcc_lo, s0, v31
	v_lshlrev_b64_e32 v[37:38], 4, v[37:38]
	v_add_nc_u32_e32 v47, s11, v45
	v_ashrrev_i32_e32 v44, 31, v43
	s_wait_alu 0xfffd
	v_add_co_ci_u32_e64 v32, null, s1, v32, vcc_lo
	v_add_co_u32 v33, vcc_lo, s0, v33
	v_lshlrev_b64_e32 v[39:40], 4, v[39:40]
	v_ashrrev_i32_e32 v46, 31, v45
	s_wait_alu 0xfffd
	v_add_co_ci_u32_e64 v34, null, s1, v34, vcc_lo
	v_add_co_u32 v35, vcc_lo, s0, v35
	v_lshlrev_b64_e32 v[41:42], 4, v[41:42]
	;; [unrolled: 5-line block ×3, first 2 shown]
	s_wait_alu 0xfffd
	v_add_co_ci_u32_e64 v38, null, s1, v38, vcc_lo
	v_add_co_u32 v39, vcc_lo, s0, v39
	v_lshlrev_b64_e32 v[45:46], 4, v[45:46]
	s_wait_alu 0xfffd
	v_add_co_ci_u32_e64 v40, null, s1, v40, vcc_lo
	v_add_co_u32 v41, vcc_lo, s0, v41
	v_lshlrev_b64_e32 v[47:48], 4, v[47:48]
	s_wait_alu 0xfffd
	v_add_co_ci_u32_e64 v42, null, s1, v42, vcc_lo
	v_add_co_u32 v43, vcc_lo, s0, v43
	s_wait_alu 0xfffd
	v_add_co_ci_u32_e64 v44, null, s1, v44, vcc_lo
	v_add_co_u32 v45, vcc_lo, s0, v45
	;; [unrolled: 3-line block ×3, first 2 shown]
	s_wait_alu 0xfffd
	v_add_co_ci_u32_e64 v48, null, s1, v48, vcc_lo
	s_clause 0x11
	global_load_b128 v[1:4], v49, s[0:1]
	global_load_b128 v[5:8], v[15:16], off
	global_load_b128 v[9:12], v[17:18], off
	;; [unrolled: 1-line block ×17, first 2 shown]
	s_movk_i32 s0, 0x50
	s_movk_i32 s1, 0x70
	s_wait_alu 0xfffe
	s_add_co_i32 s4, s0, 16
	s_movk_i32 s0, 0x60
	s_add_co_i32 s10, s1, 16
	s_wait_alu 0xfffe
	s_add_co_i32 s12, s0, 16
	s_movk_i32 s0, 0x80
	s_movk_i32 s1, 0x90
	s_wait_alu 0xfffe
	s_add_co_i32 s14, s0, 16
	s_add_co_i32 s13, s1, 16
	s_movk_i32 s0, 0xa0
	s_movk_i32 s1, 0xb0
	s_wait_alu 0xfffe
	s_add_co_i32 s19, s0, 16
	s_add_co_i32 s15, s1, 16
	s_movk_i32 s0, 0xc0
	s_movk_i32 s1, 0xd0
	s_wait_alu 0xfffe
	s_add_co_i32 s21, s0, 16
	s_add_co_i32 s20, s1, 16
	s_movk_i32 s0, 0xe0
	s_movk_i32 s1, 0xf0
	s_wait_alu 0xfffe
	s_add_co_i32 s23, s0, 16
	s_add_co_i32 s22, s1, 16
	s_movk_i32 s0, 0x100
	s_movk_i32 s1, 0x110
	s_wait_alu 0xfffe
	s_add_co_i32 s25, s0, 16
	s_add_co_i32 s24, s1, 16
	s_mov_b32 s11, 32
	s_mov_b32 s9, 48
	;; [unrolled: 1-line block ×3, first 2 shown]
	s_movk_i32 s8, 0x50
	s_mov_b32 s1, -1
	s_bitcmp0_b32 s26, 0
	s_wait_loadcnt 0x11
	scratch_store_b128 off, v[1:4], off offset:16
	s_wait_loadcnt 0x10
	scratch_store_b128 off, v[5:8], off offset:32
	;; [unrolled: 2-line block ×18, first 2 shown]
	s_cbranch_scc1 .LBB17_84
; %bb.4:
	v_cmp_eq_u32_e64 s0, 0, v0
	s_and_saveexec_b32 s1, s0
; %bb.5:
	v_mov_b32_e32 v1, 0
	ds_store_b32 v1, v1 offset:576
; %bb.6:
	s_wait_alu 0xfffe
	s_or_b32 exec_lo, exec_lo, s1
	s_wait_storecnt_dscnt 0x0
	s_barrier_signal -1
	s_barrier_wait -1
	global_inv scope:SCOPE_SE
	scratch_load_b128 v[1:4], v49, off offset:16
	s_wait_loadcnt 0x0
	v_cmp_eq_f64_e32 vcc_lo, 0, v[1:2]
	v_cmp_eq_f64_e64 s1, 0, v[3:4]
	s_and_b32 s1, vcc_lo, s1
	s_wait_alu 0xfffe
	s_and_saveexec_b32 s26, s1
	s_cbranch_execz .LBB17_10
; %bb.7:
	v_mov_b32_e32 v1, 0
	s_mov_b32 s27, 0
	ds_load_b32 v2, v1 offset:576
	s_wait_dscnt 0x0
	v_readfirstlane_b32 s1, v2
	v_add_nc_u32_e32 v2, 1, v0
	s_cmp_eq_u32 s1, 0
	s_delay_alu instid0(VALU_DEP_1) | instskip(SKIP_1) | instid1(SALU_CYCLE_1)
	v_cmp_gt_i32_e32 vcc_lo, s1, v2
	s_cselect_b32 s28, -1, 0
	s_or_b32 s28, s28, vcc_lo
	s_delay_alu instid0(SALU_CYCLE_1)
	s_and_b32 exec_lo, exec_lo, s28
	s_cbranch_execz .LBB17_10
; %bb.8:
	v_mov_b32_e32 v3, s1
.LBB17_9:                               ; =>This Inner Loop Header: Depth=1
	ds_cmpstore_rtn_b32 v3, v1, v2, v3 offset:576
	s_wait_dscnt 0x0
	v_cmp_ne_u32_e32 vcc_lo, 0, v3
	v_cmp_le_i32_e64 s1, v3, v2
	s_and_b32 s1, vcc_lo, s1
	s_wait_alu 0xfffe
	s_and_b32 s1, exec_lo, s1
	s_wait_alu 0xfffe
	s_or_b32 s27, s1, s27
	s_delay_alu instid0(SALU_CYCLE_1)
	s_and_not1_b32 exec_lo, exec_lo, s27
	s_cbranch_execnz .LBB17_9
.LBB17_10:
	s_or_b32 exec_lo, exec_lo, s26
	v_mov_b32_e32 v1, 0
	s_barrier_signal -1
	s_barrier_wait -1
	global_inv scope:SCOPE_SE
	ds_load_b32 v2, v1 offset:576
	s_and_saveexec_b32 s1, s0
	s_cbranch_execz .LBB17_12
; %bb.11:
	s_lshl_b64 s[26:27], s[16:17], 2
	s_delay_alu instid0(SALU_CYCLE_1)
	s_add_nc_u64 s[26:27], s[6:7], s[26:27]
	s_wait_dscnt 0x0
	global_store_b32 v1, v2, s[26:27]
.LBB17_12:
	s_wait_alu 0xfffe
	s_or_b32 exec_lo, exec_lo, s1
	s_wait_dscnt 0x0
	v_cmp_ne_u32_e32 vcc_lo, 0, v2
	s_mov_b32 s1, 0
	s_cbranch_vccnz .LBB17_84
; %bb.13:
	v_add_nc_u32_e32 v50, 16, v49
                                        ; implicit-def: $vgpr1_vgpr2
                                        ; implicit-def: $vgpr9_vgpr10
	scratch_load_b128 v[5:8], v50, off
	s_wait_loadcnt 0x0
	v_cmp_ngt_f64_e64 s1, |v[5:6]|, |v[7:8]|
	s_wait_alu 0xfffe
	s_and_saveexec_b32 s26, s1
	s_delay_alu instid0(SALU_CYCLE_1)
	s_xor_b32 s1, exec_lo, s26
	s_cbranch_execz .LBB17_15
; %bb.14:
	v_div_scale_f64 v[1:2], null, v[7:8], v[7:8], v[5:6]
	v_div_scale_f64 v[11:12], vcc_lo, v[5:6], v[7:8], v[5:6]
	s_delay_alu instid0(VALU_DEP_2) | instskip(NEXT) | instid1(TRANS32_DEP_1)
	v_rcp_f64_e32 v[3:4], v[1:2]
	v_fma_f64 v[9:10], -v[1:2], v[3:4], 1.0
	s_delay_alu instid0(VALU_DEP_1) | instskip(NEXT) | instid1(VALU_DEP_1)
	v_fma_f64 v[3:4], v[3:4], v[9:10], v[3:4]
	v_fma_f64 v[9:10], -v[1:2], v[3:4], 1.0
	s_delay_alu instid0(VALU_DEP_1) | instskip(NEXT) | instid1(VALU_DEP_1)
	v_fma_f64 v[3:4], v[3:4], v[9:10], v[3:4]
	v_mul_f64_e32 v[9:10], v[11:12], v[3:4]
	s_delay_alu instid0(VALU_DEP_1) | instskip(SKIP_1) | instid1(VALU_DEP_1)
	v_fma_f64 v[1:2], -v[1:2], v[9:10], v[11:12]
	s_wait_alu 0xfffd
	v_div_fmas_f64 v[1:2], v[1:2], v[3:4], v[9:10]
	s_delay_alu instid0(VALU_DEP_1) | instskip(NEXT) | instid1(VALU_DEP_1)
	v_div_fixup_f64 v[1:2], v[1:2], v[7:8], v[5:6]
	v_fma_f64 v[3:4], v[5:6], v[1:2], v[7:8]
	s_delay_alu instid0(VALU_DEP_1) | instskip(SKIP_1) | instid1(VALU_DEP_2)
	v_div_scale_f64 v[5:6], null, v[3:4], v[3:4], 1.0
	v_div_scale_f64 v[11:12], vcc_lo, 1.0, v[3:4], 1.0
	v_rcp_f64_e32 v[7:8], v[5:6]
	s_delay_alu instid0(TRANS32_DEP_1) | instskip(NEXT) | instid1(VALU_DEP_1)
	v_fma_f64 v[9:10], -v[5:6], v[7:8], 1.0
	v_fma_f64 v[7:8], v[7:8], v[9:10], v[7:8]
	s_delay_alu instid0(VALU_DEP_1) | instskip(NEXT) | instid1(VALU_DEP_1)
	v_fma_f64 v[9:10], -v[5:6], v[7:8], 1.0
	v_fma_f64 v[7:8], v[7:8], v[9:10], v[7:8]
	s_delay_alu instid0(VALU_DEP_1) | instskip(NEXT) | instid1(VALU_DEP_1)
	v_mul_f64_e32 v[9:10], v[11:12], v[7:8]
	v_fma_f64 v[5:6], -v[5:6], v[9:10], v[11:12]
	s_wait_alu 0xfffd
	s_delay_alu instid0(VALU_DEP_1) | instskip(NEXT) | instid1(VALU_DEP_1)
	v_div_fmas_f64 v[5:6], v[5:6], v[7:8], v[9:10]
	v_div_fixup_f64 v[3:4], v[5:6], v[3:4], 1.0
                                        ; implicit-def: $vgpr5_vgpr6
	s_delay_alu instid0(VALU_DEP_1) | instskip(SKIP_1) | instid1(VALU_DEP_2)
	v_mul_f64_e32 v[1:2], v[1:2], v[3:4]
	v_xor_b32_e32 v4, 0x80000000, v4
	v_xor_b32_e32 v10, 0x80000000, v2
	s_delay_alu instid0(VALU_DEP_3)
	v_mov_b32_e32 v9, v1
.LBB17_15:
	s_wait_alu 0xfffe
	s_and_not1_saveexec_b32 s1, s1
	s_cbranch_execz .LBB17_17
; %bb.16:
	v_div_scale_f64 v[1:2], null, v[5:6], v[5:6], v[7:8]
	v_div_scale_f64 v[11:12], vcc_lo, v[7:8], v[5:6], v[7:8]
	s_delay_alu instid0(VALU_DEP_2) | instskip(NEXT) | instid1(TRANS32_DEP_1)
	v_rcp_f64_e32 v[3:4], v[1:2]
	v_fma_f64 v[9:10], -v[1:2], v[3:4], 1.0
	s_delay_alu instid0(VALU_DEP_1) | instskip(NEXT) | instid1(VALU_DEP_1)
	v_fma_f64 v[3:4], v[3:4], v[9:10], v[3:4]
	v_fma_f64 v[9:10], -v[1:2], v[3:4], 1.0
	s_delay_alu instid0(VALU_DEP_1) | instskip(NEXT) | instid1(VALU_DEP_1)
	v_fma_f64 v[3:4], v[3:4], v[9:10], v[3:4]
	v_mul_f64_e32 v[9:10], v[11:12], v[3:4]
	s_delay_alu instid0(VALU_DEP_1) | instskip(SKIP_1) | instid1(VALU_DEP_1)
	v_fma_f64 v[1:2], -v[1:2], v[9:10], v[11:12]
	s_wait_alu 0xfffd
	v_div_fmas_f64 v[1:2], v[1:2], v[3:4], v[9:10]
	s_delay_alu instid0(VALU_DEP_1) | instskip(NEXT) | instid1(VALU_DEP_1)
	v_div_fixup_f64 v[3:4], v[1:2], v[5:6], v[7:8]
	v_fma_f64 v[1:2], v[7:8], v[3:4], v[5:6]
	s_delay_alu instid0(VALU_DEP_1) | instskip(NEXT) | instid1(VALU_DEP_1)
	v_div_scale_f64 v[5:6], null, v[1:2], v[1:2], 1.0
	v_rcp_f64_e32 v[7:8], v[5:6]
	s_delay_alu instid0(TRANS32_DEP_1) | instskip(NEXT) | instid1(VALU_DEP_1)
	v_fma_f64 v[9:10], -v[5:6], v[7:8], 1.0
	v_fma_f64 v[7:8], v[7:8], v[9:10], v[7:8]
	s_delay_alu instid0(VALU_DEP_1) | instskip(NEXT) | instid1(VALU_DEP_1)
	v_fma_f64 v[9:10], -v[5:6], v[7:8], 1.0
	v_fma_f64 v[7:8], v[7:8], v[9:10], v[7:8]
	v_div_scale_f64 v[9:10], vcc_lo, 1.0, v[1:2], 1.0
	s_delay_alu instid0(VALU_DEP_1) | instskip(NEXT) | instid1(VALU_DEP_1)
	v_mul_f64_e32 v[11:12], v[9:10], v[7:8]
	v_fma_f64 v[5:6], -v[5:6], v[11:12], v[9:10]
	s_wait_alu 0xfffd
	s_delay_alu instid0(VALU_DEP_1) | instskip(NEXT) | instid1(VALU_DEP_1)
	v_div_fmas_f64 v[5:6], v[5:6], v[7:8], v[11:12]
	v_div_fixup_f64 v[1:2], v[5:6], v[1:2], 1.0
	s_delay_alu instid0(VALU_DEP_1)
	v_mul_f64_e64 v[3:4], v[3:4], -v[1:2]
	v_xor_b32_e32 v10, 0x80000000, v2
	v_mov_b32_e32 v9, v1
.LBB17_17:
	s_wait_alu 0xfffe
	s_or_b32 exec_lo, exec_lo, s1
	scratch_store_b128 v50, v[1:4], off
	scratch_load_b128 v[51:54], off, s11
	v_xor_b32_e32 v12, 0x80000000, v4
	v_mov_b32_e32 v11, v3
	v_add_nc_u32_e32 v5, 0x120, v49
	ds_store_b128 v49, v[9:12]
	s_wait_loadcnt 0x0
	ds_store_b128 v49, v[51:54] offset:288
	s_wait_storecnt_dscnt 0x0
	s_barrier_signal -1
	s_barrier_wait -1
	global_inv scope:SCOPE_SE
	s_and_saveexec_b32 s1, s0
	s_cbranch_execz .LBB17_19
; %bb.18:
	scratch_load_b128 v[1:4], v50, off
	ds_load_b128 v[6:9], v5
	v_mov_b32_e32 v10, 0
	ds_load_b128 v[51:54], v10 offset:16
	s_wait_loadcnt_dscnt 0x1
	v_mul_f64_e32 v[10:11], v[6:7], v[3:4]
	v_mul_f64_e32 v[3:4], v[8:9], v[3:4]
	s_delay_alu instid0(VALU_DEP_2) | instskip(NEXT) | instid1(VALU_DEP_2)
	v_fma_f64 v[8:9], v[8:9], v[1:2], v[10:11]
	v_fma_f64 v[1:2], v[6:7], v[1:2], -v[3:4]
	s_delay_alu instid0(VALU_DEP_2) | instskip(NEXT) | instid1(VALU_DEP_2)
	v_add_f64_e32 v[3:4], 0, v[8:9]
	v_add_f64_e32 v[1:2], 0, v[1:2]
	s_wait_dscnt 0x0
	s_delay_alu instid0(VALU_DEP_2) | instskip(NEXT) | instid1(VALU_DEP_2)
	v_mul_f64_e32 v[6:7], v[3:4], v[53:54]
	v_mul_f64_e32 v[8:9], v[1:2], v[53:54]
	s_delay_alu instid0(VALU_DEP_2) | instskip(NEXT) | instid1(VALU_DEP_2)
	v_fma_f64 v[1:2], v[1:2], v[51:52], -v[6:7]
	v_fma_f64 v[3:4], v[3:4], v[51:52], v[8:9]
	scratch_store_b128 off, v[1:4], off offset:32
.LBB17_19:
	s_wait_alu 0xfffe
	s_or_b32 exec_lo, exec_lo, s1
	s_wait_loadcnt 0x0
	s_wait_storecnt 0x0
	s_barrier_signal -1
	s_barrier_wait -1
	global_inv scope:SCOPE_SE
	scratch_load_b128 v[1:4], off, s9
	s_mov_b32 s1, exec_lo
	s_wait_loadcnt 0x0
	ds_store_b128 v5, v[1:4]
	s_wait_dscnt 0x0
	s_barrier_signal -1
	s_barrier_wait -1
	global_inv scope:SCOPE_SE
	v_cmpx_gt_u32_e32 2, v0
	s_cbranch_execz .LBB17_23
; %bb.20:
	scratch_load_b128 v[1:4], v50, off
	ds_load_b128 v[6:9], v5
	s_wait_loadcnt_dscnt 0x0
	v_mul_f64_e32 v[10:11], v[8:9], v[3:4]
	v_mul_f64_e32 v[3:4], v[6:7], v[3:4]
	s_delay_alu instid0(VALU_DEP_2) | instskip(NEXT) | instid1(VALU_DEP_2)
	v_fma_f64 v[6:7], v[6:7], v[1:2], -v[10:11]
	v_fma_f64 v[3:4], v[8:9], v[1:2], v[3:4]
	s_delay_alu instid0(VALU_DEP_2) | instskip(NEXT) | instid1(VALU_DEP_2)
	v_add_f64_e32 v[1:2], 0, v[6:7]
	v_add_f64_e32 v[3:4], 0, v[3:4]
	s_and_saveexec_b32 s26, s0
	s_cbranch_execz .LBB17_22
; %bb.21:
	scratch_load_b128 v[6:9], off, off offset:32
	v_mov_b32_e32 v10, 0
	ds_load_b128 v[51:54], v10 offset:304
	s_wait_loadcnt_dscnt 0x0
	v_mul_f64_e32 v[10:11], v[51:52], v[8:9]
	v_mul_f64_e32 v[8:9], v[53:54], v[8:9]
	s_delay_alu instid0(VALU_DEP_2) | instskip(NEXT) | instid1(VALU_DEP_2)
	v_fma_f64 v[10:11], v[53:54], v[6:7], v[10:11]
	v_fma_f64 v[6:7], v[51:52], v[6:7], -v[8:9]
	s_delay_alu instid0(VALU_DEP_2) | instskip(NEXT) | instid1(VALU_DEP_2)
	v_add_f64_e32 v[3:4], v[3:4], v[10:11]
	v_add_f64_e32 v[1:2], v[1:2], v[6:7]
.LBB17_22:
	s_or_b32 exec_lo, exec_lo, s26
	v_mov_b32_e32 v6, 0
	ds_load_b128 v[6:9], v6 offset:32
	s_wait_dscnt 0x0
	v_mul_f64_e32 v[10:11], v[3:4], v[8:9]
	v_mul_f64_e32 v[8:9], v[1:2], v[8:9]
	s_delay_alu instid0(VALU_DEP_2) | instskip(NEXT) | instid1(VALU_DEP_2)
	v_fma_f64 v[1:2], v[1:2], v[6:7], -v[10:11]
	v_fma_f64 v[3:4], v[3:4], v[6:7], v[8:9]
	scratch_store_b128 off, v[1:4], off offset:48
.LBB17_23:
	s_wait_alu 0xfffe
	s_or_b32 exec_lo, exec_lo, s1
	s_wait_loadcnt 0x0
	s_wait_storecnt 0x0
	s_barrier_signal -1
	s_barrier_wait -1
	global_inv scope:SCOPE_SE
	scratch_load_b128 v[1:4], off, s5
	v_add_nc_u32_e32 v6, -1, v0
	s_mov_b32 s0, exec_lo
	s_wait_loadcnt 0x0
	ds_store_b128 v5, v[1:4]
	s_wait_dscnt 0x0
	s_barrier_signal -1
	s_barrier_wait -1
	global_inv scope:SCOPE_SE
	v_cmpx_gt_u32_e32 3, v0
	s_cbranch_execz .LBB17_27
; %bb.24:
	v_dual_mov_b32 v1, 0 :: v_dual_add_nc_u32 v8, 0x120, v49
	v_mov_b32_e32 v3, 0
	v_dual_mov_b32 v2, 0 :: v_dual_add_nc_u32 v7, -1, v0
	v_mov_b32_e32 v4, 0
	v_or_b32_e32 v9, 8, v50
	s_mov_b32 s1, 0
.LBB17_25:                              ; =>This Inner Loop Header: Depth=1
	scratch_load_b128 v[51:54], v9, off offset:-8
	ds_load_b128 v[55:58], v8
	v_add_nc_u32_e32 v7, 1, v7
	v_add_nc_u32_e32 v8, 16, v8
	v_add_nc_u32_e32 v9, 16, v9
	s_delay_alu instid0(VALU_DEP_3)
	v_cmp_lt_u32_e32 vcc_lo, 1, v7
	s_wait_alu 0xfffe
	s_or_b32 s1, vcc_lo, s1
	s_wait_loadcnt_dscnt 0x0
	v_mul_f64_e32 v[10:11], v[57:58], v[53:54]
	v_mul_f64_e32 v[53:54], v[55:56], v[53:54]
	s_delay_alu instid0(VALU_DEP_2) | instskip(NEXT) | instid1(VALU_DEP_2)
	v_fma_f64 v[10:11], v[55:56], v[51:52], -v[10:11]
	v_fma_f64 v[51:52], v[57:58], v[51:52], v[53:54]
	s_delay_alu instid0(VALU_DEP_2) | instskip(NEXT) | instid1(VALU_DEP_2)
	v_add_f64_e32 v[3:4], v[3:4], v[10:11]
	v_add_f64_e32 v[1:2], v[1:2], v[51:52]
	s_wait_alu 0xfffe
	s_and_not1_b32 exec_lo, exec_lo, s1
	s_cbranch_execnz .LBB17_25
; %bb.26:
	s_or_b32 exec_lo, exec_lo, s1
	v_mov_b32_e32 v7, 0
	ds_load_b128 v[7:10], v7 offset:48
	s_wait_dscnt 0x0
	v_mul_f64_e32 v[11:12], v[1:2], v[9:10]
	v_mul_f64_e32 v[51:52], v[3:4], v[9:10]
	s_delay_alu instid0(VALU_DEP_2) | instskip(NEXT) | instid1(VALU_DEP_2)
	v_fma_f64 v[9:10], v[3:4], v[7:8], -v[11:12]
	v_fma_f64 v[11:12], v[1:2], v[7:8], v[51:52]
	scratch_store_b128 off, v[9:12], off offset:64
.LBB17_27:
	s_wait_alu 0xfffe
	s_or_b32 exec_lo, exec_lo, s0
	s_wait_loadcnt 0x0
	s_wait_storecnt 0x0
	s_barrier_signal -1
	s_barrier_wait -1
	global_inv scope:SCOPE_SE
	scratch_load_b128 v[1:4], off, s8
	s_mov_b32 s0, exec_lo
	s_wait_loadcnt 0x0
	ds_store_b128 v5, v[1:4]
	s_wait_dscnt 0x0
	s_barrier_signal -1
	s_barrier_wait -1
	global_inv scope:SCOPE_SE
	v_cmpx_gt_u32_e32 4, v0
	s_cbranch_execz .LBB17_31
; %bb.28:
	v_dual_mov_b32 v1, 0 :: v_dual_add_nc_u32 v8, 0x120, v49
	v_mov_b32_e32 v3, 0
	v_dual_mov_b32 v2, 0 :: v_dual_add_nc_u32 v7, -1, v0
	v_mov_b32_e32 v4, 0
	v_or_b32_e32 v9, 8, v50
	s_mov_b32 s1, 0
.LBB17_29:                              ; =>This Inner Loop Header: Depth=1
	scratch_load_b128 v[51:54], v9, off offset:-8
	ds_load_b128 v[55:58], v8
	v_add_nc_u32_e32 v7, 1, v7
	v_add_nc_u32_e32 v8, 16, v8
	v_add_nc_u32_e32 v9, 16, v9
	s_delay_alu instid0(VALU_DEP_3)
	v_cmp_lt_u32_e32 vcc_lo, 2, v7
	s_wait_alu 0xfffe
	s_or_b32 s1, vcc_lo, s1
	s_wait_loadcnt_dscnt 0x0
	v_mul_f64_e32 v[10:11], v[57:58], v[53:54]
	v_mul_f64_e32 v[53:54], v[55:56], v[53:54]
	s_delay_alu instid0(VALU_DEP_2) | instskip(NEXT) | instid1(VALU_DEP_2)
	v_fma_f64 v[10:11], v[55:56], v[51:52], -v[10:11]
	v_fma_f64 v[51:52], v[57:58], v[51:52], v[53:54]
	s_delay_alu instid0(VALU_DEP_2) | instskip(NEXT) | instid1(VALU_DEP_2)
	v_add_f64_e32 v[3:4], v[3:4], v[10:11]
	v_add_f64_e32 v[1:2], v[1:2], v[51:52]
	s_wait_alu 0xfffe
	s_and_not1_b32 exec_lo, exec_lo, s1
	s_cbranch_execnz .LBB17_29
; %bb.30:
	s_or_b32 exec_lo, exec_lo, s1
	v_mov_b32_e32 v7, 0
	ds_load_b128 v[7:10], v7 offset:64
	s_wait_dscnt 0x0
	v_mul_f64_e32 v[11:12], v[1:2], v[9:10]
	v_mul_f64_e32 v[51:52], v[3:4], v[9:10]
	s_delay_alu instid0(VALU_DEP_2) | instskip(NEXT) | instid1(VALU_DEP_2)
	v_fma_f64 v[9:10], v[3:4], v[7:8], -v[11:12]
	v_fma_f64 v[11:12], v[1:2], v[7:8], v[51:52]
	scratch_store_b128 off, v[9:12], off offset:80
.LBB17_31:
	s_wait_alu 0xfffe
	s_or_b32 exec_lo, exec_lo, s0
	s_wait_loadcnt 0x0
	s_wait_storecnt 0x0
	s_barrier_signal -1
	s_barrier_wait -1
	global_inv scope:SCOPE_SE
	scratch_load_b128 v[1:4], off, s4
	;; [unrolled: 58-line block ×14, first 2 shown]
	s_mov_b32 s0, exec_lo
	s_wait_loadcnt 0x0
	ds_store_b128 v5, v[1:4]
	s_wait_dscnt 0x0
	s_barrier_signal -1
	s_barrier_wait -1
	global_inv scope:SCOPE_SE
	v_cmpx_ne_u32_e32 17, v0
	s_cbranch_execz .LBB17_83
; %bb.80:
	v_mov_b32_e32 v1, 0
	v_dual_mov_b32 v2, 0 :: v_dual_mov_b32 v3, 0
	v_mov_b32_e32 v4, 0
	v_or_b32_e32 v7, 8, v50
	s_mov_b32 s1, 0
.LBB17_81:                              ; =>This Inner Loop Header: Depth=1
	scratch_load_b128 v[8:11], v7, off offset:-8
	ds_load_b128 v[49:52], v5
	v_add_nc_u32_e32 v6, 1, v6
	v_add_nc_u32_e32 v5, 16, v5
	;; [unrolled: 1-line block ×3, first 2 shown]
	s_delay_alu instid0(VALU_DEP_3)
	v_cmp_lt_u32_e32 vcc_lo, 15, v6
	s_wait_alu 0xfffe
	s_or_b32 s1, vcc_lo, s1
	s_wait_loadcnt_dscnt 0x0
	v_mul_f64_e32 v[53:54], v[51:52], v[10:11]
	v_mul_f64_e32 v[10:11], v[49:50], v[10:11]
	s_delay_alu instid0(VALU_DEP_2) | instskip(NEXT) | instid1(VALU_DEP_2)
	v_fma_f64 v[49:50], v[49:50], v[8:9], -v[53:54]
	v_fma_f64 v[8:9], v[51:52], v[8:9], v[10:11]
	s_delay_alu instid0(VALU_DEP_2) | instskip(NEXT) | instid1(VALU_DEP_2)
	v_add_f64_e32 v[3:4], v[3:4], v[49:50]
	v_add_f64_e32 v[1:2], v[1:2], v[8:9]
	s_wait_alu 0xfffe
	s_and_not1_b32 exec_lo, exec_lo, s1
	s_cbranch_execnz .LBB17_81
; %bb.82:
	s_or_b32 exec_lo, exec_lo, s1
	v_mov_b32_e32 v5, 0
	ds_load_b128 v[5:8], v5 offset:272
	s_wait_dscnt 0x0
	v_mul_f64_e32 v[9:10], v[1:2], v[7:8]
	v_mul_f64_e32 v[7:8], v[3:4], v[7:8]
	s_delay_alu instid0(VALU_DEP_2) | instskip(NEXT) | instid1(VALU_DEP_2)
	v_fma_f64 v[3:4], v[3:4], v[5:6], -v[9:10]
	v_fma_f64 v[5:6], v[1:2], v[5:6], v[7:8]
	scratch_store_b128 off, v[3:6], off offset:288
.LBB17_83:
	s_wait_alu 0xfffe
	s_or_b32 exec_lo, exec_lo, s0
	s_mov_b32 s1, -1
	s_wait_loadcnt 0x0
	s_wait_storecnt 0x0
	s_barrier_signal -1
	s_barrier_wait -1
	global_inv scope:SCOPE_SE
.LBB17_84:
	s_wait_alu 0xfffe
	s_and_b32 vcc_lo, exec_lo, s1
	s_wait_alu 0xfffe
	s_cbranch_vccz .LBB17_86
; %bb.85:
	v_mov_b32_e32 v1, 0
	s_lshl_b64 s[0:1], s[16:17], 2
	s_wait_alu 0xfffe
	s_add_nc_u64 s[0:1], s[6:7], s[0:1]
	global_load_b32 v1, v1, s[0:1]
	s_wait_loadcnt 0x0
	v_cmp_ne_u32_e32 vcc_lo, 0, v1
	s_cbranch_vccz .LBB17_87
.LBB17_86:
	s_nop 0
	s_sendmsg sendmsg(MSG_DEALLOC_VGPRS)
	s_endpgm
.LBB17_87:
	v_lshl_add_u32 v5, v0, 4, 0x120
	s_mov_b32 s0, exec_lo
	v_cmpx_eq_u32_e32 17, v0
	s_cbranch_execz .LBB17_89
; %bb.88:
	scratch_load_b128 v[1:4], off, s25
	v_mov_b32_e32 v6, 0
	s_delay_alu instid0(VALU_DEP_1)
	v_dual_mov_b32 v7, v6 :: v_dual_mov_b32 v8, v6
	v_mov_b32_e32 v9, v6
	scratch_store_b128 off, v[6:9], off offset:272
	s_wait_loadcnt 0x0
	ds_store_b128 v5, v[1:4]
.LBB17_89:
	s_wait_alu 0xfffe
	s_or_b32 exec_lo, exec_lo, s0
	s_wait_storecnt_dscnt 0x0
	s_barrier_signal -1
	s_barrier_wait -1
	global_inv scope:SCOPE_SE
	s_clause 0x1
	scratch_load_b128 v[6:9], off, off offset:288
	scratch_load_b128 v[49:52], off, off offset:272
	v_mov_b32_e32 v1, 0
	s_mov_b32 s0, exec_lo
	ds_load_b128 v[53:56], v1 offset:560
	s_wait_loadcnt_dscnt 0x100
	v_mul_f64_e32 v[2:3], v[55:56], v[8:9]
	v_mul_f64_e32 v[8:9], v[53:54], v[8:9]
	s_delay_alu instid0(VALU_DEP_2) | instskip(NEXT) | instid1(VALU_DEP_2)
	v_fma_f64 v[2:3], v[53:54], v[6:7], -v[2:3]
	v_fma_f64 v[6:7], v[55:56], v[6:7], v[8:9]
	s_delay_alu instid0(VALU_DEP_2) | instskip(NEXT) | instid1(VALU_DEP_2)
	v_add_f64_e32 v[2:3], 0, v[2:3]
	v_add_f64_e32 v[8:9], 0, v[6:7]
	s_wait_loadcnt 0x0
	s_delay_alu instid0(VALU_DEP_2) | instskip(NEXT) | instid1(VALU_DEP_2)
	v_add_f64_e64 v[6:7], v[49:50], -v[2:3]
	v_add_f64_e64 v[8:9], v[51:52], -v[8:9]
	scratch_store_b128 off, v[6:9], off offset:272
	v_cmpx_lt_u32_e32 15, v0
	s_cbranch_execz .LBB17_91
; %bb.90:
	scratch_load_b128 v[6:9], off, s22
	v_dual_mov_b32 v2, v1 :: v_dual_mov_b32 v3, v1
	v_mov_b32_e32 v4, v1
	scratch_store_b128 off, v[1:4], off offset:256
	s_wait_loadcnt 0x0
	ds_store_b128 v5, v[6:9]
.LBB17_91:
	s_wait_alu 0xfffe
	s_or_b32 exec_lo, exec_lo, s0
	s_wait_storecnt_dscnt 0x0
	s_barrier_signal -1
	s_barrier_wait -1
	global_inv scope:SCOPE_SE
	s_clause 0x2
	scratch_load_b128 v[6:9], off, off offset:272
	scratch_load_b128 v[49:52], off, off offset:288
	;; [unrolled: 1-line block ×3, first 2 shown]
	ds_load_b128 v[57:60], v1 offset:544
	ds_load_b128 v[1:4], v1 offset:560
	s_mov_b32 s0, exec_lo
	s_wait_loadcnt_dscnt 0x201
	v_mul_f64_e32 v[10:11], v[59:60], v[8:9]
	v_mul_f64_e32 v[8:9], v[57:58], v[8:9]
	s_wait_loadcnt_dscnt 0x100
	v_mul_f64_e32 v[61:62], v[1:2], v[51:52]
	v_mul_f64_e32 v[51:52], v[3:4], v[51:52]
	s_delay_alu instid0(VALU_DEP_4) | instskip(NEXT) | instid1(VALU_DEP_4)
	v_fma_f64 v[10:11], v[57:58], v[6:7], -v[10:11]
	v_fma_f64 v[6:7], v[59:60], v[6:7], v[8:9]
	s_delay_alu instid0(VALU_DEP_4) | instskip(NEXT) | instid1(VALU_DEP_4)
	v_fma_f64 v[3:4], v[3:4], v[49:50], v[61:62]
	v_fma_f64 v[1:2], v[1:2], v[49:50], -v[51:52]
	s_delay_alu instid0(VALU_DEP_4) | instskip(NEXT) | instid1(VALU_DEP_4)
	v_add_f64_e32 v[8:9], 0, v[10:11]
	v_add_f64_e32 v[6:7], 0, v[6:7]
	s_delay_alu instid0(VALU_DEP_2) | instskip(NEXT) | instid1(VALU_DEP_2)
	v_add_f64_e32 v[1:2], v[8:9], v[1:2]
	v_add_f64_e32 v[3:4], v[6:7], v[3:4]
	s_wait_loadcnt 0x0
	s_delay_alu instid0(VALU_DEP_2) | instskip(NEXT) | instid1(VALU_DEP_2)
	v_add_f64_e64 v[1:2], v[53:54], -v[1:2]
	v_add_f64_e64 v[3:4], v[55:56], -v[3:4]
	scratch_store_b128 off, v[1:4], off offset:256
	v_cmpx_lt_u32_e32 14, v0
	s_cbranch_execz .LBB17_93
; %bb.92:
	scratch_load_b128 v[1:4], off, s23
	v_mov_b32_e32 v6, 0
	s_delay_alu instid0(VALU_DEP_1)
	v_dual_mov_b32 v7, v6 :: v_dual_mov_b32 v8, v6
	v_mov_b32_e32 v9, v6
	scratch_store_b128 off, v[6:9], off offset:240
	s_wait_loadcnt 0x0
	ds_store_b128 v5, v[1:4]
.LBB17_93:
	s_wait_alu 0xfffe
	s_or_b32 exec_lo, exec_lo, s0
	s_wait_storecnt_dscnt 0x0
	s_barrier_signal -1
	s_barrier_wait -1
	global_inv scope:SCOPE_SE
	s_clause 0x3
	scratch_load_b128 v[6:9], off, off offset:256
	scratch_load_b128 v[49:52], off, off offset:272
	;; [unrolled: 1-line block ×4, first 2 shown]
	v_mov_b32_e32 v1, 0
	ds_load_b128 v[61:64], v1 offset:528
	ds_load_b128 v[65:68], v1 offset:544
	s_mov_b32 s0, exec_lo
	s_wait_loadcnt_dscnt 0x301
	v_mul_f64_e32 v[2:3], v[63:64], v[8:9]
	v_mul_f64_e32 v[8:9], v[61:62], v[8:9]
	s_wait_loadcnt_dscnt 0x200
	v_mul_f64_e32 v[10:11], v[65:66], v[51:52]
	v_mul_f64_e32 v[51:52], v[67:68], v[51:52]
	s_delay_alu instid0(VALU_DEP_4) | instskip(NEXT) | instid1(VALU_DEP_4)
	v_fma_f64 v[2:3], v[61:62], v[6:7], -v[2:3]
	v_fma_f64 v[61:62], v[63:64], v[6:7], v[8:9]
	ds_load_b128 v[6:9], v1 offset:560
	v_fma_f64 v[10:11], v[67:68], v[49:50], v[10:11]
	v_fma_f64 v[49:50], v[65:66], v[49:50], -v[51:52]
	s_wait_loadcnt_dscnt 0x100
	v_mul_f64_e32 v[63:64], v[6:7], v[55:56]
	v_mul_f64_e32 v[55:56], v[8:9], v[55:56]
	v_add_f64_e32 v[2:3], 0, v[2:3]
	v_add_f64_e32 v[51:52], 0, v[61:62]
	s_delay_alu instid0(VALU_DEP_4) | instskip(NEXT) | instid1(VALU_DEP_4)
	v_fma_f64 v[8:9], v[8:9], v[53:54], v[63:64]
	v_fma_f64 v[6:7], v[6:7], v[53:54], -v[55:56]
	s_delay_alu instid0(VALU_DEP_4) | instskip(NEXT) | instid1(VALU_DEP_4)
	v_add_f64_e32 v[2:3], v[2:3], v[49:50]
	v_add_f64_e32 v[10:11], v[51:52], v[10:11]
	s_delay_alu instid0(VALU_DEP_2) | instskip(NEXT) | instid1(VALU_DEP_2)
	v_add_f64_e32 v[2:3], v[2:3], v[6:7]
	v_add_f64_e32 v[8:9], v[10:11], v[8:9]
	s_wait_loadcnt 0x0
	s_delay_alu instid0(VALU_DEP_2) | instskip(NEXT) | instid1(VALU_DEP_2)
	v_add_f64_e64 v[6:7], v[57:58], -v[2:3]
	v_add_f64_e64 v[8:9], v[59:60], -v[8:9]
	scratch_store_b128 off, v[6:9], off offset:240
	v_cmpx_lt_u32_e32 13, v0
	s_cbranch_execz .LBB17_95
; %bb.94:
	scratch_load_b128 v[6:9], off, s20
	v_dual_mov_b32 v2, v1 :: v_dual_mov_b32 v3, v1
	v_mov_b32_e32 v4, v1
	scratch_store_b128 off, v[1:4], off offset:224
	s_wait_loadcnt 0x0
	ds_store_b128 v5, v[6:9]
.LBB17_95:
	s_wait_alu 0xfffe
	s_or_b32 exec_lo, exec_lo, s0
	s_wait_storecnt_dscnt 0x0
	s_barrier_signal -1
	s_barrier_wait -1
	global_inv scope:SCOPE_SE
	s_clause 0x4
	scratch_load_b128 v[6:9], off, off offset:240
	scratch_load_b128 v[49:52], off, off offset:256
	;; [unrolled: 1-line block ×5, first 2 shown]
	ds_load_b128 v[65:68], v1 offset:512
	ds_load_b128 v[69:72], v1 offset:528
	s_mov_b32 s0, exec_lo
	s_wait_loadcnt_dscnt 0x401
	v_mul_f64_e32 v[2:3], v[67:68], v[8:9]
	v_mul_f64_e32 v[8:9], v[65:66], v[8:9]
	s_wait_loadcnt_dscnt 0x300
	v_mul_f64_e32 v[10:11], v[69:70], v[51:52]
	v_mul_f64_e32 v[51:52], v[71:72], v[51:52]
	s_delay_alu instid0(VALU_DEP_4) | instskip(NEXT) | instid1(VALU_DEP_4)
	v_fma_f64 v[65:66], v[65:66], v[6:7], -v[2:3]
	v_fma_f64 v[67:68], v[67:68], v[6:7], v[8:9]
	ds_load_b128 v[6:9], v1 offset:544
	ds_load_b128 v[1:4], v1 offset:560
	v_fma_f64 v[10:11], v[71:72], v[49:50], v[10:11]
	v_fma_f64 v[49:50], v[69:70], v[49:50], -v[51:52]
	s_wait_loadcnt_dscnt 0x201
	v_mul_f64_e32 v[73:74], v[6:7], v[55:56]
	v_mul_f64_e32 v[55:56], v[8:9], v[55:56]
	v_add_f64_e32 v[51:52], 0, v[65:66]
	v_add_f64_e32 v[65:66], 0, v[67:68]
	s_wait_loadcnt_dscnt 0x100
	v_mul_f64_e32 v[67:68], v[1:2], v[59:60]
	v_mul_f64_e32 v[59:60], v[3:4], v[59:60]
	v_fma_f64 v[8:9], v[8:9], v[53:54], v[73:74]
	v_fma_f64 v[6:7], v[6:7], v[53:54], -v[55:56]
	v_add_f64_e32 v[49:50], v[51:52], v[49:50]
	v_add_f64_e32 v[10:11], v[65:66], v[10:11]
	v_fma_f64 v[3:4], v[3:4], v[57:58], v[67:68]
	v_fma_f64 v[1:2], v[1:2], v[57:58], -v[59:60]
	s_delay_alu instid0(VALU_DEP_4) | instskip(NEXT) | instid1(VALU_DEP_4)
	v_add_f64_e32 v[6:7], v[49:50], v[6:7]
	v_add_f64_e32 v[8:9], v[10:11], v[8:9]
	s_delay_alu instid0(VALU_DEP_2) | instskip(NEXT) | instid1(VALU_DEP_2)
	v_add_f64_e32 v[1:2], v[6:7], v[1:2]
	v_add_f64_e32 v[3:4], v[8:9], v[3:4]
	s_wait_loadcnt 0x0
	s_delay_alu instid0(VALU_DEP_2) | instskip(NEXT) | instid1(VALU_DEP_2)
	v_add_f64_e64 v[1:2], v[61:62], -v[1:2]
	v_add_f64_e64 v[3:4], v[63:64], -v[3:4]
	scratch_store_b128 off, v[1:4], off offset:224
	v_cmpx_lt_u32_e32 12, v0
	s_cbranch_execz .LBB17_97
; %bb.96:
	scratch_load_b128 v[1:4], off, s21
	v_mov_b32_e32 v6, 0
	s_delay_alu instid0(VALU_DEP_1)
	v_dual_mov_b32 v7, v6 :: v_dual_mov_b32 v8, v6
	v_mov_b32_e32 v9, v6
	scratch_store_b128 off, v[6:9], off offset:208
	s_wait_loadcnt 0x0
	ds_store_b128 v5, v[1:4]
.LBB17_97:
	s_wait_alu 0xfffe
	s_or_b32 exec_lo, exec_lo, s0
	s_wait_storecnt_dscnt 0x0
	s_barrier_signal -1
	s_barrier_wait -1
	global_inv scope:SCOPE_SE
	s_clause 0x5
	scratch_load_b128 v[6:9], off, off offset:224
	scratch_load_b128 v[49:52], off, off offset:240
	;; [unrolled: 1-line block ×6, first 2 shown]
	v_mov_b32_e32 v1, 0
	ds_load_b128 v[69:72], v1 offset:496
	ds_load_b128 v[73:76], v1 offset:512
	s_mov_b32 s0, exec_lo
	s_wait_loadcnt_dscnt 0x501
	v_mul_f64_e32 v[2:3], v[71:72], v[8:9]
	v_mul_f64_e32 v[8:9], v[69:70], v[8:9]
	s_wait_loadcnt_dscnt 0x400
	v_mul_f64_e32 v[10:11], v[73:74], v[51:52]
	v_mul_f64_e32 v[51:52], v[75:76], v[51:52]
	s_delay_alu instid0(VALU_DEP_4) | instskip(NEXT) | instid1(VALU_DEP_4)
	v_fma_f64 v[2:3], v[69:70], v[6:7], -v[2:3]
	v_fma_f64 v[77:78], v[71:72], v[6:7], v[8:9]
	ds_load_b128 v[6:9], v1 offset:528
	ds_load_b128 v[69:72], v1 offset:544
	v_fma_f64 v[10:11], v[75:76], v[49:50], v[10:11]
	v_fma_f64 v[49:50], v[73:74], v[49:50], -v[51:52]
	s_wait_loadcnt_dscnt 0x301
	v_mul_f64_e32 v[79:80], v[6:7], v[55:56]
	v_mul_f64_e32 v[55:56], v[8:9], v[55:56]
	s_wait_loadcnt_dscnt 0x200
	v_mul_f64_e32 v[73:74], v[69:70], v[59:60]
	v_mul_f64_e32 v[59:60], v[71:72], v[59:60]
	v_add_f64_e32 v[2:3], 0, v[2:3]
	v_add_f64_e32 v[51:52], 0, v[77:78]
	v_fma_f64 v[75:76], v[8:9], v[53:54], v[79:80]
	v_fma_f64 v[53:54], v[6:7], v[53:54], -v[55:56]
	ds_load_b128 v[6:9], v1 offset:560
	v_fma_f64 v[55:56], v[71:72], v[57:58], v[73:74]
	v_fma_f64 v[57:58], v[69:70], v[57:58], -v[59:60]
	v_add_f64_e32 v[2:3], v[2:3], v[49:50]
	v_add_f64_e32 v[10:11], v[51:52], v[10:11]
	s_wait_loadcnt_dscnt 0x100
	v_mul_f64_e32 v[49:50], v[6:7], v[63:64]
	v_mul_f64_e32 v[51:52], v[8:9], v[63:64]
	s_delay_alu instid0(VALU_DEP_4) | instskip(NEXT) | instid1(VALU_DEP_4)
	v_add_f64_e32 v[2:3], v[2:3], v[53:54]
	v_add_f64_e32 v[10:11], v[10:11], v[75:76]
	s_delay_alu instid0(VALU_DEP_4) | instskip(NEXT) | instid1(VALU_DEP_4)
	v_fma_f64 v[8:9], v[8:9], v[61:62], v[49:50]
	v_fma_f64 v[6:7], v[6:7], v[61:62], -v[51:52]
	s_delay_alu instid0(VALU_DEP_4) | instskip(NEXT) | instid1(VALU_DEP_4)
	v_add_f64_e32 v[2:3], v[2:3], v[57:58]
	v_add_f64_e32 v[10:11], v[10:11], v[55:56]
	s_delay_alu instid0(VALU_DEP_2) | instskip(NEXT) | instid1(VALU_DEP_2)
	v_add_f64_e32 v[2:3], v[2:3], v[6:7]
	v_add_f64_e32 v[8:9], v[10:11], v[8:9]
	s_wait_loadcnt 0x0
	s_delay_alu instid0(VALU_DEP_2) | instskip(NEXT) | instid1(VALU_DEP_2)
	v_add_f64_e64 v[6:7], v[65:66], -v[2:3]
	v_add_f64_e64 v[8:9], v[67:68], -v[8:9]
	scratch_store_b128 off, v[6:9], off offset:208
	v_cmpx_lt_u32_e32 11, v0
	s_cbranch_execz .LBB17_99
; %bb.98:
	scratch_load_b128 v[6:9], off, s15
	v_dual_mov_b32 v2, v1 :: v_dual_mov_b32 v3, v1
	v_mov_b32_e32 v4, v1
	scratch_store_b128 off, v[1:4], off offset:192
	s_wait_loadcnt 0x0
	ds_store_b128 v5, v[6:9]
.LBB17_99:
	s_wait_alu 0xfffe
	s_or_b32 exec_lo, exec_lo, s0
	s_wait_storecnt_dscnt 0x0
	s_barrier_signal -1
	s_barrier_wait -1
	global_inv scope:SCOPE_SE
	s_clause 0x5
	scratch_load_b128 v[6:9], off, off offset:208
	scratch_load_b128 v[49:52], off, off offset:224
	;; [unrolled: 1-line block ×6, first 2 shown]
	ds_load_b128 v[69:72], v1 offset:480
	ds_load_b128 v[77:80], v1 offset:496
	scratch_load_b128 v[73:76], off, off offset:192
	s_mov_b32 s0, exec_lo
	s_wait_loadcnt_dscnt 0x601
	v_mul_f64_e32 v[2:3], v[71:72], v[8:9]
	v_mul_f64_e32 v[8:9], v[69:70], v[8:9]
	s_wait_loadcnt_dscnt 0x500
	v_mul_f64_e32 v[10:11], v[77:78], v[51:52]
	v_mul_f64_e32 v[51:52], v[79:80], v[51:52]
	s_delay_alu instid0(VALU_DEP_4) | instskip(NEXT) | instid1(VALU_DEP_4)
	v_fma_f64 v[2:3], v[69:70], v[6:7], -v[2:3]
	v_fma_f64 v[81:82], v[71:72], v[6:7], v[8:9]
	ds_load_b128 v[6:9], v1 offset:512
	ds_load_b128 v[69:72], v1 offset:528
	v_fma_f64 v[10:11], v[79:80], v[49:50], v[10:11]
	v_fma_f64 v[49:50], v[77:78], v[49:50], -v[51:52]
	s_wait_loadcnt_dscnt 0x401
	v_mul_f64_e32 v[83:84], v[6:7], v[55:56]
	v_mul_f64_e32 v[55:56], v[8:9], v[55:56]
	s_wait_loadcnt_dscnt 0x300
	v_mul_f64_e32 v[77:78], v[69:70], v[59:60]
	v_mul_f64_e32 v[59:60], v[71:72], v[59:60]
	v_add_f64_e32 v[2:3], 0, v[2:3]
	v_add_f64_e32 v[51:52], 0, v[81:82]
	v_fma_f64 v[79:80], v[8:9], v[53:54], v[83:84]
	v_fma_f64 v[53:54], v[6:7], v[53:54], -v[55:56]
	s_delay_alu instid0(VALU_DEP_4) | instskip(NEXT) | instid1(VALU_DEP_4)
	v_add_f64_e32 v[49:50], v[2:3], v[49:50]
	v_add_f64_e32 v[10:11], v[51:52], v[10:11]
	ds_load_b128 v[6:9], v1 offset:544
	ds_load_b128 v[1:4], v1 offset:560
	s_wait_loadcnt_dscnt 0x201
	v_mul_f64_e32 v[51:52], v[6:7], v[63:64]
	v_mul_f64_e32 v[55:56], v[8:9], v[63:64]
	v_fma_f64 v[63:64], v[71:72], v[57:58], v[77:78]
	v_fma_f64 v[57:58], v[69:70], v[57:58], -v[59:60]
	s_wait_loadcnt_dscnt 0x100
	v_mul_f64_e32 v[59:60], v[3:4], v[67:68]
	v_add_f64_e32 v[49:50], v[49:50], v[53:54]
	v_add_f64_e32 v[10:11], v[10:11], v[79:80]
	v_mul_f64_e32 v[53:54], v[1:2], v[67:68]
	v_fma_f64 v[8:9], v[8:9], v[61:62], v[51:52]
	v_fma_f64 v[6:7], v[6:7], v[61:62], -v[55:56]
	v_fma_f64 v[1:2], v[1:2], v[65:66], -v[59:60]
	v_add_f64_e32 v[49:50], v[49:50], v[57:58]
	v_add_f64_e32 v[10:11], v[10:11], v[63:64]
	v_fma_f64 v[3:4], v[3:4], v[65:66], v[53:54]
	s_delay_alu instid0(VALU_DEP_3) | instskip(NEXT) | instid1(VALU_DEP_3)
	v_add_f64_e32 v[6:7], v[49:50], v[6:7]
	v_add_f64_e32 v[8:9], v[10:11], v[8:9]
	s_delay_alu instid0(VALU_DEP_2) | instskip(NEXT) | instid1(VALU_DEP_2)
	v_add_f64_e32 v[1:2], v[6:7], v[1:2]
	v_add_f64_e32 v[3:4], v[8:9], v[3:4]
	s_wait_loadcnt 0x0
	s_delay_alu instid0(VALU_DEP_2) | instskip(NEXT) | instid1(VALU_DEP_2)
	v_add_f64_e64 v[1:2], v[73:74], -v[1:2]
	v_add_f64_e64 v[3:4], v[75:76], -v[3:4]
	scratch_store_b128 off, v[1:4], off offset:192
	v_cmpx_lt_u32_e32 10, v0
	s_cbranch_execz .LBB17_101
; %bb.100:
	scratch_load_b128 v[1:4], off, s19
	v_mov_b32_e32 v6, 0
	s_delay_alu instid0(VALU_DEP_1)
	v_dual_mov_b32 v7, v6 :: v_dual_mov_b32 v8, v6
	v_mov_b32_e32 v9, v6
	scratch_store_b128 off, v[6:9], off offset:176
	s_wait_loadcnt 0x0
	ds_store_b128 v5, v[1:4]
.LBB17_101:
	s_wait_alu 0xfffe
	s_or_b32 exec_lo, exec_lo, s0
	s_wait_storecnt_dscnt 0x0
	s_barrier_signal -1
	s_barrier_wait -1
	global_inv scope:SCOPE_SE
	s_clause 0x6
	scratch_load_b128 v[6:9], off, off offset:192
	scratch_load_b128 v[49:52], off, off offset:208
	scratch_load_b128 v[53:56], off, off offset:224
	scratch_load_b128 v[57:60], off, off offset:240
	scratch_load_b128 v[61:64], off, off offset:256
	scratch_load_b128 v[65:68], off, off offset:272
	scratch_load_b128 v[69:72], off, off offset:288
	v_mov_b32_e32 v1, 0
	scratch_load_b128 v[77:80], off, off offset:176
	s_mov_b32 s0, exec_lo
	ds_load_b128 v[73:76], v1 offset:464
	ds_load_b128 v[81:84], v1 offset:480
	s_wait_loadcnt_dscnt 0x701
	v_mul_f64_e32 v[2:3], v[75:76], v[8:9]
	v_mul_f64_e32 v[8:9], v[73:74], v[8:9]
	s_wait_loadcnt_dscnt 0x600
	v_mul_f64_e32 v[10:11], v[81:82], v[51:52]
	v_mul_f64_e32 v[51:52], v[83:84], v[51:52]
	s_delay_alu instid0(VALU_DEP_4) | instskip(NEXT) | instid1(VALU_DEP_4)
	v_fma_f64 v[2:3], v[73:74], v[6:7], -v[2:3]
	v_fma_f64 v[85:86], v[75:76], v[6:7], v[8:9]
	ds_load_b128 v[6:9], v1 offset:496
	ds_load_b128 v[73:76], v1 offset:512
	v_fma_f64 v[10:11], v[83:84], v[49:50], v[10:11]
	v_fma_f64 v[49:50], v[81:82], v[49:50], -v[51:52]
	s_wait_loadcnt_dscnt 0x501
	v_mul_f64_e32 v[87:88], v[6:7], v[55:56]
	v_mul_f64_e32 v[55:56], v[8:9], v[55:56]
	s_wait_loadcnt_dscnt 0x400
	v_mul_f64_e32 v[81:82], v[73:74], v[59:60]
	v_mul_f64_e32 v[59:60], v[75:76], v[59:60]
	v_add_f64_e32 v[2:3], 0, v[2:3]
	v_add_f64_e32 v[51:52], 0, v[85:86]
	v_fma_f64 v[83:84], v[8:9], v[53:54], v[87:88]
	v_fma_f64 v[53:54], v[6:7], v[53:54], -v[55:56]
	v_fma_f64 v[75:76], v[75:76], v[57:58], v[81:82]
	v_fma_f64 v[57:58], v[73:74], v[57:58], -v[59:60]
	v_add_f64_e32 v[2:3], v[2:3], v[49:50]
	v_add_f64_e32 v[10:11], v[51:52], v[10:11]
	ds_load_b128 v[6:9], v1 offset:528
	ds_load_b128 v[49:52], v1 offset:544
	s_wait_loadcnt_dscnt 0x301
	v_mul_f64_e32 v[55:56], v[6:7], v[63:64]
	v_mul_f64_e32 v[63:64], v[8:9], v[63:64]
	s_wait_loadcnt_dscnt 0x200
	v_mul_f64_e32 v[59:60], v[51:52], v[67:68]
	v_add_f64_e32 v[2:3], v[2:3], v[53:54]
	v_add_f64_e32 v[10:11], v[10:11], v[83:84]
	v_mul_f64_e32 v[53:54], v[49:50], v[67:68]
	v_fma_f64 v[55:56], v[8:9], v[61:62], v[55:56]
	v_fma_f64 v[61:62], v[6:7], v[61:62], -v[63:64]
	ds_load_b128 v[6:9], v1 offset:560
	v_fma_f64 v[49:50], v[49:50], v[65:66], -v[59:60]
	v_add_f64_e32 v[2:3], v[2:3], v[57:58]
	v_add_f64_e32 v[10:11], v[10:11], v[75:76]
	v_fma_f64 v[51:52], v[51:52], v[65:66], v[53:54]
	s_wait_loadcnt_dscnt 0x100
	v_mul_f64_e32 v[57:58], v[6:7], v[71:72]
	v_mul_f64_e32 v[63:64], v[8:9], v[71:72]
	v_add_f64_e32 v[2:3], v[2:3], v[61:62]
	v_add_f64_e32 v[10:11], v[10:11], v[55:56]
	s_delay_alu instid0(VALU_DEP_4) | instskip(NEXT) | instid1(VALU_DEP_4)
	v_fma_f64 v[8:9], v[8:9], v[69:70], v[57:58]
	v_fma_f64 v[6:7], v[6:7], v[69:70], -v[63:64]
	s_delay_alu instid0(VALU_DEP_4) | instskip(NEXT) | instid1(VALU_DEP_4)
	v_add_f64_e32 v[2:3], v[2:3], v[49:50]
	v_add_f64_e32 v[10:11], v[10:11], v[51:52]
	s_delay_alu instid0(VALU_DEP_2) | instskip(NEXT) | instid1(VALU_DEP_2)
	v_add_f64_e32 v[2:3], v[2:3], v[6:7]
	v_add_f64_e32 v[8:9], v[10:11], v[8:9]
	s_wait_loadcnt 0x0
	s_delay_alu instid0(VALU_DEP_2) | instskip(NEXT) | instid1(VALU_DEP_2)
	v_add_f64_e64 v[6:7], v[77:78], -v[2:3]
	v_add_f64_e64 v[8:9], v[79:80], -v[8:9]
	scratch_store_b128 off, v[6:9], off offset:176
	v_cmpx_lt_u32_e32 9, v0
	s_cbranch_execz .LBB17_103
; %bb.102:
	scratch_load_b128 v[6:9], off, s13
	v_dual_mov_b32 v2, v1 :: v_dual_mov_b32 v3, v1
	v_mov_b32_e32 v4, v1
	scratch_store_b128 off, v[1:4], off offset:160
	s_wait_loadcnt 0x0
	ds_store_b128 v5, v[6:9]
.LBB17_103:
	s_wait_alu 0xfffe
	s_or_b32 exec_lo, exec_lo, s0
	s_wait_storecnt_dscnt 0x0
	s_barrier_signal -1
	s_barrier_wait -1
	global_inv scope:SCOPE_SE
	s_clause 0x7
	scratch_load_b128 v[6:9], off, off offset:176
	scratch_load_b128 v[49:52], off, off offset:192
	;; [unrolled: 1-line block ×8, first 2 shown]
	ds_load_b128 v[77:80], v1 offset:448
	ds_load_b128 v[81:84], v1 offset:464
	scratch_load_b128 v[85:88], off, off offset:160
	s_mov_b32 s0, exec_lo
	s_wait_loadcnt_dscnt 0x801
	v_mul_f64_e32 v[2:3], v[79:80], v[8:9]
	v_mul_f64_e32 v[8:9], v[77:78], v[8:9]
	s_wait_loadcnt_dscnt 0x700
	v_mul_f64_e32 v[10:11], v[81:82], v[51:52]
	v_mul_f64_e32 v[51:52], v[83:84], v[51:52]
	s_delay_alu instid0(VALU_DEP_4) | instskip(NEXT) | instid1(VALU_DEP_4)
	v_fma_f64 v[2:3], v[77:78], v[6:7], -v[2:3]
	v_fma_f64 v[89:90], v[79:80], v[6:7], v[8:9]
	ds_load_b128 v[6:9], v1 offset:480
	ds_load_b128 v[77:80], v1 offset:496
	v_fma_f64 v[10:11], v[83:84], v[49:50], v[10:11]
	v_fma_f64 v[49:50], v[81:82], v[49:50], -v[51:52]
	s_wait_loadcnt_dscnt 0x601
	v_mul_f64_e32 v[91:92], v[6:7], v[55:56]
	v_mul_f64_e32 v[55:56], v[8:9], v[55:56]
	s_wait_loadcnt_dscnt 0x500
	v_mul_f64_e32 v[81:82], v[77:78], v[59:60]
	v_mul_f64_e32 v[59:60], v[79:80], v[59:60]
	v_add_f64_e32 v[2:3], 0, v[2:3]
	v_add_f64_e32 v[51:52], 0, v[89:90]
	v_fma_f64 v[83:84], v[8:9], v[53:54], v[91:92]
	v_fma_f64 v[53:54], v[6:7], v[53:54], -v[55:56]
	v_fma_f64 v[79:80], v[79:80], v[57:58], v[81:82]
	v_fma_f64 v[57:58], v[77:78], v[57:58], -v[59:60]
	v_add_f64_e32 v[2:3], v[2:3], v[49:50]
	v_add_f64_e32 v[10:11], v[51:52], v[10:11]
	ds_load_b128 v[6:9], v1 offset:512
	ds_load_b128 v[49:52], v1 offset:528
	s_wait_loadcnt_dscnt 0x401
	v_mul_f64_e32 v[55:56], v[6:7], v[63:64]
	v_mul_f64_e32 v[63:64], v[8:9], v[63:64]
	s_wait_loadcnt_dscnt 0x300
	v_mul_f64_e32 v[59:60], v[51:52], v[67:68]
	v_add_f64_e32 v[2:3], v[2:3], v[53:54]
	v_add_f64_e32 v[10:11], v[10:11], v[83:84]
	v_mul_f64_e32 v[53:54], v[49:50], v[67:68]
	v_fma_f64 v[55:56], v[8:9], v[61:62], v[55:56]
	v_fma_f64 v[61:62], v[6:7], v[61:62], -v[63:64]
	v_fma_f64 v[49:50], v[49:50], v[65:66], -v[59:60]
	v_add_f64_e32 v[57:58], v[2:3], v[57:58]
	v_add_f64_e32 v[10:11], v[10:11], v[79:80]
	ds_load_b128 v[6:9], v1 offset:544
	ds_load_b128 v[1:4], v1 offset:560
	v_fma_f64 v[51:52], v[51:52], v[65:66], v[53:54]
	s_wait_loadcnt_dscnt 0x201
	v_mul_f64_e32 v[63:64], v[6:7], v[71:72]
	v_mul_f64_e32 v[67:68], v[8:9], v[71:72]
	v_add_f64_e32 v[53:54], v[57:58], v[61:62]
	v_add_f64_e32 v[10:11], v[10:11], v[55:56]
	s_wait_loadcnt_dscnt 0x100
	v_mul_f64_e32 v[55:56], v[1:2], v[75:76]
	v_mul_f64_e32 v[57:58], v[3:4], v[75:76]
	v_fma_f64 v[8:9], v[8:9], v[69:70], v[63:64]
	v_fma_f64 v[6:7], v[6:7], v[69:70], -v[67:68]
	v_add_f64_e32 v[49:50], v[53:54], v[49:50]
	v_add_f64_e32 v[10:11], v[10:11], v[51:52]
	v_fma_f64 v[3:4], v[3:4], v[73:74], v[55:56]
	v_fma_f64 v[1:2], v[1:2], v[73:74], -v[57:58]
	s_delay_alu instid0(VALU_DEP_4) | instskip(NEXT) | instid1(VALU_DEP_4)
	v_add_f64_e32 v[6:7], v[49:50], v[6:7]
	v_add_f64_e32 v[8:9], v[10:11], v[8:9]
	s_delay_alu instid0(VALU_DEP_2) | instskip(NEXT) | instid1(VALU_DEP_2)
	v_add_f64_e32 v[1:2], v[6:7], v[1:2]
	v_add_f64_e32 v[3:4], v[8:9], v[3:4]
	s_wait_loadcnt 0x0
	s_delay_alu instid0(VALU_DEP_2) | instskip(NEXT) | instid1(VALU_DEP_2)
	v_add_f64_e64 v[1:2], v[85:86], -v[1:2]
	v_add_f64_e64 v[3:4], v[87:88], -v[3:4]
	scratch_store_b128 off, v[1:4], off offset:160
	v_cmpx_lt_u32_e32 8, v0
	s_cbranch_execz .LBB17_105
; %bb.104:
	scratch_load_b128 v[1:4], off, s14
	v_mov_b32_e32 v6, 0
	s_delay_alu instid0(VALU_DEP_1)
	v_dual_mov_b32 v7, v6 :: v_dual_mov_b32 v8, v6
	v_mov_b32_e32 v9, v6
	scratch_store_b128 off, v[6:9], off offset:144
	s_wait_loadcnt 0x0
	ds_store_b128 v5, v[1:4]
.LBB17_105:
	s_wait_alu 0xfffe
	s_or_b32 exec_lo, exec_lo, s0
	s_wait_storecnt_dscnt 0x0
	s_barrier_signal -1
	s_barrier_wait -1
	global_inv scope:SCOPE_SE
	s_clause 0x7
	scratch_load_b128 v[6:9], off, off offset:160
	scratch_load_b128 v[49:52], off, off offset:176
	;; [unrolled: 1-line block ×8, first 2 shown]
	v_mov_b32_e32 v1, 0
	scratch_load_b128 v[81:84], off, off offset:288
	s_mov_b32 s0, exec_lo
	ds_load_b128 v[77:80], v1 offset:432
	s_wait_loadcnt_dscnt 0x800
	v_mul_f64_e32 v[2:3], v[79:80], v[8:9]
	v_mul_f64_e32 v[85:86], v[77:78], v[8:9]
	ds_load_b128 v[8:11], v1 offset:448
	v_fma_f64 v[2:3], v[77:78], v[6:7], -v[2:3]
	v_fma_f64 v[6:7], v[79:80], v[6:7], v[85:86]
	ds_load_b128 v[77:80], v1 offset:464
	s_wait_loadcnt_dscnt 0x701
	v_mul_f64_e32 v[87:88], v[8:9], v[51:52]
	v_mul_f64_e32 v[51:52], v[10:11], v[51:52]
	s_wait_loadcnt_dscnt 0x600
	v_mul_f64_e32 v[85:86], v[77:78], v[55:56]
	v_mul_f64_e32 v[55:56], v[79:80], v[55:56]
	v_add_f64_e32 v[2:3], 0, v[2:3]
	v_add_f64_e32 v[89:90], 0, v[6:7]
	v_fma_f64 v[10:11], v[10:11], v[49:50], v[87:88]
	v_fma_f64 v[87:88], v[8:9], v[49:50], -v[51:52]
	ds_load_b128 v[6:9], v1 offset:480
	scratch_load_b128 v[49:52], off, off offset:144
	v_fma_f64 v[79:80], v[79:80], v[53:54], v[85:86]
	v_fma_f64 v[77:78], v[77:78], v[53:54], -v[55:56]
	ds_load_b128 v[53:56], v1 offset:496
	s_wait_loadcnt_dscnt 0x601
	v_mul_f64_e32 v[91:92], v[6:7], v[59:60]
	v_mul_f64_e32 v[59:60], v[8:9], v[59:60]
	v_add_f64_e32 v[10:11], v[89:90], v[10:11]
	v_add_f64_e32 v[2:3], v[2:3], v[87:88]
	s_wait_loadcnt_dscnt 0x500
	v_mul_f64_e32 v[85:86], v[53:54], v[63:64]
	v_mul_f64_e32 v[63:64], v[55:56], v[63:64]
	v_fma_f64 v[87:88], v[8:9], v[57:58], v[91:92]
	v_fma_f64 v[57:58], v[6:7], v[57:58], -v[59:60]
	ds_load_b128 v[6:9], v1 offset:512
	v_add_f64_e32 v[10:11], v[10:11], v[79:80]
	v_add_f64_e32 v[2:3], v[2:3], v[77:78]
	v_fma_f64 v[77:78], v[55:56], v[61:62], v[85:86]
	v_fma_f64 v[61:62], v[53:54], v[61:62], -v[63:64]
	ds_load_b128 v[53:56], v1 offset:528
	s_wait_loadcnt_dscnt 0x401
	v_mul_f64_e32 v[59:60], v[6:7], v[67:68]
	v_mul_f64_e32 v[67:68], v[8:9], v[67:68]
	s_wait_loadcnt_dscnt 0x300
	v_mul_f64_e32 v[63:64], v[55:56], v[71:72]
	v_add_f64_e32 v[10:11], v[10:11], v[87:88]
	v_add_f64_e32 v[2:3], v[2:3], v[57:58]
	v_mul_f64_e32 v[57:58], v[53:54], v[71:72]
	v_fma_f64 v[59:60], v[8:9], v[65:66], v[59:60]
	v_fma_f64 v[65:66], v[6:7], v[65:66], -v[67:68]
	ds_load_b128 v[6:9], v1 offset:544
	v_fma_f64 v[63:64], v[53:54], v[69:70], -v[63:64]
	v_add_f64_e32 v[10:11], v[10:11], v[77:78]
	v_add_f64_e32 v[2:3], v[2:3], v[61:62]
	v_fma_f64 v[57:58], v[55:56], v[69:70], v[57:58]
	ds_load_b128 v[53:56], v1 offset:560
	s_wait_loadcnt_dscnt 0x201
	v_mul_f64_e32 v[61:62], v[6:7], v[75:76]
	v_mul_f64_e32 v[67:68], v[8:9], v[75:76]
	v_add_f64_e32 v[10:11], v[10:11], v[59:60]
	v_add_f64_e32 v[2:3], v[2:3], v[65:66]
	s_wait_loadcnt_dscnt 0x100
	v_mul_f64_e32 v[59:60], v[53:54], v[83:84]
	v_mul_f64_e32 v[65:66], v[55:56], v[83:84]
	v_fma_f64 v[8:9], v[8:9], v[73:74], v[61:62]
	v_fma_f64 v[6:7], v[6:7], v[73:74], -v[67:68]
	v_add_f64_e32 v[10:11], v[10:11], v[57:58]
	v_add_f64_e32 v[2:3], v[2:3], v[63:64]
	v_fma_f64 v[55:56], v[55:56], v[81:82], v[59:60]
	v_fma_f64 v[53:54], v[53:54], v[81:82], -v[65:66]
	s_delay_alu instid0(VALU_DEP_3) | instskip(SKIP_1) | instid1(VALU_DEP_2)
	v_add_f64_e32 v[2:3], v[2:3], v[6:7]
	v_add_f64_e32 v[6:7], v[10:11], v[8:9]
	;; [unrolled: 1-line block ×3, first 2 shown]
	s_delay_alu instid0(VALU_DEP_2) | instskip(SKIP_1) | instid1(VALU_DEP_2)
	v_add_f64_e32 v[8:9], v[6:7], v[55:56]
	s_wait_loadcnt 0x0
	v_add_f64_e64 v[6:7], v[49:50], -v[2:3]
	s_delay_alu instid0(VALU_DEP_2)
	v_add_f64_e64 v[8:9], v[51:52], -v[8:9]
	scratch_store_b128 off, v[6:9], off offset:144
	v_cmpx_lt_u32_e32 7, v0
	s_cbranch_execz .LBB17_107
; %bb.106:
	scratch_load_b128 v[6:9], off, s10
	v_dual_mov_b32 v2, v1 :: v_dual_mov_b32 v3, v1
	v_mov_b32_e32 v4, v1
	scratch_store_b128 off, v[1:4], off offset:128
	s_wait_loadcnt 0x0
	ds_store_b128 v5, v[6:9]
.LBB17_107:
	s_wait_alu 0xfffe
	s_or_b32 exec_lo, exec_lo, s0
	s_wait_storecnt_dscnt 0x0
	s_barrier_signal -1
	s_barrier_wait -1
	global_inv scope:SCOPE_SE
	s_clause 0x7
	scratch_load_b128 v[6:9], off, off offset:144
	scratch_load_b128 v[49:52], off, off offset:160
	;; [unrolled: 1-line block ×8, first 2 shown]
	ds_load_b128 v[77:80], v1 offset:416
	s_clause 0x1
	scratch_load_b128 v[81:84], off, off offset:272
	scratch_load_b128 v[85:88], off, off offset:288
	s_mov_b32 s0, exec_lo
	s_wait_loadcnt_dscnt 0x900
	v_mul_f64_e32 v[2:3], v[79:80], v[8:9]
	v_mul_f64_e32 v[89:90], v[77:78], v[8:9]
	ds_load_b128 v[8:11], v1 offset:432
	v_fma_f64 v[2:3], v[77:78], v[6:7], -v[2:3]
	v_fma_f64 v[6:7], v[79:80], v[6:7], v[89:90]
	ds_load_b128 v[77:80], v1 offset:448
	s_wait_loadcnt_dscnt 0x801
	v_mul_f64_e32 v[91:92], v[8:9], v[51:52]
	v_mul_f64_e32 v[51:52], v[10:11], v[51:52]
	s_wait_loadcnt_dscnt 0x700
	v_mul_f64_e32 v[89:90], v[77:78], v[55:56]
	v_mul_f64_e32 v[55:56], v[79:80], v[55:56]
	v_add_f64_e32 v[2:3], 0, v[2:3]
	v_fma_f64 v[10:11], v[10:11], v[49:50], v[91:92]
	v_fma_f64 v[49:50], v[8:9], v[49:50], -v[51:52]
	v_add_f64_e32 v[51:52], 0, v[6:7]
	ds_load_b128 v[6:9], v1 offset:464
	v_fma_f64 v[79:80], v[79:80], v[53:54], v[89:90]
	v_fma_f64 v[77:78], v[77:78], v[53:54], -v[55:56]
	scratch_load_b128 v[53:56], off, off offset:128
	v_add_f64_e32 v[2:3], v[2:3], v[49:50]
	v_add_f64_e32 v[10:11], v[51:52], v[10:11]
	ds_load_b128 v[49:52], v1 offset:480
	s_wait_loadcnt_dscnt 0x701
	v_mul_f64_e32 v[91:92], v[6:7], v[59:60]
	v_mul_f64_e32 v[59:60], v[8:9], v[59:60]
	s_wait_loadcnt_dscnt 0x600
	v_mul_f64_e32 v[89:90], v[49:50], v[63:64]
	v_mul_f64_e32 v[63:64], v[51:52], v[63:64]
	v_add_f64_e32 v[2:3], v[2:3], v[77:78]
	v_add_f64_e32 v[10:11], v[10:11], v[79:80]
	v_fma_f64 v[91:92], v[8:9], v[57:58], v[91:92]
	v_fma_f64 v[57:58], v[6:7], v[57:58], -v[59:60]
	ds_load_b128 v[6:9], v1 offset:496
	v_fma_f64 v[77:78], v[51:52], v[61:62], v[89:90]
	v_fma_f64 v[61:62], v[49:50], v[61:62], -v[63:64]
	ds_load_b128 v[49:52], v1 offset:512
	s_wait_loadcnt_dscnt 0x501
	v_mul_f64_e32 v[59:60], v[6:7], v[67:68]
	v_mul_f64_e32 v[67:68], v[8:9], v[67:68]
	v_add_f64_e32 v[10:11], v[10:11], v[91:92]
	v_add_f64_e32 v[2:3], v[2:3], v[57:58]
	s_wait_loadcnt_dscnt 0x400
	v_mul_f64_e32 v[57:58], v[49:50], v[71:72]
	v_mul_f64_e32 v[63:64], v[51:52], v[71:72]
	v_fma_f64 v[59:60], v[8:9], v[65:66], v[59:60]
	v_fma_f64 v[65:66], v[6:7], v[65:66], -v[67:68]
	ds_load_b128 v[6:9], v1 offset:528
	v_add_f64_e32 v[10:11], v[10:11], v[77:78]
	v_add_f64_e32 v[2:3], v[2:3], v[61:62]
	v_fma_f64 v[57:58], v[51:52], v[69:70], v[57:58]
	v_fma_f64 v[63:64], v[49:50], v[69:70], -v[63:64]
	ds_load_b128 v[49:52], v1 offset:544
	s_wait_loadcnt_dscnt 0x301
	v_mul_f64_e32 v[61:62], v[6:7], v[75:76]
	v_mul_f64_e32 v[67:68], v[8:9], v[75:76]
	v_add_f64_e32 v[10:11], v[10:11], v[59:60]
	v_add_f64_e32 v[2:3], v[2:3], v[65:66]
	s_wait_loadcnt_dscnt 0x200
	v_mul_f64_e32 v[59:60], v[49:50], v[83:84]
	v_mul_f64_e32 v[65:66], v[51:52], v[83:84]
	v_fma_f64 v[8:9], v[8:9], v[73:74], v[61:62]
	v_fma_f64 v[6:7], v[6:7], v[73:74], -v[67:68]
	v_add_f64_e32 v[10:11], v[10:11], v[57:58]
	v_add_f64_e32 v[61:62], v[2:3], v[63:64]
	ds_load_b128 v[1:4], v1 offset:560
	v_fma_f64 v[51:52], v[51:52], v[81:82], v[59:60]
	v_fma_f64 v[49:50], v[49:50], v[81:82], -v[65:66]
	s_wait_loadcnt_dscnt 0x100
	v_mul_f64_e32 v[57:58], v[1:2], v[87:88]
	v_mul_f64_e32 v[63:64], v[3:4], v[87:88]
	v_add_f64_e32 v[8:9], v[10:11], v[8:9]
	v_add_f64_e32 v[6:7], v[61:62], v[6:7]
	s_delay_alu instid0(VALU_DEP_4) | instskip(NEXT) | instid1(VALU_DEP_4)
	v_fma_f64 v[3:4], v[3:4], v[85:86], v[57:58]
	v_fma_f64 v[1:2], v[1:2], v[85:86], -v[63:64]
	s_delay_alu instid0(VALU_DEP_4) | instskip(NEXT) | instid1(VALU_DEP_4)
	v_add_f64_e32 v[8:9], v[8:9], v[51:52]
	v_add_f64_e32 v[6:7], v[6:7], v[49:50]
	s_delay_alu instid0(VALU_DEP_2) | instskip(NEXT) | instid1(VALU_DEP_2)
	v_add_f64_e32 v[3:4], v[8:9], v[3:4]
	v_add_f64_e32 v[1:2], v[6:7], v[1:2]
	s_wait_loadcnt 0x0
	s_delay_alu instid0(VALU_DEP_2) | instskip(NEXT) | instid1(VALU_DEP_2)
	v_add_f64_e64 v[3:4], v[55:56], -v[3:4]
	v_add_f64_e64 v[1:2], v[53:54], -v[1:2]
	scratch_store_b128 off, v[1:4], off offset:128
	v_cmpx_lt_u32_e32 6, v0
	s_cbranch_execz .LBB17_109
; %bb.108:
	scratch_load_b128 v[1:4], off, s12
	v_mov_b32_e32 v6, 0
	s_delay_alu instid0(VALU_DEP_1)
	v_dual_mov_b32 v7, v6 :: v_dual_mov_b32 v8, v6
	v_mov_b32_e32 v9, v6
	scratch_store_b128 off, v[6:9], off offset:112
	s_wait_loadcnt 0x0
	ds_store_b128 v5, v[1:4]
.LBB17_109:
	s_wait_alu 0xfffe
	s_or_b32 exec_lo, exec_lo, s0
	s_wait_storecnt_dscnt 0x0
	s_barrier_signal -1
	s_barrier_wait -1
	global_inv scope:SCOPE_SE
	s_clause 0x7
	scratch_load_b128 v[6:9], off, off offset:128
	scratch_load_b128 v[49:52], off, off offset:144
	;; [unrolled: 1-line block ×8, first 2 shown]
	v_mov_b32_e32 v1, 0
	s_clause 0x1
	scratch_load_b128 v[81:84], off, off offset:256
	scratch_load_b128 v[85:88], off, off offset:272
	s_mov_b32 s0, exec_lo
	ds_load_b128 v[77:80], v1 offset:400
	s_wait_loadcnt_dscnt 0x900
	v_mul_f64_e32 v[2:3], v[79:80], v[8:9]
	v_mul_f64_e32 v[89:90], v[77:78], v[8:9]
	ds_load_b128 v[8:11], v1 offset:416
	v_fma_f64 v[2:3], v[77:78], v[6:7], -v[2:3]
	v_fma_f64 v[6:7], v[79:80], v[6:7], v[89:90]
	ds_load_b128 v[77:80], v1 offset:432
	s_wait_loadcnt_dscnt 0x801
	v_mul_f64_e32 v[93:94], v[8:9], v[51:52]
	v_mul_f64_e32 v[51:52], v[10:11], v[51:52]
	scratch_load_b128 v[89:92], off, off offset:288
	s_wait_loadcnt_dscnt 0x800
	v_mul_f64_e32 v[95:96], v[77:78], v[55:56]
	v_mul_f64_e32 v[55:56], v[79:80], v[55:56]
	v_add_f64_e32 v[2:3], 0, v[2:3]
	v_fma_f64 v[10:11], v[10:11], v[49:50], v[93:94]
	v_fma_f64 v[49:50], v[8:9], v[49:50], -v[51:52]
	v_add_f64_e32 v[51:52], 0, v[6:7]
	ds_load_b128 v[6:9], v1 offset:448
	v_fma_f64 v[79:80], v[79:80], v[53:54], v[95:96]
	v_fma_f64 v[53:54], v[77:78], v[53:54], -v[55:56]
	v_add_f64_e32 v[2:3], v[2:3], v[49:50]
	v_add_f64_e32 v[10:11], v[51:52], v[10:11]
	ds_load_b128 v[49:52], v1 offset:464
	s_wait_loadcnt_dscnt 0x701
	v_mul_f64_e32 v[93:94], v[6:7], v[59:60]
	v_mul_f64_e32 v[59:60], v[8:9], v[59:60]
	s_wait_loadcnt_dscnt 0x600
	v_mul_f64_e32 v[77:78], v[49:50], v[63:64]
	v_mul_f64_e32 v[63:64], v[51:52], v[63:64]
	v_add_f64_e32 v[2:3], v[2:3], v[53:54]
	v_add_f64_e32 v[10:11], v[10:11], v[79:80]
	scratch_load_b128 v[53:56], off, off offset:112
	v_fma_f64 v[93:94], v[8:9], v[57:58], v[93:94]
	v_fma_f64 v[57:58], v[6:7], v[57:58], -v[59:60]
	ds_load_b128 v[6:9], v1 offset:480
	v_fma_f64 v[77:78], v[51:52], v[61:62], v[77:78]
	v_fma_f64 v[61:62], v[49:50], v[61:62], -v[63:64]
	ds_load_b128 v[49:52], v1 offset:496
	s_wait_loadcnt_dscnt 0x601
	v_mul_f64_e32 v[59:60], v[6:7], v[67:68]
	v_mul_f64_e32 v[67:68], v[8:9], v[67:68]
	v_add_f64_e32 v[10:11], v[10:11], v[93:94]
	v_add_f64_e32 v[2:3], v[2:3], v[57:58]
	s_wait_loadcnt_dscnt 0x500
	v_mul_f64_e32 v[57:58], v[49:50], v[71:72]
	v_mul_f64_e32 v[63:64], v[51:52], v[71:72]
	v_fma_f64 v[59:60], v[8:9], v[65:66], v[59:60]
	v_fma_f64 v[65:66], v[6:7], v[65:66], -v[67:68]
	ds_load_b128 v[6:9], v1 offset:512
	v_add_f64_e32 v[10:11], v[10:11], v[77:78]
	v_add_f64_e32 v[2:3], v[2:3], v[61:62]
	v_fma_f64 v[57:58], v[51:52], v[69:70], v[57:58]
	v_fma_f64 v[63:64], v[49:50], v[69:70], -v[63:64]
	ds_load_b128 v[49:52], v1 offset:528
	s_wait_loadcnt_dscnt 0x401
	v_mul_f64_e32 v[61:62], v[6:7], v[75:76]
	v_mul_f64_e32 v[67:68], v[8:9], v[75:76]
	v_add_f64_e32 v[10:11], v[10:11], v[59:60]
	v_add_f64_e32 v[2:3], v[2:3], v[65:66]
	s_wait_loadcnt_dscnt 0x300
	v_mul_f64_e32 v[59:60], v[49:50], v[83:84]
	v_mul_f64_e32 v[65:66], v[51:52], v[83:84]
	v_fma_f64 v[61:62], v[8:9], v[73:74], v[61:62]
	v_fma_f64 v[67:68], v[6:7], v[73:74], -v[67:68]
	ds_load_b128 v[6:9], v1 offset:544
	v_add_f64_e32 v[10:11], v[10:11], v[57:58]
	v_add_f64_e32 v[2:3], v[2:3], v[63:64]
	v_fma_f64 v[59:60], v[51:52], v[81:82], v[59:60]
	v_fma_f64 v[65:66], v[49:50], v[81:82], -v[65:66]
	ds_load_b128 v[49:52], v1 offset:560
	s_wait_loadcnt_dscnt 0x201
	v_mul_f64_e32 v[57:58], v[6:7], v[87:88]
	v_mul_f64_e32 v[63:64], v[8:9], v[87:88]
	v_add_f64_e32 v[10:11], v[10:11], v[61:62]
	v_add_f64_e32 v[2:3], v[2:3], v[67:68]
	s_delay_alu instid0(VALU_DEP_4) | instskip(NEXT) | instid1(VALU_DEP_4)
	v_fma_f64 v[8:9], v[8:9], v[85:86], v[57:58]
	v_fma_f64 v[6:7], v[6:7], v[85:86], -v[63:64]
	s_wait_loadcnt_dscnt 0x100
	v_mul_f64_e32 v[61:62], v[49:50], v[91:92]
	v_mul_f64_e32 v[67:68], v[51:52], v[91:92]
	v_add_f64_e32 v[10:11], v[10:11], v[59:60]
	v_add_f64_e32 v[2:3], v[2:3], v[65:66]
	s_delay_alu instid0(VALU_DEP_4) | instskip(NEXT) | instid1(VALU_DEP_4)
	v_fma_f64 v[51:52], v[51:52], v[89:90], v[61:62]
	v_fma_f64 v[49:50], v[49:50], v[89:90], -v[67:68]
	s_delay_alu instid0(VALU_DEP_3) | instskip(SKIP_1) | instid1(VALU_DEP_2)
	v_add_f64_e32 v[2:3], v[2:3], v[6:7]
	v_add_f64_e32 v[6:7], v[10:11], v[8:9]
	v_add_f64_e32 v[2:3], v[2:3], v[49:50]
	s_delay_alu instid0(VALU_DEP_2) | instskip(SKIP_1) | instid1(VALU_DEP_2)
	v_add_f64_e32 v[8:9], v[6:7], v[51:52]
	s_wait_loadcnt 0x0
	v_add_f64_e64 v[6:7], v[53:54], -v[2:3]
	s_delay_alu instid0(VALU_DEP_2)
	v_add_f64_e64 v[8:9], v[55:56], -v[8:9]
	scratch_store_b128 off, v[6:9], off offset:112
	v_cmpx_lt_u32_e32 5, v0
	s_cbranch_execz .LBB17_111
; %bb.110:
	scratch_load_b128 v[6:9], off, s4
	v_dual_mov_b32 v2, v1 :: v_dual_mov_b32 v3, v1
	v_mov_b32_e32 v4, v1
	scratch_store_b128 off, v[1:4], off offset:96
	s_wait_loadcnt 0x0
	ds_store_b128 v5, v[6:9]
.LBB17_111:
	s_wait_alu 0xfffe
	s_or_b32 exec_lo, exec_lo, s0
	s_wait_storecnt_dscnt 0x0
	s_barrier_signal -1
	s_barrier_wait -1
	global_inv scope:SCOPE_SE
	s_clause 0x8
	scratch_load_b128 v[6:9], off, off offset:112
	scratch_load_b128 v[49:52], off, off offset:128
	scratch_load_b128 v[53:56], off, off offset:144
	scratch_load_b128 v[57:60], off, off offset:160
	scratch_load_b128 v[61:64], off, off offset:176
	scratch_load_b128 v[65:68], off, off offset:192
	scratch_load_b128 v[69:72], off, off offset:208
	scratch_load_b128 v[73:76], off, off offset:224
	scratch_load_b128 v[77:80], off, off offset:240
	ds_load_b128 v[81:84], v1 offset:384
	ds_load_b128 v[85:88], v1 offset:400
	scratch_load_b128 v[89:92], off, off offset:96
	s_mov_b32 s0, exec_lo
	ds_load_b128 v[97:100], v1 offset:432
	s_wait_loadcnt_dscnt 0x902
	v_mul_f64_e32 v[2:3], v[83:84], v[8:9]
	v_mul_f64_e32 v[93:94], v[81:82], v[8:9]
	scratch_load_b128 v[8:11], off, off offset:256
	s_wait_loadcnt_dscnt 0x901
	v_mul_f64_e32 v[101:102], v[85:86], v[51:52]
	v_mul_f64_e32 v[51:52], v[87:88], v[51:52]
	v_fma_f64 v[2:3], v[81:82], v[6:7], -v[2:3]
	v_fma_f64 v[6:7], v[83:84], v[6:7], v[93:94]
	ds_load_b128 v[81:84], v1 offset:416
	scratch_load_b128 v[93:96], off, off offset:272
	v_fma_f64 v[87:88], v[87:88], v[49:50], v[101:102]
	v_fma_f64 v[85:86], v[85:86], v[49:50], -v[51:52]
	scratch_load_b128 v[49:52], off, off offset:288
	s_wait_loadcnt_dscnt 0x901
	v_mul_f64_e32 v[101:102], v[97:98], v[59:60]
	v_mul_f64_e32 v[59:60], v[99:100], v[59:60]
	s_wait_dscnt 0x0
	v_mul_f64_e32 v[103:104], v[81:82], v[55:56]
	v_mul_f64_e32 v[55:56], v[83:84], v[55:56]
	v_add_f64_e32 v[2:3], 0, v[2:3]
	v_add_f64_e32 v[6:7], 0, v[6:7]
	s_delay_alu instid0(VALU_DEP_4) | instskip(NEXT) | instid1(VALU_DEP_4)
	v_fma_f64 v[103:104], v[83:84], v[53:54], v[103:104]
	v_fma_f64 v[105:106], v[81:82], v[53:54], -v[55:56]
	ds_load_b128 v[53:56], v1 offset:448
	ds_load_b128 v[81:84], v1 offset:464
	v_add_f64_e32 v[2:3], v[2:3], v[85:86]
	v_add_f64_e32 v[6:7], v[6:7], v[87:88]
	v_fma_f64 v[87:88], v[99:100], v[57:58], v[101:102]
	v_fma_f64 v[57:58], v[97:98], v[57:58], -v[59:60]
	s_wait_loadcnt_dscnt 0x801
	v_mul_f64_e32 v[85:86], v[53:54], v[63:64]
	v_mul_f64_e32 v[63:64], v[55:56], v[63:64]
	s_wait_loadcnt_dscnt 0x700
	v_mul_f64_e32 v[97:98], v[81:82], v[67:68]
	v_mul_f64_e32 v[67:68], v[83:84], v[67:68]
	v_add_f64_e32 v[2:3], v[2:3], v[105:106]
	v_add_f64_e32 v[6:7], v[6:7], v[103:104]
	v_fma_f64 v[85:86], v[55:56], v[61:62], v[85:86]
	v_fma_f64 v[61:62], v[53:54], v[61:62], -v[63:64]
	v_fma_f64 v[83:84], v[83:84], v[65:66], v[97:98]
	v_fma_f64 v[65:66], v[81:82], v[65:66], -v[67:68]
	v_add_f64_e32 v[2:3], v[2:3], v[57:58]
	v_add_f64_e32 v[6:7], v[6:7], v[87:88]
	ds_load_b128 v[53:56], v1 offset:480
	ds_load_b128 v[57:60], v1 offset:496
	s_wait_loadcnt_dscnt 0x601
	v_mul_f64_e32 v[63:64], v[53:54], v[71:72]
	v_mul_f64_e32 v[71:72], v[55:56], v[71:72]
	s_wait_loadcnt_dscnt 0x500
	v_mul_f64_e32 v[67:68], v[57:58], v[75:76]
	v_mul_f64_e32 v[75:76], v[59:60], v[75:76]
	v_add_f64_e32 v[2:3], v[2:3], v[61:62]
	v_add_f64_e32 v[6:7], v[6:7], v[85:86]
	v_fma_f64 v[81:82], v[55:56], v[69:70], v[63:64]
	v_fma_f64 v[69:70], v[53:54], v[69:70], -v[71:72]
	ds_load_b128 v[53:56], v1 offset:512
	ds_load_b128 v[61:64], v1 offset:528
	v_fma_f64 v[59:60], v[59:60], v[73:74], v[67:68]
	v_fma_f64 v[57:58], v[57:58], v[73:74], -v[75:76]
	v_add_f64_e32 v[2:3], v[2:3], v[65:66]
	v_add_f64_e32 v[6:7], v[6:7], v[83:84]
	s_wait_loadcnt_dscnt 0x401
	v_mul_f64_e32 v[65:66], v[53:54], v[79:80]
	v_mul_f64_e32 v[71:72], v[55:56], v[79:80]
	s_delay_alu instid0(VALU_DEP_4) | instskip(NEXT) | instid1(VALU_DEP_4)
	v_add_f64_e32 v[2:3], v[2:3], v[69:70]
	v_add_f64_e32 v[6:7], v[6:7], v[81:82]
	s_delay_alu instid0(VALU_DEP_4) | instskip(NEXT) | instid1(VALU_DEP_4)
	v_fma_f64 v[65:66], v[55:56], v[77:78], v[65:66]
	v_fma_f64 v[69:70], v[53:54], v[77:78], -v[71:72]
	s_wait_loadcnt_dscnt 0x200
	v_mul_f64_e32 v[67:68], v[61:62], v[10:11]
	v_mul_f64_e32 v[10:11], v[63:64], v[10:11]
	v_add_f64_e32 v[57:58], v[2:3], v[57:58]
	v_add_f64_e32 v[6:7], v[6:7], v[59:60]
	ds_load_b128 v[53:56], v1 offset:544
	ds_load_b128 v[1:4], v1 offset:560
	v_fma_f64 v[63:64], v[63:64], v[8:9], v[67:68]
	v_fma_f64 v[8:9], v[61:62], v[8:9], -v[10:11]
	s_wait_loadcnt_dscnt 0x101
	v_mul_f64_e32 v[59:60], v[53:54], v[95:96]
	v_mul_f64_e32 v[71:72], v[55:56], v[95:96]
	v_add_f64_e32 v[10:11], v[57:58], v[69:70]
	v_add_f64_e32 v[6:7], v[6:7], v[65:66]
	s_wait_loadcnt_dscnt 0x0
	v_mul_f64_e32 v[57:58], v[1:2], v[51:52]
	v_mul_f64_e32 v[51:52], v[3:4], v[51:52]
	v_fma_f64 v[55:56], v[55:56], v[93:94], v[59:60]
	v_fma_f64 v[53:54], v[53:54], v[93:94], -v[71:72]
	v_add_f64_e32 v[8:9], v[10:11], v[8:9]
	v_add_f64_e32 v[6:7], v[6:7], v[63:64]
	v_fma_f64 v[3:4], v[3:4], v[49:50], v[57:58]
	v_fma_f64 v[1:2], v[1:2], v[49:50], -v[51:52]
	s_delay_alu instid0(VALU_DEP_4) | instskip(NEXT) | instid1(VALU_DEP_4)
	v_add_f64_e32 v[8:9], v[8:9], v[53:54]
	v_add_f64_e32 v[6:7], v[6:7], v[55:56]
	s_delay_alu instid0(VALU_DEP_2) | instskip(NEXT) | instid1(VALU_DEP_2)
	v_add_f64_e32 v[1:2], v[8:9], v[1:2]
	v_add_f64_e32 v[3:4], v[6:7], v[3:4]
	s_delay_alu instid0(VALU_DEP_2) | instskip(NEXT) | instid1(VALU_DEP_2)
	v_add_f64_e64 v[1:2], v[89:90], -v[1:2]
	v_add_f64_e64 v[3:4], v[91:92], -v[3:4]
	scratch_store_b128 off, v[1:4], off offset:96
	v_cmpx_lt_u32_e32 4, v0
	s_cbranch_execz .LBB17_113
; %bb.112:
	scratch_load_b128 v[1:4], off, s8
	v_mov_b32_e32 v6, 0
	s_delay_alu instid0(VALU_DEP_1)
	v_dual_mov_b32 v7, v6 :: v_dual_mov_b32 v8, v6
	v_mov_b32_e32 v9, v6
	scratch_store_b128 off, v[6:9], off offset:80
	s_wait_loadcnt 0x0
	ds_store_b128 v5, v[1:4]
.LBB17_113:
	s_wait_alu 0xfffe
	s_or_b32 exec_lo, exec_lo, s0
	s_wait_storecnt_dscnt 0x0
	s_barrier_signal -1
	s_barrier_wait -1
	global_inv scope:SCOPE_SE
	s_clause 0x7
	scratch_load_b128 v[6:9], off, off offset:96
	scratch_load_b128 v[49:52], off, off offset:112
	;; [unrolled: 1-line block ×8, first 2 shown]
	v_mov_b32_e32 v1, 0
	s_mov_b32 s0, exec_lo
	ds_load_b128 v[77:80], v1 offset:368
	s_clause 0x1
	scratch_load_b128 v[81:84], off, off offset:224
	scratch_load_b128 v[85:88], off, off offset:80
	ds_load_b128 v[89:92], v1 offset:384
	ds_load_b128 v[97:100], v1 offset:416
	s_wait_loadcnt_dscnt 0x902
	v_mul_f64_e32 v[2:3], v[79:80], v[8:9]
	v_mul_f64_e32 v[93:94], v[77:78], v[8:9]
	scratch_load_b128 v[8:11], off, off offset:240
	v_fma_f64 v[2:3], v[77:78], v[6:7], -v[2:3]
	v_fma_f64 v[6:7], v[79:80], v[6:7], v[93:94]
	ds_load_b128 v[77:80], v1 offset:400
	s_wait_loadcnt_dscnt 0x902
	v_mul_f64_e32 v[101:102], v[89:90], v[51:52]
	v_mul_f64_e32 v[51:52], v[91:92], v[51:52]
	scratch_load_b128 v[93:96], off, off offset:256
	s_wait_loadcnt_dscnt 0x900
	v_mul_f64_e32 v[103:104], v[77:78], v[55:56]
	v_mul_f64_e32 v[55:56], v[79:80], v[55:56]
	v_add_f64_e32 v[2:3], 0, v[2:3]
	v_add_f64_e32 v[6:7], 0, v[6:7]
	v_fma_f64 v[91:92], v[91:92], v[49:50], v[101:102]
	v_fma_f64 v[89:90], v[89:90], v[49:50], -v[51:52]
	scratch_load_b128 v[49:52], off, off offset:272
	v_fma_f64 v[103:104], v[79:80], v[53:54], v[103:104]
	v_fma_f64 v[105:106], v[77:78], v[53:54], -v[55:56]
	ds_load_b128 v[53:56], v1 offset:432
	s_wait_loadcnt 0x9
	v_mul_f64_e32 v[101:102], v[97:98], v[59:60]
	v_mul_f64_e32 v[59:60], v[99:100], v[59:60]
	scratch_load_b128 v[77:80], off, off offset:288
	v_add_f64_e32 v[6:7], v[6:7], v[91:92]
	v_add_f64_e32 v[2:3], v[2:3], v[89:90]
	ds_load_b128 v[89:92], v1 offset:448
	s_wait_loadcnt_dscnt 0x901
	v_mul_f64_e32 v[107:108], v[53:54], v[63:64]
	v_mul_f64_e32 v[63:64], v[55:56], v[63:64]
	v_fma_f64 v[99:100], v[99:100], v[57:58], v[101:102]
	v_fma_f64 v[57:58], v[97:98], v[57:58], -v[59:60]
	s_wait_loadcnt_dscnt 0x800
	v_mul_f64_e32 v[97:98], v[89:90], v[67:68]
	v_mul_f64_e32 v[67:68], v[91:92], v[67:68]
	v_add_f64_e32 v[6:7], v[6:7], v[103:104]
	v_add_f64_e32 v[2:3], v[2:3], v[105:106]
	v_fma_f64 v[101:102], v[55:56], v[61:62], v[107:108]
	v_fma_f64 v[61:62], v[53:54], v[61:62], -v[63:64]
	v_fma_f64 v[91:92], v[91:92], v[65:66], v[97:98]
	v_fma_f64 v[65:66], v[89:90], v[65:66], -v[67:68]
	v_add_f64_e32 v[6:7], v[6:7], v[99:100]
	v_add_f64_e32 v[2:3], v[2:3], v[57:58]
	ds_load_b128 v[53:56], v1 offset:464
	ds_load_b128 v[57:60], v1 offset:480
	s_wait_loadcnt_dscnt 0x701
	v_mul_f64_e32 v[63:64], v[53:54], v[71:72]
	v_mul_f64_e32 v[71:72], v[55:56], v[71:72]
	s_wait_loadcnt_dscnt 0x600
	v_mul_f64_e32 v[67:68], v[57:58], v[75:76]
	v_mul_f64_e32 v[75:76], v[59:60], v[75:76]
	v_add_f64_e32 v[6:7], v[6:7], v[101:102]
	v_add_f64_e32 v[2:3], v[2:3], v[61:62]
	v_fma_f64 v[89:90], v[55:56], v[69:70], v[63:64]
	v_fma_f64 v[69:70], v[53:54], v[69:70], -v[71:72]
	ds_load_b128 v[53:56], v1 offset:496
	ds_load_b128 v[61:64], v1 offset:512
	v_fma_f64 v[59:60], v[59:60], v[73:74], v[67:68]
	v_fma_f64 v[57:58], v[57:58], v[73:74], -v[75:76]
	v_add_f64_e32 v[6:7], v[6:7], v[91:92]
	v_add_f64_e32 v[2:3], v[2:3], v[65:66]
	s_wait_loadcnt_dscnt 0x501
	v_mul_f64_e32 v[65:66], v[53:54], v[83:84]
	v_mul_f64_e32 v[71:72], v[55:56], v[83:84]
	s_delay_alu instid0(VALU_DEP_4) | instskip(NEXT) | instid1(VALU_DEP_4)
	v_add_f64_e32 v[6:7], v[6:7], v[89:90]
	v_add_f64_e32 v[2:3], v[2:3], v[69:70]
	s_delay_alu instid0(VALU_DEP_4) | instskip(NEXT) | instid1(VALU_DEP_4)
	v_fma_f64 v[65:66], v[55:56], v[81:82], v[65:66]
	v_fma_f64 v[69:70], v[53:54], v[81:82], -v[71:72]
	s_wait_loadcnt_dscnt 0x300
	v_mul_f64_e32 v[67:68], v[61:62], v[10:11]
	v_mul_f64_e32 v[10:11], v[63:64], v[10:11]
	v_add_f64_e32 v[6:7], v[6:7], v[59:60]
	v_add_f64_e32 v[2:3], v[2:3], v[57:58]
	ds_load_b128 v[53:56], v1 offset:528
	ds_load_b128 v[57:60], v1 offset:544
	v_fma_f64 v[63:64], v[63:64], v[8:9], v[67:68]
	v_fma_f64 v[8:9], v[61:62], v[8:9], -v[10:11]
	s_wait_loadcnt_dscnt 0x201
	v_mul_f64_e32 v[71:72], v[53:54], v[95:96]
	v_mul_f64_e32 v[73:74], v[55:56], v[95:96]
	v_add_f64_e32 v[6:7], v[6:7], v[65:66]
	v_add_f64_e32 v[2:3], v[2:3], v[69:70]
	s_wait_loadcnt_dscnt 0x100
	v_mul_f64_e32 v[10:11], v[57:58], v[51:52]
	v_mul_f64_e32 v[51:52], v[59:60], v[51:52]
	v_fma_f64 v[55:56], v[55:56], v[93:94], v[71:72]
	v_fma_f64 v[53:54], v[53:54], v[93:94], -v[73:74]
	v_add_f64_e32 v[61:62], v[6:7], v[63:64]
	v_add_f64_e32 v[2:3], v[2:3], v[8:9]
	ds_load_b128 v[6:9], v1 offset:560
	v_fma_f64 v[10:11], v[59:60], v[49:50], v[10:11]
	v_fma_f64 v[49:50], v[57:58], v[49:50], -v[51:52]
	s_wait_loadcnt_dscnt 0x0
	v_mul_f64_e32 v[63:64], v[6:7], v[79:80]
	v_mul_f64_e32 v[65:66], v[8:9], v[79:80]
	v_add_f64_e32 v[51:52], v[61:62], v[55:56]
	v_add_f64_e32 v[2:3], v[2:3], v[53:54]
	s_delay_alu instid0(VALU_DEP_4) | instskip(NEXT) | instid1(VALU_DEP_4)
	v_fma_f64 v[8:9], v[8:9], v[77:78], v[63:64]
	v_fma_f64 v[6:7], v[6:7], v[77:78], -v[65:66]
	s_delay_alu instid0(VALU_DEP_4) | instskip(NEXT) | instid1(VALU_DEP_4)
	v_add_f64_e32 v[10:11], v[51:52], v[10:11]
	v_add_f64_e32 v[2:3], v[2:3], v[49:50]
	s_delay_alu instid0(VALU_DEP_2) | instskip(NEXT) | instid1(VALU_DEP_2)
	v_add_f64_e32 v[8:9], v[10:11], v[8:9]
	v_add_f64_e32 v[2:3], v[2:3], v[6:7]
	s_delay_alu instid0(VALU_DEP_2) | instskip(NEXT) | instid1(VALU_DEP_2)
	v_add_f64_e64 v[8:9], v[87:88], -v[8:9]
	v_add_f64_e64 v[6:7], v[85:86], -v[2:3]
	scratch_store_b128 off, v[6:9], off offset:80
	v_cmpx_lt_u32_e32 3, v0
	s_cbranch_execz .LBB17_115
; %bb.114:
	scratch_load_b128 v[6:9], off, s5
	v_dual_mov_b32 v2, v1 :: v_dual_mov_b32 v3, v1
	v_mov_b32_e32 v4, v1
	scratch_store_b128 off, v[1:4], off offset:64
	s_wait_loadcnt 0x0
	ds_store_b128 v5, v[6:9]
.LBB17_115:
	s_wait_alu 0xfffe
	s_or_b32 exec_lo, exec_lo, s0
	s_wait_storecnt_dscnt 0x0
	s_barrier_signal -1
	s_barrier_wait -1
	global_inv scope:SCOPE_SE
	s_clause 0x8
	scratch_load_b128 v[6:9], off, off offset:80
	scratch_load_b128 v[49:52], off, off offset:96
	;; [unrolled: 1-line block ×9, first 2 shown]
	ds_load_b128 v[81:84], v1 offset:352
	ds_load_b128 v[85:88], v1 offset:368
	scratch_load_b128 v[89:92], off, off offset:64
	s_mov_b32 s0, exec_lo
	ds_load_b128 v[97:100], v1 offset:400
	s_wait_loadcnt_dscnt 0x902
	v_mul_f64_e32 v[2:3], v[83:84], v[8:9]
	v_mul_f64_e32 v[93:94], v[81:82], v[8:9]
	scratch_load_b128 v[8:11], off, off offset:224
	s_wait_loadcnt_dscnt 0x901
	v_mul_f64_e32 v[101:102], v[85:86], v[51:52]
	v_mul_f64_e32 v[51:52], v[87:88], v[51:52]
	v_fma_f64 v[2:3], v[81:82], v[6:7], -v[2:3]
	v_fma_f64 v[6:7], v[83:84], v[6:7], v[93:94]
	ds_load_b128 v[81:84], v1 offset:384
	scratch_load_b128 v[93:96], off, off offset:240
	v_fma_f64 v[87:88], v[87:88], v[49:50], v[101:102]
	v_fma_f64 v[85:86], v[85:86], v[49:50], -v[51:52]
	scratch_load_b128 v[49:52], off, off offset:256
	s_wait_loadcnt_dscnt 0x901
	v_mul_f64_e32 v[101:102], v[97:98], v[59:60]
	v_mul_f64_e32 v[59:60], v[99:100], v[59:60]
	s_wait_dscnt 0x0
	v_mul_f64_e32 v[103:104], v[81:82], v[55:56]
	v_mul_f64_e32 v[55:56], v[83:84], v[55:56]
	v_add_f64_e32 v[2:3], 0, v[2:3]
	v_add_f64_e32 v[6:7], 0, v[6:7]
	v_fma_f64 v[99:100], v[99:100], v[57:58], v[101:102]
	v_fma_f64 v[97:98], v[97:98], v[57:58], -v[59:60]
	scratch_load_b128 v[57:60], off, off offset:288
	v_fma_f64 v[103:104], v[83:84], v[53:54], v[103:104]
	v_fma_f64 v[105:106], v[81:82], v[53:54], -v[55:56]
	ds_load_b128 v[53:56], v1 offset:416
	scratch_load_b128 v[81:84], off, off offset:272
	v_add_f64_e32 v[2:3], v[2:3], v[85:86]
	v_add_f64_e32 v[6:7], v[6:7], v[87:88]
	ds_load_b128 v[85:88], v1 offset:432
	s_wait_loadcnt_dscnt 0xa01
	v_mul_f64_e32 v[107:108], v[53:54], v[63:64]
	v_mul_f64_e32 v[63:64], v[55:56], v[63:64]
	s_wait_loadcnt_dscnt 0x900
	v_mul_f64_e32 v[101:102], v[85:86], v[67:68]
	v_mul_f64_e32 v[67:68], v[87:88], v[67:68]
	v_add_f64_e32 v[2:3], v[2:3], v[105:106]
	v_add_f64_e32 v[6:7], v[6:7], v[103:104]
	v_fma_f64 v[103:104], v[55:56], v[61:62], v[107:108]
	v_fma_f64 v[105:106], v[53:54], v[61:62], -v[63:64]
	ds_load_b128 v[53:56], v1 offset:448
	ds_load_b128 v[61:64], v1 offset:464
	v_fma_f64 v[87:88], v[87:88], v[65:66], v[101:102]
	v_fma_f64 v[65:66], v[85:86], v[65:66], -v[67:68]
	s_wait_loadcnt_dscnt 0x700
	v_mul_f64_e32 v[85:86], v[61:62], v[75:76]
	v_mul_f64_e32 v[75:76], v[63:64], v[75:76]
	v_add_f64_e32 v[2:3], v[2:3], v[97:98]
	v_add_f64_e32 v[6:7], v[6:7], v[99:100]
	v_mul_f64_e32 v[97:98], v[53:54], v[71:72]
	v_mul_f64_e32 v[71:72], v[55:56], v[71:72]
	v_fma_f64 v[63:64], v[63:64], v[73:74], v[85:86]
	v_fma_f64 v[61:62], v[61:62], v[73:74], -v[75:76]
	v_add_f64_e32 v[2:3], v[2:3], v[105:106]
	v_add_f64_e32 v[6:7], v[6:7], v[103:104]
	v_fma_f64 v[97:98], v[55:56], v[69:70], v[97:98]
	v_fma_f64 v[69:70], v[53:54], v[69:70], -v[71:72]
	s_delay_alu instid0(VALU_DEP_4) | instskip(NEXT) | instid1(VALU_DEP_4)
	v_add_f64_e32 v[2:3], v[2:3], v[65:66]
	v_add_f64_e32 v[6:7], v[6:7], v[87:88]
	ds_load_b128 v[53:56], v1 offset:480
	ds_load_b128 v[65:68], v1 offset:496
	s_wait_loadcnt_dscnt 0x601
	v_mul_f64_e32 v[71:72], v[53:54], v[79:80]
	v_mul_f64_e32 v[79:80], v[55:56], v[79:80]
	v_add_f64_e32 v[2:3], v[2:3], v[69:70]
	v_add_f64_e32 v[6:7], v[6:7], v[97:98]
	s_wait_loadcnt_dscnt 0x400
	v_mul_f64_e32 v[69:70], v[65:66], v[10:11]
	v_mul_f64_e32 v[10:11], v[67:68], v[10:11]
	v_fma_f64 v[71:72], v[55:56], v[77:78], v[71:72]
	v_fma_f64 v[73:74], v[53:54], v[77:78], -v[79:80]
	v_add_f64_e32 v[2:3], v[2:3], v[61:62]
	v_add_f64_e32 v[6:7], v[6:7], v[63:64]
	ds_load_b128 v[53:56], v1 offset:512
	ds_load_b128 v[61:64], v1 offset:528
	v_fma_f64 v[67:68], v[67:68], v[8:9], v[69:70]
	v_fma_f64 v[8:9], v[65:66], v[8:9], -v[10:11]
	s_wait_loadcnt_dscnt 0x301
	v_mul_f64_e32 v[75:76], v[53:54], v[95:96]
	v_mul_f64_e32 v[77:78], v[55:56], v[95:96]
	s_wait_loadcnt_dscnt 0x200
	v_mul_f64_e32 v[10:11], v[61:62], v[51:52]
	v_mul_f64_e32 v[51:52], v[63:64], v[51:52]
	v_add_f64_e32 v[2:3], v[2:3], v[73:74]
	v_add_f64_e32 v[6:7], v[6:7], v[71:72]
	v_fma_f64 v[55:56], v[55:56], v[93:94], v[75:76]
	v_fma_f64 v[53:54], v[53:54], v[93:94], -v[77:78]
	v_fma_f64 v[10:11], v[63:64], v[49:50], v[10:11]
	v_fma_f64 v[49:50], v[61:62], v[49:50], -v[51:52]
	v_add_f64_e32 v[65:66], v[2:3], v[8:9]
	v_add_f64_e32 v[67:68], v[6:7], v[67:68]
	ds_load_b128 v[6:9], v1 offset:544
	ds_load_b128 v[1:4], v1 offset:560
	s_wait_loadcnt_dscnt 0x1
	v_mul_f64_e32 v[69:70], v[6:7], v[83:84]
	v_mul_f64_e32 v[71:72], v[8:9], v[83:84]
	v_add_f64_e32 v[51:52], v[65:66], v[53:54]
	v_add_f64_e32 v[53:54], v[67:68], v[55:56]
	s_wait_dscnt 0x0
	v_mul_f64_e32 v[55:56], v[1:2], v[59:60]
	v_mul_f64_e32 v[59:60], v[3:4], v[59:60]
	v_fma_f64 v[8:9], v[8:9], v[81:82], v[69:70]
	v_fma_f64 v[6:7], v[6:7], v[81:82], -v[71:72]
	v_add_f64_e32 v[49:50], v[51:52], v[49:50]
	v_add_f64_e32 v[10:11], v[53:54], v[10:11]
	v_fma_f64 v[3:4], v[3:4], v[57:58], v[55:56]
	v_fma_f64 v[1:2], v[1:2], v[57:58], -v[59:60]
	s_delay_alu instid0(VALU_DEP_4) | instskip(NEXT) | instid1(VALU_DEP_4)
	v_add_f64_e32 v[6:7], v[49:50], v[6:7]
	v_add_f64_e32 v[8:9], v[10:11], v[8:9]
	s_delay_alu instid0(VALU_DEP_2) | instskip(NEXT) | instid1(VALU_DEP_2)
	v_add_f64_e32 v[1:2], v[6:7], v[1:2]
	v_add_f64_e32 v[3:4], v[8:9], v[3:4]
	s_delay_alu instid0(VALU_DEP_2) | instskip(NEXT) | instid1(VALU_DEP_2)
	v_add_f64_e64 v[1:2], v[89:90], -v[1:2]
	v_add_f64_e64 v[3:4], v[91:92], -v[3:4]
	scratch_store_b128 off, v[1:4], off offset:64
	v_cmpx_lt_u32_e32 2, v0
	s_cbranch_execz .LBB17_117
; %bb.116:
	scratch_load_b128 v[1:4], off, s9
	v_mov_b32_e32 v6, 0
	s_delay_alu instid0(VALU_DEP_1)
	v_dual_mov_b32 v7, v6 :: v_dual_mov_b32 v8, v6
	v_mov_b32_e32 v9, v6
	scratch_store_b128 off, v[6:9], off offset:48
	s_wait_loadcnt 0x0
	ds_store_b128 v5, v[1:4]
.LBB17_117:
	s_wait_alu 0xfffe
	s_or_b32 exec_lo, exec_lo, s0
	s_wait_storecnt_dscnt 0x0
	s_barrier_signal -1
	s_barrier_wait -1
	global_inv scope:SCOPE_SE
	s_clause 0x7
	scratch_load_b128 v[6:9], off, off offset:64
	scratch_load_b128 v[49:52], off, off offset:80
	;; [unrolled: 1-line block ×8, first 2 shown]
	v_mov_b32_e32 v1, 0
	s_mov_b32 s0, exec_lo
	ds_load_b128 v[77:80], v1 offset:336
	s_clause 0x1
	scratch_load_b128 v[81:84], off, off offset:192
	scratch_load_b128 v[85:88], off, off offset:48
	ds_load_b128 v[89:92], v1 offset:352
	ds_load_b128 v[97:100], v1 offset:384
	s_wait_loadcnt_dscnt 0x902
	v_mul_f64_e32 v[2:3], v[79:80], v[8:9]
	v_mul_f64_e32 v[93:94], v[77:78], v[8:9]
	scratch_load_b128 v[8:11], off, off offset:208
	v_fma_f64 v[2:3], v[77:78], v[6:7], -v[2:3]
	v_fma_f64 v[6:7], v[79:80], v[6:7], v[93:94]
	ds_load_b128 v[77:80], v1 offset:368
	s_wait_loadcnt_dscnt 0x902
	v_mul_f64_e32 v[101:102], v[89:90], v[51:52]
	v_mul_f64_e32 v[51:52], v[91:92], v[51:52]
	scratch_load_b128 v[93:96], off, off offset:224
	s_wait_loadcnt_dscnt 0x900
	v_mul_f64_e32 v[103:104], v[77:78], v[55:56]
	v_mul_f64_e32 v[55:56], v[79:80], v[55:56]
	v_add_f64_e32 v[2:3], 0, v[2:3]
	v_add_f64_e32 v[6:7], 0, v[6:7]
	v_fma_f64 v[91:92], v[91:92], v[49:50], v[101:102]
	v_fma_f64 v[89:90], v[89:90], v[49:50], -v[51:52]
	scratch_load_b128 v[49:52], off, off offset:240
	v_fma_f64 v[103:104], v[79:80], v[53:54], v[103:104]
	v_fma_f64 v[105:106], v[77:78], v[53:54], -v[55:56]
	ds_load_b128 v[53:56], v1 offset:400
	s_wait_loadcnt 0x9
	v_mul_f64_e32 v[101:102], v[97:98], v[59:60]
	v_mul_f64_e32 v[59:60], v[99:100], v[59:60]
	scratch_load_b128 v[77:80], off, off offset:256
	v_add_f64_e32 v[6:7], v[6:7], v[91:92]
	v_add_f64_e32 v[2:3], v[2:3], v[89:90]
	ds_load_b128 v[89:92], v1 offset:416
	s_wait_loadcnt_dscnt 0x901
	v_mul_f64_e32 v[107:108], v[53:54], v[63:64]
	v_mul_f64_e32 v[63:64], v[55:56], v[63:64]
	v_fma_f64 v[99:100], v[99:100], v[57:58], v[101:102]
	v_fma_f64 v[97:98], v[97:98], v[57:58], -v[59:60]
	scratch_load_b128 v[57:60], off, off offset:272
	v_add_f64_e32 v[6:7], v[6:7], v[103:104]
	v_add_f64_e32 v[2:3], v[2:3], v[105:106]
	v_fma_f64 v[103:104], v[55:56], v[61:62], v[107:108]
	v_fma_f64 v[105:106], v[53:54], v[61:62], -v[63:64]
	ds_load_b128 v[53:56], v1 offset:432
	s_wait_loadcnt_dscnt 0x901
	v_mul_f64_e32 v[101:102], v[89:90], v[67:68]
	v_mul_f64_e32 v[67:68], v[91:92], v[67:68]
	scratch_load_b128 v[61:64], off, off offset:288
	s_wait_loadcnt_dscnt 0x900
	v_mul_f64_e32 v[107:108], v[53:54], v[71:72]
	v_mul_f64_e32 v[71:72], v[55:56], v[71:72]
	v_add_f64_e32 v[6:7], v[6:7], v[99:100]
	v_add_f64_e32 v[2:3], v[2:3], v[97:98]
	ds_load_b128 v[97:100], v1 offset:448
	v_fma_f64 v[91:92], v[91:92], v[65:66], v[101:102]
	v_fma_f64 v[65:66], v[89:90], v[65:66], -v[67:68]
	s_wait_loadcnt_dscnt 0x800
	v_mul_f64_e32 v[89:90], v[97:98], v[75:76]
	v_mul_f64_e32 v[75:76], v[99:100], v[75:76]
	v_fma_f64 v[101:102], v[55:56], v[69:70], v[107:108]
	v_fma_f64 v[69:70], v[53:54], v[69:70], -v[71:72]
	v_add_f64_e32 v[6:7], v[6:7], v[103:104]
	v_add_f64_e32 v[2:3], v[2:3], v[105:106]
	v_fma_f64 v[89:90], v[99:100], v[73:74], v[89:90]
	v_fma_f64 v[73:74], v[97:98], v[73:74], -v[75:76]
	s_delay_alu instid0(VALU_DEP_4) | instskip(NEXT) | instid1(VALU_DEP_4)
	v_add_f64_e32 v[6:7], v[6:7], v[91:92]
	v_add_f64_e32 v[2:3], v[2:3], v[65:66]
	ds_load_b128 v[53:56], v1 offset:464
	ds_load_b128 v[65:68], v1 offset:480
	s_wait_loadcnt_dscnt 0x701
	v_mul_f64_e32 v[71:72], v[53:54], v[83:84]
	v_mul_f64_e32 v[83:84], v[55:56], v[83:84]
	v_add_f64_e32 v[6:7], v[6:7], v[101:102]
	v_add_f64_e32 v[2:3], v[2:3], v[69:70]
	s_wait_loadcnt_dscnt 0x500
	v_mul_f64_e32 v[75:76], v[65:66], v[10:11]
	v_mul_f64_e32 v[10:11], v[67:68], v[10:11]
	v_fma_f64 v[91:92], v[55:56], v[81:82], v[71:72]
	v_fma_f64 v[81:82], v[53:54], v[81:82], -v[83:84]
	ds_load_b128 v[53:56], v1 offset:496
	ds_load_b128 v[69:72], v1 offset:512
	v_add_f64_e32 v[6:7], v[6:7], v[89:90]
	v_add_f64_e32 v[2:3], v[2:3], v[73:74]
	v_fma_f64 v[67:68], v[67:68], v[8:9], v[75:76]
	v_fma_f64 v[8:9], v[65:66], v[8:9], -v[10:11]
	s_wait_loadcnt_dscnt 0x401
	v_mul_f64_e32 v[73:74], v[53:54], v[95:96]
	v_mul_f64_e32 v[83:84], v[55:56], v[95:96]
	v_add_f64_e32 v[6:7], v[6:7], v[91:92]
	v_add_f64_e32 v[2:3], v[2:3], v[81:82]
	s_wait_loadcnt_dscnt 0x300
	v_mul_f64_e32 v[10:11], v[69:70], v[51:52]
	v_mul_f64_e32 v[65:66], v[71:72], v[51:52]
	v_fma_f64 v[55:56], v[55:56], v[93:94], v[73:74]
	v_fma_f64 v[73:74], v[53:54], v[93:94], -v[83:84]
	v_add_f64_e32 v[67:68], v[6:7], v[67:68]
	v_add_f64_e32 v[2:3], v[2:3], v[8:9]
	ds_load_b128 v[6:9], v1 offset:528
	ds_load_b128 v[51:54], v1 offset:544
	v_fma_f64 v[10:11], v[71:72], v[49:50], v[10:11]
	v_fma_f64 v[49:50], v[69:70], v[49:50], -v[65:66]
	s_wait_loadcnt_dscnt 0x201
	v_mul_f64_e32 v[75:76], v[6:7], v[79:80]
	v_mul_f64_e32 v[79:80], v[8:9], v[79:80]
	v_add_f64_e32 v[55:56], v[67:68], v[55:56]
	v_add_f64_e32 v[2:3], v[2:3], v[73:74]
	s_wait_loadcnt_dscnt 0x100
	v_mul_f64_e32 v[65:66], v[51:52], v[59:60]
	v_mul_f64_e32 v[59:60], v[53:54], v[59:60]
	v_fma_f64 v[67:68], v[8:9], v[77:78], v[75:76]
	v_fma_f64 v[69:70], v[6:7], v[77:78], -v[79:80]
	ds_load_b128 v[6:9], v1 offset:560
	v_add_f64_e32 v[10:11], v[55:56], v[10:11]
	v_add_f64_e32 v[2:3], v[2:3], v[49:50]
	v_fma_f64 v[53:54], v[53:54], v[57:58], v[65:66]
	v_fma_f64 v[51:52], v[51:52], v[57:58], -v[59:60]
	s_wait_loadcnt_dscnt 0x0
	v_mul_f64_e32 v[49:50], v[6:7], v[63:64]
	v_mul_f64_e32 v[55:56], v[8:9], v[63:64]
	v_add_f64_e32 v[10:11], v[10:11], v[67:68]
	v_add_f64_e32 v[2:3], v[2:3], v[69:70]
	s_delay_alu instid0(VALU_DEP_4) | instskip(NEXT) | instid1(VALU_DEP_4)
	v_fma_f64 v[8:9], v[8:9], v[61:62], v[49:50]
	v_fma_f64 v[6:7], v[6:7], v[61:62], -v[55:56]
	s_delay_alu instid0(VALU_DEP_4) | instskip(NEXT) | instid1(VALU_DEP_4)
	v_add_f64_e32 v[10:11], v[10:11], v[53:54]
	v_add_f64_e32 v[2:3], v[2:3], v[51:52]
	s_delay_alu instid0(VALU_DEP_2) | instskip(NEXT) | instid1(VALU_DEP_2)
	v_add_f64_e32 v[8:9], v[10:11], v[8:9]
	v_add_f64_e32 v[2:3], v[2:3], v[6:7]
	s_delay_alu instid0(VALU_DEP_2) | instskip(NEXT) | instid1(VALU_DEP_2)
	v_add_f64_e64 v[8:9], v[87:88], -v[8:9]
	v_add_f64_e64 v[6:7], v[85:86], -v[2:3]
	scratch_store_b128 off, v[6:9], off offset:48
	v_cmpx_lt_u32_e32 1, v0
	s_cbranch_execz .LBB17_119
; %bb.118:
	scratch_load_b128 v[6:9], off, s11
	v_dual_mov_b32 v2, v1 :: v_dual_mov_b32 v3, v1
	v_mov_b32_e32 v4, v1
	scratch_store_b128 off, v[1:4], off offset:32
	s_wait_loadcnt 0x0
	ds_store_b128 v5, v[6:9]
.LBB17_119:
	s_wait_alu 0xfffe
	s_or_b32 exec_lo, exec_lo, s0
	s_wait_storecnt_dscnt 0x0
	s_barrier_signal -1
	s_barrier_wait -1
	global_inv scope:SCOPE_SE
	s_clause 0x8
	scratch_load_b128 v[6:9], off, off offset:48
	scratch_load_b128 v[49:52], off, off offset:64
	;; [unrolled: 1-line block ×9, first 2 shown]
	ds_load_b128 v[81:84], v1 offset:320
	ds_load_b128 v[85:88], v1 offset:336
	scratch_load_b128 v[89:92], off, off offset:32
	s_mov_b32 s0, exec_lo
	ds_load_b128 v[97:100], v1 offset:368
	s_wait_loadcnt_dscnt 0x902
	v_mul_f64_e32 v[2:3], v[83:84], v[8:9]
	v_mul_f64_e32 v[93:94], v[81:82], v[8:9]
	scratch_load_b128 v[8:11], off, off offset:192
	s_wait_loadcnt_dscnt 0x901
	v_mul_f64_e32 v[101:102], v[85:86], v[51:52]
	v_mul_f64_e32 v[51:52], v[87:88], v[51:52]
	v_fma_f64 v[2:3], v[81:82], v[6:7], -v[2:3]
	v_fma_f64 v[6:7], v[83:84], v[6:7], v[93:94]
	ds_load_b128 v[81:84], v1 offset:352
	scratch_load_b128 v[93:96], off, off offset:208
	v_fma_f64 v[87:88], v[87:88], v[49:50], v[101:102]
	v_fma_f64 v[85:86], v[85:86], v[49:50], -v[51:52]
	scratch_load_b128 v[49:52], off, off offset:224
	s_wait_loadcnt_dscnt 0x901
	v_mul_f64_e32 v[101:102], v[97:98], v[59:60]
	v_mul_f64_e32 v[59:60], v[99:100], v[59:60]
	s_wait_dscnt 0x0
	v_mul_f64_e32 v[103:104], v[81:82], v[55:56]
	v_mul_f64_e32 v[55:56], v[83:84], v[55:56]
	v_add_f64_e32 v[2:3], 0, v[2:3]
	v_add_f64_e32 v[6:7], 0, v[6:7]
	v_fma_f64 v[99:100], v[99:100], v[57:58], v[101:102]
	v_fma_f64 v[97:98], v[97:98], v[57:58], -v[59:60]
	scratch_load_b128 v[57:60], off, off offset:256
	v_fma_f64 v[103:104], v[83:84], v[53:54], v[103:104]
	v_fma_f64 v[105:106], v[81:82], v[53:54], -v[55:56]
	ds_load_b128 v[53:56], v1 offset:384
	scratch_load_b128 v[81:84], off, off offset:240
	v_add_f64_e32 v[2:3], v[2:3], v[85:86]
	v_add_f64_e32 v[6:7], v[6:7], v[87:88]
	ds_load_b128 v[85:88], v1 offset:400
	s_wait_loadcnt_dscnt 0xa01
	v_mul_f64_e32 v[107:108], v[53:54], v[63:64]
	v_mul_f64_e32 v[63:64], v[55:56], v[63:64]
	s_wait_loadcnt_dscnt 0x900
	v_mul_f64_e32 v[101:102], v[85:86], v[67:68]
	v_mul_f64_e32 v[67:68], v[87:88], v[67:68]
	v_add_f64_e32 v[2:3], v[2:3], v[105:106]
	v_add_f64_e32 v[6:7], v[6:7], v[103:104]
	v_fma_f64 v[103:104], v[55:56], v[61:62], v[107:108]
	v_fma_f64 v[105:106], v[53:54], v[61:62], -v[63:64]
	ds_load_b128 v[53:56], v1 offset:416
	scratch_load_b128 v[61:64], off, off offset:272
	v_fma_f64 v[87:88], v[87:88], v[65:66], v[101:102]
	v_fma_f64 v[85:86], v[85:86], v[65:66], -v[67:68]
	scratch_load_b128 v[65:68], off, off offset:288
	v_add_f64_e32 v[2:3], v[2:3], v[97:98]
	v_add_f64_e32 v[6:7], v[6:7], v[99:100]
	ds_load_b128 v[97:100], v1 offset:432
	s_wait_loadcnt_dscnt 0xa01
	v_mul_f64_e32 v[107:108], v[53:54], v[71:72]
	v_mul_f64_e32 v[71:72], v[55:56], v[71:72]
	s_wait_loadcnt_dscnt 0x900
	v_mul_f64_e32 v[101:102], v[97:98], v[75:76]
	v_mul_f64_e32 v[75:76], v[99:100], v[75:76]
	v_add_f64_e32 v[2:3], v[2:3], v[105:106]
	v_add_f64_e32 v[6:7], v[6:7], v[103:104]
	v_fma_f64 v[103:104], v[55:56], v[69:70], v[107:108]
	v_fma_f64 v[105:106], v[53:54], v[69:70], -v[71:72]
	ds_load_b128 v[53:56], v1 offset:448
	ds_load_b128 v[69:72], v1 offset:464
	v_add_f64_e32 v[2:3], v[2:3], v[85:86]
	v_add_f64_e32 v[6:7], v[6:7], v[87:88]
	s_wait_loadcnt_dscnt 0x801
	v_mul_f64_e32 v[85:86], v[53:54], v[79:80]
	v_mul_f64_e32 v[79:80], v[55:56], v[79:80]
	v_fma_f64 v[87:88], v[99:100], v[73:74], v[101:102]
	v_fma_f64 v[73:74], v[97:98], v[73:74], -v[75:76]
	v_add_f64_e32 v[2:3], v[2:3], v[105:106]
	v_add_f64_e32 v[6:7], v[6:7], v[103:104]
	v_fma_f64 v[85:86], v[55:56], v[77:78], v[85:86]
	v_fma_f64 v[77:78], v[53:54], v[77:78], -v[79:80]
	s_wait_loadcnt_dscnt 0x600
	v_mul_f64_e32 v[97:98], v[69:70], v[10:11]
	v_mul_f64_e32 v[10:11], v[71:72], v[10:11]
	v_add_f64_e32 v[2:3], v[2:3], v[73:74]
	v_add_f64_e32 v[6:7], v[6:7], v[87:88]
	ds_load_b128 v[53:56], v1 offset:480
	ds_load_b128 v[73:76], v1 offset:496
	v_fma_f64 v[71:72], v[71:72], v[8:9], v[97:98]
	v_fma_f64 v[8:9], v[69:70], v[8:9], -v[10:11]
	s_wait_loadcnt_dscnt 0x501
	v_mul_f64_e32 v[79:80], v[53:54], v[95:96]
	v_mul_f64_e32 v[87:88], v[55:56], v[95:96]
	s_wait_loadcnt_dscnt 0x400
	v_mul_f64_e32 v[10:11], v[73:74], v[51:52]
	v_mul_f64_e32 v[69:70], v[75:76], v[51:52]
	v_add_f64_e32 v[2:3], v[2:3], v[77:78]
	v_add_f64_e32 v[6:7], v[6:7], v[85:86]
	v_fma_f64 v[55:56], v[55:56], v[93:94], v[79:80]
	v_fma_f64 v[77:78], v[53:54], v[93:94], -v[87:88]
	v_fma_f64 v[10:11], v[75:76], v[49:50], v[10:11]
	v_fma_f64 v[49:50], v[73:74], v[49:50], -v[69:70]
	v_add_f64_e32 v[2:3], v[2:3], v[8:9]
	v_add_f64_e32 v[71:72], v[6:7], v[71:72]
	ds_load_b128 v[6:9], v1 offset:512
	ds_load_b128 v[51:54], v1 offset:528
	s_wait_loadcnt_dscnt 0x201
	v_mul_f64_e32 v[79:80], v[6:7], v[83:84]
	v_mul_f64_e32 v[83:84], v[8:9], v[83:84]
	s_wait_dscnt 0x0
	v_mul_f64_e32 v[69:70], v[51:52], v[59:60]
	v_mul_f64_e32 v[59:60], v[53:54], v[59:60]
	v_add_f64_e32 v[2:3], v[2:3], v[77:78]
	v_add_f64_e32 v[55:56], v[71:72], v[55:56]
	v_fma_f64 v[71:72], v[8:9], v[81:82], v[79:80]
	v_fma_f64 v[73:74], v[6:7], v[81:82], -v[83:84]
	v_fma_f64 v[53:54], v[53:54], v[57:58], v[69:70]
	v_fma_f64 v[51:52], v[51:52], v[57:58], -v[59:60]
	v_add_f64_e32 v[49:50], v[2:3], v[49:50]
	v_add_f64_e32 v[10:11], v[55:56], v[10:11]
	ds_load_b128 v[6:9], v1 offset:544
	ds_load_b128 v[1:4], v1 offset:560
	s_wait_loadcnt_dscnt 0x101
	v_mul_f64_e32 v[55:56], v[6:7], v[63:64]
	v_mul_f64_e32 v[63:64], v[8:9], v[63:64]
	s_wait_loadcnt_dscnt 0x0
	v_mul_f64_e32 v[57:58], v[1:2], v[67:68]
	v_mul_f64_e32 v[59:60], v[3:4], v[67:68]
	v_add_f64_e32 v[49:50], v[49:50], v[73:74]
	v_add_f64_e32 v[10:11], v[10:11], v[71:72]
	v_fma_f64 v[8:9], v[8:9], v[61:62], v[55:56]
	v_fma_f64 v[6:7], v[6:7], v[61:62], -v[63:64]
	v_fma_f64 v[3:4], v[3:4], v[65:66], v[57:58]
	v_fma_f64 v[1:2], v[1:2], v[65:66], -v[59:60]
	v_add_f64_e32 v[49:50], v[49:50], v[51:52]
	v_add_f64_e32 v[10:11], v[10:11], v[53:54]
	s_delay_alu instid0(VALU_DEP_2) | instskip(NEXT) | instid1(VALU_DEP_2)
	v_add_f64_e32 v[6:7], v[49:50], v[6:7]
	v_add_f64_e32 v[8:9], v[10:11], v[8:9]
	s_delay_alu instid0(VALU_DEP_2) | instskip(NEXT) | instid1(VALU_DEP_2)
	;; [unrolled: 3-line block ×3, first 2 shown]
	v_add_f64_e64 v[1:2], v[89:90], -v[1:2]
	v_add_f64_e64 v[3:4], v[91:92], -v[3:4]
	scratch_store_b128 off, v[1:4], off offset:32
	v_cmpx_ne_u32_e32 0, v0
	s_cbranch_execz .LBB17_121
; %bb.120:
	scratch_load_b128 v[0:3], off, off offset:16
	v_mov_b32_e32 v6, 0
	s_delay_alu instid0(VALU_DEP_1)
	v_dual_mov_b32 v7, v6 :: v_dual_mov_b32 v8, v6
	v_mov_b32_e32 v9, v6
	scratch_store_b128 off, v[6:9], off offset:16
	s_wait_loadcnt 0x0
	ds_store_b128 v5, v[0:3]
.LBB17_121:
	s_wait_alu 0xfffe
	s_or_b32 exec_lo, exec_lo, s0
	s_wait_storecnt_dscnt 0x0
	s_barrier_signal -1
	s_barrier_wait -1
	global_inv scope:SCOPE_SE
	s_clause 0x7
	scratch_load_b128 v[1:4], off, off offset:32
	scratch_load_b128 v[5:8], off, off offset:48
	;; [unrolled: 1-line block ×8, first 2 shown]
	v_mov_b32_e32 v0, 0
	s_and_b32 vcc_lo, exec_lo, s18
	ds_load_b128 v[69:72], v0 offset:304
	s_clause 0x1
	scratch_load_b128 v[73:76], off, off offset:160
	scratch_load_b128 v[77:80], off, off offset:16
	ds_load_b128 v[81:84], v0 offset:320
	scratch_load_b128 v[85:88], off, off offset:176
	s_wait_loadcnt_dscnt 0xa01
	v_mul_f64_e32 v[89:90], v[71:72], v[3:4]
	v_mul_f64_e32 v[3:4], v[69:70], v[3:4]
	s_delay_alu instid0(VALU_DEP_2) | instskip(NEXT) | instid1(VALU_DEP_2)
	v_fma_f64 v[95:96], v[69:70], v[1:2], -v[89:90]
	v_fma_f64 v[97:98], v[71:72], v[1:2], v[3:4]
	ds_load_b128 v[1:4], v0 offset:336
	s_wait_loadcnt_dscnt 0x901
	v_mul_f64_e32 v[93:94], v[81:82], v[7:8]
	v_mul_f64_e32 v[7:8], v[83:84], v[7:8]
	scratch_load_b128 v[69:72], off, off offset:192
	ds_load_b128 v[89:92], v0 offset:352
	s_wait_loadcnt_dscnt 0x901
	v_mul_f64_e32 v[99:100], v[1:2], v[11:12]
	v_mul_f64_e32 v[11:12], v[3:4], v[11:12]
	v_fma_f64 v[83:84], v[83:84], v[5:6], v[93:94]
	v_fma_f64 v[81:82], v[81:82], v[5:6], -v[7:8]
	v_add_f64_e32 v[93:94], 0, v[95:96]
	v_add_f64_e32 v[95:96], 0, v[97:98]
	scratch_load_b128 v[5:8], off, off offset:208
	v_fma_f64 v[99:100], v[3:4], v[9:10], v[99:100]
	v_fma_f64 v[101:102], v[1:2], v[9:10], -v[11:12]
	ds_load_b128 v[1:4], v0 offset:368
	s_wait_loadcnt_dscnt 0x901
	v_mul_f64_e32 v[97:98], v[89:90], v[51:52]
	v_mul_f64_e32 v[51:52], v[91:92], v[51:52]
	scratch_load_b128 v[9:12], off, off offset:224
	v_add_f64_e32 v[93:94], v[93:94], v[81:82]
	v_add_f64_e32 v[95:96], v[95:96], v[83:84]
	s_wait_loadcnt_dscnt 0x900
	v_mul_f64_e32 v[103:104], v[1:2], v[55:56]
	v_mul_f64_e32 v[55:56], v[3:4], v[55:56]
	ds_load_b128 v[81:84], v0 offset:384
	v_fma_f64 v[91:92], v[91:92], v[49:50], v[97:98]
	v_fma_f64 v[89:90], v[89:90], v[49:50], -v[51:52]
	scratch_load_b128 v[49:52], off, off offset:240
	v_add_f64_e32 v[93:94], v[93:94], v[101:102]
	v_add_f64_e32 v[95:96], v[95:96], v[99:100]
	v_fma_f64 v[99:100], v[3:4], v[53:54], v[103:104]
	v_fma_f64 v[101:102], v[1:2], v[53:54], -v[55:56]
	ds_load_b128 v[1:4], v0 offset:400
	s_wait_loadcnt_dscnt 0x901
	v_mul_f64_e32 v[97:98], v[81:82], v[59:60]
	v_mul_f64_e32 v[59:60], v[83:84], v[59:60]
	scratch_load_b128 v[53:56], off, off offset:256
	s_wait_loadcnt_dscnt 0x900
	v_mul_f64_e32 v[103:104], v[1:2], v[63:64]
	v_mul_f64_e32 v[63:64], v[3:4], v[63:64]
	v_add_f64_e32 v[93:94], v[93:94], v[89:90]
	v_add_f64_e32 v[95:96], v[95:96], v[91:92]
	ds_load_b128 v[89:92], v0 offset:416
	v_fma_f64 v[83:84], v[83:84], v[57:58], v[97:98]
	v_fma_f64 v[81:82], v[81:82], v[57:58], -v[59:60]
	scratch_load_b128 v[57:60], off, off offset:272
	v_add_f64_e32 v[93:94], v[93:94], v[101:102]
	v_add_f64_e32 v[95:96], v[95:96], v[99:100]
	v_fma_f64 v[99:100], v[3:4], v[61:62], v[103:104]
	v_fma_f64 v[101:102], v[1:2], v[61:62], -v[63:64]
	ds_load_b128 v[1:4], v0 offset:432
	s_wait_loadcnt_dscnt 0x901
	v_mul_f64_e32 v[97:98], v[89:90], v[67:68]
	v_mul_f64_e32 v[67:68], v[91:92], v[67:68]
	scratch_load_b128 v[61:64], off, off offset:288
	s_wait_loadcnt_dscnt 0x900
	v_mul_f64_e32 v[103:104], v[1:2], v[75:76]
	v_mul_f64_e32 v[75:76], v[3:4], v[75:76]
	v_add_f64_e32 v[93:94], v[93:94], v[81:82]
	v_add_f64_e32 v[95:96], v[95:96], v[83:84]
	ds_load_b128 v[81:84], v0 offset:448
	v_fma_f64 v[91:92], v[91:92], v[65:66], v[97:98]
	v_fma_f64 v[65:66], v[89:90], v[65:66], -v[67:68]
	v_add_f64_e32 v[67:68], v[93:94], v[101:102]
	v_add_f64_e32 v[89:90], v[95:96], v[99:100]
	s_wait_loadcnt_dscnt 0x700
	v_mul_f64_e32 v[93:94], v[81:82], v[87:88]
	v_mul_f64_e32 v[87:88], v[83:84], v[87:88]
	v_fma_f64 v[95:96], v[3:4], v[73:74], v[103:104]
	v_fma_f64 v[73:74], v[1:2], v[73:74], -v[75:76]
	v_add_f64_e32 v[75:76], v[67:68], v[65:66]
	v_add_f64_e32 v[89:90], v[89:90], v[91:92]
	ds_load_b128 v[1:4], v0 offset:464
	ds_load_b128 v[65:68], v0 offset:480
	v_fma_f64 v[83:84], v[83:84], v[85:86], v[93:94]
	v_fma_f64 v[81:82], v[81:82], v[85:86], -v[87:88]
	s_wait_loadcnt_dscnt 0x601
	v_mul_f64_e32 v[91:92], v[1:2], v[71:72]
	v_mul_f64_e32 v[71:72], v[3:4], v[71:72]
	v_add_f64_e32 v[73:74], v[75:76], v[73:74]
	v_add_f64_e32 v[75:76], v[89:90], v[95:96]
	s_wait_loadcnt_dscnt 0x500
	v_mul_f64_e32 v[85:86], v[65:66], v[7:8]
	v_mul_f64_e32 v[7:8], v[67:68], v[7:8]
	v_fma_f64 v[87:88], v[3:4], v[69:70], v[91:92]
	v_fma_f64 v[89:90], v[1:2], v[69:70], -v[71:72]
	ds_load_b128 v[1:4], v0 offset:496
	ds_load_b128 v[69:72], v0 offset:512
	v_add_f64_e32 v[73:74], v[73:74], v[81:82]
	v_add_f64_e32 v[75:76], v[75:76], v[83:84]
	s_wait_loadcnt_dscnt 0x401
	v_mul_f64_e32 v[81:82], v[1:2], v[11:12]
	v_mul_f64_e32 v[11:12], v[3:4], v[11:12]
	v_fma_f64 v[67:68], v[67:68], v[5:6], v[85:86]
	v_fma_f64 v[5:6], v[65:66], v[5:6], -v[7:8]
	v_add_f64_e32 v[7:8], v[73:74], v[89:90]
	v_add_f64_e32 v[65:66], v[75:76], v[87:88]
	s_wait_loadcnt_dscnt 0x300
	v_mul_f64_e32 v[73:74], v[69:70], v[51:52]
	v_mul_f64_e32 v[51:52], v[71:72], v[51:52]
	v_fma_f64 v[75:76], v[3:4], v[9:10], v[81:82]
	v_fma_f64 v[9:10], v[1:2], v[9:10], -v[11:12]
	v_add_f64_e32 v[11:12], v[7:8], v[5:6]
	v_add_f64_e32 v[65:66], v[65:66], v[67:68]
	ds_load_b128 v[1:4], v0 offset:528
	ds_load_b128 v[5:8], v0 offset:544
	v_fma_f64 v[71:72], v[71:72], v[49:50], v[73:74]
	v_fma_f64 v[49:50], v[69:70], v[49:50], -v[51:52]
	s_wait_loadcnt_dscnt 0x201
	v_mul_f64_e32 v[67:68], v[1:2], v[55:56]
	v_mul_f64_e32 v[55:56], v[3:4], v[55:56]
	s_wait_loadcnt_dscnt 0x100
	v_mul_f64_e32 v[51:52], v[5:6], v[59:60]
	v_mul_f64_e32 v[59:60], v[7:8], v[59:60]
	v_add_f64_e32 v[9:10], v[11:12], v[9:10]
	v_add_f64_e32 v[11:12], v[65:66], v[75:76]
	v_fma_f64 v[65:66], v[3:4], v[53:54], v[67:68]
	v_fma_f64 v[53:54], v[1:2], v[53:54], -v[55:56]
	ds_load_b128 v[1:4], v0 offset:560
	v_fma_f64 v[7:8], v[7:8], v[57:58], v[51:52]
	v_fma_f64 v[5:6], v[5:6], v[57:58], -v[59:60]
	v_add_f64_e32 v[9:10], v[9:10], v[49:50]
	v_add_f64_e32 v[11:12], v[11:12], v[71:72]
	s_wait_loadcnt_dscnt 0x0
	v_mul_f64_e32 v[49:50], v[1:2], v[63:64]
	v_mul_f64_e32 v[55:56], v[3:4], v[63:64]
	s_delay_alu instid0(VALU_DEP_4) | instskip(NEXT) | instid1(VALU_DEP_4)
	v_add_f64_e32 v[9:10], v[9:10], v[53:54]
	v_add_f64_e32 v[11:12], v[11:12], v[65:66]
	s_delay_alu instid0(VALU_DEP_4) | instskip(NEXT) | instid1(VALU_DEP_4)
	v_fma_f64 v[3:4], v[3:4], v[61:62], v[49:50]
	v_fma_f64 v[1:2], v[1:2], v[61:62], -v[55:56]
	s_delay_alu instid0(VALU_DEP_4) | instskip(NEXT) | instid1(VALU_DEP_4)
	v_add_f64_e32 v[5:6], v[9:10], v[5:6]
	v_add_f64_e32 v[7:8], v[11:12], v[7:8]
	s_delay_alu instid0(VALU_DEP_2) | instskip(NEXT) | instid1(VALU_DEP_2)
	v_add_f64_e32 v[1:2], v[5:6], v[1:2]
	v_add_f64_e32 v[3:4], v[7:8], v[3:4]
	s_delay_alu instid0(VALU_DEP_2) | instskip(NEXT) | instid1(VALU_DEP_2)
	v_add_f64_e64 v[1:2], v[77:78], -v[1:2]
	v_add_f64_e64 v[3:4], v[79:80], -v[3:4]
	scratch_store_b128 off, v[1:4], off offset:16
	s_wait_alu 0xfffe
	s_cbranch_vccz .LBB17_156
; %bb.122:
	global_load_b32 v0, v0, s[2:3] offset:64
	s_wait_loadcnt 0x0
	v_cmp_ne_u32_e32 vcc_lo, 17, v0
	s_cbranch_vccz .LBB17_124
; %bb.123:
	v_lshlrev_b32_e32 v0, 4, v0
	s_delay_alu instid0(VALU_DEP_1)
	v_add_nc_u32_e32 v8, 16, v0
	s_clause 0x1
	scratch_load_b128 v[0:3], v8, off offset:-16
	scratch_load_b128 v[4:7], off, s25
	s_wait_loadcnt 0x1
	scratch_store_b128 off, v[0:3], s25
	s_wait_loadcnt 0x0
	scratch_store_b128 v8, v[4:7], off offset:-16
.LBB17_124:
	v_mov_b32_e32 v0, 0
	global_load_b32 v1, v0, s[2:3] offset:60
	s_wait_loadcnt 0x0
	v_cmp_eq_u32_e32 vcc_lo, 16, v1
	s_cbranch_vccnz .LBB17_126
; %bb.125:
	v_lshlrev_b32_e32 v1, 4, v1
	s_delay_alu instid0(VALU_DEP_1)
	v_add_nc_u32_e32 v9, 16, v1
	s_clause 0x1
	scratch_load_b128 v[1:4], v9, off offset:-16
	scratch_load_b128 v[5:8], off, s22
	s_wait_loadcnt 0x1
	scratch_store_b128 off, v[1:4], s22
	s_wait_loadcnt 0x0
	scratch_store_b128 v9, v[5:8], off offset:-16
.LBB17_126:
	global_load_b32 v0, v0, s[2:3] offset:56
	s_wait_loadcnt 0x0
	v_cmp_eq_u32_e32 vcc_lo, 15, v0
	s_cbranch_vccnz .LBB17_128
; %bb.127:
	v_lshlrev_b32_e32 v0, 4, v0
	s_delay_alu instid0(VALU_DEP_1)
	v_add_nc_u32_e32 v8, 16, v0
	s_clause 0x1
	scratch_load_b128 v[0:3], v8, off offset:-16
	scratch_load_b128 v[4:7], off, s23
	s_wait_loadcnt 0x1
	scratch_store_b128 off, v[0:3], s23
	s_wait_loadcnt 0x0
	scratch_store_b128 v8, v[4:7], off offset:-16
.LBB17_128:
	v_mov_b32_e32 v0, 0
	global_load_b32 v1, v0, s[2:3] offset:52
	s_wait_loadcnt 0x0
	v_cmp_eq_u32_e32 vcc_lo, 14, v1
	s_cbranch_vccnz .LBB17_130
; %bb.129:
	v_lshlrev_b32_e32 v1, 4, v1
	s_delay_alu instid0(VALU_DEP_1)
	v_add_nc_u32_e32 v9, 16, v1
	s_clause 0x1
	scratch_load_b128 v[1:4], v9, off offset:-16
	scratch_load_b128 v[5:8], off, s20
	s_wait_loadcnt 0x1
	scratch_store_b128 off, v[1:4], s20
	s_wait_loadcnt 0x0
	scratch_store_b128 v9, v[5:8], off offset:-16
.LBB17_130:
	global_load_b32 v0, v0, s[2:3] offset:48
	s_wait_loadcnt 0x0
	v_cmp_eq_u32_e32 vcc_lo, 13, v0
	s_cbranch_vccnz .LBB17_132
; %bb.131:
	v_lshlrev_b32_e32 v0, 4, v0
	s_delay_alu instid0(VALU_DEP_1)
	v_add_nc_u32_e32 v8, 16, v0
	s_clause 0x1
	scratch_load_b128 v[0:3], v8, off offset:-16
	scratch_load_b128 v[4:7], off, s21
	s_wait_loadcnt 0x1
	scratch_store_b128 off, v[0:3], s21
	s_wait_loadcnt 0x0
	scratch_store_b128 v8, v[4:7], off offset:-16
.LBB17_132:
	;; [unrolled: 33-line block ×7, first 2 shown]
	v_mov_b32_e32 v0, 0
	global_load_b32 v1, v0, s[2:3] offset:4
	s_wait_loadcnt 0x0
	v_cmp_eq_u32_e32 vcc_lo, 2, v1
	s_cbranch_vccnz .LBB17_154
; %bb.153:
	v_lshlrev_b32_e32 v1, 4, v1
	s_delay_alu instid0(VALU_DEP_1)
	v_add_nc_u32_e32 v9, 16, v1
	s_clause 0x1
	scratch_load_b128 v[1:4], v9, off offset:-16
	scratch_load_b128 v[5:8], off, s11
	s_wait_loadcnt 0x1
	scratch_store_b128 off, v[1:4], s11
	s_wait_loadcnt 0x0
	scratch_store_b128 v9, v[5:8], off offset:-16
.LBB17_154:
	global_load_b32 v0, v0, s[2:3]
	s_wait_loadcnt 0x0
	v_cmp_eq_u32_e32 vcc_lo, 1, v0
	s_cbranch_vccnz .LBB17_156
; %bb.155:
	v_lshlrev_b32_e32 v0, 4, v0
	s_delay_alu instid0(VALU_DEP_1)
	v_add_nc_u32_e32 v8, 16, v0
	scratch_load_b128 v[0:3], v8, off offset:-16
	scratch_load_b128 v[4:7], off, off offset:16
	s_wait_loadcnt 0x1
	scratch_store_b128 off, v[0:3], off offset:16
	s_wait_loadcnt 0x0
	scratch_store_b128 v8, v[4:7], off offset:-16
.LBB17_156:
	scratch_load_b128 v[0:3], off, off offset:16
	s_clause 0x10
	scratch_load_b128 v[4:7], off, s11
	scratch_load_b128 v[8:11], off, s9
	;; [unrolled: 1-line block ×17, first 2 shown]
	s_wait_loadcnt 0x11
	global_store_b128 v[13:14], v[0:3], off
	s_wait_loadcnt 0x10
	global_store_b128 v[15:16], v[4:7], off
	;; [unrolled: 2-line block ×18, first 2 shown]
	s_nop 0
	s_sendmsg sendmsg(MSG_DEALLOC_VGPRS)
	s_endpgm
	.section	.rodata,"a",@progbits
	.p2align	6, 0x0
	.amdhsa_kernel _ZN9rocsolver6v33100L18getri_kernel_smallILi18E19rocblas_complex_numIdEPS3_EEvT1_iilPiilS6_bb
		.amdhsa_group_segment_fixed_size 584
		.amdhsa_private_segment_fixed_size 320
		.amdhsa_kernarg_size 60
		.amdhsa_user_sgpr_count 2
		.amdhsa_user_sgpr_dispatch_ptr 0
		.amdhsa_user_sgpr_queue_ptr 0
		.amdhsa_user_sgpr_kernarg_segment_ptr 1
		.amdhsa_user_sgpr_dispatch_id 0
		.amdhsa_user_sgpr_private_segment_size 0
		.amdhsa_wavefront_size32 1
		.amdhsa_uses_dynamic_stack 0
		.amdhsa_enable_private_segment 1
		.amdhsa_system_sgpr_workgroup_id_x 1
		.amdhsa_system_sgpr_workgroup_id_y 0
		.amdhsa_system_sgpr_workgroup_id_z 0
		.amdhsa_system_sgpr_workgroup_info 0
		.amdhsa_system_vgpr_workitem_id 0
		.amdhsa_next_free_vgpr 110
		.amdhsa_next_free_sgpr 29
		.amdhsa_reserve_vcc 1
		.amdhsa_float_round_mode_32 0
		.amdhsa_float_round_mode_16_64 0
		.amdhsa_float_denorm_mode_32 3
		.amdhsa_float_denorm_mode_16_64 3
		.amdhsa_fp16_overflow 0
		.amdhsa_workgroup_processor_mode 1
		.amdhsa_memory_ordered 1
		.amdhsa_forward_progress 1
		.amdhsa_inst_pref_size 164
		.amdhsa_round_robin_scheduling 0
		.amdhsa_exception_fp_ieee_invalid_op 0
		.amdhsa_exception_fp_denorm_src 0
		.amdhsa_exception_fp_ieee_div_zero 0
		.amdhsa_exception_fp_ieee_overflow 0
		.amdhsa_exception_fp_ieee_underflow 0
		.amdhsa_exception_fp_ieee_inexact 0
		.amdhsa_exception_int_div_zero 0
	.end_amdhsa_kernel
	.section	.text._ZN9rocsolver6v33100L18getri_kernel_smallILi18E19rocblas_complex_numIdEPS3_EEvT1_iilPiilS6_bb,"axG",@progbits,_ZN9rocsolver6v33100L18getri_kernel_smallILi18E19rocblas_complex_numIdEPS3_EEvT1_iilPiilS6_bb,comdat
.Lfunc_end17:
	.size	_ZN9rocsolver6v33100L18getri_kernel_smallILi18E19rocblas_complex_numIdEPS3_EEvT1_iilPiilS6_bb, .Lfunc_end17-_ZN9rocsolver6v33100L18getri_kernel_smallILi18E19rocblas_complex_numIdEPS3_EEvT1_iilPiilS6_bb
                                        ; -- End function
	.set _ZN9rocsolver6v33100L18getri_kernel_smallILi18E19rocblas_complex_numIdEPS3_EEvT1_iilPiilS6_bb.num_vgpr, 110
	.set _ZN9rocsolver6v33100L18getri_kernel_smallILi18E19rocblas_complex_numIdEPS3_EEvT1_iilPiilS6_bb.num_agpr, 0
	.set _ZN9rocsolver6v33100L18getri_kernel_smallILi18E19rocblas_complex_numIdEPS3_EEvT1_iilPiilS6_bb.numbered_sgpr, 29
	.set _ZN9rocsolver6v33100L18getri_kernel_smallILi18E19rocblas_complex_numIdEPS3_EEvT1_iilPiilS6_bb.num_named_barrier, 0
	.set _ZN9rocsolver6v33100L18getri_kernel_smallILi18E19rocblas_complex_numIdEPS3_EEvT1_iilPiilS6_bb.private_seg_size, 320
	.set _ZN9rocsolver6v33100L18getri_kernel_smallILi18E19rocblas_complex_numIdEPS3_EEvT1_iilPiilS6_bb.uses_vcc, 1
	.set _ZN9rocsolver6v33100L18getri_kernel_smallILi18E19rocblas_complex_numIdEPS3_EEvT1_iilPiilS6_bb.uses_flat_scratch, 1
	.set _ZN9rocsolver6v33100L18getri_kernel_smallILi18E19rocblas_complex_numIdEPS3_EEvT1_iilPiilS6_bb.has_dyn_sized_stack, 0
	.set _ZN9rocsolver6v33100L18getri_kernel_smallILi18E19rocblas_complex_numIdEPS3_EEvT1_iilPiilS6_bb.has_recursion, 0
	.set _ZN9rocsolver6v33100L18getri_kernel_smallILi18E19rocblas_complex_numIdEPS3_EEvT1_iilPiilS6_bb.has_indirect_call, 0
	.section	.AMDGPU.csdata,"",@progbits
; Kernel info:
; codeLenInByte = 20912
; TotalNumSgprs: 31
; NumVgprs: 110
; ScratchSize: 320
; MemoryBound: 0
; FloatMode: 240
; IeeeMode: 1
; LDSByteSize: 584 bytes/workgroup (compile time only)
; SGPRBlocks: 0
; VGPRBlocks: 13
; NumSGPRsForWavesPerEU: 31
; NumVGPRsForWavesPerEU: 110
; Occupancy: 12
; WaveLimiterHint : 1
; COMPUTE_PGM_RSRC2:SCRATCH_EN: 1
; COMPUTE_PGM_RSRC2:USER_SGPR: 2
; COMPUTE_PGM_RSRC2:TRAP_HANDLER: 0
; COMPUTE_PGM_RSRC2:TGID_X_EN: 1
; COMPUTE_PGM_RSRC2:TGID_Y_EN: 0
; COMPUTE_PGM_RSRC2:TGID_Z_EN: 0
; COMPUTE_PGM_RSRC2:TIDIG_COMP_CNT: 0
	.section	.text._ZN9rocsolver6v33100L18getri_kernel_smallILi19E19rocblas_complex_numIdEPS3_EEvT1_iilPiilS6_bb,"axG",@progbits,_ZN9rocsolver6v33100L18getri_kernel_smallILi19E19rocblas_complex_numIdEPS3_EEvT1_iilPiilS6_bb,comdat
	.globl	_ZN9rocsolver6v33100L18getri_kernel_smallILi19E19rocblas_complex_numIdEPS3_EEvT1_iilPiilS6_bb ; -- Begin function _ZN9rocsolver6v33100L18getri_kernel_smallILi19E19rocblas_complex_numIdEPS3_EEvT1_iilPiilS6_bb
	.p2align	8
	.type	_ZN9rocsolver6v33100L18getri_kernel_smallILi19E19rocblas_complex_numIdEPS3_EEvT1_iilPiilS6_bb,@function
_ZN9rocsolver6v33100L18getri_kernel_smallILi19E19rocblas_complex_numIdEPS3_EEvT1_iilPiilS6_bb: ; @_ZN9rocsolver6v33100L18getri_kernel_smallILi19E19rocblas_complex_numIdEPS3_EEvT1_iilPiilS6_bb
; %bb.0:
	s_mov_b32 s2, exec_lo
	v_cmpx_gt_u32_e32 19, v0
	s_cbranch_execz .LBB18_90
; %bb.1:
	s_clause 0x2
	s_load_b32 s2, s[0:1], 0x38
	s_load_b128 s[12:15], s[0:1], 0x10
	s_load_b128 s[4:7], s[0:1], 0x28
	s_mov_b32 s16, ttmp9
	s_wait_kmcnt 0x0
	s_bitcmp1_b32 s2, 8
	s_cselect_b32 s18, -1, 0
	s_bfe_u32 s2, s2, 0x10008
	s_ashr_i32 s17, ttmp9, 31
	s_cmp_eq_u32 s2, 0
                                        ; implicit-def: $sgpr2_sgpr3
	s_cbranch_scc1 .LBB18_3
; %bb.2:
	s_load_b32 s2, s[0:1], 0x20
	s_mul_u64 s[4:5], s[4:5], s[16:17]
	s_delay_alu instid0(SALU_CYCLE_1) | instskip(NEXT) | instid1(SALU_CYCLE_1)
	s_lshl_b64 s[4:5], s[4:5], 2
	s_add_nc_u64 s[4:5], s[14:15], s[4:5]
	s_wait_kmcnt 0x0
	s_ashr_i32 s3, s2, 31
	s_delay_alu instid0(SALU_CYCLE_1) | instskip(NEXT) | instid1(SALU_CYCLE_1)
	s_lshl_b64 s[2:3], s[2:3], 2
	s_add_nc_u64 s[2:3], s[4:5], s[2:3]
.LBB18_3:
	s_clause 0x1
	s_load_b128 s[8:11], s[0:1], 0x0
	s_load_b32 s27, s[0:1], 0x38
	s_mul_u64 s[0:1], s[12:13], s[16:17]
	v_lshlrev_b32_e32 v51, 4, v0
	s_lshl_b64 s[0:1], s[0:1], 4
	s_mov_b32 s13, 32
	s_wait_kmcnt 0x0
	v_add3_u32 v5, s11, s11, v0
	s_ashr_i32 s5, s10, 31
	s_mov_b32 s4, s10
	s_add_nc_u64 s[0:1], s[8:9], s[0:1]
	s_lshl_b64 s[4:5], s[4:5], 4
	v_add_nc_u32_e32 v7, s11, v5
	v_ashrrev_i32_e32 v6, 31, v5
	s_add_nc_u64 s[0:1], s[0:1], s[4:5]
	s_ashr_i32 s9, s11, 31
	v_add_co_u32 v13, s4, s0, v51
	v_add_nc_u32_e32 v9, s11, v7
	v_ashrrev_i32_e32 v8, 31, v7
	s_mov_b32 s8, s11
	v_lshlrev_b64_e32 v[5:6], 4, v[5:6]
	v_add_co_ci_u32_e64 v14, null, s1, 0, s4
	v_add_nc_u32_e32 v21, s11, v9
	v_ashrrev_i32_e32 v10, 31, v9
	s_lshl_b64 s[8:9], s[8:9], 4
	v_lshlrev_b64_e32 v[7:8], 4, v[7:8]
	v_add_co_u32 v15, vcc_lo, v13, s8
	v_ashrrev_i32_e32 v22, 31, v21
	v_add_nc_u32_e32 v25, s11, v21
	v_lshlrev_b64_e32 v[23:24], 4, v[9:10]
	v_add_co_ci_u32_e64 v16, null, s9, v14, vcc_lo
	v_add_co_u32 v17, vcc_lo, s0, v5
	v_lshlrev_b64_e32 v[27:28], 4, v[21:22]
	v_add_nc_u32_e32 v29, s11, v25
	s_wait_alu 0xfffd
	v_add_co_ci_u32_e64 v18, null, s1, v6, vcc_lo
	v_add_co_u32 v19, vcc_lo, s0, v7
	s_wait_alu 0xfffd
	v_add_co_ci_u32_e64 v20, null, s1, v8, vcc_lo
	v_add_co_u32 v21, vcc_lo, s0, v23
	;; [unrolled: 3-line block ×3, first 2 shown]
	v_add_nc_u32_e32 v27, s11, v29
	v_ashrrev_i32_e32 v26, 31, v25
	v_ashrrev_i32_e32 v30, 31, v29
	s_wait_alu 0xfffd
	v_add_co_ci_u32_e64 v24, null, s1, v28, vcc_lo
	v_add_nc_u32_e32 v31, s11, v27
	v_ashrrev_i32_e32 v28, 31, v27
	v_lshlrev_b64_e32 v[25:26], 4, v[25:26]
	v_lshlrev_b64_e32 v[29:30], 4, v[29:30]
	global_load_b128 v[1:4], v51, s[0:1]
	v_add_nc_u32_e32 v35, s11, v31
	v_lshlrev_b64_e32 v[33:34], 4, v[27:28]
	v_ashrrev_i32_e32 v32, 31, v31
	v_add_co_u32 v25, vcc_lo, s0, v25
	s_delay_alu instid0(VALU_DEP_4)
	v_ashrrev_i32_e32 v36, 31, v35
	v_add_nc_u32_e32 v37, s11, v35
	s_wait_alu 0xfffd
	v_add_co_ci_u32_e64 v26, null, s1, v26, vcc_lo
	v_add_co_u32 v27, vcc_lo, s0, v29
	s_wait_alu 0xfffd
	v_add_co_ci_u32_e64 v28, null, s1, v30, vcc_lo
	v_add_co_u32 v29, vcc_lo, s0, v33
	s_wait_alu 0xfffd
	v_add_co_ci_u32_e64 v30, null, s1, v34, vcc_lo
	v_lshlrev_b64_e32 v[33:34], 4, v[35:36]
	v_add_nc_u32_e32 v35, s11, v37
	v_ashrrev_i32_e32 v38, 31, v37
	v_lshlrev_b64_e32 v[31:32], 4, v[31:32]
	s_clause 0x3
	global_load_b128 v[5:8], v[15:16], off
	global_load_b128 v[9:12], v[17:18], off
	;; [unrolled: 1-line block ×4, first 2 shown]
	v_add_nc_u32_e32 v39, s11, v35
	v_ashrrev_i32_e32 v36, 31, v35
	v_lshlrev_b64_e32 v[37:38], 4, v[37:38]
	v_add_co_u32 v31, vcc_lo, s0, v31
	s_delay_alu instid0(VALU_DEP_4) | instskip(NEXT) | instid1(VALU_DEP_4)
	v_add_nc_u32_e32 v43, s11, v39
	v_lshlrev_b64_e32 v[41:42], 4, v[35:36]
	s_wait_alu 0xfffd
	v_add_co_ci_u32_e64 v32, null, s1, v32, vcc_lo
	v_add_co_u32 v33, vcc_lo, s0, v33
	v_ashrrev_i32_e32 v44, 31, v43
	v_add_nc_u32_e32 v45, s11, v43
	s_wait_alu 0xfffd
	v_add_co_ci_u32_e64 v34, null, s1, v34, vcc_lo
	v_add_co_u32 v35, vcc_lo, s0, v37
	s_wait_alu 0xfffd
	v_add_co_ci_u32_e64 v36, null, s1, v38, vcc_lo
	v_add_co_u32 v37, vcc_lo, s0, v41
	s_wait_alu 0xfffd
	v_add_co_ci_u32_e64 v38, null, s1, v42, vcc_lo
	v_lshlrev_b64_e32 v[41:42], 4, v[43:44]
	v_add_nc_u32_e32 v43, s11, v45
	v_ashrrev_i32_e32 v40, 31, v39
	v_ashrrev_i32_e32 v46, 31, v45
	s_clause 0x3
	global_load_b128 v[60:63], v[23:24], off
	global_load_b128 v[64:67], v[25:26], off
	;; [unrolled: 1-line block ×4, first 2 shown]
	v_add_nc_u32_e32 v47, s11, v43
	v_lshlrev_b64_e32 v[39:40], 4, v[39:40]
	v_ashrrev_i32_e32 v44, 31, v43
	v_lshlrev_b64_e32 v[45:46], 4, v[45:46]
	s_clause 0x1
	global_load_b128 v[76:79], v[31:32], off
	global_load_b128 v[80:83], v[33:34], off
	v_add_nc_u32_e32 v96, s11, v47
	v_ashrrev_i32_e32 v48, 31, v47
	v_add_co_u32 v39, vcc_lo, s0, v39
	v_lshlrev_b64_e32 v[49:50], 4, v[43:44]
	s_wait_alu 0xfffd
	v_add_co_ci_u32_e64 v40, null, s1, v40, vcc_lo
	v_add_co_u32 v41, vcc_lo, s0, v41
	v_ashrrev_i32_e32 v97, 31, v96
	s_wait_alu 0xfffd
	v_add_co_ci_u32_e64 v42, null, s1, v42, vcc_lo
	v_add_co_u32 v43, vcc_lo, s0, v45
	s_wait_alu 0xfffd
	v_add_co_ci_u32_e64 v44, null, s1, v46, vcc_lo
	v_lshlrev_b64_e32 v[47:48], 4, v[47:48]
	v_add_co_u32 v45, vcc_lo, s0, v49
	s_wait_alu 0xfffd
	v_add_co_ci_u32_e64 v46, null, s1, v50, vcc_lo
	v_lshlrev_b64_e32 v[49:50], 4, v[96:97]
	s_delay_alu instid0(VALU_DEP_4)
	v_add_co_u32 v47, vcc_lo, s0, v47
	s_wait_alu 0xfffd
	v_add_co_ci_u32_e64 v48, null, s1, v48, vcc_lo
	global_load_b128 v[84:87], v[35:36], off
	v_add_co_u32 v49, vcc_lo, s0, v49
	s_wait_alu 0xfffd
	v_add_co_ci_u32_e64 v50, null, s1, v50, vcc_lo
	s_clause 0x6
	global_load_b128 v[88:91], v[37:38], off
	global_load_b128 v[92:95], v[39:40], off
	;; [unrolled: 1-line block ×7, first 2 shown]
	s_movk_i32 s0, 0x50
	s_movk_i32 s1, 0x70
	s_wait_alu 0xfffe
	s_add_co_i32 s4, s0, 16
	s_movk_i32 s0, 0x60
	s_add_co_i32 s5, s1, 16
	s_wait_alu 0xfffe
	s_add_co_i32 s10, s0, 16
	s_movk_i32 s0, 0x80
	s_movk_i32 s1, 0x90
	s_wait_alu 0xfffe
	s_add_co_i32 s14, s0, 16
	s_movk_i32 s0, 0xa0
	s_add_co_i32 s12, s1, 16
	s_movk_i32 s1, 0xb0
	s_wait_alu 0xfffe
	s_add_co_i32 s19, s0, 16
	s_movk_i32 s0, 0xc0
	s_add_co_i32 s15, s1, 16
	;; [unrolled: 5-line block ×5, first 2 shown]
	s_wait_alu 0xfffe
	s_add_co_i32 s26, s0, 16
	s_mov_b32 s11, 48
	s_mov_b32 s8, 64
	s_movk_i32 s9, 0x50
	s_bitcmp0_b32 s27, 0
	s_mov_b32 s1, -1
	s_wait_loadcnt 0x12
	scratch_store_b128 off, v[1:4], off offset:16
	s_wait_loadcnt 0x11
	scratch_store_b128 off, v[5:8], off offset:32
	;; [unrolled: 2-line block ×19, first 2 shown]
	s_cbranch_scc1 .LBB18_88
; %bb.4:
	v_cmp_eq_u32_e64 s0, 0, v0
	s_and_saveexec_b32 s1, s0
; %bb.5:
	v_mov_b32_e32 v1, 0
	ds_store_b32 v1, v1 offset:608
; %bb.6:
	s_wait_alu 0xfffe
	s_or_b32 exec_lo, exec_lo, s1
	s_wait_storecnt_dscnt 0x0
	s_barrier_signal -1
	s_barrier_wait -1
	global_inv scope:SCOPE_SE
	scratch_load_b128 v[1:4], v51, off offset:16
	s_wait_loadcnt 0x0
	v_cmp_eq_f64_e32 vcc_lo, 0, v[1:2]
	v_cmp_eq_f64_e64 s1, 0, v[3:4]
	s_and_b32 s1, vcc_lo, s1
	s_wait_alu 0xfffe
	s_and_saveexec_b32 s27, s1
	s_cbranch_execz .LBB18_10
; %bb.7:
	v_mov_b32_e32 v1, 0
	s_mov_b32 s28, 0
	ds_load_b32 v2, v1 offset:608
	s_wait_dscnt 0x0
	v_readfirstlane_b32 s1, v2
	v_add_nc_u32_e32 v2, 1, v0
	s_cmp_eq_u32 s1, 0
	s_delay_alu instid0(VALU_DEP_1) | instskip(SKIP_1) | instid1(SALU_CYCLE_1)
	v_cmp_gt_i32_e32 vcc_lo, s1, v2
	s_cselect_b32 s29, -1, 0
	s_or_b32 s29, s29, vcc_lo
	s_delay_alu instid0(SALU_CYCLE_1)
	s_and_b32 exec_lo, exec_lo, s29
	s_cbranch_execz .LBB18_10
; %bb.8:
	v_mov_b32_e32 v3, s1
.LBB18_9:                               ; =>This Inner Loop Header: Depth=1
	ds_cmpstore_rtn_b32 v3, v1, v2, v3 offset:608
	s_wait_dscnt 0x0
	v_cmp_ne_u32_e32 vcc_lo, 0, v3
	v_cmp_le_i32_e64 s1, v3, v2
	s_and_b32 s1, vcc_lo, s1
	s_wait_alu 0xfffe
	s_and_b32 s1, exec_lo, s1
	s_wait_alu 0xfffe
	s_or_b32 s28, s1, s28
	s_delay_alu instid0(SALU_CYCLE_1)
	s_and_not1_b32 exec_lo, exec_lo, s28
	s_cbranch_execnz .LBB18_9
.LBB18_10:
	s_or_b32 exec_lo, exec_lo, s27
	v_mov_b32_e32 v1, 0
	s_barrier_signal -1
	s_barrier_wait -1
	global_inv scope:SCOPE_SE
	ds_load_b32 v2, v1 offset:608
	s_and_saveexec_b32 s1, s0
	s_cbranch_execz .LBB18_12
; %bb.11:
	s_lshl_b64 s[28:29], s[16:17], 2
	s_delay_alu instid0(SALU_CYCLE_1)
	s_add_nc_u64 s[28:29], s[6:7], s[28:29]
	s_wait_dscnt 0x0
	global_store_b32 v1, v2, s[28:29]
.LBB18_12:
	s_wait_alu 0xfffe
	s_or_b32 exec_lo, exec_lo, s1
	s_wait_dscnt 0x0
	v_cmp_ne_u32_e32 vcc_lo, 0, v2
	s_mov_b32 s1, 0
	s_cbranch_vccnz .LBB18_88
; %bb.13:
	v_add_nc_u32_e32 v52, 16, v51
                                        ; implicit-def: $vgpr1_vgpr2
                                        ; implicit-def: $vgpr9_vgpr10
	scratch_load_b128 v[5:8], v52, off
	s_wait_loadcnt 0x0
	v_cmp_ngt_f64_e64 s1, |v[5:6]|, |v[7:8]|
	s_wait_alu 0xfffe
	s_and_saveexec_b32 s27, s1
	s_delay_alu instid0(SALU_CYCLE_1)
	s_xor_b32 s1, exec_lo, s27
	s_cbranch_execz .LBB18_15
; %bb.14:
	v_div_scale_f64 v[1:2], null, v[7:8], v[7:8], v[5:6]
	v_div_scale_f64 v[11:12], vcc_lo, v[5:6], v[7:8], v[5:6]
	s_delay_alu instid0(VALU_DEP_2) | instskip(NEXT) | instid1(TRANS32_DEP_1)
	v_rcp_f64_e32 v[3:4], v[1:2]
	v_fma_f64 v[9:10], -v[1:2], v[3:4], 1.0
	s_delay_alu instid0(VALU_DEP_1) | instskip(NEXT) | instid1(VALU_DEP_1)
	v_fma_f64 v[3:4], v[3:4], v[9:10], v[3:4]
	v_fma_f64 v[9:10], -v[1:2], v[3:4], 1.0
	s_delay_alu instid0(VALU_DEP_1) | instskip(NEXT) | instid1(VALU_DEP_1)
	v_fma_f64 v[3:4], v[3:4], v[9:10], v[3:4]
	v_mul_f64_e32 v[9:10], v[11:12], v[3:4]
	s_delay_alu instid0(VALU_DEP_1) | instskip(SKIP_1) | instid1(VALU_DEP_1)
	v_fma_f64 v[1:2], -v[1:2], v[9:10], v[11:12]
	s_wait_alu 0xfffd
	v_div_fmas_f64 v[1:2], v[1:2], v[3:4], v[9:10]
	s_delay_alu instid0(VALU_DEP_1) | instskip(NEXT) | instid1(VALU_DEP_1)
	v_div_fixup_f64 v[1:2], v[1:2], v[7:8], v[5:6]
	v_fma_f64 v[3:4], v[5:6], v[1:2], v[7:8]
	s_delay_alu instid0(VALU_DEP_1) | instskip(SKIP_1) | instid1(VALU_DEP_2)
	v_div_scale_f64 v[5:6], null, v[3:4], v[3:4], 1.0
	v_div_scale_f64 v[11:12], vcc_lo, 1.0, v[3:4], 1.0
	v_rcp_f64_e32 v[7:8], v[5:6]
	s_delay_alu instid0(TRANS32_DEP_1) | instskip(NEXT) | instid1(VALU_DEP_1)
	v_fma_f64 v[9:10], -v[5:6], v[7:8], 1.0
	v_fma_f64 v[7:8], v[7:8], v[9:10], v[7:8]
	s_delay_alu instid0(VALU_DEP_1) | instskip(NEXT) | instid1(VALU_DEP_1)
	v_fma_f64 v[9:10], -v[5:6], v[7:8], 1.0
	v_fma_f64 v[7:8], v[7:8], v[9:10], v[7:8]
	s_delay_alu instid0(VALU_DEP_1) | instskip(NEXT) | instid1(VALU_DEP_1)
	v_mul_f64_e32 v[9:10], v[11:12], v[7:8]
	v_fma_f64 v[5:6], -v[5:6], v[9:10], v[11:12]
	s_wait_alu 0xfffd
	s_delay_alu instid0(VALU_DEP_1) | instskip(NEXT) | instid1(VALU_DEP_1)
	v_div_fmas_f64 v[5:6], v[5:6], v[7:8], v[9:10]
	v_div_fixup_f64 v[3:4], v[5:6], v[3:4], 1.0
                                        ; implicit-def: $vgpr5_vgpr6
	s_delay_alu instid0(VALU_DEP_1) | instskip(SKIP_1) | instid1(VALU_DEP_2)
	v_mul_f64_e32 v[1:2], v[1:2], v[3:4]
	v_xor_b32_e32 v4, 0x80000000, v4
	v_xor_b32_e32 v10, 0x80000000, v2
	s_delay_alu instid0(VALU_DEP_3)
	v_mov_b32_e32 v9, v1
.LBB18_15:
	s_wait_alu 0xfffe
	s_and_not1_saveexec_b32 s1, s1
	s_cbranch_execz .LBB18_17
; %bb.16:
	v_div_scale_f64 v[1:2], null, v[5:6], v[5:6], v[7:8]
	v_div_scale_f64 v[11:12], vcc_lo, v[7:8], v[5:6], v[7:8]
	s_delay_alu instid0(VALU_DEP_2) | instskip(NEXT) | instid1(TRANS32_DEP_1)
	v_rcp_f64_e32 v[3:4], v[1:2]
	v_fma_f64 v[9:10], -v[1:2], v[3:4], 1.0
	s_delay_alu instid0(VALU_DEP_1) | instskip(NEXT) | instid1(VALU_DEP_1)
	v_fma_f64 v[3:4], v[3:4], v[9:10], v[3:4]
	v_fma_f64 v[9:10], -v[1:2], v[3:4], 1.0
	s_delay_alu instid0(VALU_DEP_1) | instskip(NEXT) | instid1(VALU_DEP_1)
	v_fma_f64 v[3:4], v[3:4], v[9:10], v[3:4]
	v_mul_f64_e32 v[9:10], v[11:12], v[3:4]
	s_delay_alu instid0(VALU_DEP_1) | instskip(SKIP_1) | instid1(VALU_DEP_1)
	v_fma_f64 v[1:2], -v[1:2], v[9:10], v[11:12]
	s_wait_alu 0xfffd
	v_div_fmas_f64 v[1:2], v[1:2], v[3:4], v[9:10]
	s_delay_alu instid0(VALU_DEP_1) | instskip(NEXT) | instid1(VALU_DEP_1)
	v_div_fixup_f64 v[3:4], v[1:2], v[5:6], v[7:8]
	v_fma_f64 v[1:2], v[7:8], v[3:4], v[5:6]
	s_delay_alu instid0(VALU_DEP_1) | instskip(NEXT) | instid1(VALU_DEP_1)
	v_div_scale_f64 v[5:6], null, v[1:2], v[1:2], 1.0
	v_rcp_f64_e32 v[7:8], v[5:6]
	s_delay_alu instid0(TRANS32_DEP_1) | instskip(NEXT) | instid1(VALU_DEP_1)
	v_fma_f64 v[9:10], -v[5:6], v[7:8], 1.0
	v_fma_f64 v[7:8], v[7:8], v[9:10], v[7:8]
	s_delay_alu instid0(VALU_DEP_1) | instskip(NEXT) | instid1(VALU_DEP_1)
	v_fma_f64 v[9:10], -v[5:6], v[7:8], 1.0
	v_fma_f64 v[7:8], v[7:8], v[9:10], v[7:8]
	v_div_scale_f64 v[9:10], vcc_lo, 1.0, v[1:2], 1.0
	s_delay_alu instid0(VALU_DEP_1) | instskip(NEXT) | instid1(VALU_DEP_1)
	v_mul_f64_e32 v[11:12], v[9:10], v[7:8]
	v_fma_f64 v[5:6], -v[5:6], v[11:12], v[9:10]
	s_wait_alu 0xfffd
	s_delay_alu instid0(VALU_DEP_1) | instskip(NEXT) | instid1(VALU_DEP_1)
	v_div_fmas_f64 v[5:6], v[5:6], v[7:8], v[11:12]
	v_div_fixup_f64 v[1:2], v[5:6], v[1:2], 1.0
	s_delay_alu instid0(VALU_DEP_1)
	v_mul_f64_e64 v[3:4], v[3:4], -v[1:2]
	v_xor_b32_e32 v10, 0x80000000, v2
	v_mov_b32_e32 v9, v1
.LBB18_17:
	s_wait_alu 0xfffe
	s_or_b32 exec_lo, exec_lo, s1
	scratch_store_b128 v52, v[1:4], off
	scratch_load_b128 v[53:56], off, s13
	v_xor_b32_e32 v12, 0x80000000, v4
	v_mov_b32_e32 v11, v3
	v_add_nc_u32_e32 v5, 0x130, v51
	ds_store_b128 v51, v[9:12]
	s_wait_loadcnt 0x0
	ds_store_b128 v51, v[53:56] offset:304
	s_wait_storecnt_dscnt 0x0
	s_barrier_signal -1
	s_barrier_wait -1
	global_inv scope:SCOPE_SE
	s_and_saveexec_b32 s1, s0
	s_cbranch_execz .LBB18_19
; %bb.18:
	scratch_load_b128 v[1:4], v52, off
	ds_load_b128 v[6:9], v5
	v_mov_b32_e32 v10, 0
	ds_load_b128 v[53:56], v10 offset:16
	s_wait_loadcnt_dscnt 0x1
	v_mul_f64_e32 v[10:11], v[6:7], v[3:4]
	v_mul_f64_e32 v[3:4], v[8:9], v[3:4]
	s_delay_alu instid0(VALU_DEP_2) | instskip(NEXT) | instid1(VALU_DEP_2)
	v_fma_f64 v[8:9], v[8:9], v[1:2], v[10:11]
	v_fma_f64 v[1:2], v[6:7], v[1:2], -v[3:4]
	s_delay_alu instid0(VALU_DEP_2) | instskip(NEXT) | instid1(VALU_DEP_2)
	v_add_f64_e32 v[3:4], 0, v[8:9]
	v_add_f64_e32 v[1:2], 0, v[1:2]
	s_wait_dscnt 0x0
	s_delay_alu instid0(VALU_DEP_2) | instskip(NEXT) | instid1(VALU_DEP_2)
	v_mul_f64_e32 v[6:7], v[3:4], v[55:56]
	v_mul_f64_e32 v[8:9], v[1:2], v[55:56]
	s_delay_alu instid0(VALU_DEP_2) | instskip(NEXT) | instid1(VALU_DEP_2)
	v_fma_f64 v[1:2], v[1:2], v[53:54], -v[6:7]
	v_fma_f64 v[3:4], v[3:4], v[53:54], v[8:9]
	scratch_store_b128 off, v[1:4], off offset:32
.LBB18_19:
	s_wait_alu 0xfffe
	s_or_b32 exec_lo, exec_lo, s1
	s_wait_loadcnt 0x0
	s_wait_storecnt 0x0
	s_barrier_signal -1
	s_barrier_wait -1
	global_inv scope:SCOPE_SE
	scratch_load_b128 v[1:4], off, s11
	s_mov_b32 s1, exec_lo
	s_wait_loadcnt 0x0
	ds_store_b128 v5, v[1:4]
	s_wait_dscnt 0x0
	s_barrier_signal -1
	s_barrier_wait -1
	global_inv scope:SCOPE_SE
	v_cmpx_gt_u32_e32 2, v0
	s_cbranch_execz .LBB18_23
; %bb.20:
	scratch_load_b128 v[1:4], v52, off
	ds_load_b128 v[6:9], v5
	s_wait_loadcnt_dscnt 0x0
	v_mul_f64_e32 v[10:11], v[8:9], v[3:4]
	v_mul_f64_e32 v[3:4], v[6:7], v[3:4]
	s_delay_alu instid0(VALU_DEP_2) | instskip(NEXT) | instid1(VALU_DEP_2)
	v_fma_f64 v[6:7], v[6:7], v[1:2], -v[10:11]
	v_fma_f64 v[3:4], v[8:9], v[1:2], v[3:4]
	s_delay_alu instid0(VALU_DEP_2) | instskip(NEXT) | instid1(VALU_DEP_2)
	v_add_f64_e32 v[1:2], 0, v[6:7]
	v_add_f64_e32 v[3:4], 0, v[3:4]
	s_and_saveexec_b32 s27, s0
	s_cbranch_execz .LBB18_22
; %bb.21:
	scratch_load_b128 v[6:9], off, off offset:32
	v_mov_b32_e32 v10, 0
	ds_load_b128 v[53:56], v10 offset:320
	s_wait_loadcnt_dscnt 0x0
	v_mul_f64_e32 v[10:11], v[53:54], v[8:9]
	v_mul_f64_e32 v[8:9], v[55:56], v[8:9]
	s_delay_alu instid0(VALU_DEP_2) | instskip(NEXT) | instid1(VALU_DEP_2)
	v_fma_f64 v[10:11], v[55:56], v[6:7], v[10:11]
	v_fma_f64 v[6:7], v[53:54], v[6:7], -v[8:9]
	s_delay_alu instid0(VALU_DEP_2) | instskip(NEXT) | instid1(VALU_DEP_2)
	v_add_f64_e32 v[3:4], v[3:4], v[10:11]
	v_add_f64_e32 v[1:2], v[1:2], v[6:7]
.LBB18_22:
	s_or_b32 exec_lo, exec_lo, s27
	v_mov_b32_e32 v6, 0
	ds_load_b128 v[6:9], v6 offset:32
	s_wait_dscnt 0x0
	v_mul_f64_e32 v[10:11], v[3:4], v[8:9]
	v_mul_f64_e32 v[8:9], v[1:2], v[8:9]
	s_delay_alu instid0(VALU_DEP_2) | instskip(NEXT) | instid1(VALU_DEP_2)
	v_fma_f64 v[1:2], v[1:2], v[6:7], -v[10:11]
	v_fma_f64 v[3:4], v[3:4], v[6:7], v[8:9]
	scratch_store_b128 off, v[1:4], off offset:48
.LBB18_23:
	s_wait_alu 0xfffe
	s_or_b32 exec_lo, exec_lo, s1
	s_wait_loadcnt 0x0
	s_wait_storecnt 0x0
	s_barrier_signal -1
	s_barrier_wait -1
	global_inv scope:SCOPE_SE
	scratch_load_b128 v[1:4], off, s8
	v_add_nc_u32_e32 v6, -1, v0
	s_mov_b32 s0, exec_lo
	s_wait_loadcnt 0x0
	ds_store_b128 v5, v[1:4]
	s_wait_dscnt 0x0
	s_barrier_signal -1
	s_barrier_wait -1
	global_inv scope:SCOPE_SE
	v_cmpx_gt_u32_e32 3, v0
	s_cbranch_execz .LBB18_27
; %bb.24:
	v_dual_mov_b32 v1, 0 :: v_dual_add_nc_u32 v8, 0x130, v51
	v_mov_b32_e32 v3, 0
	v_dual_mov_b32 v2, 0 :: v_dual_add_nc_u32 v7, -1, v0
	v_mov_b32_e32 v4, 0
	v_or_b32_e32 v9, 8, v52
	s_mov_b32 s1, 0
.LBB18_25:                              ; =>This Inner Loop Header: Depth=1
	scratch_load_b128 v[53:56], v9, off offset:-8
	ds_load_b128 v[57:60], v8
	v_add_nc_u32_e32 v7, 1, v7
	v_add_nc_u32_e32 v8, 16, v8
	v_add_nc_u32_e32 v9, 16, v9
	s_delay_alu instid0(VALU_DEP_3)
	v_cmp_lt_u32_e32 vcc_lo, 1, v7
	s_wait_alu 0xfffe
	s_or_b32 s1, vcc_lo, s1
	s_wait_loadcnt_dscnt 0x0
	v_mul_f64_e32 v[10:11], v[59:60], v[55:56]
	v_mul_f64_e32 v[55:56], v[57:58], v[55:56]
	s_delay_alu instid0(VALU_DEP_2) | instskip(NEXT) | instid1(VALU_DEP_2)
	v_fma_f64 v[10:11], v[57:58], v[53:54], -v[10:11]
	v_fma_f64 v[53:54], v[59:60], v[53:54], v[55:56]
	s_delay_alu instid0(VALU_DEP_2) | instskip(NEXT) | instid1(VALU_DEP_2)
	v_add_f64_e32 v[3:4], v[3:4], v[10:11]
	v_add_f64_e32 v[1:2], v[1:2], v[53:54]
	s_wait_alu 0xfffe
	s_and_not1_b32 exec_lo, exec_lo, s1
	s_cbranch_execnz .LBB18_25
; %bb.26:
	s_or_b32 exec_lo, exec_lo, s1
	v_mov_b32_e32 v7, 0
	ds_load_b128 v[7:10], v7 offset:48
	s_wait_dscnt 0x0
	v_mul_f64_e32 v[11:12], v[1:2], v[9:10]
	v_mul_f64_e32 v[53:54], v[3:4], v[9:10]
	s_delay_alu instid0(VALU_DEP_2) | instskip(NEXT) | instid1(VALU_DEP_2)
	v_fma_f64 v[9:10], v[3:4], v[7:8], -v[11:12]
	v_fma_f64 v[11:12], v[1:2], v[7:8], v[53:54]
	scratch_store_b128 off, v[9:12], off offset:64
.LBB18_27:
	s_wait_alu 0xfffe
	s_or_b32 exec_lo, exec_lo, s0
	s_wait_loadcnt 0x0
	s_wait_storecnt 0x0
	s_barrier_signal -1
	s_barrier_wait -1
	global_inv scope:SCOPE_SE
	scratch_load_b128 v[1:4], off, s9
	s_mov_b32 s0, exec_lo
	s_wait_loadcnt 0x0
	ds_store_b128 v5, v[1:4]
	s_wait_dscnt 0x0
	s_barrier_signal -1
	s_barrier_wait -1
	global_inv scope:SCOPE_SE
	v_cmpx_gt_u32_e32 4, v0
	s_cbranch_execz .LBB18_31
; %bb.28:
	v_dual_mov_b32 v1, 0 :: v_dual_add_nc_u32 v8, 0x130, v51
	v_mov_b32_e32 v3, 0
	v_dual_mov_b32 v2, 0 :: v_dual_add_nc_u32 v7, -1, v0
	v_mov_b32_e32 v4, 0
	v_or_b32_e32 v9, 8, v52
	s_mov_b32 s1, 0
.LBB18_29:                              ; =>This Inner Loop Header: Depth=1
	scratch_load_b128 v[53:56], v9, off offset:-8
	ds_load_b128 v[57:60], v8
	v_add_nc_u32_e32 v7, 1, v7
	v_add_nc_u32_e32 v8, 16, v8
	v_add_nc_u32_e32 v9, 16, v9
	s_delay_alu instid0(VALU_DEP_3)
	v_cmp_lt_u32_e32 vcc_lo, 2, v7
	s_wait_alu 0xfffe
	s_or_b32 s1, vcc_lo, s1
	s_wait_loadcnt_dscnt 0x0
	v_mul_f64_e32 v[10:11], v[59:60], v[55:56]
	v_mul_f64_e32 v[55:56], v[57:58], v[55:56]
	s_delay_alu instid0(VALU_DEP_2) | instskip(NEXT) | instid1(VALU_DEP_2)
	v_fma_f64 v[10:11], v[57:58], v[53:54], -v[10:11]
	v_fma_f64 v[53:54], v[59:60], v[53:54], v[55:56]
	s_delay_alu instid0(VALU_DEP_2) | instskip(NEXT) | instid1(VALU_DEP_2)
	v_add_f64_e32 v[3:4], v[3:4], v[10:11]
	v_add_f64_e32 v[1:2], v[1:2], v[53:54]
	s_wait_alu 0xfffe
	s_and_not1_b32 exec_lo, exec_lo, s1
	s_cbranch_execnz .LBB18_29
; %bb.30:
	s_or_b32 exec_lo, exec_lo, s1
	v_mov_b32_e32 v7, 0
	ds_load_b128 v[7:10], v7 offset:64
	s_wait_dscnt 0x0
	v_mul_f64_e32 v[11:12], v[1:2], v[9:10]
	v_mul_f64_e32 v[53:54], v[3:4], v[9:10]
	s_delay_alu instid0(VALU_DEP_2) | instskip(NEXT) | instid1(VALU_DEP_2)
	v_fma_f64 v[9:10], v[3:4], v[7:8], -v[11:12]
	v_fma_f64 v[11:12], v[1:2], v[7:8], v[53:54]
	scratch_store_b128 off, v[9:12], off offset:80
.LBB18_31:
	s_wait_alu 0xfffe
	s_or_b32 exec_lo, exec_lo, s0
	s_wait_loadcnt 0x0
	s_wait_storecnt 0x0
	s_barrier_signal -1
	s_barrier_wait -1
	global_inv scope:SCOPE_SE
	scratch_load_b128 v[1:4], off, s4
	;; [unrolled: 58-line block ×15, first 2 shown]
	s_mov_b32 s0, exec_lo
	s_wait_loadcnt 0x0
	ds_store_b128 v5, v[1:4]
	s_wait_dscnt 0x0
	s_barrier_signal -1
	s_barrier_wait -1
	global_inv scope:SCOPE_SE
	v_cmpx_ne_u32_e32 18, v0
	s_cbranch_execz .LBB18_87
; %bb.84:
	v_mov_b32_e32 v1, 0
	v_dual_mov_b32 v2, 0 :: v_dual_mov_b32 v3, 0
	v_mov_b32_e32 v4, 0
	v_or_b32_e32 v7, 8, v52
	s_mov_b32 s1, 0
.LBB18_85:                              ; =>This Inner Loop Header: Depth=1
	scratch_load_b128 v[8:11], v7, off offset:-8
	ds_load_b128 v[51:54], v5
	v_add_nc_u32_e32 v6, 1, v6
	v_add_nc_u32_e32 v5, 16, v5
	v_add_nc_u32_e32 v7, 16, v7
	s_delay_alu instid0(VALU_DEP_3)
	v_cmp_lt_u32_e32 vcc_lo, 16, v6
	s_wait_alu 0xfffe
	s_or_b32 s1, vcc_lo, s1
	s_wait_loadcnt_dscnt 0x0
	v_mul_f64_e32 v[55:56], v[53:54], v[10:11]
	v_mul_f64_e32 v[10:11], v[51:52], v[10:11]
	s_delay_alu instid0(VALU_DEP_2) | instskip(NEXT) | instid1(VALU_DEP_2)
	v_fma_f64 v[51:52], v[51:52], v[8:9], -v[55:56]
	v_fma_f64 v[8:9], v[53:54], v[8:9], v[10:11]
	s_delay_alu instid0(VALU_DEP_2) | instskip(NEXT) | instid1(VALU_DEP_2)
	v_add_f64_e32 v[3:4], v[3:4], v[51:52]
	v_add_f64_e32 v[1:2], v[1:2], v[8:9]
	s_wait_alu 0xfffe
	s_and_not1_b32 exec_lo, exec_lo, s1
	s_cbranch_execnz .LBB18_85
; %bb.86:
	s_or_b32 exec_lo, exec_lo, s1
	v_mov_b32_e32 v5, 0
	ds_load_b128 v[5:8], v5 offset:288
	s_wait_dscnt 0x0
	v_mul_f64_e32 v[9:10], v[1:2], v[7:8]
	v_mul_f64_e32 v[7:8], v[3:4], v[7:8]
	s_delay_alu instid0(VALU_DEP_2) | instskip(NEXT) | instid1(VALU_DEP_2)
	v_fma_f64 v[3:4], v[3:4], v[5:6], -v[9:10]
	v_fma_f64 v[5:6], v[1:2], v[5:6], v[7:8]
	scratch_store_b128 off, v[3:6], off offset:304
.LBB18_87:
	s_wait_alu 0xfffe
	s_or_b32 exec_lo, exec_lo, s0
	s_mov_b32 s1, -1
	s_wait_loadcnt 0x0
	s_wait_storecnt 0x0
	s_barrier_signal -1
	s_barrier_wait -1
	global_inv scope:SCOPE_SE
.LBB18_88:
	s_wait_alu 0xfffe
	s_and_b32 vcc_lo, exec_lo, s1
	s_wait_alu 0xfffe
	s_cbranch_vccz .LBB18_90
; %bb.89:
	v_mov_b32_e32 v1, 0
	s_lshl_b64 s[0:1], s[16:17], 2
	s_wait_alu 0xfffe
	s_add_nc_u64 s[0:1], s[6:7], s[0:1]
	global_load_b32 v1, v1, s[0:1]
	s_wait_loadcnt 0x0
	v_cmp_ne_u32_e32 vcc_lo, 0, v1
	s_cbranch_vccz .LBB18_91
.LBB18_90:
	s_nop 0
	s_sendmsg sendmsg(MSG_DEALLOC_VGPRS)
	s_endpgm
.LBB18_91:
	v_lshl_add_u32 v5, v0, 4, 0x130
	s_mov_b32 s0, exec_lo
	v_cmpx_eq_u32_e32 18, v0
	s_cbranch_execz .LBB18_93
; %bb.92:
	scratch_load_b128 v[1:4], off, s24
	v_mov_b32_e32 v6, 0
	s_delay_alu instid0(VALU_DEP_1)
	v_dual_mov_b32 v7, v6 :: v_dual_mov_b32 v8, v6
	v_mov_b32_e32 v9, v6
	scratch_store_b128 off, v[6:9], off offset:288
	s_wait_loadcnt 0x0
	ds_store_b128 v5, v[1:4]
.LBB18_93:
	s_wait_alu 0xfffe
	s_or_b32 exec_lo, exec_lo, s0
	s_wait_storecnt_dscnt 0x0
	s_barrier_signal -1
	s_barrier_wait -1
	global_inv scope:SCOPE_SE
	s_clause 0x1
	scratch_load_b128 v[6:9], off, off offset:304
	scratch_load_b128 v[51:54], off, off offset:288
	v_mov_b32_e32 v1, 0
	s_mov_b32 s0, exec_lo
	ds_load_b128 v[55:58], v1 offset:592
	s_wait_loadcnt_dscnt 0x100
	v_mul_f64_e32 v[2:3], v[57:58], v[8:9]
	v_mul_f64_e32 v[8:9], v[55:56], v[8:9]
	s_delay_alu instid0(VALU_DEP_2) | instskip(NEXT) | instid1(VALU_DEP_2)
	v_fma_f64 v[2:3], v[55:56], v[6:7], -v[2:3]
	v_fma_f64 v[6:7], v[57:58], v[6:7], v[8:9]
	s_delay_alu instid0(VALU_DEP_2) | instskip(NEXT) | instid1(VALU_DEP_2)
	v_add_f64_e32 v[2:3], 0, v[2:3]
	v_add_f64_e32 v[8:9], 0, v[6:7]
	s_wait_loadcnt 0x0
	s_delay_alu instid0(VALU_DEP_2) | instskip(NEXT) | instid1(VALU_DEP_2)
	v_add_f64_e64 v[6:7], v[51:52], -v[2:3]
	v_add_f64_e64 v[8:9], v[53:54], -v[8:9]
	scratch_store_b128 off, v[6:9], off offset:288
	v_cmpx_lt_u32_e32 16, v0
	s_cbranch_execz .LBB18_95
; %bb.94:
	scratch_load_b128 v[6:9], off, s25
	v_dual_mov_b32 v2, v1 :: v_dual_mov_b32 v3, v1
	v_mov_b32_e32 v4, v1
	scratch_store_b128 off, v[1:4], off offset:272
	s_wait_loadcnt 0x0
	ds_store_b128 v5, v[6:9]
.LBB18_95:
	s_wait_alu 0xfffe
	s_or_b32 exec_lo, exec_lo, s0
	s_wait_storecnt_dscnt 0x0
	s_barrier_signal -1
	s_barrier_wait -1
	global_inv scope:SCOPE_SE
	s_clause 0x2
	scratch_load_b128 v[6:9], off, off offset:288
	scratch_load_b128 v[51:54], off, off offset:304
	;; [unrolled: 1-line block ×3, first 2 shown]
	ds_load_b128 v[59:62], v1 offset:576
	ds_load_b128 v[1:4], v1 offset:592
	s_mov_b32 s0, exec_lo
	s_wait_loadcnt_dscnt 0x201
	v_mul_f64_e32 v[10:11], v[61:62], v[8:9]
	v_mul_f64_e32 v[8:9], v[59:60], v[8:9]
	s_wait_loadcnt_dscnt 0x100
	v_mul_f64_e32 v[63:64], v[1:2], v[53:54]
	v_mul_f64_e32 v[53:54], v[3:4], v[53:54]
	s_delay_alu instid0(VALU_DEP_4) | instskip(NEXT) | instid1(VALU_DEP_4)
	v_fma_f64 v[10:11], v[59:60], v[6:7], -v[10:11]
	v_fma_f64 v[6:7], v[61:62], v[6:7], v[8:9]
	s_delay_alu instid0(VALU_DEP_4) | instskip(NEXT) | instid1(VALU_DEP_4)
	v_fma_f64 v[3:4], v[3:4], v[51:52], v[63:64]
	v_fma_f64 v[1:2], v[1:2], v[51:52], -v[53:54]
	s_delay_alu instid0(VALU_DEP_4) | instskip(NEXT) | instid1(VALU_DEP_4)
	v_add_f64_e32 v[8:9], 0, v[10:11]
	v_add_f64_e32 v[6:7], 0, v[6:7]
	s_delay_alu instid0(VALU_DEP_2) | instskip(NEXT) | instid1(VALU_DEP_2)
	v_add_f64_e32 v[1:2], v[8:9], v[1:2]
	v_add_f64_e32 v[3:4], v[6:7], v[3:4]
	s_wait_loadcnt 0x0
	s_delay_alu instid0(VALU_DEP_2) | instskip(NEXT) | instid1(VALU_DEP_2)
	v_add_f64_e64 v[1:2], v[55:56], -v[1:2]
	v_add_f64_e64 v[3:4], v[57:58], -v[3:4]
	scratch_store_b128 off, v[1:4], off offset:272
	v_cmpx_lt_u32_e32 15, v0
	s_cbranch_execz .LBB18_97
; %bb.96:
	scratch_load_b128 v[1:4], off, s22
	v_mov_b32_e32 v6, 0
	s_delay_alu instid0(VALU_DEP_1)
	v_dual_mov_b32 v7, v6 :: v_dual_mov_b32 v8, v6
	v_mov_b32_e32 v9, v6
	scratch_store_b128 off, v[6:9], off offset:256
	s_wait_loadcnt 0x0
	ds_store_b128 v5, v[1:4]
.LBB18_97:
	s_wait_alu 0xfffe
	s_or_b32 exec_lo, exec_lo, s0
	s_wait_storecnt_dscnt 0x0
	s_barrier_signal -1
	s_barrier_wait -1
	global_inv scope:SCOPE_SE
	s_clause 0x3
	scratch_load_b128 v[6:9], off, off offset:272
	scratch_load_b128 v[51:54], off, off offset:288
	;; [unrolled: 1-line block ×4, first 2 shown]
	v_mov_b32_e32 v1, 0
	ds_load_b128 v[63:66], v1 offset:560
	ds_load_b128 v[67:70], v1 offset:576
	s_mov_b32 s0, exec_lo
	s_wait_loadcnt_dscnt 0x301
	v_mul_f64_e32 v[2:3], v[65:66], v[8:9]
	v_mul_f64_e32 v[8:9], v[63:64], v[8:9]
	s_wait_loadcnt_dscnt 0x200
	v_mul_f64_e32 v[10:11], v[67:68], v[53:54]
	v_mul_f64_e32 v[53:54], v[69:70], v[53:54]
	s_delay_alu instid0(VALU_DEP_4) | instskip(NEXT) | instid1(VALU_DEP_4)
	v_fma_f64 v[2:3], v[63:64], v[6:7], -v[2:3]
	v_fma_f64 v[63:64], v[65:66], v[6:7], v[8:9]
	ds_load_b128 v[6:9], v1 offset:592
	v_fma_f64 v[10:11], v[69:70], v[51:52], v[10:11]
	v_fma_f64 v[51:52], v[67:68], v[51:52], -v[53:54]
	s_wait_loadcnt_dscnt 0x100
	v_mul_f64_e32 v[65:66], v[6:7], v[57:58]
	v_mul_f64_e32 v[57:58], v[8:9], v[57:58]
	v_add_f64_e32 v[2:3], 0, v[2:3]
	v_add_f64_e32 v[53:54], 0, v[63:64]
	s_delay_alu instid0(VALU_DEP_4) | instskip(NEXT) | instid1(VALU_DEP_4)
	v_fma_f64 v[8:9], v[8:9], v[55:56], v[65:66]
	v_fma_f64 v[6:7], v[6:7], v[55:56], -v[57:58]
	s_delay_alu instid0(VALU_DEP_4) | instskip(NEXT) | instid1(VALU_DEP_4)
	v_add_f64_e32 v[2:3], v[2:3], v[51:52]
	v_add_f64_e32 v[10:11], v[53:54], v[10:11]
	s_delay_alu instid0(VALU_DEP_2) | instskip(NEXT) | instid1(VALU_DEP_2)
	v_add_f64_e32 v[2:3], v[2:3], v[6:7]
	v_add_f64_e32 v[8:9], v[10:11], v[8:9]
	s_wait_loadcnt 0x0
	s_delay_alu instid0(VALU_DEP_2) | instskip(NEXT) | instid1(VALU_DEP_2)
	v_add_f64_e64 v[6:7], v[59:60], -v[2:3]
	v_add_f64_e64 v[8:9], v[61:62], -v[8:9]
	scratch_store_b128 off, v[6:9], off offset:256
	v_cmpx_lt_u32_e32 14, v0
	s_cbranch_execz .LBB18_99
; %bb.98:
	scratch_load_b128 v[6:9], off, s23
	v_dual_mov_b32 v2, v1 :: v_dual_mov_b32 v3, v1
	v_mov_b32_e32 v4, v1
	scratch_store_b128 off, v[1:4], off offset:240
	s_wait_loadcnt 0x0
	ds_store_b128 v5, v[6:9]
.LBB18_99:
	s_wait_alu 0xfffe
	s_or_b32 exec_lo, exec_lo, s0
	s_wait_storecnt_dscnt 0x0
	s_barrier_signal -1
	s_barrier_wait -1
	global_inv scope:SCOPE_SE
	s_clause 0x4
	scratch_load_b128 v[6:9], off, off offset:256
	scratch_load_b128 v[51:54], off, off offset:272
	scratch_load_b128 v[55:58], off, off offset:288
	scratch_load_b128 v[59:62], off, off offset:304
	scratch_load_b128 v[63:66], off, off offset:240
	ds_load_b128 v[67:70], v1 offset:544
	ds_load_b128 v[71:74], v1 offset:560
	s_mov_b32 s0, exec_lo
	s_wait_loadcnt_dscnt 0x401
	v_mul_f64_e32 v[2:3], v[69:70], v[8:9]
	v_mul_f64_e32 v[8:9], v[67:68], v[8:9]
	s_wait_loadcnt_dscnt 0x300
	v_mul_f64_e32 v[10:11], v[71:72], v[53:54]
	v_mul_f64_e32 v[53:54], v[73:74], v[53:54]
	s_delay_alu instid0(VALU_DEP_4) | instskip(NEXT) | instid1(VALU_DEP_4)
	v_fma_f64 v[67:68], v[67:68], v[6:7], -v[2:3]
	v_fma_f64 v[69:70], v[69:70], v[6:7], v[8:9]
	ds_load_b128 v[6:9], v1 offset:576
	ds_load_b128 v[1:4], v1 offset:592
	v_fma_f64 v[10:11], v[73:74], v[51:52], v[10:11]
	v_fma_f64 v[51:52], v[71:72], v[51:52], -v[53:54]
	s_wait_loadcnt_dscnt 0x201
	v_mul_f64_e32 v[75:76], v[6:7], v[57:58]
	v_mul_f64_e32 v[57:58], v[8:9], v[57:58]
	v_add_f64_e32 v[53:54], 0, v[67:68]
	v_add_f64_e32 v[67:68], 0, v[69:70]
	s_wait_loadcnt_dscnt 0x100
	v_mul_f64_e32 v[69:70], v[1:2], v[61:62]
	v_mul_f64_e32 v[61:62], v[3:4], v[61:62]
	v_fma_f64 v[8:9], v[8:9], v[55:56], v[75:76]
	v_fma_f64 v[6:7], v[6:7], v[55:56], -v[57:58]
	v_add_f64_e32 v[51:52], v[53:54], v[51:52]
	v_add_f64_e32 v[10:11], v[67:68], v[10:11]
	v_fma_f64 v[3:4], v[3:4], v[59:60], v[69:70]
	v_fma_f64 v[1:2], v[1:2], v[59:60], -v[61:62]
	s_delay_alu instid0(VALU_DEP_4) | instskip(NEXT) | instid1(VALU_DEP_4)
	v_add_f64_e32 v[6:7], v[51:52], v[6:7]
	v_add_f64_e32 v[8:9], v[10:11], v[8:9]
	s_delay_alu instid0(VALU_DEP_2) | instskip(NEXT) | instid1(VALU_DEP_2)
	v_add_f64_e32 v[1:2], v[6:7], v[1:2]
	v_add_f64_e32 v[3:4], v[8:9], v[3:4]
	s_wait_loadcnt 0x0
	s_delay_alu instid0(VALU_DEP_2) | instskip(NEXT) | instid1(VALU_DEP_2)
	v_add_f64_e64 v[1:2], v[63:64], -v[1:2]
	v_add_f64_e64 v[3:4], v[65:66], -v[3:4]
	scratch_store_b128 off, v[1:4], off offset:240
	v_cmpx_lt_u32_e32 13, v0
	s_cbranch_execz .LBB18_101
; %bb.100:
	scratch_load_b128 v[1:4], off, s20
	v_mov_b32_e32 v6, 0
	s_delay_alu instid0(VALU_DEP_1)
	v_dual_mov_b32 v7, v6 :: v_dual_mov_b32 v8, v6
	v_mov_b32_e32 v9, v6
	scratch_store_b128 off, v[6:9], off offset:224
	s_wait_loadcnt 0x0
	ds_store_b128 v5, v[1:4]
.LBB18_101:
	s_wait_alu 0xfffe
	s_or_b32 exec_lo, exec_lo, s0
	s_wait_storecnt_dscnt 0x0
	s_barrier_signal -1
	s_barrier_wait -1
	global_inv scope:SCOPE_SE
	s_clause 0x5
	scratch_load_b128 v[6:9], off, off offset:240
	scratch_load_b128 v[51:54], off, off offset:256
	;; [unrolled: 1-line block ×6, first 2 shown]
	v_mov_b32_e32 v1, 0
	ds_load_b128 v[71:74], v1 offset:528
	ds_load_b128 v[75:78], v1 offset:544
	s_mov_b32 s0, exec_lo
	s_wait_loadcnt_dscnt 0x501
	v_mul_f64_e32 v[2:3], v[73:74], v[8:9]
	v_mul_f64_e32 v[8:9], v[71:72], v[8:9]
	s_wait_loadcnt_dscnt 0x400
	v_mul_f64_e32 v[10:11], v[75:76], v[53:54]
	v_mul_f64_e32 v[53:54], v[77:78], v[53:54]
	s_delay_alu instid0(VALU_DEP_4) | instskip(NEXT) | instid1(VALU_DEP_4)
	v_fma_f64 v[2:3], v[71:72], v[6:7], -v[2:3]
	v_fma_f64 v[79:80], v[73:74], v[6:7], v[8:9]
	ds_load_b128 v[6:9], v1 offset:560
	ds_load_b128 v[71:74], v1 offset:576
	v_fma_f64 v[10:11], v[77:78], v[51:52], v[10:11]
	v_fma_f64 v[51:52], v[75:76], v[51:52], -v[53:54]
	s_wait_loadcnt_dscnt 0x301
	v_mul_f64_e32 v[81:82], v[6:7], v[57:58]
	v_mul_f64_e32 v[57:58], v[8:9], v[57:58]
	s_wait_loadcnt_dscnt 0x200
	v_mul_f64_e32 v[75:76], v[71:72], v[61:62]
	v_mul_f64_e32 v[61:62], v[73:74], v[61:62]
	v_add_f64_e32 v[2:3], 0, v[2:3]
	v_add_f64_e32 v[53:54], 0, v[79:80]
	v_fma_f64 v[77:78], v[8:9], v[55:56], v[81:82]
	v_fma_f64 v[55:56], v[6:7], v[55:56], -v[57:58]
	ds_load_b128 v[6:9], v1 offset:592
	v_fma_f64 v[57:58], v[73:74], v[59:60], v[75:76]
	v_fma_f64 v[59:60], v[71:72], v[59:60], -v[61:62]
	v_add_f64_e32 v[2:3], v[2:3], v[51:52]
	v_add_f64_e32 v[10:11], v[53:54], v[10:11]
	s_wait_loadcnt_dscnt 0x100
	v_mul_f64_e32 v[51:52], v[6:7], v[65:66]
	v_mul_f64_e32 v[53:54], v[8:9], v[65:66]
	s_delay_alu instid0(VALU_DEP_4) | instskip(NEXT) | instid1(VALU_DEP_4)
	v_add_f64_e32 v[2:3], v[2:3], v[55:56]
	v_add_f64_e32 v[10:11], v[10:11], v[77:78]
	s_delay_alu instid0(VALU_DEP_4) | instskip(NEXT) | instid1(VALU_DEP_4)
	v_fma_f64 v[8:9], v[8:9], v[63:64], v[51:52]
	v_fma_f64 v[6:7], v[6:7], v[63:64], -v[53:54]
	s_delay_alu instid0(VALU_DEP_4) | instskip(NEXT) | instid1(VALU_DEP_4)
	v_add_f64_e32 v[2:3], v[2:3], v[59:60]
	v_add_f64_e32 v[10:11], v[10:11], v[57:58]
	s_delay_alu instid0(VALU_DEP_2) | instskip(NEXT) | instid1(VALU_DEP_2)
	v_add_f64_e32 v[2:3], v[2:3], v[6:7]
	v_add_f64_e32 v[8:9], v[10:11], v[8:9]
	s_wait_loadcnt 0x0
	s_delay_alu instid0(VALU_DEP_2) | instskip(NEXT) | instid1(VALU_DEP_2)
	v_add_f64_e64 v[6:7], v[67:68], -v[2:3]
	v_add_f64_e64 v[8:9], v[69:70], -v[8:9]
	scratch_store_b128 off, v[6:9], off offset:224
	v_cmpx_lt_u32_e32 12, v0
	s_cbranch_execz .LBB18_103
; %bb.102:
	scratch_load_b128 v[6:9], off, s21
	v_dual_mov_b32 v2, v1 :: v_dual_mov_b32 v3, v1
	v_mov_b32_e32 v4, v1
	scratch_store_b128 off, v[1:4], off offset:208
	s_wait_loadcnt 0x0
	ds_store_b128 v5, v[6:9]
.LBB18_103:
	s_wait_alu 0xfffe
	s_or_b32 exec_lo, exec_lo, s0
	s_wait_storecnt_dscnt 0x0
	s_barrier_signal -1
	s_barrier_wait -1
	global_inv scope:SCOPE_SE
	s_clause 0x5
	scratch_load_b128 v[6:9], off, off offset:224
	scratch_load_b128 v[51:54], off, off offset:240
	;; [unrolled: 1-line block ×6, first 2 shown]
	ds_load_b128 v[71:74], v1 offset:512
	ds_load_b128 v[79:82], v1 offset:528
	scratch_load_b128 v[75:78], off, off offset:208
	s_mov_b32 s0, exec_lo
	s_wait_loadcnt_dscnt 0x601
	v_mul_f64_e32 v[2:3], v[73:74], v[8:9]
	v_mul_f64_e32 v[8:9], v[71:72], v[8:9]
	s_wait_loadcnt_dscnt 0x500
	v_mul_f64_e32 v[10:11], v[79:80], v[53:54]
	v_mul_f64_e32 v[53:54], v[81:82], v[53:54]
	s_delay_alu instid0(VALU_DEP_4) | instskip(NEXT) | instid1(VALU_DEP_4)
	v_fma_f64 v[2:3], v[71:72], v[6:7], -v[2:3]
	v_fma_f64 v[83:84], v[73:74], v[6:7], v[8:9]
	ds_load_b128 v[6:9], v1 offset:544
	ds_load_b128 v[71:74], v1 offset:560
	v_fma_f64 v[10:11], v[81:82], v[51:52], v[10:11]
	v_fma_f64 v[51:52], v[79:80], v[51:52], -v[53:54]
	s_wait_loadcnt_dscnt 0x401
	v_mul_f64_e32 v[85:86], v[6:7], v[57:58]
	v_mul_f64_e32 v[57:58], v[8:9], v[57:58]
	s_wait_loadcnt_dscnt 0x300
	v_mul_f64_e32 v[79:80], v[71:72], v[61:62]
	v_mul_f64_e32 v[61:62], v[73:74], v[61:62]
	v_add_f64_e32 v[2:3], 0, v[2:3]
	v_add_f64_e32 v[53:54], 0, v[83:84]
	v_fma_f64 v[81:82], v[8:9], v[55:56], v[85:86]
	v_fma_f64 v[55:56], v[6:7], v[55:56], -v[57:58]
	s_delay_alu instid0(VALU_DEP_4) | instskip(NEXT) | instid1(VALU_DEP_4)
	v_add_f64_e32 v[51:52], v[2:3], v[51:52]
	v_add_f64_e32 v[10:11], v[53:54], v[10:11]
	ds_load_b128 v[6:9], v1 offset:576
	ds_load_b128 v[1:4], v1 offset:592
	s_wait_loadcnt_dscnt 0x201
	v_mul_f64_e32 v[53:54], v[6:7], v[65:66]
	v_mul_f64_e32 v[57:58], v[8:9], v[65:66]
	v_fma_f64 v[65:66], v[73:74], v[59:60], v[79:80]
	v_fma_f64 v[59:60], v[71:72], v[59:60], -v[61:62]
	s_wait_loadcnt_dscnt 0x100
	v_mul_f64_e32 v[61:62], v[3:4], v[69:70]
	v_add_f64_e32 v[51:52], v[51:52], v[55:56]
	v_add_f64_e32 v[10:11], v[10:11], v[81:82]
	v_mul_f64_e32 v[55:56], v[1:2], v[69:70]
	v_fma_f64 v[8:9], v[8:9], v[63:64], v[53:54]
	v_fma_f64 v[6:7], v[6:7], v[63:64], -v[57:58]
	v_fma_f64 v[1:2], v[1:2], v[67:68], -v[61:62]
	v_add_f64_e32 v[51:52], v[51:52], v[59:60]
	v_add_f64_e32 v[10:11], v[10:11], v[65:66]
	v_fma_f64 v[3:4], v[3:4], v[67:68], v[55:56]
	s_delay_alu instid0(VALU_DEP_3) | instskip(NEXT) | instid1(VALU_DEP_3)
	v_add_f64_e32 v[6:7], v[51:52], v[6:7]
	v_add_f64_e32 v[8:9], v[10:11], v[8:9]
	s_delay_alu instid0(VALU_DEP_2) | instskip(NEXT) | instid1(VALU_DEP_2)
	v_add_f64_e32 v[1:2], v[6:7], v[1:2]
	v_add_f64_e32 v[3:4], v[8:9], v[3:4]
	s_wait_loadcnt 0x0
	s_delay_alu instid0(VALU_DEP_2) | instskip(NEXT) | instid1(VALU_DEP_2)
	v_add_f64_e64 v[1:2], v[75:76], -v[1:2]
	v_add_f64_e64 v[3:4], v[77:78], -v[3:4]
	scratch_store_b128 off, v[1:4], off offset:208
	v_cmpx_lt_u32_e32 11, v0
	s_cbranch_execz .LBB18_105
; %bb.104:
	scratch_load_b128 v[1:4], off, s15
	v_mov_b32_e32 v6, 0
	s_delay_alu instid0(VALU_DEP_1)
	v_dual_mov_b32 v7, v6 :: v_dual_mov_b32 v8, v6
	v_mov_b32_e32 v9, v6
	scratch_store_b128 off, v[6:9], off offset:192
	s_wait_loadcnt 0x0
	ds_store_b128 v5, v[1:4]
.LBB18_105:
	s_wait_alu 0xfffe
	s_or_b32 exec_lo, exec_lo, s0
	s_wait_storecnt_dscnt 0x0
	s_barrier_signal -1
	s_barrier_wait -1
	global_inv scope:SCOPE_SE
	s_clause 0x6
	scratch_load_b128 v[6:9], off, off offset:208
	scratch_load_b128 v[51:54], off, off offset:224
	;; [unrolled: 1-line block ×7, first 2 shown]
	v_mov_b32_e32 v1, 0
	scratch_load_b128 v[79:82], off, off offset:192
	s_mov_b32 s0, exec_lo
	ds_load_b128 v[75:78], v1 offset:496
	ds_load_b128 v[83:86], v1 offset:512
	s_wait_loadcnt_dscnt 0x701
	v_mul_f64_e32 v[2:3], v[77:78], v[8:9]
	v_mul_f64_e32 v[8:9], v[75:76], v[8:9]
	s_wait_loadcnt_dscnt 0x600
	v_mul_f64_e32 v[10:11], v[83:84], v[53:54]
	v_mul_f64_e32 v[53:54], v[85:86], v[53:54]
	s_delay_alu instid0(VALU_DEP_4) | instskip(NEXT) | instid1(VALU_DEP_4)
	v_fma_f64 v[2:3], v[75:76], v[6:7], -v[2:3]
	v_fma_f64 v[87:88], v[77:78], v[6:7], v[8:9]
	ds_load_b128 v[6:9], v1 offset:528
	ds_load_b128 v[75:78], v1 offset:544
	v_fma_f64 v[10:11], v[85:86], v[51:52], v[10:11]
	v_fma_f64 v[51:52], v[83:84], v[51:52], -v[53:54]
	s_wait_loadcnt_dscnt 0x501
	v_mul_f64_e32 v[89:90], v[6:7], v[57:58]
	v_mul_f64_e32 v[57:58], v[8:9], v[57:58]
	s_wait_loadcnt_dscnt 0x400
	v_mul_f64_e32 v[83:84], v[75:76], v[61:62]
	v_mul_f64_e32 v[61:62], v[77:78], v[61:62]
	v_add_f64_e32 v[2:3], 0, v[2:3]
	v_add_f64_e32 v[53:54], 0, v[87:88]
	v_fma_f64 v[85:86], v[8:9], v[55:56], v[89:90]
	v_fma_f64 v[55:56], v[6:7], v[55:56], -v[57:58]
	v_fma_f64 v[77:78], v[77:78], v[59:60], v[83:84]
	v_fma_f64 v[59:60], v[75:76], v[59:60], -v[61:62]
	v_add_f64_e32 v[2:3], v[2:3], v[51:52]
	v_add_f64_e32 v[10:11], v[53:54], v[10:11]
	ds_load_b128 v[6:9], v1 offset:560
	ds_load_b128 v[51:54], v1 offset:576
	s_wait_loadcnt_dscnt 0x301
	v_mul_f64_e32 v[57:58], v[6:7], v[65:66]
	v_mul_f64_e32 v[65:66], v[8:9], v[65:66]
	s_wait_loadcnt_dscnt 0x200
	v_mul_f64_e32 v[61:62], v[53:54], v[69:70]
	v_add_f64_e32 v[2:3], v[2:3], v[55:56]
	v_add_f64_e32 v[10:11], v[10:11], v[85:86]
	v_mul_f64_e32 v[55:56], v[51:52], v[69:70]
	v_fma_f64 v[57:58], v[8:9], v[63:64], v[57:58]
	v_fma_f64 v[63:64], v[6:7], v[63:64], -v[65:66]
	ds_load_b128 v[6:9], v1 offset:592
	v_fma_f64 v[51:52], v[51:52], v[67:68], -v[61:62]
	v_add_f64_e32 v[2:3], v[2:3], v[59:60]
	v_add_f64_e32 v[10:11], v[10:11], v[77:78]
	v_fma_f64 v[53:54], v[53:54], v[67:68], v[55:56]
	s_wait_loadcnt_dscnt 0x100
	v_mul_f64_e32 v[59:60], v[6:7], v[73:74]
	v_mul_f64_e32 v[65:66], v[8:9], v[73:74]
	v_add_f64_e32 v[2:3], v[2:3], v[63:64]
	v_add_f64_e32 v[10:11], v[10:11], v[57:58]
	s_delay_alu instid0(VALU_DEP_4) | instskip(NEXT) | instid1(VALU_DEP_4)
	v_fma_f64 v[8:9], v[8:9], v[71:72], v[59:60]
	v_fma_f64 v[6:7], v[6:7], v[71:72], -v[65:66]
	s_delay_alu instid0(VALU_DEP_4) | instskip(NEXT) | instid1(VALU_DEP_4)
	v_add_f64_e32 v[2:3], v[2:3], v[51:52]
	v_add_f64_e32 v[10:11], v[10:11], v[53:54]
	s_delay_alu instid0(VALU_DEP_2) | instskip(NEXT) | instid1(VALU_DEP_2)
	v_add_f64_e32 v[2:3], v[2:3], v[6:7]
	v_add_f64_e32 v[8:9], v[10:11], v[8:9]
	s_wait_loadcnt 0x0
	s_delay_alu instid0(VALU_DEP_2) | instskip(NEXT) | instid1(VALU_DEP_2)
	v_add_f64_e64 v[6:7], v[79:80], -v[2:3]
	v_add_f64_e64 v[8:9], v[81:82], -v[8:9]
	scratch_store_b128 off, v[6:9], off offset:192
	v_cmpx_lt_u32_e32 10, v0
	s_cbranch_execz .LBB18_107
; %bb.106:
	scratch_load_b128 v[6:9], off, s19
	v_dual_mov_b32 v2, v1 :: v_dual_mov_b32 v3, v1
	v_mov_b32_e32 v4, v1
	scratch_store_b128 off, v[1:4], off offset:176
	s_wait_loadcnt 0x0
	ds_store_b128 v5, v[6:9]
.LBB18_107:
	s_wait_alu 0xfffe
	s_or_b32 exec_lo, exec_lo, s0
	s_wait_storecnt_dscnt 0x0
	s_barrier_signal -1
	s_barrier_wait -1
	global_inv scope:SCOPE_SE
	s_clause 0x7
	scratch_load_b128 v[6:9], off, off offset:192
	scratch_load_b128 v[51:54], off, off offset:208
	;; [unrolled: 1-line block ×8, first 2 shown]
	ds_load_b128 v[79:82], v1 offset:480
	ds_load_b128 v[83:86], v1 offset:496
	scratch_load_b128 v[87:90], off, off offset:176
	s_mov_b32 s0, exec_lo
	s_wait_loadcnt_dscnt 0x801
	v_mul_f64_e32 v[2:3], v[81:82], v[8:9]
	v_mul_f64_e32 v[8:9], v[79:80], v[8:9]
	s_wait_loadcnt_dscnt 0x700
	v_mul_f64_e32 v[10:11], v[83:84], v[53:54]
	v_mul_f64_e32 v[53:54], v[85:86], v[53:54]
	s_delay_alu instid0(VALU_DEP_4) | instskip(NEXT) | instid1(VALU_DEP_4)
	v_fma_f64 v[2:3], v[79:80], v[6:7], -v[2:3]
	v_fma_f64 v[91:92], v[81:82], v[6:7], v[8:9]
	ds_load_b128 v[6:9], v1 offset:512
	ds_load_b128 v[79:82], v1 offset:528
	v_fma_f64 v[10:11], v[85:86], v[51:52], v[10:11]
	v_fma_f64 v[51:52], v[83:84], v[51:52], -v[53:54]
	s_wait_loadcnt_dscnt 0x601
	v_mul_f64_e32 v[93:94], v[6:7], v[57:58]
	v_mul_f64_e32 v[57:58], v[8:9], v[57:58]
	s_wait_loadcnt_dscnt 0x500
	v_mul_f64_e32 v[83:84], v[79:80], v[61:62]
	v_mul_f64_e32 v[61:62], v[81:82], v[61:62]
	v_add_f64_e32 v[2:3], 0, v[2:3]
	v_add_f64_e32 v[53:54], 0, v[91:92]
	v_fma_f64 v[85:86], v[8:9], v[55:56], v[93:94]
	v_fma_f64 v[55:56], v[6:7], v[55:56], -v[57:58]
	v_fma_f64 v[81:82], v[81:82], v[59:60], v[83:84]
	v_fma_f64 v[59:60], v[79:80], v[59:60], -v[61:62]
	v_add_f64_e32 v[2:3], v[2:3], v[51:52]
	v_add_f64_e32 v[10:11], v[53:54], v[10:11]
	ds_load_b128 v[6:9], v1 offset:544
	ds_load_b128 v[51:54], v1 offset:560
	s_wait_loadcnt_dscnt 0x401
	v_mul_f64_e32 v[57:58], v[6:7], v[65:66]
	v_mul_f64_e32 v[65:66], v[8:9], v[65:66]
	s_wait_loadcnt_dscnt 0x300
	v_mul_f64_e32 v[61:62], v[53:54], v[69:70]
	v_add_f64_e32 v[2:3], v[2:3], v[55:56]
	v_add_f64_e32 v[10:11], v[10:11], v[85:86]
	v_mul_f64_e32 v[55:56], v[51:52], v[69:70]
	v_fma_f64 v[57:58], v[8:9], v[63:64], v[57:58]
	v_fma_f64 v[63:64], v[6:7], v[63:64], -v[65:66]
	v_fma_f64 v[51:52], v[51:52], v[67:68], -v[61:62]
	v_add_f64_e32 v[59:60], v[2:3], v[59:60]
	v_add_f64_e32 v[10:11], v[10:11], v[81:82]
	ds_load_b128 v[6:9], v1 offset:576
	ds_load_b128 v[1:4], v1 offset:592
	v_fma_f64 v[53:54], v[53:54], v[67:68], v[55:56]
	s_wait_loadcnt_dscnt 0x201
	v_mul_f64_e32 v[65:66], v[6:7], v[73:74]
	v_mul_f64_e32 v[69:70], v[8:9], v[73:74]
	v_add_f64_e32 v[55:56], v[59:60], v[63:64]
	v_add_f64_e32 v[10:11], v[10:11], v[57:58]
	s_wait_loadcnt_dscnt 0x100
	v_mul_f64_e32 v[57:58], v[1:2], v[77:78]
	v_mul_f64_e32 v[59:60], v[3:4], v[77:78]
	v_fma_f64 v[8:9], v[8:9], v[71:72], v[65:66]
	v_fma_f64 v[6:7], v[6:7], v[71:72], -v[69:70]
	v_add_f64_e32 v[51:52], v[55:56], v[51:52]
	v_add_f64_e32 v[10:11], v[10:11], v[53:54]
	v_fma_f64 v[3:4], v[3:4], v[75:76], v[57:58]
	v_fma_f64 v[1:2], v[1:2], v[75:76], -v[59:60]
	s_delay_alu instid0(VALU_DEP_4) | instskip(NEXT) | instid1(VALU_DEP_4)
	v_add_f64_e32 v[6:7], v[51:52], v[6:7]
	v_add_f64_e32 v[8:9], v[10:11], v[8:9]
	s_delay_alu instid0(VALU_DEP_2) | instskip(NEXT) | instid1(VALU_DEP_2)
	v_add_f64_e32 v[1:2], v[6:7], v[1:2]
	v_add_f64_e32 v[3:4], v[8:9], v[3:4]
	s_wait_loadcnt 0x0
	s_delay_alu instid0(VALU_DEP_2) | instskip(NEXT) | instid1(VALU_DEP_2)
	v_add_f64_e64 v[1:2], v[87:88], -v[1:2]
	v_add_f64_e64 v[3:4], v[89:90], -v[3:4]
	scratch_store_b128 off, v[1:4], off offset:176
	v_cmpx_lt_u32_e32 9, v0
	s_cbranch_execz .LBB18_109
; %bb.108:
	scratch_load_b128 v[1:4], off, s12
	v_mov_b32_e32 v6, 0
	s_delay_alu instid0(VALU_DEP_1)
	v_dual_mov_b32 v7, v6 :: v_dual_mov_b32 v8, v6
	v_mov_b32_e32 v9, v6
	scratch_store_b128 off, v[6:9], off offset:160
	s_wait_loadcnt 0x0
	ds_store_b128 v5, v[1:4]
.LBB18_109:
	s_wait_alu 0xfffe
	s_or_b32 exec_lo, exec_lo, s0
	s_wait_storecnt_dscnt 0x0
	s_barrier_signal -1
	s_barrier_wait -1
	global_inv scope:SCOPE_SE
	s_clause 0x7
	scratch_load_b128 v[6:9], off, off offset:176
	scratch_load_b128 v[51:54], off, off offset:192
	scratch_load_b128 v[55:58], off, off offset:208
	scratch_load_b128 v[59:62], off, off offset:224
	scratch_load_b128 v[63:66], off, off offset:240
	scratch_load_b128 v[67:70], off, off offset:256
	scratch_load_b128 v[71:74], off, off offset:272
	scratch_load_b128 v[75:78], off, off offset:288
	v_mov_b32_e32 v1, 0
	scratch_load_b128 v[83:86], off, off offset:304
	s_mov_b32 s0, exec_lo
	ds_load_b128 v[79:82], v1 offset:464
	s_wait_loadcnt_dscnt 0x800
	v_mul_f64_e32 v[2:3], v[81:82], v[8:9]
	v_mul_f64_e32 v[87:88], v[79:80], v[8:9]
	ds_load_b128 v[8:11], v1 offset:480
	v_fma_f64 v[2:3], v[79:80], v[6:7], -v[2:3]
	v_fma_f64 v[6:7], v[81:82], v[6:7], v[87:88]
	ds_load_b128 v[79:82], v1 offset:496
	s_wait_loadcnt_dscnt 0x701
	v_mul_f64_e32 v[89:90], v[8:9], v[53:54]
	v_mul_f64_e32 v[53:54], v[10:11], v[53:54]
	s_wait_loadcnt_dscnt 0x600
	v_mul_f64_e32 v[87:88], v[79:80], v[57:58]
	v_mul_f64_e32 v[57:58], v[81:82], v[57:58]
	v_add_f64_e32 v[2:3], 0, v[2:3]
	v_add_f64_e32 v[91:92], 0, v[6:7]
	v_fma_f64 v[10:11], v[10:11], v[51:52], v[89:90]
	v_fma_f64 v[89:90], v[8:9], v[51:52], -v[53:54]
	ds_load_b128 v[6:9], v1 offset:512
	scratch_load_b128 v[51:54], off, off offset:160
	v_fma_f64 v[81:82], v[81:82], v[55:56], v[87:88]
	v_fma_f64 v[79:80], v[79:80], v[55:56], -v[57:58]
	ds_load_b128 v[55:58], v1 offset:528
	s_wait_loadcnt_dscnt 0x601
	v_mul_f64_e32 v[93:94], v[6:7], v[61:62]
	v_mul_f64_e32 v[61:62], v[8:9], v[61:62]
	v_add_f64_e32 v[10:11], v[91:92], v[10:11]
	v_add_f64_e32 v[2:3], v[2:3], v[89:90]
	s_wait_loadcnt_dscnt 0x500
	v_mul_f64_e32 v[87:88], v[55:56], v[65:66]
	v_mul_f64_e32 v[65:66], v[57:58], v[65:66]
	v_fma_f64 v[89:90], v[8:9], v[59:60], v[93:94]
	v_fma_f64 v[59:60], v[6:7], v[59:60], -v[61:62]
	ds_load_b128 v[6:9], v1 offset:544
	v_add_f64_e32 v[10:11], v[10:11], v[81:82]
	v_add_f64_e32 v[2:3], v[2:3], v[79:80]
	v_fma_f64 v[79:80], v[57:58], v[63:64], v[87:88]
	v_fma_f64 v[63:64], v[55:56], v[63:64], -v[65:66]
	ds_load_b128 v[55:58], v1 offset:560
	s_wait_loadcnt_dscnt 0x401
	v_mul_f64_e32 v[61:62], v[6:7], v[69:70]
	v_mul_f64_e32 v[69:70], v[8:9], v[69:70]
	s_wait_loadcnt_dscnt 0x300
	v_mul_f64_e32 v[65:66], v[57:58], v[73:74]
	v_add_f64_e32 v[10:11], v[10:11], v[89:90]
	v_add_f64_e32 v[2:3], v[2:3], v[59:60]
	v_mul_f64_e32 v[59:60], v[55:56], v[73:74]
	v_fma_f64 v[61:62], v[8:9], v[67:68], v[61:62]
	v_fma_f64 v[67:68], v[6:7], v[67:68], -v[69:70]
	ds_load_b128 v[6:9], v1 offset:576
	v_fma_f64 v[65:66], v[55:56], v[71:72], -v[65:66]
	v_add_f64_e32 v[10:11], v[10:11], v[79:80]
	v_add_f64_e32 v[2:3], v[2:3], v[63:64]
	v_fma_f64 v[59:60], v[57:58], v[71:72], v[59:60]
	ds_load_b128 v[55:58], v1 offset:592
	s_wait_loadcnt_dscnt 0x201
	v_mul_f64_e32 v[63:64], v[6:7], v[77:78]
	v_mul_f64_e32 v[69:70], v[8:9], v[77:78]
	v_add_f64_e32 v[10:11], v[10:11], v[61:62]
	v_add_f64_e32 v[2:3], v[2:3], v[67:68]
	s_wait_loadcnt_dscnt 0x100
	v_mul_f64_e32 v[61:62], v[55:56], v[85:86]
	v_mul_f64_e32 v[67:68], v[57:58], v[85:86]
	v_fma_f64 v[8:9], v[8:9], v[75:76], v[63:64]
	v_fma_f64 v[6:7], v[6:7], v[75:76], -v[69:70]
	v_add_f64_e32 v[10:11], v[10:11], v[59:60]
	v_add_f64_e32 v[2:3], v[2:3], v[65:66]
	v_fma_f64 v[57:58], v[57:58], v[83:84], v[61:62]
	v_fma_f64 v[55:56], v[55:56], v[83:84], -v[67:68]
	s_delay_alu instid0(VALU_DEP_3) | instskip(SKIP_1) | instid1(VALU_DEP_2)
	v_add_f64_e32 v[2:3], v[2:3], v[6:7]
	v_add_f64_e32 v[6:7], v[10:11], v[8:9]
	;; [unrolled: 1-line block ×3, first 2 shown]
	s_delay_alu instid0(VALU_DEP_2) | instskip(SKIP_1) | instid1(VALU_DEP_2)
	v_add_f64_e32 v[8:9], v[6:7], v[57:58]
	s_wait_loadcnt 0x0
	v_add_f64_e64 v[6:7], v[51:52], -v[2:3]
	s_delay_alu instid0(VALU_DEP_2)
	v_add_f64_e64 v[8:9], v[53:54], -v[8:9]
	scratch_store_b128 off, v[6:9], off offset:160
	v_cmpx_lt_u32_e32 8, v0
	s_cbranch_execz .LBB18_111
; %bb.110:
	scratch_load_b128 v[6:9], off, s14
	v_dual_mov_b32 v2, v1 :: v_dual_mov_b32 v3, v1
	v_mov_b32_e32 v4, v1
	scratch_store_b128 off, v[1:4], off offset:144
	s_wait_loadcnt 0x0
	ds_store_b128 v5, v[6:9]
.LBB18_111:
	s_wait_alu 0xfffe
	s_or_b32 exec_lo, exec_lo, s0
	s_wait_storecnt_dscnt 0x0
	s_barrier_signal -1
	s_barrier_wait -1
	global_inv scope:SCOPE_SE
	s_clause 0x7
	scratch_load_b128 v[6:9], off, off offset:160
	scratch_load_b128 v[51:54], off, off offset:176
	;; [unrolled: 1-line block ×8, first 2 shown]
	ds_load_b128 v[79:82], v1 offset:448
	s_clause 0x1
	scratch_load_b128 v[83:86], off, off offset:288
	scratch_load_b128 v[87:90], off, off offset:304
	s_mov_b32 s0, exec_lo
	s_wait_loadcnt_dscnt 0x900
	v_mul_f64_e32 v[2:3], v[81:82], v[8:9]
	v_mul_f64_e32 v[91:92], v[79:80], v[8:9]
	ds_load_b128 v[8:11], v1 offset:464
	v_fma_f64 v[2:3], v[79:80], v[6:7], -v[2:3]
	v_fma_f64 v[6:7], v[81:82], v[6:7], v[91:92]
	ds_load_b128 v[79:82], v1 offset:480
	s_wait_loadcnt_dscnt 0x801
	v_mul_f64_e32 v[93:94], v[8:9], v[53:54]
	v_mul_f64_e32 v[53:54], v[10:11], v[53:54]
	s_wait_loadcnt_dscnt 0x700
	v_mul_f64_e32 v[91:92], v[79:80], v[57:58]
	v_mul_f64_e32 v[57:58], v[81:82], v[57:58]
	v_add_f64_e32 v[2:3], 0, v[2:3]
	v_fma_f64 v[10:11], v[10:11], v[51:52], v[93:94]
	v_fma_f64 v[51:52], v[8:9], v[51:52], -v[53:54]
	v_add_f64_e32 v[53:54], 0, v[6:7]
	ds_load_b128 v[6:9], v1 offset:496
	v_fma_f64 v[81:82], v[81:82], v[55:56], v[91:92]
	v_fma_f64 v[79:80], v[79:80], v[55:56], -v[57:58]
	scratch_load_b128 v[55:58], off, off offset:144
	v_add_f64_e32 v[2:3], v[2:3], v[51:52]
	v_add_f64_e32 v[10:11], v[53:54], v[10:11]
	ds_load_b128 v[51:54], v1 offset:512
	s_wait_loadcnt_dscnt 0x701
	v_mul_f64_e32 v[93:94], v[6:7], v[61:62]
	v_mul_f64_e32 v[61:62], v[8:9], v[61:62]
	s_wait_loadcnt_dscnt 0x600
	v_mul_f64_e32 v[91:92], v[51:52], v[65:66]
	v_mul_f64_e32 v[65:66], v[53:54], v[65:66]
	v_add_f64_e32 v[2:3], v[2:3], v[79:80]
	v_add_f64_e32 v[10:11], v[10:11], v[81:82]
	v_fma_f64 v[93:94], v[8:9], v[59:60], v[93:94]
	v_fma_f64 v[59:60], v[6:7], v[59:60], -v[61:62]
	ds_load_b128 v[6:9], v1 offset:528
	v_fma_f64 v[79:80], v[53:54], v[63:64], v[91:92]
	v_fma_f64 v[63:64], v[51:52], v[63:64], -v[65:66]
	ds_load_b128 v[51:54], v1 offset:544
	s_wait_loadcnt_dscnt 0x501
	v_mul_f64_e32 v[61:62], v[6:7], v[69:70]
	v_mul_f64_e32 v[69:70], v[8:9], v[69:70]
	v_add_f64_e32 v[10:11], v[10:11], v[93:94]
	v_add_f64_e32 v[2:3], v[2:3], v[59:60]
	s_wait_loadcnt_dscnt 0x400
	v_mul_f64_e32 v[59:60], v[51:52], v[73:74]
	v_mul_f64_e32 v[65:66], v[53:54], v[73:74]
	v_fma_f64 v[61:62], v[8:9], v[67:68], v[61:62]
	v_fma_f64 v[67:68], v[6:7], v[67:68], -v[69:70]
	ds_load_b128 v[6:9], v1 offset:560
	v_add_f64_e32 v[10:11], v[10:11], v[79:80]
	v_add_f64_e32 v[2:3], v[2:3], v[63:64]
	v_fma_f64 v[59:60], v[53:54], v[71:72], v[59:60]
	v_fma_f64 v[65:66], v[51:52], v[71:72], -v[65:66]
	ds_load_b128 v[51:54], v1 offset:576
	s_wait_loadcnt_dscnt 0x301
	v_mul_f64_e32 v[63:64], v[6:7], v[77:78]
	v_mul_f64_e32 v[69:70], v[8:9], v[77:78]
	v_add_f64_e32 v[10:11], v[10:11], v[61:62]
	v_add_f64_e32 v[2:3], v[2:3], v[67:68]
	s_wait_loadcnt_dscnt 0x200
	v_mul_f64_e32 v[61:62], v[51:52], v[85:86]
	v_mul_f64_e32 v[67:68], v[53:54], v[85:86]
	v_fma_f64 v[8:9], v[8:9], v[75:76], v[63:64]
	v_fma_f64 v[6:7], v[6:7], v[75:76], -v[69:70]
	v_add_f64_e32 v[10:11], v[10:11], v[59:60]
	v_add_f64_e32 v[63:64], v[2:3], v[65:66]
	ds_load_b128 v[1:4], v1 offset:592
	v_fma_f64 v[53:54], v[53:54], v[83:84], v[61:62]
	v_fma_f64 v[51:52], v[51:52], v[83:84], -v[67:68]
	s_wait_loadcnt_dscnt 0x100
	v_mul_f64_e32 v[59:60], v[1:2], v[89:90]
	v_mul_f64_e32 v[65:66], v[3:4], v[89:90]
	v_add_f64_e32 v[8:9], v[10:11], v[8:9]
	v_add_f64_e32 v[6:7], v[63:64], v[6:7]
	s_delay_alu instid0(VALU_DEP_4) | instskip(NEXT) | instid1(VALU_DEP_4)
	v_fma_f64 v[3:4], v[3:4], v[87:88], v[59:60]
	v_fma_f64 v[1:2], v[1:2], v[87:88], -v[65:66]
	s_delay_alu instid0(VALU_DEP_4) | instskip(NEXT) | instid1(VALU_DEP_4)
	v_add_f64_e32 v[8:9], v[8:9], v[53:54]
	v_add_f64_e32 v[6:7], v[6:7], v[51:52]
	s_delay_alu instid0(VALU_DEP_2) | instskip(NEXT) | instid1(VALU_DEP_2)
	v_add_f64_e32 v[3:4], v[8:9], v[3:4]
	v_add_f64_e32 v[1:2], v[6:7], v[1:2]
	s_wait_loadcnt 0x0
	s_delay_alu instid0(VALU_DEP_2) | instskip(NEXT) | instid1(VALU_DEP_2)
	v_add_f64_e64 v[3:4], v[57:58], -v[3:4]
	v_add_f64_e64 v[1:2], v[55:56], -v[1:2]
	scratch_store_b128 off, v[1:4], off offset:144
	v_cmpx_lt_u32_e32 7, v0
	s_cbranch_execz .LBB18_113
; %bb.112:
	scratch_load_b128 v[1:4], off, s5
	v_mov_b32_e32 v6, 0
	s_delay_alu instid0(VALU_DEP_1)
	v_dual_mov_b32 v7, v6 :: v_dual_mov_b32 v8, v6
	v_mov_b32_e32 v9, v6
	scratch_store_b128 off, v[6:9], off offset:128
	s_wait_loadcnt 0x0
	ds_store_b128 v5, v[1:4]
.LBB18_113:
	s_wait_alu 0xfffe
	s_or_b32 exec_lo, exec_lo, s0
	s_wait_storecnt_dscnt 0x0
	s_barrier_signal -1
	s_barrier_wait -1
	global_inv scope:SCOPE_SE
	s_clause 0x7
	scratch_load_b128 v[6:9], off, off offset:144
	scratch_load_b128 v[51:54], off, off offset:160
	;; [unrolled: 1-line block ×8, first 2 shown]
	v_mov_b32_e32 v1, 0
	s_clause 0x1
	scratch_load_b128 v[83:86], off, off offset:272
	scratch_load_b128 v[87:90], off, off offset:288
	s_mov_b32 s0, exec_lo
	ds_load_b128 v[79:82], v1 offset:432
	s_wait_loadcnt_dscnt 0x900
	v_mul_f64_e32 v[2:3], v[81:82], v[8:9]
	v_mul_f64_e32 v[91:92], v[79:80], v[8:9]
	ds_load_b128 v[8:11], v1 offset:448
	v_fma_f64 v[2:3], v[79:80], v[6:7], -v[2:3]
	v_fma_f64 v[6:7], v[81:82], v[6:7], v[91:92]
	ds_load_b128 v[79:82], v1 offset:464
	s_wait_loadcnt_dscnt 0x801
	v_mul_f64_e32 v[95:96], v[8:9], v[53:54]
	v_mul_f64_e32 v[53:54], v[10:11], v[53:54]
	scratch_load_b128 v[91:94], off, off offset:304
	s_wait_loadcnt_dscnt 0x800
	v_mul_f64_e32 v[97:98], v[79:80], v[57:58]
	v_mul_f64_e32 v[57:58], v[81:82], v[57:58]
	v_add_f64_e32 v[2:3], 0, v[2:3]
	v_fma_f64 v[10:11], v[10:11], v[51:52], v[95:96]
	v_fma_f64 v[51:52], v[8:9], v[51:52], -v[53:54]
	v_add_f64_e32 v[53:54], 0, v[6:7]
	ds_load_b128 v[6:9], v1 offset:480
	v_fma_f64 v[81:82], v[81:82], v[55:56], v[97:98]
	v_fma_f64 v[55:56], v[79:80], v[55:56], -v[57:58]
	v_add_f64_e32 v[2:3], v[2:3], v[51:52]
	v_add_f64_e32 v[10:11], v[53:54], v[10:11]
	ds_load_b128 v[51:54], v1 offset:496
	s_wait_loadcnt_dscnt 0x701
	v_mul_f64_e32 v[95:96], v[6:7], v[61:62]
	v_mul_f64_e32 v[61:62], v[8:9], v[61:62]
	s_wait_loadcnt_dscnt 0x600
	v_mul_f64_e32 v[79:80], v[51:52], v[65:66]
	v_mul_f64_e32 v[65:66], v[53:54], v[65:66]
	v_add_f64_e32 v[2:3], v[2:3], v[55:56]
	v_add_f64_e32 v[10:11], v[10:11], v[81:82]
	scratch_load_b128 v[55:58], off, off offset:128
	v_fma_f64 v[95:96], v[8:9], v[59:60], v[95:96]
	v_fma_f64 v[59:60], v[6:7], v[59:60], -v[61:62]
	ds_load_b128 v[6:9], v1 offset:512
	v_fma_f64 v[79:80], v[53:54], v[63:64], v[79:80]
	v_fma_f64 v[63:64], v[51:52], v[63:64], -v[65:66]
	ds_load_b128 v[51:54], v1 offset:528
	s_wait_loadcnt_dscnt 0x601
	v_mul_f64_e32 v[61:62], v[6:7], v[69:70]
	v_mul_f64_e32 v[69:70], v[8:9], v[69:70]
	v_add_f64_e32 v[10:11], v[10:11], v[95:96]
	v_add_f64_e32 v[2:3], v[2:3], v[59:60]
	s_wait_loadcnt_dscnt 0x500
	v_mul_f64_e32 v[59:60], v[51:52], v[73:74]
	v_mul_f64_e32 v[65:66], v[53:54], v[73:74]
	v_fma_f64 v[61:62], v[8:9], v[67:68], v[61:62]
	v_fma_f64 v[67:68], v[6:7], v[67:68], -v[69:70]
	ds_load_b128 v[6:9], v1 offset:544
	v_add_f64_e32 v[10:11], v[10:11], v[79:80]
	v_add_f64_e32 v[2:3], v[2:3], v[63:64]
	v_fma_f64 v[59:60], v[53:54], v[71:72], v[59:60]
	v_fma_f64 v[65:66], v[51:52], v[71:72], -v[65:66]
	ds_load_b128 v[51:54], v1 offset:560
	s_wait_loadcnt_dscnt 0x401
	v_mul_f64_e32 v[63:64], v[6:7], v[77:78]
	v_mul_f64_e32 v[69:70], v[8:9], v[77:78]
	v_add_f64_e32 v[10:11], v[10:11], v[61:62]
	v_add_f64_e32 v[2:3], v[2:3], v[67:68]
	s_wait_loadcnt_dscnt 0x300
	v_mul_f64_e32 v[61:62], v[51:52], v[85:86]
	v_mul_f64_e32 v[67:68], v[53:54], v[85:86]
	v_fma_f64 v[63:64], v[8:9], v[75:76], v[63:64]
	v_fma_f64 v[69:70], v[6:7], v[75:76], -v[69:70]
	ds_load_b128 v[6:9], v1 offset:576
	v_add_f64_e32 v[10:11], v[10:11], v[59:60]
	v_add_f64_e32 v[2:3], v[2:3], v[65:66]
	v_fma_f64 v[61:62], v[53:54], v[83:84], v[61:62]
	v_fma_f64 v[67:68], v[51:52], v[83:84], -v[67:68]
	ds_load_b128 v[51:54], v1 offset:592
	s_wait_loadcnt_dscnt 0x201
	v_mul_f64_e32 v[59:60], v[6:7], v[89:90]
	v_mul_f64_e32 v[65:66], v[8:9], v[89:90]
	v_add_f64_e32 v[10:11], v[10:11], v[63:64]
	v_add_f64_e32 v[2:3], v[2:3], v[69:70]
	s_delay_alu instid0(VALU_DEP_4) | instskip(NEXT) | instid1(VALU_DEP_4)
	v_fma_f64 v[8:9], v[8:9], v[87:88], v[59:60]
	v_fma_f64 v[6:7], v[6:7], v[87:88], -v[65:66]
	s_wait_loadcnt_dscnt 0x100
	v_mul_f64_e32 v[63:64], v[51:52], v[93:94]
	v_mul_f64_e32 v[69:70], v[53:54], v[93:94]
	v_add_f64_e32 v[10:11], v[10:11], v[61:62]
	v_add_f64_e32 v[2:3], v[2:3], v[67:68]
	s_delay_alu instid0(VALU_DEP_4) | instskip(NEXT) | instid1(VALU_DEP_4)
	v_fma_f64 v[53:54], v[53:54], v[91:92], v[63:64]
	v_fma_f64 v[51:52], v[51:52], v[91:92], -v[69:70]
	s_delay_alu instid0(VALU_DEP_3) | instskip(SKIP_1) | instid1(VALU_DEP_2)
	v_add_f64_e32 v[2:3], v[2:3], v[6:7]
	v_add_f64_e32 v[6:7], v[10:11], v[8:9]
	;; [unrolled: 1-line block ×3, first 2 shown]
	s_delay_alu instid0(VALU_DEP_2) | instskip(SKIP_1) | instid1(VALU_DEP_2)
	v_add_f64_e32 v[8:9], v[6:7], v[53:54]
	s_wait_loadcnt 0x0
	v_add_f64_e64 v[6:7], v[55:56], -v[2:3]
	s_delay_alu instid0(VALU_DEP_2)
	v_add_f64_e64 v[8:9], v[57:58], -v[8:9]
	scratch_store_b128 off, v[6:9], off offset:128
	v_cmpx_lt_u32_e32 6, v0
	s_cbranch_execz .LBB18_115
; %bb.114:
	scratch_load_b128 v[6:9], off, s10
	v_dual_mov_b32 v2, v1 :: v_dual_mov_b32 v3, v1
	v_mov_b32_e32 v4, v1
	scratch_store_b128 off, v[1:4], off offset:112
	s_wait_loadcnt 0x0
	ds_store_b128 v5, v[6:9]
.LBB18_115:
	s_wait_alu 0xfffe
	s_or_b32 exec_lo, exec_lo, s0
	s_wait_storecnt_dscnt 0x0
	s_barrier_signal -1
	s_barrier_wait -1
	global_inv scope:SCOPE_SE
	s_clause 0x8
	scratch_load_b128 v[6:9], off, off offset:128
	scratch_load_b128 v[51:54], off, off offset:144
	;; [unrolled: 1-line block ×9, first 2 shown]
	ds_load_b128 v[83:86], v1 offset:416
	ds_load_b128 v[87:90], v1 offset:432
	scratch_load_b128 v[91:94], off, off offset:112
	s_mov_b32 s0, exec_lo
	ds_load_b128 v[99:102], v1 offset:464
	s_wait_loadcnt_dscnt 0x902
	v_mul_f64_e32 v[2:3], v[85:86], v[8:9]
	v_mul_f64_e32 v[95:96], v[83:84], v[8:9]
	scratch_load_b128 v[8:11], off, off offset:272
	s_wait_loadcnt_dscnt 0x901
	v_mul_f64_e32 v[103:104], v[87:88], v[53:54]
	v_mul_f64_e32 v[53:54], v[89:90], v[53:54]
	v_fma_f64 v[2:3], v[83:84], v[6:7], -v[2:3]
	v_fma_f64 v[6:7], v[85:86], v[6:7], v[95:96]
	ds_load_b128 v[83:86], v1 offset:448
	scratch_load_b128 v[95:98], off, off offset:288
	v_fma_f64 v[89:90], v[89:90], v[51:52], v[103:104]
	v_fma_f64 v[87:88], v[87:88], v[51:52], -v[53:54]
	scratch_load_b128 v[51:54], off, off offset:304
	s_wait_loadcnt_dscnt 0x901
	v_mul_f64_e32 v[103:104], v[99:100], v[61:62]
	v_mul_f64_e32 v[61:62], v[101:102], v[61:62]
	s_wait_dscnt 0x0
	v_mul_f64_e32 v[105:106], v[83:84], v[57:58]
	v_mul_f64_e32 v[57:58], v[85:86], v[57:58]
	v_add_f64_e32 v[2:3], 0, v[2:3]
	v_add_f64_e32 v[6:7], 0, v[6:7]
	s_delay_alu instid0(VALU_DEP_4) | instskip(NEXT) | instid1(VALU_DEP_4)
	v_fma_f64 v[105:106], v[85:86], v[55:56], v[105:106]
	v_fma_f64 v[107:108], v[83:84], v[55:56], -v[57:58]
	ds_load_b128 v[55:58], v1 offset:480
	ds_load_b128 v[83:86], v1 offset:496
	v_add_f64_e32 v[2:3], v[2:3], v[87:88]
	v_add_f64_e32 v[6:7], v[6:7], v[89:90]
	v_fma_f64 v[89:90], v[101:102], v[59:60], v[103:104]
	v_fma_f64 v[59:60], v[99:100], v[59:60], -v[61:62]
	s_wait_loadcnt_dscnt 0x801
	v_mul_f64_e32 v[87:88], v[55:56], v[65:66]
	v_mul_f64_e32 v[65:66], v[57:58], v[65:66]
	s_wait_loadcnt_dscnt 0x700
	v_mul_f64_e32 v[99:100], v[83:84], v[69:70]
	v_mul_f64_e32 v[69:70], v[85:86], v[69:70]
	v_add_f64_e32 v[2:3], v[2:3], v[107:108]
	v_add_f64_e32 v[6:7], v[6:7], v[105:106]
	v_fma_f64 v[87:88], v[57:58], v[63:64], v[87:88]
	v_fma_f64 v[63:64], v[55:56], v[63:64], -v[65:66]
	v_fma_f64 v[85:86], v[85:86], v[67:68], v[99:100]
	v_fma_f64 v[67:68], v[83:84], v[67:68], -v[69:70]
	v_add_f64_e32 v[2:3], v[2:3], v[59:60]
	v_add_f64_e32 v[6:7], v[6:7], v[89:90]
	ds_load_b128 v[55:58], v1 offset:512
	ds_load_b128 v[59:62], v1 offset:528
	s_wait_loadcnt_dscnt 0x601
	v_mul_f64_e32 v[65:66], v[55:56], v[73:74]
	v_mul_f64_e32 v[73:74], v[57:58], v[73:74]
	s_wait_loadcnt_dscnt 0x500
	v_mul_f64_e32 v[69:70], v[59:60], v[77:78]
	v_mul_f64_e32 v[77:78], v[61:62], v[77:78]
	v_add_f64_e32 v[2:3], v[2:3], v[63:64]
	v_add_f64_e32 v[6:7], v[6:7], v[87:88]
	v_fma_f64 v[83:84], v[57:58], v[71:72], v[65:66]
	v_fma_f64 v[71:72], v[55:56], v[71:72], -v[73:74]
	ds_load_b128 v[55:58], v1 offset:544
	ds_load_b128 v[63:66], v1 offset:560
	v_fma_f64 v[61:62], v[61:62], v[75:76], v[69:70]
	v_fma_f64 v[59:60], v[59:60], v[75:76], -v[77:78]
	v_add_f64_e32 v[2:3], v[2:3], v[67:68]
	v_add_f64_e32 v[6:7], v[6:7], v[85:86]
	s_wait_loadcnt_dscnt 0x401
	v_mul_f64_e32 v[67:68], v[55:56], v[81:82]
	v_mul_f64_e32 v[73:74], v[57:58], v[81:82]
	s_delay_alu instid0(VALU_DEP_4) | instskip(NEXT) | instid1(VALU_DEP_4)
	v_add_f64_e32 v[2:3], v[2:3], v[71:72]
	v_add_f64_e32 v[6:7], v[6:7], v[83:84]
	s_delay_alu instid0(VALU_DEP_4) | instskip(NEXT) | instid1(VALU_DEP_4)
	v_fma_f64 v[67:68], v[57:58], v[79:80], v[67:68]
	v_fma_f64 v[71:72], v[55:56], v[79:80], -v[73:74]
	s_wait_loadcnt_dscnt 0x200
	v_mul_f64_e32 v[69:70], v[63:64], v[10:11]
	v_mul_f64_e32 v[10:11], v[65:66], v[10:11]
	v_add_f64_e32 v[59:60], v[2:3], v[59:60]
	v_add_f64_e32 v[6:7], v[6:7], v[61:62]
	ds_load_b128 v[55:58], v1 offset:576
	ds_load_b128 v[1:4], v1 offset:592
	v_fma_f64 v[65:66], v[65:66], v[8:9], v[69:70]
	v_fma_f64 v[8:9], v[63:64], v[8:9], -v[10:11]
	s_wait_loadcnt_dscnt 0x101
	v_mul_f64_e32 v[61:62], v[55:56], v[97:98]
	v_mul_f64_e32 v[73:74], v[57:58], v[97:98]
	v_add_f64_e32 v[10:11], v[59:60], v[71:72]
	v_add_f64_e32 v[6:7], v[6:7], v[67:68]
	s_wait_loadcnt_dscnt 0x0
	v_mul_f64_e32 v[59:60], v[1:2], v[53:54]
	v_mul_f64_e32 v[53:54], v[3:4], v[53:54]
	v_fma_f64 v[57:58], v[57:58], v[95:96], v[61:62]
	v_fma_f64 v[55:56], v[55:56], v[95:96], -v[73:74]
	v_add_f64_e32 v[8:9], v[10:11], v[8:9]
	v_add_f64_e32 v[6:7], v[6:7], v[65:66]
	v_fma_f64 v[3:4], v[3:4], v[51:52], v[59:60]
	v_fma_f64 v[1:2], v[1:2], v[51:52], -v[53:54]
	s_delay_alu instid0(VALU_DEP_4) | instskip(NEXT) | instid1(VALU_DEP_4)
	v_add_f64_e32 v[8:9], v[8:9], v[55:56]
	v_add_f64_e32 v[6:7], v[6:7], v[57:58]
	s_delay_alu instid0(VALU_DEP_2) | instskip(NEXT) | instid1(VALU_DEP_2)
	v_add_f64_e32 v[1:2], v[8:9], v[1:2]
	v_add_f64_e32 v[3:4], v[6:7], v[3:4]
	s_delay_alu instid0(VALU_DEP_2) | instskip(NEXT) | instid1(VALU_DEP_2)
	v_add_f64_e64 v[1:2], v[91:92], -v[1:2]
	v_add_f64_e64 v[3:4], v[93:94], -v[3:4]
	scratch_store_b128 off, v[1:4], off offset:112
	v_cmpx_lt_u32_e32 5, v0
	s_cbranch_execz .LBB18_117
; %bb.116:
	scratch_load_b128 v[1:4], off, s4
	v_mov_b32_e32 v6, 0
	s_delay_alu instid0(VALU_DEP_1)
	v_dual_mov_b32 v7, v6 :: v_dual_mov_b32 v8, v6
	v_mov_b32_e32 v9, v6
	scratch_store_b128 off, v[6:9], off offset:96
	s_wait_loadcnt 0x0
	ds_store_b128 v5, v[1:4]
.LBB18_117:
	s_wait_alu 0xfffe
	s_or_b32 exec_lo, exec_lo, s0
	s_wait_storecnt_dscnt 0x0
	s_barrier_signal -1
	s_barrier_wait -1
	global_inv scope:SCOPE_SE
	s_clause 0x7
	scratch_load_b128 v[6:9], off, off offset:112
	scratch_load_b128 v[51:54], off, off offset:128
	;; [unrolled: 1-line block ×8, first 2 shown]
	v_mov_b32_e32 v1, 0
	s_mov_b32 s0, exec_lo
	ds_load_b128 v[79:82], v1 offset:400
	s_clause 0x1
	scratch_load_b128 v[83:86], off, off offset:240
	scratch_load_b128 v[87:90], off, off offset:96
	ds_load_b128 v[91:94], v1 offset:416
	ds_load_b128 v[99:102], v1 offset:448
	s_wait_loadcnt_dscnt 0x902
	v_mul_f64_e32 v[2:3], v[81:82], v[8:9]
	v_mul_f64_e32 v[95:96], v[79:80], v[8:9]
	scratch_load_b128 v[8:11], off, off offset:256
	v_fma_f64 v[2:3], v[79:80], v[6:7], -v[2:3]
	v_fma_f64 v[6:7], v[81:82], v[6:7], v[95:96]
	ds_load_b128 v[79:82], v1 offset:432
	s_wait_loadcnt_dscnt 0x902
	v_mul_f64_e32 v[103:104], v[91:92], v[53:54]
	v_mul_f64_e32 v[53:54], v[93:94], v[53:54]
	scratch_load_b128 v[95:98], off, off offset:272
	s_wait_loadcnt_dscnt 0x900
	v_mul_f64_e32 v[105:106], v[79:80], v[57:58]
	v_mul_f64_e32 v[57:58], v[81:82], v[57:58]
	v_add_f64_e32 v[2:3], 0, v[2:3]
	v_add_f64_e32 v[6:7], 0, v[6:7]
	v_fma_f64 v[93:94], v[93:94], v[51:52], v[103:104]
	v_fma_f64 v[91:92], v[91:92], v[51:52], -v[53:54]
	scratch_load_b128 v[51:54], off, off offset:288
	v_fma_f64 v[105:106], v[81:82], v[55:56], v[105:106]
	v_fma_f64 v[107:108], v[79:80], v[55:56], -v[57:58]
	ds_load_b128 v[55:58], v1 offset:464
	s_wait_loadcnt 0x9
	v_mul_f64_e32 v[103:104], v[99:100], v[61:62]
	v_mul_f64_e32 v[61:62], v[101:102], v[61:62]
	scratch_load_b128 v[79:82], off, off offset:304
	v_add_f64_e32 v[6:7], v[6:7], v[93:94]
	v_add_f64_e32 v[2:3], v[2:3], v[91:92]
	ds_load_b128 v[91:94], v1 offset:480
	s_wait_loadcnt_dscnt 0x901
	v_mul_f64_e32 v[109:110], v[55:56], v[65:66]
	v_mul_f64_e32 v[65:66], v[57:58], v[65:66]
	v_fma_f64 v[101:102], v[101:102], v[59:60], v[103:104]
	v_fma_f64 v[59:60], v[99:100], v[59:60], -v[61:62]
	s_wait_loadcnt_dscnt 0x800
	v_mul_f64_e32 v[99:100], v[91:92], v[69:70]
	v_mul_f64_e32 v[69:70], v[93:94], v[69:70]
	v_add_f64_e32 v[6:7], v[6:7], v[105:106]
	v_add_f64_e32 v[2:3], v[2:3], v[107:108]
	v_fma_f64 v[103:104], v[57:58], v[63:64], v[109:110]
	v_fma_f64 v[63:64], v[55:56], v[63:64], -v[65:66]
	v_fma_f64 v[93:94], v[93:94], v[67:68], v[99:100]
	v_fma_f64 v[67:68], v[91:92], v[67:68], -v[69:70]
	v_add_f64_e32 v[6:7], v[6:7], v[101:102]
	v_add_f64_e32 v[2:3], v[2:3], v[59:60]
	ds_load_b128 v[55:58], v1 offset:496
	ds_load_b128 v[59:62], v1 offset:512
	s_wait_loadcnt_dscnt 0x701
	v_mul_f64_e32 v[65:66], v[55:56], v[73:74]
	v_mul_f64_e32 v[73:74], v[57:58], v[73:74]
	s_wait_loadcnt_dscnt 0x600
	v_mul_f64_e32 v[69:70], v[59:60], v[77:78]
	v_mul_f64_e32 v[77:78], v[61:62], v[77:78]
	v_add_f64_e32 v[6:7], v[6:7], v[103:104]
	v_add_f64_e32 v[2:3], v[2:3], v[63:64]
	v_fma_f64 v[91:92], v[57:58], v[71:72], v[65:66]
	v_fma_f64 v[71:72], v[55:56], v[71:72], -v[73:74]
	ds_load_b128 v[55:58], v1 offset:528
	ds_load_b128 v[63:66], v1 offset:544
	v_fma_f64 v[61:62], v[61:62], v[75:76], v[69:70]
	v_fma_f64 v[59:60], v[59:60], v[75:76], -v[77:78]
	v_add_f64_e32 v[6:7], v[6:7], v[93:94]
	v_add_f64_e32 v[2:3], v[2:3], v[67:68]
	s_wait_loadcnt_dscnt 0x501
	v_mul_f64_e32 v[67:68], v[55:56], v[85:86]
	v_mul_f64_e32 v[73:74], v[57:58], v[85:86]
	s_delay_alu instid0(VALU_DEP_4) | instskip(NEXT) | instid1(VALU_DEP_4)
	v_add_f64_e32 v[6:7], v[6:7], v[91:92]
	v_add_f64_e32 v[2:3], v[2:3], v[71:72]
	s_delay_alu instid0(VALU_DEP_4) | instskip(NEXT) | instid1(VALU_DEP_4)
	v_fma_f64 v[67:68], v[57:58], v[83:84], v[67:68]
	v_fma_f64 v[71:72], v[55:56], v[83:84], -v[73:74]
	s_wait_loadcnt_dscnt 0x300
	v_mul_f64_e32 v[69:70], v[63:64], v[10:11]
	v_mul_f64_e32 v[10:11], v[65:66], v[10:11]
	v_add_f64_e32 v[6:7], v[6:7], v[61:62]
	v_add_f64_e32 v[2:3], v[2:3], v[59:60]
	ds_load_b128 v[55:58], v1 offset:560
	ds_load_b128 v[59:62], v1 offset:576
	v_fma_f64 v[65:66], v[65:66], v[8:9], v[69:70]
	v_fma_f64 v[8:9], v[63:64], v[8:9], -v[10:11]
	s_wait_loadcnt_dscnt 0x201
	v_mul_f64_e32 v[73:74], v[55:56], v[97:98]
	v_mul_f64_e32 v[75:76], v[57:58], v[97:98]
	v_add_f64_e32 v[6:7], v[6:7], v[67:68]
	v_add_f64_e32 v[2:3], v[2:3], v[71:72]
	s_wait_loadcnt_dscnt 0x100
	v_mul_f64_e32 v[10:11], v[59:60], v[53:54]
	v_mul_f64_e32 v[53:54], v[61:62], v[53:54]
	v_fma_f64 v[57:58], v[57:58], v[95:96], v[73:74]
	v_fma_f64 v[55:56], v[55:56], v[95:96], -v[75:76]
	v_add_f64_e32 v[63:64], v[6:7], v[65:66]
	v_add_f64_e32 v[2:3], v[2:3], v[8:9]
	ds_load_b128 v[6:9], v1 offset:592
	v_fma_f64 v[10:11], v[61:62], v[51:52], v[10:11]
	v_fma_f64 v[51:52], v[59:60], v[51:52], -v[53:54]
	s_wait_loadcnt_dscnt 0x0
	v_mul_f64_e32 v[65:66], v[6:7], v[81:82]
	v_mul_f64_e32 v[67:68], v[8:9], v[81:82]
	v_add_f64_e32 v[53:54], v[63:64], v[57:58]
	v_add_f64_e32 v[2:3], v[2:3], v[55:56]
	s_delay_alu instid0(VALU_DEP_4) | instskip(NEXT) | instid1(VALU_DEP_4)
	v_fma_f64 v[8:9], v[8:9], v[79:80], v[65:66]
	v_fma_f64 v[6:7], v[6:7], v[79:80], -v[67:68]
	s_delay_alu instid0(VALU_DEP_4) | instskip(NEXT) | instid1(VALU_DEP_4)
	v_add_f64_e32 v[10:11], v[53:54], v[10:11]
	v_add_f64_e32 v[2:3], v[2:3], v[51:52]
	s_delay_alu instid0(VALU_DEP_2) | instskip(NEXT) | instid1(VALU_DEP_2)
	v_add_f64_e32 v[8:9], v[10:11], v[8:9]
	v_add_f64_e32 v[2:3], v[2:3], v[6:7]
	s_delay_alu instid0(VALU_DEP_2) | instskip(NEXT) | instid1(VALU_DEP_2)
	v_add_f64_e64 v[8:9], v[89:90], -v[8:9]
	v_add_f64_e64 v[6:7], v[87:88], -v[2:3]
	scratch_store_b128 off, v[6:9], off offset:96
	v_cmpx_lt_u32_e32 4, v0
	s_cbranch_execz .LBB18_119
; %bb.118:
	scratch_load_b128 v[6:9], off, s9
	v_dual_mov_b32 v2, v1 :: v_dual_mov_b32 v3, v1
	v_mov_b32_e32 v4, v1
	scratch_store_b128 off, v[1:4], off offset:80
	s_wait_loadcnt 0x0
	ds_store_b128 v5, v[6:9]
.LBB18_119:
	s_wait_alu 0xfffe
	s_or_b32 exec_lo, exec_lo, s0
	s_wait_storecnt_dscnt 0x0
	s_barrier_signal -1
	s_barrier_wait -1
	global_inv scope:SCOPE_SE
	s_clause 0x8
	scratch_load_b128 v[6:9], off, off offset:96
	scratch_load_b128 v[51:54], off, off offset:112
	;; [unrolled: 1-line block ×9, first 2 shown]
	ds_load_b128 v[83:86], v1 offset:384
	ds_load_b128 v[87:90], v1 offset:400
	scratch_load_b128 v[91:94], off, off offset:80
	s_mov_b32 s0, exec_lo
	ds_load_b128 v[99:102], v1 offset:432
	s_wait_loadcnt_dscnt 0x902
	v_mul_f64_e32 v[2:3], v[85:86], v[8:9]
	v_mul_f64_e32 v[95:96], v[83:84], v[8:9]
	scratch_load_b128 v[8:11], off, off offset:240
	s_wait_loadcnt_dscnt 0x901
	v_mul_f64_e32 v[103:104], v[87:88], v[53:54]
	v_mul_f64_e32 v[53:54], v[89:90], v[53:54]
	v_fma_f64 v[2:3], v[83:84], v[6:7], -v[2:3]
	v_fma_f64 v[6:7], v[85:86], v[6:7], v[95:96]
	ds_load_b128 v[83:86], v1 offset:416
	scratch_load_b128 v[95:98], off, off offset:256
	v_fma_f64 v[89:90], v[89:90], v[51:52], v[103:104]
	v_fma_f64 v[87:88], v[87:88], v[51:52], -v[53:54]
	scratch_load_b128 v[51:54], off, off offset:272
	s_wait_loadcnt_dscnt 0x901
	v_mul_f64_e32 v[103:104], v[99:100], v[61:62]
	v_mul_f64_e32 v[61:62], v[101:102], v[61:62]
	s_wait_dscnt 0x0
	v_mul_f64_e32 v[105:106], v[83:84], v[57:58]
	v_mul_f64_e32 v[57:58], v[85:86], v[57:58]
	v_add_f64_e32 v[2:3], 0, v[2:3]
	v_add_f64_e32 v[6:7], 0, v[6:7]
	v_fma_f64 v[101:102], v[101:102], v[59:60], v[103:104]
	v_fma_f64 v[99:100], v[99:100], v[59:60], -v[61:62]
	scratch_load_b128 v[59:62], off, off offset:304
	v_fma_f64 v[105:106], v[85:86], v[55:56], v[105:106]
	v_fma_f64 v[107:108], v[83:84], v[55:56], -v[57:58]
	ds_load_b128 v[55:58], v1 offset:448
	scratch_load_b128 v[83:86], off, off offset:288
	v_add_f64_e32 v[2:3], v[2:3], v[87:88]
	v_add_f64_e32 v[6:7], v[6:7], v[89:90]
	ds_load_b128 v[87:90], v1 offset:464
	s_wait_loadcnt_dscnt 0xa01
	v_mul_f64_e32 v[109:110], v[55:56], v[65:66]
	v_mul_f64_e32 v[65:66], v[57:58], v[65:66]
	s_wait_loadcnt_dscnt 0x900
	v_mul_f64_e32 v[103:104], v[87:88], v[69:70]
	v_mul_f64_e32 v[69:70], v[89:90], v[69:70]
	v_add_f64_e32 v[2:3], v[2:3], v[107:108]
	v_add_f64_e32 v[6:7], v[6:7], v[105:106]
	v_fma_f64 v[105:106], v[57:58], v[63:64], v[109:110]
	v_fma_f64 v[107:108], v[55:56], v[63:64], -v[65:66]
	ds_load_b128 v[55:58], v1 offset:480
	ds_load_b128 v[63:66], v1 offset:496
	v_fma_f64 v[89:90], v[89:90], v[67:68], v[103:104]
	v_fma_f64 v[67:68], v[87:88], v[67:68], -v[69:70]
	s_wait_loadcnt_dscnt 0x700
	v_mul_f64_e32 v[87:88], v[63:64], v[77:78]
	v_mul_f64_e32 v[77:78], v[65:66], v[77:78]
	v_add_f64_e32 v[2:3], v[2:3], v[99:100]
	v_add_f64_e32 v[6:7], v[6:7], v[101:102]
	v_mul_f64_e32 v[99:100], v[55:56], v[73:74]
	v_mul_f64_e32 v[73:74], v[57:58], v[73:74]
	v_fma_f64 v[65:66], v[65:66], v[75:76], v[87:88]
	v_fma_f64 v[63:64], v[63:64], v[75:76], -v[77:78]
	v_add_f64_e32 v[2:3], v[2:3], v[107:108]
	v_add_f64_e32 v[6:7], v[6:7], v[105:106]
	v_fma_f64 v[99:100], v[57:58], v[71:72], v[99:100]
	v_fma_f64 v[71:72], v[55:56], v[71:72], -v[73:74]
	s_delay_alu instid0(VALU_DEP_4) | instskip(NEXT) | instid1(VALU_DEP_4)
	v_add_f64_e32 v[2:3], v[2:3], v[67:68]
	v_add_f64_e32 v[6:7], v[6:7], v[89:90]
	ds_load_b128 v[55:58], v1 offset:512
	ds_load_b128 v[67:70], v1 offset:528
	s_wait_loadcnt_dscnt 0x601
	v_mul_f64_e32 v[73:74], v[55:56], v[81:82]
	v_mul_f64_e32 v[81:82], v[57:58], v[81:82]
	v_add_f64_e32 v[2:3], v[2:3], v[71:72]
	v_add_f64_e32 v[6:7], v[6:7], v[99:100]
	s_wait_loadcnt_dscnt 0x400
	v_mul_f64_e32 v[71:72], v[67:68], v[10:11]
	v_mul_f64_e32 v[10:11], v[69:70], v[10:11]
	v_fma_f64 v[73:74], v[57:58], v[79:80], v[73:74]
	v_fma_f64 v[75:76], v[55:56], v[79:80], -v[81:82]
	v_add_f64_e32 v[2:3], v[2:3], v[63:64]
	v_add_f64_e32 v[6:7], v[6:7], v[65:66]
	ds_load_b128 v[55:58], v1 offset:544
	ds_load_b128 v[63:66], v1 offset:560
	v_fma_f64 v[69:70], v[69:70], v[8:9], v[71:72]
	v_fma_f64 v[8:9], v[67:68], v[8:9], -v[10:11]
	s_wait_loadcnt_dscnt 0x301
	v_mul_f64_e32 v[77:78], v[55:56], v[97:98]
	v_mul_f64_e32 v[79:80], v[57:58], v[97:98]
	s_wait_loadcnt_dscnt 0x200
	v_mul_f64_e32 v[10:11], v[63:64], v[53:54]
	v_mul_f64_e32 v[53:54], v[65:66], v[53:54]
	v_add_f64_e32 v[2:3], v[2:3], v[75:76]
	v_add_f64_e32 v[6:7], v[6:7], v[73:74]
	v_fma_f64 v[57:58], v[57:58], v[95:96], v[77:78]
	v_fma_f64 v[55:56], v[55:56], v[95:96], -v[79:80]
	v_fma_f64 v[10:11], v[65:66], v[51:52], v[10:11]
	v_fma_f64 v[51:52], v[63:64], v[51:52], -v[53:54]
	v_add_f64_e32 v[67:68], v[2:3], v[8:9]
	v_add_f64_e32 v[69:70], v[6:7], v[69:70]
	ds_load_b128 v[6:9], v1 offset:576
	ds_load_b128 v[1:4], v1 offset:592
	s_wait_loadcnt_dscnt 0x1
	v_mul_f64_e32 v[71:72], v[6:7], v[85:86]
	v_mul_f64_e32 v[73:74], v[8:9], v[85:86]
	v_add_f64_e32 v[53:54], v[67:68], v[55:56]
	v_add_f64_e32 v[55:56], v[69:70], v[57:58]
	s_wait_dscnt 0x0
	v_mul_f64_e32 v[57:58], v[1:2], v[61:62]
	v_mul_f64_e32 v[61:62], v[3:4], v[61:62]
	v_fma_f64 v[8:9], v[8:9], v[83:84], v[71:72]
	v_fma_f64 v[6:7], v[6:7], v[83:84], -v[73:74]
	v_add_f64_e32 v[51:52], v[53:54], v[51:52]
	v_add_f64_e32 v[10:11], v[55:56], v[10:11]
	v_fma_f64 v[3:4], v[3:4], v[59:60], v[57:58]
	v_fma_f64 v[1:2], v[1:2], v[59:60], -v[61:62]
	s_delay_alu instid0(VALU_DEP_4) | instskip(NEXT) | instid1(VALU_DEP_4)
	v_add_f64_e32 v[6:7], v[51:52], v[6:7]
	v_add_f64_e32 v[8:9], v[10:11], v[8:9]
	s_delay_alu instid0(VALU_DEP_2) | instskip(NEXT) | instid1(VALU_DEP_2)
	v_add_f64_e32 v[1:2], v[6:7], v[1:2]
	v_add_f64_e32 v[3:4], v[8:9], v[3:4]
	s_delay_alu instid0(VALU_DEP_2) | instskip(NEXT) | instid1(VALU_DEP_2)
	v_add_f64_e64 v[1:2], v[91:92], -v[1:2]
	v_add_f64_e64 v[3:4], v[93:94], -v[3:4]
	scratch_store_b128 off, v[1:4], off offset:80
	v_cmpx_lt_u32_e32 3, v0
	s_cbranch_execz .LBB18_121
; %bb.120:
	scratch_load_b128 v[1:4], off, s8
	v_mov_b32_e32 v6, 0
	s_delay_alu instid0(VALU_DEP_1)
	v_dual_mov_b32 v7, v6 :: v_dual_mov_b32 v8, v6
	v_mov_b32_e32 v9, v6
	scratch_store_b128 off, v[6:9], off offset:64
	s_wait_loadcnt 0x0
	ds_store_b128 v5, v[1:4]
.LBB18_121:
	s_wait_alu 0xfffe
	s_or_b32 exec_lo, exec_lo, s0
	s_wait_storecnt_dscnt 0x0
	s_barrier_signal -1
	s_barrier_wait -1
	global_inv scope:SCOPE_SE
	s_clause 0x7
	scratch_load_b128 v[6:9], off, off offset:80
	scratch_load_b128 v[51:54], off, off offset:96
	;; [unrolled: 1-line block ×8, first 2 shown]
	v_mov_b32_e32 v1, 0
	s_mov_b32 s0, exec_lo
	ds_load_b128 v[79:82], v1 offset:368
	s_clause 0x1
	scratch_load_b128 v[83:86], off, off offset:208
	scratch_load_b128 v[87:90], off, off offset:64
	ds_load_b128 v[91:94], v1 offset:384
	ds_load_b128 v[99:102], v1 offset:416
	s_wait_loadcnt_dscnt 0x902
	v_mul_f64_e32 v[2:3], v[81:82], v[8:9]
	v_mul_f64_e32 v[95:96], v[79:80], v[8:9]
	scratch_load_b128 v[8:11], off, off offset:224
	v_fma_f64 v[2:3], v[79:80], v[6:7], -v[2:3]
	v_fma_f64 v[6:7], v[81:82], v[6:7], v[95:96]
	ds_load_b128 v[79:82], v1 offset:400
	s_wait_loadcnt_dscnt 0x902
	v_mul_f64_e32 v[103:104], v[91:92], v[53:54]
	v_mul_f64_e32 v[53:54], v[93:94], v[53:54]
	scratch_load_b128 v[95:98], off, off offset:240
	s_wait_loadcnt_dscnt 0x900
	v_mul_f64_e32 v[105:106], v[79:80], v[57:58]
	v_mul_f64_e32 v[57:58], v[81:82], v[57:58]
	v_add_f64_e32 v[2:3], 0, v[2:3]
	v_add_f64_e32 v[6:7], 0, v[6:7]
	v_fma_f64 v[93:94], v[93:94], v[51:52], v[103:104]
	v_fma_f64 v[91:92], v[91:92], v[51:52], -v[53:54]
	scratch_load_b128 v[51:54], off, off offset:256
	v_fma_f64 v[105:106], v[81:82], v[55:56], v[105:106]
	v_fma_f64 v[107:108], v[79:80], v[55:56], -v[57:58]
	ds_load_b128 v[55:58], v1 offset:432
	s_wait_loadcnt 0x9
	v_mul_f64_e32 v[103:104], v[99:100], v[61:62]
	v_mul_f64_e32 v[61:62], v[101:102], v[61:62]
	scratch_load_b128 v[79:82], off, off offset:272
	v_add_f64_e32 v[6:7], v[6:7], v[93:94]
	v_add_f64_e32 v[2:3], v[2:3], v[91:92]
	ds_load_b128 v[91:94], v1 offset:448
	s_wait_loadcnt_dscnt 0x901
	v_mul_f64_e32 v[109:110], v[55:56], v[65:66]
	v_mul_f64_e32 v[65:66], v[57:58], v[65:66]
	v_fma_f64 v[101:102], v[101:102], v[59:60], v[103:104]
	v_fma_f64 v[99:100], v[99:100], v[59:60], -v[61:62]
	scratch_load_b128 v[59:62], off, off offset:288
	v_add_f64_e32 v[6:7], v[6:7], v[105:106]
	v_add_f64_e32 v[2:3], v[2:3], v[107:108]
	v_fma_f64 v[105:106], v[57:58], v[63:64], v[109:110]
	v_fma_f64 v[107:108], v[55:56], v[63:64], -v[65:66]
	ds_load_b128 v[55:58], v1 offset:464
	s_wait_loadcnt_dscnt 0x901
	v_mul_f64_e32 v[103:104], v[91:92], v[69:70]
	v_mul_f64_e32 v[69:70], v[93:94], v[69:70]
	scratch_load_b128 v[63:66], off, off offset:304
	s_wait_loadcnt_dscnt 0x900
	v_mul_f64_e32 v[109:110], v[55:56], v[73:74]
	v_mul_f64_e32 v[73:74], v[57:58], v[73:74]
	v_add_f64_e32 v[6:7], v[6:7], v[101:102]
	v_add_f64_e32 v[2:3], v[2:3], v[99:100]
	ds_load_b128 v[99:102], v1 offset:480
	v_fma_f64 v[93:94], v[93:94], v[67:68], v[103:104]
	v_fma_f64 v[67:68], v[91:92], v[67:68], -v[69:70]
	s_wait_loadcnt_dscnt 0x800
	v_mul_f64_e32 v[91:92], v[99:100], v[77:78]
	v_mul_f64_e32 v[77:78], v[101:102], v[77:78]
	v_fma_f64 v[103:104], v[57:58], v[71:72], v[109:110]
	v_fma_f64 v[71:72], v[55:56], v[71:72], -v[73:74]
	v_add_f64_e32 v[6:7], v[6:7], v[105:106]
	v_add_f64_e32 v[2:3], v[2:3], v[107:108]
	v_fma_f64 v[91:92], v[101:102], v[75:76], v[91:92]
	v_fma_f64 v[75:76], v[99:100], v[75:76], -v[77:78]
	s_delay_alu instid0(VALU_DEP_4) | instskip(NEXT) | instid1(VALU_DEP_4)
	v_add_f64_e32 v[6:7], v[6:7], v[93:94]
	v_add_f64_e32 v[2:3], v[2:3], v[67:68]
	ds_load_b128 v[55:58], v1 offset:496
	ds_load_b128 v[67:70], v1 offset:512
	s_wait_loadcnt_dscnt 0x701
	v_mul_f64_e32 v[73:74], v[55:56], v[85:86]
	v_mul_f64_e32 v[85:86], v[57:58], v[85:86]
	v_add_f64_e32 v[6:7], v[6:7], v[103:104]
	v_add_f64_e32 v[2:3], v[2:3], v[71:72]
	s_wait_loadcnt_dscnt 0x500
	v_mul_f64_e32 v[77:78], v[67:68], v[10:11]
	v_mul_f64_e32 v[10:11], v[69:70], v[10:11]
	v_fma_f64 v[93:94], v[57:58], v[83:84], v[73:74]
	v_fma_f64 v[83:84], v[55:56], v[83:84], -v[85:86]
	ds_load_b128 v[55:58], v1 offset:528
	ds_load_b128 v[71:74], v1 offset:544
	v_add_f64_e32 v[6:7], v[6:7], v[91:92]
	v_add_f64_e32 v[2:3], v[2:3], v[75:76]
	v_fma_f64 v[69:70], v[69:70], v[8:9], v[77:78]
	v_fma_f64 v[8:9], v[67:68], v[8:9], -v[10:11]
	s_wait_loadcnt_dscnt 0x401
	v_mul_f64_e32 v[75:76], v[55:56], v[97:98]
	v_mul_f64_e32 v[85:86], v[57:58], v[97:98]
	v_add_f64_e32 v[6:7], v[6:7], v[93:94]
	v_add_f64_e32 v[2:3], v[2:3], v[83:84]
	s_wait_loadcnt_dscnt 0x300
	v_mul_f64_e32 v[10:11], v[71:72], v[53:54]
	v_mul_f64_e32 v[67:68], v[73:74], v[53:54]
	v_fma_f64 v[57:58], v[57:58], v[95:96], v[75:76]
	v_fma_f64 v[75:76], v[55:56], v[95:96], -v[85:86]
	v_add_f64_e32 v[69:70], v[6:7], v[69:70]
	v_add_f64_e32 v[2:3], v[2:3], v[8:9]
	ds_load_b128 v[6:9], v1 offset:560
	ds_load_b128 v[53:56], v1 offset:576
	v_fma_f64 v[10:11], v[73:74], v[51:52], v[10:11]
	v_fma_f64 v[51:52], v[71:72], v[51:52], -v[67:68]
	s_wait_loadcnt_dscnt 0x201
	v_mul_f64_e32 v[77:78], v[6:7], v[81:82]
	v_mul_f64_e32 v[81:82], v[8:9], v[81:82]
	v_add_f64_e32 v[57:58], v[69:70], v[57:58]
	v_add_f64_e32 v[2:3], v[2:3], v[75:76]
	s_wait_loadcnt_dscnt 0x100
	v_mul_f64_e32 v[67:68], v[53:54], v[61:62]
	v_mul_f64_e32 v[61:62], v[55:56], v[61:62]
	v_fma_f64 v[69:70], v[8:9], v[79:80], v[77:78]
	v_fma_f64 v[71:72], v[6:7], v[79:80], -v[81:82]
	ds_load_b128 v[6:9], v1 offset:592
	v_add_f64_e32 v[10:11], v[57:58], v[10:11]
	v_add_f64_e32 v[2:3], v[2:3], v[51:52]
	v_fma_f64 v[55:56], v[55:56], v[59:60], v[67:68]
	v_fma_f64 v[53:54], v[53:54], v[59:60], -v[61:62]
	s_wait_loadcnt_dscnt 0x0
	v_mul_f64_e32 v[51:52], v[6:7], v[65:66]
	v_mul_f64_e32 v[57:58], v[8:9], v[65:66]
	v_add_f64_e32 v[10:11], v[10:11], v[69:70]
	v_add_f64_e32 v[2:3], v[2:3], v[71:72]
	s_delay_alu instid0(VALU_DEP_4) | instskip(NEXT) | instid1(VALU_DEP_4)
	v_fma_f64 v[8:9], v[8:9], v[63:64], v[51:52]
	v_fma_f64 v[6:7], v[6:7], v[63:64], -v[57:58]
	s_delay_alu instid0(VALU_DEP_4) | instskip(NEXT) | instid1(VALU_DEP_4)
	v_add_f64_e32 v[10:11], v[10:11], v[55:56]
	v_add_f64_e32 v[2:3], v[2:3], v[53:54]
	s_delay_alu instid0(VALU_DEP_2) | instskip(NEXT) | instid1(VALU_DEP_2)
	v_add_f64_e32 v[8:9], v[10:11], v[8:9]
	v_add_f64_e32 v[2:3], v[2:3], v[6:7]
	s_delay_alu instid0(VALU_DEP_2) | instskip(NEXT) | instid1(VALU_DEP_2)
	v_add_f64_e64 v[8:9], v[89:90], -v[8:9]
	v_add_f64_e64 v[6:7], v[87:88], -v[2:3]
	scratch_store_b128 off, v[6:9], off offset:64
	v_cmpx_lt_u32_e32 2, v0
	s_cbranch_execz .LBB18_123
; %bb.122:
	scratch_load_b128 v[6:9], off, s11
	v_dual_mov_b32 v2, v1 :: v_dual_mov_b32 v3, v1
	v_mov_b32_e32 v4, v1
	scratch_store_b128 off, v[1:4], off offset:48
	s_wait_loadcnt 0x0
	ds_store_b128 v5, v[6:9]
.LBB18_123:
	s_wait_alu 0xfffe
	s_or_b32 exec_lo, exec_lo, s0
	s_wait_storecnt_dscnt 0x0
	s_barrier_signal -1
	s_barrier_wait -1
	global_inv scope:SCOPE_SE
	s_clause 0x8
	scratch_load_b128 v[6:9], off, off offset:64
	scratch_load_b128 v[51:54], off, off offset:80
	;; [unrolled: 1-line block ×9, first 2 shown]
	ds_load_b128 v[83:86], v1 offset:352
	ds_load_b128 v[87:90], v1 offset:368
	scratch_load_b128 v[91:94], off, off offset:48
	s_mov_b32 s0, exec_lo
	ds_load_b128 v[99:102], v1 offset:400
	s_wait_loadcnt_dscnt 0x902
	v_mul_f64_e32 v[2:3], v[85:86], v[8:9]
	v_mul_f64_e32 v[95:96], v[83:84], v[8:9]
	scratch_load_b128 v[8:11], off, off offset:208
	s_wait_loadcnt_dscnt 0x901
	v_mul_f64_e32 v[103:104], v[87:88], v[53:54]
	v_mul_f64_e32 v[53:54], v[89:90], v[53:54]
	v_fma_f64 v[2:3], v[83:84], v[6:7], -v[2:3]
	v_fma_f64 v[6:7], v[85:86], v[6:7], v[95:96]
	ds_load_b128 v[83:86], v1 offset:384
	scratch_load_b128 v[95:98], off, off offset:224
	v_fma_f64 v[89:90], v[89:90], v[51:52], v[103:104]
	v_fma_f64 v[87:88], v[87:88], v[51:52], -v[53:54]
	scratch_load_b128 v[51:54], off, off offset:240
	s_wait_loadcnt_dscnt 0x901
	v_mul_f64_e32 v[103:104], v[99:100], v[61:62]
	v_mul_f64_e32 v[61:62], v[101:102], v[61:62]
	s_wait_dscnt 0x0
	v_mul_f64_e32 v[105:106], v[83:84], v[57:58]
	v_mul_f64_e32 v[57:58], v[85:86], v[57:58]
	v_add_f64_e32 v[2:3], 0, v[2:3]
	v_add_f64_e32 v[6:7], 0, v[6:7]
	v_fma_f64 v[101:102], v[101:102], v[59:60], v[103:104]
	v_fma_f64 v[99:100], v[99:100], v[59:60], -v[61:62]
	scratch_load_b128 v[59:62], off, off offset:272
	v_fma_f64 v[105:106], v[85:86], v[55:56], v[105:106]
	v_fma_f64 v[107:108], v[83:84], v[55:56], -v[57:58]
	ds_load_b128 v[55:58], v1 offset:416
	scratch_load_b128 v[83:86], off, off offset:256
	v_add_f64_e32 v[2:3], v[2:3], v[87:88]
	v_add_f64_e32 v[6:7], v[6:7], v[89:90]
	ds_load_b128 v[87:90], v1 offset:432
	s_wait_loadcnt_dscnt 0xa01
	v_mul_f64_e32 v[109:110], v[55:56], v[65:66]
	v_mul_f64_e32 v[65:66], v[57:58], v[65:66]
	s_wait_loadcnt_dscnt 0x900
	v_mul_f64_e32 v[103:104], v[87:88], v[69:70]
	v_mul_f64_e32 v[69:70], v[89:90], v[69:70]
	v_add_f64_e32 v[2:3], v[2:3], v[107:108]
	v_add_f64_e32 v[6:7], v[6:7], v[105:106]
	v_fma_f64 v[105:106], v[57:58], v[63:64], v[109:110]
	v_fma_f64 v[107:108], v[55:56], v[63:64], -v[65:66]
	ds_load_b128 v[55:58], v1 offset:448
	scratch_load_b128 v[63:66], off, off offset:288
	v_fma_f64 v[89:90], v[89:90], v[67:68], v[103:104]
	v_fma_f64 v[87:88], v[87:88], v[67:68], -v[69:70]
	scratch_load_b128 v[67:70], off, off offset:304
	v_add_f64_e32 v[2:3], v[2:3], v[99:100]
	v_add_f64_e32 v[6:7], v[6:7], v[101:102]
	ds_load_b128 v[99:102], v1 offset:464
	s_wait_loadcnt_dscnt 0xa01
	v_mul_f64_e32 v[109:110], v[55:56], v[73:74]
	v_mul_f64_e32 v[73:74], v[57:58], v[73:74]
	s_wait_loadcnt_dscnt 0x900
	v_mul_f64_e32 v[103:104], v[99:100], v[77:78]
	v_mul_f64_e32 v[77:78], v[101:102], v[77:78]
	v_add_f64_e32 v[2:3], v[2:3], v[107:108]
	v_add_f64_e32 v[6:7], v[6:7], v[105:106]
	v_fma_f64 v[105:106], v[57:58], v[71:72], v[109:110]
	v_fma_f64 v[107:108], v[55:56], v[71:72], -v[73:74]
	ds_load_b128 v[55:58], v1 offset:480
	ds_load_b128 v[71:74], v1 offset:496
	v_add_f64_e32 v[2:3], v[2:3], v[87:88]
	v_add_f64_e32 v[6:7], v[6:7], v[89:90]
	s_wait_loadcnt_dscnt 0x801
	v_mul_f64_e32 v[87:88], v[55:56], v[81:82]
	v_mul_f64_e32 v[81:82], v[57:58], v[81:82]
	v_fma_f64 v[89:90], v[101:102], v[75:76], v[103:104]
	v_fma_f64 v[75:76], v[99:100], v[75:76], -v[77:78]
	v_add_f64_e32 v[2:3], v[2:3], v[107:108]
	v_add_f64_e32 v[6:7], v[6:7], v[105:106]
	v_fma_f64 v[87:88], v[57:58], v[79:80], v[87:88]
	v_fma_f64 v[79:80], v[55:56], v[79:80], -v[81:82]
	s_wait_loadcnt_dscnt 0x600
	v_mul_f64_e32 v[99:100], v[71:72], v[10:11]
	v_mul_f64_e32 v[10:11], v[73:74], v[10:11]
	v_add_f64_e32 v[2:3], v[2:3], v[75:76]
	v_add_f64_e32 v[6:7], v[6:7], v[89:90]
	ds_load_b128 v[55:58], v1 offset:512
	ds_load_b128 v[75:78], v1 offset:528
	v_fma_f64 v[73:74], v[73:74], v[8:9], v[99:100]
	v_fma_f64 v[8:9], v[71:72], v[8:9], -v[10:11]
	s_wait_loadcnt_dscnt 0x501
	v_mul_f64_e32 v[81:82], v[55:56], v[97:98]
	v_mul_f64_e32 v[89:90], v[57:58], v[97:98]
	s_wait_loadcnt_dscnt 0x400
	v_mul_f64_e32 v[10:11], v[75:76], v[53:54]
	v_mul_f64_e32 v[71:72], v[77:78], v[53:54]
	v_add_f64_e32 v[2:3], v[2:3], v[79:80]
	v_add_f64_e32 v[6:7], v[6:7], v[87:88]
	v_fma_f64 v[57:58], v[57:58], v[95:96], v[81:82]
	v_fma_f64 v[79:80], v[55:56], v[95:96], -v[89:90]
	v_fma_f64 v[10:11], v[77:78], v[51:52], v[10:11]
	v_fma_f64 v[51:52], v[75:76], v[51:52], -v[71:72]
	v_add_f64_e32 v[2:3], v[2:3], v[8:9]
	v_add_f64_e32 v[73:74], v[6:7], v[73:74]
	ds_load_b128 v[6:9], v1 offset:544
	ds_load_b128 v[53:56], v1 offset:560
	s_wait_loadcnt_dscnt 0x201
	v_mul_f64_e32 v[81:82], v[6:7], v[85:86]
	v_mul_f64_e32 v[85:86], v[8:9], v[85:86]
	s_wait_dscnt 0x0
	v_mul_f64_e32 v[71:72], v[53:54], v[61:62]
	v_mul_f64_e32 v[61:62], v[55:56], v[61:62]
	v_add_f64_e32 v[2:3], v[2:3], v[79:80]
	v_add_f64_e32 v[57:58], v[73:74], v[57:58]
	v_fma_f64 v[73:74], v[8:9], v[83:84], v[81:82]
	v_fma_f64 v[75:76], v[6:7], v[83:84], -v[85:86]
	v_fma_f64 v[55:56], v[55:56], v[59:60], v[71:72]
	v_fma_f64 v[53:54], v[53:54], v[59:60], -v[61:62]
	v_add_f64_e32 v[51:52], v[2:3], v[51:52]
	v_add_f64_e32 v[10:11], v[57:58], v[10:11]
	ds_load_b128 v[6:9], v1 offset:576
	ds_load_b128 v[1:4], v1 offset:592
	s_wait_loadcnt_dscnt 0x101
	v_mul_f64_e32 v[57:58], v[6:7], v[65:66]
	v_mul_f64_e32 v[65:66], v[8:9], v[65:66]
	s_wait_loadcnt_dscnt 0x0
	v_mul_f64_e32 v[59:60], v[1:2], v[69:70]
	v_mul_f64_e32 v[61:62], v[3:4], v[69:70]
	v_add_f64_e32 v[51:52], v[51:52], v[75:76]
	v_add_f64_e32 v[10:11], v[10:11], v[73:74]
	v_fma_f64 v[8:9], v[8:9], v[63:64], v[57:58]
	v_fma_f64 v[6:7], v[6:7], v[63:64], -v[65:66]
	v_fma_f64 v[3:4], v[3:4], v[67:68], v[59:60]
	v_fma_f64 v[1:2], v[1:2], v[67:68], -v[61:62]
	v_add_f64_e32 v[51:52], v[51:52], v[53:54]
	v_add_f64_e32 v[10:11], v[10:11], v[55:56]
	s_delay_alu instid0(VALU_DEP_2) | instskip(NEXT) | instid1(VALU_DEP_2)
	v_add_f64_e32 v[6:7], v[51:52], v[6:7]
	v_add_f64_e32 v[8:9], v[10:11], v[8:9]
	s_delay_alu instid0(VALU_DEP_2) | instskip(NEXT) | instid1(VALU_DEP_2)
	;; [unrolled: 3-line block ×3, first 2 shown]
	v_add_f64_e64 v[1:2], v[91:92], -v[1:2]
	v_add_f64_e64 v[3:4], v[93:94], -v[3:4]
	scratch_store_b128 off, v[1:4], off offset:48
	v_cmpx_lt_u32_e32 1, v0
	s_cbranch_execz .LBB18_125
; %bb.124:
	scratch_load_b128 v[1:4], off, s13
	v_mov_b32_e32 v6, 0
	s_delay_alu instid0(VALU_DEP_1)
	v_dual_mov_b32 v7, v6 :: v_dual_mov_b32 v8, v6
	v_mov_b32_e32 v9, v6
	scratch_store_b128 off, v[6:9], off offset:32
	s_wait_loadcnt 0x0
	ds_store_b128 v5, v[1:4]
.LBB18_125:
	s_wait_alu 0xfffe
	s_or_b32 exec_lo, exec_lo, s0
	s_wait_storecnt_dscnt 0x0
	s_barrier_signal -1
	s_barrier_wait -1
	global_inv scope:SCOPE_SE
	s_clause 0x7
	scratch_load_b128 v[6:9], off, off offset:48
	scratch_load_b128 v[51:54], off, off offset:64
	;; [unrolled: 1-line block ×8, first 2 shown]
	v_mov_b32_e32 v1, 0
	s_mov_b32 s0, exec_lo
	ds_load_b128 v[79:82], v1 offset:336
	s_clause 0x1
	scratch_load_b128 v[83:86], off, off offset:176
	scratch_load_b128 v[87:90], off, off offset:32
	ds_load_b128 v[91:94], v1 offset:352
	ds_load_b128 v[99:102], v1 offset:384
	s_wait_loadcnt_dscnt 0x902
	v_mul_f64_e32 v[2:3], v[81:82], v[8:9]
	v_mul_f64_e32 v[95:96], v[79:80], v[8:9]
	scratch_load_b128 v[8:11], off, off offset:192
	v_fma_f64 v[2:3], v[79:80], v[6:7], -v[2:3]
	v_fma_f64 v[6:7], v[81:82], v[6:7], v[95:96]
	ds_load_b128 v[79:82], v1 offset:368
	s_wait_loadcnt_dscnt 0x902
	v_mul_f64_e32 v[103:104], v[91:92], v[53:54]
	v_mul_f64_e32 v[53:54], v[93:94], v[53:54]
	scratch_load_b128 v[95:98], off, off offset:208
	s_wait_loadcnt_dscnt 0x900
	v_mul_f64_e32 v[105:106], v[79:80], v[57:58]
	v_mul_f64_e32 v[57:58], v[81:82], v[57:58]
	v_add_f64_e32 v[2:3], 0, v[2:3]
	v_add_f64_e32 v[6:7], 0, v[6:7]
	v_fma_f64 v[93:94], v[93:94], v[51:52], v[103:104]
	v_fma_f64 v[91:92], v[91:92], v[51:52], -v[53:54]
	scratch_load_b128 v[51:54], off, off offset:224
	v_fma_f64 v[105:106], v[81:82], v[55:56], v[105:106]
	v_fma_f64 v[107:108], v[79:80], v[55:56], -v[57:58]
	ds_load_b128 v[55:58], v1 offset:400
	s_wait_loadcnt 0x9
	v_mul_f64_e32 v[103:104], v[99:100], v[61:62]
	v_mul_f64_e32 v[61:62], v[101:102], v[61:62]
	scratch_load_b128 v[79:82], off, off offset:240
	v_add_f64_e32 v[6:7], v[6:7], v[93:94]
	v_add_f64_e32 v[2:3], v[2:3], v[91:92]
	ds_load_b128 v[91:94], v1 offset:416
	s_wait_loadcnt_dscnt 0x901
	v_mul_f64_e32 v[109:110], v[55:56], v[65:66]
	v_mul_f64_e32 v[65:66], v[57:58], v[65:66]
	v_fma_f64 v[101:102], v[101:102], v[59:60], v[103:104]
	v_fma_f64 v[99:100], v[99:100], v[59:60], -v[61:62]
	scratch_load_b128 v[59:62], off, off offset:256
	v_add_f64_e32 v[6:7], v[6:7], v[105:106]
	v_add_f64_e32 v[2:3], v[2:3], v[107:108]
	v_fma_f64 v[105:106], v[57:58], v[63:64], v[109:110]
	v_fma_f64 v[107:108], v[55:56], v[63:64], -v[65:66]
	ds_load_b128 v[55:58], v1 offset:432
	s_wait_loadcnt_dscnt 0x901
	v_mul_f64_e32 v[103:104], v[91:92], v[69:70]
	v_mul_f64_e32 v[69:70], v[93:94], v[69:70]
	scratch_load_b128 v[63:66], off, off offset:272
	s_wait_loadcnt_dscnt 0x900
	v_mul_f64_e32 v[109:110], v[55:56], v[73:74]
	v_mul_f64_e32 v[73:74], v[57:58], v[73:74]
	v_add_f64_e32 v[6:7], v[6:7], v[101:102]
	v_add_f64_e32 v[2:3], v[2:3], v[99:100]
	ds_load_b128 v[99:102], v1 offset:448
	v_fma_f64 v[93:94], v[93:94], v[67:68], v[103:104]
	v_fma_f64 v[91:92], v[91:92], v[67:68], -v[69:70]
	scratch_load_b128 v[67:70], off, off offset:288
	v_add_f64_e32 v[6:7], v[6:7], v[105:106]
	v_add_f64_e32 v[2:3], v[2:3], v[107:108]
	v_fma_f64 v[105:106], v[57:58], v[71:72], v[109:110]
	v_fma_f64 v[107:108], v[55:56], v[71:72], -v[73:74]
	ds_load_b128 v[55:58], v1 offset:464
	s_wait_loadcnt_dscnt 0x901
	v_mul_f64_e32 v[103:104], v[99:100], v[77:78]
	v_mul_f64_e32 v[77:78], v[101:102], v[77:78]
	scratch_load_b128 v[71:74], off, off offset:304
	s_wait_loadcnt_dscnt 0x900
	v_mul_f64_e32 v[109:110], v[55:56], v[85:86]
	v_mul_f64_e32 v[85:86], v[57:58], v[85:86]
	v_add_f64_e32 v[6:7], v[6:7], v[93:94]
	v_add_f64_e32 v[2:3], v[2:3], v[91:92]
	ds_load_b128 v[91:94], v1 offset:480
	v_fma_f64 v[101:102], v[101:102], v[75:76], v[103:104]
	v_fma_f64 v[75:76], v[99:100], v[75:76], -v[77:78]
	v_fma_f64 v[103:104], v[57:58], v[83:84], v[109:110]
	v_fma_f64 v[83:84], v[55:56], v[83:84], -v[85:86]
	v_add_f64_e32 v[6:7], v[6:7], v[105:106]
	v_add_f64_e32 v[2:3], v[2:3], v[107:108]
	s_wait_loadcnt_dscnt 0x700
	v_mul_f64_e32 v[99:100], v[91:92], v[10:11]
	v_mul_f64_e32 v[10:11], v[93:94], v[10:11]
	s_delay_alu instid0(VALU_DEP_4) | instskip(NEXT) | instid1(VALU_DEP_4)
	v_add_f64_e32 v[6:7], v[6:7], v[101:102]
	v_add_f64_e32 v[2:3], v[2:3], v[75:76]
	ds_load_b128 v[55:58], v1 offset:496
	ds_load_b128 v[75:78], v1 offset:512
	v_fma_f64 v[93:94], v[93:94], v[8:9], v[99:100]
	v_fma_f64 v[8:9], v[91:92], v[8:9], -v[10:11]
	s_wait_loadcnt_dscnt 0x601
	v_mul_f64_e32 v[85:86], v[55:56], v[97:98]
	v_mul_f64_e32 v[97:98], v[57:58], v[97:98]
	v_add_f64_e32 v[6:7], v[6:7], v[103:104]
	v_add_f64_e32 v[2:3], v[2:3], v[83:84]
	s_wait_loadcnt_dscnt 0x500
	v_mul_f64_e32 v[10:11], v[75:76], v[53:54]
	v_mul_f64_e32 v[83:84], v[77:78], v[53:54]
	v_fma_f64 v[57:58], v[57:58], v[95:96], v[85:86]
	v_fma_f64 v[85:86], v[55:56], v[95:96], -v[97:98]
	v_add_f64_e32 v[91:92], v[6:7], v[93:94]
	v_add_f64_e32 v[2:3], v[2:3], v[8:9]
	ds_load_b128 v[6:9], v1 offset:528
	ds_load_b128 v[53:56], v1 offset:544
	v_fma_f64 v[10:11], v[77:78], v[51:52], v[10:11]
	v_fma_f64 v[51:52], v[75:76], v[51:52], -v[83:84]
	s_wait_loadcnt_dscnt 0x401
	v_mul_f64_e32 v[93:94], v[6:7], v[81:82]
	v_mul_f64_e32 v[81:82], v[8:9], v[81:82]
	v_add_f64_e32 v[57:58], v[91:92], v[57:58]
	v_add_f64_e32 v[2:3], v[2:3], v[85:86]
	s_wait_loadcnt_dscnt 0x300
	v_mul_f64_e32 v[83:84], v[53:54], v[61:62]
	v_mul_f64_e32 v[61:62], v[55:56], v[61:62]
	v_fma_f64 v[85:86], v[8:9], v[79:80], v[93:94]
	v_fma_f64 v[79:80], v[6:7], v[79:80], -v[81:82]
	ds_load_b128 v[6:9], v1 offset:560
	ds_load_b128 v[75:78], v1 offset:576
	v_add_f64_e32 v[10:11], v[57:58], v[10:11]
	v_add_f64_e32 v[2:3], v[2:3], v[51:52]
	v_fma_f64 v[55:56], v[55:56], v[59:60], v[83:84]
	v_fma_f64 v[53:54], v[53:54], v[59:60], -v[61:62]
	s_wait_loadcnt_dscnt 0x201
	v_mul_f64_e32 v[51:52], v[6:7], v[65:66]
	v_mul_f64_e32 v[57:58], v[8:9], v[65:66]
	s_wait_loadcnt_dscnt 0x100
	v_mul_f64_e32 v[59:60], v[75:76], v[69:70]
	v_mul_f64_e32 v[61:62], v[77:78], v[69:70]
	v_add_f64_e32 v[10:11], v[10:11], v[85:86]
	v_add_f64_e32 v[2:3], v[2:3], v[79:80]
	v_fma_f64 v[51:52], v[8:9], v[63:64], v[51:52]
	v_fma_f64 v[57:58], v[6:7], v[63:64], -v[57:58]
	ds_load_b128 v[6:9], v1 offset:592
	v_fma_f64 v[59:60], v[77:78], v[67:68], v[59:60]
	v_fma_f64 v[61:62], v[75:76], v[67:68], -v[61:62]
	v_add_f64_e32 v[10:11], v[10:11], v[55:56]
	v_add_f64_e32 v[2:3], v[2:3], v[53:54]
	s_wait_loadcnt_dscnt 0x0
	v_mul_f64_e32 v[53:54], v[6:7], v[73:74]
	v_mul_f64_e32 v[55:56], v[8:9], v[73:74]
	s_delay_alu instid0(VALU_DEP_4) | instskip(NEXT) | instid1(VALU_DEP_4)
	v_add_f64_e32 v[10:11], v[10:11], v[51:52]
	v_add_f64_e32 v[2:3], v[2:3], v[57:58]
	s_delay_alu instid0(VALU_DEP_4) | instskip(NEXT) | instid1(VALU_DEP_4)
	v_fma_f64 v[8:9], v[8:9], v[71:72], v[53:54]
	v_fma_f64 v[6:7], v[6:7], v[71:72], -v[55:56]
	s_delay_alu instid0(VALU_DEP_4) | instskip(NEXT) | instid1(VALU_DEP_4)
	v_add_f64_e32 v[10:11], v[10:11], v[59:60]
	v_add_f64_e32 v[2:3], v[2:3], v[61:62]
	s_delay_alu instid0(VALU_DEP_2) | instskip(NEXT) | instid1(VALU_DEP_2)
	v_add_f64_e32 v[8:9], v[10:11], v[8:9]
	v_add_f64_e32 v[2:3], v[2:3], v[6:7]
	s_delay_alu instid0(VALU_DEP_2) | instskip(NEXT) | instid1(VALU_DEP_2)
	v_add_f64_e64 v[8:9], v[89:90], -v[8:9]
	v_add_f64_e64 v[6:7], v[87:88], -v[2:3]
	scratch_store_b128 off, v[6:9], off offset:32
	v_cmpx_ne_u32_e32 0, v0
	s_cbranch_execz .LBB18_127
; %bb.126:
	scratch_load_b128 v[6:9], off, off offset:16
	v_dual_mov_b32 v2, v1 :: v_dual_mov_b32 v3, v1
	v_mov_b32_e32 v4, v1
	scratch_store_b128 off, v[1:4], off offset:16
	s_wait_loadcnt 0x0
	ds_store_b128 v5, v[6:9]
.LBB18_127:
	s_wait_alu 0xfffe
	s_or_b32 exec_lo, exec_lo, s0
	s_wait_storecnt_dscnt 0x0
	s_barrier_signal -1
	s_barrier_wait -1
	global_inv scope:SCOPE_SE
	s_clause 0x8
	scratch_load_b128 v[2:5], off, off offset:32
	scratch_load_b128 v[6:9], off, off offset:48
	;; [unrolled: 1-line block ×9, first 2 shown]
	ds_load_b128 v[79:82], v1 offset:320
	ds_load_b128 v[83:86], v1 offset:336
	s_clause 0x1
	scratch_load_b128 v[87:90], off, off offset:16
	scratch_load_b128 v[91:94], off, off offset:176
	s_and_b32 vcc_lo, exec_lo, s18
	s_wait_loadcnt_dscnt 0xa01
	v_mul_f64_e32 v[10:11], v[81:82], v[4:5]
	v_mul_f64_e32 v[4:5], v[79:80], v[4:5]
	s_wait_loadcnt_dscnt 0x900
	v_mul_f64_e32 v[95:96], v[83:84], v[8:9]
	v_mul_f64_e32 v[97:98], v[85:86], v[8:9]
	s_delay_alu instid0(VALU_DEP_4) | instskip(NEXT) | instid1(VALU_DEP_4)
	v_fma_f64 v[99:100], v[79:80], v[2:3], -v[10:11]
	v_fma_f64 v[101:102], v[81:82], v[2:3], v[4:5]
	ds_load_b128 v[2:5], v1 offset:352
	ds_load_b128 v[79:82], v1 offset:368
	scratch_load_b128 v[8:11], off, off offset:192
	v_fma_f64 v[95:96], v[85:86], v[6:7], v[95:96]
	v_fma_f64 v[6:7], v[83:84], v[6:7], -v[97:98]
	scratch_load_b128 v[83:86], off, off offset:208
	s_wait_loadcnt_dscnt 0xa01
	v_mul_f64_e32 v[103:104], v[2:3], v[53:54]
	v_mul_f64_e32 v[53:54], v[4:5], v[53:54]
	v_add_f64_e32 v[97:98], 0, v[99:100]
	v_add_f64_e32 v[99:100], 0, v[101:102]
	s_wait_loadcnt_dscnt 0x900
	v_mul_f64_e32 v[101:102], v[79:80], v[57:58]
	v_mul_f64_e32 v[57:58], v[81:82], v[57:58]
	v_fma_f64 v[103:104], v[4:5], v[51:52], v[103:104]
	v_fma_f64 v[105:106], v[2:3], v[51:52], -v[53:54]
	ds_load_b128 v[2:5], v1 offset:384
	scratch_load_b128 v[51:54], off, off offset:224
	v_add_f64_e32 v[6:7], v[97:98], v[6:7]
	v_add_f64_e32 v[99:100], v[99:100], v[95:96]
	ds_load_b128 v[95:98], v1 offset:400
	v_fma_f64 v[81:82], v[81:82], v[55:56], v[101:102]
	v_fma_f64 v[79:80], v[79:80], v[55:56], -v[57:58]
	scratch_load_b128 v[55:58], off, off offset:240
	s_wait_loadcnt_dscnt 0xa01
	v_mul_f64_e32 v[107:108], v[2:3], v[61:62]
	v_mul_f64_e32 v[61:62], v[4:5], v[61:62]
	s_wait_loadcnt_dscnt 0x900
	v_mul_f64_e32 v[101:102], v[95:96], v[65:66]
	v_mul_f64_e32 v[65:66], v[97:98], v[65:66]
	v_add_f64_e32 v[6:7], v[6:7], v[105:106]
	v_add_f64_e32 v[99:100], v[99:100], v[103:104]
	v_fma_f64 v[103:104], v[4:5], v[59:60], v[107:108]
	v_fma_f64 v[105:106], v[2:3], v[59:60], -v[61:62]
	ds_load_b128 v[2:5], v1 offset:416
	scratch_load_b128 v[59:62], off, off offset:256
	v_fma_f64 v[97:98], v[97:98], v[63:64], v[101:102]
	v_fma_f64 v[95:96], v[95:96], v[63:64], -v[65:66]
	scratch_load_b128 v[63:66], off, off offset:272
	v_add_f64_e32 v[6:7], v[6:7], v[79:80]
	v_add_f64_e32 v[99:100], v[99:100], v[81:82]
	ds_load_b128 v[79:82], v1 offset:432
	s_wait_loadcnt_dscnt 0xa01
	v_mul_f64_e32 v[107:108], v[2:3], v[69:70]
	v_mul_f64_e32 v[69:70], v[4:5], v[69:70]
	s_wait_loadcnt_dscnt 0x900
	v_mul_f64_e32 v[101:102], v[79:80], v[73:74]
	v_mul_f64_e32 v[73:74], v[81:82], v[73:74]
	v_add_f64_e32 v[6:7], v[6:7], v[105:106]
	v_add_f64_e32 v[99:100], v[99:100], v[103:104]
	v_fma_f64 v[103:104], v[4:5], v[67:68], v[107:108]
	v_fma_f64 v[105:106], v[2:3], v[67:68], -v[69:70]
	ds_load_b128 v[2:5], v1 offset:448
	scratch_load_b128 v[67:70], off, off offset:288
	v_fma_f64 v[81:82], v[81:82], v[71:72], v[101:102]
	v_fma_f64 v[79:80], v[79:80], v[71:72], -v[73:74]
	scratch_load_b128 v[71:74], off, off offset:304
	v_add_f64_e32 v[6:7], v[6:7], v[95:96]
	v_add_f64_e32 v[99:100], v[99:100], v[97:98]
	ds_load_b128 v[95:98], v1 offset:464
	s_wait_loadcnt_dscnt 0xa01
	v_mul_f64_e32 v[107:108], v[2:3], v[77:78]
	v_mul_f64_e32 v[77:78], v[4:5], v[77:78]
	s_wait_loadcnt_dscnt 0x800
	v_mul_f64_e32 v[101:102], v[95:96], v[93:94]
	v_mul_f64_e32 v[93:94], v[97:98], v[93:94]
	v_add_f64_e32 v[6:7], v[6:7], v[105:106]
	v_add_f64_e32 v[99:100], v[99:100], v[103:104]
	v_fma_f64 v[103:104], v[4:5], v[75:76], v[107:108]
	v_fma_f64 v[105:106], v[2:3], v[75:76], -v[77:78]
	ds_load_b128 v[2:5], v1 offset:480
	ds_load_b128 v[75:78], v1 offset:496
	v_fma_f64 v[97:98], v[97:98], v[91:92], v[101:102]
	v_fma_f64 v[91:92], v[95:96], v[91:92], -v[93:94]
	v_add_f64_e32 v[6:7], v[6:7], v[79:80]
	v_add_f64_e32 v[79:80], v[99:100], v[81:82]
	s_wait_loadcnt_dscnt 0x701
	v_mul_f64_e32 v[81:82], v[2:3], v[10:11]
	v_mul_f64_e32 v[10:11], v[4:5], v[10:11]
	s_wait_loadcnt_dscnt 0x600
	v_mul_f64_e32 v[93:94], v[75:76], v[85:86]
	v_mul_f64_e32 v[85:86], v[77:78], v[85:86]
	v_add_f64_e32 v[6:7], v[6:7], v[105:106]
	v_add_f64_e32 v[79:80], v[79:80], v[103:104]
	v_fma_f64 v[81:82], v[4:5], v[8:9], v[81:82]
	v_fma_f64 v[10:11], v[2:3], v[8:9], -v[10:11]
	v_fma_f64 v[77:78], v[77:78], v[83:84], v[93:94]
	v_fma_f64 v[75:76], v[75:76], v[83:84], -v[85:86]
	v_add_f64_e32 v[91:92], v[6:7], v[91:92]
	v_add_f64_e32 v[79:80], v[79:80], v[97:98]
	ds_load_b128 v[2:5], v1 offset:512
	ds_load_b128 v[6:9], v1 offset:528
	s_wait_loadcnt_dscnt 0x501
	v_mul_f64_e32 v[95:96], v[2:3], v[53:54]
	v_mul_f64_e32 v[53:54], v[4:5], v[53:54]
	v_add_f64_e32 v[10:11], v[91:92], v[10:11]
	v_add_f64_e32 v[79:80], v[79:80], v[81:82]
	s_wait_loadcnt_dscnt 0x400
	v_mul_f64_e32 v[81:82], v[6:7], v[57:58]
	v_mul_f64_e32 v[57:58], v[8:9], v[57:58]
	v_fma_f64 v[83:84], v[4:5], v[51:52], v[95:96]
	v_fma_f64 v[85:86], v[2:3], v[51:52], -v[53:54]
	ds_load_b128 v[2:5], v1 offset:544
	ds_load_b128 v[51:54], v1 offset:560
	v_add_f64_e32 v[10:11], v[10:11], v[75:76]
	v_add_f64_e32 v[75:76], v[79:80], v[77:78]
	v_fma_f64 v[8:9], v[8:9], v[55:56], v[81:82]
	v_fma_f64 v[6:7], v[6:7], v[55:56], -v[57:58]
	s_wait_loadcnt_dscnt 0x301
	v_mul_f64_e32 v[77:78], v[2:3], v[61:62]
	v_mul_f64_e32 v[61:62], v[4:5], v[61:62]
	s_wait_loadcnt_dscnt 0x200
	v_mul_f64_e32 v[57:58], v[51:52], v[65:66]
	v_mul_f64_e32 v[65:66], v[53:54], v[65:66]
	v_add_f64_e32 v[10:11], v[10:11], v[85:86]
	v_add_f64_e32 v[55:56], v[75:76], v[83:84]
	v_fma_f64 v[75:76], v[4:5], v[59:60], v[77:78]
	v_fma_f64 v[59:60], v[2:3], v[59:60], -v[61:62]
	v_fma_f64 v[53:54], v[53:54], v[63:64], v[57:58]
	v_fma_f64 v[51:52], v[51:52], v[63:64], -v[65:66]
	v_add_f64_e32 v[10:11], v[10:11], v[6:7]
	v_add_f64_e32 v[55:56], v[55:56], v[8:9]
	ds_load_b128 v[2:5], v1 offset:576
	ds_load_b128 v[6:9], v1 offset:592
	s_wait_loadcnt_dscnt 0x101
	v_mul_f64_e32 v[0:1], v[2:3], v[69:70]
	v_mul_f64_e32 v[61:62], v[4:5], v[69:70]
	s_wait_loadcnt_dscnt 0x0
	v_mul_f64_e32 v[57:58], v[6:7], v[73:74]
	v_add_f64_e32 v[10:11], v[10:11], v[59:60]
	v_add_f64_e32 v[55:56], v[55:56], v[75:76]
	v_mul_f64_e32 v[59:60], v[8:9], v[73:74]
	v_fma_f64 v[0:1], v[4:5], v[67:68], v[0:1]
	v_fma_f64 v[2:3], v[2:3], v[67:68], -v[61:62]
	v_fma_f64 v[8:9], v[8:9], v[71:72], v[57:58]
	v_add_f64_e32 v[4:5], v[10:11], v[51:52]
	v_add_f64_e32 v[10:11], v[55:56], v[53:54]
	v_fma_f64 v[6:7], v[6:7], v[71:72], -v[59:60]
	s_delay_alu instid0(VALU_DEP_3) | instskip(NEXT) | instid1(VALU_DEP_3)
	v_add_f64_e32 v[2:3], v[4:5], v[2:3]
	v_add_f64_e32 v[0:1], v[10:11], v[0:1]
	s_delay_alu instid0(VALU_DEP_2) | instskip(NEXT) | instid1(VALU_DEP_2)
	v_add_f64_e32 v[2:3], v[2:3], v[6:7]
	v_add_f64_e32 v[4:5], v[0:1], v[8:9]
	s_delay_alu instid0(VALU_DEP_2) | instskip(NEXT) | instid1(VALU_DEP_2)
	v_add_f64_e64 v[0:1], v[87:88], -v[2:3]
	v_add_f64_e64 v[2:3], v[89:90], -v[4:5]
	scratch_store_b128 off, v[0:3], off offset:16
	s_wait_alu 0xfffe
	s_cbranch_vccz .LBB18_164
; %bb.128:
	v_mov_b32_e32 v0, 0
	global_load_b32 v1, v0, s[2:3] offset:68
	s_wait_loadcnt 0x0
	v_cmp_ne_u32_e32 vcc_lo, 18, v1
	s_cbranch_vccz .LBB18_130
; %bb.129:
	v_lshlrev_b32_e32 v1, 4, v1
	s_delay_alu instid0(VALU_DEP_1)
	v_add_nc_u32_e32 v9, 16, v1
	s_clause 0x1
	scratch_load_b128 v[1:4], v9, off offset:-16
	scratch_load_b128 v[5:8], off, s24
	s_wait_loadcnt 0x1
	scratch_store_b128 off, v[1:4], s24
	s_wait_loadcnt 0x0
	scratch_store_b128 v9, v[5:8], off offset:-16
.LBB18_130:
	global_load_b32 v0, v0, s[2:3] offset:64
	s_wait_loadcnt 0x0
	v_cmp_eq_u32_e32 vcc_lo, 17, v0
	s_cbranch_vccnz .LBB18_132
; %bb.131:
	v_lshlrev_b32_e32 v0, 4, v0
	s_delay_alu instid0(VALU_DEP_1)
	v_add_nc_u32_e32 v8, 16, v0
	s_clause 0x1
	scratch_load_b128 v[0:3], v8, off offset:-16
	scratch_load_b128 v[4:7], off, s25
	s_wait_loadcnt 0x1
	scratch_store_b128 off, v[0:3], s25
	s_wait_loadcnt 0x0
	scratch_store_b128 v8, v[4:7], off offset:-16
.LBB18_132:
	v_mov_b32_e32 v0, 0
	global_load_b32 v1, v0, s[2:3] offset:60
	s_wait_loadcnt 0x0
	v_cmp_eq_u32_e32 vcc_lo, 16, v1
	s_cbranch_vccnz .LBB18_134
; %bb.133:
	v_lshlrev_b32_e32 v1, 4, v1
	s_delay_alu instid0(VALU_DEP_1)
	v_add_nc_u32_e32 v9, 16, v1
	s_clause 0x1
	scratch_load_b128 v[1:4], v9, off offset:-16
	scratch_load_b128 v[5:8], off, s22
	s_wait_loadcnt 0x1
	scratch_store_b128 off, v[1:4], s22
	s_wait_loadcnt 0x0
	scratch_store_b128 v9, v[5:8], off offset:-16
.LBB18_134:
	global_load_b32 v0, v0, s[2:3] offset:56
	s_wait_loadcnt 0x0
	v_cmp_eq_u32_e32 vcc_lo, 15, v0
	s_cbranch_vccnz .LBB18_136
; %bb.135:
	v_lshlrev_b32_e32 v0, 4, v0
	s_delay_alu instid0(VALU_DEP_1)
	v_add_nc_u32_e32 v8, 16, v0
	s_clause 0x1
	scratch_load_b128 v[0:3], v8, off offset:-16
	scratch_load_b128 v[4:7], off, s23
	s_wait_loadcnt 0x1
	scratch_store_b128 off, v[0:3], s23
	s_wait_loadcnt 0x0
	scratch_store_b128 v8, v[4:7], off offset:-16
.LBB18_136:
	v_mov_b32_e32 v0, 0
	global_load_b32 v1, v0, s[2:3] offset:52
	s_wait_loadcnt 0x0
	v_cmp_eq_u32_e32 vcc_lo, 14, v1
	s_cbranch_vccnz .LBB18_138
; %bb.137:
	v_lshlrev_b32_e32 v1, 4, v1
	s_delay_alu instid0(VALU_DEP_1)
	v_add_nc_u32_e32 v9, 16, v1
	s_clause 0x1
	scratch_load_b128 v[1:4], v9, off offset:-16
	scratch_load_b128 v[5:8], off, s20
	s_wait_loadcnt 0x1
	scratch_store_b128 off, v[1:4], s20
	s_wait_loadcnt 0x0
	scratch_store_b128 v9, v[5:8], off offset:-16
.LBB18_138:
	;; [unrolled: 33-line block ×8, first 2 shown]
	global_load_b32 v0, v0, s[2:3]
	s_wait_loadcnt 0x0
	v_cmp_eq_u32_e32 vcc_lo, 1, v0
	s_cbranch_vccnz .LBB18_164
; %bb.163:
	v_lshlrev_b32_e32 v0, 4, v0
	s_delay_alu instid0(VALU_DEP_1)
	v_add_nc_u32_e32 v8, 16, v0
	scratch_load_b128 v[0:3], v8, off offset:-16
	scratch_load_b128 v[4:7], off, off offset:16
	s_wait_loadcnt 0x1
	scratch_store_b128 off, v[0:3], off offset:16
	s_wait_loadcnt 0x0
	scratch_store_b128 v8, v[4:7], off offset:-16
.LBB18_164:
	scratch_load_b128 v[0:3], off, off offset:16
	s_clause 0x11
	scratch_load_b128 v[4:7], off, s13
	scratch_load_b128 v[8:11], off, s11
	;; [unrolled: 1-line block ×18, first 2 shown]
	s_wait_loadcnt 0x12
	global_store_b128 v[13:14], v[0:3], off
	s_wait_loadcnt 0x11
	global_store_b128 v[15:16], v[4:7], off
	;; [unrolled: 2-line block ×19, first 2 shown]
	s_nop 0
	s_sendmsg sendmsg(MSG_DEALLOC_VGPRS)
	s_endpgm
	.section	.rodata,"a",@progbits
	.p2align	6, 0x0
	.amdhsa_kernel _ZN9rocsolver6v33100L18getri_kernel_smallILi19E19rocblas_complex_numIdEPS3_EEvT1_iilPiilS6_bb
		.amdhsa_group_segment_fixed_size 616
		.amdhsa_private_segment_fixed_size 336
		.amdhsa_kernarg_size 60
		.amdhsa_user_sgpr_count 2
		.amdhsa_user_sgpr_dispatch_ptr 0
		.amdhsa_user_sgpr_queue_ptr 0
		.amdhsa_user_sgpr_kernarg_segment_ptr 1
		.amdhsa_user_sgpr_dispatch_id 0
		.amdhsa_user_sgpr_private_segment_size 0
		.amdhsa_wavefront_size32 1
		.amdhsa_uses_dynamic_stack 0
		.amdhsa_enable_private_segment 1
		.amdhsa_system_sgpr_workgroup_id_x 1
		.amdhsa_system_sgpr_workgroup_id_y 0
		.amdhsa_system_sgpr_workgroup_id_z 0
		.amdhsa_system_sgpr_workgroup_info 0
		.amdhsa_system_vgpr_workitem_id 0
		.amdhsa_next_free_vgpr 116
		.amdhsa_next_free_sgpr 30
		.amdhsa_reserve_vcc 1
		.amdhsa_float_round_mode_32 0
		.amdhsa_float_round_mode_16_64 0
		.amdhsa_float_denorm_mode_32 3
		.amdhsa_float_denorm_mode_16_64 3
		.amdhsa_fp16_overflow 0
		.amdhsa_workgroup_processor_mode 1
		.amdhsa_memory_ordered 1
		.amdhsa_forward_progress 1
		.amdhsa_inst_pref_size 177
		.amdhsa_round_robin_scheduling 0
		.amdhsa_exception_fp_ieee_invalid_op 0
		.amdhsa_exception_fp_denorm_src 0
		.amdhsa_exception_fp_ieee_div_zero 0
		.amdhsa_exception_fp_ieee_overflow 0
		.amdhsa_exception_fp_ieee_underflow 0
		.amdhsa_exception_fp_ieee_inexact 0
		.amdhsa_exception_int_div_zero 0
	.end_amdhsa_kernel
	.section	.text._ZN9rocsolver6v33100L18getri_kernel_smallILi19E19rocblas_complex_numIdEPS3_EEvT1_iilPiilS6_bb,"axG",@progbits,_ZN9rocsolver6v33100L18getri_kernel_smallILi19E19rocblas_complex_numIdEPS3_EEvT1_iilPiilS6_bb,comdat
.Lfunc_end18:
	.size	_ZN9rocsolver6v33100L18getri_kernel_smallILi19E19rocblas_complex_numIdEPS3_EEvT1_iilPiilS6_bb, .Lfunc_end18-_ZN9rocsolver6v33100L18getri_kernel_smallILi19E19rocblas_complex_numIdEPS3_EEvT1_iilPiilS6_bb
                                        ; -- End function
	.set _ZN9rocsolver6v33100L18getri_kernel_smallILi19E19rocblas_complex_numIdEPS3_EEvT1_iilPiilS6_bb.num_vgpr, 116
	.set _ZN9rocsolver6v33100L18getri_kernel_smallILi19E19rocblas_complex_numIdEPS3_EEvT1_iilPiilS6_bb.num_agpr, 0
	.set _ZN9rocsolver6v33100L18getri_kernel_smallILi19E19rocblas_complex_numIdEPS3_EEvT1_iilPiilS6_bb.numbered_sgpr, 30
	.set _ZN9rocsolver6v33100L18getri_kernel_smallILi19E19rocblas_complex_numIdEPS3_EEvT1_iilPiilS6_bb.num_named_barrier, 0
	.set _ZN9rocsolver6v33100L18getri_kernel_smallILi19E19rocblas_complex_numIdEPS3_EEvT1_iilPiilS6_bb.private_seg_size, 336
	.set _ZN9rocsolver6v33100L18getri_kernel_smallILi19E19rocblas_complex_numIdEPS3_EEvT1_iilPiilS6_bb.uses_vcc, 1
	.set _ZN9rocsolver6v33100L18getri_kernel_smallILi19E19rocblas_complex_numIdEPS3_EEvT1_iilPiilS6_bb.uses_flat_scratch, 1
	.set _ZN9rocsolver6v33100L18getri_kernel_smallILi19E19rocblas_complex_numIdEPS3_EEvT1_iilPiilS6_bb.has_dyn_sized_stack, 0
	.set _ZN9rocsolver6v33100L18getri_kernel_smallILi19E19rocblas_complex_numIdEPS3_EEvT1_iilPiilS6_bb.has_recursion, 0
	.set _ZN9rocsolver6v33100L18getri_kernel_smallILi19E19rocblas_complex_numIdEPS3_EEvT1_iilPiilS6_bb.has_indirect_call, 0
	.section	.AMDGPU.csdata,"",@progbits
; Kernel info:
; codeLenInByte = 22584
; TotalNumSgprs: 32
; NumVgprs: 116
; ScratchSize: 336
; MemoryBound: 0
; FloatMode: 240
; IeeeMode: 1
; LDSByteSize: 616 bytes/workgroup (compile time only)
; SGPRBlocks: 0
; VGPRBlocks: 14
; NumSGPRsForWavesPerEU: 32
; NumVGPRsForWavesPerEU: 116
; Occupancy: 12
; WaveLimiterHint : 1
; COMPUTE_PGM_RSRC2:SCRATCH_EN: 1
; COMPUTE_PGM_RSRC2:USER_SGPR: 2
; COMPUTE_PGM_RSRC2:TRAP_HANDLER: 0
; COMPUTE_PGM_RSRC2:TGID_X_EN: 1
; COMPUTE_PGM_RSRC2:TGID_Y_EN: 0
; COMPUTE_PGM_RSRC2:TGID_Z_EN: 0
; COMPUTE_PGM_RSRC2:TIDIG_COMP_CNT: 0
	.section	.text._ZN9rocsolver6v33100L18getri_kernel_smallILi20E19rocblas_complex_numIdEPS3_EEvT1_iilPiilS6_bb,"axG",@progbits,_ZN9rocsolver6v33100L18getri_kernel_smallILi20E19rocblas_complex_numIdEPS3_EEvT1_iilPiilS6_bb,comdat
	.globl	_ZN9rocsolver6v33100L18getri_kernel_smallILi20E19rocblas_complex_numIdEPS3_EEvT1_iilPiilS6_bb ; -- Begin function _ZN9rocsolver6v33100L18getri_kernel_smallILi20E19rocblas_complex_numIdEPS3_EEvT1_iilPiilS6_bb
	.p2align	8
	.type	_ZN9rocsolver6v33100L18getri_kernel_smallILi20E19rocblas_complex_numIdEPS3_EEvT1_iilPiilS6_bb,@function
_ZN9rocsolver6v33100L18getri_kernel_smallILi20E19rocblas_complex_numIdEPS3_EEvT1_iilPiilS6_bb: ; @_ZN9rocsolver6v33100L18getri_kernel_smallILi20E19rocblas_complex_numIdEPS3_EEvT1_iilPiilS6_bb
; %bb.0:
	s_mov_b32 s2, exec_lo
	v_cmpx_gt_u32_e32 20, v0
	s_cbranch_execz .LBB19_94
; %bb.1:
	s_clause 0x2
	s_load_b32 s2, s[0:1], 0x38
	s_load_b128 s[12:15], s[0:1], 0x10
	s_load_b128 s[4:7], s[0:1], 0x28
	s_mov_b32 s16, ttmp9
	s_wait_kmcnt 0x0
	s_bitcmp1_b32 s2, 8
	s_cselect_b32 s18, -1, 0
	s_bfe_u32 s2, s2, 0x10008
	s_ashr_i32 s17, ttmp9, 31
	s_cmp_eq_u32 s2, 0
                                        ; implicit-def: $sgpr2_sgpr3
	s_cbranch_scc1 .LBB19_3
; %bb.2:
	s_load_b32 s2, s[0:1], 0x20
	s_mul_u64 s[4:5], s[4:5], s[16:17]
	s_delay_alu instid0(SALU_CYCLE_1) | instskip(NEXT) | instid1(SALU_CYCLE_1)
	s_lshl_b64 s[4:5], s[4:5], 2
	s_add_nc_u64 s[4:5], s[14:15], s[4:5]
	s_wait_kmcnt 0x0
	s_ashr_i32 s3, s2, 31
	s_delay_alu instid0(SALU_CYCLE_1) | instskip(NEXT) | instid1(SALU_CYCLE_1)
	s_lshl_b64 s[2:3], s[2:3], 2
	s_add_nc_u64 s[2:3], s[4:5], s[2:3]
.LBB19_3:
	s_clause 0x1
	s_load_b128 s[8:11], s[0:1], 0x0
	s_load_b32 s28, s[0:1], 0x38
	s_mul_u64 s[0:1], s[12:13], s[16:17]
	v_lshlrev_b32_e32 v53, 4, v0
	s_lshl_b64 s[0:1], s[0:1], 4
	s_mov_b32 s19, 32
	s_mov_b32 s13, 48
	s_wait_kmcnt 0x0
	s_ashr_i32 s5, s10, 31
	s_mov_b32 s4, s10
	s_add_nc_u64 s[0:1], s[8:9], s[0:1]
	s_lshl_b64 s[4:5], s[4:5], 4
	s_ashr_i32 s9, s11, 31
	s_add_nc_u64 s[0:1], s[0:1], s[4:5]
	s_mov_b32 s8, s11
	v_add_co_u32 v13, s4, s0, v53
	s_delay_alu instid0(VALU_DEP_1) | instskip(SKIP_4) | instid1(VALU_DEP_1)
	v_add_co_ci_u32_e64 v14, null, s1, 0, s4
	s_lshl_b64 s[4:5], s[8:9], 4
	v_add3_u32 v9, s11, s11, v0
	s_wait_alu 0xfffe
	v_add_co_u32 v15, vcc_lo, v13, s4
	v_add_co_ci_u32_e64 v16, null, s5, v14, vcc_lo
	s_clause 0x1
	global_load_b128 v[1:4], v53, s[0:1]
	global_load_b128 v[5:8], v[15:16], off
	v_add_nc_u32_e32 v11, s11, v9
	v_ashrrev_i32_e32 v10, 31, v9
	s_mov_b32 s9, 64
	s_movk_i32 s10, 0x50
	s_delay_alu instid0(VALU_DEP_2) | instskip(SKIP_2) | instid1(VALU_DEP_3)
	v_add_nc_u32_e32 v19, s11, v11
	v_ashrrev_i32_e32 v12, 31, v11
	v_lshlrev_b64_e32 v[9:10], 4, v[9:10]
	v_add_nc_u32_e32 v21, s11, v19
	v_ashrrev_i32_e32 v20, 31, v19
	s_delay_alu instid0(VALU_DEP_4) | instskip(NEXT) | instid1(VALU_DEP_4)
	v_lshlrev_b64_e32 v[23:24], 4, v[11:12]
	v_add_co_u32 v17, vcc_lo, s0, v9
	s_delay_alu instid0(VALU_DEP_4) | instskip(NEXT) | instid1(VALU_DEP_4)
	v_add_nc_u32_e32 v27, s11, v21
	v_lshlrev_b64_e32 v[25:26], 4, v[19:20]
	v_ashrrev_i32_e32 v22, 31, v21
	s_wait_alu 0xfffd
	v_add_co_ci_u32_e64 v18, null, s1, v10, vcc_lo
	v_ashrrev_i32_e32 v28, 31, v27
	v_add_nc_u32_e32 v29, s11, v27
	v_add_co_u32 v19, vcc_lo, s0, v23
	s_wait_alu 0xfffd
	v_add_co_ci_u32_e64 v20, null, s1, v24, vcc_lo
	v_lshlrev_b64_e32 v[23:24], 4, v[21:22]
	v_add_co_u32 v21, vcc_lo, s0, v25
	s_wait_alu 0xfffd
	v_add_co_ci_u32_e64 v22, null, s1, v26, vcc_lo
	v_lshlrev_b64_e32 v[25:26], 4, v[27:28]
	v_add_nc_u32_e32 v27, s11, v29
	v_ashrrev_i32_e32 v30, 31, v29
	v_add_co_u32 v23, vcc_lo, s0, v23
	s_wait_alu 0xfffd
	v_add_co_ci_u32_e64 v24, null, s1, v24, vcc_lo
	v_add_nc_u32_e32 v31, s11, v27
	v_ashrrev_i32_e32 v28, 31, v27
	v_lshlrev_b64_e32 v[29:30], 4, v[29:30]
	v_add_co_u32 v25, vcc_lo, s0, v25
	s_delay_alu instid0(VALU_DEP_4) | instskip(NEXT) | instid1(VALU_DEP_4)
	v_add_nc_u32_e32 v33, s11, v31
	v_lshlrev_b64_e32 v[35:36], 4, v[27:28]
	s_wait_alu 0xfffd
	v_add_co_ci_u32_e64 v26, null, s1, v26, vcc_lo
	v_add_co_u32 v27, vcc_lo, s0, v29
	v_add_nc_u32_e32 v37, s11, v33
	s_wait_alu 0xfffd
	v_add_co_ci_u32_e64 v28, null, s1, v30, vcc_lo
	v_add_co_u32 v29, vcc_lo, s0, v35
	s_delay_alu instid0(VALU_DEP_3)
	v_add_nc_u32_e32 v35, s11, v37
	v_ashrrev_i32_e32 v32, 31, v31
	v_ashrrev_i32_e32 v34, 31, v33
	;; [unrolled: 1-line block ×3, first 2 shown]
	s_wait_alu 0xfffd
	v_add_co_ci_u32_e64 v30, null, s1, v36, vcc_lo
	v_add_nc_u32_e32 v39, s11, v35
	v_lshlrev_b64_e32 v[31:32], 4, v[31:32]
	v_ashrrev_i32_e32 v36, 31, v35
	v_lshlrev_b64_e32 v[33:34], 4, v[33:34]
	v_lshlrev_b64_e32 v[37:38], 4, v[37:38]
	v_add_nc_u32_e32 v43, s11, v39
	v_ashrrev_i32_e32 v40, 31, v39
	v_add_co_u32 v31, vcc_lo, s0, v31
	v_lshlrev_b64_e32 v[41:42], 4, v[35:36]
	s_wait_alu 0xfffd
	v_add_co_ci_u32_e64 v32, null, s1, v32, vcc_lo
	v_add_co_u32 v33, vcc_lo, s0, v33
	v_ashrrev_i32_e32 v44, 31, v43
	v_add_nc_u32_e32 v45, s11, v43
	s_wait_alu 0xfffd
	v_add_co_ci_u32_e64 v34, null, s1, v34, vcc_lo
	v_add_co_u32 v35, vcc_lo, s0, v37
	s_wait_alu 0xfffd
	v_add_co_ci_u32_e64 v36, null, s1, v38, vcc_lo
	v_add_co_u32 v37, vcc_lo, s0, v41
	s_wait_alu 0xfffd
	v_add_co_ci_u32_e64 v38, null, s1, v42, vcc_lo
	v_lshlrev_b64_e32 v[41:42], 4, v[43:44]
	v_add_nc_u32_e32 v43, s11, v45
	v_ashrrev_i32_e32 v46, 31, v45
	v_lshlrev_b64_e32 v[39:40], 4, v[39:40]
	s_clause 0x2
	global_load_b128 v[9:12], v[17:18], off
	global_load_b128 v[54:57], v[19:20], off
	;; [unrolled: 1-line block ×3, first 2 shown]
	v_add_nc_u32_e32 v47, s11, v43
	v_ashrrev_i32_e32 v44, 31, v43
	v_lshlrev_b64_e32 v[45:46], 4, v[45:46]
	v_add_co_u32 v39, vcc_lo, s0, v39
	s_delay_alu instid0(VALU_DEP_4) | instskip(NEXT) | instid1(VALU_DEP_4)
	v_add_nc_u32_e32 v51, s11, v47
	v_lshlrev_b64_e32 v[49:50], 4, v[43:44]
	v_ashrrev_i32_e32 v48, 31, v47
	s_wait_alu 0xfffd
	v_add_co_ci_u32_e64 v40, null, s1, v40, vcc_lo
	v_add_nc_u32_e32 v110, s11, v51
	v_add_co_u32 v41, vcc_lo, s0, v41
	v_ashrrev_i32_e32 v52, 31, v51
	s_wait_alu 0xfffd
	v_add_co_ci_u32_e64 v42, null, s1, v42, vcc_lo
	v_add_co_u32 v43, vcc_lo, s0, v45
	v_ashrrev_i32_e32 v111, 31, v110
	s_wait_alu 0xfffd
	v_add_co_ci_u32_e64 v44, null, s1, v46, vcc_lo
	v_lshlrev_b64_e32 v[47:48], 4, v[47:48]
	v_add_co_u32 v45, vcc_lo, s0, v49
	s_wait_alu 0xfffd
	v_add_co_ci_u32_e64 v46, null, s1, v50, vcc_lo
	v_lshlrev_b64_e32 v[49:50], 4, v[51:52]
	v_lshlrev_b64_e32 v[51:52], 4, v[110:111]
	v_add_co_u32 v47, vcc_lo, s0, v47
	s_wait_alu 0xfffd
	v_add_co_ci_u32_e64 v48, null, s1, v48, vcc_lo
	s_delay_alu instid0(VALU_DEP_4)
	v_add_co_u32 v49, vcc_lo, s0, v49
	s_wait_alu 0xfffd
	v_add_co_ci_u32_e64 v50, null, s1, v50, vcc_lo
	v_add_co_u32 v51, vcc_lo, s0, v51
	s_wait_alu 0xfffd
	v_add_co_ci_u32_e64 v52, null, s1, v52, vcc_lo
	s_clause 0xc
	global_load_b128 v[62:65], v[23:24], off
	global_load_b128 v[66:69], v[25:26], off
	;; [unrolled: 1-line block ×13, first 2 shown]
	s_movk_i32 s0, 0x50
	s_movk_i32 s1, 0x70
	s_wait_alu 0xfffe
	s_add_co_i32 s4, s0, 16
	s_movk_i32 s0, 0x60
	s_add_co_i32 s5, s1, 16
	s_wait_alu 0xfffe
	s_add_co_i32 s11, s0, 16
	s_movk_i32 s0, 0x80
	s_movk_i32 s1, 0x90
	s_wait_alu 0xfffe
	s_add_co_i32 s12, s0, 16
	s_add_co_i32 s8, s1, 16
	s_movk_i32 s0, 0xa0
	s_movk_i32 s1, 0xb0
	s_wait_alu 0xfffe
	s_add_co_i32 s20, s0, 16
	;; [unrolled: 5-line block ×6, first 2 shown]
	s_add_co_i32 s27, s1, 16
	s_mov_b32 s1, -1
	s_bitcmp0_b32 s28, 0
	s_wait_loadcnt 0x11
	scratch_store_b128 off, v[1:4], off offset:16
	s_wait_loadcnt 0x10
	scratch_store_b128 off, v[5:8], off offset:32
	s_clause 0x1
	global_load_b128 v[1:4], v[49:50], off
	global_load_b128 v[5:8], v[51:52], off
	s_wait_loadcnt 0x11
	scratch_store_b128 off, v[9:12], off offset:48
	s_wait_loadcnt 0x10
	scratch_store_b128 off, v[54:57], off offset:64
	;; [unrolled: 2-line block ×18, first 2 shown]
	s_cbranch_scc1 .LBB19_92
; %bb.4:
	v_cmp_eq_u32_e64 s0, 0, v0
	s_and_saveexec_b32 s1, s0
; %bb.5:
	v_mov_b32_e32 v1, 0
	ds_store_b32 v1, v1 offset:640
; %bb.6:
	s_wait_alu 0xfffe
	s_or_b32 exec_lo, exec_lo, s1
	s_wait_storecnt_dscnt 0x0
	s_barrier_signal -1
	s_barrier_wait -1
	global_inv scope:SCOPE_SE
	scratch_load_b128 v[1:4], v53, off offset:16
	s_wait_loadcnt 0x0
	v_cmp_eq_f64_e32 vcc_lo, 0, v[1:2]
	v_cmp_eq_f64_e64 s1, 0, v[3:4]
	s_and_b32 s1, vcc_lo, s1
	s_wait_alu 0xfffe
	s_and_saveexec_b32 s28, s1
	s_cbranch_execz .LBB19_10
; %bb.7:
	v_mov_b32_e32 v1, 0
	s_mov_b32 s29, 0
	ds_load_b32 v2, v1 offset:640
	s_wait_dscnt 0x0
	v_readfirstlane_b32 s1, v2
	v_add_nc_u32_e32 v2, 1, v0
	s_cmp_eq_u32 s1, 0
	s_delay_alu instid0(VALU_DEP_1) | instskip(SKIP_1) | instid1(SALU_CYCLE_1)
	v_cmp_gt_i32_e32 vcc_lo, s1, v2
	s_cselect_b32 s30, -1, 0
	s_or_b32 s30, s30, vcc_lo
	s_delay_alu instid0(SALU_CYCLE_1)
	s_and_b32 exec_lo, exec_lo, s30
	s_cbranch_execz .LBB19_10
; %bb.8:
	v_mov_b32_e32 v3, s1
.LBB19_9:                               ; =>This Inner Loop Header: Depth=1
	ds_cmpstore_rtn_b32 v3, v1, v2, v3 offset:640
	s_wait_dscnt 0x0
	v_cmp_ne_u32_e32 vcc_lo, 0, v3
	v_cmp_le_i32_e64 s1, v3, v2
	s_and_b32 s1, vcc_lo, s1
	s_wait_alu 0xfffe
	s_and_b32 s1, exec_lo, s1
	s_wait_alu 0xfffe
	s_or_b32 s29, s1, s29
	s_delay_alu instid0(SALU_CYCLE_1)
	s_and_not1_b32 exec_lo, exec_lo, s29
	s_cbranch_execnz .LBB19_9
.LBB19_10:
	s_or_b32 exec_lo, exec_lo, s28
	v_mov_b32_e32 v1, 0
	s_barrier_signal -1
	s_barrier_wait -1
	global_inv scope:SCOPE_SE
	ds_load_b32 v2, v1 offset:640
	s_and_saveexec_b32 s1, s0
	s_cbranch_execz .LBB19_12
; %bb.11:
	s_lshl_b64 s[28:29], s[16:17], 2
	s_delay_alu instid0(SALU_CYCLE_1)
	s_add_nc_u64 s[28:29], s[6:7], s[28:29]
	s_wait_dscnt 0x0
	global_store_b32 v1, v2, s[28:29]
.LBB19_12:
	s_wait_alu 0xfffe
	s_or_b32 exec_lo, exec_lo, s1
	s_wait_dscnt 0x0
	v_cmp_ne_u32_e32 vcc_lo, 0, v2
	s_mov_b32 s1, 0
	s_cbranch_vccnz .LBB19_92
; %bb.13:
	v_add_nc_u32_e32 v54, 16, v53
                                        ; implicit-def: $vgpr1_vgpr2
                                        ; implicit-def: $vgpr9_vgpr10
	scratch_load_b128 v[5:8], v54, off
	s_wait_loadcnt 0x0
	v_cmp_ngt_f64_e64 s1, |v[5:6]|, |v[7:8]|
	s_wait_alu 0xfffe
	s_and_saveexec_b32 s28, s1
	s_delay_alu instid0(SALU_CYCLE_1)
	s_xor_b32 s1, exec_lo, s28
	s_cbranch_execz .LBB19_15
; %bb.14:
	v_div_scale_f64 v[1:2], null, v[7:8], v[7:8], v[5:6]
	v_div_scale_f64 v[11:12], vcc_lo, v[5:6], v[7:8], v[5:6]
	s_delay_alu instid0(VALU_DEP_2) | instskip(NEXT) | instid1(TRANS32_DEP_1)
	v_rcp_f64_e32 v[3:4], v[1:2]
	v_fma_f64 v[9:10], -v[1:2], v[3:4], 1.0
	s_delay_alu instid0(VALU_DEP_1) | instskip(NEXT) | instid1(VALU_DEP_1)
	v_fma_f64 v[3:4], v[3:4], v[9:10], v[3:4]
	v_fma_f64 v[9:10], -v[1:2], v[3:4], 1.0
	s_delay_alu instid0(VALU_DEP_1) | instskip(NEXT) | instid1(VALU_DEP_1)
	v_fma_f64 v[3:4], v[3:4], v[9:10], v[3:4]
	v_mul_f64_e32 v[9:10], v[11:12], v[3:4]
	s_delay_alu instid0(VALU_DEP_1) | instskip(SKIP_1) | instid1(VALU_DEP_1)
	v_fma_f64 v[1:2], -v[1:2], v[9:10], v[11:12]
	s_wait_alu 0xfffd
	v_div_fmas_f64 v[1:2], v[1:2], v[3:4], v[9:10]
	s_delay_alu instid0(VALU_DEP_1) | instskip(NEXT) | instid1(VALU_DEP_1)
	v_div_fixup_f64 v[1:2], v[1:2], v[7:8], v[5:6]
	v_fma_f64 v[3:4], v[5:6], v[1:2], v[7:8]
	s_delay_alu instid0(VALU_DEP_1) | instskip(SKIP_1) | instid1(VALU_DEP_2)
	v_div_scale_f64 v[5:6], null, v[3:4], v[3:4], 1.0
	v_div_scale_f64 v[11:12], vcc_lo, 1.0, v[3:4], 1.0
	v_rcp_f64_e32 v[7:8], v[5:6]
	s_delay_alu instid0(TRANS32_DEP_1) | instskip(NEXT) | instid1(VALU_DEP_1)
	v_fma_f64 v[9:10], -v[5:6], v[7:8], 1.0
	v_fma_f64 v[7:8], v[7:8], v[9:10], v[7:8]
	s_delay_alu instid0(VALU_DEP_1) | instskip(NEXT) | instid1(VALU_DEP_1)
	v_fma_f64 v[9:10], -v[5:6], v[7:8], 1.0
	v_fma_f64 v[7:8], v[7:8], v[9:10], v[7:8]
	s_delay_alu instid0(VALU_DEP_1) | instskip(NEXT) | instid1(VALU_DEP_1)
	v_mul_f64_e32 v[9:10], v[11:12], v[7:8]
	v_fma_f64 v[5:6], -v[5:6], v[9:10], v[11:12]
	s_wait_alu 0xfffd
	s_delay_alu instid0(VALU_DEP_1) | instskip(NEXT) | instid1(VALU_DEP_1)
	v_div_fmas_f64 v[5:6], v[5:6], v[7:8], v[9:10]
	v_div_fixup_f64 v[3:4], v[5:6], v[3:4], 1.0
                                        ; implicit-def: $vgpr5_vgpr6
	s_delay_alu instid0(VALU_DEP_1) | instskip(SKIP_1) | instid1(VALU_DEP_2)
	v_mul_f64_e32 v[1:2], v[1:2], v[3:4]
	v_xor_b32_e32 v4, 0x80000000, v4
	v_xor_b32_e32 v10, 0x80000000, v2
	s_delay_alu instid0(VALU_DEP_3)
	v_mov_b32_e32 v9, v1
.LBB19_15:
	s_wait_alu 0xfffe
	s_and_not1_saveexec_b32 s1, s1
	s_cbranch_execz .LBB19_17
; %bb.16:
	v_div_scale_f64 v[1:2], null, v[5:6], v[5:6], v[7:8]
	v_div_scale_f64 v[11:12], vcc_lo, v[7:8], v[5:6], v[7:8]
	s_delay_alu instid0(VALU_DEP_2) | instskip(NEXT) | instid1(TRANS32_DEP_1)
	v_rcp_f64_e32 v[3:4], v[1:2]
	v_fma_f64 v[9:10], -v[1:2], v[3:4], 1.0
	s_delay_alu instid0(VALU_DEP_1) | instskip(NEXT) | instid1(VALU_DEP_1)
	v_fma_f64 v[3:4], v[3:4], v[9:10], v[3:4]
	v_fma_f64 v[9:10], -v[1:2], v[3:4], 1.0
	s_delay_alu instid0(VALU_DEP_1) | instskip(NEXT) | instid1(VALU_DEP_1)
	v_fma_f64 v[3:4], v[3:4], v[9:10], v[3:4]
	v_mul_f64_e32 v[9:10], v[11:12], v[3:4]
	s_delay_alu instid0(VALU_DEP_1) | instskip(SKIP_1) | instid1(VALU_DEP_1)
	v_fma_f64 v[1:2], -v[1:2], v[9:10], v[11:12]
	s_wait_alu 0xfffd
	v_div_fmas_f64 v[1:2], v[1:2], v[3:4], v[9:10]
	s_delay_alu instid0(VALU_DEP_1) | instskip(NEXT) | instid1(VALU_DEP_1)
	v_div_fixup_f64 v[3:4], v[1:2], v[5:6], v[7:8]
	v_fma_f64 v[1:2], v[7:8], v[3:4], v[5:6]
	s_delay_alu instid0(VALU_DEP_1) | instskip(NEXT) | instid1(VALU_DEP_1)
	v_div_scale_f64 v[5:6], null, v[1:2], v[1:2], 1.0
	v_rcp_f64_e32 v[7:8], v[5:6]
	s_delay_alu instid0(TRANS32_DEP_1) | instskip(NEXT) | instid1(VALU_DEP_1)
	v_fma_f64 v[9:10], -v[5:6], v[7:8], 1.0
	v_fma_f64 v[7:8], v[7:8], v[9:10], v[7:8]
	s_delay_alu instid0(VALU_DEP_1) | instskip(NEXT) | instid1(VALU_DEP_1)
	v_fma_f64 v[9:10], -v[5:6], v[7:8], 1.0
	v_fma_f64 v[7:8], v[7:8], v[9:10], v[7:8]
	v_div_scale_f64 v[9:10], vcc_lo, 1.0, v[1:2], 1.0
	s_delay_alu instid0(VALU_DEP_1) | instskip(NEXT) | instid1(VALU_DEP_1)
	v_mul_f64_e32 v[11:12], v[9:10], v[7:8]
	v_fma_f64 v[5:6], -v[5:6], v[11:12], v[9:10]
	s_wait_alu 0xfffd
	s_delay_alu instid0(VALU_DEP_1) | instskip(NEXT) | instid1(VALU_DEP_1)
	v_div_fmas_f64 v[5:6], v[5:6], v[7:8], v[11:12]
	v_div_fixup_f64 v[1:2], v[5:6], v[1:2], 1.0
	s_delay_alu instid0(VALU_DEP_1)
	v_mul_f64_e64 v[3:4], v[3:4], -v[1:2]
	v_xor_b32_e32 v10, 0x80000000, v2
	v_mov_b32_e32 v9, v1
.LBB19_17:
	s_wait_alu 0xfffe
	s_or_b32 exec_lo, exec_lo, s1
	scratch_store_b128 v54, v[1:4], off
	scratch_load_b128 v[55:58], off, s19
	v_xor_b32_e32 v12, 0x80000000, v4
	v_mov_b32_e32 v11, v3
	v_add_nc_u32_e32 v5, 0x140, v53
	ds_store_b128 v53, v[9:12]
	s_wait_loadcnt 0x0
	ds_store_b128 v53, v[55:58] offset:320
	s_wait_storecnt_dscnt 0x0
	s_barrier_signal -1
	s_barrier_wait -1
	global_inv scope:SCOPE_SE
	s_and_saveexec_b32 s1, s0
	s_cbranch_execz .LBB19_19
; %bb.18:
	scratch_load_b128 v[1:4], v54, off
	ds_load_b128 v[6:9], v5
	v_mov_b32_e32 v10, 0
	ds_load_b128 v[55:58], v10 offset:16
	s_wait_loadcnt_dscnt 0x1
	v_mul_f64_e32 v[10:11], v[6:7], v[3:4]
	v_mul_f64_e32 v[3:4], v[8:9], v[3:4]
	s_delay_alu instid0(VALU_DEP_2) | instskip(NEXT) | instid1(VALU_DEP_2)
	v_fma_f64 v[8:9], v[8:9], v[1:2], v[10:11]
	v_fma_f64 v[1:2], v[6:7], v[1:2], -v[3:4]
	s_delay_alu instid0(VALU_DEP_2) | instskip(NEXT) | instid1(VALU_DEP_2)
	v_add_f64_e32 v[3:4], 0, v[8:9]
	v_add_f64_e32 v[1:2], 0, v[1:2]
	s_wait_dscnt 0x0
	s_delay_alu instid0(VALU_DEP_2) | instskip(NEXT) | instid1(VALU_DEP_2)
	v_mul_f64_e32 v[6:7], v[3:4], v[57:58]
	v_mul_f64_e32 v[8:9], v[1:2], v[57:58]
	s_delay_alu instid0(VALU_DEP_2) | instskip(NEXT) | instid1(VALU_DEP_2)
	v_fma_f64 v[1:2], v[1:2], v[55:56], -v[6:7]
	v_fma_f64 v[3:4], v[3:4], v[55:56], v[8:9]
	scratch_store_b128 off, v[1:4], off offset:32
.LBB19_19:
	s_wait_alu 0xfffe
	s_or_b32 exec_lo, exec_lo, s1
	s_wait_loadcnt 0x0
	s_wait_storecnt 0x0
	s_barrier_signal -1
	s_barrier_wait -1
	global_inv scope:SCOPE_SE
	scratch_load_b128 v[1:4], off, s13
	s_mov_b32 s1, exec_lo
	s_wait_loadcnt 0x0
	ds_store_b128 v5, v[1:4]
	s_wait_dscnt 0x0
	s_barrier_signal -1
	s_barrier_wait -1
	global_inv scope:SCOPE_SE
	v_cmpx_gt_u32_e32 2, v0
	s_cbranch_execz .LBB19_23
; %bb.20:
	scratch_load_b128 v[1:4], v54, off
	ds_load_b128 v[6:9], v5
	s_wait_loadcnt_dscnt 0x0
	v_mul_f64_e32 v[10:11], v[8:9], v[3:4]
	v_mul_f64_e32 v[3:4], v[6:7], v[3:4]
	s_delay_alu instid0(VALU_DEP_2) | instskip(NEXT) | instid1(VALU_DEP_2)
	v_fma_f64 v[6:7], v[6:7], v[1:2], -v[10:11]
	v_fma_f64 v[3:4], v[8:9], v[1:2], v[3:4]
	s_delay_alu instid0(VALU_DEP_2) | instskip(NEXT) | instid1(VALU_DEP_2)
	v_add_f64_e32 v[1:2], 0, v[6:7]
	v_add_f64_e32 v[3:4], 0, v[3:4]
	s_and_saveexec_b32 s28, s0
	s_cbranch_execz .LBB19_22
; %bb.21:
	scratch_load_b128 v[6:9], off, off offset:32
	v_mov_b32_e32 v10, 0
	ds_load_b128 v[55:58], v10 offset:336
	s_wait_loadcnt_dscnt 0x0
	v_mul_f64_e32 v[10:11], v[55:56], v[8:9]
	v_mul_f64_e32 v[8:9], v[57:58], v[8:9]
	s_delay_alu instid0(VALU_DEP_2) | instskip(NEXT) | instid1(VALU_DEP_2)
	v_fma_f64 v[10:11], v[57:58], v[6:7], v[10:11]
	v_fma_f64 v[6:7], v[55:56], v[6:7], -v[8:9]
	s_delay_alu instid0(VALU_DEP_2) | instskip(NEXT) | instid1(VALU_DEP_2)
	v_add_f64_e32 v[3:4], v[3:4], v[10:11]
	v_add_f64_e32 v[1:2], v[1:2], v[6:7]
.LBB19_22:
	s_or_b32 exec_lo, exec_lo, s28
	v_mov_b32_e32 v6, 0
	ds_load_b128 v[6:9], v6 offset:32
	s_wait_dscnt 0x0
	v_mul_f64_e32 v[10:11], v[3:4], v[8:9]
	v_mul_f64_e32 v[8:9], v[1:2], v[8:9]
	s_delay_alu instid0(VALU_DEP_2) | instskip(NEXT) | instid1(VALU_DEP_2)
	v_fma_f64 v[1:2], v[1:2], v[6:7], -v[10:11]
	v_fma_f64 v[3:4], v[3:4], v[6:7], v[8:9]
	scratch_store_b128 off, v[1:4], off offset:48
.LBB19_23:
	s_wait_alu 0xfffe
	s_or_b32 exec_lo, exec_lo, s1
	s_wait_loadcnt 0x0
	s_wait_storecnt 0x0
	s_barrier_signal -1
	s_barrier_wait -1
	global_inv scope:SCOPE_SE
	scratch_load_b128 v[1:4], off, s9
	v_add_nc_u32_e32 v6, -1, v0
	s_mov_b32 s0, exec_lo
	s_wait_loadcnt 0x0
	ds_store_b128 v5, v[1:4]
	s_wait_dscnt 0x0
	s_barrier_signal -1
	s_barrier_wait -1
	global_inv scope:SCOPE_SE
	v_cmpx_gt_u32_e32 3, v0
	s_cbranch_execz .LBB19_27
; %bb.24:
	v_dual_mov_b32 v1, 0 :: v_dual_add_nc_u32 v8, 0x140, v53
	v_mov_b32_e32 v3, 0
	v_dual_mov_b32 v2, 0 :: v_dual_add_nc_u32 v7, -1, v0
	v_mov_b32_e32 v4, 0
	v_or_b32_e32 v9, 8, v54
	s_mov_b32 s1, 0
.LBB19_25:                              ; =>This Inner Loop Header: Depth=1
	scratch_load_b128 v[55:58], v9, off offset:-8
	ds_load_b128 v[59:62], v8
	v_add_nc_u32_e32 v7, 1, v7
	v_add_nc_u32_e32 v8, 16, v8
	v_add_nc_u32_e32 v9, 16, v9
	s_delay_alu instid0(VALU_DEP_3)
	v_cmp_lt_u32_e32 vcc_lo, 1, v7
	s_wait_alu 0xfffe
	s_or_b32 s1, vcc_lo, s1
	s_wait_loadcnt_dscnt 0x0
	v_mul_f64_e32 v[10:11], v[61:62], v[57:58]
	v_mul_f64_e32 v[57:58], v[59:60], v[57:58]
	s_delay_alu instid0(VALU_DEP_2) | instskip(NEXT) | instid1(VALU_DEP_2)
	v_fma_f64 v[10:11], v[59:60], v[55:56], -v[10:11]
	v_fma_f64 v[55:56], v[61:62], v[55:56], v[57:58]
	s_delay_alu instid0(VALU_DEP_2) | instskip(NEXT) | instid1(VALU_DEP_2)
	v_add_f64_e32 v[3:4], v[3:4], v[10:11]
	v_add_f64_e32 v[1:2], v[1:2], v[55:56]
	s_wait_alu 0xfffe
	s_and_not1_b32 exec_lo, exec_lo, s1
	s_cbranch_execnz .LBB19_25
; %bb.26:
	s_or_b32 exec_lo, exec_lo, s1
	v_mov_b32_e32 v7, 0
	ds_load_b128 v[7:10], v7 offset:48
	s_wait_dscnt 0x0
	v_mul_f64_e32 v[11:12], v[1:2], v[9:10]
	v_mul_f64_e32 v[55:56], v[3:4], v[9:10]
	s_delay_alu instid0(VALU_DEP_2) | instskip(NEXT) | instid1(VALU_DEP_2)
	v_fma_f64 v[9:10], v[3:4], v[7:8], -v[11:12]
	v_fma_f64 v[11:12], v[1:2], v[7:8], v[55:56]
	scratch_store_b128 off, v[9:12], off offset:64
.LBB19_27:
	s_wait_alu 0xfffe
	s_or_b32 exec_lo, exec_lo, s0
	s_wait_loadcnt 0x0
	s_wait_storecnt 0x0
	s_barrier_signal -1
	s_barrier_wait -1
	global_inv scope:SCOPE_SE
	scratch_load_b128 v[1:4], off, s10
	s_mov_b32 s0, exec_lo
	s_wait_loadcnt 0x0
	ds_store_b128 v5, v[1:4]
	s_wait_dscnt 0x0
	s_barrier_signal -1
	s_barrier_wait -1
	global_inv scope:SCOPE_SE
	v_cmpx_gt_u32_e32 4, v0
	s_cbranch_execz .LBB19_31
; %bb.28:
	v_dual_mov_b32 v1, 0 :: v_dual_add_nc_u32 v8, 0x140, v53
	v_mov_b32_e32 v3, 0
	v_dual_mov_b32 v2, 0 :: v_dual_add_nc_u32 v7, -1, v0
	v_mov_b32_e32 v4, 0
	v_or_b32_e32 v9, 8, v54
	s_mov_b32 s1, 0
.LBB19_29:                              ; =>This Inner Loop Header: Depth=1
	scratch_load_b128 v[55:58], v9, off offset:-8
	ds_load_b128 v[59:62], v8
	v_add_nc_u32_e32 v7, 1, v7
	v_add_nc_u32_e32 v8, 16, v8
	v_add_nc_u32_e32 v9, 16, v9
	s_delay_alu instid0(VALU_DEP_3)
	v_cmp_lt_u32_e32 vcc_lo, 2, v7
	s_wait_alu 0xfffe
	s_or_b32 s1, vcc_lo, s1
	s_wait_loadcnt_dscnt 0x0
	v_mul_f64_e32 v[10:11], v[61:62], v[57:58]
	v_mul_f64_e32 v[57:58], v[59:60], v[57:58]
	s_delay_alu instid0(VALU_DEP_2) | instskip(NEXT) | instid1(VALU_DEP_2)
	v_fma_f64 v[10:11], v[59:60], v[55:56], -v[10:11]
	v_fma_f64 v[55:56], v[61:62], v[55:56], v[57:58]
	s_delay_alu instid0(VALU_DEP_2) | instskip(NEXT) | instid1(VALU_DEP_2)
	v_add_f64_e32 v[3:4], v[3:4], v[10:11]
	v_add_f64_e32 v[1:2], v[1:2], v[55:56]
	s_wait_alu 0xfffe
	s_and_not1_b32 exec_lo, exec_lo, s1
	s_cbranch_execnz .LBB19_29
; %bb.30:
	s_or_b32 exec_lo, exec_lo, s1
	v_mov_b32_e32 v7, 0
	ds_load_b128 v[7:10], v7 offset:64
	s_wait_dscnt 0x0
	v_mul_f64_e32 v[11:12], v[1:2], v[9:10]
	v_mul_f64_e32 v[55:56], v[3:4], v[9:10]
	s_delay_alu instid0(VALU_DEP_2) | instskip(NEXT) | instid1(VALU_DEP_2)
	v_fma_f64 v[9:10], v[3:4], v[7:8], -v[11:12]
	v_fma_f64 v[11:12], v[1:2], v[7:8], v[55:56]
	scratch_store_b128 off, v[9:12], off offset:80
.LBB19_31:
	s_wait_alu 0xfffe
	s_or_b32 exec_lo, exec_lo, s0
	s_wait_loadcnt 0x0
	s_wait_storecnt 0x0
	s_barrier_signal -1
	s_barrier_wait -1
	global_inv scope:SCOPE_SE
	scratch_load_b128 v[1:4], off, s4
	;; [unrolled: 58-line block ×16, first 2 shown]
	s_mov_b32 s0, exec_lo
	s_wait_loadcnt 0x0
	ds_store_b128 v5, v[1:4]
	s_wait_dscnt 0x0
	s_barrier_signal -1
	s_barrier_wait -1
	global_inv scope:SCOPE_SE
	v_cmpx_ne_u32_e32 19, v0
	s_cbranch_execz .LBB19_91
; %bb.88:
	v_mov_b32_e32 v1, 0
	v_dual_mov_b32 v2, 0 :: v_dual_mov_b32 v3, 0
	v_mov_b32_e32 v4, 0
	v_or_b32_e32 v7, 8, v54
	s_mov_b32 s1, 0
.LBB19_89:                              ; =>This Inner Loop Header: Depth=1
	scratch_load_b128 v[8:11], v7, off offset:-8
	ds_load_b128 v[53:56], v5
	v_add_nc_u32_e32 v6, 1, v6
	v_add_nc_u32_e32 v5, 16, v5
	;; [unrolled: 1-line block ×3, first 2 shown]
	s_delay_alu instid0(VALU_DEP_3)
	v_cmp_lt_u32_e32 vcc_lo, 17, v6
	s_wait_alu 0xfffe
	s_or_b32 s1, vcc_lo, s1
	s_wait_loadcnt_dscnt 0x0
	v_mul_f64_e32 v[57:58], v[55:56], v[10:11]
	v_mul_f64_e32 v[10:11], v[53:54], v[10:11]
	s_delay_alu instid0(VALU_DEP_2) | instskip(NEXT) | instid1(VALU_DEP_2)
	v_fma_f64 v[53:54], v[53:54], v[8:9], -v[57:58]
	v_fma_f64 v[8:9], v[55:56], v[8:9], v[10:11]
	s_delay_alu instid0(VALU_DEP_2) | instskip(NEXT) | instid1(VALU_DEP_2)
	v_add_f64_e32 v[3:4], v[3:4], v[53:54]
	v_add_f64_e32 v[1:2], v[1:2], v[8:9]
	s_wait_alu 0xfffe
	s_and_not1_b32 exec_lo, exec_lo, s1
	s_cbranch_execnz .LBB19_89
; %bb.90:
	s_or_b32 exec_lo, exec_lo, s1
	v_mov_b32_e32 v5, 0
	ds_load_b128 v[5:8], v5 offset:304
	s_wait_dscnt 0x0
	v_mul_f64_e32 v[9:10], v[1:2], v[7:8]
	v_mul_f64_e32 v[7:8], v[3:4], v[7:8]
	s_delay_alu instid0(VALU_DEP_2) | instskip(NEXT) | instid1(VALU_DEP_2)
	v_fma_f64 v[3:4], v[3:4], v[5:6], -v[9:10]
	v_fma_f64 v[5:6], v[1:2], v[5:6], v[7:8]
	scratch_store_b128 off, v[3:6], off offset:320
.LBB19_91:
	s_wait_alu 0xfffe
	s_or_b32 exec_lo, exec_lo, s0
	s_mov_b32 s1, -1
	s_wait_loadcnt 0x0
	s_wait_storecnt 0x0
	s_barrier_signal -1
	s_barrier_wait -1
	global_inv scope:SCOPE_SE
.LBB19_92:
	s_wait_alu 0xfffe
	s_and_b32 vcc_lo, exec_lo, s1
	s_wait_alu 0xfffe
	s_cbranch_vccz .LBB19_94
; %bb.93:
	v_mov_b32_e32 v1, 0
	s_lshl_b64 s[0:1], s[16:17], 2
	s_wait_alu 0xfffe
	s_add_nc_u64 s[0:1], s[6:7], s[0:1]
	global_load_b32 v1, v1, s[0:1]
	s_wait_loadcnt 0x0
	v_cmp_ne_u32_e32 vcc_lo, 0, v1
	s_cbranch_vccz .LBB19_95
.LBB19_94:
	s_nop 0
	s_sendmsg sendmsg(MSG_DEALLOC_VGPRS)
	s_endpgm
.LBB19_95:
	v_lshl_add_u32 v5, v0, 4, 0x140
	s_mov_b32 s0, exec_lo
	v_cmpx_eq_u32_e32 19, v0
	s_cbranch_execz .LBB19_97
; %bb.96:
	scratch_load_b128 v[1:4], off, s24
	v_mov_b32_e32 v6, 0
	s_delay_alu instid0(VALU_DEP_1)
	v_dual_mov_b32 v7, v6 :: v_dual_mov_b32 v8, v6
	v_mov_b32_e32 v9, v6
	scratch_store_b128 off, v[6:9], off offset:304
	s_wait_loadcnt 0x0
	ds_store_b128 v5, v[1:4]
.LBB19_97:
	s_wait_alu 0xfffe
	s_or_b32 exec_lo, exec_lo, s0
	s_wait_storecnt_dscnt 0x0
	s_barrier_signal -1
	s_barrier_wait -1
	global_inv scope:SCOPE_SE
	s_clause 0x1
	scratch_load_b128 v[6:9], off, off offset:320
	scratch_load_b128 v[53:56], off, off offset:304
	v_mov_b32_e32 v1, 0
	s_mov_b32 s0, exec_lo
	ds_load_b128 v[57:60], v1 offset:624
	s_wait_loadcnt_dscnt 0x100
	v_mul_f64_e32 v[2:3], v[59:60], v[8:9]
	v_mul_f64_e32 v[8:9], v[57:58], v[8:9]
	s_delay_alu instid0(VALU_DEP_2) | instskip(NEXT) | instid1(VALU_DEP_2)
	v_fma_f64 v[2:3], v[57:58], v[6:7], -v[2:3]
	v_fma_f64 v[6:7], v[59:60], v[6:7], v[8:9]
	s_delay_alu instid0(VALU_DEP_2) | instskip(NEXT) | instid1(VALU_DEP_2)
	v_add_f64_e32 v[2:3], 0, v[2:3]
	v_add_f64_e32 v[8:9], 0, v[6:7]
	s_wait_loadcnt 0x0
	s_delay_alu instid0(VALU_DEP_2) | instskip(NEXT) | instid1(VALU_DEP_2)
	v_add_f64_e64 v[6:7], v[53:54], -v[2:3]
	v_add_f64_e64 v[8:9], v[55:56], -v[8:9]
	scratch_store_b128 off, v[6:9], off offset:304
	v_cmpx_lt_u32_e32 17, v0
	s_cbranch_execz .LBB19_99
; %bb.98:
	scratch_load_b128 v[6:9], off, s15
	v_dual_mov_b32 v2, v1 :: v_dual_mov_b32 v3, v1
	v_mov_b32_e32 v4, v1
	scratch_store_b128 off, v[1:4], off offset:288
	s_wait_loadcnt 0x0
	ds_store_b128 v5, v[6:9]
.LBB19_99:
	s_wait_alu 0xfffe
	s_or_b32 exec_lo, exec_lo, s0
	s_wait_storecnt_dscnt 0x0
	s_barrier_signal -1
	s_barrier_wait -1
	global_inv scope:SCOPE_SE
	s_clause 0x2
	scratch_load_b128 v[6:9], off, off offset:304
	scratch_load_b128 v[53:56], off, off offset:320
	;; [unrolled: 1-line block ×3, first 2 shown]
	ds_load_b128 v[61:64], v1 offset:608
	ds_load_b128 v[1:4], v1 offset:624
	s_mov_b32 s0, exec_lo
	s_wait_loadcnt_dscnt 0x201
	v_mul_f64_e32 v[10:11], v[63:64], v[8:9]
	v_mul_f64_e32 v[8:9], v[61:62], v[8:9]
	s_wait_loadcnt_dscnt 0x100
	v_mul_f64_e32 v[65:66], v[1:2], v[55:56]
	v_mul_f64_e32 v[55:56], v[3:4], v[55:56]
	s_delay_alu instid0(VALU_DEP_4) | instskip(NEXT) | instid1(VALU_DEP_4)
	v_fma_f64 v[10:11], v[61:62], v[6:7], -v[10:11]
	v_fma_f64 v[6:7], v[63:64], v[6:7], v[8:9]
	s_delay_alu instid0(VALU_DEP_4) | instskip(NEXT) | instid1(VALU_DEP_4)
	v_fma_f64 v[3:4], v[3:4], v[53:54], v[65:66]
	v_fma_f64 v[1:2], v[1:2], v[53:54], -v[55:56]
	s_delay_alu instid0(VALU_DEP_4) | instskip(NEXT) | instid1(VALU_DEP_4)
	v_add_f64_e32 v[8:9], 0, v[10:11]
	v_add_f64_e32 v[6:7], 0, v[6:7]
	s_delay_alu instid0(VALU_DEP_2) | instskip(NEXT) | instid1(VALU_DEP_2)
	v_add_f64_e32 v[1:2], v[8:9], v[1:2]
	v_add_f64_e32 v[3:4], v[6:7], v[3:4]
	s_wait_loadcnt 0x0
	s_delay_alu instid0(VALU_DEP_2) | instskip(NEXT) | instid1(VALU_DEP_2)
	v_add_f64_e64 v[1:2], v[57:58], -v[1:2]
	v_add_f64_e64 v[3:4], v[59:60], -v[3:4]
	scratch_store_b128 off, v[1:4], off offset:288
	v_cmpx_lt_u32_e32 16, v0
	s_cbranch_execz .LBB19_101
; %bb.100:
	scratch_load_b128 v[1:4], off, s26
	v_mov_b32_e32 v6, 0
	s_delay_alu instid0(VALU_DEP_1)
	v_dual_mov_b32 v7, v6 :: v_dual_mov_b32 v8, v6
	v_mov_b32_e32 v9, v6
	scratch_store_b128 off, v[6:9], off offset:272
	s_wait_loadcnt 0x0
	ds_store_b128 v5, v[1:4]
.LBB19_101:
	s_wait_alu 0xfffe
	s_or_b32 exec_lo, exec_lo, s0
	s_wait_storecnt_dscnt 0x0
	s_barrier_signal -1
	s_barrier_wait -1
	global_inv scope:SCOPE_SE
	s_clause 0x3
	scratch_load_b128 v[6:9], off, off offset:288
	scratch_load_b128 v[53:56], off, off offset:304
	;; [unrolled: 1-line block ×4, first 2 shown]
	v_mov_b32_e32 v1, 0
	ds_load_b128 v[65:68], v1 offset:592
	ds_load_b128 v[69:72], v1 offset:608
	s_mov_b32 s0, exec_lo
	s_wait_loadcnt_dscnt 0x301
	v_mul_f64_e32 v[2:3], v[67:68], v[8:9]
	v_mul_f64_e32 v[8:9], v[65:66], v[8:9]
	s_wait_loadcnt_dscnt 0x200
	v_mul_f64_e32 v[10:11], v[69:70], v[55:56]
	v_mul_f64_e32 v[55:56], v[71:72], v[55:56]
	s_delay_alu instid0(VALU_DEP_4) | instskip(NEXT) | instid1(VALU_DEP_4)
	v_fma_f64 v[2:3], v[65:66], v[6:7], -v[2:3]
	v_fma_f64 v[65:66], v[67:68], v[6:7], v[8:9]
	ds_load_b128 v[6:9], v1 offset:624
	v_fma_f64 v[10:11], v[71:72], v[53:54], v[10:11]
	v_fma_f64 v[53:54], v[69:70], v[53:54], -v[55:56]
	s_wait_loadcnt_dscnt 0x100
	v_mul_f64_e32 v[67:68], v[6:7], v[59:60]
	v_mul_f64_e32 v[59:60], v[8:9], v[59:60]
	v_add_f64_e32 v[2:3], 0, v[2:3]
	v_add_f64_e32 v[55:56], 0, v[65:66]
	s_delay_alu instid0(VALU_DEP_4) | instskip(NEXT) | instid1(VALU_DEP_4)
	v_fma_f64 v[8:9], v[8:9], v[57:58], v[67:68]
	v_fma_f64 v[6:7], v[6:7], v[57:58], -v[59:60]
	s_delay_alu instid0(VALU_DEP_4) | instskip(NEXT) | instid1(VALU_DEP_4)
	v_add_f64_e32 v[2:3], v[2:3], v[53:54]
	v_add_f64_e32 v[10:11], v[55:56], v[10:11]
	s_delay_alu instid0(VALU_DEP_2) | instskip(NEXT) | instid1(VALU_DEP_2)
	v_add_f64_e32 v[2:3], v[2:3], v[6:7]
	v_add_f64_e32 v[8:9], v[10:11], v[8:9]
	s_wait_loadcnt 0x0
	s_delay_alu instid0(VALU_DEP_2) | instskip(NEXT) | instid1(VALU_DEP_2)
	v_add_f64_e64 v[6:7], v[61:62], -v[2:3]
	v_add_f64_e64 v[8:9], v[63:64], -v[8:9]
	scratch_store_b128 off, v[6:9], off offset:272
	v_cmpx_lt_u32_e32 15, v0
	s_cbranch_execz .LBB19_103
; %bb.102:
	scratch_load_b128 v[6:9], off, s23
	v_dual_mov_b32 v2, v1 :: v_dual_mov_b32 v3, v1
	v_mov_b32_e32 v4, v1
	scratch_store_b128 off, v[1:4], off offset:256
	s_wait_loadcnt 0x0
	ds_store_b128 v5, v[6:9]
.LBB19_103:
	s_wait_alu 0xfffe
	s_or_b32 exec_lo, exec_lo, s0
	s_wait_storecnt_dscnt 0x0
	s_barrier_signal -1
	s_barrier_wait -1
	global_inv scope:SCOPE_SE
	s_clause 0x4
	scratch_load_b128 v[6:9], off, off offset:272
	scratch_load_b128 v[53:56], off, off offset:288
	;; [unrolled: 1-line block ×5, first 2 shown]
	ds_load_b128 v[69:72], v1 offset:576
	ds_load_b128 v[73:76], v1 offset:592
	s_mov_b32 s0, exec_lo
	s_wait_loadcnt_dscnt 0x401
	v_mul_f64_e32 v[2:3], v[71:72], v[8:9]
	v_mul_f64_e32 v[8:9], v[69:70], v[8:9]
	s_wait_loadcnt_dscnt 0x300
	v_mul_f64_e32 v[10:11], v[73:74], v[55:56]
	v_mul_f64_e32 v[55:56], v[75:76], v[55:56]
	s_delay_alu instid0(VALU_DEP_4) | instskip(NEXT) | instid1(VALU_DEP_4)
	v_fma_f64 v[69:70], v[69:70], v[6:7], -v[2:3]
	v_fma_f64 v[71:72], v[71:72], v[6:7], v[8:9]
	ds_load_b128 v[6:9], v1 offset:608
	ds_load_b128 v[1:4], v1 offset:624
	v_fma_f64 v[10:11], v[75:76], v[53:54], v[10:11]
	v_fma_f64 v[53:54], v[73:74], v[53:54], -v[55:56]
	s_wait_loadcnt_dscnt 0x201
	v_mul_f64_e32 v[77:78], v[6:7], v[59:60]
	v_mul_f64_e32 v[59:60], v[8:9], v[59:60]
	v_add_f64_e32 v[55:56], 0, v[69:70]
	v_add_f64_e32 v[69:70], 0, v[71:72]
	s_wait_loadcnt_dscnt 0x100
	v_mul_f64_e32 v[71:72], v[1:2], v[63:64]
	v_mul_f64_e32 v[63:64], v[3:4], v[63:64]
	v_fma_f64 v[8:9], v[8:9], v[57:58], v[77:78]
	v_fma_f64 v[6:7], v[6:7], v[57:58], -v[59:60]
	v_add_f64_e32 v[53:54], v[55:56], v[53:54]
	v_add_f64_e32 v[10:11], v[69:70], v[10:11]
	v_fma_f64 v[3:4], v[3:4], v[61:62], v[71:72]
	v_fma_f64 v[1:2], v[1:2], v[61:62], -v[63:64]
	s_delay_alu instid0(VALU_DEP_4) | instskip(NEXT) | instid1(VALU_DEP_4)
	v_add_f64_e32 v[6:7], v[53:54], v[6:7]
	v_add_f64_e32 v[8:9], v[10:11], v[8:9]
	s_delay_alu instid0(VALU_DEP_2) | instskip(NEXT) | instid1(VALU_DEP_2)
	v_add_f64_e32 v[1:2], v[6:7], v[1:2]
	v_add_f64_e32 v[3:4], v[8:9], v[3:4]
	s_wait_loadcnt 0x0
	s_delay_alu instid0(VALU_DEP_2) | instskip(NEXT) | instid1(VALU_DEP_2)
	v_add_f64_e64 v[1:2], v[65:66], -v[1:2]
	v_add_f64_e64 v[3:4], v[67:68], -v[3:4]
	scratch_store_b128 off, v[1:4], off offset:256
	v_cmpx_lt_u32_e32 14, v0
	s_cbranch_execz .LBB19_105
; %bb.104:
	scratch_load_b128 v[1:4], off, s25
	v_mov_b32_e32 v6, 0
	s_delay_alu instid0(VALU_DEP_1)
	v_dual_mov_b32 v7, v6 :: v_dual_mov_b32 v8, v6
	v_mov_b32_e32 v9, v6
	scratch_store_b128 off, v[6:9], off offset:240
	s_wait_loadcnt 0x0
	ds_store_b128 v5, v[1:4]
.LBB19_105:
	s_wait_alu 0xfffe
	s_or_b32 exec_lo, exec_lo, s0
	s_wait_storecnt_dscnt 0x0
	s_barrier_signal -1
	s_barrier_wait -1
	global_inv scope:SCOPE_SE
	s_clause 0x5
	scratch_load_b128 v[6:9], off, off offset:256
	scratch_load_b128 v[53:56], off, off offset:272
	;; [unrolled: 1-line block ×6, first 2 shown]
	v_mov_b32_e32 v1, 0
	ds_load_b128 v[73:76], v1 offset:560
	ds_load_b128 v[77:80], v1 offset:576
	s_mov_b32 s0, exec_lo
	s_wait_loadcnt_dscnt 0x501
	v_mul_f64_e32 v[2:3], v[75:76], v[8:9]
	v_mul_f64_e32 v[8:9], v[73:74], v[8:9]
	s_wait_loadcnt_dscnt 0x400
	v_mul_f64_e32 v[10:11], v[77:78], v[55:56]
	v_mul_f64_e32 v[55:56], v[79:80], v[55:56]
	s_delay_alu instid0(VALU_DEP_4) | instskip(NEXT) | instid1(VALU_DEP_4)
	v_fma_f64 v[2:3], v[73:74], v[6:7], -v[2:3]
	v_fma_f64 v[81:82], v[75:76], v[6:7], v[8:9]
	ds_load_b128 v[6:9], v1 offset:592
	ds_load_b128 v[73:76], v1 offset:608
	v_fma_f64 v[10:11], v[79:80], v[53:54], v[10:11]
	v_fma_f64 v[53:54], v[77:78], v[53:54], -v[55:56]
	s_wait_loadcnt_dscnt 0x301
	v_mul_f64_e32 v[83:84], v[6:7], v[59:60]
	v_mul_f64_e32 v[59:60], v[8:9], v[59:60]
	s_wait_loadcnt_dscnt 0x200
	v_mul_f64_e32 v[77:78], v[73:74], v[63:64]
	v_mul_f64_e32 v[63:64], v[75:76], v[63:64]
	v_add_f64_e32 v[2:3], 0, v[2:3]
	v_add_f64_e32 v[55:56], 0, v[81:82]
	v_fma_f64 v[79:80], v[8:9], v[57:58], v[83:84]
	v_fma_f64 v[57:58], v[6:7], v[57:58], -v[59:60]
	ds_load_b128 v[6:9], v1 offset:624
	v_fma_f64 v[59:60], v[75:76], v[61:62], v[77:78]
	v_fma_f64 v[61:62], v[73:74], v[61:62], -v[63:64]
	v_add_f64_e32 v[2:3], v[2:3], v[53:54]
	v_add_f64_e32 v[10:11], v[55:56], v[10:11]
	s_wait_loadcnt_dscnt 0x100
	v_mul_f64_e32 v[53:54], v[6:7], v[67:68]
	v_mul_f64_e32 v[55:56], v[8:9], v[67:68]
	s_delay_alu instid0(VALU_DEP_4) | instskip(NEXT) | instid1(VALU_DEP_4)
	v_add_f64_e32 v[2:3], v[2:3], v[57:58]
	v_add_f64_e32 v[10:11], v[10:11], v[79:80]
	s_delay_alu instid0(VALU_DEP_4) | instskip(NEXT) | instid1(VALU_DEP_4)
	v_fma_f64 v[8:9], v[8:9], v[65:66], v[53:54]
	v_fma_f64 v[6:7], v[6:7], v[65:66], -v[55:56]
	s_delay_alu instid0(VALU_DEP_4) | instskip(NEXT) | instid1(VALU_DEP_4)
	v_add_f64_e32 v[2:3], v[2:3], v[61:62]
	v_add_f64_e32 v[10:11], v[10:11], v[59:60]
	s_delay_alu instid0(VALU_DEP_2) | instskip(NEXT) | instid1(VALU_DEP_2)
	v_add_f64_e32 v[2:3], v[2:3], v[6:7]
	v_add_f64_e32 v[8:9], v[10:11], v[8:9]
	s_wait_loadcnt 0x0
	s_delay_alu instid0(VALU_DEP_2) | instskip(NEXT) | instid1(VALU_DEP_2)
	v_add_f64_e64 v[6:7], v[69:70], -v[2:3]
	v_add_f64_e64 v[8:9], v[71:72], -v[8:9]
	scratch_store_b128 off, v[6:9], off offset:240
	v_cmpx_lt_u32_e32 13, v0
	s_cbranch_execz .LBB19_107
; %bb.106:
	scratch_load_b128 v[6:9], off, s21
	v_dual_mov_b32 v2, v1 :: v_dual_mov_b32 v3, v1
	v_mov_b32_e32 v4, v1
	scratch_store_b128 off, v[1:4], off offset:224
	s_wait_loadcnt 0x0
	ds_store_b128 v5, v[6:9]
.LBB19_107:
	s_wait_alu 0xfffe
	s_or_b32 exec_lo, exec_lo, s0
	s_wait_storecnt_dscnt 0x0
	s_barrier_signal -1
	s_barrier_wait -1
	global_inv scope:SCOPE_SE
	s_clause 0x5
	scratch_load_b128 v[6:9], off, off offset:240
	scratch_load_b128 v[53:56], off, off offset:256
	;; [unrolled: 1-line block ×6, first 2 shown]
	ds_load_b128 v[73:76], v1 offset:544
	ds_load_b128 v[81:84], v1 offset:560
	scratch_load_b128 v[77:80], off, off offset:224
	s_mov_b32 s0, exec_lo
	s_wait_loadcnt_dscnt 0x601
	v_mul_f64_e32 v[2:3], v[75:76], v[8:9]
	v_mul_f64_e32 v[8:9], v[73:74], v[8:9]
	s_wait_loadcnt_dscnt 0x500
	v_mul_f64_e32 v[10:11], v[81:82], v[55:56]
	v_mul_f64_e32 v[55:56], v[83:84], v[55:56]
	s_delay_alu instid0(VALU_DEP_4) | instskip(NEXT) | instid1(VALU_DEP_4)
	v_fma_f64 v[2:3], v[73:74], v[6:7], -v[2:3]
	v_fma_f64 v[85:86], v[75:76], v[6:7], v[8:9]
	ds_load_b128 v[6:9], v1 offset:576
	ds_load_b128 v[73:76], v1 offset:592
	v_fma_f64 v[10:11], v[83:84], v[53:54], v[10:11]
	v_fma_f64 v[53:54], v[81:82], v[53:54], -v[55:56]
	s_wait_loadcnt_dscnt 0x401
	v_mul_f64_e32 v[87:88], v[6:7], v[59:60]
	v_mul_f64_e32 v[59:60], v[8:9], v[59:60]
	s_wait_loadcnt_dscnt 0x300
	v_mul_f64_e32 v[81:82], v[73:74], v[63:64]
	v_mul_f64_e32 v[63:64], v[75:76], v[63:64]
	v_add_f64_e32 v[2:3], 0, v[2:3]
	v_add_f64_e32 v[55:56], 0, v[85:86]
	v_fma_f64 v[83:84], v[8:9], v[57:58], v[87:88]
	v_fma_f64 v[57:58], v[6:7], v[57:58], -v[59:60]
	s_delay_alu instid0(VALU_DEP_4) | instskip(NEXT) | instid1(VALU_DEP_4)
	v_add_f64_e32 v[53:54], v[2:3], v[53:54]
	v_add_f64_e32 v[10:11], v[55:56], v[10:11]
	ds_load_b128 v[6:9], v1 offset:608
	ds_load_b128 v[1:4], v1 offset:624
	s_wait_loadcnt_dscnt 0x201
	v_mul_f64_e32 v[55:56], v[6:7], v[67:68]
	v_mul_f64_e32 v[59:60], v[8:9], v[67:68]
	v_fma_f64 v[67:68], v[75:76], v[61:62], v[81:82]
	v_fma_f64 v[61:62], v[73:74], v[61:62], -v[63:64]
	s_wait_loadcnt_dscnt 0x100
	v_mul_f64_e32 v[63:64], v[3:4], v[71:72]
	v_add_f64_e32 v[53:54], v[53:54], v[57:58]
	v_add_f64_e32 v[10:11], v[10:11], v[83:84]
	v_mul_f64_e32 v[57:58], v[1:2], v[71:72]
	v_fma_f64 v[8:9], v[8:9], v[65:66], v[55:56]
	v_fma_f64 v[6:7], v[6:7], v[65:66], -v[59:60]
	v_fma_f64 v[1:2], v[1:2], v[69:70], -v[63:64]
	v_add_f64_e32 v[53:54], v[53:54], v[61:62]
	v_add_f64_e32 v[10:11], v[10:11], v[67:68]
	v_fma_f64 v[3:4], v[3:4], v[69:70], v[57:58]
	s_delay_alu instid0(VALU_DEP_3) | instskip(NEXT) | instid1(VALU_DEP_3)
	v_add_f64_e32 v[6:7], v[53:54], v[6:7]
	v_add_f64_e32 v[8:9], v[10:11], v[8:9]
	s_delay_alu instid0(VALU_DEP_2) | instskip(NEXT) | instid1(VALU_DEP_2)
	v_add_f64_e32 v[1:2], v[6:7], v[1:2]
	v_add_f64_e32 v[3:4], v[8:9], v[3:4]
	s_wait_loadcnt 0x0
	s_delay_alu instid0(VALU_DEP_2) | instskip(NEXT) | instid1(VALU_DEP_2)
	v_add_f64_e64 v[1:2], v[77:78], -v[1:2]
	v_add_f64_e64 v[3:4], v[79:80], -v[3:4]
	scratch_store_b128 off, v[1:4], off offset:224
	v_cmpx_lt_u32_e32 12, v0
	s_cbranch_execz .LBB19_109
; %bb.108:
	scratch_load_b128 v[1:4], off, s22
	v_mov_b32_e32 v6, 0
	s_delay_alu instid0(VALU_DEP_1)
	v_dual_mov_b32 v7, v6 :: v_dual_mov_b32 v8, v6
	v_mov_b32_e32 v9, v6
	scratch_store_b128 off, v[6:9], off offset:208
	s_wait_loadcnt 0x0
	ds_store_b128 v5, v[1:4]
.LBB19_109:
	s_wait_alu 0xfffe
	s_or_b32 exec_lo, exec_lo, s0
	s_wait_storecnt_dscnt 0x0
	s_barrier_signal -1
	s_barrier_wait -1
	global_inv scope:SCOPE_SE
	s_clause 0x6
	scratch_load_b128 v[6:9], off, off offset:224
	scratch_load_b128 v[53:56], off, off offset:240
	;; [unrolled: 1-line block ×7, first 2 shown]
	v_mov_b32_e32 v1, 0
	scratch_load_b128 v[81:84], off, off offset:208
	s_mov_b32 s0, exec_lo
	ds_load_b128 v[77:80], v1 offset:528
	ds_load_b128 v[85:88], v1 offset:544
	s_wait_loadcnt_dscnt 0x701
	v_mul_f64_e32 v[2:3], v[79:80], v[8:9]
	v_mul_f64_e32 v[8:9], v[77:78], v[8:9]
	s_wait_loadcnt_dscnt 0x600
	v_mul_f64_e32 v[10:11], v[85:86], v[55:56]
	v_mul_f64_e32 v[55:56], v[87:88], v[55:56]
	s_delay_alu instid0(VALU_DEP_4) | instskip(NEXT) | instid1(VALU_DEP_4)
	v_fma_f64 v[2:3], v[77:78], v[6:7], -v[2:3]
	v_fma_f64 v[89:90], v[79:80], v[6:7], v[8:9]
	ds_load_b128 v[6:9], v1 offset:560
	ds_load_b128 v[77:80], v1 offset:576
	v_fma_f64 v[10:11], v[87:88], v[53:54], v[10:11]
	v_fma_f64 v[53:54], v[85:86], v[53:54], -v[55:56]
	s_wait_loadcnt_dscnt 0x501
	v_mul_f64_e32 v[91:92], v[6:7], v[59:60]
	v_mul_f64_e32 v[59:60], v[8:9], v[59:60]
	s_wait_loadcnt_dscnt 0x400
	v_mul_f64_e32 v[85:86], v[77:78], v[63:64]
	v_mul_f64_e32 v[63:64], v[79:80], v[63:64]
	v_add_f64_e32 v[2:3], 0, v[2:3]
	v_add_f64_e32 v[55:56], 0, v[89:90]
	v_fma_f64 v[87:88], v[8:9], v[57:58], v[91:92]
	v_fma_f64 v[57:58], v[6:7], v[57:58], -v[59:60]
	v_fma_f64 v[79:80], v[79:80], v[61:62], v[85:86]
	v_fma_f64 v[61:62], v[77:78], v[61:62], -v[63:64]
	v_add_f64_e32 v[2:3], v[2:3], v[53:54]
	v_add_f64_e32 v[10:11], v[55:56], v[10:11]
	ds_load_b128 v[6:9], v1 offset:592
	ds_load_b128 v[53:56], v1 offset:608
	s_wait_loadcnt_dscnt 0x301
	v_mul_f64_e32 v[59:60], v[6:7], v[67:68]
	v_mul_f64_e32 v[67:68], v[8:9], v[67:68]
	s_wait_loadcnt_dscnt 0x200
	v_mul_f64_e32 v[63:64], v[55:56], v[71:72]
	v_add_f64_e32 v[2:3], v[2:3], v[57:58]
	v_add_f64_e32 v[10:11], v[10:11], v[87:88]
	v_mul_f64_e32 v[57:58], v[53:54], v[71:72]
	v_fma_f64 v[59:60], v[8:9], v[65:66], v[59:60]
	v_fma_f64 v[65:66], v[6:7], v[65:66], -v[67:68]
	ds_load_b128 v[6:9], v1 offset:624
	v_fma_f64 v[53:54], v[53:54], v[69:70], -v[63:64]
	v_add_f64_e32 v[2:3], v[2:3], v[61:62]
	v_add_f64_e32 v[10:11], v[10:11], v[79:80]
	v_fma_f64 v[55:56], v[55:56], v[69:70], v[57:58]
	s_wait_loadcnt_dscnt 0x100
	v_mul_f64_e32 v[61:62], v[6:7], v[75:76]
	v_mul_f64_e32 v[67:68], v[8:9], v[75:76]
	v_add_f64_e32 v[2:3], v[2:3], v[65:66]
	v_add_f64_e32 v[10:11], v[10:11], v[59:60]
	s_delay_alu instid0(VALU_DEP_4) | instskip(NEXT) | instid1(VALU_DEP_4)
	v_fma_f64 v[8:9], v[8:9], v[73:74], v[61:62]
	v_fma_f64 v[6:7], v[6:7], v[73:74], -v[67:68]
	s_delay_alu instid0(VALU_DEP_4) | instskip(NEXT) | instid1(VALU_DEP_4)
	v_add_f64_e32 v[2:3], v[2:3], v[53:54]
	v_add_f64_e32 v[10:11], v[10:11], v[55:56]
	s_delay_alu instid0(VALU_DEP_2) | instskip(NEXT) | instid1(VALU_DEP_2)
	v_add_f64_e32 v[2:3], v[2:3], v[6:7]
	v_add_f64_e32 v[8:9], v[10:11], v[8:9]
	s_wait_loadcnt 0x0
	s_delay_alu instid0(VALU_DEP_2) | instskip(NEXT) | instid1(VALU_DEP_2)
	v_add_f64_e64 v[6:7], v[81:82], -v[2:3]
	v_add_f64_e64 v[8:9], v[83:84], -v[8:9]
	scratch_store_b128 off, v[6:9], off offset:208
	v_cmpx_lt_u32_e32 11, v0
	s_cbranch_execz .LBB19_111
; %bb.110:
	scratch_load_b128 v[6:9], off, s14
	v_dual_mov_b32 v2, v1 :: v_dual_mov_b32 v3, v1
	v_mov_b32_e32 v4, v1
	scratch_store_b128 off, v[1:4], off offset:192
	s_wait_loadcnt 0x0
	ds_store_b128 v5, v[6:9]
.LBB19_111:
	s_wait_alu 0xfffe
	s_or_b32 exec_lo, exec_lo, s0
	s_wait_storecnt_dscnt 0x0
	s_barrier_signal -1
	s_barrier_wait -1
	global_inv scope:SCOPE_SE
	s_clause 0x7
	scratch_load_b128 v[6:9], off, off offset:208
	scratch_load_b128 v[53:56], off, off offset:224
	;; [unrolled: 1-line block ×8, first 2 shown]
	ds_load_b128 v[81:84], v1 offset:512
	s_mov_b32 s0, exec_lo
	s_wait_loadcnt_dscnt 0x700
	v_mul_f64_e32 v[2:3], v[83:84], v[8:9]
	v_mul_f64_e32 v[85:86], v[81:82], v[8:9]
	ds_load_b128 v[8:11], v1 offset:528
	v_fma_f64 v[2:3], v[81:82], v[6:7], -v[2:3]
	v_fma_f64 v[6:7], v[83:84], v[6:7], v[85:86]
	ds_load_b128 v[81:84], v1 offset:544
	s_wait_loadcnt_dscnt 0x601
	v_mul_f64_e32 v[89:90], v[8:9], v[55:56]
	v_mul_f64_e32 v[55:56], v[10:11], v[55:56]
	scratch_load_b128 v[85:88], off, off offset:192
	s_wait_loadcnt_dscnt 0x600
	v_mul_f64_e32 v[91:92], v[81:82], v[59:60]
	v_mul_f64_e32 v[59:60], v[83:84], v[59:60]
	v_add_f64_e32 v[2:3], 0, v[2:3]
	v_fma_f64 v[10:11], v[10:11], v[53:54], v[89:90]
	v_fma_f64 v[53:54], v[8:9], v[53:54], -v[55:56]
	v_add_f64_e32 v[55:56], 0, v[6:7]
	ds_load_b128 v[6:9], v1 offset:560
	v_fma_f64 v[83:84], v[83:84], v[57:58], v[91:92]
	v_fma_f64 v[57:58], v[81:82], v[57:58], -v[59:60]
	v_add_f64_e32 v[2:3], v[2:3], v[53:54]
	v_add_f64_e32 v[10:11], v[55:56], v[10:11]
	ds_load_b128 v[53:56], v1 offset:576
	s_wait_loadcnt_dscnt 0x501
	v_mul_f64_e32 v[89:90], v[6:7], v[63:64]
	v_mul_f64_e32 v[63:64], v[8:9], v[63:64]
	s_wait_loadcnt_dscnt 0x400
	v_mul_f64_e32 v[59:60], v[53:54], v[67:68]
	v_mul_f64_e32 v[67:68], v[55:56], v[67:68]
	v_add_f64_e32 v[2:3], v[2:3], v[57:58]
	v_add_f64_e32 v[10:11], v[10:11], v[83:84]
	v_fma_f64 v[81:82], v[8:9], v[61:62], v[89:90]
	v_fma_f64 v[61:62], v[6:7], v[61:62], -v[63:64]
	ds_load_b128 v[6:9], v1 offset:592
	v_fma_f64 v[59:60], v[55:56], v[65:66], v[59:60]
	v_fma_f64 v[65:66], v[53:54], v[65:66], -v[67:68]
	ds_load_b128 v[53:56], v1 offset:608
	s_wait_loadcnt_dscnt 0x301
	v_mul_f64_e32 v[57:58], v[6:7], v[71:72]
	v_mul_f64_e32 v[63:64], v[8:9], v[71:72]
	v_add_f64_e32 v[10:11], v[10:11], v[81:82]
	v_add_f64_e32 v[2:3], v[2:3], v[61:62]
	s_wait_loadcnt_dscnt 0x200
	v_mul_f64_e32 v[61:62], v[53:54], v[75:76]
	v_mul_f64_e32 v[67:68], v[55:56], v[75:76]
	v_fma_f64 v[8:9], v[8:9], v[69:70], v[57:58]
	v_fma_f64 v[6:7], v[6:7], v[69:70], -v[63:64]
	v_add_f64_e32 v[10:11], v[10:11], v[59:60]
	v_add_f64_e32 v[57:58], v[2:3], v[65:66]
	ds_load_b128 v[1:4], v1 offset:624
	v_fma_f64 v[55:56], v[55:56], v[73:74], v[61:62]
	v_fma_f64 v[53:54], v[53:54], v[73:74], -v[67:68]
	s_wait_loadcnt_dscnt 0x100
	v_mul_f64_e32 v[59:60], v[1:2], v[79:80]
	v_mul_f64_e32 v[63:64], v[3:4], v[79:80]
	v_add_f64_e32 v[8:9], v[10:11], v[8:9]
	v_add_f64_e32 v[6:7], v[57:58], v[6:7]
	s_delay_alu instid0(VALU_DEP_4) | instskip(NEXT) | instid1(VALU_DEP_4)
	v_fma_f64 v[3:4], v[3:4], v[77:78], v[59:60]
	v_fma_f64 v[1:2], v[1:2], v[77:78], -v[63:64]
	s_delay_alu instid0(VALU_DEP_4) | instskip(NEXT) | instid1(VALU_DEP_4)
	v_add_f64_e32 v[8:9], v[8:9], v[55:56]
	v_add_f64_e32 v[6:7], v[6:7], v[53:54]
	s_delay_alu instid0(VALU_DEP_2) | instskip(NEXT) | instid1(VALU_DEP_2)
	v_add_f64_e32 v[3:4], v[8:9], v[3:4]
	v_add_f64_e32 v[1:2], v[6:7], v[1:2]
	s_wait_loadcnt 0x0
	s_delay_alu instid0(VALU_DEP_2) | instskip(NEXT) | instid1(VALU_DEP_2)
	v_add_f64_e64 v[3:4], v[87:88], -v[3:4]
	v_add_f64_e64 v[1:2], v[85:86], -v[1:2]
	scratch_store_b128 off, v[1:4], off offset:192
	v_cmpx_lt_u32_e32 10, v0
	s_cbranch_execz .LBB19_113
; %bb.112:
	scratch_load_b128 v[1:4], off, s20
	v_mov_b32_e32 v6, 0
	s_delay_alu instid0(VALU_DEP_1)
	v_dual_mov_b32 v7, v6 :: v_dual_mov_b32 v8, v6
	v_mov_b32_e32 v9, v6
	scratch_store_b128 off, v[6:9], off offset:176
	s_wait_loadcnt 0x0
	ds_store_b128 v5, v[1:4]
.LBB19_113:
	s_wait_alu 0xfffe
	s_or_b32 exec_lo, exec_lo, s0
	s_wait_storecnt_dscnt 0x0
	s_barrier_signal -1
	s_barrier_wait -1
	global_inv scope:SCOPE_SE
	s_clause 0x7
	scratch_load_b128 v[6:9], off, off offset:192
	scratch_load_b128 v[53:56], off, off offset:208
	;; [unrolled: 1-line block ×8, first 2 shown]
	v_mov_b32_e32 v1, 0
	scratch_load_b128 v[85:88], off, off offset:320
	s_mov_b32 s0, exec_lo
	ds_load_b128 v[81:84], v1 offset:496
	s_wait_loadcnt_dscnt 0x800
	v_mul_f64_e32 v[2:3], v[83:84], v[8:9]
	v_mul_f64_e32 v[89:90], v[81:82], v[8:9]
	ds_load_b128 v[8:11], v1 offset:512
	v_fma_f64 v[2:3], v[81:82], v[6:7], -v[2:3]
	v_fma_f64 v[6:7], v[83:84], v[6:7], v[89:90]
	ds_load_b128 v[81:84], v1 offset:528
	s_wait_loadcnt_dscnt 0x701
	v_mul_f64_e32 v[91:92], v[8:9], v[55:56]
	v_mul_f64_e32 v[55:56], v[10:11], v[55:56]
	s_wait_loadcnt_dscnt 0x600
	v_mul_f64_e32 v[89:90], v[81:82], v[59:60]
	v_mul_f64_e32 v[59:60], v[83:84], v[59:60]
	v_add_f64_e32 v[2:3], 0, v[2:3]
	v_add_f64_e32 v[93:94], 0, v[6:7]
	v_fma_f64 v[10:11], v[10:11], v[53:54], v[91:92]
	v_fma_f64 v[91:92], v[8:9], v[53:54], -v[55:56]
	ds_load_b128 v[6:9], v1 offset:544
	scratch_load_b128 v[53:56], off, off offset:176
	v_fma_f64 v[83:84], v[83:84], v[57:58], v[89:90]
	v_fma_f64 v[81:82], v[81:82], v[57:58], -v[59:60]
	ds_load_b128 v[57:60], v1 offset:560
	s_wait_loadcnt_dscnt 0x601
	v_mul_f64_e32 v[95:96], v[6:7], v[63:64]
	v_mul_f64_e32 v[63:64], v[8:9], v[63:64]
	v_add_f64_e32 v[10:11], v[93:94], v[10:11]
	v_add_f64_e32 v[2:3], v[2:3], v[91:92]
	s_wait_loadcnt_dscnt 0x500
	v_mul_f64_e32 v[89:90], v[57:58], v[67:68]
	v_mul_f64_e32 v[67:68], v[59:60], v[67:68]
	v_fma_f64 v[91:92], v[8:9], v[61:62], v[95:96]
	v_fma_f64 v[61:62], v[6:7], v[61:62], -v[63:64]
	ds_load_b128 v[6:9], v1 offset:576
	v_add_f64_e32 v[10:11], v[10:11], v[83:84]
	v_add_f64_e32 v[2:3], v[2:3], v[81:82]
	v_fma_f64 v[81:82], v[59:60], v[65:66], v[89:90]
	v_fma_f64 v[65:66], v[57:58], v[65:66], -v[67:68]
	ds_load_b128 v[57:60], v1 offset:592
	s_wait_loadcnt_dscnt 0x401
	v_mul_f64_e32 v[63:64], v[6:7], v[71:72]
	v_mul_f64_e32 v[71:72], v[8:9], v[71:72]
	s_wait_loadcnt_dscnt 0x300
	v_mul_f64_e32 v[67:68], v[59:60], v[75:76]
	v_add_f64_e32 v[10:11], v[10:11], v[91:92]
	v_add_f64_e32 v[2:3], v[2:3], v[61:62]
	v_mul_f64_e32 v[61:62], v[57:58], v[75:76]
	v_fma_f64 v[63:64], v[8:9], v[69:70], v[63:64]
	v_fma_f64 v[69:70], v[6:7], v[69:70], -v[71:72]
	ds_load_b128 v[6:9], v1 offset:608
	v_fma_f64 v[67:68], v[57:58], v[73:74], -v[67:68]
	v_add_f64_e32 v[10:11], v[10:11], v[81:82]
	v_add_f64_e32 v[2:3], v[2:3], v[65:66]
	v_fma_f64 v[61:62], v[59:60], v[73:74], v[61:62]
	ds_load_b128 v[57:60], v1 offset:624
	s_wait_loadcnt_dscnt 0x201
	v_mul_f64_e32 v[65:66], v[6:7], v[79:80]
	v_mul_f64_e32 v[71:72], v[8:9], v[79:80]
	v_add_f64_e32 v[10:11], v[10:11], v[63:64]
	v_add_f64_e32 v[2:3], v[2:3], v[69:70]
	s_wait_loadcnt_dscnt 0x100
	v_mul_f64_e32 v[63:64], v[57:58], v[87:88]
	v_mul_f64_e32 v[69:70], v[59:60], v[87:88]
	v_fma_f64 v[8:9], v[8:9], v[77:78], v[65:66]
	v_fma_f64 v[6:7], v[6:7], v[77:78], -v[71:72]
	v_add_f64_e32 v[10:11], v[10:11], v[61:62]
	v_add_f64_e32 v[2:3], v[2:3], v[67:68]
	v_fma_f64 v[59:60], v[59:60], v[85:86], v[63:64]
	v_fma_f64 v[57:58], v[57:58], v[85:86], -v[69:70]
	s_delay_alu instid0(VALU_DEP_3) | instskip(SKIP_1) | instid1(VALU_DEP_2)
	v_add_f64_e32 v[2:3], v[2:3], v[6:7]
	v_add_f64_e32 v[6:7], v[10:11], v[8:9]
	;; [unrolled: 1-line block ×3, first 2 shown]
	s_delay_alu instid0(VALU_DEP_2) | instskip(SKIP_1) | instid1(VALU_DEP_2)
	v_add_f64_e32 v[8:9], v[6:7], v[59:60]
	s_wait_loadcnt 0x0
	v_add_f64_e64 v[6:7], v[53:54], -v[2:3]
	s_delay_alu instid0(VALU_DEP_2)
	v_add_f64_e64 v[8:9], v[55:56], -v[8:9]
	scratch_store_b128 off, v[6:9], off offset:176
	v_cmpx_lt_u32_e32 9, v0
	s_cbranch_execz .LBB19_115
; %bb.114:
	scratch_load_b128 v[6:9], off, s8
	v_dual_mov_b32 v2, v1 :: v_dual_mov_b32 v3, v1
	v_mov_b32_e32 v4, v1
	scratch_store_b128 off, v[1:4], off offset:160
	s_wait_loadcnt 0x0
	ds_store_b128 v5, v[6:9]
.LBB19_115:
	s_wait_alu 0xfffe
	s_or_b32 exec_lo, exec_lo, s0
	s_wait_storecnt_dscnt 0x0
	s_barrier_signal -1
	s_barrier_wait -1
	global_inv scope:SCOPE_SE
	s_clause 0x8
	scratch_load_b128 v[6:9], off, off offset:176
	scratch_load_b128 v[53:56], off, off offset:192
	;; [unrolled: 1-line block ×9, first 2 shown]
	ds_load_b128 v[85:88], v1 offset:480
	ds_load_b128 v[89:92], v1 offset:496
	scratch_load_b128 v[93:96], off, off offset:160
	s_mov_b32 s0, exec_lo
	s_wait_loadcnt_dscnt 0x901
	v_mul_f64_e32 v[2:3], v[87:88], v[8:9]
	v_mul_f64_e32 v[97:98], v[85:86], v[8:9]
	scratch_load_b128 v[8:11], off, off offset:320
	s_wait_loadcnt_dscnt 0x900
	v_mul_f64_e32 v[101:102], v[89:90], v[55:56]
	v_mul_f64_e32 v[55:56], v[91:92], v[55:56]
	v_fma_f64 v[2:3], v[85:86], v[6:7], -v[2:3]
	v_fma_f64 v[6:7], v[87:88], v[6:7], v[97:98]
	ds_load_b128 v[85:88], v1 offset:512
	ds_load_b128 v[97:100], v1 offset:528
	v_fma_f64 v[91:92], v[91:92], v[53:54], v[101:102]
	v_fma_f64 v[53:54], v[89:90], v[53:54], -v[55:56]
	s_wait_loadcnt_dscnt 0x801
	v_mul_f64_e32 v[103:104], v[85:86], v[59:60]
	v_mul_f64_e32 v[59:60], v[87:88], v[59:60]
	s_wait_loadcnt_dscnt 0x700
	v_mul_f64_e32 v[89:90], v[97:98], v[63:64]
	v_mul_f64_e32 v[63:64], v[99:100], v[63:64]
	v_add_f64_e32 v[2:3], 0, v[2:3]
	v_add_f64_e32 v[6:7], 0, v[6:7]
	v_fma_f64 v[87:88], v[87:88], v[57:58], v[103:104]
	v_fma_f64 v[85:86], v[85:86], v[57:58], -v[59:60]
	v_fma_f64 v[89:90], v[99:100], v[61:62], v[89:90]
	v_fma_f64 v[61:62], v[97:98], v[61:62], -v[63:64]
	v_add_f64_e32 v[2:3], v[2:3], v[53:54]
	v_add_f64_e32 v[6:7], v[6:7], v[91:92]
	ds_load_b128 v[53:56], v1 offset:544
	ds_load_b128 v[57:60], v1 offset:560
	s_wait_loadcnt_dscnt 0x601
	v_mul_f64_e32 v[91:92], v[53:54], v[67:68]
	v_mul_f64_e32 v[67:68], v[55:56], v[67:68]
	v_add_f64_e32 v[2:3], v[2:3], v[85:86]
	v_add_f64_e32 v[6:7], v[6:7], v[87:88]
	s_wait_loadcnt_dscnt 0x500
	v_mul_f64_e32 v[85:86], v[57:58], v[71:72]
	v_mul_f64_e32 v[71:72], v[59:60], v[71:72]
	v_fma_f64 v[87:88], v[55:56], v[65:66], v[91:92]
	v_fma_f64 v[65:66], v[53:54], v[65:66], -v[67:68]
	v_add_f64_e32 v[2:3], v[2:3], v[61:62]
	v_add_f64_e32 v[6:7], v[6:7], v[89:90]
	ds_load_b128 v[53:56], v1 offset:576
	ds_load_b128 v[61:64], v1 offset:592
	v_fma_f64 v[59:60], v[59:60], v[69:70], v[85:86]
	v_fma_f64 v[57:58], v[57:58], v[69:70], -v[71:72]
	s_wait_loadcnt_dscnt 0x401
	v_mul_f64_e32 v[67:68], v[53:54], v[75:76]
	v_mul_f64_e32 v[75:76], v[55:56], v[75:76]
	s_wait_loadcnt_dscnt 0x300
	v_mul_f64_e32 v[69:70], v[63:64], v[79:80]
	v_add_f64_e32 v[2:3], v[2:3], v[65:66]
	v_add_f64_e32 v[6:7], v[6:7], v[87:88]
	v_mul_f64_e32 v[65:66], v[61:62], v[79:80]
	v_fma_f64 v[67:68], v[55:56], v[73:74], v[67:68]
	v_fma_f64 v[71:72], v[53:54], v[73:74], -v[75:76]
	v_fma_f64 v[61:62], v[61:62], v[77:78], -v[69:70]
	v_add_f64_e32 v[57:58], v[2:3], v[57:58]
	v_add_f64_e32 v[6:7], v[6:7], v[59:60]
	ds_load_b128 v[53:56], v1 offset:608
	ds_load_b128 v[1:4], v1 offset:624
	v_fma_f64 v[63:64], v[63:64], v[77:78], v[65:66]
	s_wait_loadcnt_dscnt 0x201
	v_mul_f64_e32 v[59:60], v[53:54], v[83:84]
	v_mul_f64_e32 v[73:74], v[55:56], v[83:84]
	v_add_f64_e32 v[57:58], v[57:58], v[71:72]
	v_add_f64_e32 v[6:7], v[6:7], v[67:68]
	s_wait_loadcnt_dscnt 0x0
	v_mul_f64_e32 v[65:66], v[1:2], v[10:11]
	v_mul_f64_e32 v[10:11], v[3:4], v[10:11]
	v_fma_f64 v[55:56], v[55:56], v[81:82], v[59:60]
	v_fma_f64 v[53:54], v[53:54], v[81:82], -v[73:74]
	v_add_f64_e32 v[57:58], v[57:58], v[61:62]
	v_add_f64_e32 v[6:7], v[6:7], v[63:64]
	v_fma_f64 v[3:4], v[3:4], v[8:9], v[65:66]
	v_fma_f64 v[1:2], v[1:2], v[8:9], -v[10:11]
	s_delay_alu instid0(VALU_DEP_4) | instskip(NEXT) | instid1(VALU_DEP_4)
	v_add_f64_e32 v[8:9], v[57:58], v[53:54]
	v_add_f64_e32 v[6:7], v[6:7], v[55:56]
	s_delay_alu instid0(VALU_DEP_2) | instskip(NEXT) | instid1(VALU_DEP_2)
	v_add_f64_e32 v[1:2], v[8:9], v[1:2]
	v_add_f64_e32 v[3:4], v[6:7], v[3:4]
	s_delay_alu instid0(VALU_DEP_2) | instskip(NEXT) | instid1(VALU_DEP_2)
	v_add_f64_e64 v[1:2], v[93:94], -v[1:2]
	v_add_f64_e64 v[3:4], v[95:96], -v[3:4]
	scratch_store_b128 off, v[1:4], off offset:160
	v_cmpx_lt_u32_e32 8, v0
	s_cbranch_execz .LBB19_117
; %bb.116:
	scratch_load_b128 v[1:4], off, s12
	v_mov_b32_e32 v6, 0
	s_delay_alu instid0(VALU_DEP_1)
	v_dual_mov_b32 v7, v6 :: v_dual_mov_b32 v8, v6
	v_mov_b32_e32 v9, v6
	scratch_store_b128 off, v[6:9], off offset:144
	s_wait_loadcnt 0x0
	ds_store_b128 v5, v[1:4]
.LBB19_117:
	s_wait_alu 0xfffe
	s_or_b32 exec_lo, exec_lo, s0
	s_wait_storecnt_dscnt 0x0
	s_barrier_signal -1
	s_barrier_wait -1
	global_inv scope:SCOPE_SE
	s_clause 0x7
	scratch_load_b128 v[6:9], off, off offset:160
	scratch_load_b128 v[53:56], off, off offset:176
	;; [unrolled: 1-line block ×8, first 2 shown]
	v_mov_b32_e32 v1, 0
	s_mov_b32 s0, exec_lo
	ds_load_b128 v[81:84], v1 offset:464
	s_clause 0x1
	scratch_load_b128 v[85:88], off, off offset:288
	scratch_load_b128 v[89:92], off, off offset:144
	ds_load_b128 v[93:96], v1 offset:480
	ds_load_b128 v[101:104], v1 offset:512
	s_wait_loadcnt_dscnt 0x902
	v_mul_f64_e32 v[2:3], v[83:84], v[8:9]
	v_mul_f64_e32 v[97:98], v[81:82], v[8:9]
	scratch_load_b128 v[8:11], off, off offset:304
	v_fma_f64 v[2:3], v[81:82], v[6:7], -v[2:3]
	v_fma_f64 v[6:7], v[83:84], v[6:7], v[97:98]
	ds_load_b128 v[81:84], v1 offset:496
	s_wait_loadcnt_dscnt 0x902
	v_mul_f64_e32 v[105:106], v[93:94], v[55:56]
	v_mul_f64_e32 v[55:56], v[95:96], v[55:56]
	scratch_load_b128 v[97:100], off, off offset:320
	s_wait_loadcnt_dscnt 0x900
	v_mul_f64_e32 v[107:108], v[81:82], v[59:60]
	v_mul_f64_e32 v[59:60], v[83:84], v[59:60]
	v_add_f64_e32 v[2:3], 0, v[2:3]
	v_add_f64_e32 v[6:7], 0, v[6:7]
	v_fma_f64 v[95:96], v[95:96], v[53:54], v[105:106]
	v_fma_f64 v[53:54], v[93:94], v[53:54], -v[55:56]
	s_wait_loadcnt 0x8
	v_mul_f64_e32 v[93:94], v[101:102], v[63:64]
	v_mul_f64_e32 v[63:64], v[103:104], v[63:64]
	v_fma_f64 v[83:84], v[83:84], v[57:58], v[107:108]
	v_fma_f64 v[81:82], v[81:82], v[57:58], -v[59:60]
	v_add_f64_e32 v[6:7], v[6:7], v[95:96]
	v_add_f64_e32 v[2:3], v[2:3], v[53:54]
	ds_load_b128 v[53:56], v1 offset:528
	ds_load_b128 v[57:60], v1 offset:544
	v_fma_f64 v[93:94], v[103:104], v[61:62], v[93:94]
	v_fma_f64 v[61:62], v[101:102], v[61:62], -v[63:64]
	s_wait_loadcnt_dscnt 0x701
	v_mul_f64_e32 v[95:96], v[53:54], v[67:68]
	v_mul_f64_e32 v[67:68], v[55:56], v[67:68]
	v_add_f64_e32 v[6:7], v[6:7], v[83:84]
	v_add_f64_e32 v[2:3], v[2:3], v[81:82]
	s_wait_loadcnt_dscnt 0x600
	v_mul_f64_e32 v[81:82], v[57:58], v[71:72]
	v_mul_f64_e32 v[71:72], v[59:60], v[71:72]
	v_fma_f64 v[83:84], v[55:56], v[65:66], v[95:96]
	v_fma_f64 v[65:66], v[53:54], v[65:66], -v[67:68]
	v_add_f64_e32 v[6:7], v[6:7], v[93:94]
	v_add_f64_e32 v[2:3], v[2:3], v[61:62]
	ds_load_b128 v[53:56], v1 offset:560
	ds_load_b128 v[61:64], v1 offset:576
	v_fma_f64 v[59:60], v[59:60], v[69:70], v[81:82]
	v_fma_f64 v[57:58], v[57:58], v[69:70], -v[71:72]
	s_wait_loadcnt_dscnt 0x501
	v_mul_f64_e32 v[67:68], v[53:54], v[75:76]
	v_mul_f64_e32 v[75:76], v[55:56], v[75:76]
	s_wait_loadcnt_dscnt 0x400
	v_mul_f64_e32 v[69:70], v[63:64], v[79:80]
	v_add_f64_e32 v[6:7], v[6:7], v[83:84]
	v_add_f64_e32 v[2:3], v[2:3], v[65:66]
	v_mul_f64_e32 v[65:66], v[61:62], v[79:80]
	v_fma_f64 v[67:68], v[55:56], v[73:74], v[67:68]
	v_fma_f64 v[71:72], v[53:54], v[73:74], -v[75:76]
	v_fma_f64 v[61:62], v[61:62], v[77:78], -v[69:70]
	v_add_f64_e32 v[6:7], v[6:7], v[59:60]
	v_add_f64_e32 v[2:3], v[2:3], v[57:58]
	ds_load_b128 v[53:56], v1 offset:592
	ds_load_b128 v[57:60], v1 offset:608
	v_fma_f64 v[63:64], v[63:64], v[77:78], v[65:66]
	s_wait_loadcnt_dscnt 0x301
	v_mul_f64_e32 v[73:74], v[53:54], v[87:88]
	v_mul_f64_e32 v[75:76], v[55:56], v[87:88]
	v_add_f64_e32 v[6:7], v[6:7], v[67:68]
	v_add_f64_e32 v[2:3], v[2:3], v[71:72]
	s_wait_loadcnt_dscnt 0x100
	v_mul_f64_e32 v[65:66], v[57:58], v[10:11]
	v_mul_f64_e32 v[10:11], v[59:60], v[10:11]
	v_fma_f64 v[67:68], v[55:56], v[85:86], v[73:74]
	v_fma_f64 v[69:70], v[53:54], v[85:86], -v[75:76]
	ds_load_b128 v[53:56], v1 offset:624
	v_add_f64_e32 v[6:7], v[6:7], v[63:64]
	v_add_f64_e32 v[2:3], v[2:3], v[61:62]
	v_fma_f64 v[59:60], v[59:60], v[8:9], v[65:66]
	v_fma_f64 v[8:9], v[57:58], v[8:9], -v[10:11]
	s_wait_loadcnt_dscnt 0x0
	v_mul_f64_e32 v[61:62], v[53:54], v[99:100]
	v_mul_f64_e32 v[63:64], v[55:56], v[99:100]
	v_add_f64_e32 v[6:7], v[6:7], v[67:68]
	v_add_f64_e32 v[2:3], v[2:3], v[69:70]
	s_delay_alu instid0(VALU_DEP_4) | instskip(NEXT) | instid1(VALU_DEP_4)
	v_fma_f64 v[10:11], v[55:56], v[97:98], v[61:62]
	v_fma_f64 v[53:54], v[53:54], v[97:98], -v[63:64]
	s_delay_alu instid0(VALU_DEP_4) | instskip(NEXT) | instid1(VALU_DEP_4)
	v_add_f64_e32 v[6:7], v[6:7], v[59:60]
	v_add_f64_e32 v[2:3], v[2:3], v[8:9]
	s_delay_alu instid0(VALU_DEP_2) | instskip(NEXT) | instid1(VALU_DEP_2)
	v_add_f64_e32 v[8:9], v[6:7], v[10:11]
	v_add_f64_e32 v[2:3], v[2:3], v[53:54]
	s_delay_alu instid0(VALU_DEP_2) | instskip(NEXT) | instid1(VALU_DEP_2)
	v_add_f64_e64 v[8:9], v[91:92], -v[8:9]
	v_add_f64_e64 v[6:7], v[89:90], -v[2:3]
	scratch_store_b128 off, v[6:9], off offset:144
	v_cmpx_lt_u32_e32 7, v0
	s_cbranch_execz .LBB19_119
; %bb.118:
	scratch_load_b128 v[6:9], off, s5
	v_dual_mov_b32 v2, v1 :: v_dual_mov_b32 v3, v1
	v_mov_b32_e32 v4, v1
	scratch_store_b128 off, v[1:4], off offset:128
	s_wait_loadcnt 0x0
	ds_store_b128 v5, v[6:9]
.LBB19_119:
	s_wait_alu 0xfffe
	s_or_b32 exec_lo, exec_lo, s0
	s_wait_storecnt_dscnt 0x0
	s_barrier_signal -1
	s_barrier_wait -1
	global_inv scope:SCOPE_SE
	s_clause 0x8
	scratch_load_b128 v[6:9], off, off offset:144
	scratch_load_b128 v[53:56], off, off offset:160
	scratch_load_b128 v[57:60], off, off offset:176
	scratch_load_b128 v[61:64], off, off offset:192
	scratch_load_b128 v[65:68], off, off offset:208
	scratch_load_b128 v[69:72], off, off offset:224
	scratch_load_b128 v[73:76], off, off offset:240
	scratch_load_b128 v[77:80], off, off offset:256
	scratch_load_b128 v[81:84], off, off offset:272
	ds_load_b128 v[85:88], v1 offset:448
	ds_load_b128 v[89:92], v1 offset:464
	scratch_load_b128 v[93:96], off, off offset:128
	s_mov_b32 s0, exec_lo
	ds_load_b128 v[101:104], v1 offset:496
	s_wait_loadcnt_dscnt 0x902
	v_mul_f64_e32 v[2:3], v[87:88], v[8:9]
	v_mul_f64_e32 v[97:98], v[85:86], v[8:9]
	scratch_load_b128 v[8:11], off, off offset:288
	s_wait_loadcnt_dscnt 0x901
	v_mul_f64_e32 v[105:106], v[89:90], v[55:56]
	v_mul_f64_e32 v[55:56], v[91:92], v[55:56]
	v_fma_f64 v[2:3], v[85:86], v[6:7], -v[2:3]
	v_fma_f64 v[6:7], v[87:88], v[6:7], v[97:98]
	ds_load_b128 v[85:88], v1 offset:480
	scratch_load_b128 v[97:100], off, off offset:304
	v_fma_f64 v[91:92], v[91:92], v[53:54], v[105:106]
	v_fma_f64 v[89:90], v[89:90], v[53:54], -v[55:56]
	scratch_load_b128 v[53:56], off, off offset:320
	s_wait_loadcnt_dscnt 0x901
	v_mul_f64_e32 v[105:106], v[101:102], v[63:64]
	v_mul_f64_e32 v[63:64], v[103:104], v[63:64]
	s_wait_dscnt 0x0
	v_mul_f64_e32 v[107:108], v[85:86], v[59:60]
	v_mul_f64_e32 v[59:60], v[87:88], v[59:60]
	v_add_f64_e32 v[2:3], 0, v[2:3]
	v_add_f64_e32 v[6:7], 0, v[6:7]
	s_delay_alu instid0(VALU_DEP_4) | instskip(NEXT) | instid1(VALU_DEP_4)
	v_fma_f64 v[107:108], v[87:88], v[57:58], v[107:108]
	v_fma_f64 v[109:110], v[85:86], v[57:58], -v[59:60]
	ds_load_b128 v[57:60], v1 offset:512
	ds_load_b128 v[85:88], v1 offset:528
	v_add_f64_e32 v[2:3], v[2:3], v[89:90]
	v_add_f64_e32 v[6:7], v[6:7], v[91:92]
	v_fma_f64 v[91:92], v[103:104], v[61:62], v[105:106]
	v_fma_f64 v[61:62], v[101:102], v[61:62], -v[63:64]
	s_wait_loadcnt_dscnt 0x801
	v_mul_f64_e32 v[89:90], v[57:58], v[67:68]
	v_mul_f64_e32 v[67:68], v[59:60], v[67:68]
	s_wait_loadcnt_dscnt 0x700
	v_mul_f64_e32 v[101:102], v[85:86], v[71:72]
	v_mul_f64_e32 v[71:72], v[87:88], v[71:72]
	v_add_f64_e32 v[2:3], v[2:3], v[109:110]
	v_add_f64_e32 v[6:7], v[6:7], v[107:108]
	v_fma_f64 v[89:90], v[59:60], v[65:66], v[89:90]
	v_fma_f64 v[65:66], v[57:58], v[65:66], -v[67:68]
	v_fma_f64 v[87:88], v[87:88], v[69:70], v[101:102]
	v_fma_f64 v[69:70], v[85:86], v[69:70], -v[71:72]
	v_add_f64_e32 v[2:3], v[2:3], v[61:62]
	v_add_f64_e32 v[6:7], v[6:7], v[91:92]
	ds_load_b128 v[57:60], v1 offset:544
	ds_load_b128 v[61:64], v1 offset:560
	s_wait_loadcnt_dscnt 0x601
	v_mul_f64_e32 v[67:68], v[57:58], v[75:76]
	v_mul_f64_e32 v[75:76], v[59:60], v[75:76]
	s_wait_loadcnt_dscnt 0x500
	v_mul_f64_e32 v[71:72], v[61:62], v[79:80]
	v_mul_f64_e32 v[79:80], v[63:64], v[79:80]
	v_add_f64_e32 v[2:3], v[2:3], v[65:66]
	v_add_f64_e32 v[6:7], v[6:7], v[89:90]
	v_fma_f64 v[85:86], v[59:60], v[73:74], v[67:68]
	v_fma_f64 v[73:74], v[57:58], v[73:74], -v[75:76]
	ds_load_b128 v[57:60], v1 offset:576
	ds_load_b128 v[65:68], v1 offset:592
	v_fma_f64 v[63:64], v[63:64], v[77:78], v[71:72]
	v_fma_f64 v[61:62], v[61:62], v[77:78], -v[79:80]
	v_add_f64_e32 v[2:3], v[2:3], v[69:70]
	v_add_f64_e32 v[6:7], v[6:7], v[87:88]
	s_wait_loadcnt_dscnt 0x401
	v_mul_f64_e32 v[69:70], v[57:58], v[83:84]
	v_mul_f64_e32 v[75:76], v[59:60], v[83:84]
	s_delay_alu instid0(VALU_DEP_4) | instskip(NEXT) | instid1(VALU_DEP_4)
	v_add_f64_e32 v[2:3], v[2:3], v[73:74]
	v_add_f64_e32 v[6:7], v[6:7], v[85:86]
	s_delay_alu instid0(VALU_DEP_4) | instskip(NEXT) | instid1(VALU_DEP_4)
	v_fma_f64 v[69:70], v[59:60], v[81:82], v[69:70]
	v_fma_f64 v[73:74], v[57:58], v[81:82], -v[75:76]
	s_wait_loadcnt_dscnt 0x200
	v_mul_f64_e32 v[71:72], v[65:66], v[10:11]
	v_mul_f64_e32 v[10:11], v[67:68], v[10:11]
	v_add_f64_e32 v[61:62], v[2:3], v[61:62]
	v_add_f64_e32 v[6:7], v[6:7], v[63:64]
	ds_load_b128 v[57:60], v1 offset:608
	ds_load_b128 v[1:4], v1 offset:624
	v_fma_f64 v[67:68], v[67:68], v[8:9], v[71:72]
	v_fma_f64 v[8:9], v[65:66], v[8:9], -v[10:11]
	s_wait_loadcnt_dscnt 0x101
	v_mul_f64_e32 v[63:64], v[57:58], v[99:100]
	v_mul_f64_e32 v[75:76], v[59:60], v[99:100]
	v_add_f64_e32 v[10:11], v[61:62], v[73:74]
	v_add_f64_e32 v[6:7], v[6:7], v[69:70]
	s_wait_loadcnt_dscnt 0x0
	v_mul_f64_e32 v[61:62], v[1:2], v[55:56]
	v_mul_f64_e32 v[55:56], v[3:4], v[55:56]
	v_fma_f64 v[59:60], v[59:60], v[97:98], v[63:64]
	v_fma_f64 v[57:58], v[57:58], v[97:98], -v[75:76]
	v_add_f64_e32 v[8:9], v[10:11], v[8:9]
	v_add_f64_e32 v[6:7], v[6:7], v[67:68]
	v_fma_f64 v[3:4], v[3:4], v[53:54], v[61:62]
	v_fma_f64 v[1:2], v[1:2], v[53:54], -v[55:56]
	s_delay_alu instid0(VALU_DEP_4) | instskip(NEXT) | instid1(VALU_DEP_4)
	v_add_f64_e32 v[8:9], v[8:9], v[57:58]
	v_add_f64_e32 v[6:7], v[6:7], v[59:60]
	s_delay_alu instid0(VALU_DEP_2) | instskip(NEXT) | instid1(VALU_DEP_2)
	v_add_f64_e32 v[1:2], v[8:9], v[1:2]
	v_add_f64_e32 v[3:4], v[6:7], v[3:4]
	s_delay_alu instid0(VALU_DEP_2) | instskip(NEXT) | instid1(VALU_DEP_2)
	v_add_f64_e64 v[1:2], v[93:94], -v[1:2]
	v_add_f64_e64 v[3:4], v[95:96], -v[3:4]
	scratch_store_b128 off, v[1:4], off offset:128
	v_cmpx_lt_u32_e32 6, v0
	s_cbranch_execz .LBB19_121
; %bb.120:
	scratch_load_b128 v[1:4], off, s11
	v_mov_b32_e32 v6, 0
	s_delay_alu instid0(VALU_DEP_1)
	v_dual_mov_b32 v7, v6 :: v_dual_mov_b32 v8, v6
	v_mov_b32_e32 v9, v6
	scratch_store_b128 off, v[6:9], off offset:112
	s_wait_loadcnt 0x0
	ds_store_b128 v5, v[1:4]
.LBB19_121:
	s_wait_alu 0xfffe
	s_or_b32 exec_lo, exec_lo, s0
	s_wait_storecnt_dscnt 0x0
	s_barrier_signal -1
	s_barrier_wait -1
	global_inv scope:SCOPE_SE
	s_clause 0x7
	scratch_load_b128 v[6:9], off, off offset:128
	scratch_load_b128 v[53:56], off, off offset:144
	;; [unrolled: 1-line block ×8, first 2 shown]
	v_mov_b32_e32 v1, 0
	s_mov_b32 s0, exec_lo
	ds_load_b128 v[81:84], v1 offset:432
	s_clause 0x1
	scratch_load_b128 v[85:88], off, off offset:256
	scratch_load_b128 v[89:92], off, off offset:112
	ds_load_b128 v[93:96], v1 offset:448
	ds_load_b128 v[101:104], v1 offset:480
	s_wait_loadcnt_dscnt 0x902
	v_mul_f64_e32 v[2:3], v[83:84], v[8:9]
	v_mul_f64_e32 v[97:98], v[81:82], v[8:9]
	scratch_load_b128 v[8:11], off, off offset:272
	v_fma_f64 v[2:3], v[81:82], v[6:7], -v[2:3]
	v_fma_f64 v[6:7], v[83:84], v[6:7], v[97:98]
	ds_load_b128 v[81:84], v1 offset:464
	s_wait_loadcnt_dscnt 0x902
	v_mul_f64_e32 v[105:106], v[93:94], v[55:56]
	v_mul_f64_e32 v[55:56], v[95:96], v[55:56]
	scratch_load_b128 v[97:100], off, off offset:288
	s_wait_loadcnt_dscnt 0x900
	v_mul_f64_e32 v[107:108], v[81:82], v[59:60]
	v_mul_f64_e32 v[59:60], v[83:84], v[59:60]
	v_add_f64_e32 v[2:3], 0, v[2:3]
	v_add_f64_e32 v[6:7], 0, v[6:7]
	v_fma_f64 v[95:96], v[95:96], v[53:54], v[105:106]
	v_fma_f64 v[93:94], v[93:94], v[53:54], -v[55:56]
	scratch_load_b128 v[53:56], off, off offset:304
	v_fma_f64 v[107:108], v[83:84], v[57:58], v[107:108]
	v_fma_f64 v[109:110], v[81:82], v[57:58], -v[59:60]
	ds_load_b128 v[57:60], v1 offset:496
	s_wait_loadcnt 0x9
	v_mul_f64_e32 v[105:106], v[101:102], v[63:64]
	v_mul_f64_e32 v[63:64], v[103:104], v[63:64]
	scratch_load_b128 v[81:84], off, off offset:320
	v_add_f64_e32 v[6:7], v[6:7], v[95:96]
	v_add_f64_e32 v[2:3], v[2:3], v[93:94]
	ds_load_b128 v[93:96], v1 offset:512
	s_wait_loadcnt_dscnt 0x901
	v_mul_f64_e32 v[111:112], v[57:58], v[67:68]
	v_mul_f64_e32 v[67:68], v[59:60], v[67:68]
	v_fma_f64 v[103:104], v[103:104], v[61:62], v[105:106]
	v_fma_f64 v[61:62], v[101:102], v[61:62], -v[63:64]
	s_wait_loadcnt_dscnt 0x800
	v_mul_f64_e32 v[101:102], v[93:94], v[71:72]
	v_mul_f64_e32 v[71:72], v[95:96], v[71:72]
	v_add_f64_e32 v[6:7], v[6:7], v[107:108]
	v_add_f64_e32 v[2:3], v[2:3], v[109:110]
	v_fma_f64 v[105:106], v[59:60], v[65:66], v[111:112]
	v_fma_f64 v[65:66], v[57:58], v[65:66], -v[67:68]
	v_fma_f64 v[95:96], v[95:96], v[69:70], v[101:102]
	v_fma_f64 v[69:70], v[93:94], v[69:70], -v[71:72]
	v_add_f64_e32 v[6:7], v[6:7], v[103:104]
	v_add_f64_e32 v[2:3], v[2:3], v[61:62]
	ds_load_b128 v[57:60], v1 offset:528
	ds_load_b128 v[61:64], v1 offset:544
	s_wait_loadcnt_dscnt 0x701
	v_mul_f64_e32 v[67:68], v[57:58], v[75:76]
	v_mul_f64_e32 v[75:76], v[59:60], v[75:76]
	s_wait_loadcnt_dscnt 0x600
	v_mul_f64_e32 v[71:72], v[61:62], v[79:80]
	v_mul_f64_e32 v[79:80], v[63:64], v[79:80]
	v_add_f64_e32 v[6:7], v[6:7], v[105:106]
	v_add_f64_e32 v[2:3], v[2:3], v[65:66]
	v_fma_f64 v[93:94], v[59:60], v[73:74], v[67:68]
	v_fma_f64 v[73:74], v[57:58], v[73:74], -v[75:76]
	ds_load_b128 v[57:60], v1 offset:560
	ds_load_b128 v[65:68], v1 offset:576
	v_fma_f64 v[63:64], v[63:64], v[77:78], v[71:72]
	v_fma_f64 v[61:62], v[61:62], v[77:78], -v[79:80]
	v_add_f64_e32 v[6:7], v[6:7], v[95:96]
	v_add_f64_e32 v[2:3], v[2:3], v[69:70]
	s_wait_loadcnt_dscnt 0x501
	v_mul_f64_e32 v[69:70], v[57:58], v[87:88]
	v_mul_f64_e32 v[75:76], v[59:60], v[87:88]
	s_delay_alu instid0(VALU_DEP_4) | instskip(NEXT) | instid1(VALU_DEP_4)
	v_add_f64_e32 v[6:7], v[6:7], v[93:94]
	v_add_f64_e32 v[2:3], v[2:3], v[73:74]
	s_delay_alu instid0(VALU_DEP_4) | instskip(NEXT) | instid1(VALU_DEP_4)
	v_fma_f64 v[69:70], v[59:60], v[85:86], v[69:70]
	v_fma_f64 v[73:74], v[57:58], v[85:86], -v[75:76]
	s_wait_loadcnt_dscnt 0x300
	v_mul_f64_e32 v[71:72], v[65:66], v[10:11]
	v_mul_f64_e32 v[10:11], v[67:68], v[10:11]
	v_add_f64_e32 v[6:7], v[6:7], v[63:64]
	v_add_f64_e32 v[2:3], v[2:3], v[61:62]
	ds_load_b128 v[57:60], v1 offset:592
	ds_load_b128 v[61:64], v1 offset:608
	v_fma_f64 v[67:68], v[67:68], v[8:9], v[71:72]
	v_fma_f64 v[8:9], v[65:66], v[8:9], -v[10:11]
	s_wait_loadcnt_dscnt 0x201
	v_mul_f64_e32 v[75:76], v[57:58], v[99:100]
	v_mul_f64_e32 v[77:78], v[59:60], v[99:100]
	v_add_f64_e32 v[6:7], v[6:7], v[69:70]
	v_add_f64_e32 v[2:3], v[2:3], v[73:74]
	s_wait_loadcnt_dscnt 0x100
	v_mul_f64_e32 v[10:11], v[61:62], v[55:56]
	v_mul_f64_e32 v[55:56], v[63:64], v[55:56]
	v_fma_f64 v[59:60], v[59:60], v[97:98], v[75:76]
	v_fma_f64 v[57:58], v[57:58], v[97:98], -v[77:78]
	v_add_f64_e32 v[65:66], v[6:7], v[67:68]
	v_add_f64_e32 v[2:3], v[2:3], v[8:9]
	ds_load_b128 v[6:9], v1 offset:624
	v_fma_f64 v[10:11], v[63:64], v[53:54], v[10:11]
	v_fma_f64 v[53:54], v[61:62], v[53:54], -v[55:56]
	s_wait_loadcnt_dscnt 0x0
	v_mul_f64_e32 v[67:68], v[6:7], v[83:84]
	v_mul_f64_e32 v[69:70], v[8:9], v[83:84]
	v_add_f64_e32 v[55:56], v[65:66], v[59:60]
	v_add_f64_e32 v[2:3], v[2:3], v[57:58]
	s_delay_alu instid0(VALU_DEP_4) | instskip(NEXT) | instid1(VALU_DEP_4)
	v_fma_f64 v[8:9], v[8:9], v[81:82], v[67:68]
	v_fma_f64 v[6:7], v[6:7], v[81:82], -v[69:70]
	s_delay_alu instid0(VALU_DEP_4) | instskip(NEXT) | instid1(VALU_DEP_4)
	v_add_f64_e32 v[10:11], v[55:56], v[10:11]
	v_add_f64_e32 v[2:3], v[2:3], v[53:54]
	s_delay_alu instid0(VALU_DEP_2) | instskip(NEXT) | instid1(VALU_DEP_2)
	v_add_f64_e32 v[8:9], v[10:11], v[8:9]
	v_add_f64_e32 v[2:3], v[2:3], v[6:7]
	s_delay_alu instid0(VALU_DEP_2) | instskip(NEXT) | instid1(VALU_DEP_2)
	v_add_f64_e64 v[8:9], v[91:92], -v[8:9]
	v_add_f64_e64 v[6:7], v[89:90], -v[2:3]
	scratch_store_b128 off, v[6:9], off offset:112
	v_cmpx_lt_u32_e32 5, v0
	s_cbranch_execz .LBB19_123
; %bb.122:
	scratch_load_b128 v[6:9], off, s4
	v_dual_mov_b32 v2, v1 :: v_dual_mov_b32 v3, v1
	v_mov_b32_e32 v4, v1
	scratch_store_b128 off, v[1:4], off offset:96
	s_wait_loadcnt 0x0
	ds_store_b128 v5, v[6:9]
.LBB19_123:
	s_wait_alu 0xfffe
	s_or_b32 exec_lo, exec_lo, s0
	s_wait_storecnt_dscnt 0x0
	s_barrier_signal -1
	s_barrier_wait -1
	global_inv scope:SCOPE_SE
	s_clause 0x8
	scratch_load_b128 v[6:9], off, off offset:112
	scratch_load_b128 v[53:56], off, off offset:128
	;; [unrolled: 1-line block ×9, first 2 shown]
	ds_load_b128 v[85:88], v1 offset:416
	ds_load_b128 v[89:92], v1 offset:432
	scratch_load_b128 v[93:96], off, off offset:96
	s_mov_b32 s0, exec_lo
	ds_load_b128 v[101:104], v1 offset:464
	s_wait_loadcnt_dscnt 0x902
	v_mul_f64_e32 v[2:3], v[87:88], v[8:9]
	v_mul_f64_e32 v[97:98], v[85:86], v[8:9]
	scratch_load_b128 v[8:11], off, off offset:256
	s_wait_loadcnt_dscnt 0x901
	v_mul_f64_e32 v[105:106], v[89:90], v[55:56]
	v_mul_f64_e32 v[55:56], v[91:92], v[55:56]
	v_fma_f64 v[2:3], v[85:86], v[6:7], -v[2:3]
	v_fma_f64 v[6:7], v[87:88], v[6:7], v[97:98]
	ds_load_b128 v[85:88], v1 offset:448
	scratch_load_b128 v[97:100], off, off offset:272
	v_fma_f64 v[91:92], v[91:92], v[53:54], v[105:106]
	v_fma_f64 v[89:90], v[89:90], v[53:54], -v[55:56]
	scratch_load_b128 v[53:56], off, off offset:288
	s_wait_loadcnt_dscnt 0x901
	v_mul_f64_e32 v[105:106], v[101:102], v[63:64]
	v_mul_f64_e32 v[63:64], v[103:104], v[63:64]
	s_wait_dscnt 0x0
	v_mul_f64_e32 v[107:108], v[85:86], v[59:60]
	v_mul_f64_e32 v[59:60], v[87:88], v[59:60]
	v_add_f64_e32 v[2:3], 0, v[2:3]
	v_add_f64_e32 v[6:7], 0, v[6:7]
	v_fma_f64 v[103:104], v[103:104], v[61:62], v[105:106]
	v_fma_f64 v[101:102], v[101:102], v[61:62], -v[63:64]
	scratch_load_b128 v[61:64], off, off offset:320
	v_fma_f64 v[107:108], v[87:88], v[57:58], v[107:108]
	v_fma_f64 v[109:110], v[85:86], v[57:58], -v[59:60]
	ds_load_b128 v[57:60], v1 offset:480
	scratch_load_b128 v[85:88], off, off offset:304
	v_add_f64_e32 v[2:3], v[2:3], v[89:90]
	v_add_f64_e32 v[6:7], v[6:7], v[91:92]
	ds_load_b128 v[89:92], v1 offset:496
	s_wait_loadcnt_dscnt 0xa01
	v_mul_f64_e32 v[111:112], v[57:58], v[67:68]
	v_mul_f64_e32 v[67:68], v[59:60], v[67:68]
	s_wait_loadcnt_dscnt 0x900
	v_mul_f64_e32 v[105:106], v[89:90], v[71:72]
	v_mul_f64_e32 v[71:72], v[91:92], v[71:72]
	v_add_f64_e32 v[2:3], v[2:3], v[109:110]
	v_add_f64_e32 v[6:7], v[6:7], v[107:108]
	v_fma_f64 v[107:108], v[59:60], v[65:66], v[111:112]
	v_fma_f64 v[109:110], v[57:58], v[65:66], -v[67:68]
	ds_load_b128 v[57:60], v1 offset:512
	ds_load_b128 v[65:68], v1 offset:528
	v_fma_f64 v[91:92], v[91:92], v[69:70], v[105:106]
	v_fma_f64 v[69:70], v[89:90], v[69:70], -v[71:72]
	s_wait_loadcnt_dscnt 0x700
	v_mul_f64_e32 v[89:90], v[65:66], v[79:80]
	v_mul_f64_e32 v[79:80], v[67:68], v[79:80]
	v_add_f64_e32 v[2:3], v[2:3], v[101:102]
	v_add_f64_e32 v[6:7], v[6:7], v[103:104]
	v_mul_f64_e32 v[101:102], v[57:58], v[75:76]
	v_mul_f64_e32 v[75:76], v[59:60], v[75:76]
	v_fma_f64 v[67:68], v[67:68], v[77:78], v[89:90]
	v_fma_f64 v[65:66], v[65:66], v[77:78], -v[79:80]
	v_add_f64_e32 v[2:3], v[2:3], v[109:110]
	v_add_f64_e32 v[6:7], v[6:7], v[107:108]
	v_fma_f64 v[101:102], v[59:60], v[73:74], v[101:102]
	v_fma_f64 v[73:74], v[57:58], v[73:74], -v[75:76]
	s_delay_alu instid0(VALU_DEP_4) | instskip(NEXT) | instid1(VALU_DEP_4)
	v_add_f64_e32 v[2:3], v[2:3], v[69:70]
	v_add_f64_e32 v[6:7], v[6:7], v[91:92]
	ds_load_b128 v[57:60], v1 offset:544
	ds_load_b128 v[69:72], v1 offset:560
	s_wait_loadcnt_dscnt 0x601
	v_mul_f64_e32 v[75:76], v[57:58], v[83:84]
	v_mul_f64_e32 v[83:84], v[59:60], v[83:84]
	v_add_f64_e32 v[2:3], v[2:3], v[73:74]
	v_add_f64_e32 v[6:7], v[6:7], v[101:102]
	s_wait_loadcnt_dscnt 0x400
	v_mul_f64_e32 v[73:74], v[69:70], v[10:11]
	v_mul_f64_e32 v[10:11], v[71:72], v[10:11]
	v_fma_f64 v[75:76], v[59:60], v[81:82], v[75:76]
	v_fma_f64 v[77:78], v[57:58], v[81:82], -v[83:84]
	v_add_f64_e32 v[2:3], v[2:3], v[65:66]
	v_add_f64_e32 v[6:7], v[6:7], v[67:68]
	ds_load_b128 v[57:60], v1 offset:576
	ds_load_b128 v[65:68], v1 offset:592
	v_fma_f64 v[71:72], v[71:72], v[8:9], v[73:74]
	v_fma_f64 v[8:9], v[69:70], v[8:9], -v[10:11]
	s_wait_loadcnt_dscnt 0x301
	v_mul_f64_e32 v[79:80], v[57:58], v[99:100]
	v_mul_f64_e32 v[81:82], v[59:60], v[99:100]
	s_wait_loadcnt_dscnt 0x200
	v_mul_f64_e32 v[10:11], v[65:66], v[55:56]
	v_mul_f64_e32 v[55:56], v[67:68], v[55:56]
	v_add_f64_e32 v[2:3], v[2:3], v[77:78]
	v_add_f64_e32 v[6:7], v[6:7], v[75:76]
	v_fma_f64 v[59:60], v[59:60], v[97:98], v[79:80]
	v_fma_f64 v[57:58], v[57:58], v[97:98], -v[81:82]
	v_fma_f64 v[10:11], v[67:68], v[53:54], v[10:11]
	v_fma_f64 v[53:54], v[65:66], v[53:54], -v[55:56]
	v_add_f64_e32 v[69:70], v[2:3], v[8:9]
	v_add_f64_e32 v[71:72], v[6:7], v[71:72]
	ds_load_b128 v[6:9], v1 offset:608
	ds_load_b128 v[1:4], v1 offset:624
	s_wait_loadcnt_dscnt 0x1
	v_mul_f64_e32 v[73:74], v[6:7], v[87:88]
	v_mul_f64_e32 v[75:76], v[8:9], v[87:88]
	v_add_f64_e32 v[55:56], v[69:70], v[57:58]
	v_add_f64_e32 v[57:58], v[71:72], v[59:60]
	s_wait_dscnt 0x0
	v_mul_f64_e32 v[59:60], v[1:2], v[63:64]
	v_mul_f64_e32 v[63:64], v[3:4], v[63:64]
	v_fma_f64 v[8:9], v[8:9], v[85:86], v[73:74]
	v_fma_f64 v[6:7], v[6:7], v[85:86], -v[75:76]
	v_add_f64_e32 v[53:54], v[55:56], v[53:54]
	v_add_f64_e32 v[10:11], v[57:58], v[10:11]
	v_fma_f64 v[3:4], v[3:4], v[61:62], v[59:60]
	v_fma_f64 v[1:2], v[1:2], v[61:62], -v[63:64]
	s_delay_alu instid0(VALU_DEP_4) | instskip(NEXT) | instid1(VALU_DEP_4)
	v_add_f64_e32 v[6:7], v[53:54], v[6:7]
	v_add_f64_e32 v[8:9], v[10:11], v[8:9]
	s_delay_alu instid0(VALU_DEP_2) | instskip(NEXT) | instid1(VALU_DEP_2)
	v_add_f64_e32 v[1:2], v[6:7], v[1:2]
	v_add_f64_e32 v[3:4], v[8:9], v[3:4]
	s_delay_alu instid0(VALU_DEP_2) | instskip(NEXT) | instid1(VALU_DEP_2)
	v_add_f64_e64 v[1:2], v[93:94], -v[1:2]
	v_add_f64_e64 v[3:4], v[95:96], -v[3:4]
	scratch_store_b128 off, v[1:4], off offset:96
	v_cmpx_lt_u32_e32 4, v0
	s_cbranch_execz .LBB19_125
; %bb.124:
	scratch_load_b128 v[1:4], off, s10
	v_mov_b32_e32 v6, 0
	s_delay_alu instid0(VALU_DEP_1)
	v_dual_mov_b32 v7, v6 :: v_dual_mov_b32 v8, v6
	v_mov_b32_e32 v9, v6
	scratch_store_b128 off, v[6:9], off offset:80
	s_wait_loadcnt 0x0
	ds_store_b128 v5, v[1:4]
.LBB19_125:
	s_wait_alu 0xfffe
	s_or_b32 exec_lo, exec_lo, s0
	s_wait_storecnt_dscnt 0x0
	s_barrier_signal -1
	s_barrier_wait -1
	global_inv scope:SCOPE_SE
	s_clause 0x7
	scratch_load_b128 v[6:9], off, off offset:96
	scratch_load_b128 v[53:56], off, off offset:112
	;; [unrolled: 1-line block ×8, first 2 shown]
	v_mov_b32_e32 v1, 0
	s_mov_b32 s0, exec_lo
	ds_load_b128 v[81:84], v1 offset:400
	s_clause 0x1
	scratch_load_b128 v[85:88], off, off offset:224
	scratch_load_b128 v[89:92], off, off offset:80
	ds_load_b128 v[93:96], v1 offset:416
	ds_load_b128 v[101:104], v1 offset:448
	s_wait_loadcnt_dscnt 0x902
	v_mul_f64_e32 v[2:3], v[83:84], v[8:9]
	v_mul_f64_e32 v[97:98], v[81:82], v[8:9]
	scratch_load_b128 v[8:11], off, off offset:240
	v_fma_f64 v[2:3], v[81:82], v[6:7], -v[2:3]
	v_fma_f64 v[6:7], v[83:84], v[6:7], v[97:98]
	ds_load_b128 v[81:84], v1 offset:432
	s_wait_loadcnt_dscnt 0x902
	v_mul_f64_e32 v[105:106], v[93:94], v[55:56]
	v_mul_f64_e32 v[55:56], v[95:96], v[55:56]
	scratch_load_b128 v[97:100], off, off offset:256
	s_wait_loadcnt_dscnt 0x900
	v_mul_f64_e32 v[107:108], v[81:82], v[59:60]
	v_mul_f64_e32 v[59:60], v[83:84], v[59:60]
	v_add_f64_e32 v[2:3], 0, v[2:3]
	v_add_f64_e32 v[6:7], 0, v[6:7]
	v_fma_f64 v[95:96], v[95:96], v[53:54], v[105:106]
	v_fma_f64 v[93:94], v[93:94], v[53:54], -v[55:56]
	scratch_load_b128 v[53:56], off, off offset:272
	v_fma_f64 v[107:108], v[83:84], v[57:58], v[107:108]
	v_fma_f64 v[109:110], v[81:82], v[57:58], -v[59:60]
	ds_load_b128 v[57:60], v1 offset:464
	s_wait_loadcnt 0x9
	v_mul_f64_e32 v[105:106], v[101:102], v[63:64]
	v_mul_f64_e32 v[63:64], v[103:104], v[63:64]
	scratch_load_b128 v[81:84], off, off offset:288
	v_add_f64_e32 v[6:7], v[6:7], v[95:96]
	v_add_f64_e32 v[2:3], v[2:3], v[93:94]
	ds_load_b128 v[93:96], v1 offset:480
	s_wait_loadcnt_dscnt 0x901
	v_mul_f64_e32 v[111:112], v[57:58], v[67:68]
	v_mul_f64_e32 v[67:68], v[59:60], v[67:68]
	v_fma_f64 v[103:104], v[103:104], v[61:62], v[105:106]
	v_fma_f64 v[101:102], v[101:102], v[61:62], -v[63:64]
	scratch_load_b128 v[61:64], off, off offset:304
	v_add_f64_e32 v[6:7], v[6:7], v[107:108]
	v_add_f64_e32 v[2:3], v[2:3], v[109:110]
	v_fma_f64 v[107:108], v[59:60], v[65:66], v[111:112]
	v_fma_f64 v[109:110], v[57:58], v[65:66], -v[67:68]
	ds_load_b128 v[57:60], v1 offset:496
	s_wait_loadcnt_dscnt 0x901
	v_mul_f64_e32 v[105:106], v[93:94], v[71:72]
	v_mul_f64_e32 v[71:72], v[95:96], v[71:72]
	scratch_load_b128 v[65:68], off, off offset:320
	s_wait_loadcnt_dscnt 0x900
	v_mul_f64_e32 v[111:112], v[57:58], v[75:76]
	v_mul_f64_e32 v[75:76], v[59:60], v[75:76]
	v_add_f64_e32 v[6:7], v[6:7], v[103:104]
	v_add_f64_e32 v[2:3], v[2:3], v[101:102]
	ds_load_b128 v[101:104], v1 offset:512
	v_fma_f64 v[95:96], v[95:96], v[69:70], v[105:106]
	v_fma_f64 v[69:70], v[93:94], v[69:70], -v[71:72]
	s_wait_loadcnt_dscnt 0x800
	v_mul_f64_e32 v[93:94], v[101:102], v[79:80]
	v_mul_f64_e32 v[79:80], v[103:104], v[79:80]
	v_fma_f64 v[105:106], v[59:60], v[73:74], v[111:112]
	v_fma_f64 v[73:74], v[57:58], v[73:74], -v[75:76]
	v_add_f64_e32 v[6:7], v[6:7], v[107:108]
	v_add_f64_e32 v[2:3], v[2:3], v[109:110]
	v_fma_f64 v[93:94], v[103:104], v[77:78], v[93:94]
	v_fma_f64 v[77:78], v[101:102], v[77:78], -v[79:80]
	s_delay_alu instid0(VALU_DEP_4) | instskip(NEXT) | instid1(VALU_DEP_4)
	v_add_f64_e32 v[6:7], v[6:7], v[95:96]
	v_add_f64_e32 v[2:3], v[2:3], v[69:70]
	ds_load_b128 v[57:60], v1 offset:528
	ds_load_b128 v[69:72], v1 offset:544
	s_wait_loadcnt_dscnt 0x701
	v_mul_f64_e32 v[75:76], v[57:58], v[87:88]
	v_mul_f64_e32 v[87:88], v[59:60], v[87:88]
	v_add_f64_e32 v[6:7], v[6:7], v[105:106]
	v_add_f64_e32 v[2:3], v[2:3], v[73:74]
	s_wait_loadcnt_dscnt 0x500
	v_mul_f64_e32 v[79:80], v[69:70], v[10:11]
	v_mul_f64_e32 v[10:11], v[71:72], v[10:11]
	v_fma_f64 v[95:96], v[59:60], v[85:86], v[75:76]
	v_fma_f64 v[85:86], v[57:58], v[85:86], -v[87:88]
	ds_load_b128 v[57:60], v1 offset:560
	ds_load_b128 v[73:76], v1 offset:576
	v_add_f64_e32 v[6:7], v[6:7], v[93:94]
	v_add_f64_e32 v[2:3], v[2:3], v[77:78]
	v_fma_f64 v[71:72], v[71:72], v[8:9], v[79:80]
	v_fma_f64 v[8:9], v[69:70], v[8:9], -v[10:11]
	s_wait_loadcnt_dscnt 0x401
	v_mul_f64_e32 v[77:78], v[57:58], v[99:100]
	v_mul_f64_e32 v[87:88], v[59:60], v[99:100]
	v_add_f64_e32 v[6:7], v[6:7], v[95:96]
	v_add_f64_e32 v[2:3], v[2:3], v[85:86]
	s_wait_loadcnt_dscnt 0x300
	v_mul_f64_e32 v[10:11], v[73:74], v[55:56]
	v_mul_f64_e32 v[69:70], v[75:76], v[55:56]
	v_fma_f64 v[59:60], v[59:60], v[97:98], v[77:78]
	v_fma_f64 v[77:78], v[57:58], v[97:98], -v[87:88]
	v_add_f64_e32 v[71:72], v[6:7], v[71:72]
	v_add_f64_e32 v[2:3], v[2:3], v[8:9]
	ds_load_b128 v[6:9], v1 offset:592
	ds_load_b128 v[55:58], v1 offset:608
	v_fma_f64 v[10:11], v[75:76], v[53:54], v[10:11]
	v_fma_f64 v[53:54], v[73:74], v[53:54], -v[69:70]
	s_wait_loadcnt_dscnt 0x201
	v_mul_f64_e32 v[79:80], v[6:7], v[83:84]
	v_mul_f64_e32 v[83:84], v[8:9], v[83:84]
	v_add_f64_e32 v[59:60], v[71:72], v[59:60]
	v_add_f64_e32 v[2:3], v[2:3], v[77:78]
	s_wait_loadcnt_dscnt 0x100
	v_mul_f64_e32 v[69:70], v[55:56], v[63:64]
	v_mul_f64_e32 v[63:64], v[57:58], v[63:64]
	v_fma_f64 v[71:72], v[8:9], v[81:82], v[79:80]
	v_fma_f64 v[73:74], v[6:7], v[81:82], -v[83:84]
	ds_load_b128 v[6:9], v1 offset:624
	v_add_f64_e32 v[10:11], v[59:60], v[10:11]
	v_add_f64_e32 v[2:3], v[2:3], v[53:54]
	v_fma_f64 v[57:58], v[57:58], v[61:62], v[69:70]
	v_fma_f64 v[55:56], v[55:56], v[61:62], -v[63:64]
	s_wait_loadcnt_dscnt 0x0
	v_mul_f64_e32 v[53:54], v[6:7], v[67:68]
	v_mul_f64_e32 v[59:60], v[8:9], v[67:68]
	v_add_f64_e32 v[10:11], v[10:11], v[71:72]
	v_add_f64_e32 v[2:3], v[2:3], v[73:74]
	s_delay_alu instid0(VALU_DEP_4) | instskip(NEXT) | instid1(VALU_DEP_4)
	v_fma_f64 v[8:9], v[8:9], v[65:66], v[53:54]
	v_fma_f64 v[6:7], v[6:7], v[65:66], -v[59:60]
	s_delay_alu instid0(VALU_DEP_4) | instskip(NEXT) | instid1(VALU_DEP_4)
	v_add_f64_e32 v[10:11], v[10:11], v[57:58]
	v_add_f64_e32 v[2:3], v[2:3], v[55:56]
	s_delay_alu instid0(VALU_DEP_2) | instskip(NEXT) | instid1(VALU_DEP_2)
	v_add_f64_e32 v[8:9], v[10:11], v[8:9]
	v_add_f64_e32 v[2:3], v[2:3], v[6:7]
	s_delay_alu instid0(VALU_DEP_2) | instskip(NEXT) | instid1(VALU_DEP_2)
	v_add_f64_e64 v[8:9], v[91:92], -v[8:9]
	v_add_f64_e64 v[6:7], v[89:90], -v[2:3]
	scratch_store_b128 off, v[6:9], off offset:80
	v_cmpx_lt_u32_e32 3, v0
	s_cbranch_execz .LBB19_127
; %bb.126:
	scratch_load_b128 v[6:9], off, s9
	v_dual_mov_b32 v2, v1 :: v_dual_mov_b32 v3, v1
	v_mov_b32_e32 v4, v1
	scratch_store_b128 off, v[1:4], off offset:64
	s_wait_loadcnt 0x0
	ds_store_b128 v5, v[6:9]
.LBB19_127:
	s_wait_alu 0xfffe
	s_or_b32 exec_lo, exec_lo, s0
	s_wait_storecnt_dscnt 0x0
	s_barrier_signal -1
	s_barrier_wait -1
	global_inv scope:SCOPE_SE
	s_clause 0x8
	scratch_load_b128 v[6:9], off, off offset:80
	scratch_load_b128 v[53:56], off, off offset:96
	;; [unrolled: 1-line block ×9, first 2 shown]
	ds_load_b128 v[85:88], v1 offset:384
	ds_load_b128 v[89:92], v1 offset:400
	scratch_load_b128 v[93:96], off, off offset:64
	s_mov_b32 s0, exec_lo
	ds_load_b128 v[101:104], v1 offset:432
	s_wait_loadcnt_dscnt 0x902
	v_mul_f64_e32 v[2:3], v[87:88], v[8:9]
	v_mul_f64_e32 v[97:98], v[85:86], v[8:9]
	scratch_load_b128 v[8:11], off, off offset:224
	s_wait_loadcnt_dscnt 0x901
	v_mul_f64_e32 v[105:106], v[89:90], v[55:56]
	v_mul_f64_e32 v[55:56], v[91:92], v[55:56]
	v_fma_f64 v[2:3], v[85:86], v[6:7], -v[2:3]
	v_fma_f64 v[6:7], v[87:88], v[6:7], v[97:98]
	ds_load_b128 v[85:88], v1 offset:416
	scratch_load_b128 v[97:100], off, off offset:240
	v_fma_f64 v[91:92], v[91:92], v[53:54], v[105:106]
	v_fma_f64 v[89:90], v[89:90], v[53:54], -v[55:56]
	scratch_load_b128 v[53:56], off, off offset:256
	s_wait_loadcnt_dscnt 0x901
	v_mul_f64_e32 v[105:106], v[101:102], v[63:64]
	v_mul_f64_e32 v[63:64], v[103:104], v[63:64]
	s_wait_dscnt 0x0
	v_mul_f64_e32 v[107:108], v[85:86], v[59:60]
	v_mul_f64_e32 v[59:60], v[87:88], v[59:60]
	v_add_f64_e32 v[2:3], 0, v[2:3]
	v_add_f64_e32 v[6:7], 0, v[6:7]
	v_fma_f64 v[103:104], v[103:104], v[61:62], v[105:106]
	v_fma_f64 v[101:102], v[101:102], v[61:62], -v[63:64]
	scratch_load_b128 v[61:64], off, off offset:288
	v_fma_f64 v[107:108], v[87:88], v[57:58], v[107:108]
	v_fma_f64 v[109:110], v[85:86], v[57:58], -v[59:60]
	ds_load_b128 v[57:60], v1 offset:448
	scratch_load_b128 v[85:88], off, off offset:272
	v_add_f64_e32 v[2:3], v[2:3], v[89:90]
	v_add_f64_e32 v[6:7], v[6:7], v[91:92]
	ds_load_b128 v[89:92], v1 offset:464
	s_wait_loadcnt_dscnt 0xa01
	v_mul_f64_e32 v[111:112], v[57:58], v[67:68]
	v_mul_f64_e32 v[67:68], v[59:60], v[67:68]
	s_wait_loadcnt_dscnt 0x900
	v_mul_f64_e32 v[105:106], v[89:90], v[71:72]
	v_mul_f64_e32 v[71:72], v[91:92], v[71:72]
	v_add_f64_e32 v[2:3], v[2:3], v[109:110]
	v_add_f64_e32 v[6:7], v[6:7], v[107:108]
	v_fma_f64 v[107:108], v[59:60], v[65:66], v[111:112]
	v_fma_f64 v[109:110], v[57:58], v[65:66], -v[67:68]
	ds_load_b128 v[57:60], v1 offset:480
	scratch_load_b128 v[65:68], off, off offset:304
	v_fma_f64 v[91:92], v[91:92], v[69:70], v[105:106]
	v_fma_f64 v[89:90], v[89:90], v[69:70], -v[71:72]
	scratch_load_b128 v[69:72], off, off offset:320
	v_add_f64_e32 v[2:3], v[2:3], v[101:102]
	v_add_f64_e32 v[6:7], v[6:7], v[103:104]
	ds_load_b128 v[101:104], v1 offset:496
	s_wait_loadcnt_dscnt 0xa01
	v_mul_f64_e32 v[111:112], v[57:58], v[75:76]
	v_mul_f64_e32 v[75:76], v[59:60], v[75:76]
	s_wait_loadcnt_dscnt 0x900
	v_mul_f64_e32 v[105:106], v[101:102], v[79:80]
	v_mul_f64_e32 v[79:80], v[103:104], v[79:80]
	v_add_f64_e32 v[2:3], v[2:3], v[109:110]
	v_add_f64_e32 v[6:7], v[6:7], v[107:108]
	v_fma_f64 v[107:108], v[59:60], v[73:74], v[111:112]
	v_fma_f64 v[109:110], v[57:58], v[73:74], -v[75:76]
	ds_load_b128 v[57:60], v1 offset:512
	ds_load_b128 v[73:76], v1 offset:528
	v_add_f64_e32 v[2:3], v[2:3], v[89:90]
	v_add_f64_e32 v[6:7], v[6:7], v[91:92]
	s_wait_loadcnt_dscnt 0x801
	v_mul_f64_e32 v[89:90], v[57:58], v[83:84]
	v_mul_f64_e32 v[83:84], v[59:60], v[83:84]
	v_fma_f64 v[91:92], v[103:104], v[77:78], v[105:106]
	v_fma_f64 v[77:78], v[101:102], v[77:78], -v[79:80]
	v_add_f64_e32 v[2:3], v[2:3], v[109:110]
	v_add_f64_e32 v[6:7], v[6:7], v[107:108]
	v_fma_f64 v[89:90], v[59:60], v[81:82], v[89:90]
	v_fma_f64 v[81:82], v[57:58], v[81:82], -v[83:84]
	s_wait_loadcnt_dscnt 0x600
	v_mul_f64_e32 v[101:102], v[73:74], v[10:11]
	v_mul_f64_e32 v[10:11], v[75:76], v[10:11]
	v_add_f64_e32 v[2:3], v[2:3], v[77:78]
	v_add_f64_e32 v[6:7], v[6:7], v[91:92]
	ds_load_b128 v[57:60], v1 offset:544
	ds_load_b128 v[77:80], v1 offset:560
	v_fma_f64 v[75:76], v[75:76], v[8:9], v[101:102]
	v_fma_f64 v[8:9], v[73:74], v[8:9], -v[10:11]
	s_wait_loadcnt_dscnt 0x501
	v_mul_f64_e32 v[83:84], v[57:58], v[99:100]
	v_mul_f64_e32 v[91:92], v[59:60], v[99:100]
	s_wait_loadcnt_dscnt 0x400
	v_mul_f64_e32 v[10:11], v[77:78], v[55:56]
	v_mul_f64_e32 v[73:74], v[79:80], v[55:56]
	v_add_f64_e32 v[2:3], v[2:3], v[81:82]
	v_add_f64_e32 v[6:7], v[6:7], v[89:90]
	v_fma_f64 v[59:60], v[59:60], v[97:98], v[83:84]
	v_fma_f64 v[81:82], v[57:58], v[97:98], -v[91:92]
	v_fma_f64 v[10:11], v[79:80], v[53:54], v[10:11]
	v_fma_f64 v[53:54], v[77:78], v[53:54], -v[73:74]
	v_add_f64_e32 v[2:3], v[2:3], v[8:9]
	v_add_f64_e32 v[75:76], v[6:7], v[75:76]
	ds_load_b128 v[6:9], v1 offset:576
	ds_load_b128 v[55:58], v1 offset:592
	s_wait_loadcnt_dscnt 0x201
	v_mul_f64_e32 v[83:84], v[6:7], v[87:88]
	v_mul_f64_e32 v[87:88], v[8:9], v[87:88]
	s_wait_dscnt 0x0
	v_mul_f64_e32 v[73:74], v[55:56], v[63:64]
	v_mul_f64_e32 v[63:64], v[57:58], v[63:64]
	v_add_f64_e32 v[2:3], v[2:3], v[81:82]
	v_add_f64_e32 v[59:60], v[75:76], v[59:60]
	v_fma_f64 v[75:76], v[8:9], v[85:86], v[83:84]
	v_fma_f64 v[77:78], v[6:7], v[85:86], -v[87:88]
	v_fma_f64 v[57:58], v[57:58], v[61:62], v[73:74]
	v_fma_f64 v[55:56], v[55:56], v[61:62], -v[63:64]
	v_add_f64_e32 v[53:54], v[2:3], v[53:54]
	v_add_f64_e32 v[10:11], v[59:60], v[10:11]
	ds_load_b128 v[6:9], v1 offset:608
	ds_load_b128 v[1:4], v1 offset:624
	s_wait_loadcnt_dscnt 0x101
	v_mul_f64_e32 v[59:60], v[6:7], v[67:68]
	v_mul_f64_e32 v[67:68], v[8:9], v[67:68]
	s_wait_loadcnt_dscnt 0x0
	v_mul_f64_e32 v[61:62], v[1:2], v[71:72]
	v_mul_f64_e32 v[63:64], v[3:4], v[71:72]
	v_add_f64_e32 v[53:54], v[53:54], v[77:78]
	v_add_f64_e32 v[10:11], v[10:11], v[75:76]
	v_fma_f64 v[8:9], v[8:9], v[65:66], v[59:60]
	v_fma_f64 v[6:7], v[6:7], v[65:66], -v[67:68]
	v_fma_f64 v[3:4], v[3:4], v[69:70], v[61:62]
	v_fma_f64 v[1:2], v[1:2], v[69:70], -v[63:64]
	v_add_f64_e32 v[53:54], v[53:54], v[55:56]
	v_add_f64_e32 v[10:11], v[10:11], v[57:58]
	s_delay_alu instid0(VALU_DEP_2) | instskip(NEXT) | instid1(VALU_DEP_2)
	v_add_f64_e32 v[6:7], v[53:54], v[6:7]
	v_add_f64_e32 v[8:9], v[10:11], v[8:9]
	s_delay_alu instid0(VALU_DEP_2) | instskip(NEXT) | instid1(VALU_DEP_2)
	;; [unrolled: 3-line block ×3, first 2 shown]
	v_add_f64_e64 v[1:2], v[93:94], -v[1:2]
	v_add_f64_e64 v[3:4], v[95:96], -v[3:4]
	scratch_store_b128 off, v[1:4], off offset:64
	v_cmpx_lt_u32_e32 2, v0
	s_cbranch_execz .LBB19_129
; %bb.128:
	scratch_load_b128 v[1:4], off, s13
	v_mov_b32_e32 v6, 0
	s_delay_alu instid0(VALU_DEP_1)
	v_dual_mov_b32 v7, v6 :: v_dual_mov_b32 v8, v6
	v_mov_b32_e32 v9, v6
	scratch_store_b128 off, v[6:9], off offset:48
	s_wait_loadcnt 0x0
	ds_store_b128 v5, v[1:4]
.LBB19_129:
	s_wait_alu 0xfffe
	s_or_b32 exec_lo, exec_lo, s0
	s_wait_storecnt_dscnt 0x0
	s_barrier_signal -1
	s_barrier_wait -1
	global_inv scope:SCOPE_SE
	s_clause 0x7
	scratch_load_b128 v[6:9], off, off offset:64
	scratch_load_b128 v[53:56], off, off offset:80
	;; [unrolled: 1-line block ×8, first 2 shown]
	v_mov_b32_e32 v1, 0
	s_mov_b32 s0, exec_lo
	ds_load_b128 v[81:84], v1 offset:368
	s_clause 0x1
	scratch_load_b128 v[85:88], off, off offset:192
	scratch_load_b128 v[89:92], off, off offset:48
	ds_load_b128 v[93:96], v1 offset:384
	ds_load_b128 v[101:104], v1 offset:416
	s_wait_loadcnt_dscnt 0x902
	v_mul_f64_e32 v[2:3], v[83:84], v[8:9]
	v_mul_f64_e32 v[97:98], v[81:82], v[8:9]
	scratch_load_b128 v[8:11], off, off offset:208
	v_fma_f64 v[2:3], v[81:82], v[6:7], -v[2:3]
	v_fma_f64 v[6:7], v[83:84], v[6:7], v[97:98]
	ds_load_b128 v[81:84], v1 offset:400
	s_wait_loadcnt_dscnt 0x902
	v_mul_f64_e32 v[105:106], v[93:94], v[55:56]
	v_mul_f64_e32 v[55:56], v[95:96], v[55:56]
	scratch_load_b128 v[97:100], off, off offset:224
	s_wait_loadcnt_dscnt 0x900
	v_mul_f64_e32 v[107:108], v[81:82], v[59:60]
	v_mul_f64_e32 v[59:60], v[83:84], v[59:60]
	v_add_f64_e32 v[2:3], 0, v[2:3]
	v_add_f64_e32 v[6:7], 0, v[6:7]
	v_fma_f64 v[95:96], v[95:96], v[53:54], v[105:106]
	v_fma_f64 v[93:94], v[93:94], v[53:54], -v[55:56]
	scratch_load_b128 v[53:56], off, off offset:240
	v_fma_f64 v[107:108], v[83:84], v[57:58], v[107:108]
	v_fma_f64 v[109:110], v[81:82], v[57:58], -v[59:60]
	ds_load_b128 v[57:60], v1 offset:432
	s_wait_loadcnt 0x9
	v_mul_f64_e32 v[105:106], v[101:102], v[63:64]
	v_mul_f64_e32 v[63:64], v[103:104], v[63:64]
	scratch_load_b128 v[81:84], off, off offset:256
	v_add_f64_e32 v[6:7], v[6:7], v[95:96]
	v_add_f64_e32 v[2:3], v[2:3], v[93:94]
	ds_load_b128 v[93:96], v1 offset:448
	s_wait_loadcnt_dscnt 0x901
	v_mul_f64_e32 v[111:112], v[57:58], v[67:68]
	v_mul_f64_e32 v[67:68], v[59:60], v[67:68]
	v_fma_f64 v[103:104], v[103:104], v[61:62], v[105:106]
	v_fma_f64 v[101:102], v[101:102], v[61:62], -v[63:64]
	scratch_load_b128 v[61:64], off, off offset:272
	v_add_f64_e32 v[6:7], v[6:7], v[107:108]
	v_add_f64_e32 v[2:3], v[2:3], v[109:110]
	v_fma_f64 v[107:108], v[59:60], v[65:66], v[111:112]
	v_fma_f64 v[109:110], v[57:58], v[65:66], -v[67:68]
	ds_load_b128 v[57:60], v1 offset:464
	s_wait_loadcnt_dscnt 0x901
	v_mul_f64_e32 v[105:106], v[93:94], v[71:72]
	v_mul_f64_e32 v[71:72], v[95:96], v[71:72]
	scratch_load_b128 v[65:68], off, off offset:288
	s_wait_loadcnt_dscnt 0x900
	v_mul_f64_e32 v[111:112], v[57:58], v[75:76]
	v_mul_f64_e32 v[75:76], v[59:60], v[75:76]
	v_add_f64_e32 v[6:7], v[6:7], v[103:104]
	v_add_f64_e32 v[2:3], v[2:3], v[101:102]
	ds_load_b128 v[101:104], v1 offset:480
	v_fma_f64 v[95:96], v[95:96], v[69:70], v[105:106]
	v_fma_f64 v[93:94], v[93:94], v[69:70], -v[71:72]
	scratch_load_b128 v[69:72], off, off offset:304
	v_add_f64_e32 v[6:7], v[6:7], v[107:108]
	v_add_f64_e32 v[2:3], v[2:3], v[109:110]
	v_fma_f64 v[107:108], v[59:60], v[73:74], v[111:112]
	v_fma_f64 v[109:110], v[57:58], v[73:74], -v[75:76]
	ds_load_b128 v[57:60], v1 offset:496
	s_wait_loadcnt_dscnt 0x901
	v_mul_f64_e32 v[105:106], v[101:102], v[79:80]
	v_mul_f64_e32 v[79:80], v[103:104], v[79:80]
	scratch_load_b128 v[73:76], off, off offset:320
	s_wait_loadcnt_dscnt 0x900
	v_mul_f64_e32 v[111:112], v[57:58], v[87:88]
	v_mul_f64_e32 v[87:88], v[59:60], v[87:88]
	v_add_f64_e32 v[6:7], v[6:7], v[95:96]
	v_add_f64_e32 v[2:3], v[2:3], v[93:94]
	ds_load_b128 v[93:96], v1 offset:512
	v_fma_f64 v[103:104], v[103:104], v[77:78], v[105:106]
	v_fma_f64 v[77:78], v[101:102], v[77:78], -v[79:80]
	v_fma_f64 v[105:106], v[59:60], v[85:86], v[111:112]
	v_fma_f64 v[85:86], v[57:58], v[85:86], -v[87:88]
	v_add_f64_e32 v[6:7], v[6:7], v[107:108]
	v_add_f64_e32 v[2:3], v[2:3], v[109:110]
	s_wait_loadcnt_dscnt 0x700
	v_mul_f64_e32 v[101:102], v[93:94], v[10:11]
	v_mul_f64_e32 v[10:11], v[95:96], v[10:11]
	s_delay_alu instid0(VALU_DEP_4) | instskip(NEXT) | instid1(VALU_DEP_4)
	v_add_f64_e32 v[6:7], v[6:7], v[103:104]
	v_add_f64_e32 v[2:3], v[2:3], v[77:78]
	ds_load_b128 v[57:60], v1 offset:528
	ds_load_b128 v[77:80], v1 offset:544
	v_fma_f64 v[95:96], v[95:96], v[8:9], v[101:102]
	v_fma_f64 v[8:9], v[93:94], v[8:9], -v[10:11]
	s_wait_loadcnt_dscnt 0x601
	v_mul_f64_e32 v[87:88], v[57:58], v[99:100]
	v_mul_f64_e32 v[99:100], v[59:60], v[99:100]
	v_add_f64_e32 v[6:7], v[6:7], v[105:106]
	v_add_f64_e32 v[2:3], v[2:3], v[85:86]
	s_wait_loadcnt_dscnt 0x500
	v_mul_f64_e32 v[10:11], v[77:78], v[55:56]
	v_mul_f64_e32 v[85:86], v[79:80], v[55:56]
	v_fma_f64 v[59:60], v[59:60], v[97:98], v[87:88]
	v_fma_f64 v[87:88], v[57:58], v[97:98], -v[99:100]
	v_add_f64_e32 v[93:94], v[6:7], v[95:96]
	v_add_f64_e32 v[2:3], v[2:3], v[8:9]
	ds_load_b128 v[6:9], v1 offset:560
	ds_load_b128 v[55:58], v1 offset:576
	v_fma_f64 v[10:11], v[79:80], v[53:54], v[10:11]
	v_fma_f64 v[53:54], v[77:78], v[53:54], -v[85:86]
	s_wait_loadcnt_dscnt 0x401
	v_mul_f64_e32 v[95:96], v[6:7], v[83:84]
	v_mul_f64_e32 v[83:84], v[8:9], v[83:84]
	v_add_f64_e32 v[59:60], v[93:94], v[59:60]
	v_add_f64_e32 v[2:3], v[2:3], v[87:88]
	s_wait_loadcnt_dscnt 0x300
	v_mul_f64_e32 v[85:86], v[55:56], v[63:64]
	v_mul_f64_e32 v[63:64], v[57:58], v[63:64]
	v_fma_f64 v[87:88], v[8:9], v[81:82], v[95:96]
	v_fma_f64 v[81:82], v[6:7], v[81:82], -v[83:84]
	ds_load_b128 v[6:9], v1 offset:592
	ds_load_b128 v[77:80], v1 offset:608
	v_add_f64_e32 v[10:11], v[59:60], v[10:11]
	v_add_f64_e32 v[2:3], v[2:3], v[53:54]
	v_fma_f64 v[57:58], v[57:58], v[61:62], v[85:86]
	v_fma_f64 v[55:56], v[55:56], v[61:62], -v[63:64]
	s_wait_loadcnt_dscnt 0x201
	v_mul_f64_e32 v[53:54], v[6:7], v[67:68]
	v_mul_f64_e32 v[59:60], v[8:9], v[67:68]
	s_wait_loadcnt_dscnt 0x100
	v_mul_f64_e32 v[61:62], v[77:78], v[71:72]
	v_mul_f64_e32 v[63:64], v[79:80], v[71:72]
	v_add_f64_e32 v[10:11], v[10:11], v[87:88]
	v_add_f64_e32 v[2:3], v[2:3], v[81:82]
	v_fma_f64 v[53:54], v[8:9], v[65:66], v[53:54]
	v_fma_f64 v[59:60], v[6:7], v[65:66], -v[59:60]
	ds_load_b128 v[6:9], v1 offset:624
	v_fma_f64 v[61:62], v[79:80], v[69:70], v[61:62]
	v_fma_f64 v[63:64], v[77:78], v[69:70], -v[63:64]
	v_add_f64_e32 v[10:11], v[10:11], v[57:58]
	v_add_f64_e32 v[2:3], v[2:3], v[55:56]
	s_wait_loadcnt_dscnt 0x0
	v_mul_f64_e32 v[55:56], v[6:7], v[75:76]
	v_mul_f64_e32 v[57:58], v[8:9], v[75:76]
	s_delay_alu instid0(VALU_DEP_4) | instskip(NEXT) | instid1(VALU_DEP_4)
	v_add_f64_e32 v[10:11], v[10:11], v[53:54]
	v_add_f64_e32 v[2:3], v[2:3], v[59:60]
	s_delay_alu instid0(VALU_DEP_4) | instskip(NEXT) | instid1(VALU_DEP_4)
	v_fma_f64 v[8:9], v[8:9], v[73:74], v[55:56]
	v_fma_f64 v[6:7], v[6:7], v[73:74], -v[57:58]
	s_delay_alu instid0(VALU_DEP_4) | instskip(NEXT) | instid1(VALU_DEP_4)
	v_add_f64_e32 v[10:11], v[10:11], v[61:62]
	v_add_f64_e32 v[2:3], v[2:3], v[63:64]
	s_delay_alu instid0(VALU_DEP_2) | instskip(NEXT) | instid1(VALU_DEP_2)
	v_add_f64_e32 v[8:9], v[10:11], v[8:9]
	v_add_f64_e32 v[2:3], v[2:3], v[6:7]
	s_delay_alu instid0(VALU_DEP_2) | instskip(NEXT) | instid1(VALU_DEP_2)
	v_add_f64_e64 v[8:9], v[91:92], -v[8:9]
	v_add_f64_e64 v[6:7], v[89:90], -v[2:3]
	scratch_store_b128 off, v[6:9], off offset:48
	v_cmpx_lt_u32_e32 1, v0
	s_cbranch_execz .LBB19_131
; %bb.130:
	scratch_load_b128 v[6:9], off, s19
	v_dual_mov_b32 v2, v1 :: v_dual_mov_b32 v3, v1
	v_mov_b32_e32 v4, v1
	scratch_store_b128 off, v[1:4], off offset:32
	s_wait_loadcnt 0x0
	ds_store_b128 v5, v[6:9]
.LBB19_131:
	s_wait_alu 0xfffe
	s_or_b32 exec_lo, exec_lo, s0
	s_wait_storecnt_dscnt 0x0
	s_barrier_signal -1
	s_barrier_wait -1
	global_inv scope:SCOPE_SE
	s_clause 0x8
	scratch_load_b128 v[6:9], off, off offset:48
	scratch_load_b128 v[53:56], off, off offset:64
	;; [unrolled: 1-line block ×9, first 2 shown]
	ds_load_b128 v[85:88], v1 offset:352
	ds_load_b128 v[89:92], v1 offset:368
	scratch_load_b128 v[93:96], off, off offset:32
	s_mov_b32 s0, exec_lo
	ds_load_b128 v[101:104], v1 offset:400
	s_wait_loadcnt_dscnt 0x902
	v_mul_f64_e32 v[2:3], v[87:88], v[8:9]
	v_mul_f64_e32 v[97:98], v[85:86], v[8:9]
	scratch_load_b128 v[8:11], off, off offset:192
	s_wait_loadcnt_dscnt 0x901
	v_mul_f64_e32 v[105:106], v[89:90], v[55:56]
	v_mul_f64_e32 v[55:56], v[91:92], v[55:56]
	v_fma_f64 v[2:3], v[85:86], v[6:7], -v[2:3]
	v_fma_f64 v[6:7], v[87:88], v[6:7], v[97:98]
	ds_load_b128 v[85:88], v1 offset:384
	scratch_load_b128 v[97:100], off, off offset:208
	v_fma_f64 v[91:92], v[91:92], v[53:54], v[105:106]
	v_fma_f64 v[89:90], v[89:90], v[53:54], -v[55:56]
	scratch_load_b128 v[53:56], off, off offset:224
	s_wait_loadcnt_dscnt 0x901
	v_mul_f64_e32 v[105:106], v[101:102], v[63:64]
	v_mul_f64_e32 v[63:64], v[103:104], v[63:64]
	s_wait_dscnt 0x0
	v_mul_f64_e32 v[107:108], v[85:86], v[59:60]
	v_mul_f64_e32 v[59:60], v[87:88], v[59:60]
	v_add_f64_e32 v[2:3], 0, v[2:3]
	v_add_f64_e32 v[6:7], 0, v[6:7]
	v_fma_f64 v[103:104], v[103:104], v[61:62], v[105:106]
	v_fma_f64 v[101:102], v[101:102], v[61:62], -v[63:64]
	scratch_load_b128 v[61:64], off, off offset:256
	v_fma_f64 v[107:108], v[87:88], v[57:58], v[107:108]
	v_fma_f64 v[109:110], v[85:86], v[57:58], -v[59:60]
	ds_load_b128 v[57:60], v1 offset:416
	scratch_load_b128 v[85:88], off, off offset:240
	v_add_f64_e32 v[2:3], v[2:3], v[89:90]
	v_add_f64_e32 v[6:7], v[6:7], v[91:92]
	ds_load_b128 v[89:92], v1 offset:432
	s_wait_loadcnt_dscnt 0xa01
	v_mul_f64_e32 v[111:112], v[57:58], v[67:68]
	v_mul_f64_e32 v[67:68], v[59:60], v[67:68]
	s_wait_loadcnt_dscnt 0x900
	v_mul_f64_e32 v[105:106], v[89:90], v[71:72]
	v_mul_f64_e32 v[71:72], v[91:92], v[71:72]
	v_add_f64_e32 v[2:3], v[2:3], v[109:110]
	v_add_f64_e32 v[6:7], v[6:7], v[107:108]
	v_fma_f64 v[107:108], v[59:60], v[65:66], v[111:112]
	v_fma_f64 v[109:110], v[57:58], v[65:66], -v[67:68]
	ds_load_b128 v[57:60], v1 offset:448
	scratch_load_b128 v[65:68], off, off offset:272
	v_fma_f64 v[91:92], v[91:92], v[69:70], v[105:106]
	v_fma_f64 v[89:90], v[89:90], v[69:70], -v[71:72]
	scratch_load_b128 v[69:72], off, off offset:288
	v_add_f64_e32 v[2:3], v[2:3], v[101:102]
	v_add_f64_e32 v[6:7], v[6:7], v[103:104]
	ds_load_b128 v[101:104], v1 offset:464
	s_wait_loadcnt_dscnt 0xa01
	v_mul_f64_e32 v[111:112], v[57:58], v[75:76]
	v_mul_f64_e32 v[75:76], v[59:60], v[75:76]
	s_wait_loadcnt_dscnt 0x900
	v_mul_f64_e32 v[105:106], v[101:102], v[79:80]
	v_mul_f64_e32 v[79:80], v[103:104], v[79:80]
	v_add_f64_e32 v[2:3], v[2:3], v[109:110]
	v_add_f64_e32 v[6:7], v[6:7], v[107:108]
	v_fma_f64 v[107:108], v[59:60], v[73:74], v[111:112]
	v_fma_f64 v[109:110], v[57:58], v[73:74], -v[75:76]
	ds_load_b128 v[57:60], v1 offset:480
	scratch_load_b128 v[73:76], off, off offset:304
	v_fma_f64 v[103:104], v[103:104], v[77:78], v[105:106]
	v_fma_f64 v[101:102], v[101:102], v[77:78], -v[79:80]
	scratch_load_b128 v[77:80], off, off offset:320
	v_add_f64_e32 v[2:3], v[2:3], v[89:90]
	v_add_f64_e32 v[6:7], v[6:7], v[91:92]
	ds_load_b128 v[89:92], v1 offset:496
	s_wait_loadcnt_dscnt 0xa01
	v_mul_f64_e32 v[111:112], v[57:58], v[83:84]
	v_mul_f64_e32 v[83:84], v[59:60], v[83:84]
	v_add_f64_e32 v[2:3], v[2:3], v[109:110]
	v_add_f64_e32 v[6:7], v[6:7], v[107:108]
	s_delay_alu instid0(VALU_DEP_4) | instskip(NEXT) | instid1(VALU_DEP_4)
	v_fma_f64 v[107:108], v[59:60], v[81:82], v[111:112]
	v_fma_f64 v[109:110], v[57:58], v[81:82], -v[83:84]
	ds_load_b128 v[57:60], v1 offset:512
	ds_load_b128 v[81:84], v1 offset:528
	s_wait_loadcnt_dscnt 0x802
	v_mul_f64_e32 v[105:106], v[89:90], v[10:11]
	v_mul_f64_e32 v[10:11], v[91:92], v[10:11]
	v_add_f64_e32 v[2:3], v[2:3], v[101:102]
	v_add_f64_e32 v[6:7], v[6:7], v[103:104]
	s_delay_alu instid0(VALU_DEP_4)
	v_fma_f64 v[91:92], v[91:92], v[8:9], v[105:106]
	s_wait_loadcnt_dscnt 0x701
	v_mul_f64_e32 v[101:102], v[57:58], v[99:100]
	v_mul_f64_e32 v[99:100], v[59:60], v[99:100]
	v_fma_f64 v[8:9], v[89:90], v[8:9], -v[10:11]
	s_wait_loadcnt_dscnt 0x600
	v_mul_f64_e32 v[10:11], v[81:82], v[55:56]
	v_mul_f64_e32 v[89:90], v[83:84], v[55:56]
	v_add_f64_e32 v[2:3], v[2:3], v[109:110]
	v_add_f64_e32 v[6:7], v[6:7], v[107:108]
	v_fma_f64 v[59:60], v[59:60], v[97:98], v[101:102]
	v_fma_f64 v[97:98], v[57:58], v[97:98], -v[99:100]
	v_fma_f64 v[10:11], v[83:84], v[53:54], v[10:11]
	v_fma_f64 v[53:54], v[81:82], v[53:54], -v[89:90]
	v_add_f64_e32 v[2:3], v[2:3], v[8:9]
	v_add_f64_e32 v[91:92], v[6:7], v[91:92]
	ds_load_b128 v[6:9], v1 offset:544
	ds_load_b128 v[55:58], v1 offset:560
	s_wait_loadcnt_dscnt 0x401
	v_mul_f64_e32 v[99:100], v[6:7], v[87:88]
	v_mul_f64_e32 v[87:88], v[8:9], v[87:88]
	s_wait_dscnt 0x0
	v_mul_f64_e32 v[89:90], v[55:56], v[63:64]
	v_mul_f64_e32 v[63:64], v[57:58], v[63:64]
	v_add_f64_e32 v[2:3], v[2:3], v[97:98]
	v_add_f64_e32 v[59:60], v[91:92], v[59:60]
	v_fma_f64 v[91:92], v[8:9], v[85:86], v[99:100]
	v_fma_f64 v[85:86], v[6:7], v[85:86], -v[87:88]
	ds_load_b128 v[6:9], v1 offset:576
	ds_load_b128 v[81:84], v1 offset:592
	v_fma_f64 v[57:58], v[57:58], v[61:62], v[89:90]
	v_fma_f64 v[55:56], v[55:56], v[61:62], -v[63:64]
	v_add_f64_e32 v[2:3], v[2:3], v[53:54]
	v_add_f64_e32 v[10:11], v[59:60], v[10:11]
	s_wait_loadcnt_dscnt 0x301
	v_mul_f64_e32 v[53:54], v[6:7], v[67:68]
	v_mul_f64_e32 v[59:60], v[8:9], v[67:68]
	s_wait_loadcnt_dscnt 0x200
	v_mul_f64_e32 v[61:62], v[81:82], v[71:72]
	v_mul_f64_e32 v[63:64], v[83:84], v[71:72]
	v_add_f64_e32 v[2:3], v[2:3], v[85:86]
	v_add_f64_e32 v[10:11], v[10:11], v[91:92]
	v_fma_f64 v[53:54], v[8:9], v[65:66], v[53:54]
	v_fma_f64 v[59:60], v[6:7], v[65:66], -v[59:60]
	v_fma_f64 v[61:62], v[83:84], v[69:70], v[61:62]
	v_fma_f64 v[63:64], v[81:82], v[69:70], -v[63:64]
	v_add_f64_e32 v[55:56], v[2:3], v[55:56]
	v_add_f64_e32 v[10:11], v[10:11], v[57:58]
	ds_load_b128 v[6:9], v1 offset:608
	ds_load_b128 v[1:4], v1 offset:624
	s_wait_loadcnt_dscnt 0x101
	v_mul_f64_e32 v[57:58], v[6:7], v[75:76]
	v_mul_f64_e32 v[65:66], v[8:9], v[75:76]
	v_add_f64_e32 v[55:56], v[55:56], v[59:60]
	v_add_f64_e32 v[10:11], v[10:11], v[53:54]
	s_wait_loadcnt_dscnt 0x0
	v_mul_f64_e32 v[53:54], v[1:2], v[79:80]
	v_mul_f64_e32 v[59:60], v[3:4], v[79:80]
	v_fma_f64 v[8:9], v[8:9], v[73:74], v[57:58]
	v_fma_f64 v[6:7], v[6:7], v[73:74], -v[65:66]
	v_add_f64_e32 v[55:56], v[55:56], v[63:64]
	v_add_f64_e32 v[10:11], v[10:11], v[61:62]
	v_fma_f64 v[3:4], v[3:4], v[77:78], v[53:54]
	v_fma_f64 v[1:2], v[1:2], v[77:78], -v[59:60]
	s_delay_alu instid0(VALU_DEP_4) | instskip(NEXT) | instid1(VALU_DEP_4)
	v_add_f64_e32 v[6:7], v[55:56], v[6:7]
	v_add_f64_e32 v[8:9], v[10:11], v[8:9]
	s_delay_alu instid0(VALU_DEP_2) | instskip(NEXT) | instid1(VALU_DEP_2)
	v_add_f64_e32 v[1:2], v[6:7], v[1:2]
	v_add_f64_e32 v[3:4], v[8:9], v[3:4]
	s_delay_alu instid0(VALU_DEP_2) | instskip(NEXT) | instid1(VALU_DEP_2)
	v_add_f64_e64 v[1:2], v[93:94], -v[1:2]
	v_add_f64_e64 v[3:4], v[95:96], -v[3:4]
	scratch_store_b128 off, v[1:4], off offset:32
	v_cmpx_ne_u32_e32 0, v0
	s_cbranch_execz .LBB19_133
; %bb.132:
	scratch_load_b128 v[0:3], off, off offset:16
	v_mov_b32_e32 v6, 0
	s_delay_alu instid0(VALU_DEP_1)
	v_dual_mov_b32 v7, v6 :: v_dual_mov_b32 v8, v6
	v_mov_b32_e32 v9, v6
	scratch_store_b128 off, v[6:9], off offset:16
	s_wait_loadcnt 0x0
	ds_store_b128 v5, v[0:3]
.LBB19_133:
	s_wait_alu 0xfffe
	s_or_b32 exec_lo, exec_lo, s0
	s_wait_storecnt_dscnt 0x0
	s_barrier_signal -1
	s_barrier_wait -1
	global_inv scope:SCOPE_SE
	s_clause 0x7
	scratch_load_b128 v[1:4], off, off offset:32
	scratch_load_b128 v[5:8], off, off offset:48
	scratch_load_b128 v[9:12], off, off offset:64
	scratch_load_b128 v[53:56], off, off offset:80
	scratch_load_b128 v[57:60], off, off offset:96
	scratch_load_b128 v[61:64], off, off offset:112
	scratch_load_b128 v[65:68], off, off offset:128
	scratch_load_b128 v[69:72], off, off offset:144
	v_mov_b32_e32 v0, 0
	s_and_b32 vcc_lo, exec_lo, s18
	ds_load_b128 v[73:76], v0 offset:336
	s_clause 0x1
	scratch_load_b128 v[77:80], off, off offset:160
	scratch_load_b128 v[81:84], off, off offset:16
	ds_load_b128 v[85:88], v0 offset:352
	scratch_load_b128 v[89:92], off, off offset:176
	s_wait_loadcnt_dscnt 0xa01
	v_mul_f64_e32 v[93:94], v[75:76], v[3:4]
	v_mul_f64_e32 v[3:4], v[73:74], v[3:4]
	s_delay_alu instid0(VALU_DEP_2) | instskip(NEXT) | instid1(VALU_DEP_2)
	v_fma_f64 v[99:100], v[73:74], v[1:2], -v[93:94]
	v_fma_f64 v[101:102], v[75:76], v[1:2], v[3:4]
	ds_load_b128 v[1:4], v0 offset:368
	s_wait_loadcnt_dscnt 0x901
	v_mul_f64_e32 v[97:98], v[85:86], v[7:8]
	v_mul_f64_e32 v[7:8], v[87:88], v[7:8]
	scratch_load_b128 v[73:76], off, off offset:192
	ds_load_b128 v[93:96], v0 offset:384
	s_wait_loadcnt_dscnt 0x901
	v_mul_f64_e32 v[103:104], v[1:2], v[11:12]
	v_mul_f64_e32 v[11:12], v[3:4], v[11:12]
	v_fma_f64 v[87:88], v[87:88], v[5:6], v[97:98]
	v_fma_f64 v[85:86], v[85:86], v[5:6], -v[7:8]
	v_add_f64_e32 v[97:98], 0, v[99:100]
	v_add_f64_e32 v[99:100], 0, v[101:102]
	scratch_load_b128 v[5:8], off, off offset:208
	v_fma_f64 v[103:104], v[3:4], v[9:10], v[103:104]
	v_fma_f64 v[105:106], v[1:2], v[9:10], -v[11:12]
	ds_load_b128 v[1:4], v0 offset:400
	s_wait_loadcnt_dscnt 0x901
	v_mul_f64_e32 v[101:102], v[93:94], v[55:56]
	v_mul_f64_e32 v[55:56], v[95:96], v[55:56]
	scratch_load_b128 v[9:12], off, off offset:224
	v_add_f64_e32 v[97:98], v[97:98], v[85:86]
	v_add_f64_e32 v[99:100], v[99:100], v[87:88]
	s_wait_loadcnt_dscnt 0x900
	v_mul_f64_e32 v[107:108], v[1:2], v[59:60]
	v_mul_f64_e32 v[59:60], v[3:4], v[59:60]
	ds_load_b128 v[85:88], v0 offset:416
	v_fma_f64 v[95:96], v[95:96], v[53:54], v[101:102]
	v_fma_f64 v[93:94], v[93:94], v[53:54], -v[55:56]
	scratch_load_b128 v[53:56], off, off offset:240
	v_add_f64_e32 v[97:98], v[97:98], v[105:106]
	v_add_f64_e32 v[99:100], v[99:100], v[103:104]
	v_fma_f64 v[103:104], v[3:4], v[57:58], v[107:108]
	v_fma_f64 v[105:106], v[1:2], v[57:58], -v[59:60]
	ds_load_b128 v[1:4], v0 offset:432
	s_wait_loadcnt_dscnt 0x901
	v_mul_f64_e32 v[101:102], v[85:86], v[63:64]
	v_mul_f64_e32 v[63:64], v[87:88], v[63:64]
	scratch_load_b128 v[57:60], off, off offset:256
	s_wait_loadcnt_dscnt 0x900
	v_mul_f64_e32 v[107:108], v[1:2], v[67:68]
	v_mul_f64_e32 v[67:68], v[3:4], v[67:68]
	v_add_f64_e32 v[97:98], v[97:98], v[93:94]
	v_add_f64_e32 v[99:100], v[99:100], v[95:96]
	ds_load_b128 v[93:96], v0 offset:448
	v_fma_f64 v[87:88], v[87:88], v[61:62], v[101:102]
	v_fma_f64 v[85:86], v[85:86], v[61:62], -v[63:64]
	scratch_load_b128 v[61:64], off, off offset:272
	v_add_f64_e32 v[97:98], v[97:98], v[105:106]
	v_add_f64_e32 v[99:100], v[99:100], v[103:104]
	v_fma_f64 v[103:104], v[3:4], v[65:66], v[107:108]
	v_fma_f64 v[105:106], v[1:2], v[65:66], -v[67:68]
	ds_load_b128 v[1:4], v0 offset:464
	s_wait_loadcnt_dscnt 0x901
	v_mul_f64_e32 v[101:102], v[93:94], v[71:72]
	v_mul_f64_e32 v[71:72], v[95:96], v[71:72]
	scratch_load_b128 v[65:68], off, off offset:288
	s_wait_loadcnt_dscnt 0x900
	v_mul_f64_e32 v[107:108], v[1:2], v[79:80]
	v_mul_f64_e32 v[79:80], v[3:4], v[79:80]
	v_add_f64_e32 v[97:98], v[97:98], v[85:86]
	v_add_f64_e32 v[99:100], v[99:100], v[87:88]
	ds_load_b128 v[85:88], v0 offset:480
	v_fma_f64 v[95:96], v[95:96], v[69:70], v[101:102]
	v_fma_f64 v[93:94], v[93:94], v[69:70], -v[71:72]
	scratch_load_b128 v[69:72], off, off offset:304
	v_add_f64_e32 v[97:98], v[97:98], v[105:106]
	v_add_f64_e32 v[99:100], v[99:100], v[103:104]
	v_fma_f64 v[105:106], v[3:4], v[77:78], v[107:108]
	v_fma_f64 v[107:108], v[1:2], v[77:78], -v[79:80]
	ds_load_b128 v[1:4], v0 offset:496
	s_wait_loadcnt_dscnt 0x801
	v_mul_f64_e32 v[101:102], v[85:86], v[91:92]
	v_mul_f64_e32 v[103:104], v[87:88], v[91:92]
	scratch_load_b128 v[77:80], off, off offset:320
	v_add_f64_e32 v[97:98], v[97:98], v[93:94]
	v_add_f64_e32 v[95:96], v[99:100], v[95:96]
	ds_load_b128 v[91:94], v0 offset:512
	v_fma_f64 v[87:88], v[87:88], v[89:90], v[101:102]
	v_fma_f64 v[85:86], v[85:86], v[89:90], -v[103:104]
	s_wait_loadcnt_dscnt 0x801
	v_mul_f64_e32 v[99:100], v[1:2], v[75:76]
	v_mul_f64_e32 v[75:76], v[3:4], v[75:76]
	v_add_f64_e32 v[89:90], v[97:98], v[107:108]
	v_add_f64_e32 v[95:96], v[95:96], v[105:106]
	s_delay_alu instid0(VALU_DEP_4) | instskip(NEXT) | instid1(VALU_DEP_4)
	v_fma_f64 v[99:100], v[3:4], v[73:74], v[99:100]
	v_fma_f64 v[101:102], v[1:2], v[73:74], -v[75:76]
	s_wait_loadcnt_dscnt 0x700
	v_mul_f64_e32 v[97:98], v[91:92], v[7:8]
	v_mul_f64_e32 v[7:8], v[93:94], v[7:8]
	ds_load_b128 v[1:4], v0 offset:528
	ds_load_b128 v[73:76], v0 offset:544
	v_add_f64_e32 v[85:86], v[89:90], v[85:86]
	v_add_f64_e32 v[87:88], v[95:96], v[87:88]
	s_wait_loadcnt_dscnt 0x601
	v_mul_f64_e32 v[89:90], v[1:2], v[11:12]
	v_mul_f64_e32 v[11:12], v[3:4], v[11:12]
	v_fma_f64 v[93:94], v[93:94], v[5:6], v[97:98]
	v_fma_f64 v[5:6], v[91:92], v[5:6], -v[7:8]
	v_add_f64_e32 v[7:8], v[85:86], v[101:102]
	v_add_f64_e32 v[85:86], v[87:88], v[99:100]
	s_wait_loadcnt_dscnt 0x500
	v_mul_f64_e32 v[87:88], v[73:74], v[55:56]
	v_mul_f64_e32 v[55:56], v[75:76], v[55:56]
	v_fma_f64 v[89:90], v[3:4], v[9:10], v[89:90]
	v_fma_f64 v[9:10], v[1:2], v[9:10], -v[11:12]
	v_add_f64_e32 v[11:12], v[7:8], v[5:6]
	v_add_f64_e32 v[85:86], v[85:86], v[93:94]
	ds_load_b128 v[1:4], v0 offset:560
	ds_load_b128 v[5:8], v0 offset:576
	v_fma_f64 v[75:76], v[75:76], v[53:54], v[87:88]
	v_fma_f64 v[53:54], v[73:74], v[53:54], -v[55:56]
	s_wait_loadcnt_dscnt 0x401
	v_mul_f64_e32 v[91:92], v[1:2], v[59:60]
	v_mul_f64_e32 v[59:60], v[3:4], v[59:60]
	s_wait_loadcnt_dscnt 0x300
	v_mul_f64_e32 v[55:56], v[5:6], v[63:64]
	v_mul_f64_e32 v[63:64], v[7:8], v[63:64]
	v_add_f64_e32 v[9:10], v[11:12], v[9:10]
	v_add_f64_e32 v[11:12], v[85:86], v[89:90]
	v_fma_f64 v[73:74], v[3:4], v[57:58], v[91:92]
	v_fma_f64 v[57:58], v[1:2], v[57:58], -v[59:60]
	v_fma_f64 v[7:8], v[7:8], v[61:62], v[55:56]
	v_fma_f64 v[5:6], v[5:6], v[61:62], -v[63:64]
	v_add_f64_e32 v[53:54], v[9:10], v[53:54]
	v_add_f64_e32 v[59:60], v[11:12], v[75:76]
	ds_load_b128 v[1:4], v0 offset:592
	ds_load_b128 v[9:12], v0 offset:608
	s_wait_loadcnt_dscnt 0x201
	v_mul_f64_e32 v[75:76], v[1:2], v[67:68]
	v_mul_f64_e32 v[67:68], v[3:4], v[67:68]
	v_add_f64_e32 v[53:54], v[53:54], v[57:58]
	v_add_f64_e32 v[55:56], v[59:60], v[73:74]
	s_wait_loadcnt_dscnt 0x100
	v_mul_f64_e32 v[57:58], v[9:10], v[71:72]
	v_mul_f64_e32 v[59:60], v[11:12], v[71:72]
	v_fma_f64 v[61:62], v[3:4], v[65:66], v[75:76]
	v_fma_f64 v[63:64], v[1:2], v[65:66], -v[67:68]
	ds_load_b128 v[1:4], v0 offset:624
	v_add_f64_e32 v[5:6], v[53:54], v[5:6]
	v_add_f64_e32 v[7:8], v[55:56], v[7:8]
	v_fma_f64 v[11:12], v[11:12], v[69:70], v[57:58]
	v_fma_f64 v[9:10], v[9:10], v[69:70], -v[59:60]
	s_wait_loadcnt_dscnt 0x0
	v_mul_f64_e32 v[53:54], v[1:2], v[79:80]
	v_mul_f64_e32 v[55:56], v[3:4], v[79:80]
	v_add_f64_e32 v[5:6], v[5:6], v[63:64]
	v_add_f64_e32 v[7:8], v[7:8], v[61:62]
	s_delay_alu instid0(VALU_DEP_4) | instskip(NEXT) | instid1(VALU_DEP_4)
	v_fma_f64 v[3:4], v[3:4], v[77:78], v[53:54]
	v_fma_f64 v[1:2], v[1:2], v[77:78], -v[55:56]
	s_delay_alu instid0(VALU_DEP_4) | instskip(NEXT) | instid1(VALU_DEP_4)
	v_add_f64_e32 v[5:6], v[5:6], v[9:10]
	v_add_f64_e32 v[7:8], v[7:8], v[11:12]
	s_delay_alu instid0(VALU_DEP_2) | instskip(NEXT) | instid1(VALU_DEP_2)
	v_add_f64_e32 v[1:2], v[5:6], v[1:2]
	v_add_f64_e32 v[3:4], v[7:8], v[3:4]
	s_delay_alu instid0(VALU_DEP_2) | instskip(NEXT) | instid1(VALU_DEP_2)
	v_add_f64_e64 v[1:2], v[81:82], -v[1:2]
	v_add_f64_e64 v[3:4], v[83:84], -v[3:4]
	scratch_store_b128 off, v[1:4], off offset:16
	s_wait_alu 0xfffe
	s_cbranch_vccz .LBB19_172
; %bb.134:
	global_load_b32 v0, v0, s[2:3] offset:72
	s_wait_loadcnt 0x0
	v_cmp_ne_u32_e32 vcc_lo, 19, v0
	s_cbranch_vccz .LBB19_136
; %bb.135:
	v_lshlrev_b32_e32 v0, 4, v0
	s_delay_alu instid0(VALU_DEP_1)
	v_add_nc_u32_e32 v8, 16, v0
	s_clause 0x1
	scratch_load_b128 v[0:3], v8, off offset:-16
	scratch_load_b128 v[4:7], off, s24
	s_wait_loadcnt 0x1
	scratch_store_b128 off, v[0:3], s24
	s_wait_loadcnt 0x0
	scratch_store_b128 v8, v[4:7], off offset:-16
.LBB19_136:
	v_mov_b32_e32 v0, 0
	global_load_b32 v1, v0, s[2:3] offset:68
	s_wait_loadcnt 0x0
	v_cmp_eq_u32_e32 vcc_lo, 18, v1
	s_cbranch_vccnz .LBB19_138
; %bb.137:
	v_lshlrev_b32_e32 v1, 4, v1
	s_delay_alu instid0(VALU_DEP_1)
	v_add_nc_u32_e32 v9, 16, v1
	s_clause 0x1
	scratch_load_b128 v[1:4], v9, off offset:-16
	scratch_load_b128 v[5:8], off, s15
	s_wait_loadcnt 0x1
	scratch_store_b128 off, v[1:4], s15
	s_wait_loadcnt 0x0
	scratch_store_b128 v9, v[5:8], off offset:-16
.LBB19_138:
	global_load_b32 v0, v0, s[2:3] offset:64
	s_wait_loadcnt 0x0
	v_cmp_eq_u32_e32 vcc_lo, 17, v0
	s_cbranch_vccnz .LBB19_140
; %bb.139:
	v_lshlrev_b32_e32 v0, 4, v0
	s_delay_alu instid0(VALU_DEP_1)
	v_add_nc_u32_e32 v8, 16, v0
	s_clause 0x1
	scratch_load_b128 v[0:3], v8, off offset:-16
	scratch_load_b128 v[4:7], off, s26
	s_wait_loadcnt 0x1
	scratch_store_b128 off, v[0:3], s26
	s_wait_loadcnt 0x0
	scratch_store_b128 v8, v[4:7], off offset:-16
.LBB19_140:
	v_mov_b32_e32 v0, 0
	global_load_b32 v1, v0, s[2:3] offset:60
	s_wait_loadcnt 0x0
	v_cmp_eq_u32_e32 vcc_lo, 16, v1
	s_cbranch_vccnz .LBB19_142
; %bb.141:
	v_lshlrev_b32_e32 v1, 4, v1
	s_delay_alu instid0(VALU_DEP_1)
	v_add_nc_u32_e32 v9, 16, v1
	s_clause 0x1
	scratch_load_b128 v[1:4], v9, off offset:-16
	scratch_load_b128 v[5:8], off, s23
	s_wait_loadcnt 0x1
	scratch_store_b128 off, v[1:4], s23
	s_wait_loadcnt 0x0
	scratch_store_b128 v9, v[5:8], off offset:-16
.LBB19_142:
	global_load_b32 v0, v0, s[2:3] offset:56
	s_wait_loadcnt 0x0
	v_cmp_eq_u32_e32 vcc_lo, 15, v0
	s_cbranch_vccnz .LBB19_144
; %bb.143:
	v_lshlrev_b32_e32 v0, 4, v0
	s_delay_alu instid0(VALU_DEP_1)
	v_add_nc_u32_e32 v8, 16, v0
	s_clause 0x1
	scratch_load_b128 v[0:3], v8, off offset:-16
	scratch_load_b128 v[4:7], off, s25
	s_wait_loadcnt 0x1
	scratch_store_b128 off, v[0:3], s25
	s_wait_loadcnt 0x0
	scratch_store_b128 v8, v[4:7], off offset:-16
.LBB19_144:
	;; [unrolled: 33-line block ×8, first 2 shown]
	v_mov_b32_e32 v0, 0
	global_load_b32 v1, v0, s[2:3] offset:4
	s_wait_loadcnt 0x0
	v_cmp_eq_u32_e32 vcc_lo, 2, v1
	s_cbranch_vccnz .LBB19_170
; %bb.169:
	v_lshlrev_b32_e32 v1, 4, v1
	s_delay_alu instid0(VALU_DEP_1)
	v_add_nc_u32_e32 v9, 16, v1
	s_clause 0x1
	scratch_load_b128 v[1:4], v9, off offset:-16
	scratch_load_b128 v[5:8], off, s19
	s_wait_loadcnt 0x1
	scratch_store_b128 off, v[1:4], s19
	s_wait_loadcnt 0x0
	scratch_store_b128 v9, v[5:8], off offset:-16
.LBB19_170:
	global_load_b32 v0, v0, s[2:3]
	s_wait_loadcnt 0x0
	v_cmp_eq_u32_e32 vcc_lo, 1, v0
	s_cbranch_vccnz .LBB19_172
; %bb.171:
	v_lshlrev_b32_e32 v0, 4, v0
	s_delay_alu instid0(VALU_DEP_1)
	v_add_nc_u32_e32 v8, 16, v0
	scratch_load_b128 v[0:3], v8, off offset:-16
	scratch_load_b128 v[4:7], off, off offset:16
	s_wait_loadcnt 0x1
	scratch_store_b128 off, v[0:3], off offset:16
	s_wait_loadcnt 0x0
	scratch_store_b128 v8, v[4:7], off offset:-16
.LBB19_172:
	scratch_load_b128 v[0:3], off, off offset:16
	s_clause 0x10
	scratch_load_b128 v[4:7], off, s19
	scratch_load_b128 v[8:11], off, s13
	;; [unrolled: 1-line block ×17, first 2 shown]
	s_wait_loadcnt 0x11
	global_store_b128 v[13:14], v[0:3], off
	s_clause 0x1
	scratch_load_b128 v[0:3], off, s15
	scratch_load_b128 v[113:116], off, s24
	s_wait_loadcnt 0x12
	global_store_b128 v[15:16], v[4:7], off
	s_wait_loadcnt 0x11
	global_store_b128 v[17:18], v[8:11], off
	;; [unrolled: 2-line block ×17, first 2 shown]
	s_wait_loadcnt 0x0
	s_clause 0x1
	global_store_b128 v[49:50], v[113:116], off
	global_store_b128 v[51:52], v[109:112], off
	s_nop 0
	s_sendmsg sendmsg(MSG_DEALLOC_VGPRS)
	s_endpgm
	.section	.rodata,"a",@progbits
	.p2align	6, 0x0
	.amdhsa_kernel _ZN9rocsolver6v33100L18getri_kernel_smallILi20E19rocblas_complex_numIdEPS3_EEvT1_iilPiilS6_bb
		.amdhsa_group_segment_fixed_size 648
		.amdhsa_private_segment_fixed_size 352
		.amdhsa_kernarg_size 60
		.amdhsa_user_sgpr_count 2
		.amdhsa_user_sgpr_dispatch_ptr 0
		.amdhsa_user_sgpr_queue_ptr 0
		.amdhsa_user_sgpr_kernarg_segment_ptr 1
		.amdhsa_user_sgpr_dispatch_id 0
		.amdhsa_user_sgpr_private_segment_size 0
		.amdhsa_wavefront_size32 1
		.amdhsa_uses_dynamic_stack 0
		.amdhsa_enable_private_segment 1
		.amdhsa_system_sgpr_workgroup_id_x 1
		.amdhsa_system_sgpr_workgroup_id_y 0
		.amdhsa_system_sgpr_workgroup_id_z 0
		.amdhsa_system_sgpr_workgroup_info 0
		.amdhsa_system_vgpr_workitem_id 0
		.amdhsa_next_free_vgpr 117
		.amdhsa_next_free_sgpr 31
		.amdhsa_reserve_vcc 1
		.amdhsa_float_round_mode_32 0
		.amdhsa_float_round_mode_16_64 0
		.amdhsa_float_denorm_mode_32 3
		.amdhsa_float_denorm_mode_16_64 3
		.amdhsa_fp16_overflow 0
		.amdhsa_workgroup_processor_mode 1
		.amdhsa_memory_ordered 1
		.amdhsa_forward_progress 1
		.amdhsa_inst_pref_size 190
		.amdhsa_round_robin_scheduling 0
		.amdhsa_exception_fp_ieee_invalid_op 0
		.amdhsa_exception_fp_denorm_src 0
		.amdhsa_exception_fp_ieee_div_zero 0
		.amdhsa_exception_fp_ieee_overflow 0
		.amdhsa_exception_fp_ieee_underflow 0
		.amdhsa_exception_fp_ieee_inexact 0
		.amdhsa_exception_int_div_zero 0
	.end_amdhsa_kernel
	.section	.text._ZN9rocsolver6v33100L18getri_kernel_smallILi20E19rocblas_complex_numIdEPS3_EEvT1_iilPiilS6_bb,"axG",@progbits,_ZN9rocsolver6v33100L18getri_kernel_smallILi20E19rocblas_complex_numIdEPS3_EEvT1_iilPiilS6_bb,comdat
.Lfunc_end19:
	.size	_ZN9rocsolver6v33100L18getri_kernel_smallILi20E19rocblas_complex_numIdEPS3_EEvT1_iilPiilS6_bb, .Lfunc_end19-_ZN9rocsolver6v33100L18getri_kernel_smallILi20E19rocblas_complex_numIdEPS3_EEvT1_iilPiilS6_bb
                                        ; -- End function
	.set _ZN9rocsolver6v33100L18getri_kernel_smallILi20E19rocblas_complex_numIdEPS3_EEvT1_iilPiilS6_bb.num_vgpr, 117
	.set _ZN9rocsolver6v33100L18getri_kernel_smallILi20E19rocblas_complex_numIdEPS3_EEvT1_iilPiilS6_bb.num_agpr, 0
	.set _ZN9rocsolver6v33100L18getri_kernel_smallILi20E19rocblas_complex_numIdEPS3_EEvT1_iilPiilS6_bb.numbered_sgpr, 31
	.set _ZN9rocsolver6v33100L18getri_kernel_smallILi20E19rocblas_complex_numIdEPS3_EEvT1_iilPiilS6_bb.num_named_barrier, 0
	.set _ZN9rocsolver6v33100L18getri_kernel_smallILi20E19rocblas_complex_numIdEPS3_EEvT1_iilPiilS6_bb.private_seg_size, 352
	.set _ZN9rocsolver6v33100L18getri_kernel_smallILi20E19rocblas_complex_numIdEPS3_EEvT1_iilPiilS6_bb.uses_vcc, 1
	.set _ZN9rocsolver6v33100L18getri_kernel_smallILi20E19rocblas_complex_numIdEPS3_EEvT1_iilPiilS6_bb.uses_flat_scratch, 1
	.set _ZN9rocsolver6v33100L18getri_kernel_smallILi20E19rocblas_complex_numIdEPS3_EEvT1_iilPiilS6_bb.has_dyn_sized_stack, 0
	.set _ZN9rocsolver6v33100L18getri_kernel_smallILi20E19rocblas_complex_numIdEPS3_EEvT1_iilPiilS6_bb.has_recursion, 0
	.set _ZN9rocsolver6v33100L18getri_kernel_smallILi20E19rocblas_complex_numIdEPS3_EEvT1_iilPiilS6_bb.has_indirect_call, 0
	.section	.AMDGPU.csdata,"",@progbits
; Kernel info:
; codeLenInByte = 24320
; TotalNumSgprs: 33
; NumVgprs: 117
; ScratchSize: 352
; MemoryBound: 0
; FloatMode: 240
; IeeeMode: 1
; LDSByteSize: 648 bytes/workgroup (compile time only)
; SGPRBlocks: 0
; VGPRBlocks: 14
; NumSGPRsForWavesPerEU: 33
; NumVGPRsForWavesPerEU: 117
; Occupancy: 12
; WaveLimiterHint : 1
; COMPUTE_PGM_RSRC2:SCRATCH_EN: 1
; COMPUTE_PGM_RSRC2:USER_SGPR: 2
; COMPUTE_PGM_RSRC2:TRAP_HANDLER: 0
; COMPUTE_PGM_RSRC2:TGID_X_EN: 1
; COMPUTE_PGM_RSRC2:TGID_Y_EN: 0
; COMPUTE_PGM_RSRC2:TGID_Z_EN: 0
; COMPUTE_PGM_RSRC2:TIDIG_COMP_CNT: 0
	.section	.text._ZN9rocsolver6v33100L18getri_kernel_smallILi21E19rocblas_complex_numIdEPS3_EEvT1_iilPiilS6_bb,"axG",@progbits,_ZN9rocsolver6v33100L18getri_kernel_smallILi21E19rocblas_complex_numIdEPS3_EEvT1_iilPiilS6_bb,comdat
	.globl	_ZN9rocsolver6v33100L18getri_kernel_smallILi21E19rocblas_complex_numIdEPS3_EEvT1_iilPiilS6_bb ; -- Begin function _ZN9rocsolver6v33100L18getri_kernel_smallILi21E19rocblas_complex_numIdEPS3_EEvT1_iilPiilS6_bb
	.p2align	8
	.type	_ZN9rocsolver6v33100L18getri_kernel_smallILi21E19rocblas_complex_numIdEPS3_EEvT1_iilPiilS6_bb,@function
_ZN9rocsolver6v33100L18getri_kernel_smallILi21E19rocblas_complex_numIdEPS3_EEvT1_iilPiilS6_bb: ; @_ZN9rocsolver6v33100L18getri_kernel_smallILi21E19rocblas_complex_numIdEPS3_EEvT1_iilPiilS6_bb
; %bb.0:
	s_mov_b32 s2, exec_lo
	v_cmpx_gt_u32_e32 21, v0
	s_cbranch_execz .LBB20_98
; %bb.1:
	s_clause 0x2
	s_load_b32 s2, s[0:1], 0x38
	s_load_b128 s[12:15], s[0:1], 0x10
	s_load_b128 s[4:7], s[0:1], 0x28
	s_mov_b32 s16, ttmp9
	s_wait_kmcnt 0x0
	s_bitcmp1_b32 s2, 8
	s_cselect_b32 s18, -1, 0
	s_bfe_u32 s2, s2, 0x10008
	s_ashr_i32 s17, ttmp9, 31
	s_cmp_eq_u32 s2, 0
                                        ; implicit-def: $sgpr2_sgpr3
	s_cbranch_scc1 .LBB20_3
; %bb.2:
	s_load_b32 s2, s[0:1], 0x20
	s_mul_u64 s[4:5], s[4:5], s[16:17]
	s_delay_alu instid0(SALU_CYCLE_1) | instskip(NEXT) | instid1(SALU_CYCLE_1)
	s_lshl_b64 s[4:5], s[4:5], 2
	s_add_nc_u64 s[4:5], s[14:15], s[4:5]
	s_wait_kmcnt 0x0
	s_ashr_i32 s3, s2, 31
	s_delay_alu instid0(SALU_CYCLE_1) | instskip(NEXT) | instid1(SALU_CYCLE_1)
	s_lshl_b64 s[2:3], s[2:3], 2
	s_add_nc_u64 s[2:3], s[4:5], s[2:3]
.LBB20_3:
	s_clause 0x1
	s_load_b128 s[8:11], s[0:1], 0x0
	s_load_b32 s29, s[0:1], 0x38
	s_mul_u64 s[0:1], s[12:13], s[16:17]
	v_lshlrev_b32_e32 v55, 4, v0
	s_lshl_b64 s[0:1], s[0:1], 4
	s_mov_b32 s15, 32
	s_mov_b32 s13, 48
	s_wait_kmcnt 0x0
	v_add3_u32 v19, s11, s11, v0
	s_ashr_i32 s5, s10, 31
	s_mov_b32 s4, s10
	s_add_nc_u64 s[0:1], s[8:9], s[0:1]
	s_lshl_b64 s[4:5], s[4:5], 4
	v_ashrrev_i32_e32 v20, 31, v19
	s_add_nc_u64 s[0:1], s[0:1], s[4:5]
	s_ashr_i32 s9, s11, 31
	v_add_co_u32 v13, s4, s0, v55
	s_mov_b32 s8, s11
	v_lshlrev_b64_e32 v[5:6], 4, v[19:20]
	v_add_co_ci_u32_e64 v14, null, s1, 0, s4
	s_lshl_b64 s[8:9], s[8:9], 4
	global_load_b128 v[1:4], v55, s[0:1]
	v_add_co_u32 v15, vcc_lo, v13, s8
	s_delay_alu instid0(VALU_DEP_1)
	v_add_co_ci_u32_e64 v16, null, s9, v14, vcc_lo
	v_add_co_u32 v17, vcc_lo, s0, v5
	s_wait_alu 0xfffd
	v_add_co_ci_u32_e64 v18, null, s1, v6, vcc_lo
	s_clause 0x1
	global_load_b128 v[5:8], v[15:16], off
	global_load_b128 v[9:12], v[17:18], off
	v_add_nc_u32_e32 v19, s11, v19
	s_mov_b32 s9, 64
	s_movk_i32 s10, 0x50
	s_delay_alu instid0(VALU_DEP_1) | instskip(SKIP_1) | instid1(VALU_DEP_2)
	v_add_nc_u32_e32 v21, s11, v19
	v_ashrrev_i32_e32 v20, 31, v19
	v_add_nc_u32_e32 v23, s11, v21
	v_ashrrev_i32_e32 v22, 31, v21
	s_delay_alu instid0(VALU_DEP_3) | instskip(NEXT) | instid1(VALU_DEP_3)
	v_lshlrev_b64_e32 v[19:20], 4, v[19:20]
	v_add_nc_u32_e32 v25, s11, v23
	v_ashrrev_i32_e32 v24, 31, v23
	s_delay_alu instid0(VALU_DEP_4) | instskip(NEXT) | instid1(VALU_DEP_4)
	v_lshlrev_b64_e32 v[21:22], 4, v[21:22]
	v_add_co_u32 v19, vcc_lo, s0, v19
	s_delay_alu instid0(VALU_DEP_4)
	v_add_nc_u32_e32 v27, s11, v25
	v_ashrrev_i32_e32 v26, 31, v25
	v_lshlrev_b64_e32 v[23:24], 4, v[23:24]
	s_wait_alu 0xfffd
	v_add_co_ci_u32_e64 v20, null, s1, v20, vcc_lo
	v_add_nc_u32_e32 v29, s11, v27
	v_ashrrev_i32_e32 v28, 31, v27
	v_lshlrev_b64_e32 v[25:26], 4, v[25:26]
	v_add_co_u32 v21, vcc_lo, s0, v21
	s_delay_alu instid0(VALU_DEP_4)
	v_add_nc_u32_e32 v31, s11, v29
	v_ashrrev_i32_e32 v30, 31, v29
	v_lshlrev_b64_e32 v[27:28], 4, v[27:28]
	s_wait_alu 0xfffd
	v_add_co_ci_u32_e64 v22, null, s1, v22, vcc_lo
	v_add_nc_u32_e32 v33, s11, v31
	v_ashrrev_i32_e32 v32, 31, v31
	v_add_co_u32 v23, vcc_lo, s0, v23
	v_lshlrev_b64_e32 v[29:30], 4, v[29:30]
	s_delay_alu instid0(VALU_DEP_4)
	v_add_nc_u32_e32 v35, s11, v33
	v_ashrrev_i32_e32 v34, 31, v33
	s_wait_alu 0xfffd
	v_add_co_ci_u32_e64 v24, null, s1, v24, vcc_lo
	v_add_co_u32 v25, vcc_lo, s0, v25
	v_add_nc_u32_e32 v37, s11, v35
	v_ashrrev_i32_e32 v36, 31, v35
	v_lshlrev_b64_e32 v[31:32], 4, v[31:32]
	s_wait_alu 0xfffd
	v_add_co_ci_u32_e64 v26, null, s1, v26, vcc_lo
	v_add_nc_u32_e32 v39, s11, v37
	v_ashrrev_i32_e32 v38, 31, v37
	v_add_co_u32 v27, vcc_lo, s0, v27
	v_lshlrev_b64_e32 v[33:34], 4, v[33:34]
	s_delay_alu instid0(VALU_DEP_4)
	v_add_nc_u32_e32 v41, s11, v39
	v_ashrrev_i32_e32 v40, 31, v39
	s_wait_alu 0xfffd
	v_add_co_ci_u32_e64 v28, null, s1, v28, vcc_lo
	v_add_co_u32 v29, vcc_lo, s0, v29
	v_add_nc_u32_e32 v43, s11, v41
	v_lshlrev_b64_e32 v[35:36], 4, v[35:36]
	v_ashrrev_i32_e32 v42, 31, v41
	s_wait_alu 0xfffd
	v_add_co_ci_u32_e64 v30, null, s1, v30, vcc_lo
	v_add_nc_u32_e32 v45, s11, v43
	v_add_co_u32 v31, vcc_lo, s0, v31
	v_lshlrev_b64_e32 v[37:38], 4, v[37:38]
	v_ashrrev_i32_e32 v44, 31, v43
	s_delay_alu instid0(VALU_DEP_4) | instskip(SKIP_3) | instid1(VALU_DEP_3)
	v_add_nc_u32_e32 v47, s11, v45
	s_wait_alu 0xfffd
	v_add_co_ci_u32_e64 v32, null, s1, v32, vcc_lo
	v_add_co_u32 v33, vcc_lo, s0, v33
	v_add_nc_u32_e32 v49, s11, v47
	v_lshlrev_b64_e32 v[39:40], 4, v[39:40]
	v_ashrrev_i32_e32 v46, 31, v45
	s_wait_alu 0xfffd
	v_add_co_ci_u32_e64 v34, null, s1, v34, vcc_lo
	v_add_nc_u32_e32 v51, s11, v49
	v_add_co_u32 v35, vcc_lo, s0, v35
	v_lshlrev_b64_e32 v[41:42], 4, v[41:42]
	v_ashrrev_i32_e32 v48, 31, v47
	s_wait_alu 0xfffd
	v_add_co_ci_u32_e64 v36, null, s1, v36, vcc_lo
	v_add_co_u32 v37, vcc_lo, s0, v37
	v_lshlrev_b64_e32 v[43:44], 4, v[43:44]
	v_add_nc_u32_e32 v53, s11, v51
	v_ashrrev_i32_e32 v50, 31, v49
	s_wait_alu 0xfffd
	v_add_co_ci_u32_e64 v38, null, s1, v38, vcc_lo
	v_add_co_u32 v39, vcc_lo, s0, v39
	v_lshlrev_b64_e32 v[45:46], 4, v[45:46]
	v_ashrrev_i32_e32 v52, 31, v51
	s_wait_alu 0xfffd
	v_add_co_ci_u32_e64 v40, null, s1, v40, vcc_lo
	v_add_co_u32 v41, vcc_lo, s0, v41
	v_lshlrev_b64_e32 v[47:48], 4, v[47:48]
	;; [unrolled: 5-line block ×3, first 2 shown]
	s_wait_alu 0xfffd
	v_add_co_ci_u32_e64 v44, null, s1, v44, vcc_lo
	v_add_co_u32 v45, vcc_lo, s0, v45
	v_lshlrev_b64_e32 v[51:52], 4, v[51:52]
	s_wait_alu 0xfffd
	v_add_co_ci_u32_e64 v46, null, s1, v46, vcc_lo
	v_add_co_u32 v47, vcc_lo, s0, v47
	v_lshlrev_b64_e32 v[53:54], 4, v[53:54]
	s_wait_alu 0xfffd
	v_add_co_ci_u32_e64 v48, null, s1, v48, vcc_lo
	v_add_co_u32 v49, vcc_lo, s0, v49
	s_wait_alu 0xfffd
	v_add_co_ci_u32_e64 v50, null, s1, v50, vcc_lo
	v_add_co_u32 v51, vcc_lo, s0, v51
	;; [unrolled: 3-line block ×3, first 2 shown]
	s_wait_alu 0xfffd
	v_add_co_ci_u32_e64 v54, null, s1, v54, vcc_lo
	s_clause 0xe
	global_load_b128 v[56:59], v[19:20], off
	global_load_b128 v[60:63], v[21:22], off
	;; [unrolled: 1-line block ×15, first 2 shown]
	s_movk_i32 s0, 0x50
	s_movk_i32 s1, 0x70
	s_wait_alu 0xfffe
	s_add_co_i32 s4, s0, 16
	s_movk_i32 s0, 0x60
	s_add_co_i32 s5, s1, 16
	s_wait_alu 0xfffe
	s_add_co_i32 s11, s0, 16
	s_movk_i32 s0, 0x80
	s_movk_i32 s1, 0x90
	s_wait_alu 0xfffe
	s_add_co_i32 s12, s0, 16
	s_movk_i32 s0, 0xa0
	s_add_co_i32 s8, s1, 16
	s_movk_i32 s1, 0xb0
	s_wait_alu 0xfffe
	s_add_co_i32 s19, s0, 16
	s_movk_i32 s0, 0xc0
	s_add_co_i32 s14, s1, 16
	;; [unrolled: 5-line block ×6, first 2 shown]
	s_wait_alu 0xfffe
	s_add_co_i32 s28, s0, 16
	s_bitcmp0_b32 s29, 0
	s_mov_b32 s1, -1
	s_wait_loadcnt 0x11
	scratch_store_b128 off, v[1:4], off offset:16
	global_load_b128 v[1:4], v[49:50], off
	s_wait_loadcnt 0x11
	scratch_store_b128 off, v[5:8], off offset:32
	global_load_b128 v[5:8], v[51:52], off
	;; [unrolled: 3-line block ×3, first 2 shown]
	s_wait_loadcnt 0x11
	scratch_store_b128 off, v[56:59], off offset:64
	s_wait_loadcnt 0x10
	scratch_store_b128 off, v[60:63], off offset:80
	;; [unrolled: 2-line block ×18, first 2 shown]
	s_cbranch_scc1 .LBB20_96
; %bb.4:
	v_cmp_eq_u32_e64 s0, 0, v0
	s_and_saveexec_b32 s1, s0
; %bb.5:
	v_mov_b32_e32 v1, 0
	ds_store_b32 v1, v1 offset:672
; %bb.6:
	s_wait_alu 0xfffe
	s_or_b32 exec_lo, exec_lo, s1
	s_wait_storecnt_dscnt 0x0
	s_barrier_signal -1
	s_barrier_wait -1
	global_inv scope:SCOPE_SE
	scratch_load_b128 v[1:4], v55, off offset:16
	s_wait_loadcnt 0x0
	v_cmp_eq_f64_e32 vcc_lo, 0, v[1:2]
	v_cmp_eq_f64_e64 s1, 0, v[3:4]
	s_and_b32 s1, vcc_lo, s1
	s_wait_alu 0xfffe
	s_and_saveexec_b32 s29, s1
	s_cbranch_execz .LBB20_10
; %bb.7:
	v_mov_b32_e32 v1, 0
	s_mov_b32 s30, 0
	ds_load_b32 v2, v1 offset:672
	s_wait_dscnt 0x0
	v_readfirstlane_b32 s1, v2
	v_add_nc_u32_e32 v2, 1, v0
	s_cmp_eq_u32 s1, 0
	s_delay_alu instid0(VALU_DEP_1) | instskip(SKIP_1) | instid1(SALU_CYCLE_1)
	v_cmp_gt_i32_e32 vcc_lo, s1, v2
	s_cselect_b32 s31, -1, 0
	s_or_b32 s31, s31, vcc_lo
	s_delay_alu instid0(SALU_CYCLE_1)
	s_and_b32 exec_lo, exec_lo, s31
	s_cbranch_execz .LBB20_10
; %bb.8:
	v_mov_b32_e32 v3, s1
.LBB20_9:                               ; =>This Inner Loop Header: Depth=1
	ds_cmpstore_rtn_b32 v3, v1, v2, v3 offset:672
	s_wait_dscnt 0x0
	v_cmp_ne_u32_e32 vcc_lo, 0, v3
	v_cmp_le_i32_e64 s1, v3, v2
	s_and_b32 s1, vcc_lo, s1
	s_wait_alu 0xfffe
	s_and_b32 s1, exec_lo, s1
	s_wait_alu 0xfffe
	s_or_b32 s30, s1, s30
	s_delay_alu instid0(SALU_CYCLE_1)
	s_and_not1_b32 exec_lo, exec_lo, s30
	s_cbranch_execnz .LBB20_9
.LBB20_10:
	s_or_b32 exec_lo, exec_lo, s29
	v_mov_b32_e32 v1, 0
	s_barrier_signal -1
	s_barrier_wait -1
	global_inv scope:SCOPE_SE
	ds_load_b32 v2, v1 offset:672
	s_and_saveexec_b32 s1, s0
	s_cbranch_execz .LBB20_12
; %bb.11:
	s_lshl_b64 s[30:31], s[16:17], 2
	s_delay_alu instid0(SALU_CYCLE_1)
	s_add_nc_u64 s[30:31], s[6:7], s[30:31]
	s_wait_dscnt 0x0
	global_store_b32 v1, v2, s[30:31]
.LBB20_12:
	s_wait_alu 0xfffe
	s_or_b32 exec_lo, exec_lo, s1
	s_wait_dscnt 0x0
	v_cmp_ne_u32_e32 vcc_lo, 0, v2
	s_mov_b32 s1, 0
	s_cbranch_vccnz .LBB20_96
; %bb.13:
	v_add_nc_u32_e32 v56, 16, v55
                                        ; implicit-def: $vgpr1_vgpr2
                                        ; implicit-def: $vgpr9_vgpr10
	scratch_load_b128 v[5:8], v56, off
	s_wait_loadcnt 0x0
	v_cmp_ngt_f64_e64 s1, |v[5:6]|, |v[7:8]|
	s_wait_alu 0xfffe
	s_and_saveexec_b32 s29, s1
	s_delay_alu instid0(SALU_CYCLE_1)
	s_xor_b32 s1, exec_lo, s29
	s_cbranch_execz .LBB20_15
; %bb.14:
	v_div_scale_f64 v[1:2], null, v[7:8], v[7:8], v[5:6]
	v_div_scale_f64 v[11:12], vcc_lo, v[5:6], v[7:8], v[5:6]
	s_delay_alu instid0(VALU_DEP_2) | instskip(NEXT) | instid1(TRANS32_DEP_1)
	v_rcp_f64_e32 v[3:4], v[1:2]
	v_fma_f64 v[9:10], -v[1:2], v[3:4], 1.0
	s_delay_alu instid0(VALU_DEP_1) | instskip(NEXT) | instid1(VALU_DEP_1)
	v_fma_f64 v[3:4], v[3:4], v[9:10], v[3:4]
	v_fma_f64 v[9:10], -v[1:2], v[3:4], 1.0
	s_delay_alu instid0(VALU_DEP_1) | instskip(NEXT) | instid1(VALU_DEP_1)
	v_fma_f64 v[3:4], v[3:4], v[9:10], v[3:4]
	v_mul_f64_e32 v[9:10], v[11:12], v[3:4]
	s_delay_alu instid0(VALU_DEP_1) | instskip(SKIP_1) | instid1(VALU_DEP_1)
	v_fma_f64 v[1:2], -v[1:2], v[9:10], v[11:12]
	s_wait_alu 0xfffd
	v_div_fmas_f64 v[1:2], v[1:2], v[3:4], v[9:10]
	s_delay_alu instid0(VALU_DEP_1) | instskip(NEXT) | instid1(VALU_DEP_1)
	v_div_fixup_f64 v[1:2], v[1:2], v[7:8], v[5:6]
	v_fma_f64 v[3:4], v[5:6], v[1:2], v[7:8]
	s_delay_alu instid0(VALU_DEP_1) | instskip(SKIP_1) | instid1(VALU_DEP_2)
	v_div_scale_f64 v[5:6], null, v[3:4], v[3:4], 1.0
	v_div_scale_f64 v[11:12], vcc_lo, 1.0, v[3:4], 1.0
	v_rcp_f64_e32 v[7:8], v[5:6]
	s_delay_alu instid0(TRANS32_DEP_1) | instskip(NEXT) | instid1(VALU_DEP_1)
	v_fma_f64 v[9:10], -v[5:6], v[7:8], 1.0
	v_fma_f64 v[7:8], v[7:8], v[9:10], v[7:8]
	s_delay_alu instid0(VALU_DEP_1) | instskip(NEXT) | instid1(VALU_DEP_1)
	v_fma_f64 v[9:10], -v[5:6], v[7:8], 1.0
	v_fma_f64 v[7:8], v[7:8], v[9:10], v[7:8]
	s_delay_alu instid0(VALU_DEP_1) | instskip(NEXT) | instid1(VALU_DEP_1)
	v_mul_f64_e32 v[9:10], v[11:12], v[7:8]
	v_fma_f64 v[5:6], -v[5:6], v[9:10], v[11:12]
	s_wait_alu 0xfffd
	s_delay_alu instid0(VALU_DEP_1) | instskip(NEXT) | instid1(VALU_DEP_1)
	v_div_fmas_f64 v[5:6], v[5:6], v[7:8], v[9:10]
	v_div_fixup_f64 v[3:4], v[5:6], v[3:4], 1.0
                                        ; implicit-def: $vgpr5_vgpr6
	s_delay_alu instid0(VALU_DEP_1) | instskip(SKIP_1) | instid1(VALU_DEP_2)
	v_mul_f64_e32 v[1:2], v[1:2], v[3:4]
	v_xor_b32_e32 v4, 0x80000000, v4
	v_xor_b32_e32 v10, 0x80000000, v2
	s_delay_alu instid0(VALU_DEP_3)
	v_mov_b32_e32 v9, v1
.LBB20_15:
	s_wait_alu 0xfffe
	s_and_not1_saveexec_b32 s1, s1
	s_cbranch_execz .LBB20_17
; %bb.16:
	v_div_scale_f64 v[1:2], null, v[5:6], v[5:6], v[7:8]
	v_div_scale_f64 v[11:12], vcc_lo, v[7:8], v[5:6], v[7:8]
	s_delay_alu instid0(VALU_DEP_2) | instskip(NEXT) | instid1(TRANS32_DEP_1)
	v_rcp_f64_e32 v[3:4], v[1:2]
	v_fma_f64 v[9:10], -v[1:2], v[3:4], 1.0
	s_delay_alu instid0(VALU_DEP_1) | instskip(NEXT) | instid1(VALU_DEP_1)
	v_fma_f64 v[3:4], v[3:4], v[9:10], v[3:4]
	v_fma_f64 v[9:10], -v[1:2], v[3:4], 1.0
	s_delay_alu instid0(VALU_DEP_1) | instskip(NEXT) | instid1(VALU_DEP_1)
	v_fma_f64 v[3:4], v[3:4], v[9:10], v[3:4]
	v_mul_f64_e32 v[9:10], v[11:12], v[3:4]
	s_delay_alu instid0(VALU_DEP_1) | instskip(SKIP_1) | instid1(VALU_DEP_1)
	v_fma_f64 v[1:2], -v[1:2], v[9:10], v[11:12]
	s_wait_alu 0xfffd
	v_div_fmas_f64 v[1:2], v[1:2], v[3:4], v[9:10]
	s_delay_alu instid0(VALU_DEP_1) | instskip(NEXT) | instid1(VALU_DEP_1)
	v_div_fixup_f64 v[3:4], v[1:2], v[5:6], v[7:8]
	v_fma_f64 v[1:2], v[7:8], v[3:4], v[5:6]
	s_delay_alu instid0(VALU_DEP_1) | instskip(NEXT) | instid1(VALU_DEP_1)
	v_div_scale_f64 v[5:6], null, v[1:2], v[1:2], 1.0
	v_rcp_f64_e32 v[7:8], v[5:6]
	s_delay_alu instid0(TRANS32_DEP_1) | instskip(NEXT) | instid1(VALU_DEP_1)
	v_fma_f64 v[9:10], -v[5:6], v[7:8], 1.0
	v_fma_f64 v[7:8], v[7:8], v[9:10], v[7:8]
	s_delay_alu instid0(VALU_DEP_1) | instskip(NEXT) | instid1(VALU_DEP_1)
	v_fma_f64 v[9:10], -v[5:6], v[7:8], 1.0
	v_fma_f64 v[7:8], v[7:8], v[9:10], v[7:8]
	v_div_scale_f64 v[9:10], vcc_lo, 1.0, v[1:2], 1.0
	s_delay_alu instid0(VALU_DEP_1) | instskip(NEXT) | instid1(VALU_DEP_1)
	v_mul_f64_e32 v[11:12], v[9:10], v[7:8]
	v_fma_f64 v[5:6], -v[5:6], v[11:12], v[9:10]
	s_wait_alu 0xfffd
	s_delay_alu instid0(VALU_DEP_1) | instskip(NEXT) | instid1(VALU_DEP_1)
	v_div_fmas_f64 v[5:6], v[5:6], v[7:8], v[11:12]
	v_div_fixup_f64 v[1:2], v[5:6], v[1:2], 1.0
	s_delay_alu instid0(VALU_DEP_1)
	v_mul_f64_e64 v[3:4], v[3:4], -v[1:2]
	v_xor_b32_e32 v10, 0x80000000, v2
	v_mov_b32_e32 v9, v1
.LBB20_17:
	s_wait_alu 0xfffe
	s_or_b32 exec_lo, exec_lo, s1
	scratch_store_b128 v56, v[1:4], off
	scratch_load_b128 v[57:60], off, s15
	v_xor_b32_e32 v12, 0x80000000, v4
	v_mov_b32_e32 v11, v3
	v_add_nc_u32_e32 v5, 0x150, v55
	ds_store_b128 v55, v[9:12]
	s_wait_loadcnt 0x0
	ds_store_b128 v55, v[57:60] offset:336
	s_wait_storecnt_dscnt 0x0
	s_barrier_signal -1
	s_barrier_wait -1
	global_inv scope:SCOPE_SE
	s_and_saveexec_b32 s1, s0
	s_cbranch_execz .LBB20_19
; %bb.18:
	scratch_load_b128 v[1:4], v56, off
	ds_load_b128 v[6:9], v5
	v_mov_b32_e32 v10, 0
	ds_load_b128 v[57:60], v10 offset:16
	s_wait_loadcnt_dscnt 0x1
	v_mul_f64_e32 v[10:11], v[6:7], v[3:4]
	v_mul_f64_e32 v[3:4], v[8:9], v[3:4]
	s_delay_alu instid0(VALU_DEP_2) | instskip(NEXT) | instid1(VALU_DEP_2)
	v_fma_f64 v[8:9], v[8:9], v[1:2], v[10:11]
	v_fma_f64 v[1:2], v[6:7], v[1:2], -v[3:4]
	s_delay_alu instid0(VALU_DEP_2) | instskip(NEXT) | instid1(VALU_DEP_2)
	v_add_f64_e32 v[3:4], 0, v[8:9]
	v_add_f64_e32 v[1:2], 0, v[1:2]
	s_wait_dscnt 0x0
	s_delay_alu instid0(VALU_DEP_2) | instskip(NEXT) | instid1(VALU_DEP_2)
	v_mul_f64_e32 v[6:7], v[3:4], v[59:60]
	v_mul_f64_e32 v[8:9], v[1:2], v[59:60]
	s_delay_alu instid0(VALU_DEP_2) | instskip(NEXT) | instid1(VALU_DEP_2)
	v_fma_f64 v[1:2], v[1:2], v[57:58], -v[6:7]
	v_fma_f64 v[3:4], v[3:4], v[57:58], v[8:9]
	scratch_store_b128 off, v[1:4], off offset:32
.LBB20_19:
	s_wait_alu 0xfffe
	s_or_b32 exec_lo, exec_lo, s1
	s_wait_loadcnt 0x0
	s_wait_storecnt 0x0
	s_barrier_signal -1
	s_barrier_wait -1
	global_inv scope:SCOPE_SE
	scratch_load_b128 v[1:4], off, s13
	s_mov_b32 s1, exec_lo
	s_wait_loadcnt 0x0
	ds_store_b128 v5, v[1:4]
	s_wait_dscnt 0x0
	s_barrier_signal -1
	s_barrier_wait -1
	global_inv scope:SCOPE_SE
	v_cmpx_gt_u32_e32 2, v0
	s_cbranch_execz .LBB20_23
; %bb.20:
	scratch_load_b128 v[1:4], v56, off
	ds_load_b128 v[6:9], v5
	s_wait_loadcnt_dscnt 0x0
	v_mul_f64_e32 v[10:11], v[8:9], v[3:4]
	v_mul_f64_e32 v[3:4], v[6:7], v[3:4]
	s_delay_alu instid0(VALU_DEP_2) | instskip(NEXT) | instid1(VALU_DEP_2)
	v_fma_f64 v[6:7], v[6:7], v[1:2], -v[10:11]
	v_fma_f64 v[3:4], v[8:9], v[1:2], v[3:4]
	s_delay_alu instid0(VALU_DEP_2) | instskip(NEXT) | instid1(VALU_DEP_2)
	v_add_f64_e32 v[1:2], 0, v[6:7]
	v_add_f64_e32 v[3:4], 0, v[3:4]
	s_and_saveexec_b32 s29, s0
	s_cbranch_execz .LBB20_22
; %bb.21:
	scratch_load_b128 v[6:9], off, off offset:32
	v_mov_b32_e32 v10, 0
	ds_load_b128 v[57:60], v10 offset:352
	s_wait_loadcnt_dscnt 0x0
	v_mul_f64_e32 v[10:11], v[57:58], v[8:9]
	v_mul_f64_e32 v[8:9], v[59:60], v[8:9]
	s_delay_alu instid0(VALU_DEP_2) | instskip(NEXT) | instid1(VALU_DEP_2)
	v_fma_f64 v[10:11], v[59:60], v[6:7], v[10:11]
	v_fma_f64 v[6:7], v[57:58], v[6:7], -v[8:9]
	s_delay_alu instid0(VALU_DEP_2) | instskip(NEXT) | instid1(VALU_DEP_2)
	v_add_f64_e32 v[3:4], v[3:4], v[10:11]
	v_add_f64_e32 v[1:2], v[1:2], v[6:7]
.LBB20_22:
	s_or_b32 exec_lo, exec_lo, s29
	v_mov_b32_e32 v6, 0
	ds_load_b128 v[6:9], v6 offset:32
	s_wait_dscnt 0x0
	v_mul_f64_e32 v[10:11], v[3:4], v[8:9]
	v_mul_f64_e32 v[8:9], v[1:2], v[8:9]
	s_delay_alu instid0(VALU_DEP_2) | instskip(NEXT) | instid1(VALU_DEP_2)
	v_fma_f64 v[1:2], v[1:2], v[6:7], -v[10:11]
	v_fma_f64 v[3:4], v[3:4], v[6:7], v[8:9]
	scratch_store_b128 off, v[1:4], off offset:48
.LBB20_23:
	s_wait_alu 0xfffe
	s_or_b32 exec_lo, exec_lo, s1
	s_wait_loadcnt 0x0
	s_wait_storecnt 0x0
	s_barrier_signal -1
	s_barrier_wait -1
	global_inv scope:SCOPE_SE
	scratch_load_b128 v[1:4], off, s9
	v_add_nc_u32_e32 v6, -1, v0
	s_mov_b32 s0, exec_lo
	s_wait_loadcnt 0x0
	ds_store_b128 v5, v[1:4]
	s_wait_dscnt 0x0
	s_barrier_signal -1
	s_barrier_wait -1
	global_inv scope:SCOPE_SE
	v_cmpx_gt_u32_e32 3, v0
	s_cbranch_execz .LBB20_27
; %bb.24:
	v_dual_mov_b32 v1, 0 :: v_dual_add_nc_u32 v8, 0x150, v55
	v_mov_b32_e32 v3, 0
	v_dual_mov_b32 v2, 0 :: v_dual_add_nc_u32 v7, -1, v0
	v_mov_b32_e32 v4, 0
	v_or_b32_e32 v9, 8, v56
	s_mov_b32 s1, 0
.LBB20_25:                              ; =>This Inner Loop Header: Depth=1
	scratch_load_b128 v[57:60], v9, off offset:-8
	ds_load_b128 v[61:64], v8
	v_add_nc_u32_e32 v7, 1, v7
	v_add_nc_u32_e32 v8, 16, v8
	v_add_nc_u32_e32 v9, 16, v9
	s_delay_alu instid0(VALU_DEP_3)
	v_cmp_lt_u32_e32 vcc_lo, 1, v7
	s_wait_alu 0xfffe
	s_or_b32 s1, vcc_lo, s1
	s_wait_loadcnt_dscnt 0x0
	v_mul_f64_e32 v[10:11], v[63:64], v[59:60]
	v_mul_f64_e32 v[59:60], v[61:62], v[59:60]
	s_delay_alu instid0(VALU_DEP_2) | instskip(NEXT) | instid1(VALU_DEP_2)
	v_fma_f64 v[10:11], v[61:62], v[57:58], -v[10:11]
	v_fma_f64 v[57:58], v[63:64], v[57:58], v[59:60]
	s_delay_alu instid0(VALU_DEP_2) | instskip(NEXT) | instid1(VALU_DEP_2)
	v_add_f64_e32 v[3:4], v[3:4], v[10:11]
	v_add_f64_e32 v[1:2], v[1:2], v[57:58]
	s_wait_alu 0xfffe
	s_and_not1_b32 exec_lo, exec_lo, s1
	s_cbranch_execnz .LBB20_25
; %bb.26:
	s_or_b32 exec_lo, exec_lo, s1
	v_mov_b32_e32 v7, 0
	ds_load_b128 v[7:10], v7 offset:48
	s_wait_dscnt 0x0
	v_mul_f64_e32 v[11:12], v[1:2], v[9:10]
	v_mul_f64_e32 v[57:58], v[3:4], v[9:10]
	s_delay_alu instid0(VALU_DEP_2) | instskip(NEXT) | instid1(VALU_DEP_2)
	v_fma_f64 v[9:10], v[3:4], v[7:8], -v[11:12]
	v_fma_f64 v[11:12], v[1:2], v[7:8], v[57:58]
	scratch_store_b128 off, v[9:12], off offset:64
.LBB20_27:
	s_wait_alu 0xfffe
	s_or_b32 exec_lo, exec_lo, s0
	s_wait_loadcnt 0x0
	s_wait_storecnt 0x0
	s_barrier_signal -1
	s_barrier_wait -1
	global_inv scope:SCOPE_SE
	scratch_load_b128 v[1:4], off, s10
	s_mov_b32 s0, exec_lo
	s_wait_loadcnt 0x0
	ds_store_b128 v5, v[1:4]
	s_wait_dscnt 0x0
	s_barrier_signal -1
	s_barrier_wait -1
	global_inv scope:SCOPE_SE
	v_cmpx_gt_u32_e32 4, v0
	s_cbranch_execz .LBB20_31
; %bb.28:
	v_dual_mov_b32 v1, 0 :: v_dual_add_nc_u32 v8, 0x150, v55
	v_mov_b32_e32 v3, 0
	v_dual_mov_b32 v2, 0 :: v_dual_add_nc_u32 v7, -1, v0
	v_mov_b32_e32 v4, 0
	v_or_b32_e32 v9, 8, v56
	s_mov_b32 s1, 0
.LBB20_29:                              ; =>This Inner Loop Header: Depth=1
	scratch_load_b128 v[57:60], v9, off offset:-8
	ds_load_b128 v[61:64], v8
	v_add_nc_u32_e32 v7, 1, v7
	v_add_nc_u32_e32 v8, 16, v8
	v_add_nc_u32_e32 v9, 16, v9
	s_delay_alu instid0(VALU_DEP_3)
	v_cmp_lt_u32_e32 vcc_lo, 2, v7
	s_wait_alu 0xfffe
	s_or_b32 s1, vcc_lo, s1
	s_wait_loadcnt_dscnt 0x0
	v_mul_f64_e32 v[10:11], v[63:64], v[59:60]
	v_mul_f64_e32 v[59:60], v[61:62], v[59:60]
	s_delay_alu instid0(VALU_DEP_2) | instskip(NEXT) | instid1(VALU_DEP_2)
	v_fma_f64 v[10:11], v[61:62], v[57:58], -v[10:11]
	v_fma_f64 v[57:58], v[63:64], v[57:58], v[59:60]
	s_delay_alu instid0(VALU_DEP_2) | instskip(NEXT) | instid1(VALU_DEP_2)
	v_add_f64_e32 v[3:4], v[3:4], v[10:11]
	v_add_f64_e32 v[1:2], v[1:2], v[57:58]
	s_wait_alu 0xfffe
	s_and_not1_b32 exec_lo, exec_lo, s1
	s_cbranch_execnz .LBB20_29
; %bb.30:
	s_or_b32 exec_lo, exec_lo, s1
	v_mov_b32_e32 v7, 0
	ds_load_b128 v[7:10], v7 offset:64
	s_wait_dscnt 0x0
	v_mul_f64_e32 v[11:12], v[1:2], v[9:10]
	v_mul_f64_e32 v[57:58], v[3:4], v[9:10]
	s_delay_alu instid0(VALU_DEP_2) | instskip(NEXT) | instid1(VALU_DEP_2)
	v_fma_f64 v[9:10], v[3:4], v[7:8], -v[11:12]
	v_fma_f64 v[11:12], v[1:2], v[7:8], v[57:58]
	scratch_store_b128 off, v[9:12], off offset:80
.LBB20_31:
	s_wait_alu 0xfffe
	s_or_b32 exec_lo, exec_lo, s0
	s_wait_loadcnt 0x0
	s_wait_storecnt 0x0
	s_barrier_signal -1
	s_barrier_wait -1
	global_inv scope:SCOPE_SE
	scratch_load_b128 v[1:4], off, s4
	;; [unrolled: 58-line block ×17, first 2 shown]
	s_mov_b32 s0, exec_lo
	s_wait_loadcnt 0x0
	ds_store_b128 v5, v[1:4]
	s_wait_dscnt 0x0
	s_barrier_signal -1
	s_barrier_wait -1
	global_inv scope:SCOPE_SE
	v_cmpx_ne_u32_e32 20, v0
	s_cbranch_execz .LBB20_95
; %bb.92:
	v_mov_b32_e32 v1, 0
	v_dual_mov_b32 v2, 0 :: v_dual_mov_b32 v3, 0
	v_mov_b32_e32 v4, 0
	v_or_b32_e32 v7, 8, v56
	s_mov_b32 s1, 0
.LBB20_93:                              ; =>This Inner Loop Header: Depth=1
	scratch_load_b128 v[8:11], v7, off offset:-8
	ds_load_b128 v[55:58], v5
	v_add_nc_u32_e32 v6, 1, v6
	v_add_nc_u32_e32 v5, 16, v5
	;; [unrolled: 1-line block ×3, first 2 shown]
	s_delay_alu instid0(VALU_DEP_3)
	v_cmp_lt_u32_e32 vcc_lo, 18, v6
	s_wait_alu 0xfffe
	s_or_b32 s1, vcc_lo, s1
	s_wait_loadcnt_dscnt 0x0
	v_mul_f64_e32 v[59:60], v[57:58], v[10:11]
	v_mul_f64_e32 v[10:11], v[55:56], v[10:11]
	s_delay_alu instid0(VALU_DEP_2) | instskip(NEXT) | instid1(VALU_DEP_2)
	v_fma_f64 v[55:56], v[55:56], v[8:9], -v[59:60]
	v_fma_f64 v[8:9], v[57:58], v[8:9], v[10:11]
	s_delay_alu instid0(VALU_DEP_2) | instskip(NEXT) | instid1(VALU_DEP_2)
	v_add_f64_e32 v[3:4], v[3:4], v[55:56]
	v_add_f64_e32 v[1:2], v[1:2], v[8:9]
	s_wait_alu 0xfffe
	s_and_not1_b32 exec_lo, exec_lo, s1
	s_cbranch_execnz .LBB20_93
; %bb.94:
	s_or_b32 exec_lo, exec_lo, s1
	v_mov_b32_e32 v5, 0
	ds_load_b128 v[5:8], v5 offset:320
	s_wait_dscnt 0x0
	v_mul_f64_e32 v[9:10], v[1:2], v[7:8]
	v_mul_f64_e32 v[7:8], v[3:4], v[7:8]
	s_delay_alu instid0(VALU_DEP_2) | instskip(NEXT) | instid1(VALU_DEP_2)
	v_fma_f64 v[3:4], v[3:4], v[5:6], -v[9:10]
	v_fma_f64 v[5:6], v[1:2], v[5:6], v[7:8]
	scratch_store_b128 off, v[3:6], off offset:336
.LBB20_95:
	s_wait_alu 0xfffe
	s_or_b32 exec_lo, exec_lo, s0
	s_mov_b32 s1, -1
	s_wait_loadcnt 0x0
	s_wait_storecnt 0x0
	s_barrier_signal -1
	s_barrier_wait -1
	global_inv scope:SCOPE_SE
.LBB20_96:
	s_wait_alu 0xfffe
	s_and_b32 vcc_lo, exec_lo, s1
	s_wait_alu 0xfffe
	s_cbranch_vccz .LBB20_98
; %bb.97:
	v_mov_b32_e32 v1, 0
	s_lshl_b64 s[0:1], s[16:17], 2
	s_wait_alu 0xfffe
	s_add_nc_u64 s[0:1], s[6:7], s[0:1]
	global_load_b32 v1, v1, s[0:1]
	s_wait_loadcnt 0x0
	v_cmp_ne_u32_e32 vcc_lo, 0, v1
	s_cbranch_vccz .LBB20_99
.LBB20_98:
	s_nop 0
	s_sendmsg sendmsg(MSG_DEALLOC_VGPRS)
	s_endpgm
.LBB20_99:
	v_lshl_add_u32 v5, v0, 4, 0x150
	s_mov_b32 s0, exec_lo
	v_cmpx_eq_u32_e32 20, v0
	s_cbranch_execz .LBB20_101
; %bb.100:
	scratch_load_b128 v[1:4], off, s25
	v_mov_b32_e32 v6, 0
	s_delay_alu instid0(VALU_DEP_1)
	v_dual_mov_b32 v7, v6 :: v_dual_mov_b32 v8, v6
	v_mov_b32_e32 v9, v6
	scratch_store_b128 off, v[6:9], off offset:320
	s_wait_loadcnt 0x0
	ds_store_b128 v5, v[1:4]
.LBB20_101:
	s_wait_alu 0xfffe
	s_or_b32 exec_lo, exec_lo, s0
	s_wait_storecnt_dscnt 0x0
	s_barrier_signal -1
	s_barrier_wait -1
	global_inv scope:SCOPE_SE
	s_clause 0x1
	scratch_load_b128 v[6:9], off, off offset:336
	scratch_load_b128 v[55:58], off, off offset:320
	v_mov_b32_e32 v1, 0
	s_mov_b32 s0, exec_lo
	ds_load_b128 v[59:62], v1 offset:656
	s_wait_loadcnt_dscnt 0x100
	v_mul_f64_e32 v[2:3], v[61:62], v[8:9]
	v_mul_f64_e32 v[8:9], v[59:60], v[8:9]
	s_delay_alu instid0(VALU_DEP_2) | instskip(NEXT) | instid1(VALU_DEP_2)
	v_fma_f64 v[2:3], v[59:60], v[6:7], -v[2:3]
	v_fma_f64 v[6:7], v[61:62], v[6:7], v[8:9]
	s_delay_alu instid0(VALU_DEP_2) | instskip(NEXT) | instid1(VALU_DEP_2)
	v_add_f64_e32 v[2:3], 0, v[2:3]
	v_add_f64_e32 v[8:9], 0, v[6:7]
	s_wait_loadcnt 0x0
	s_delay_alu instid0(VALU_DEP_2) | instskip(NEXT) | instid1(VALU_DEP_2)
	v_add_f64_e64 v[6:7], v[55:56], -v[2:3]
	v_add_f64_e64 v[8:9], v[57:58], -v[8:9]
	scratch_store_b128 off, v[6:9], off offset:320
	v_cmpx_lt_u32_e32 18, v0
	s_cbranch_execz .LBB20_103
; %bb.102:
	scratch_load_b128 v[6:9], off, s27
	v_dual_mov_b32 v2, v1 :: v_dual_mov_b32 v3, v1
	v_mov_b32_e32 v4, v1
	scratch_store_b128 off, v[1:4], off offset:304
	s_wait_loadcnt 0x0
	ds_store_b128 v5, v[6:9]
.LBB20_103:
	s_wait_alu 0xfffe
	s_or_b32 exec_lo, exec_lo, s0
	s_wait_storecnt_dscnt 0x0
	s_barrier_signal -1
	s_barrier_wait -1
	global_inv scope:SCOPE_SE
	s_clause 0x2
	scratch_load_b128 v[6:9], off, off offset:320
	scratch_load_b128 v[55:58], off, off offset:336
	;; [unrolled: 1-line block ×3, first 2 shown]
	ds_load_b128 v[63:66], v1 offset:640
	ds_load_b128 v[1:4], v1 offset:656
	s_mov_b32 s0, exec_lo
	s_wait_loadcnt_dscnt 0x201
	v_mul_f64_e32 v[10:11], v[65:66], v[8:9]
	v_mul_f64_e32 v[8:9], v[63:64], v[8:9]
	s_wait_loadcnt_dscnt 0x100
	v_mul_f64_e32 v[67:68], v[1:2], v[57:58]
	v_mul_f64_e32 v[57:58], v[3:4], v[57:58]
	s_delay_alu instid0(VALU_DEP_4) | instskip(NEXT) | instid1(VALU_DEP_4)
	v_fma_f64 v[10:11], v[63:64], v[6:7], -v[10:11]
	v_fma_f64 v[6:7], v[65:66], v[6:7], v[8:9]
	s_delay_alu instid0(VALU_DEP_4) | instskip(NEXT) | instid1(VALU_DEP_4)
	v_fma_f64 v[3:4], v[3:4], v[55:56], v[67:68]
	v_fma_f64 v[1:2], v[1:2], v[55:56], -v[57:58]
	s_delay_alu instid0(VALU_DEP_4) | instskip(NEXT) | instid1(VALU_DEP_4)
	v_add_f64_e32 v[8:9], 0, v[10:11]
	v_add_f64_e32 v[6:7], 0, v[6:7]
	s_delay_alu instid0(VALU_DEP_2) | instskip(NEXT) | instid1(VALU_DEP_2)
	v_add_f64_e32 v[1:2], v[8:9], v[1:2]
	v_add_f64_e32 v[3:4], v[6:7], v[3:4]
	s_wait_loadcnt 0x0
	s_delay_alu instid0(VALU_DEP_2) | instskip(NEXT) | instid1(VALU_DEP_2)
	v_add_f64_e64 v[1:2], v[59:60], -v[1:2]
	v_add_f64_e64 v[3:4], v[61:62], -v[3:4]
	scratch_store_b128 off, v[1:4], off offset:304
	v_cmpx_lt_u32_e32 17, v0
	s_cbranch_execz .LBB20_105
; %bb.104:
	scratch_load_b128 v[1:4], off, s24
	v_mov_b32_e32 v6, 0
	s_delay_alu instid0(VALU_DEP_1)
	v_dual_mov_b32 v7, v6 :: v_dual_mov_b32 v8, v6
	v_mov_b32_e32 v9, v6
	scratch_store_b128 off, v[6:9], off offset:288
	s_wait_loadcnt 0x0
	ds_store_b128 v5, v[1:4]
.LBB20_105:
	s_wait_alu 0xfffe
	s_or_b32 exec_lo, exec_lo, s0
	s_wait_storecnt_dscnt 0x0
	s_barrier_signal -1
	s_barrier_wait -1
	global_inv scope:SCOPE_SE
	s_clause 0x3
	scratch_load_b128 v[6:9], off, off offset:304
	scratch_load_b128 v[55:58], off, off offset:320
	;; [unrolled: 1-line block ×4, first 2 shown]
	v_mov_b32_e32 v1, 0
	ds_load_b128 v[67:70], v1 offset:624
	ds_load_b128 v[71:74], v1 offset:640
	s_mov_b32 s0, exec_lo
	s_wait_loadcnt_dscnt 0x301
	v_mul_f64_e32 v[2:3], v[69:70], v[8:9]
	v_mul_f64_e32 v[8:9], v[67:68], v[8:9]
	s_wait_loadcnt_dscnt 0x200
	v_mul_f64_e32 v[10:11], v[71:72], v[57:58]
	v_mul_f64_e32 v[57:58], v[73:74], v[57:58]
	s_delay_alu instid0(VALU_DEP_4) | instskip(NEXT) | instid1(VALU_DEP_4)
	v_fma_f64 v[2:3], v[67:68], v[6:7], -v[2:3]
	v_fma_f64 v[67:68], v[69:70], v[6:7], v[8:9]
	ds_load_b128 v[6:9], v1 offset:656
	v_fma_f64 v[10:11], v[73:74], v[55:56], v[10:11]
	v_fma_f64 v[55:56], v[71:72], v[55:56], -v[57:58]
	s_wait_loadcnt_dscnt 0x100
	v_mul_f64_e32 v[69:70], v[6:7], v[61:62]
	v_mul_f64_e32 v[61:62], v[8:9], v[61:62]
	v_add_f64_e32 v[2:3], 0, v[2:3]
	v_add_f64_e32 v[57:58], 0, v[67:68]
	s_delay_alu instid0(VALU_DEP_4) | instskip(NEXT) | instid1(VALU_DEP_4)
	v_fma_f64 v[8:9], v[8:9], v[59:60], v[69:70]
	v_fma_f64 v[6:7], v[6:7], v[59:60], -v[61:62]
	s_delay_alu instid0(VALU_DEP_4) | instskip(NEXT) | instid1(VALU_DEP_4)
	v_add_f64_e32 v[2:3], v[2:3], v[55:56]
	v_add_f64_e32 v[10:11], v[57:58], v[10:11]
	s_delay_alu instid0(VALU_DEP_2) | instskip(NEXT) | instid1(VALU_DEP_2)
	v_add_f64_e32 v[2:3], v[2:3], v[6:7]
	v_add_f64_e32 v[8:9], v[10:11], v[8:9]
	s_wait_loadcnt 0x0
	s_delay_alu instid0(VALU_DEP_2) | instskip(NEXT) | instid1(VALU_DEP_2)
	v_add_f64_e64 v[6:7], v[63:64], -v[2:3]
	v_add_f64_e64 v[8:9], v[65:66], -v[8:9]
	scratch_store_b128 off, v[6:9], off offset:288
	v_cmpx_lt_u32_e32 16, v0
	s_cbranch_execz .LBB20_107
; %bb.106:
	scratch_load_b128 v[6:9], off, s26
	v_dual_mov_b32 v2, v1 :: v_dual_mov_b32 v3, v1
	v_mov_b32_e32 v4, v1
	scratch_store_b128 off, v[1:4], off offset:272
	s_wait_loadcnt 0x0
	ds_store_b128 v5, v[6:9]
.LBB20_107:
	s_wait_alu 0xfffe
	s_or_b32 exec_lo, exec_lo, s0
	s_wait_storecnt_dscnt 0x0
	s_barrier_signal -1
	s_barrier_wait -1
	global_inv scope:SCOPE_SE
	s_clause 0x4
	scratch_load_b128 v[6:9], off, off offset:288
	scratch_load_b128 v[55:58], off, off offset:304
	;; [unrolled: 1-line block ×5, first 2 shown]
	ds_load_b128 v[71:74], v1 offset:608
	ds_load_b128 v[75:78], v1 offset:624
	s_mov_b32 s0, exec_lo
	s_wait_loadcnt_dscnt 0x401
	v_mul_f64_e32 v[2:3], v[73:74], v[8:9]
	v_mul_f64_e32 v[8:9], v[71:72], v[8:9]
	s_wait_loadcnt_dscnt 0x300
	v_mul_f64_e32 v[10:11], v[75:76], v[57:58]
	v_mul_f64_e32 v[57:58], v[77:78], v[57:58]
	s_delay_alu instid0(VALU_DEP_4) | instskip(NEXT) | instid1(VALU_DEP_4)
	v_fma_f64 v[71:72], v[71:72], v[6:7], -v[2:3]
	v_fma_f64 v[73:74], v[73:74], v[6:7], v[8:9]
	ds_load_b128 v[6:9], v1 offset:640
	ds_load_b128 v[1:4], v1 offset:656
	v_fma_f64 v[10:11], v[77:78], v[55:56], v[10:11]
	v_fma_f64 v[55:56], v[75:76], v[55:56], -v[57:58]
	s_wait_loadcnt_dscnt 0x201
	v_mul_f64_e32 v[79:80], v[6:7], v[61:62]
	v_mul_f64_e32 v[61:62], v[8:9], v[61:62]
	v_add_f64_e32 v[57:58], 0, v[71:72]
	v_add_f64_e32 v[71:72], 0, v[73:74]
	s_wait_loadcnt_dscnt 0x100
	v_mul_f64_e32 v[73:74], v[1:2], v[65:66]
	v_mul_f64_e32 v[65:66], v[3:4], v[65:66]
	v_fma_f64 v[8:9], v[8:9], v[59:60], v[79:80]
	v_fma_f64 v[6:7], v[6:7], v[59:60], -v[61:62]
	v_add_f64_e32 v[55:56], v[57:58], v[55:56]
	v_add_f64_e32 v[10:11], v[71:72], v[10:11]
	v_fma_f64 v[3:4], v[3:4], v[63:64], v[73:74]
	v_fma_f64 v[1:2], v[1:2], v[63:64], -v[65:66]
	s_delay_alu instid0(VALU_DEP_4) | instskip(NEXT) | instid1(VALU_DEP_4)
	v_add_f64_e32 v[6:7], v[55:56], v[6:7]
	v_add_f64_e32 v[8:9], v[10:11], v[8:9]
	s_delay_alu instid0(VALU_DEP_2) | instskip(NEXT) | instid1(VALU_DEP_2)
	v_add_f64_e32 v[1:2], v[6:7], v[1:2]
	v_add_f64_e32 v[3:4], v[8:9], v[3:4]
	s_wait_loadcnt 0x0
	s_delay_alu instid0(VALU_DEP_2) | instskip(NEXT) | instid1(VALU_DEP_2)
	v_add_f64_e64 v[1:2], v[67:68], -v[1:2]
	v_add_f64_e64 v[3:4], v[69:70], -v[3:4]
	scratch_store_b128 off, v[1:4], off offset:272
	v_cmpx_lt_u32_e32 15, v0
	s_cbranch_execz .LBB20_109
; %bb.108:
	scratch_load_b128 v[1:4], off, s22
	v_mov_b32_e32 v6, 0
	s_delay_alu instid0(VALU_DEP_1)
	v_dual_mov_b32 v7, v6 :: v_dual_mov_b32 v8, v6
	v_mov_b32_e32 v9, v6
	scratch_store_b128 off, v[6:9], off offset:256
	s_wait_loadcnt 0x0
	ds_store_b128 v5, v[1:4]
.LBB20_109:
	s_wait_alu 0xfffe
	s_or_b32 exec_lo, exec_lo, s0
	s_wait_storecnt_dscnt 0x0
	s_barrier_signal -1
	s_barrier_wait -1
	global_inv scope:SCOPE_SE
	s_clause 0x5
	scratch_load_b128 v[6:9], off, off offset:272
	scratch_load_b128 v[55:58], off, off offset:288
	;; [unrolled: 1-line block ×6, first 2 shown]
	v_mov_b32_e32 v1, 0
	ds_load_b128 v[75:78], v1 offset:592
	ds_load_b128 v[79:82], v1 offset:608
	s_mov_b32 s0, exec_lo
	s_wait_loadcnt_dscnt 0x501
	v_mul_f64_e32 v[2:3], v[77:78], v[8:9]
	v_mul_f64_e32 v[8:9], v[75:76], v[8:9]
	s_wait_loadcnt_dscnt 0x400
	v_mul_f64_e32 v[10:11], v[79:80], v[57:58]
	v_mul_f64_e32 v[57:58], v[81:82], v[57:58]
	s_delay_alu instid0(VALU_DEP_4) | instskip(NEXT) | instid1(VALU_DEP_4)
	v_fma_f64 v[2:3], v[75:76], v[6:7], -v[2:3]
	v_fma_f64 v[83:84], v[77:78], v[6:7], v[8:9]
	ds_load_b128 v[6:9], v1 offset:624
	ds_load_b128 v[75:78], v1 offset:640
	v_fma_f64 v[10:11], v[81:82], v[55:56], v[10:11]
	v_fma_f64 v[55:56], v[79:80], v[55:56], -v[57:58]
	s_wait_loadcnt_dscnt 0x301
	v_mul_f64_e32 v[85:86], v[6:7], v[61:62]
	v_mul_f64_e32 v[61:62], v[8:9], v[61:62]
	s_wait_loadcnt_dscnt 0x200
	v_mul_f64_e32 v[79:80], v[75:76], v[65:66]
	v_mul_f64_e32 v[65:66], v[77:78], v[65:66]
	v_add_f64_e32 v[2:3], 0, v[2:3]
	v_add_f64_e32 v[57:58], 0, v[83:84]
	v_fma_f64 v[81:82], v[8:9], v[59:60], v[85:86]
	v_fma_f64 v[59:60], v[6:7], v[59:60], -v[61:62]
	ds_load_b128 v[6:9], v1 offset:656
	v_fma_f64 v[61:62], v[77:78], v[63:64], v[79:80]
	v_fma_f64 v[63:64], v[75:76], v[63:64], -v[65:66]
	v_add_f64_e32 v[2:3], v[2:3], v[55:56]
	v_add_f64_e32 v[10:11], v[57:58], v[10:11]
	s_wait_loadcnt_dscnt 0x100
	v_mul_f64_e32 v[55:56], v[6:7], v[69:70]
	v_mul_f64_e32 v[57:58], v[8:9], v[69:70]
	s_delay_alu instid0(VALU_DEP_4) | instskip(NEXT) | instid1(VALU_DEP_4)
	v_add_f64_e32 v[2:3], v[2:3], v[59:60]
	v_add_f64_e32 v[10:11], v[10:11], v[81:82]
	s_delay_alu instid0(VALU_DEP_4) | instskip(NEXT) | instid1(VALU_DEP_4)
	v_fma_f64 v[8:9], v[8:9], v[67:68], v[55:56]
	v_fma_f64 v[6:7], v[6:7], v[67:68], -v[57:58]
	s_delay_alu instid0(VALU_DEP_4) | instskip(NEXT) | instid1(VALU_DEP_4)
	v_add_f64_e32 v[2:3], v[2:3], v[63:64]
	v_add_f64_e32 v[10:11], v[10:11], v[61:62]
	s_delay_alu instid0(VALU_DEP_2) | instskip(NEXT) | instid1(VALU_DEP_2)
	v_add_f64_e32 v[2:3], v[2:3], v[6:7]
	v_add_f64_e32 v[8:9], v[10:11], v[8:9]
	s_wait_loadcnt 0x0
	s_delay_alu instid0(VALU_DEP_2) | instskip(NEXT) | instid1(VALU_DEP_2)
	v_add_f64_e64 v[6:7], v[71:72], -v[2:3]
	v_add_f64_e64 v[8:9], v[73:74], -v[8:9]
	scratch_store_b128 off, v[6:9], off offset:256
	v_cmpx_lt_u32_e32 14, v0
	s_cbranch_execz .LBB20_111
; %bb.110:
	scratch_load_b128 v[6:9], off, s23
	v_dual_mov_b32 v2, v1 :: v_dual_mov_b32 v3, v1
	v_mov_b32_e32 v4, v1
	scratch_store_b128 off, v[1:4], off offset:240
	s_wait_loadcnt 0x0
	ds_store_b128 v5, v[6:9]
.LBB20_111:
	s_wait_alu 0xfffe
	s_or_b32 exec_lo, exec_lo, s0
	s_wait_storecnt_dscnt 0x0
	s_barrier_signal -1
	s_barrier_wait -1
	global_inv scope:SCOPE_SE
	s_clause 0x5
	scratch_load_b128 v[6:9], off, off offset:256
	scratch_load_b128 v[55:58], off, off offset:272
	;; [unrolled: 1-line block ×6, first 2 shown]
	ds_load_b128 v[75:78], v1 offset:576
	ds_load_b128 v[83:86], v1 offset:592
	scratch_load_b128 v[79:82], off, off offset:240
	s_mov_b32 s0, exec_lo
	s_wait_loadcnt_dscnt 0x601
	v_mul_f64_e32 v[2:3], v[77:78], v[8:9]
	v_mul_f64_e32 v[8:9], v[75:76], v[8:9]
	s_wait_loadcnt_dscnt 0x500
	v_mul_f64_e32 v[10:11], v[83:84], v[57:58]
	v_mul_f64_e32 v[57:58], v[85:86], v[57:58]
	s_delay_alu instid0(VALU_DEP_4) | instskip(NEXT) | instid1(VALU_DEP_4)
	v_fma_f64 v[2:3], v[75:76], v[6:7], -v[2:3]
	v_fma_f64 v[87:88], v[77:78], v[6:7], v[8:9]
	ds_load_b128 v[6:9], v1 offset:608
	ds_load_b128 v[75:78], v1 offset:624
	v_fma_f64 v[10:11], v[85:86], v[55:56], v[10:11]
	v_fma_f64 v[55:56], v[83:84], v[55:56], -v[57:58]
	s_wait_loadcnt_dscnt 0x401
	v_mul_f64_e32 v[89:90], v[6:7], v[61:62]
	v_mul_f64_e32 v[61:62], v[8:9], v[61:62]
	s_wait_loadcnt_dscnt 0x300
	v_mul_f64_e32 v[83:84], v[75:76], v[65:66]
	v_mul_f64_e32 v[65:66], v[77:78], v[65:66]
	v_add_f64_e32 v[2:3], 0, v[2:3]
	v_add_f64_e32 v[57:58], 0, v[87:88]
	v_fma_f64 v[85:86], v[8:9], v[59:60], v[89:90]
	v_fma_f64 v[59:60], v[6:7], v[59:60], -v[61:62]
	s_delay_alu instid0(VALU_DEP_4) | instskip(NEXT) | instid1(VALU_DEP_4)
	v_add_f64_e32 v[55:56], v[2:3], v[55:56]
	v_add_f64_e32 v[10:11], v[57:58], v[10:11]
	ds_load_b128 v[6:9], v1 offset:640
	ds_load_b128 v[1:4], v1 offset:656
	s_wait_loadcnt_dscnt 0x201
	v_mul_f64_e32 v[57:58], v[6:7], v[69:70]
	v_mul_f64_e32 v[61:62], v[8:9], v[69:70]
	v_fma_f64 v[69:70], v[77:78], v[63:64], v[83:84]
	v_fma_f64 v[63:64], v[75:76], v[63:64], -v[65:66]
	s_wait_loadcnt_dscnt 0x100
	v_mul_f64_e32 v[65:66], v[3:4], v[73:74]
	v_add_f64_e32 v[55:56], v[55:56], v[59:60]
	v_add_f64_e32 v[10:11], v[10:11], v[85:86]
	v_mul_f64_e32 v[59:60], v[1:2], v[73:74]
	v_fma_f64 v[8:9], v[8:9], v[67:68], v[57:58]
	v_fma_f64 v[6:7], v[6:7], v[67:68], -v[61:62]
	v_fma_f64 v[1:2], v[1:2], v[71:72], -v[65:66]
	v_add_f64_e32 v[55:56], v[55:56], v[63:64]
	v_add_f64_e32 v[10:11], v[10:11], v[69:70]
	v_fma_f64 v[3:4], v[3:4], v[71:72], v[59:60]
	s_delay_alu instid0(VALU_DEP_3) | instskip(NEXT) | instid1(VALU_DEP_3)
	v_add_f64_e32 v[6:7], v[55:56], v[6:7]
	v_add_f64_e32 v[8:9], v[10:11], v[8:9]
	s_delay_alu instid0(VALU_DEP_2) | instskip(NEXT) | instid1(VALU_DEP_2)
	v_add_f64_e32 v[1:2], v[6:7], v[1:2]
	v_add_f64_e32 v[3:4], v[8:9], v[3:4]
	s_wait_loadcnt 0x0
	s_delay_alu instid0(VALU_DEP_2) | instskip(NEXT) | instid1(VALU_DEP_2)
	v_add_f64_e64 v[1:2], v[79:80], -v[1:2]
	v_add_f64_e64 v[3:4], v[81:82], -v[3:4]
	scratch_store_b128 off, v[1:4], off offset:240
	v_cmpx_lt_u32_e32 13, v0
	s_cbranch_execz .LBB20_113
; %bb.112:
	scratch_load_b128 v[1:4], off, s20
	v_mov_b32_e32 v6, 0
	s_delay_alu instid0(VALU_DEP_1)
	v_dual_mov_b32 v7, v6 :: v_dual_mov_b32 v8, v6
	v_mov_b32_e32 v9, v6
	scratch_store_b128 off, v[6:9], off offset:224
	s_wait_loadcnt 0x0
	ds_store_b128 v5, v[1:4]
.LBB20_113:
	s_wait_alu 0xfffe
	s_or_b32 exec_lo, exec_lo, s0
	s_wait_storecnt_dscnt 0x0
	s_barrier_signal -1
	s_barrier_wait -1
	global_inv scope:SCOPE_SE
	s_clause 0x6
	scratch_load_b128 v[6:9], off, off offset:240
	scratch_load_b128 v[55:58], off, off offset:256
	;; [unrolled: 1-line block ×7, first 2 shown]
	v_mov_b32_e32 v1, 0
	scratch_load_b128 v[83:86], off, off offset:224
	s_mov_b32 s0, exec_lo
	ds_load_b128 v[79:82], v1 offset:560
	ds_load_b128 v[87:90], v1 offset:576
	s_wait_loadcnt_dscnt 0x701
	v_mul_f64_e32 v[2:3], v[81:82], v[8:9]
	v_mul_f64_e32 v[8:9], v[79:80], v[8:9]
	s_wait_loadcnt_dscnt 0x600
	v_mul_f64_e32 v[10:11], v[87:88], v[57:58]
	v_mul_f64_e32 v[57:58], v[89:90], v[57:58]
	s_delay_alu instid0(VALU_DEP_4) | instskip(NEXT) | instid1(VALU_DEP_4)
	v_fma_f64 v[2:3], v[79:80], v[6:7], -v[2:3]
	v_fma_f64 v[91:92], v[81:82], v[6:7], v[8:9]
	ds_load_b128 v[6:9], v1 offset:592
	ds_load_b128 v[79:82], v1 offset:608
	v_fma_f64 v[10:11], v[89:90], v[55:56], v[10:11]
	v_fma_f64 v[55:56], v[87:88], v[55:56], -v[57:58]
	s_wait_loadcnt_dscnt 0x501
	v_mul_f64_e32 v[93:94], v[6:7], v[61:62]
	v_mul_f64_e32 v[61:62], v[8:9], v[61:62]
	s_wait_loadcnt_dscnt 0x400
	v_mul_f64_e32 v[87:88], v[79:80], v[65:66]
	v_mul_f64_e32 v[65:66], v[81:82], v[65:66]
	v_add_f64_e32 v[2:3], 0, v[2:3]
	v_add_f64_e32 v[57:58], 0, v[91:92]
	v_fma_f64 v[89:90], v[8:9], v[59:60], v[93:94]
	v_fma_f64 v[59:60], v[6:7], v[59:60], -v[61:62]
	v_fma_f64 v[81:82], v[81:82], v[63:64], v[87:88]
	v_fma_f64 v[63:64], v[79:80], v[63:64], -v[65:66]
	v_add_f64_e32 v[2:3], v[2:3], v[55:56]
	v_add_f64_e32 v[10:11], v[57:58], v[10:11]
	ds_load_b128 v[6:9], v1 offset:624
	ds_load_b128 v[55:58], v1 offset:640
	s_wait_loadcnt_dscnt 0x301
	v_mul_f64_e32 v[61:62], v[6:7], v[69:70]
	v_mul_f64_e32 v[69:70], v[8:9], v[69:70]
	s_wait_loadcnt_dscnt 0x200
	v_mul_f64_e32 v[65:66], v[57:58], v[73:74]
	v_add_f64_e32 v[2:3], v[2:3], v[59:60]
	v_add_f64_e32 v[10:11], v[10:11], v[89:90]
	v_mul_f64_e32 v[59:60], v[55:56], v[73:74]
	v_fma_f64 v[61:62], v[8:9], v[67:68], v[61:62]
	v_fma_f64 v[67:68], v[6:7], v[67:68], -v[69:70]
	ds_load_b128 v[6:9], v1 offset:656
	v_fma_f64 v[55:56], v[55:56], v[71:72], -v[65:66]
	v_add_f64_e32 v[2:3], v[2:3], v[63:64]
	v_add_f64_e32 v[10:11], v[10:11], v[81:82]
	v_fma_f64 v[57:58], v[57:58], v[71:72], v[59:60]
	s_wait_loadcnt_dscnt 0x100
	v_mul_f64_e32 v[63:64], v[6:7], v[77:78]
	v_mul_f64_e32 v[69:70], v[8:9], v[77:78]
	v_add_f64_e32 v[2:3], v[2:3], v[67:68]
	v_add_f64_e32 v[10:11], v[10:11], v[61:62]
	s_delay_alu instid0(VALU_DEP_4) | instskip(NEXT) | instid1(VALU_DEP_4)
	v_fma_f64 v[8:9], v[8:9], v[75:76], v[63:64]
	v_fma_f64 v[6:7], v[6:7], v[75:76], -v[69:70]
	s_delay_alu instid0(VALU_DEP_4) | instskip(NEXT) | instid1(VALU_DEP_4)
	v_add_f64_e32 v[2:3], v[2:3], v[55:56]
	v_add_f64_e32 v[10:11], v[10:11], v[57:58]
	s_delay_alu instid0(VALU_DEP_2) | instskip(NEXT) | instid1(VALU_DEP_2)
	v_add_f64_e32 v[2:3], v[2:3], v[6:7]
	v_add_f64_e32 v[8:9], v[10:11], v[8:9]
	s_wait_loadcnt 0x0
	s_delay_alu instid0(VALU_DEP_2) | instskip(NEXT) | instid1(VALU_DEP_2)
	v_add_f64_e64 v[6:7], v[83:84], -v[2:3]
	v_add_f64_e64 v[8:9], v[85:86], -v[8:9]
	scratch_store_b128 off, v[6:9], off offset:224
	v_cmpx_lt_u32_e32 12, v0
	s_cbranch_execz .LBB20_115
; %bb.114:
	scratch_load_b128 v[6:9], off, s21
	v_dual_mov_b32 v2, v1 :: v_dual_mov_b32 v3, v1
	v_mov_b32_e32 v4, v1
	scratch_store_b128 off, v[1:4], off offset:208
	s_wait_loadcnt 0x0
	ds_store_b128 v5, v[6:9]
.LBB20_115:
	s_wait_alu 0xfffe
	s_or_b32 exec_lo, exec_lo, s0
	s_wait_storecnt_dscnt 0x0
	s_barrier_signal -1
	s_barrier_wait -1
	global_inv scope:SCOPE_SE
	s_clause 0x7
	scratch_load_b128 v[6:9], off, off offset:224
	scratch_load_b128 v[55:58], off, off offset:240
	;; [unrolled: 1-line block ×8, first 2 shown]
	ds_load_b128 v[83:86], v1 offset:544
	s_mov_b32 s0, exec_lo
	s_wait_loadcnt_dscnt 0x700
	v_mul_f64_e32 v[2:3], v[85:86], v[8:9]
	v_mul_f64_e32 v[87:88], v[83:84], v[8:9]
	ds_load_b128 v[8:11], v1 offset:560
	v_fma_f64 v[2:3], v[83:84], v[6:7], -v[2:3]
	v_fma_f64 v[6:7], v[85:86], v[6:7], v[87:88]
	ds_load_b128 v[83:86], v1 offset:576
	s_wait_loadcnt_dscnt 0x601
	v_mul_f64_e32 v[91:92], v[8:9], v[57:58]
	v_mul_f64_e32 v[57:58], v[10:11], v[57:58]
	scratch_load_b128 v[87:90], off, off offset:208
	s_wait_loadcnt_dscnt 0x600
	v_mul_f64_e32 v[93:94], v[83:84], v[61:62]
	v_mul_f64_e32 v[61:62], v[85:86], v[61:62]
	v_add_f64_e32 v[2:3], 0, v[2:3]
	v_fma_f64 v[10:11], v[10:11], v[55:56], v[91:92]
	v_fma_f64 v[55:56], v[8:9], v[55:56], -v[57:58]
	v_add_f64_e32 v[57:58], 0, v[6:7]
	ds_load_b128 v[6:9], v1 offset:592
	v_fma_f64 v[85:86], v[85:86], v[59:60], v[93:94]
	v_fma_f64 v[59:60], v[83:84], v[59:60], -v[61:62]
	v_add_f64_e32 v[2:3], v[2:3], v[55:56]
	v_add_f64_e32 v[10:11], v[57:58], v[10:11]
	ds_load_b128 v[55:58], v1 offset:608
	s_wait_loadcnt_dscnt 0x501
	v_mul_f64_e32 v[91:92], v[6:7], v[65:66]
	v_mul_f64_e32 v[65:66], v[8:9], v[65:66]
	s_wait_loadcnt_dscnt 0x400
	v_mul_f64_e32 v[61:62], v[55:56], v[69:70]
	v_mul_f64_e32 v[69:70], v[57:58], v[69:70]
	v_add_f64_e32 v[2:3], v[2:3], v[59:60]
	v_add_f64_e32 v[10:11], v[10:11], v[85:86]
	v_fma_f64 v[83:84], v[8:9], v[63:64], v[91:92]
	v_fma_f64 v[63:64], v[6:7], v[63:64], -v[65:66]
	ds_load_b128 v[6:9], v1 offset:624
	v_fma_f64 v[61:62], v[57:58], v[67:68], v[61:62]
	v_fma_f64 v[67:68], v[55:56], v[67:68], -v[69:70]
	ds_load_b128 v[55:58], v1 offset:640
	s_wait_loadcnt_dscnt 0x301
	v_mul_f64_e32 v[59:60], v[6:7], v[73:74]
	v_mul_f64_e32 v[65:66], v[8:9], v[73:74]
	v_add_f64_e32 v[10:11], v[10:11], v[83:84]
	v_add_f64_e32 v[2:3], v[2:3], v[63:64]
	s_wait_loadcnt_dscnt 0x200
	v_mul_f64_e32 v[63:64], v[55:56], v[77:78]
	v_mul_f64_e32 v[69:70], v[57:58], v[77:78]
	v_fma_f64 v[8:9], v[8:9], v[71:72], v[59:60]
	v_fma_f64 v[6:7], v[6:7], v[71:72], -v[65:66]
	v_add_f64_e32 v[10:11], v[10:11], v[61:62]
	v_add_f64_e32 v[59:60], v[2:3], v[67:68]
	ds_load_b128 v[1:4], v1 offset:656
	v_fma_f64 v[57:58], v[57:58], v[75:76], v[63:64]
	v_fma_f64 v[55:56], v[55:56], v[75:76], -v[69:70]
	s_wait_loadcnt_dscnt 0x100
	v_mul_f64_e32 v[61:62], v[1:2], v[81:82]
	v_mul_f64_e32 v[65:66], v[3:4], v[81:82]
	v_add_f64_e32 v[8:9], v[10:11], v[8:9]
	v_add_f64_e32 v[6:7], v[59:60], v[6:7]
	s_delay_alu instid0(VALU_DEP_4) | instskip(NEXT) | instid1(VALU_DEP_4)
	v_fma_f64 v[3:4], v[3:4], v[79:80], v[61:62]
	v_fma_f64 v[1:2], v[1:2], v[79:80], -v[65:66]
	s_delay_alu instid0(VALU_DEP_4) | instskip(NEXT) | instid1(VALU_DEP_4)
	v_add_f64_e32 v[8:9], v[8:9], v[57:58]
	v_add_f64_e32 v[6:7], v[6:7], v[55:56]
	s_delay_alu instid0(VALU_DEP_2) | instskip(NEXT) | instid1(VALU_DEP_2)
	v_add_f64_e32 v[3:4], v[8:9], v[3:4]
	v_add_f64_e32 v[1:2], v[6:7], v[1:2]
	s_wait_loadcnt 0x0
	s_delay_alu instid0(VALU_DEP_2) | instskip(NEXT) | instid1(VALU_DEP_2)
	v_add_f64_e64 v[3:4], v[89:90], -v[3:4]
	v_add_f64_e64 v[1:2], v[87:88], -v[1:2]
	scratch_store_b128 off, v[1:4], off offset:208
	v_cmpx_lt_u32_e32 11, v0
	s_cbranch_execz .LBB20_117
; %bb.116:
	scratch_load_b128 v[1:4], off, s14
	v_mov_b32_e32 v6, 0
	s_delay_alu instid0(VALU_DEP_1)
	v_dual_mov_b32 v7, v6 :: v_dual_mov_b32 v8, v6
	v_mov_b32_e32 v9, v6
	scratch_store_b128 off, v[6:9], off offset:192
	s_wait_loadcnt 0x0
	ds_store_b128 v5, v[1:4]
.LBB20_117:
	s_wait_alu 0xfffe
	s_or_b32 exec_lo, exec_lo, s0
	s_wait_storecnt_dscnt 0x0
	s_barrier_signal -1
	s_barrier_wait -1
	global_inv scope:SCOPE_SE
	s_clause 0x7
	scratch_load_b128 v[6:9], off, off offset:208
	scratch_load_b128 v[55:58], off, off offset:224
	;; [unrolled: 1-line block ×8, first 2 shown]
	v_mov_b32_e32 v1, 0
	scratch_load_b128 v[87:90], off, off offset:336
	s_mov_b32 s0, exec_lo
	ds_load_b128 v[83:86], v1 offset:528
	s_wait_loadcnt_dscnt 0x800
	v_mul_f64_e32 v[2:3], v[85:86], v[8:9]
	v_mul_f64_e32 v[91:92], v[83:84], v[8:9]
	ds_load_b128 v[8:11], v1 offset:544
	v_fma_f64 v[2:3], v[83:84], v[6:7], -v[2:3]
	v_fma_f64 v[6:7], v[85:86], v[6:7], v[91:92]
	ds_load_b128 v[83:86], v1 offset:560
	s_wait_loadcnt_dscnt 0x701
	v_mul_f64_e32 v[93:94], v[8:9], v[57:58]
	v_mul_f64_e32 v[57:58], v[10:11], v[57:58]
	s_wait_loadcnt_dscnt 0x600
	v_mul_f64_e32 v[91:92], v[83:84], v[61:62]
	v_mul_f64_e32 v[61:62], v[85:86], v[61:62]
	v_add_f64_e32 v[2:3], 0, v[2:3]
	v_add_f64_e32 v[95:96], 0, v[6:7]
	v_fma_f64 v[10:11], v[10:11], v[55:56], v[93:94]
	v_fma_f64 v[93:94], v[8:9], v[55:56], -v[57:58]
	ds_load_b128 v[6:9], v1 offset:576
	scratch_load_b128 v[55:58], off, off offset:192
	v_fma_f64 v[85:86], v[85:86], v[59:60], v[91:92]
	v_fma_f64 v[83:84], v[83:84], v[59:60], -v[61:62]
	ds_load_b128 v[59:62], v1 offset:592
	s_wait_loadcnt_dscnt 0x601
	v_mul_f64_e32 v[97:98], v[6:7], v[65:66]
	v_mul_f64_e32 v[65:66], v[8:9], v[65:66]
	v_add_f64_e32 v[10:11], v[95:96], v[10:11]
	v_add_f64_e32 v[2:3], v[2:3], v[93:94]
	s_wait_loadcnt_dscnt 0x500
	v_mul_f64_e32 v[91:92], v[59:60], v[69:70]
	v_mul_f64_e32 v[69:70], v[61:62], v[69:70]
	v_fma_f64 v[93:94], v[8:9], v[63:64], v[97:98]
	v_fma_f64 v[63:64], v[6:7], v[63:64], -v[65:66]
	ds_load_b128 v[6:9], v1 offset:608
	v_add_f64_e32 v[10:11], v[10:11], v[85:86]
	v_add_f64_e32 v[2:3], v[2:3], v[83:84]
	v_fma_f64 v[83:84], v[61:62], v[67:68], v[91:92]
	v_fma_f64 v[67:68], v[59:60], v[67:68], -v[69:70]
	ds_load_b128 v[59:62], v1 offset:624
	s_wait_loadcnt_dscnt 0x401
	v_mul_f64_e32 v[65:66], v[6:7], v[73:74]
	v_mul_f64_e32 v[73:74], v[8:9], v[73:74]
	s_wait_loadcnt_dscnt 0x300
	v_mul_f64_e32 v[69:70], v[61:62], v[77:78]
	v_add_f64_e32 v[10:11], v[10:11], v[93:94]
	v_add_f64_e32 v[2:3], v[2:3], v[63:64]
	v_mul_f64_e32 v[63:64], v[59:60], v[77:78]
	v_fma_f64 v[65:66], v[8:9], v[71:72], v[65:66]
	v_fma_f64 v[71:72], v[6:7], v[71:72], -v[73:74]
	ds_load_b128 v[6:9], v1 offset:640
	v_fma_f64 v[69:70], v[59:60], v[75:76], -v[69:70]
	v_add_f64_e32 v[10:11], v[10:11], v[83:84]
	v_add_f64_e32 v[2:3], v[2:3], v[67:68]
	v_fma_f64 v[63:64], v[61:62], v[75:76], v[63:64]
	ds_load_b128 v[59:62], v1 offset:656
	s_wait_loadcnt_dscnt 0x201
	v_mul_f64_e32 v[67:68], v[6:7], v[81:82]
	v_mul_f64_e32 v[73:74], v[8:9], v[81:82]
	v_add_f64_e32 v[10:11], v[10:11], v[65:66]
	v_add_f64_e32 v[2:3], v[2:3], v[71:72]
	s_wait_loadcnt_dscnt 0x100
	v_mul_f64_e32 v[65:66], v[59:60], v[89:90]
	v_mul_f64_e32 v[71:72], v[61:62], v[89:90]
	v_fma_f64 v[8:9], v[8:9], v[79:80], v[67:68]
	v_fma_f64 v[6:7], v[6:7], v[79:80], -v[73:74]
	v_add_f64_e32 v[10:11], v[10:11], v[63:64]
	v_add_f64_e32 v[2:3], v[2:3], v[69:70]
	v_fma_f64 v[61:62], v[61:62], v[87:88], v[65:66]
	v_fma_f64 v[59:60], v[59:60], v[87:88], -v[71:72]
	s_delay_alu instid0(VALU_DEP_3) | instskip(SKIP_1) | instid1(VALU_DEP_2)
	v_add_f64_e32 v[2:3], v[2:3], v[6:7]
	v_add_f64_e32 v[6:7], v[10:11], v[8:9]
	;; [unrolled: 1-line block ×3, first 2 shown]
	s_delay_alu instid0(VALU_DEP_2) | instskip(SKIP_1) | instid1(VALU_DEP_2)
	v_add_f64_e32 v[8:9], v[6:7], v[61:62]
	s_wait_loadcnt 0x0
	v_add_f64_e64 v[6:7], v[55:56], -v[2:3]
	s_delay_alu instid0(VALU_DEP_2)
	v_add_f64_e64 v[8:9], v[57:58], -v[8:9]
	scratch_store_b128 off, v[6:9], off offset:192
	v_cmpx_lt_u32_e32 10, v0
	s_cbranch_execz .LBB20_119
; %bb.118:
	scratch_load_b128 v[6:9], off, s19
	v_dual_mov_b32 v2, v1 :: v_dual_mov_b32 v3, v1
	v_mov_b32_e32 v4, v1
	scratch_store_b128 off, v[1:4], off offset:176
	s_wait_loadcnt 0x0
	ds_store_b128 v5, v[6:9]
.LBB20_119:
	s_wait_alu 0xfffe
	s_or_b32 exec_lo, exec_lo, s0
	s_wait_storecnt_dscnt 0x0
	s_barrier_signal -1
	s_barrier_wait -1
	global_inv scope:SCOPE_SE
	s_clause 0x8
	scratch_load_b128 v[6:9], off, off offset:192
	scratch_load_b128 v[55:58], off, off offset:208
	;; [unrolled: 1-line block ×9, first 2 shown]
	ds_load_b128 v[87:90], v1 offset:512
	ds_load_b128 v[91:94], v1 offset:528
	scratch_load_b128 v[95:98], off, off offset:176
	s_mov_b32 s0, exec_lo
	s_wait_loadcnt_dscnt 0x901
	v_mul_f64_e32 v[2:3], v[89:90], v[8:9]
	v_mul_f64_e32 v[99:100], v[87:88], v[8:9]
	scratch_load_b128 v[8:11], off, off offset:336
	s_wait_loadcnt_dscnt 0x900
	v_mul_f64_e32 v[103:104], v[91:92], v[57:58]
	v_mul_f64_e32 v[57:58], v[93:94], v[57:58]
	v_fma_f64 v[2:3], v[87:88], v[6:7], -v[2:3]
	v_fma_f64 v[6:7], v[89:90], v[6:7], v[99:100]
	ds_load_b128 v[87:90], v1 offset:544
	ds_load_b128 v[99:102], v1 offset:560
	v_fma_f64 v[93:94], v[93:94], v[55:56], v[103:104]
	v_fma_f64 v[55:56], v[91:92], v[55:56], -v[57:58]
	s_wait_loadcnt_dscnt 0x801
	v_mul_f64_e32 v[105:106], v[87:88], v[61:62]
	v_mul_f64_e32 v[61:62], v[89:90], v[61:62]
	s_wait_loadcnt_dscnt 0x700
	v_mul_f64_e32 v[91:92], v[99:100], v[65:66]
	v_mul_f64_e32 v[65:66], v[101:102], v[65:66]
	v_add_f64_e32 v[2:3], 0, v[2:3]
	v_add_f64_e32 v[6:7], 0, v[6:7]
	v_fma_f64 v[89:90], v[89:90], v[59:60], v[105:106]
	v_fma_f64 v[87:88], v[87:88], v[59:60], -v[61:62]
	v_fma_f64 v[91:92], v[101:102], v[63:64], v[91:92]
	v_fma_f64 v[63:64], v[99:100], v[63:64], -v[65:66]
	v_add_f64_e32 v[2:3], v[2:3], v[55:56]
	v_add_f64_e32 v[6:7], v[6:7], v[93:94]
	ds_load_b128 v[55:58], v1 offset:576
	ds_load_b128 v[59:62], v1 offset:592
	s_wait_loadcnt_dscnt 0x601
	v_mul_f64_e32 v[93:94], v[55:56], v[69:70]
	v_mul_f64_e32 v[69:70], v[57:58], v[69:70]
	v_add_f64_e32 v[2:3], v[2:3], v[87:88]
	v_add_f64_e32 v[6:7], v[6:7], v[89:90]
	s_wait_loadcnt_dscnt 0x500
	v_mul_f64_e32 v[87:88], v[59:60], v[73:74]
	v_mul_f64_e32 v[73:74], v[61:62], v[73:74]
	v_fma_f64 v[89:90], v[57:58], v[67:68], v[93:94]
	v_fma_f64 v[67:68], v[55:56], v[67:68], -v[69:70]
	v_add_f64_e32 v[2:3], v[2:3], v[63:64]
	v_add_f64_e32 v[6:7], v[6:7], v[91:92]
	ds_load_b128 v[55:58], v1 offset:608
	ds_load_b128 v[63:66], v1 offset:624
	v_fma_f64 v[61:62], v[61:62], v[71:72], v[87:88]
	v_fma_f64 v[59:60], v[59:60], v[71:72], -v[73:74]
	s_wait_loadcnt_dscnt 0x401
	v_mul_f64_e32 v[69:70], v[55:56], v[77:78]
	v_mul_f64_e32 v[77:78], v[57:58], v[77:78]
	s_wait_loadcnt_dscnt 0x300
	v_mul_f64_e32 v[71:72], v[65:66], v[81:82]
	v_add_f64_e32 v[2:3], v[2:3], v[67:68]
	v_add_f64_e32 v[6:7], v[6:7], v[89:90]
	v_mul_f64_e32 v[67:68], v[63:64], v[81:82]
	v_fma_f64 v[69:70], v[57:58], v[75:76], v[69:70]
	v_fma_f64 v[73:74], v[55:56], v[75:76], -v[77:78]
	v_fma_f64 v[63:64], v[63:64], v[79:80], -v[71:72]
	v_add_f64_e32 v[59:60], v[2:3], v[59:60]
	v_add_f64_e32 v[6:7], v[6:7], v[61:62]
	ds_load_b128 v[55:58], v1 offset:640
	ds_load_b128 v[1:4], v1 offset:656
	v_fma_f64 v[65:66], v[65:66], v[79:80], v[67:68]
	s_wait_loadcnt_dscnt 0x201
	v_mul_f64_e32 v[61:62], v[55:56], v[85:86]
	v_mul_f64_e32 v[75:76], v[57:58], v[85:86]
	v_add_f64_e32 v[59:60], v[59:60], v[73:74]
	v_add_f64_e32 v[6:7], v[6:7], v[69:70]
	s_wait_loadcnt_dscnt 0x0
	v_mul_f64_e32 v[67:68], v[1:2], v[10:11]
	v_mul_f64_e32 v[10:11], v[3:4], v[10:11]
	v_fma_f64 v[57:58], v[57:58], v[83:84], v[61:62]
	v_fma_f64 v[55:56], v[55:56], v[83:84], -v[75:76]
	v_add_f64_e32 v[59:60], v[59:60], v[63:64]
	v_add_f64_e32 v[6:7], v[6:7], v[65:66]
	v_fma_f64 v[3:4], v[3:4], v[8:9], v[67:68]
	v_fma_f64 v[1:2], v[1:2], v[8:9], -v[10:11]
	s_delay_alu instid0(VALU_DEP_4) | instskip(NEXT) | instid1(VALU_DEP_4)
	v_add_f64_e32 v[8:9], v[59:60], v[55:56]
	v_add_f64_e32 v[6:7], v[6:7], v[57:58]
	s_delay_alu instid0(VALU_DEP_2) | instskip(NEXT) | instid1(VALU_DEP_2)
	v_add_f64_e32 v[1:2], v[8:9], v[1:2]
	v_add_f64_e32 v[3:4], v[6:7], v[3:4]
	s_delay_alu instid0(VALU_DEP_2) | instskip(NEXT) | instid1(VALU_DEP_2)
	v_add_f64_e64 v[1:2], v[95:96], -v[1:2]
	v_add_f64_e64 v[3:4], v[97:98], -v[3:4]
	scratch_store_b128 off, v[1:4], off offset:176
	v_cmpx_lt_u32_e32 9, v0
	s_cbranch_execz .LBB20_121
; %bb.120:
	scratch_load_b128 v[1:4], off, s8
	v_mov_b32_e32 v6, 0
	s_delay_alu instid0(VALU_DEP_1)
	v_dual_mov_b32 v7, v6 :: v_dual_mov_b32 v8, v6
	v_mov_b32_e32 v9, v6
	scratch_store_b128 off, v[6:9], off offset:160
	s_wait_loadcnt 0x0
	ds_store_b128 v5, v[1:4]
.LBB20_121:
	s_wait_alu 0xfffe
	s_or_b32 exec_lo, exec_lo, s0
	s_wait_storecnt_dscnt 0x0
	s_barrier_signal -1
	s_barrier_wait -1
	global_inv scope:SCOPE_SE
	s_clause 0x7
	scratch_load_b128 v[6:9], off, off offset:176
	scratch_load_b128 v[55:58], off, off offset:192
	;; [unrolled: 1-line block ×8, first 2 shown]
	v_mov_b32_e32 v1, 0
	s_mov_b32 s0, exec_lo
	ds_load_b128 v[83:86], v1 offset:496
	s_clause 0x1
	scratch_load_b128 v[87:90], off, off offset:304
	scratch_load_b128 v[91:94], off, off offset:160
	ds_load_b128 v[95:98], v1 offset:512
	ds_load_b128 v[103:106], v1 offset:544
	s_wait_loadcnt_dscnt 0x902
	v_mul_f64_e32 v[2:3], v[85:86], v[8:9]
	v_mul_f64_e32 v[99:100], v[83:84], v[8:9]
	scratch_load_b128 v[8:11], off, off offset:320
	v_fma_f64 v[2:3], v[83:84], v[6:7], -v[2:3]
	v_fma_f64 v[6:7], v[85:86], v[6:7], v[99:100]
	ds_load_b128 v[83:86], v1 offset:528
	s_wait_loadcnt_dscnt 0x902
	v_mul_f64_e32 v[107:108], v[95:96], v[57:58]
	v_mul_f64_e32 v[57:58], v[97:98], v[57:58]
	scratch_load_b128 v[99:102], off, off offset:336
	s_wait_loadcnt_dscnt 0x900
	v_mul_f64_e32 v[109:110], v[83:84], v[61:62]
	v_mul_f64_e32 v[61:62], v[85:86], v[61:62]
	v_add_f64_e32 v[2:3], 0, v[2:3]
	v_add_f64_e32 v[6:7], 0, v[6:7]
	v_fma_f64 v[97:98], v[97:98], v[55:56], v[107:108]
	v_fma_f64 v[55:56], v[95:96], v[55:56], -v[57:58]
	s_wait_loadcnt 0x8
	v_mul_f64_e32 v[95:96], v[103:104], v[65:66]
	v_mul_f64_e32 v[65:66], v[105:106], v[65:66]
	v_fma_f64 v[85:86], v[85:86], v[59:60], v[109:110]
	v_fma_f64 v[83:84], v[83:84], v[59:60], -v[61:62]
	v_add_f64_e32 v[6:7], v[6:7], v[97:98]
	v_add_f64_e32 v[2:3], v[2:3], v[55:56]
	ds_load_b128 v[55:58], v1 offset:560
	ds_load_b128 v[59:62], v1 offset:576
	v_fma_f64 v[95:96], v[105:106], v[63:64], v[95:96]
	v_fma_f64 v[63:64], v[103:104], v[63:64], -v[65:66]
	s_wait_loadcnt_dscnt 0x701
	v_mul_f64_e32 v[97:98], v[55:56], v[69:70]
	v_mul_f64_e32 v[69:70], v[57:58], v[69:70]
	v_add_f64_e32 v[6:7], v[6:7], v[85:86]
	v_add_f64_e32 v[2:3], v[2:3], v[83:84]
	s_wait_loadcnt_dscnt 0x600
	v_mul_f64_e32 v[83:84], v[59:60], v[73:74]
	v_mul_f64_e32 v[73:74], v[61:62], v[73:74]
	v_fma_f64 v[85:86], v[57:58], v[67:68], v[97:98]
	v_fma_f64 v[67:68], v[55:56], v[67:68], -v[69:70]
	v_add_f64_e32 v[6:7], v[6:7], v[95:96]
	v_add_f64_e32 v[2:3], v[2:3], v[63:64]
	ds_load_b128 v[55:58], v1 offset:592
	ds_load_b128 v[63:66], v1 offset:608
	v_fma_f64 v[61:62], v[61:62], v[71:72], v[83:84]
	v_fma_f64 v[59:60], v[59:60], v[71:72], -v[73:74]
	s_wait_loadcnt_dscnt 0x501
	v_mul_f64_e32 v[69:70], v[55:56], v[77:78]
	v_mul_f64_e32 v[77:78], v[57:58], v[77:78]
	s_wait_loadcnt_dscnt 0x400
	v_mul_f64_e32 v[71:72], v[65:66], v[81:82]
	v_add_f64_e32 v[6:7], v[6:7], v[85:86]
	v_add_f64_e32 v[2:3], v[2:3], v[67:68]
	v_mul_f64_e32 v[67:68], v[63:64], v[81:82]
	v_fma_f64 v[69:70], v[57:58], v[75:76], v[69:70]
	v_fma_f64 v[73:74], v[55:56], v[75:76], -v[77:78]
	v_fma_f64 v[63:64], v[63:64], v[79:80], -v[71:72]
	v_add_f64_e32 v[6:7], v[6:7], v[61:62]
	v_add_f64_e32 v[2:3], v[2:3], v[59:60]
	ds_load_b128 v[55:58], v1 offset:624
	ds_load_b128 v[59:62], v1 offset:640
	v_fma_f64 v[65:66], v[65:66], v[79:80], v[67:68]
	s_wait_loadcnt_dscnt 0x301
	v_mul_f64_e32 v[75:76], v[55:56], v[89:90]
	v_mul_f64_e32 v[77:78], v[57:58], v[89:90]
	v_add_f64_e32 v[6:7], v[6:7], v[69:70]
	v_add_f64_e32 v[2:3], v[2:3], v[73:74]
	s_wait_loadcnt_dscnt 0x100
	v_mul_f64_e32 v[67:68], v[59:60], v[10:11]
	v_mul_f64_e32 v[10:11], v[61:62], v[10:11]
	v_fma_f64 v[69:70], v[57:58], v[87:88], v[75:76]
	v_fma_f64 v[71:72], v[55:56], v[87:88], -v[77:78]
	ds_load_b128 v[55:58], v1 offset:656
	v_add_f64_e32 v[6:7], v[6:7], v[65:66]
	v_add_f64_e32 v[2:3], v[2:3], v[63:64]
	v_fma_f64 v[61:62], v[61:62], v[8:9], v[67:68]
	v_fma_f64 v[8:9], v[59:60], v[8:9], -v[10:11]
	s_wait_loadcnt_dscnt 0x0
	v_mul_f64_e32 v[63:64], v[55:56], v[101:102]
	v_mul_f64_e32 v[65:66], v[57:58], v[101:102]
	v_add_f64_e32 v[6:7], v[6:7], v[69:70]
	v_add_f64_e32 v[2:3], v[2:3], v[71:72]
	s_delay_alu instid0(VALU_DEP_4) | instskip(NEXT) | instid1(VALU_DEP_4)
	v_fma_f64 v[10:11], v[57:58], v[99:100], v[63:64]
	v_fma_f64 v[55:56], v[55:56], v[99:100], -v[65:66]
	s_delay_alu instid0(VALU_DEP_4) | instskip(NEXT) | instid1(VALU_DEP_4)
	v_add_f64_e32 v[6:7], v[6:7], v[61:62]
	v_add_f64_e32 v[2:3], v[2:3], v[8:9]
	s_delay_alu instid0(VALU_DEP_2) | instskip(NEXT) | instid1(VALU_DEP_2)
	v_add_f64_e32 v[8:9], v[6:7], v[10:11]
	v_add_f64_e32 v[2:3], v[2:3], v[55:56]
	s_delay_alu instid0(VALU_DEP_2) | instskip(NEXT) | instid1(VALU_DEP_2)
	v_add_f64_e64 v[8:9], v[93:94], -v[8:9]
	v_add_f64_e64 v[6:7], v[91:92], -v[2:3]
	scratch_store_b128 off, v[6:9], off offset:160
	v_cmpx_lt_u32_e32 8, v0
	s_cbranch_execz .LBB20_123
; %bb.122:
	scratch_load_b128 v[6:9], off, s12
	v_dual_mov_b32 v2, v1 :: v_dual_mov_b32 v3, v1
	v_mov_b32_e32 v4, v1
	scratch_store_b128 off, v[1:4], off offset:144
	s_wait_loadcnt 0x0
	ds_store_b128 v5, v[6:9]
.LBB20_123:
	s_wait_alu 0xfffe
	s_or_b32 exec_lo, exec_lo, s0
	s_wait_storecnt_dscnt 0x0
	s_barrier_signal -1
	s_barrier_wait -1
	global_inv scope:SCOPE_SE
	s_clause 0x8
	scratch_load_b128 v[6:9], off, off offset:160
	scratch_load_b128 v[55:58], off, off offset:176
	;; [unrolled: 1-line block ×9, first 2 shown]
	ds_load_b128 v[87:90], v1 offset:480
	ds_load_b128 v[91:94], v1 offset:496
	scratch_load_b128 v[95:98], off, off offset:144
	s_mov_b32 s0, exec_lo
	ds_load_b128 v[103:106], v1 offset:528
	s_wait_loadcnt_dscnt 0x902
	v_mul_f64_e32 v[2:3], v[89:90], v[8:9]
	v_mul_f64_e32 v[99:100], v[87:88], v[8:9]
	scratch_load_b128 v[8:11], off, off offset:304
	s_wait_loadcnt_dscnt 0x901
	v_mul_f64_e32 v[107:108], v[91:92], v[57:58]
	v_mul_f64_e32 v[57:58], v[93:94], v[57:58]
	v_fma_f64 v[2:3], v[87:88], v[6:7], -v[2:3]
	v_fma_f64 v[6:7], v[89:90], v[6:7], v[99:100]
	ds_load_b128 v[87:90], v1 offset:512
	scratch_load_b128 v[99:102], off, off offset:320
	v_fma_f64 v[93:94], v[93:94], v[55:56], v[107:108]
	v_fma_f64 v[91:92], v[91:92], v[55:56], -v[57:58]
	scratch_load_b128 v[55:58], off, off offset:336
	s_wait_loadcnt_dscnt 0x901
	v_mul_f64_e32 v[107:108], v[103:104], v[65:66]
	v_mul_f64_e32 v[65:66], v[105:106], v[65:66]
	s_wait_dscnt 0x0
	v_mul_f64_e32 v[109:110], v[87:88], v[61:62]
	v_mul_f64_e32 v[61:62], v[89:90], v[61:62]
	v_add_f64_e32 v[2:3], 0, v[2:3]
	v_add_f64_e32 v[6:7], 0, v[6:7]
	s_delay_alu instid0(VALU_DEP_4) | instskip(NEXT) | instid1(VALU_DEP_4)
	v_fma_f64 v[109:110], v[89:90], v[59:60], v[109:110]
	v_fma_f64 v[111:112], v[87:88], v[59:60], -v[61:62]
	ds_load_b128 v[59:62], v1 offset:544
	ds_load_b128 v[87:90], v1 offset:560
	v_add_f64_e32 v[2:3], v[2:3], v[91:92]
	v_add_f64_e32 v[6:7], v[6:7], v[93:94]
	v_fma_f64 v[93:94], v[105:106], v[63:64], v[107:108]
	v_fma_f64 v[63:64], v[103:104], v[63:64], -v[65:66]
	s_wait_loadcnt_dscnt 0x801
	v_mul_f64_e32 v[91:92], v[59:60], v[69:70]
	v_mul_f64_e32 v[69:70], v[61:62], v[69:70]
	s_wait_loadcnt_dscnt 0x700
	v_mul_f64_e32 v[103:104], v[87:88], v[73:74]
	v_mul_f64_e32 v[73:74], v[89:90], v[73:74]
	v_add_f64_e32 v[2:3], v[2:3], v[111:112]
	v_add_f64_e32 v[6:7], v[6:7], v[109:110]
	v_fma_f64 v[91:92], v[61:62], v[67:68], v[91:92]
	v_fma_f64 v[67:68], v[59:60], v[67:68], -v[69:70]
	v_fma_f64 v[89:90], v[89:90], v[71:72], v[103:104]
	v_fma_f64 v[71:72], v[87:88], v[71:72], -v[73:74]
	v_add_f64_e32 v[2:3], v[2:3], v[63:64]
	v_add_f64_e32 v[6:7], v[6:7], v[93:94]
	ds_load_b128 v[59:62], v1 offset:576
	ds_load_b128 v[63:66], v1 offset:592
	s_wait_loadcnt_dscnt 0x601
	v_mul_f64_e32 v[69:70], v[59:60], v[77:78]
	v_mul_f64_e32 v[77:78], v[61:62], v[77:78]
	s_wait_loadcnt_dscnt 0x500
	v_mul_f64_e32 v[73:74], v[63:64], v[81:82]
	v_mul_f64_e32 v[81:82], v[65:66], v[81:82]
	v_add_f64_e32 v[2:3], v[2:3], v[67:68]
	v_add_f64_e32 v[6:7], v[6:7], v[91:92]
	v_fma_f64 v[87:88], v[61:62], v[75:76], v[69:70]
	v_fma_f64 v[75:76], v[59:60], v[75:76], -v[77:78]
	ds_load_b128 v[59:62], v1 offset:608
	ds_load_b128 v[67:70], v1 offset:624
	v_fma_f64 v[65:66], v[65:66], v[79:80], v[73:74]
	v_fma_f64 v[63:64], v[63:64], v[79:80], -v[81:82]
	v_add_f64_e32 v[2:3], v[2:3], v[71:72]
	v_add_f64_e32 v[6:7], v[6:7], v[89:90]
	s_wait_loadcnt_dscnt 0x401
	v_mul_f64_e32 v[71:72], v[59:60], v[85:86]
	v_mul_f64_e32 v[77:78], v[61:62], v[85:86]
	s_delay_alu instid0(VALU_DEP_4) | instskip(NEXT) | instid1(VALU_DEP_4)
	v_add_f64_e32 v[2:3], v[2:3], v[75:76]
	v_add_f64_e32 v[6:7], v[6:7], v[87:88]
	s_delay_alu instid0(VALU_DEP_4) | instskip(NEXT) | instid1(VALU_DEP_4)
	v_fma_f64 v[71:72], v[61:62], v[83:84], v[71:72]
	v_fma_f64 v[75:76], v[59:60], v[83:84], -v[77:78]
	s_wait_loadcnt_dscnt 0x200
	v_mul_f64_e32 v[73:74], v[67:68], v[10:11]
	v_mul_f64_e32 v[10:11], v[69:70], v[10:11]
	v_add_f64_e32 v[63:64], v[2:3], v[63:64]
	v_add_f64_e32 v[6:7], v[6:7], v[65:66]
	ds_load_b128 v[59:62], v1 offset:640
	ds_load_b128 v[1:4], v1 offset:656
	v_fma_f64 v[69:70], v[69:70], v[8:9], v[73:74]
	v_fma_f64 v[8:9], v[67:68], v[8:9], -v[10:11]
	s_wait_loadcnt_dscnt 0x101
	v_mul_f64_e32 v[65:66], v[59:60], v[101:102]
	v_mul_f64_e32 v[77:78], v[61:62], v[101:102]
	v_add_f64_e32 v[10:11], v[63:64], v[75:76]
	v_add_f64_e32 v[6:7], v[6:7], v[71:72]
	s_wait_loadcnt_dscnt 0x0
	v_mul_f64_e32 v[63:64], v[1:2], v[57:58]
	v_mul_f64_e32 v[57:58], v[3:4], v[57:58]
	v_fma_f64 v[61:62], v[61:62], v[99:100], v[65:66]
	v_fma_f64 v[59:60], v[59:60], v[99:100], -v[77:78]
	v_add_f64_e32 v[8:9], v[10:11], v[8:9]
	v_add_f64_e32 v[6:7], v[6:7], v[69:70]
	v_fma_f64 v[3:4], v[3:4], v[55:56], v[63:64]
	v_fma_f64 v[1:2], v[1:2], v[55:56], -v[57:58]
	s_delay_alu instid0(VALU_DEP_4) | instskip(NEXT) | instid1(VALU_DEP_4)
	v_add_f64_e32 v[8:9], v[8:9], v[59:60]
	v_add_f64_e32 v[6:7], v[6:7], v[61:62]
	s_delay_alu instid0(VALU_DEP_2) | instskip(NEXT) | instid1(VALU_DEP_2)
	v_add_f64_e32 v[1:2], v[8:9], v[1:2]
	v_add_f64_e32 v[3:4], v[6:7], v[3:4]
	s_delay_alu instid0(VALU_DEP_2) | instskip(NEXT) | instid1(VALU_DEP_2)
	v_add_f64_e64 v[1:2], v[95:96], -v[1:2]
	v_add_f64_e64 v[3:4], v[97:98], -v[3:4]
	scratch_store_b128 off, v[1:4], off offset:144
	v_cmpx_lt_u32_e32 7, v0
	s_cbranch_execz .LBB20_125
; %bb.124:
	scratch_load_b128 v[1:4], off, s5
	v_mov_b32_e32 v6, 0
	s_delay_alu instid0(VALU_DEP_1)
	v_dual_mov_b32 v7, v6 :: v_dual_mov_b32 v8, v6
	v_mov_b32_e32 v9, v6
	scratch_store_b128 off, v[6:9], off offset:128
	s_wait_loadcnt 0x0
	ds_store_b128 v5, v[1:4]
.LBB20_125:
	s_wait_alu 0xfffe
	s_or_b32 exec_lo, exec_lo, s0
	s_wait_storecnt_dscnt 0x0
	s_barrier_signal -1
	s_barrier_wait -1
	global_inv scope:SCOPE_SE
	s_clause 0x7
	scratch_load_b128 v[6:9], off, off offset:144
	scratch_load_b128 v[55:58], off, off offset:160
	;; [unrolled: 1-line block ×8, first 2 shown]
	v_mov_b32_e32 v1, 0
	s_mov_b32 s0, exec_lo
	ds_load_b128 v[83:86], v1 offset:464
	s_clause 0x1
	scratch_load_b128 v[87:90], off, off offset:272
	scratch_load_b128 v[91:94], off, off offset:128
	ds_load_b128 v[95:98], v1 offset:480
	ds_load_b128 v[103:106], v1 offset:512
	s_wait_loadcnt_dscnt 0x902
	v_mul_f64_e32 v[2:3], v[85:86], v[8:9]
	v_mul_f64_e32 v[99:100], v[83:84], v[8:9]
	scratch_load_b128 v[8:11], off, off offset:288
	v_fma_f64 v[2:3], v[83:84], v[6:7], -v[2:3]
	v_fma_f64 v[6:7], v[85:86], v[6:7], v[99:100]
	ds_load_b128 v[83:86], v1 offset:496
	s_wait_loadcnt_dscnt 0x902
	v_mul_f64_e32 v[107:108], v[95:96], v[57:58]
	v_mul_f64_e32 v[57:58], v[97:98], v[57:58]
	scratch_load_b128 v[99:102], off, off offset:304
	s_wait_loadcnt_dscnt 0x900
	v_mul_f64_e32 v[109:110], v[83:84], v[61:62]
	v_mul_f64_e32 v[61:62], v[85:86], v[61:62]
	v_add_f64_e32 v[2:3], 0, v[2:3]
	v_add_f64_e32 v[6:7], 0, v[6:7]
	v_fma_f64 v[97:98], v[97:98], v[55:56], v[107:108]
	v_fma_f64 v[95:96], v[95:96], v[55:56], -v[57:58]
	scratch_load_b128 v[55:58], off, off offset:320
	v_fma_f64 v[109:110], v[85:86], v[59:60], v[109:110]
	v_fma_f64 v[111:112], v[83:84], v[59:60], -v[61:62]
	ds_load_b128 v[59:62], v1 offset:528
	s_wait_loadcnt 0x9
	v_mul_f64_e32 v[107:108], v[103:104], v[65:66]
	v_mul_f64_e32 v[65:66], v[105:106], v[65:66]
	scratch_load_b128 v[83:86], off, off offset:336
	v_add_f64_e32 v[6:7], v[6:7], v[97:98]
	v_add_f64_e32 v[2:3], v[2:3], v[95:96]
	ds_load_b128 v[95:98], v1 offset:544
	s_wait_loadcnt_dscnt 0x901
	v_mul_f64_e32 v[113:114], v[59:60], v[69:70]
	v_mul_f64_e32 v[69:70], v[61:62], v[69:70]
	v_fma_f64 v[105:106], v[105:106], v[63:64], v[107:108]
	v_fma_f64 v[63:64], v[103:104], v[63:64], -v[65:66]
	s_wait_loadcnt_dscnt 0x800
	v_mul_f64_e32 v[103:104], v[95:96], v[73:74]
	v_mul_f64_e32 v[73:74], v[97:98], v[73:74]
	v_add_f64_e32 v[6:7], v[6:7], v[109:110]
	v_add_f64_e32 v[2:3], v[2:3], v[111:112]
	v_fma_f64 v[107:108], v[61:62], v[67:68], v[113:114]
	v_fma_f64 v[67:68], v[59:60], v[67:68], -v[69:70]
	v_fma_f64 v[97:98], v[97:98], v[71:72], v[103:104]
	v_fma_f64 v[71:72], v[95:96], v[71:72], -v[73:74]
	v_add_f64_e32 v[6:7], v[6:7], v[105:106]
	v_add_f64_e32 v[2:3], v[2:3], v[63:64]
	ds_load_b128 v[59:62], v1 offset:560
	ds_load_b128 v[63:66], v1 offset:576
	s_wait_loadcnt_dscnt 0x701
	v_mul_f64_e32 v[69:70], v[59:60], v[77:78]
	v_mul_f64_e32 v[77:78], v[61:62], v[77:78]
	s_wait_loadcnt_dscnt 0x600
	v_mul_f64_e32 v[73:74], v[63:64], v[81:82]
	v_mul_f64_e32 v[81:82], v[65:66], v[81:82]
	v_add_f64_e32 v[6:7], v[6:7], v[107:108]
	v_add_f64_e32 v[2:3], v[2:3], v[67:68]
	v_fma_f64 v[95:96], v[61:62], v[75:76], v[69:70]
	v_fma_f64 v[75:76], v[59:60], v[75:76], -v[77:78]
	ds_load_b128 v[59:62], v1 offset:592
	ds_load_b128 v[67:70], v1 offset:608
	v_fma_f64 v[65:66], v[65:66], v[79:80], v[73:74]
	v_fma_f64 v[63:64], v[63:64], v[79:80], -v[81:82]
	v_add_f64_e32 v[6:7], v[6:7], v[97:98]
	v_add_f64_e32 v[2:3], v[2:3], v[71:72]
	s_wait_loadcnt_dscnt 0x501
	v_mul_f64_e32 v[71:72], v[59:60], v[89:90]
	v_mul_f64_e32 v[77:78], v[61:62], v[89:90]
	s_delay_alu instid0(VALU_DEP_4) | instskip(NEXT) | instid1(VALU_DEP_4)
	v_add_f64_e32 v[6:7], v[6:7], v[95:96]
	v_add_f64_e32 v[2:3], v[2:3], v[75:76]
	s_delay_alu instid0(VALU_DEP_4) | instskip(NEXT) | instid1(VALU_DEP_4)
	v_fma_f64 v[71:72], v[61:62], v[87:88], v[71:72]
	v_fma_f64 v[75:76], v[59:60], v[87:88], -v[77:78]
	s_wait_loadcnt_dscnt 0x300
	v_mul_f64_e32 v[73:74], v[67:68], v[10:11]
	v_mul_f64_e32 v[10:11], v[69:70], v[10:11]
	v_add_f64_e32 v[6:7], v[6:7], v[65:66]
	v_add_f64_e32 v[2:3], v[2:3], v[63:64]
	ds_load_b128 v[59:62], v1 offset:624
	ds_load_b128 v[63:66], v1 offset:640
	v_fma_f64 v[69:70], v[69:70], v[8:9], v[73:74]
	v_fma_f64 v[8:9], v[67:68], v[8:9], -v[10:11]
	s_wait_loadcnt_dscnt 0x201
	v_mul_f64_e32 v[77:78], v[59:60], v[101:102]
	v_mul_f64_e32 v[79:80], v[61:62], v[101:102]
	v_add_f64_e32 v[6:7], v[6:7], v[71:72]
	v_add_f64_e32 v[2:3], v[2:3], v[75:76]
	s_wait_loadcnt_dscnt 0x100
	v_mul_f64_e32 v[10:11], v[63:64], v[57:58]
	v_mul_f64_e32 v[57:58], v[65:66], v[57:58]
	v_fma_f64 v[61:62], v[61:62], v[99:100], v[77:78]
	v_fma_f64 v[59:60], v[59:60], v[99:100], -v[79:80]
	v_add_f64_e32 v[67:68], v[6:7], v[69:70]
	v_add_f64_e32 v[2:3], v[2:3], v[8:9]
	ds_load_b128 v[6:9], v1 offset:656
	v_fma_f64 v[10:11], v[65:66], v[55:56], v[10:11]
	v_fma_f64 v[55:56], v[63:64], v[55:56], -v[57:58]
	s_wait_loadcnt_dscnt 0x0
	v_mul_f64_e32 v[69:70], v[6:7], v[85:86]
	v_mul_f64_e32 v[71:72], v[8:9], v[85:86]
	v_add_f64_e32 v[57:58], v[67:68], v[61:62]
	v_add_f64_e32 v[2:3], v[2:3], v[59:60]
	s_delay_alu instid0(VALU_DEP_4) | instskip(NEXT) | instid1(VALU_DEP_4)
	v_fma_f64 v[8:9], v[8:9], v[83:84], v[69:70]
	v_fma_f64 v[6:7], v[6:7], v[83:84], -v[71:72]
	s_delay_alu instid0(VALU_DEP_4) | instskip(NEXT) | instid1(VALU_DEP_4)
	v_add_f64_e32 v[10:11], v[57:58], v[10:11]
	v_add_f64_e32 v[2:3], v[2:3], v[55:56]
	s_delay_alu instid0(VALU_DEP_2) | instskip(NEXT) | instid1(VALU_DEP_2)
	v_add_f64_e32 v[8:9], v[10:11], v[8:9]
	v_add_f64_e32 v[2:3], v[2:3], v[6:7]
	s_delay_alu instid0(VALU_DEP_2) | instskip(NEXT) | instid1(VALU_DEP_2)
	v_add_f64_e64 v[8:9], v[93:94], -v[8:9]
	v_add_f64_e64 v[6:7], v[91:92], -v[2:3]
	scratch_store_b128 off, v[6:9], off offset:128
	v_cmpx_lt_u32_e32 6, v0
	s_cbranch_execz .LBB20_127
; %bb.126:
	scratch_load_b128 v[6:9], off, s11
	v_dual_mov_b32 v2, v1 :: v_dual_mov_b32 v3, v1
	v_mov_b32_e32 v4, v1
	scratch_store_b128 off, v[1:4], off offset:112
	s_wait_loadcnt 0x0
	ds_store_b128 v5, v[6:9]
.LBB20_127:
	s_wait_alu 0xfffe
	s_or_b32 exec_lo, exec_lo, s0
	s_wait_storecnt_dscnt 0x0
	s_barrier_signal -1
	s_barrier_wait -1
	global_inv scope:SCOPE_SE
	s_clause 0x8
	scratch_load_b128 v[6:9], off, off offset:128
	scratch_load_b128 v[55:58], off, off offset:144
	;; [unrolled: 1-line block ×9, first 2 shown]
	ds_load_b128 v[87:90], v1 offset:448
	ds_load_b128 v[91:94], v1 offset:464
	scratch_load_b128 v[95:98], off, off offset:112
	s_mov_b32 s0, exec_lo
	ds_load_b128 v[103:106], v1 offset:496
	s_wait_loadcnt_dscnt 0x902
	v_mul_f64_e32 v[2:3], v[89:90], v[8:9]
	v_mul_f64_e32 v[99:100], v[87:88], v[8:9]
	scratch_load_b128 v[8:11], off, off offset:272
	s_wait_loadcnt_dscnt 0x901
	v_mul_f64_e32 v[107:108], v[91:92], v[57:58]
	v_mul_f64_e32 v[57:58], v[93:94], v[57:58]
	v_fma_f64 v[2:3], v[87:88], v[6:7], -v[2:3]
	v_fma_f64 v[6:7], v[89:90], v[6:7], v[99:100]
	ds_load_b128 v[87:90], v1 offset:480
	scratch_load_b128 v[99:102], off, off offset:288
	v_fma_f64 v[93:94], v[93:94], v[55:56], v[107:108]
	v_fma_f64 v[91:92], v[91:92], v[55:56], -v[57:58]
	scratch_load_b128 v[55:58], off, off offset:304
	s_wait_loadcnt_dscnt 0x901
	v_mul_f64_e32 v[107:108], v[103:104], v[65:66]
	v_mul_f64_e32 v[65:66], v[105:106], v[65:66]
	s_wait_dscnt 0x0
	v_mul_f64_e32 v[109:110], v[87:88], v[61:62]
	v_mul_f64_e32 v[61:62], v[89:90], v[61:62]
	v_add_f64_e32 v[2:3], 0, v[2:3]
	v_add_f64_e32 v[6:7], 0, v[6:7]
	v_fma_f64 v[105:106], v[105:106], v[63:64], v[107:108]
	v_fma_f64 v[103:104], v[103:104], v[63:64], -v[65:66]
	scratch_load_b128 v[63:66], off, off offset:336
	v_fma_f64 v[109:110], v[89:90], v[59:60], v[109:110]
	v_fma_f64 v[111:112], v[87:88], v[59:60], -v[61:62]
	ds_load_b128 v[59:62], v1 offset:512
	scratch_load_b128 v[87:90], off, off offset:320
	v_add_f64_e32 v[2:3], v[2:3], v[91:92]
	v_add_f64_e32 v[6:7], v[6:7], v[93:94]
	ds_load_b128 v[91:94], v1 offset:528
	s_wait_loadcnt_dscnt 0xa01
	v_mul_f64_e32 v[113:114], v[59:60], v[69:70]
	v_mul_f64_e32 v[69:70], v[61:62], v[69:70]
	s_wait_loadcnt_dscnt 0x900
	v_mul_f64_e32 v[107:108], v[91:92], v[73:74]
	v_mul_f64_e32 v[73:74], v[93:94], v[73:74]
	v_add_f64_e32 v[2:3], v[2:3], v[111:112]
	v_add_f64_e32 v[6:7], v[6:7], v[109:110]
	v_fma_f64 v[109:110], v[61:62], v[67:68], v[113:114]
	v_fma_f64 v[111:112], v[59:60], v[67:68], -v[69:70]
	ds_load_b128 v[59:62], v1 offset:544
	ds_load_b128 v[67:70], v1 offset:560
	v_fma_f64 v[93:94], v[93:94], v[71:72], v[107:108]
	v_fma_f64 v[71:72], v[91:92], v[71:72], -v[73:74]
	s_wait_loadcnt_dscnt 0x700
	v_mul_f64_e32 v[91:92], v[67:68], v[81:82]
	v_mul_f64_e32 v[81:82], v[69:70], v[81:82]
	v_add_f64_e32 v[2:3], v[2:3], v[103:104]
	v_add_f64_e32 v[6:7], v[6:7], v[105:106]
	v_mul_f64_e32 v[103:104], v[59:60], v[77:78]
	v_mul_f64_e32 v[77:78], v[61:62], v[77:78]
	v_fma_f64 v[69:70], v[69:70], v[79:80], v[91:92]
	v_fma_f64 v[67:68], v[67:68], v[79:80], -v[81:82]
	v_add_f64_e32 v[2:3], v[2:3], v[111:112]
	v_add_f64_e32 v[6:7], v[6:7], v[109:110]
	v_fma_f64 v[103:104], v[61:62], v[75:76], v[103:104]
	v_fma_f64 v[75:76], v[59:60], v[75:76], -v[77:78]
	s_delay_alu instid0(VALU_DEP_4) | instskip(NEXT) | instid1(VALU_DEP_4)
	v_add_f64_e32 v[2:3], v[2:3], v[71:72]
	v_add_f64_e32 v[6:7], v[6:7], v[93:94]
	ds_load_b128 v[59:62], v1 offset:576
	ds_load_b128 v[71:74], v1 offset:592
	s_wait_loadcnt_dscnt 0x601
	v_mul_f64_e32 v[77:78], v[59:60], v[85:86]
	v_mul_f64_e32 v[85:86], v[61:62], v[85:86]
	v_add_f64_e32 v[2:3], v[2:3], v[75:76]
	v_add_f64_e32 v[6:7], v[6:7], v[103:104]
	s_wait_loadcnt_dscnt 0x400
	v_mul_f64_e32 v[75:76], v[71:72], v[10:11]
	v_mul_f64_e32 v[10:11], v[73:74], v[10:11]
	v_fma_f64 v[77:78], v[61:62], v[83:84], v[77:78]
	v_fma_f64 v[79:80], v[59:60], v[83:84], -v[85:86]
	v_add_f64_e32 v[2:3], v[2:3], v[67:68]
	v_add_f64_e32 v[6:7], v[6:7], v[69:70]
	ds_load_b128 v[59:62], v1 offset:608
	ds_load_b128 v[67:70], v1 offset:624
	v_fma_f64 v[73:74], v[73:74], v[8:9], v[75:76]
	v_fma_f64 v[8:9], v[71:72], v[8:9], -v[10:11]
	s_wait_loadcnt_dscnt 0x301
	v_mul_f64_e32 v[81:82], v[59:60], v[101:102]
	v_mul_f64_e32 v[83:84], v[61:62], v[101:102]
	s_wait_loadcnt_dscnt 0x200
	v_mul_f64_e32 v[10:11], v[67:68], v[57:58]
	v_mul_f64_e32 v[57:58], v[69:70], v[57:58]
	v_add_f64_e32 v[2:3], v[2:3], v[79:80]
	v_add_f64_e32 v[6:7], v[6:7], v[77:78]
	v_fma_f64 v[61:62], v[61:62], v[99:100], v[81:82]
	v_fma_f64 v[59:60], v[59:60], v[99:100], -v[83:84]
	v_fma_f64 v[10:11], v[69:70], v[55:56], v[10:11]
	v_fma_f64 v[55:56], v[67:68], v[55:56], -v[57:58]
	v_add_f64_e32 v[71:72], v[2:3], v[8:9]
	v_add_f64_e32 v[73:74], v[6:7], v[73:74]
	ds_load_b128 v[6:9], v1 offset:640
	ds_load_b128 v[1:4], v1 offset:656
	s_wait_loadcnt_dscnt 0x1
	v_mul_f64_e32 v[75:76], v[6:7], v[89:90]
	v_mul_f64_e32 v[77:78], v[8:9], v[89:90]
	v_add_f64_e32 v[57:58], v[71:72], v[59:60]
	v_add_f64_e32 v[59:60], v[73:74], v[61:62]
	s_wait_dscnt 0x0
	v_mul_f64_e32 v[61:62], v[1:2], v[65:66]
	v_mul_f64_e32 v[65:66], v[3:4], v[65:66]
	v_fma_f64 v[8:9], v[8:9], v[87:88], v[75:76]
	v_fma_f64 v[6:7], v[6:7], v[87:88], -v[77:78]
	v_add_f64_e32 v[55:56], v[57:58], v[55:56]
	v_add_f64_e32 v[10:11], v[59:60], v[10:11]
	v_fma_f64 v[3:4], v[3:4], v[63:64], v[61:62]
	v_fma_f64 v[1:2], v[1:2], v[63:64], -v[65:66]
	s_delay_alu instid0(VALU_DEP_4) | instskip(NEXT) | instid1(VALU_DEP_4)
	v_add_f64_e32 v[6:7], v[55:56], v[6:7]
	v_add_f64_e32 v[8:9], v[10:11], v[8:9]
	s_delay_alu instid0(VALU_DEP_2) | instskip(NEXT) | instid1(VALU_DEP_2)
	v_add_f64_e32 v[1:2], v[6:7], v[1:2]
	v_add_f64_e32 v[3:4], v[8:9], v[3:4]
	s_delay_alu instid0(VALU_DEP_2) | instskip(NEXT) | instid1(VALU_DEP_2)
	v_add_f64_e64 v[1:2], v[95:96], -v[1:2]
	v_add_f64_e64 v[3:4], v[97:98], -v[3:4]
	scratch_store_b128 off, v[1:4], off offset:112
	v_cmpx_lt_u32_e32 5, v0
	s_cbranch_execz .LBB20_129
; %bb.128:
	scratch_load_b128 v[1:4], off, s4
	v_mov_b32_e32 v6, 0
	s_delay_alu instid0(VALU_DEP_1)
	v_dual_mov_b32 v7, v6 :: v_dual_mov_b32 v8, v6
	v_mov_b32_e32 v9, v6
	scratch_store_b128 off, v[6:9], off offset:96
	s_wait_loadcnt 0x0
	ds_store_b128 v5, v[1:4]
.LBB20_129:
	s_wait_alu 0xfffe
	s_or_b32 exec_lo, exec_lo, s0
	s_wait_storecnt_dscnt 0x0
	s_barrier_signal -1
	s_barrier_wait -1
	global_inv scope:SCOPE_SE
	s_clause 0x7
	scratch_load_b128 v[6:9], off, off offset:112
	scratch_load_b128 v[55:58], off, off offset:128
	;; [unrolled: 1-line block ×8, first 2 shown]
	v_mov_b32_e32 v1, 0
	s_mov_b32 s0, exec_lo
	ds_load_b128 v[83:86], v1 offset:432
	s_clause 0x1
	scratch_load_b128 v[87:90], off, off offset:240
	scratch_load_b128 v[91:94], off, off offset:96
	ds_load_b128 v[95:98], v1 offset:448
	ds_load_b128 v[103:106], v1 offset:480
	s_wait_loadcnt_dscnt 0x902
	v_mul_f64_e32 v[2:3], v[85:86], v[8:9]
	v_mul_f64_e32 v[99:100], v[83:84], v[8:9]
	scratch_load_b128 v[8:11], off, off offset:256
	v_fma_f64 v[2:3], v[83:84], v[6:7], -v[2:3]
	v_fma_f64 v[6:7], v[85:86], v[6:7], v[99:100]
	ds_load_b128 v[83:86], v1 offset:464
	s_wait_loadcnt_dscnt 0x902
	v_mul_f64_e32 v[107:108], v[95:96], v[57:58]
	v_mul_f64_e32 v[57:58], v[97:98], v[57:58]
	scratch_load_b128 v[99:102], off, off offset:272
	s_wait_loadcnt_dscnt 0x900
	v_mul_f64_e32 v[109:110], v[83:84], v[61:62]
	v_mul_f64_e32 v[61:62], v[85:86], v[61:62]
	v_add_f64_e32 v[2:3], 0, v[2:3]
	v_add_f64_e32 v[6:7], 0, v[6:7]
	v_fma_f64 v[97:98], v[97:98], v[55:56], v[107:108]
	v_fma_f64 v[95:96], v[95:96], v[55:56], -v[57:58]
	scratch_load_b128 v[55:58], off, off offset:288
	v_fma_f64 v[109:110], v[85:86], v[59:60], v[109:110]
	v_fma_f64 v[111:112], v[83:84], v[59:60], -v[61:62]
	ds_load_b128 v[59:62], v1 offset:496
	s_wait_loadcnt 0x9
	v_mul_f64_e32 v[107:108], v[103:104], v[65:66]
	v_mul_f64_e32 v[65:66], v[105:106], v[65:66]
	scratch_load_b128 v[83:86], off, off offset:304
	v_add_f64_e32 v[6:7], v[6:7], v[97:98]
	v_add_f64_e32 v[2:3], v[2:3], v[95:96]
	ds_load_b128 v[95:98], v1 offset:512
	s_wait_loadcnt_dscnt 0x901
	v_mul_f64_e32 v[113:114], v[59:60], v[69:70]
	v_mul_f64_e32 v[69:70], v[61:62], v[69:70]
	v_fma_f64 v[105:106], v[105:106], v[63:64], v[107:108]
	v_fma_f64 v[103:104], v[103:104], v[63:64], -v[65:66]
	scratch_load_b128 v[63:66], off, off offset:320
	v_add_f64_e32 v[6:7], v[6:7], v[109:110]
	v_add_f64_e32 v[2:3], v[2:3], v[111:112]
	v_fma_f64 v[109:110], v[61:62], v[67:68], v[113:114]
	v_fma_f64 v[111:112], v[59:60], v[67:68], -v[69:70]
	ds_load_b128 v[59:62], v1 offset:528
	s_wait_loadcnt_dscnt 0x901
	v_mul_f64_e32 v[107:108], v[95:96], v[73:74]
	v_mul_f64_e32 v[73:74], v[97:98], v[73:74]
	scratch_load_b128 v[67:70], off, off offset:336
	s_wait_loadcnt_dscnt 0x900
	v_mul_f64_e32 v[113:114], v[59:60], v[77:78]
	v_mul_f64_e32 v[77:78], v[61:62], v[77:78]
	v_add_f64_e32 v[6:7], v[6:7], v[105:106]
	v_add_f64_e32 v[2:3], v[2:3], v[103:104]
	ds_load_b128 v[103:106], v1 offset:544
	v_fma_f64 v[97:98], v[97:98], v[71:72], v[107:108]
	v_fma_f64 v[71:72], v[95:96], v[71:72], -v[73:74]
	s_wait_loadcnt_dscnt 0x800
	v_mul_f64_e32 v[95:96], v[103:104], v[81:82]
	v_mul_f64_e32 v[81:82], v[105:106], v[81:82]
	v_fma_f64 v[107:108], v[61:62], v[75:76], v[113:114]
	v_fma_f64 v[75:76], v[59:60], v[75:76], -v[77:78]
	v_add_f64_e32 v[6:7], v[6:7], v[109:110]
	v_add_f64_e32 v[2:3], v[2:3], v[111:112]
	v_fma_f64 v[95:96], v[105:106], v[79:80], v[95:96]
	v_fma_f64 v[79:80], v[103:104], v[79:80], -v[81:82]
	s_delay_alu instid0(VALU_DEP_4) | instskip(NEXT) | instid1(VALU_DEP_4)
	v_add_f64_e32 v[6:7], v[6:7], v[97:98]
	v_add_f64_e32 v[2:3], v[2:3], v[71:72]
	ds_load_b128 v[59:62], v1 offset:560
	ds_load_b128 v[71:74], v1 offset:576
	s_wait_loadcnt_dscnt 0x701
	v_mul_f64_e32 v[77:78], v[59:60], v[89:90]
	v_mul_f64_e32 v[89:90], v[61:62], v[89:90]
	v_add_f64_e32 v[6:7], v[6:7], v[107:108]
	v_add_f64_e32 v[2:3], v[2:3], v[75:76]
	s_wait_loadcnt_dscnt 0x500
	v_mul_f64_e32 v[81:82], v[71:72], v[10:11]
	v_mul_f64_e32 v[10:11], v[73:74], v[10:11]
	v_fma_f64 v[97:98], v[61:62], v[87:88], v[77:78]
	v_fma_f64 v[87:88], v[59:60], v[87:88], -v[89:90]
	ds_load_b128 v[59:62], v1 offset:592
	ds_load_b128 v[75:78], v1 offset:608
	v_add_f64_e32 v[6:7], v[6:7], v[95:96]
	v_add_f64_e32 v[2:3], v[2:3], v[79:80]
	v_fma_f64 v[73:74], v[73:74], v[8:9], v[81:82]
	v_fma_f64 v[8:9], v[71:72], v[8:9], -v[10:11]
	s_wait_loadcnt_dscnt 0x401
	v_mul_f64_e32 v[79:80], v[59:60], v[101:102]
	v_mul_f64_e32 v[89:90], v[61:62], v[101:102]
	v_add_f64_e32 v[6:7], v[6:7], v[97:98]
	v_add_f64_e32 v[2:3], v[2:3], v[87:88]
	s_wait_loadcnt_dscnt 0x300
	v_mul_f64_e32 v[10:11], v[75:76], v[57:58]
	v_mul_f64_e32 v[71:72], v[77:78], v[57:58]
	v_fma_f64 v[61:62], v[61:62], v[99:100], v[79:80]
	v_fma_f64 v[79:80], v[59:60], v[99:100], -v[89:90]
	v_add_f64_e32 v[73:74], v[6:7], v[73:74]
	v_add_f64_e32 v[2:3], v[2:3], v[8:9]
	ds_load_b128 v[6:9], v1 offset:624
	ds_load_b128 v[57:60], v1 offset:640
	v_fma_f64 v[10:11], v[77:78], v[55:56], v[10:11]
	v_fma_f64 v[55:56], v[75:76], v[55:56], -v[71:72]
	s_wait_loadcnt_dscnt 0x201
	v_mul_f64_e32 v[81:82], v[6:7], v[85:86]
	v_mul_f64_e32 v[85:86], v[8:9], v[85:86]
	v_add_f64_e32 v[61:62], v[73:74], v[61:62]
	v_add_f64_e32 v[2:3], v[2:3], v[79:80]
	s_wait_loadcnt_dscnt 0x100
	v_mul_f64_e32 v[71:72], v[57:58], v[65:66]
	v_mul_f64_e32 v[65:66], v[59:60], v[65:66]
	v_fma_f64 v[73:74], v[8:9], v[83:84], v[81:82]
	v_fma_f64 v[75:76], v[6:7], v[83:84], -v[85:86]
	ds_load_b128 v[6:9], v1 offset:656
	v_add_f64_e32 v[10:11], v[61:62], v[10:11]
	v_add_f64_e32 v[2:3], v[2:3], v[55:56]
	v_fma_f64 v[59:60], v[59:60], v[63:64], v[71:72]
	v_fma_f64 v[57:58], v[57:58], v[63:64], -v[65:66]
	s_wait_loadcnt_dscnt 0x0
	v_mul_f64_e32 v[55:56], v[6:7], v[69:70]
	v_mul_f64_e32 v[61:62], v[8:9], v[69:70]
	v_add_f64_e32 v[10:11], v[10:11], v[73:74]
	v_add_f64_e32 v[2:3], v[2:3], v[75:76]
	s_delay_alu instid0(VALU_DEP_4) | instskip(NEXT) | instid1(VALU_DEP_4)
	v_fma_f64 v[8:9], v[8:9], v[67:68], v[55:56]
	v_fma_f64 v[6:7], v[6:7], v[67:68], -v[61:62]
	s_delay_alu instid0(VALU_DEP_4) | instskip(NEXT) | instid1(VALU_DEP_4)
	v_add_f64_e32 v[10:11], v[10:11], v[59:60]
	v_add_f64_e32 v[2:3], v[2:3], v[57:58]
	s_delay_alu instid0(VALU_DEP_2) | instskip(NEXT) | instid1(VALU_DEP_2)
	v_add_f64_e32 v[8:9], v[10:11], v[8:9]
	v_add_f64_e32 v[2:3], v[2:3], v[6:7]
	s_delay_alu instid0(VALU_DEP_2) | instskip(NEXT) | instid1(VALU_DEP_2)
	v_add_f64_e64 v[8:9], v[93:94], -v[8:9]
	v_add_f64_e64 v[6:7], v[91:92], -v[2:3]
	scratch_store_b128 off, v[6:9], off offset:96
	v_cmpx_lt_u32_e32 4, v0
	s_cbranch_execz .LBB20_131
; %bb.130:
	scratch_load_b128 v[6:9], off, s10
	v_dual_mov_b32 v2, v1 :: v_dual_mov_b32 v3, v1
	v_mov_b32_e32 v4, v1
	scratch_store_b128 off, v[1:4], off offset:80
	s_wait_loadcnt 0x0
	ds_store_b128 v5, v[6:9]
.LBB20_131:
	s_wait_alu 0xfffe
	s_or_b32 exec_lo, exec_lo, s0
	s_wait_storecnt_dscnt 0x0
	s_barrier_signal -1
	s_barrier_wait -1
	global_inv scope:SCOPE_SE
	s_clause 0x8
	scratch_load_b128 v[6:9], off, off offset:96
	scratch_load_b128 v[55:58], off, off offset:112
	;; [unrolled: 1-line block ×9, first 2 shown]
	ds_load_b128 v[87:90], v1 offset:416
	ds_load_b128 v[91:94], v1 offset:432
	scratch_load_b128 v[95:98], off, off offset:80
	s_mov_b32 s0, exec_lo
	ds_load_b128 v[103:106], v1 offset:464
	s_wait_loadcnt_dscnt 0x902
	v_mul_f64_e32 v[2:3], v[89:90], v[8:9]
	v_mul_f64_e32 v[99:100], v[87:88], v[8:9]
	scratch_load_b128 v[8:11], off, off offset:240
	s_wait_loadcnt_dscnt 0x901
	v_mul_f64_e32 v[107:108], v[91:92], v[57:58]
	v_mul_f64_e32 v[57:58], v[93:94], v[57:58]
	v_fma_f64 v[2:3], v[87:88], v[6:7], -v[2:3]
	v_fma_f64 v[6:7], v[89:90], v[6:7], v[99:100]
	ds_load_b128 v[87:90], v1 offset:448
	scratch_load_b128 v[99:102], off, off offset:256
	v_fma_f64 v[93:94], v[93:94], v[55:56], v[107:108]
	v_fma_f64 v[91:92], v[91:92], v[55:56], -v[57:58]
	scratch_load_b128 v[55:58], off, off offset:272
	s_wait_loadcnt_dscnt 0x901
	v_mul_f64_e32 v[107:108], v[103:104], v[65:66]
	v_mul_f64_e32 v[65:66], v[105:106], v[65:66]
	s_wait_dscnt 0x0
	v_mul_f64_e32 v[109:110], v[87:88], v[61:62]
	v_mul_f64_e32 v[61:62], v[89:90], v[61:62]
	v_add_f64_e32 v[2:3], 0, v[2:3]
	v_add_f64_e32 v[6:7], 0, v[6:7]
	v_fma_f64 v[105:106], v[105:106], v[63:64], v[107:108]
	v_fma_f64 v[103:104], v[103:104], v[63:64], -v[65:66]
	scratch_load_b128 v[63:66], off, off offset:304
	v_fma_f64 v[109:110], v[89:90], v[59:60], v[109:110]
	v_fma_f64 v[111:112], v[87:88], v[59:60], -v[61:62]
	ds_load_b128 v[59:62], v1 offset:480
	scratch_load_b128 v[87:90], off, off offset:288
	v_add_f64_e32 v[2:3], v[2:3], v[91:92]
	v_add_f64_e32 v[6:7], v[6:7], v[93:94]
	ds_load_b128 v[91:94], v1 offset:496
	s_wait_loadcnt_dscnt 0xa01
	v_mul_f64_e32 v[113:114], v[59:60], v[69:70]
	v_mul_f64_e32 v[69:70], v[61:62], v[69:70]
	s_wait_loadcnt_dscnt 0x900
	v_mul_f64_e32 v[107:108], v[91:92], v[73:74]
	v_mul_f64_e32 v[73:74], v[93:94], v[73:74]
	v_add_f64_e32 v[2:3], v[2:3], v[111:112]
	v_add_f64_e32 v[6:7], v[6:7], v[109:110]
	v_fma_f64 v[109:110], v[61:62], v[67:68], v[113:114]
	v_fma_f64 v[111:112], v[59:60], v[67:68], -v[69:70]
	ds_load_b128 v[59:62], v1 offset:512
	scratch_load_b128 v[67:70], off, off offset:320
	v_fma_f64 v[93:94], v[93:94], v[71:72], v[107:108]
	v_fma_f64 v[91:92], v[91:92], v[71:72], -v[73:74]
	scratch_load_b128 v[71:74], off, off offset:336
	v_add_f64_e32 v[2:3], v[2:3], v[103:104]
	v_add_f64_e32 v[6:7], v[6:7], v[105:106]
	ds_load_b128 v[103:106], v1 offset:528
	s_wait_loadcnt_dscnt 0xa01
	v_mul_f64_e32 v[113:114], v[59:60], v[77:78]
	v_mul_f64_e32 v[77:78], v[61:62], v[77:78]
	s_wait_loadcnt_dscnt 0x900
	v_mul_f64_e32 v[107:108], v[103:104], v[81:82]
	v_mul_f64_e32 v[81:82], v[105:106], v[81:82]
	v_add_f64_e32 v[2:3], v[2:3], v[111:112]
	v_add_f64_e32 v[6:7], v[6:7], v[109:110]
	v_fma_f64 v[109:110], v[61:62], v[75:76], v[113:114]
	v_fma_f64 v[111:112], v[59:60], v[75:76], -v[77:78]
	ds_load_b128 v[59:62], v1 offset:544
	ds_load_b128 v[75:78], v1 offset:560
	v_add_f64_e32 v[2:3], v[2:3], v[91:92]
	v_add_f64_e32 v[6:7], v[6:7], v[93:94]
	s_wait_loadcnt_dscnt 0x801
	v_mul_f64_e32 v[91:92], v[59:60], v[85:86]
	v_mul_f64_e32 v[85:86], v[61:62], v[85:86]
	v_fma_f64 v[93:94], v[105:106], v[79:80], v[107:108]
	v_fma_f64 v[79:80], v[103:104], v[79:80], -v[81:82]
	v_add_f64_e32 v[2:3], v[2:3], v[111:112]
	v_add_f64_e32 v[6:7], v[6:7], v[109:110]
	v_fma_f64 v[91:92], v[61:62], v[83:84], v[91:92]
	v_fma_f64 v[83:84], v[59:60], v[83:84], -v[85:86]
	s_wait_loadcnt_dscnt 0x600
	v_mul_f64_e32 v[103:104], v[75:76], v[10:11]
	v_mul_f64_e32 v[10:11], v[77:78], v[10:11]
	v_add_f64_e32 v[2:3], v[2:3], v[79:80]
	v_add_f64_e32 v[6:7], v[6:7], v[93:94]
	ds_load_b128 v[59:62], v1 offset:576
	ds_load_b128 v[79:82], v1 offset:592
	v_fma_f64 v[77:78], v[77:78], v[8:9], v[103:104]
	v_fma_f64 v[8:9], v[75:76], v[8:9], -v[10:11]
	s_wait_loadcnt_dscnt 0x501
	v_mul_f64_e32 v[85:86], v[59:60], v[101:102]
	v_mul_f64_e32 v[93:94], v[61:62], v[101:102]
	s_wait_loadcnt_dscnt 0x400
	v_mul_f64_e32 v[10:11], v[79:80], v[57:58]
	v_mul_f64_e32 v[75:76], v[81:82], v[57:58]
	v_add_f64_e32 v[2:3], v[2:3], v[83:84]
	v_add_f64_e32 v[6:7], v[6:7], v[91:92]
	v_fma_f64 v[61:62], v[61:62], v[99:100], v[85:86]
	v_fma_f64 v[83:84], v[59:60], v[99:100], -v[93:94]
	v_fma_f64 v[10:11], v[81:82], v[55:56], v[10:11]
	v_fma_f64 v[55:56], v[79:80], v[55:56], -v[75:76]
	v_add_f64_e32 v[2:3], v[2:3], v[8:9]
	v_add_f64_e32 v[77:78], v[6:7], v[77:78]
	ds_load_b128 v[6:9], v1 offset:608
	ds_load_b128 v[57:60], v1 offset:624
	s_wait_loadcnt_dscnt 0x201
	v_mul_f64_e32 v[85:86], v[6:7], v[89:90]
	v_mul_f64_e32 v[89:90], v[8:9], v[89:90]
	s_wait_dscnt 0x0
	v_mul_f64_e32 v[75:76], v[57:58], v[65:66]
	v_mul_f64_e32 v[65:66], v[59:60], v[65:66]
	v_add_f64_e32 v[2:3], v[2:3], v[83:84]
	v_add_f64_e32 v[61:62], v[77:78], v[61:62]
	v_fma_f64 v[77:78], v[8:9], v[87:88], v[85:86]
	v_fma_f64 v[79:80], v[6:7], v[87:88], -v[89:90]
	v_fma_f64 v[59:60], v[59:60], v[63:64], v[75:76]
	v_fma_f64 v[57:58], v[57:58], v[63:64], -v[65:66]
	v_add_f64_e32 v[55:56], v[2:3], v[55:56]
	v_add_f64_e32 v[10:11], v[61:62], v[10:11]
	ds_load_b128 v[6:9], v1 offset:640
	ds_load_b128 v[1:4], v1 offset:656
	s_wait_loadcnt_dscnt 0x101
	v_mul_f64_e32 v[61:62], v[6:7], v[69:70]
	v_mul_f64_e32 v[69:70], v[8:9], v[69:70]
	s_wait_loadcnt_dscnt 0x0
	v_mul_f64_e32 v[63:64], v[1:2], v[73:74]
	v_mul_f64_e32 v[65:66], v[3:4], v[73:74]
	v_add_f64_e32 v[55:56], v[55:56], v[79:80]
	v_add_f64_e32 v[10:11], v[10:11], v[77:78]
	v_fma_f64 v[8:9], v[8:9], v[67:68], v[61:62]
	v_fma_f64 v[6:7], v[6:7], v[67:68], -v[69:70]
	v_fma_f64 v[3:4], v[3:4], v[71:72], v[63:64]
	v_fma_f64 v[1:2], v[1:2], v[71:72], -v[65:66]
	v_add_f64_e32 v[55:56], v[55:56], v[57:58]
	v_add_f64_e32 v[10:11], v[10:11], v[59:60]
	s_delay_alu instid0(VALU_DEP_2) | instskip(NEXT) | instid1(VALU_DEP_2)
	v_add_f64_e32 v[6:7], v[55:56], v[6:7]
	v_add_f64_e32 v[8:9], v[10:11], v[8:9]
	s_delay_alu instid0(VALU_DEP_2) | instskip(NEXT) | instid1(VALU_DEP_2)
	;; [unrolled: 3-line block ×3, first 2 shown]
	v_add_f64_e64 v[1:2], v[95:96], -v[1:2]
	v_add_f64_e64 v[3:4], v[97:98], -v[3:4]
	scratch_store_b128 off, v[1:4], off offset:80
	v_cmpx_lt_u32_e32 3, v0
	s_cbranch_execz .LBB20_133
; %bb.132:
	scratch_load_b128 v[1:4], off, s9
	v_mov_b32_e32 v6, 0
	s_delay_alu instid0(VALU_DEP_1)
	v_dual_mov_b32 v7, v6 :: v_dual_mov_b32 v8, v6
	v_mov_b32_e32 v9, v6
	scratch_store_b128 off, v[6:9], off offset:64
	s_wait_loadcnt 0x0
	ds_store_b128 v5, v[1:4]
.LBB20_133:
	s_wait_alu 0xfffe
	s_or_b32 exec_lo, exec_lo, s0
	s_wait_storecnt_dscnt 0x0
	s_barrier_signal -1
	s_barrier_wait -1
	global_inv scope:SCOPE_SE
	s_clause 0x7
	scratch_load_b128 v[6:9], off, off offset:80
	scratch_load_b128 v[55:58], off, off offset:96
	scratch_load_b128 v[59:62], off, off offset:112
	scratch_load_b128 v[63:66], off, off offset:128
	scratch_load_b128 v[67:70], off, off offset:144
	scratch_load_b128 v[71:74], off, off offset:160
	scratch_load_b128 v[75:78], off, off offset:176
	scratch_load_b128 v[79:82], off, off offset:192
	v_mov_b32_e32 v1, 0
	s_mov_b32 s0, exec_lo
	ds_load_b128 v[83:86], v1 offset:400
	s_clause 0x1
	scratch_load_b128 v[87:90], off, off offset:208
	scratch_load_b128 v[91:94], off, off offset:64
	ds_load_b128 v[95:98], v1 offset:416
	ds_load_b128 v[103:106], v1 offset:448
	s_wait_loadcnt_dscnt 0x902
	v_mul_f64_e32 v[2:3], v[85:86], v[8:9]
	v_mul_f64_e32 v[99:100], v[83:84], v[8:9]
	scratch_load_b128 v[8:11], off, off offset:224
	v_fma_f64 v[2:3], v[83:84], v[6:7], -v[2:3]
	v_fma_f64 v[6:7], v[85:86], v[6:7], v[99:100]
	ds_load_b128 v[83:86], v1 offset:432
	s_wait_loadcnt_dscnt 0x902
	v_mul_f64_e32 v[107:108], v[95:96], v[57:58]
	v_mul_f64_e32 v[57:58], v[97:98], v[57:58]
	scratch_load_b128 v[99:102], off, off offset:240
	s_wait_loadcnt_dscnt 0x900
	v_mul_f64_e32 v[109:110], v[83:84], v[61:62]
	v_mul_f64_e32 v[61:62], v[85:86], v[61:62]
	v_add_f64_e32 v[2:3], 0, v[2:3]
	v_add_f64_e32 v[6:7], 0, v[6:7]
	v_fma_f64 v[97:98], v[97:98], v[55:56], v[107:108]
	v_fma_f64 v[95:96], v[95:96], v[55:56], -v[57:58]
	scratch_load_b128 v[55:58], off, off offset:256
	v_fma_f64 v[109:110], v[85:86], v[59:60], v[109:110]
	v_fma_f64 v[111:112], v[83:84], v[59:60], -v[61:62]
	ds_load_b128 v[59:62], v1 offset:464
	s_wait_loadcnt 0x9
	v_mul_f64_e32 v[107:108], v[103:104], v[65:66]
	v_mul_f64_e32 v[65:66], v[105:106], v[65:66]
	scratch_load_b128 v[83:86], off, off offset:272
	v_add_f64_e32 v[6:7], v[6:7], v[97:98]
	v_add_f64_e32 v[2:3], v[2:3], v[95:96]
	ds_load_b128 v[95:98], v1 offset:480
	s_wait_loadcnt_dscnt 0x901
	v_mul_f64_e32 v[113:114], v[59:60], v[69:70]
	v_mul_f64_e32 v[69:70], v[61:62], v[69:70]
	v_fma_f64 v[105:106], v[105:106], v[63:64], v[107:108]
	v_fma_f64 v[103:104], v[103:104], v[63:64], -v[65:66]
	scratch_load_b128 v[63:66], off, off offset:288
	v_add_f64_e32 v[6:7], v[6:7], v[109:110]
	v_add_f64_e32 v[2:3], v[2:3], v[111:112]
	v_fma_f64 v[109:110], v[61:62], v[67:68], v[113:114]
	v_fma_f64 v[111:112], v[59:60], v[67:68], -v[69:70]
	ds_load_b128 v[59:62], v1 offset:496
	s_wait_loadcnt_dscnt 0x901
	v_mul_f64_e32 v[107:108], v[95:96], v[73:74]
	v_mul_f64_e32 v[73:74], v[97:98], v[73:74]
	scratch_load_b128 v[67:70], off, off offset:304
	s_wait_loadcnt_dscnt 0x900
	v_mul_f64_e32 v[113:114], v[59:60], v[77:78]
	v_mul_f64_e32 v[77:78], v[61:62], v[77:78]
	v_add_f64_e32 v[6:7], v[6:7], v[105:106]
	v_add_f64_e32 v[2:3], v[2:3], v[103:104]
	ds_load_b128 v[103:106], v1 offset:512
	v_fma_f64 v[97:98], v[97:98], v[71:72], v[107:108]
	v_fma_f64 v[95:96], v[95:96], v[71:72], -v[73:74]
	scratch_load_b128 v[71:74], off, off offset:320
	v_add_f64_e32 v[6:7], v[6:7], v[109:110]
	v_add_f64_e32 v[2:3], v[2:3], v[111:112]
	v_fma_f64 v[109:110], v[61:62], v[75:76], v[113:114]
	v_fma_f64 v[111:112], v[59:60], v[75:76], -v[77:78]
	ds_load_b128 v[59:62], v1 offset:528
	s_wait_loadcnt_dscnt 0x901
	v_mul_f64_e32 v[107:108], v[103:104], v[81:82]
	v_mul_f64_e32 v[81:82], v[105:106], v[81:82]
	scratch_load_b128 v[75:78], off, off offset:336
	s_wait_loadcnt_dscnt 0x900
	v_mul_f64_e32 v[113:114], v[59:60], v[89:90]
	v_mul_f64_e32 v[89:90], v[61:62], v[89:90]
	v_add_f64_e32 v[6:7], v[6:7], v[97:98]
	v_add_f64_e32 v[2:3], v[2:3], v[95:96]
	ds_load_b128 v[95:98], v1 offset:544
	v_fma_f64 v[105:106], v[105:106], v[79:80], v[107:108]
	v_fma_f64 v[79:80], v[103:104], v[79:80], -v[81:82]
	v_fma_f64 v[107:108], v[61:62], v[87:88], v[113:114]
	v_fma_f64 v[87:88], v[59:60], v[87:88], -v[89:90]
	v_add_f64_e32 v[6:7], v[6:7], v[109:110]
	v_add_f64_e32 v[2:3], v[2:3], v[111:112]
	s_wait_loadcnt_dscnt 0x700
	v_mul_f64_e32 v[103:104], v[95:96], v[10:11]
	v_mul_f64_e32 v[10:11], v[97:98], v[10:11]
	s_delay_alu instid0(VALU_DEP_4) | instskip(NEXT) | instid1(VALU_DEP_4)
	v_add_f64_e32 v[6:7], v[6:7], v[105:106]
	v_add_f64_e32 v[2:3], v[2:3], v[79:80]
	ds_load_b128 v[59:62], v1 offset:560
	ds_load_b128 v[79:82], v1 offset:576
	v_fma_f64 v[97:98], v[97:98], v[8:9], v[103:104]
	v_fma_f64 v[8:9], v[95:96], v[8:9], -v[10:11]
	s_wait_loadcnt_dscnt 0x601
	v_mul_f64_e32 v[89:90], v[59:60], v[101:102]
	v_mul_f64_e32 v[101:102], v[61:62], v[101:102]
	v_add_f64_e32 v[6:7], v[6:7], v[107:108]
	v_add_f64_e32 v[2:3], v[2:3], v[87:88]
	s_wait_loadcnt_dscnt 0x500
	v_mul_f64_e32 v[10:11], v[79:80], v[57:58]
	v_mul_f64_e32 v[87:88], v[81:82], v[57:58]
	v_fma_f64 v[61:62], v[61:62], v[99:100], v[89:90]
	v_fma_f64 v[89:90], v[59:60], v[99:100], -v[101:102]
	v_add_f64_e32 v[95:96], v[6:7], v[97:98]
	v_add_f64_e32 v[2:3], v[2:3], v[8:9]
	ds_load_b128 v[6:9], v1 offset:592
	ds_load_b128 v[57:60], v1 offset:608
	v_fma_f64 v[10:11], v[81:82], v[55:56], v[10:11]
	v_fma_f64 v[55:56], v[79:80], v[55:56], -v[87:88]
	s_wait_loadcnt_dscnt 0x401
	v_mul_f64_e32 v[97:98], v[6:7], v[85:86]
	v_mul_f64_e32 v[85:86], v[8:9], v[85:86]
	v_add_f64_e32 v[61:62], v[95:96], v[61:62]
	v_add_f64_e32 v[2:3], v[2:3], v[89:90]
	s_wait_loadcnt_dscnt 0x300
	v_mul_f64_e32 v[87:88], v[57:58], v[65:66]
	v_mul_f64_e32 v[65:66], v[59:60], v[65:66]
	v_fma_f64 v[89:90], v[8:9], v[83:84], v[97:98]
	v_fma_f64 v[83:84], v[6:7], v[83:84], -v[85:86]
	ds_load_b128 v[6:9], v1 offset:624
	ds_load_b128 v[79:82], v1 offset:640
	v_add_f64_e32 v[10:11], v[61:62], v[10:11]
	v_add_f64_e32 v[2:3], v[2:3], v[55:56]
	v_fma_f64 v[59:60], v[59:60], v[63:64], v[87:88]
	v_fma_f64 v[57:58], v[57:58], v[63:64], -v[65:66]
	s_wait_loadcnt_dscnt 0x201
	v_mul_f64_e32 v[55:56], v[6:7], v[69:70]
	v_mul_f64_e32 v[61:62], v[8:9], v[69:70]
	s_wait_loadcnt_dscnt 0x100
	v_mul_f64_e32 v[63:64], v[79:80], v[73:74]
	v_mul_f64_e32 v[65:66], v[81:82], v[73:74]
	v_add_f64_e32 v[10:11], v[10:11], v[89:90]
	v_add_f64_e32 v[2:3], v[2:3], v[83:84]
	v_fma_f64 v[55:56], v[8:9], v[67:68], v[55:56]
	v_fma_f64 v[61:62], v[6:7], v[67:68], -v[61:62]
	ds_load_b128 v[6:9], v1 offset:656
	v_fma_f64 v[63:64], v[81:82], v[71:72], v[63:64]
	v_fma_f64 v[65:66], v[79:80], v[71:72], -v[65:66]
	v_add_f64_e32 v[10:11], v[10:11], v[59:60]
	v_add_f64_e32 v[2:3], v[2:3], v[57:58]
	s_wait_loadcnt_dscnt 0x0
	v_mul_f64_e32 v[57:58], v[6:7], v[77:78]
	v_mul_f64_e32 v[59:60], v[8:9], v[77:78]
	s_delay_alu instid0(VALU_DEP_4) | instskip(NEXT) | instid1(VALU_DEP_4)
	v_add_f64_e32 v[10:11], v[10:11], v[55:56]
	v_add_f64_e32 v[2:3], v[2:3], v[61:62]
	s_delay_alu instid0(VALU_DEP_4) | instskip(NEXT) | instid1(VALU_DEP_4)
	v_fma_f64 v[8:9], v[8:9], v[75:76], v[57:58]
	v_fma_f64 v[6:7], v[6:7], v[75:76], -v[59:60]
	s_delay_alu instid0(VALU_DEP_4) | instskip(NEXT) | instid1(VALU_DEP_4)
	v_add_f64_e32 v[10:11], v[10:11], v[63:64]
	v_add_f64_e32 v[2:3], v[2:3], v[65:66]
	s_delay_alu instid0(VALU_DEP_2) | instskip(NEXT) | instid1(VALU_DEP_2)
	v_add_f64_e32 v[8:9], v[10:11], v[8:9]
	v_add_f64_e32 v[2:3], v[2:3], v[6:7]
	s_delay_alu instid0(VALU_DEP_2) | instskip(NEXT) | instid1(VALU_DEP_2)
	v_add_f64_e64 v[8:9], v[93:94], -v[8:9]
	v_add_f64_e64 v[6:7], v[91:92], -v[2:3]
	scratch_store_b128 off, v[6:9], off offset:64
	v_cmpx_lt_u32_e32 2, v0
	s_cbranch_execz .LBB20_135
; %bb.134:
	scratch_load_b128 v[6:9], off, s13
	v_dual_mov_b32 v2, v1 :: v_dual_mov_b32 v3, v1
	v_mov_b32_e32 v4, v1
	scratch_store_b128 off, v[1:4], off offset:48
	s_wait_loadcnt 0x0
	ds_store_b128 v5, v[6:9]
.LBB20_135:
	s_wait_alu 0xfffe
	s_or_b32 exec_lo, exec_lo, s0
	s_wait_storecnt_dscnt 0x0
	s_barrier_signal -1
	s_barrier_wait -1
	global_inv scope:SCOPE_SE
	s_clause 0x8
	scratch_load_b128 v[6:9], off, off offset:64
	scratch_load_b128 v[55:58], off, off offset:80
	;; [unrolled: 1-line block ×9, first 2 shown]
	ds_load_b128 v[87:90], v1 offset:384
	ds_load_b128 v[91:94], v1 offset:400
	scratch_load_b128 v[95:98], off, off offset:48
	s_mov_b32 s0, exec_lo
	ds_load_b128 v[103:106], v1 offset:432
	s_wait_loadcnt_dscnt 0x902
	v_mul_f64_e32 v[2:3], v[89:90], v[8:9]
	v_mul_f64_e32 v[99:100], v[87:88], v[8:9]
	scratch_load_b128 v[8:11], off, off offset:208
	s_wait_loadcnt_dscnt 0x901
	v_mul_f64_e32 v[107:108], v[91:92], v[57:58]
	v_mul_f64_e32 v[57:58], v[93:94], v[57:58]
	v_fma_f64 v[2:3], v[87:88], v[6:7], -v[2:3]
	v_fma_f64 v[6:7], v[89:90], v[6:7], v[99:100]
	ds_load_b128 v[87:90], v1 offset:416
	scratch_load_b128 v[99:102], off, off offset:224
	v_fma_f64 v[93:94], v[93:94], v[55:56], v[107:108]
	v_fma_f64 v[91:92], v[91:92], v[55:56], -v[57:58]
	scratch_load_b128 v[55:58], off, off offset:240
	s_wait_loadcnt_dscnt 0x901
	v_mul_f64_e32 v[107:108], v[103:104], v[65:66]
	v_mul_f64_e32 v[65:66], v[105:106], v[65:66]
	s_wait_dscnt 0x0
	v_mul_f64_e32 v[109:110], v[87:88], v[61:62]
	v_mul_f64_e32 v[61:62], v[89:90], v[61:62]
	v_add_f64_e32 v[2:3], 0, v[2:3]
	v_add_f64_e32 v[6:7], 0, v[6:7]
	v_fma_f64 v[105:106], v[105:106], v[63:64], v[107:108]
	v_fma_f64 v[103:104], v[103:104], v[63:64], -v[65:66]
	scratch_load_b128 v[63:66], off, off offset:272
	v_fma_f64 v[109:110], v[89:90], v[59:60], v[109:110]
	v_fma_f64 v[111:112], v[87:88], v[59:60], -v[61:62]
	ds_load_b128 v[59:62], v1 offset:448
	scratch_load_b128 v[87:90], off, off offset:256
	v_add_f64_e32 v[2:3], v[2:3], v[91:92]
	v_add_f64_e32 v[6:7], v[6:7], v[93:94]
	ds_load_b128 v[91:94], v1 offset:464
	s_wait_loadcnt_dscnt 0xa01
	v_mul_f64_e32 v[113:114], v[59:60], v[69:70]
	v_mul_f64_e32 v[69:70], v[61:62], v[69:70]
	s_wait_loadcnt_dscnt 0x900
	v_mul_f64_e32 v[107:108], v[91:92], v[73:74]
	v_mul_f64_e32 v[73:74], v[93:94], v[73:74]
	v_add_f64_e32 v[2:3], v[2:3], v[111:112]
	v_add_f64_e32 v[6:7], v[6:7], v[109:110]
	v_fma_f64 v[109:110], v[61:62], v[67:68], v[113:114]
	v_fma_f64 v[111:112], v[59:60], v[67:68], -v[69:70]
	ds_load_b128 v[59:62], v1 offset:480
	scratch_load_b128 v[67:70], off, off offset:288
	v_fma_f64 v[93:94], v[93:94], v[71:72], v[107:108]
	v_fma_f64 v[91:92], v[91:92], v[71:72], -v[73:74]
	scratch_load_b128 v[71:74], off, off offset:304
	v_add_f64_e32 v[2:3], v[2:3], v[103:104]
	v_add_f64_e32 v[6:7], v[6:7], v[105:106]
	ds_load_b128 v[103:106], v1 offset:496
	s_wait_loadcnt_dscnt 0xa01
	v_mul_f64_e32 v[113:114], v[59:60], v[77:78]
	v_mul_f64_e32 v[77:78], v[61:62], v[77:78]
	s_wait_loadcnt_dscnt 0x900
	v_mul_f64_e32 v[107:108], v[103:104], v[81:82]
	v_mul_f64_e32 v[81:82], v[105:106], v[81:82]
	v_add_f64_e32 v[2:3], v[2:3], v[111:112]
	v_add_f64_e32 v[6:7], v[6:7], v[109:110]
	v_fma_f64 v[109:110], v[61:62], v[75:76], v[113:114]
	v_fma_f64 v[111:112], v[59:60], v[75:76], -v[77:78]
	ds_load_b128 v[59:62], v1 offset:512
	scratch_load_b128 v[75:78], off, off offset:320
	v_fma_f64 v[105:106], v[105:106], v[79:80], v[107:108]
	v_fma_f64 v[103:104], v[103:104], v[79:80], -v[81:82]
	scratch_load_b128 v[79:82], off, off offset:336
	v_add_f64_e32 v[2:3], v[2:3], v[91:92]
	v_add_f64_e32 v[6:7], v[6:7], v[93:94]
	ds_load_b128 v[91:94], v1 offset:528
	s_wait_loadcnt_dscnt 0xa01
	v_mul_f64_e32 v[113:114], v[59:60], v[85:86]
	v_mul_f64_e32 v[85:86], v[61:62], v[85:86]
	v_add_f64_e32 v[2:3], v[2:3], v[111:112]
	v_add_f64_e32 v[6:7], v[6:7], v[109:110]
	s_delay_alu instid0(VALU_DEP_4) | instskip(NEXT) | instid1(VALU_DEP_4)
	v_fma_f64 v[109:110], v[61:62], v[83:84], v[113:114]
	v_fma_f64 v[111:112], v[59:60], v[83:84], -v[85:86]
	ds_load_b128 v[59:62], v1 offset:544
	ds_load_b128 v[83:86], v1 offset:560
	s_wait_loadcnt_dscnt 0x802
	v_mul_f64_e32 v[107:108], v[91:92], v[10:11]
	v_mul_f64_e32 v[10:11], v[93:94], v[10:11]
	v_add_f64_e32 v[2:3], v[2:3], v[103:104]
	v_add_f64_e32 v[6:7], v[6:7], v[105:106]
	s_delay_alu instid0(VALU_DEP_4)
	v_fma_f64 v[93:94], v[93:94], v[8:9], v[107:108]
	s_wait_loadcnt_dscnt 0x701
	v_mul_f64_e32 v[103:104], v[59:60], v[101:102]
	v_mul_f64_e32 v[101:102], v[61:62], v[101:102]
	v_fma_f64 v[8:9], v[91:92], v[8:9], -v[10:11]
	s_wait_loadcnt_dscnt 0x600
	v_mul_f64_e32 v[10:11], v[83:84], v[57:58]
	v_mul_f64_e32 v[91:92], v[85:86], v[57:58]
	v_add_f64_e32 v[2:3], v[2:3], v[111:112]
	v_add_f64_e32 v[6:7], v[6:7], v[109:110]
	v_fma_f64 v[61:62], v[61:62], v[99:100], v[103:104]
	v_fma_f64 v[99:100], v[59:60], v[99:100], -v[101:102]
	v_fma_f64 v[10:11], v[85:86], v[55:56], v[10:11]
	v_fma_f64 v[55:56], v[83:84], v[55:56], -v[91:92]
	v_add_f64_e32 v[2:3], v[2:3], v[8:9]
	v_add_f64_e32 v[93:94], v[6:7], v[93:94]
	ds_load_b128 v[6:9], v1 offset:576
	ds_load_b128 v[57:60], v1 offset:592
	s_wait_loadcnt_dscnt 0x401
	v_mul_f64_e32 v[101:102], v[6:7], v[89:90]
	v_mul_f64_e32 v[89:90], v[8:9], v[89:90]
	s_wait_dscnt 0x0
	v_mul_f64_e32 v[91:92], v[57:58], v[65:66]
	v_mul_f64_e32 v[65:66], v[59:60], v[65:66]
	v_add_f64_e32 v[2:3], v[2:3], v[99:100]
	v_add_f64_e32 v[61:62], v[93:94], v[61:62]
	v_fma_f64 v[93:94], v[8:9], v[87:88], v[101:102]
	v_fma_f64 v[87:88], v[6:7], v[87:88], -v[89:90]
	ds_load_b128 v[6:9], v1 offset:608
	ds_load_b128 v[83:86], v1 offset:624
	v_fma_f64 v[59:60], v[59:60], v[63:64], v[91:92]
	v_fma_f64 v[57:58], v[57:58], v[63:64], -v[65:66]
	v_add_f64_e32 v[2:3], v[2:3], v[55:56]
	v_add_f64_e32 v[10:11], v[61:62], v[10:11]
	s_wait_loadcnt_dscnt 0x301
	v_mul_f64_e32 v[55:56], v[6:7], v[69:70]
	v_mul_f64_e32 v[61:62], v[8:9], v[69:70]
	s_wait_loadcnt_dscnt 0x200
	v_mul_f64_e32 v[63:64], v[83:84], v[73:74]
	v_mul_f64_e32 v[65:66], v[85:86], v[73:74]
	v_add_f64_e32 v[2:3], v[2:3], v[87:88]
	v_add_f64_e32 v[10:11], v[10:11], v[93:94]
	v_fma_f64 v[55:56], v[8:9], v[67:68], v[55:56]
	v_fma_f64 v[61:62], v[6:7], v[67:68], -v[61:62]
	v_fma_f64 v[63:64], v[85:86], v[71:72], v[63:64]
	v_fma_f64 v[65:66], v[83:84], v[71:72], -v[65:66]
	v_add_f64_e32 v[57:58], v[2:3], v[57:58]
	v_add_f64_e32 v[10:11], v[10:11], v[59:60]
	ds_load_b128 v[6:9], v1 offset:640
	ds_load_b128 v[1:4], v1 offset:656
	s_wait_loadcnt_dscnt 0x101
	v_mul_f64_e32 v[59:60], v[6:7], v[77:78]
	v_mul_f64_e32 v[67:68], v[8:9], v[77:78]
	v_add_f64_e32 v[57:58], v[57:58], v[61:62]
	v_add_f64_e32 v[10:11], v[10:11], v[55:56]
	s_wait_loadcnt_dscnt 0x0
	v_mul_f64_e32 v[55:56], v[1:2], v[81:82]
	v_mul_f64_e32 v[61:62], v[3:4], v[81:82]
	v_fma_f64 v[8:9], v[8:9], v[75:76], v[59:60]
	v_fma_f64 v[6:7], v[6:7], v[75:76], -v[67:68]
	v_add_f64_e32 v[57:58], v[57:58], v[65:66]
	v_add_f64_e32 v[10:11], v[10:11], v[63:64]
	v_fma_f64 v[3:4], v[3:4], v[79:80], v[55:56]
	v_fma_f64 v[1:2], v[1:2], v[79:80], -v[61:62]
	s_delay_alu instid0(VALU_DEP_4) | instskip(NEXT) | instid1(VALU_DEP_4)
	v_add_f64_e32 v[6:7], v[57:58], v[6:7]
	v_add_f64_e32 v[8:9], v[10:11], v[8:9]
	s_delay_alu instid0(VALU_DEP_2) | instskip(NEXT) | instid1(VALU_DEP_2)
	v_add_f64_e32 v[1:2], v[6:7], v[1:2]
	v_add_f64_e32 v[3:4], v[8:9], v[3:4]
	s_delay_alu instid0(VALU_DEP_2) | instskip(NEXT) | instid1(VALU_DEP_2)
	v_add_f64_e64 v[1:2], v[95:96], -v[1:2]
	v_add_f64_e64 v[3:4], v[97:98], -v[3:4]
	scratch_store_b128 off, v[1:4], off offset:48
	v_cmpx_lt_u32_e32 1, v0
	s_cbranch_execz .LBB20_137
; %bb.136:
	scratch_load_b128 v[1:4], off, s15
	v_mov_b32_e32 v6, 0
	s_delay_alu instid0(VALU_DEP_1)
	v_dual_mov_b32 v7, v6 :: v_dual_mov_b32 v8, v6
	v_mov_b32_e32 v9, v6
	scratch_store_b128 off, v[6:9], off offset:32
	s_wait_loadcnt 0x0
	ds_store_b128 v5, v[1:4]
.LBB20_137:
	s_wait_alu 0xfffe
	s_or_b32 exec_lo, exec_lo, s0
	s_wait_storecnt_dscnt 0x0
	s_barrier_signal -1
	s_barrier_wait -1
	global_inv scope:SCOPE_SE
	s_clause 0x7
	scratch_load_b128 v[6:9], off, off offset:48
	scratch_load_b128 v[55:58], off, off offset:64
	;; [unrolled: 1-line block ×8, first 2 shown]
	v_mov_b32_e32 v1, 0
	s_mov_b32 s0, exec_lo
	ds_load_b128 v[83:86], v1 offset:368
	s_clause 0x1
	scratch_load_b128 v[87:90], off, off offset:176
	scratch_load_b128 v[91:94], off, off offset:32
	ds_load_b128 v[95:98], v1 offset:384
	ds_load_b128 v[103:106], v1 offset:416
	s_wait_loadcnt_dscnt 0x902
	v_mul_f64_e32 v[2:3], v[85:86], v[8:9]
	v_mul_f64_e32 v[99:100], v[83:84], v[8:9]
	scratch_load_b128 v[8:11], off, off offset:192
	v_fma_f64 v[2:3], v[83:84], v[6:7], -v[2:3]
	v_fma_f64 v[6:7], v[85:86], v[6:7], v[99:100]
	ds_load_b128 v[83:86], v1 offset:400
	s_wait_loadcnt_dscnt 0x902
	v_mul_f64_e32 v[107:108], v[95:96], v[57:58]
	v_mul_f64_e32 v[57:58], v[97:98], v[57:58]
	scratch_load_b128 v[99:102], off, off offset:208
	s_wait_loadcnt_dscnt 0x900
	v_mul_f64_e32 v[109:110], v[83:84], v[61:62]
	v_mul_f64_e32 v[61:62], v[85:86], v[61:62]
	v_add_f64_e32 v[2:3], 0, v[2:3]
	v_add_f64_e32 v[6:7], 0, v[6:7]
	v_fma_f64 v[97:98], v[97:98], v[55:56], v[107:108]
	v_fma_f64 v[95:96], v[95:96], v[55:56], -v[57:58]
	scratch_load_b128 v[55:58], off, off offset:224
	v_fma_f64 v[109:110], v[85:86], v[59:60], v[109:110]
	v_fma_f64 v[111:112], v[83:84], v[59:60], -v[61:62]
	ds_load_b128 v[59:62], v1 offset:432
	s_wait_loadcnt 0x9
	v_mul_f64_e32 v[107:108], v[103:104], v[65:66]
	v_mul_f64_e32 v[65:66], v[105:106], v[65:66]
	scratch_load_b128 v[83:86], off, off offset:240
	v_add_f64_e32 v[6:7], v[6:7], v[97:98]
	v_add_f64_e32 v[2:3], v[2:3], v[95:96]
	ds_load_b128 v[95:98], v1 offset:448
	s_wait_loadcnt_dscnt 0x901
	v_mul_f64_e32 v[113:114], v[59:60], v[69:70]
	v_mul_f64_e32 v[69:70], v[61:62], v[69:70]
	v_fma_f64 v[105:106], v[105:106], v[63:64], v[107:108]
	v_fma_f64 v[103:104], v[103:104], v[63:64], -v[65:66]
	scratch_load_b128 v[63:66], off, off offset:256
	v_add_f64_e32 v[6:7], v[6:7], v[109:110]
	v_add_f64_e32 v[2:3], v[2:3], v[111:112]
	v_fma_f64 v[109:110], v[61:62], v[67:68], v[113:114]
	v_fma_f64 v[111:112], v[59:60], v[67:68], -v[69:70]
	ds_load_b128 v[59:62], v1 offset:464
	s_wait_loadcnt_dscnt 0x901
	v_mul_f64_e32 v[107:108], v[95:96], v[73:74]
	v_mul_f64_e32 v[73:74], v[97:98], v[73:74]
	scratch_load_b128 v[67:70], off, off offset:272
	s_wait_loadcnt_dscnt 0x900
	v_mul_f64_e32 v[113:114], v[59:60], v[77:78]
	v_mul_f64_e32 v[77:78], v[61:62], v[77:78]
	v_add_f64_e32 v[6:7], v[6:7], v[105:106]
	v_add_f64_e32 v[2:3], v[2:3], v[103:104]
	ds_load_b128 v[103:106], v1 offset:480
	v_fma_f64 v[97:98], v[97:98], v[71:72], v[107:108]
	v_fma_f64 v[95:96], v[95:96], v[71:72], -v[73:74]
	scratch_load_b128 v[71:74], off, off offset:288
	v_add_f64_e32 v[6:7], v[6:7], v[109:110]
	v_add_f64_e32 v[2:3], v[2:3], v[111:112]
	v_fma_f64 v[109:110], v[61:62], v[75:76], v[113:114]
	v_fma_f64 v[111:112], v[59:60], v[75:76], -v[77:78]
	ds_load_b128 v[59:62], v1 offset:496
	s_wait_loadcnt_dscnt 0x901
	v_mul_f64_e32 v[107:108], v[103:104], v[81:82]
	v_mul_f64_e32 v[81:82], v[105:106], v[81:82]
	scratch_load_b128 v[75:78], off, off offset:304
	s_wait_loadcnt_dscnt 0x900
	v_mul_f64_e32 v[113:114], v[59:60], v[89:90]
	v_mul_f64_e32 v[89:90], v[61:62], v[89:90]
	v_add_f64_e32 v[6:7], v[6:7], v[97:98]
	v_add_f64_e32 v[2:3], v[2:3], v[95:96]
	ds_load_b128 v[95:98], v1 offset:512
	v_fma_f64 v[105:106], v[105:106], v[79:80], v[107:108]
	v_fma_f64 v[103:104], v[103:104], v[79:80], -v[81:82]
	scratch_load_b128 v[79:82], off, off offset:320
	v_add_f64_e32 v[6:7], v[6:7], v[109:110]
	v_add_f64_e32 v[2:3], v[2:3], v[111:112]
	v_fma_f64 v[109:110], v[61:62], v[87:88], v[113:114]
	v_fma_f64 v[111:112], v[59:60], v[87:88], -v[89:90]
	ds_load_b128 v[59:62], v1 offset:528
	scratch_load_b128 v[87:90], off, off offset:336
	s_wait_loadcnt_dscnt 0x901
	v_mul_f64_e32 v[107:108], v[95:96], v[10:11]
	v_mul_f64_e32 v[10:11], v[97:98], v[10:11]
	v_add_f64_e32 v[6:7], v[6:7], v[105:106]
	v_add_f64_e32 v[2:3], v[2:3], v[103:104]
	ds_load_b128 v[103:106], v1 offset:544
	v_fma_f64 v[97:98], v[97:98], v[8:9], v[107:108]
	v_fma_f64 v[8:9], v[95:96], v[8:9], -v[10:11]
	s_wait_loadcnt_dscnt 0x801
	v_mul_f64_e32 v[113:114], v[59:60], v[101:102]
	v_mul_f64_e32 v[101:102], v[61:62], v[101:102]
	v_add_f64_e32 v[6:7], v[6:7], v[109:110]
	v_add_f64_e32 v[2:3], v[2:3], v[111:112]
	s_wait_loadcnt_dscnt 0x700
	v_mul_f64_e32 v[10:11], v[103:104], v[57:58]
	v_mul_f64_e32 v[95:96], v[105:106], v[57:58]
	v_fma_f64 v[61:62], v[61:62], v[99:100], v[113:114]
	v_fma_f64 v[99:100], v[59:60], v[99:100], -v[101:102]
	v_add_f64_e32 v[97:98], v[6:7], v[97:98]
	v_add_f64_e32 v[2:3], v[2:3], v[8:9]
	ds_load_b128 v[6:9], v1 offset:560
	ds_load_b128 v[57:60], v1 offset:576
	v_fma_f64 v[10:11], v[105:106], v[55:56], v[10:11]
	v_fma_f64 v[55:56], v[103:104], v[55:56], -v[95:96]
	s_wait_loadcnt_dscnt 0x601
	v_mul_f64_e32 v[101:102], v[6:7], v[85:86]
	v_mul_f64_e32 v[85:86], v[8:9], v[85:86]
	v_add_f64_e32 v[61:62], v[97:98], v[61:62]
	v_add_f64_e32 v[2:3], v[2:3], v[99:100]
	s_wait_loadcnt_dscnt 0x500
	v_mul_f64_e32 v[95:96], v[57:58], v[65:66]
	v_mul_f64_e32 v[65:66], v[59:60], v[65:66]
	v_fma_f64 v[97:98], v[8:9], v[83:84], v[101:102]
	v_fma_f64 v[99:100], v[6:7], v[83:84], -v[85:86]
	ds_load_b128 v[6:9], v1 offset:592
	ds_load_b128 v[83:86], v1 offset:608
	v_add_f64_e32 v[10:11], v[61:62], v[10:11]
	v_add_f64_e32 v[2:3], v[2:3], v[55:56]
	v_fma_f64 v[59:60], v[59:60], v[63:64], v[95:96]
	v_fma_f64 v[57:58], v[57:58], v[63:64], -v[65:66]
	s_wait_loadcnt_dscnt 0x401
	v_mul_f64_e32 v[55:56], v[6:7], v[69:70]
	v_mul_f64_e32 v[61:62], v[8:9], v[69:70]
	s_wait_loadcnt_dscnt 0x300
	v_mul_f64_e32 v[63:64], v[83:84], v[73:74]
	v_mul_f64_e32 v[65:66], v[85:86], v[73:74]
	v_add_f64_e32 v[10:11], v[10:11], v[97:98]
	v_add_f64_e32 v[2:3], v[2:3], v[99:100]
	v_fma_f64 v[69:70], v[8:9], v[67:68], v[55:56]
	v_fma_f64 v[61:62], v[6:7], v[67:68], -v[61:62]
	v_fma_f64 v[63:64], v[85:86], v[71:72], v[63:64]
	v_fma_f64 v[65:66], v[83:84], v[71:72], -v[65:66]
	v_add_f64_e32 v[10:11], v[10:11], v[59:60]
	v_add_f64_e32 v[2:3], v[2:3], v[57:58]
	ds_load_b128 v[6:9], v1 offset:624
	ds_load_b128 v[55:58], v1 offset:640
	s_wait_loadcnt_dscnt 0x201
	v_mul_f64_e32 v[59:60], v[6:7], v[77:78]
	v_mul_f64_e32 v[67:68], v[8:9], v[77:78]
	v_add_f64_e32 v[10:11], v[10:11], v[69:70]
	v_add_f64_e32 v[2:3], v[2:3], v[61:62]
	s_wait_loadcnt_dscnt 0x100
	v_mul_f64_e32 v[61:62], v[55:56], v[81:82]
	v_mul_f64_e32 v[69:70], v[57:58], v[81:82]
	v_fma_f64 v[59:60], v[8:9], v[75:76], v[59:60]
	v_fma_f64 v[67:68], v[6:7], v[75:76], -v[67:68]
	ds_load_b128 v[6:9], v1 offset:656
	v_add_f64_e32 v[10:11], v[10:11], v[63:64]
	v_add_f64_e32 v[2:3], v[2:3], v[65:66]
	v_fma_f64 v[57:58], v[57:58], v[79:80], v[61:62]
	v_fma_f64 v[55:56], v[55:56], v[79:80], -v[69:70]
	s_wait_loadcnt_dscnt 0x0
	v_mul_f64_e32 v[63:64], v[6:7], v[89:90]
	v_mul_f64_e32 v[65:66], v[8:9], v[89:90]
	v_add_f64_e32 v[10:11], v[10:11], v[59:60]
	v_add_f64_e32 v[2:3], v[2:3], v[67:68]
	s_delay_alu instid0(VALU_DEP_4) | instskip(NEXT) | instid1(VALU_DEP_4)
	v_fma_f64 v[8:9], v[8:9], v[87:88], v[63:64]
	v_fma_f64 v[6:7], v[6:7], v[87:88], -v[65:66]
	s_delay_alu instid0(VALU_DEP_4) | instskip(NEXT) | instid1(VALU_DEP_4)
	v_add_f64_e32 v[10:11], v[10:11], v[57:58]
	v_add_f64_e32 v[2:3], v[2:3], v[55:56]
	s_delay_alu instid0(VALU_DEP_2) | instskip(NEXT) | instid1(VALU_DEP_2)
	v_add_f64_e32 v[8:9], v[10:11], v[8:9]
	v_add_f64_e32 v[2:3], v[2:3], v[6:7]
	s_delay_alu instid0(VALU_DEP_2) | instskip(NEXT) | instid1(VALU_DEP_2)
	v_add_f64_e64 v[8:9], v[93:94], -v[8:9]
	v_add_f64_e64 v[6:7], v[91:92], -v[2:3]
	scratch_store_b128 off, v[6:9], off offset:32
	v_cmpx_ne_u32_e32 0, v0
	s_cbranch_execz .LBB20_139
; %bb.138:
	scratch_load_b128 v[6:9], off, off offset:16
	v_dual_mov_b32 v2, v1 :: v_dual_mov_b32 v3, v1
	v_mov_b32_e32 v4, v1
	scratch_store_b128 off, v[1:4], off offset:16
	s_wait_loadcnt 0x0
	ds_store_b128 v5, v[6:9]
.LBB20_139:
	s_wait_alu 0xfffe
	s_or_b32 exec_lo, exec_lo, s0
	s_wait_storecnt_dscnt 0x0
	s_barrier_signal -1
	s_barrier_wait -1
	global_inv scope:SCOPE_SE
	s_clause 0x8
	scratch_load_b128 v[2:5], off, off offset:32
	scratch_load_b128 v[6:9], off, off offset:48
	;; [unrolled: 1-line block ×9, first 2 shown]
	ds_load_b128 v[83:86], v1 offset:352
	ds_load_b128 v[87:90], v1 offset:368
	s_clause 0x1
	scratch_load_b128 v[91:94], off, off offset:16
	scratch_load_b128 v[95:98], off, off offset:176
	s_and_b32 vcc_lo, exec_lo, s18
	s_wait_loadcnt_dscnt 0xa01
	v_mul_f64_e32 v[10:11], v[85:86], v[4:5]
	v_mul_f64_e32 v[4:5], v[83:84], v[4:5]
	s_wait_loadcnt_dscnt 0x900
	v_mul_f64_e32 v[99:100], v[87:88], v[8:9]
	v_mul_f64_e32 v[101:102], v[89:90], v[8:9]
	s_delay_alu instid0(VALU_DEP_4) | instskip(NEXT) | instid1(VALU_DEP_4)
	v_fma_f64 v[103:104], v[83:84], v[2:3], -v[10:11]
	v_fma_f64 v[105:106], v[85:86], v[2:3], v[4:5]
	ds_load_b128 v[2:5], v1 offset:384
	ds_load_b128 v[83:86], v1 offset:400
	scratch_load_b128 v[8:11], off, off offset:192
	v_fma_f64 v[99:100], v[89:90], v[6:7], v[99:100]
	v_fma_f64 v[6:7], v[87:88], v[6:7], -v[101:102]
	scratch_load_b128 v[87:90], off, off offset:208
	s_wait_loadcnt_dscnt 0xa01
	v_mul_f64_e32 v[107:108], v[2:3], v[57:58]
	v_mul_f64_e32 v[57:58], v[4:5], v[57:58]
	v_add_f64_e32 v[101:102], 0, v[103:104]
	v_add_f64_e32 v[103:104], 0, v[105:106]
	s_wait_loadcnt_dscnt 0x900
	v_mul_f64_e32 v[105:106], v[83:84], v[61:62]
	v_mul_f64_e32 v[61:62], v[85:86], v[61:62]
	v_fma_f64 v[107:108], v[4:5], v[55:56], v[107:108]
	v_fma_f64 v[109:110], v[2:3], v[55:56], -v[57:58]
	ds_load_b128 v[2:5], v1 offset:416
	scratch_load_b128 v[55:58], off, off offset:224
	v_add_f64_e32 v[6:7], v[101:102], v[6:7]
	v_add_f64_e32 v[103:104], v[103:104], v[99:100]
	ds_load_b128 v[99:102], v1 offset:432
	v_fma_f64 v[85:86], v[85:86], v[59:60], v[105:106]
	v_fma_f64 v[83:84], v[83:84], v[59:60], -v[61:62]
	scratch_load_b128 v[59:62], off, off offset:240
	s_wait_loadcnt_dscnt 0xa01
	v_mul_f64_e32 v[111:112], v[2:3], v[65:66]
	v_mul_f64_e32 v[65:66], v[4:5], v[65:66]
	s_wait_loadcnt_dscnt 0x900
	v_mul_f64_e32 v[105:106], v[99:100], v[69:70]
	v_mul_f64_e32 v[69:70], v[101:102], v[69:70]
	v_add_f64_e32 v[6:7], v[6:7], v[109:110]
	v_add_f64_e32 v[103:104], v[103:104], v[107:108]
	v_fma_f64 v[107:108], v[4:5], v[63:64], v[111:112]
	v_fma_f64 v[109:110], v[2:3], v[63:64], -v[65:66]
	ds_load_b128 v[2:5], v1 offset:448
	scratch_load_b128 v[63:66], off, off offset:256
	v_fma_f64 v[101:102], v[101:102], v[67:68], v[105:106]
	v_fma_f64 v[99:100], v[99:100], v[67:68], -v[69:70]
	scratch_load_b128 v[67:70], off, off offset:272
	v_add_f64_e32 v[6:7], v[6:7], v[83:84]
	v_add_f64_e32 v[103:104], v[103:104], v[85:86]
	ds_load_b128 v[83:86], v1 offset:464
	s_wait_loadcnt_dscnt 0xa01
	v_mul_f64_e32 v[111:112], v[2:3], v[73:74]
	v_mul_f64_e32 v[73:74], v[4:5], v[73:74]
	s_wait_loadcnt_dscnt 0x900
	v_mul_f64_e32 v[105:106], v[83:84], v[77:78]
	v_mul_f64_e32 v[77:78], v[85:86], v[77:78]
	v_add_f64_e32 v[6:7], v[6:7], v[109:110]
	v_add_f64_e32 v[103:104], v[103:104], v[107:108]
	v_fma_f64 v[107:108], v[4:5], v[71:72], v[111:112]
	v_fma_f64 v[109:110], v[2:3], v[71:72], -v[73:74]
	ds_load_b128 v[2:5], v1 offset:480
	scratch_load_b128 v[71:74], off, off offset:288
	v_fma_f64 v[85:86], v[85:86], v[75:76], v[105:106]
	v_fma_f64 v[83:84], v[83:84], v[75:76], -v[77:78]
	scratch_load_b128 v[75:78], off, off offset:304
	v_add_f64_e32 v[6:7], v[6:7], v[99:100]
	v_add_f64_e32 v[103:104], v[103:104], v[101:102]
	ds_load_b128 v[99:102], v1 offset:496
	;; [unrolled: 18-line block ×3, first 2 shown]
	s_wait_loadcnt_dscnt 0x901
	v_mul_f64_e32 v[111:112], v[2:3], v[10:11]
	v_mul_f64_e32 v[10:11], v[4:5], v[10:11]
	s_wait_loadcnt_dscnt 0x800
	v_mul_f64_e32 v[105:106], v[83:84], v[89:90]
	v_mul_f64_e32 v[89:90], v[85:86], v[89:90]
	v_add_f64_e32 v[6:7], v[6:7], v[109:110]
	v_add_f64_e32 v[103:104], v[103:104], v[107:108]
	v_fma_f64 v[107:108], v[4:5], v[8:9], v[111:112]
	v_fma_f64 v[10:11], v[2:3], v[8:9], -v[10:11]
	v_fma_f64 v[85:86], v[85:86], v[87:88], v[105:106]
	v_fma_f64 v[83:84], v[83:84], v[87:88], -v[89:90]
	v_add_f64_e32 v[99:100], v[6:7], v[99:100]
	v_add_f64_e32 v[101:102], v[103:104], v[101:102]
	ds_load_b128 v[2:5], v1 offset:544
	ds_load_b128 v[6:9], v1 offset:560
	s_wait_loadcnt_dscnt 0x701
	v_mul_f64_e32 v[103:104], v[2:3], v[57:58]
	v_mul_f64_e32 v[57:58], v[4:5], v[57:58]
	s_wait_loadcnt_dscnt 0x600
	v_mul_f64_e32 v[89:90], v[6:7], v[61:62]
	v_mul_f64_e32 v[61:62], v[8:9], v[61:62]
	v_add_f64_e32 v[10:11], v[99:100], v[10:11]
	v_add_f64_e32 v[87:88], v[101:102], v[107:108]
	v_fma_f64 v[99:100], v[4:5], v[55:56], v[103:104]
	v_fma_f64 v[101:102], v[2:3], v[55:56], -v[57:58]
	ds_load_b128 v[2:5], v1 offset:576
	ds_load_b128 v[55:58], v1 offset:592
	v_fma_f64 v[8:9], v[8:9], v[59:60], v[89:90]
	v_fma_f64 v[6:7], v[6:7], v[59:60], -v[61:62]
	v_add_f64_e32 v[10:11], v[10:11], v[83:84]
	v_add_f64_e32 v[83:84], v[87:88], v[85:86]
	s_wait_loadcnt_dscnt 0x501
	v_mul_f64_e32 v[85:86], v[2:3], v[65:66]
	v_mul_f64_e32 v[65:66], v[4:5], v[65:66]
	s_wait_loadcnt_dscnt 0x400
	v_mul_f64_e32 v[61:62], v[55:56], v[69:70]
	v_mul_f64_e32 v[69:70], v[57:58], v[69:70]
	v_add_f64_e32 v[10:11], v[10:11], v[101:102]
	v_add_f64_e32 v[59:60], v[83:84], v[99:100]
	v_fma_f64 v[83:84], v[4:5], v[63:64], v[85:86]
	v_fma_f64 v[63:64], v[2:3], v[63:64], -v[65:66]
	v_fma_f64 v[57:58], v[57:58], v[67:68], v[61:62]
	v_fma_f64 v[55:56], v[55:56], v[67:68], -v[69:70]
	v_add_f64_e32 v[10:11], v[10:11], v[6:7]
	v_add_f64_e32 v[59:60], v[59:60], v[8:9]
	ds_load_b128 v[2:5], v1 offset:608
	ds_load_b128 v[6:9], v1 offset:624
	s_wait_loadcnt_dscnt 0x301
	v_mul_f64_e32 v[65:66], v[2:3], v[73:74]
	v_mul_f64_e32 v[73:74], v[4:5], v[73:74]
	s_wait_loadcnt_dscnt 0x200
	v_mul_f64_e32 v[61:62], v[6:7], v[77:78]
	v_add_f64_e32 v[10:11], v[10:11], v[63:64]
	v_add_f64_e32 v[59:60], v[59:60], v[83:84]
	v_mul_f64_e32 v[63:64], v[8:9], v[77:78]
	v_fma_f64 v[65:66], v[4:5], v[71:72], v[65:66]
	v_fma_f64 v[67:68], v[2:3], v[71:72], -v[73:74]
	v_fma_f64 v[8:9], v[8:9], v[75:76], v[61:62]
	v_add_f64_e32 v[10:11], v[10:11], v[55:56]
	v_add_f64_e32 v[59:60], v[59:60], v[57:58]
	ds_load_b128 v[2:5], v1 offset:640
	ds_load_b128 v[55:58], v1 offset:656
	v_fma_f64 v[6:7], v[6:7], v[75:76], -v[63:64]
	s_wait_loadcnt_dscnt 0x101
	v_mul_f64_e32 v[0:1], v[2:3], v[81:82]
	v_mul_f64_e32 v[69:70], v[4:5], v[81:82]
	s_wait_loadcnt_dscnt 0x0
	v_mul_f64_e32 v[61:62], v[55:56], v[97:98]
	v_mul_f64_e32 v[63:64], v[57:58], v[97:98]
	v_add_f64_e32 v[10:11], v[10:11], v[67:68]
	v_add_f64_e32 v[59:60], v[59:60], v[65:66]
	v_fma_f64 v[0:1], v[4:5], v[79:80], v[0:1]
	v_fma_f64 v[2:3], v[2:3], v[79:80], -v[69:70]
	s_delay_alu instid0(VALU_DEP_4) | instskip(NEXT) | instid1(VALU_DEP_4)
	v_add_f64_e32 v[4:5], v[10:11], v[6:7]
	v_add_f64_e32 v[6:7], v[59:60], v[8:9]
	v_fma_f64 v[8:9], v[57:58], v[95:96], v[61:62]
	v_fma_f64 v[10:11], v[55:56], v[95:96], -v[63:64]
	s_delay_alu instid0(VALU_DEP_4) | instskip(NEXT) | instid1(VALU_DEP_4)
	v_add_f64_e32 v[2:3], v[4:5], v[2:3]
	v_add_f64_e32 v[0:1], v[6:7], v[0:1]
	s_delay_alu instid0(VALU_DEP_2) | instskip(NEXT) | instid1(VALU_DEP_2)
	v_add_f64_e32 v[2:3], v[2:3], v[10:11]
	v_add_f64_e32 v[4:5], v[0:1], v[8:9]
	s_delay_alu instid0(VALU_DEP_2) | instskip(NEXT) | instid1(VALU_DEP_2)
	v_add_f64_e64 v[0:1], v[91:92], -v[2:3]
	v_add_f64_e64 v[2:3], v[93:94], -v[4:5]
	scratch_store_b128 off, v[0:3], off offset:16
	s_wait_alu 0xfffe
	s_cbranch_vccz .LBB20_180
; %bb.140:
	v_mov_b32_e32 v0, 0
	global_load_b32 v1, v0, s[2:3] offset:76
	s_wait_loadcnt 0x0
	v_cmp_ne_u32_e32 vcc_lo, 20, v1
	s_cbranch_vccz .LBB20_142
; %bb.141:
	v_lshlrev_b32_e32 v1, 4, v1
	s_delay_alu instid0(VALU_DEP_1)
	v_add_nc_u32_e32 v9, 16, v1
	s_clause 0x1
	scratch_load_b128 v[1:4], v9, off offset:-16
	scratch_load_b128 v[5:8], off, s25
	s_wait_loadcnt 0x1
	scratch_store_b128 off, v[1:4], s25
	s_wait_loadcnt 0x0
	scratch_store_b128 v9, v[5:8], off offset:-16
.LBB20_142:
	global_load_b32 v0, v0, s[2:3] offset:72
	s_wait_loadcnt 0x0
	v_cmp_eq_u32_e32 vcc_lo, 19, v0
	s_cbranch_vccnz .LBB20_144
; %bb.143:
	v_lshlrev_b32_e32 v0, 4, v0
	s_delay_alu instid0(VALU_DEP_1)
	v_add_nc_u32_e32 v8, 16, v0
	s_clause 0x1
	scratch_load_b128 v[0:3], v8, off offset:-16
	scratch_load_b128 v[4:7], off, s27
	s_wait_loadcnt 0x1
	scratch_store_b128 off, v[0:3], s27
	s_wait_loadcnt 0x0
	scratch_store_b128 v8, v[4:7], off offset:-16
.LBB20_144:
	v_mov_b32_e32 v0, 0
	global_load_b32 v1, v0, s[2:3] offset:68
	s_wait_loadcnt 0x0
	v_cmp_eq_u32_e32 vcc_lo, 18, v1
	s_cbranch_vccnz .LBB20_146
; %bb.145:
	v_lshlrev_b32_e32 v1, 4, v1
	s_delay_alu instid0(VALU_DEP_1)
	v_add_nc_u32_e32 v9, 16, v1
	s_clause 0x1
	scratch_load_b128 v[1:4], v9, off offset:-16
	scratch_load_b128 v[5:8], off, s24
	s_wait_loadcnt 0x1
	scratch_store_b128 off, v[1:4], s24
	s_wait_loadcnt 0x0
	scratch_store_b128 v9, v[5:8], off offset:-16
.LBB20_146:
	global_load_b32 v0, v0, s[2:3] offset:64
	s_wait_loadcnt 0x0
	v_cmp_eq_u32_e32 vcc_lo, 17, v0
	s_cbranch_vccnz .LBB20_148
; %bb.147:
	v_lshlrev_b32_e32 v0, 4, v0
	s_delay_alu instid0(VALU_DEP_1)
	v_add_nc_u32_e32 v8, 16, v0
	s_clause 0x1
	scratch_load_b128 v[0:3], v8, off offset:-16
	scratch_load_b128 v[4:7], off, s26
	s_wait_loadcnt 0x1
	scratch_store_b128 off, v[0:3], s26
	s_wait_loadcnt 0x0
	scratch_store_b128 v8, v[4:7], off offset:-16
.LBB20_148:
	v_mov_b32_e32 v0, 0
	global_load_b32 v1, v0, s[2:3] offset:60
	s_wait_loadcnt 0x0
	v_cmp_eq_u32_e32 vcc_lo, 16, v1
	s_cbranch_vccnz .LBB20_150
; %bb.149:
	v_lshlrev_b32_e32 v1, 4, v1
	s_delay_alu instid0(VALU_DEP_1)
	v_add_nc_u32_e32 v9, 16, v1
	s_clause 0x1
	scratch_load_b128 v[1:4], v9, off offset:-16
	scratch_load_b128 v[5:8], off, s22
	s_wait_loadcnt 0x1
	scratch_store_b128 off, v[1:4], s22
	s_wait_loadcnt 0x0
	scratch_store_b128 v9, v[5:8], off offset:-16
.LBB20_150:
	;; [unrolled: 33-line block ×9, first 2 shown]
	global_load_b32 v0, v0, s[2:3]
	s_wait_loadcnt 0x0
	v_cmp_eq_u32_e32 vcc_lo, 1, v0
	s_cbranch_vccnz .LBB20_180
; %bb.179:
	v_lshlrev_b32_e32 v0, 4, v0
	s_delay_alu instid0(VALU_DEP_1)
	v_add_nc_u32_e32 v8, 16, v0
	scratch_load_b128 v[0:3], v8, off offset:-16
	scratch_load_b128 v[4:7], off, off offset:16
	s_wait_loadcnt 0x1
	scratch_store_b128 off, v[0:3], off offset:16
	s_wait_loadcnt 0x0
	scratch_store_b128 v8, v[4:7], off offset:-16
.LBB20_180:
	scratch_load_b128 v[0:3], off, off offset:16
	s_clause 0xf
	scratch_load_b128 v[4:7], off, s15
	scratch_load_b128 v[8:11], off, s13
	;; [unrolled: 1-line block ×16, first 2 shown]
	s_wait_loadcnt 0x10
	global_store_b128 v[13:14], v[0:3], off
	s_clause 0x1
	scratch_load_b128 v[0:3], off, s24
	scratch_load_b128 v[111:114], off, s27
	s_wait_loadcnt 0x11
	global_store_b128 v[15:16], v[4:7], off
	s_clause 0x1
	scratch_load_b128 v[4:7], off, s25
	scratch_load_b128 v[12:15], off, s28
	s_wait_loadcnt 0x12
	global_store_b128 v[17:18], v[8:11], off
	s_wait_loadcnt 0x11
	global_store_b128 v[19:20], v[55:58], off
	s_wait_loadcnt 0x10
	global_store_b128 v[21:22], v[59:62], off
	s_wait_loadcnt 0xf
	global_store_b128 v[23:24], v[63:66], off
	s_wait_loadcnt 0xe
	global_store_b128 v[25:26], v[67:70], off
	s_wait_loadcnt 0xd
	global_store_b128 v[27:28], v[71:74], off
	s_wait_loadcnt 0xc
	global_store_b128 v[29:30], v[75:78], off
	s_wait_loadcnt 0xb
	global_store_b128 v[31:32], v[79:82], off
	s_wait_loadcnt 0xa
	global_store_b128 v[33:34], v[83:86], off
	s_wait_loadcnt 0x9
	global_store_b128 v[35:36], v[87:90], off
	s_wait_loadcnt 0x8
	global_store_b128 v[37:38], v[91:94], off
	s_wait_loadcnt 0x7
	global_store_b128 v[39:40], v[95:98], off
	s_wait_loadcnt 0x6
	global_store_b128 v[41:42], v[99:102], off
	s_wait_loadcnt 0x5
	global_store_b128 v[43:44], v[103:106], off
	s_wait_loadcnt 0x4
	global_store_b128 v[45:46], v[107:110], off
	s_wait_loadcnt 0x3
	global_store_b128 v[47:48], v[0:3], off
	s_wait_loadcnt 0x2
	global_store_b128 v[49:50], v[111:114], off
	s_wait_loadcnt 0x1
	global_store_b128 v[51:52], v[4:7], off
	s_wait_loadcnt 0x0
	global_store_b128 v[53:54], v[12:15], off
	s_nop 0
	s_sendmsg sendmsg(MSG_DEALLOC_VGPRS)
	s_endpgm
	.section	.rodata,"a",@progbits
	.p2align	6, 0x0
	.amdhsa_kernel _ZN9rocsolver6v33100L18getri_kernel_smallILi21E19rocblas_complex_numIdEPS3_EEvT1_iilPiilS6_bb
		.amdhsa_group_segment_fixed_size 680
		.amdhsa_private_segment_fixed_size 368
		.amdhsa_kernarg_size 60
		.amdhsa_user_sgpr_count 2
		.amdhsa_user_sgpr_dispatch_ptr 0
		.amdhsa_user_sgpr_queue_ptr 0
		.amdhsa_user_sgpr_kernarg_segment_ptr 1
		.amdhsa_user_sgpr_dispatch_id 0
		.amdhsa_user_sgpr_private_segment_size 0
		.amdhsa_wavefront_size32 1
		.amdhsa_uses_dynamic_stack 0
		.amdhsa_enable_private_segment 1
		.amdhsa_system_sgpr_workgroup_id_x 1
		.amdhsa_system_sgpr_workgroup_id_y 0
		.amdhsa_system_sgpr_workgroup_id_z 0
		.amdhsa_system_sgpr_workgroup_info 0
		.amdhsa_system_vgpr_workitem_id 0
		.amdhsa_next_free_vgpr 116
		.amdhsa_next_free_sgpr 32
		.amdhsa_reserve_vcc 1
		.amdhsa_float_round_mode_32 0
		.amdhsa_float_round_mode_16_64 0
		.amdhsa_float_denorm_mode_32 3
		.amdhsa_float_denorm_mode_16_64 3
		.amdhsa_fp16_overflow 0
		.amdhsa_workgroup_processor_mode 1
		.amdhsa_memory_ordered 1
		.amdhsa_forward_progress 1
		.amdhsa_inst_pref_size 204
		.amdhsa_round_robin_scheduling 0
		.amdhsa_exception_fp_ieee_invalid_op 0
		.amdhsa_exception_fp_denorm_src 0
		.amdhsa_exception_fp_ieee_div_zero 0
		.amdhsa_exception_fp_ieee_overflow 0
		.amdhsa_exception_fp_ieee_underflow 0
		.amdhsa_exception_fp_ieee_inexact 0
		.amdhsa_exception_int_div_zero 0
	.end_amdhsa_kernel
	.section	.text._ZN9rocsolver6v33100L18getri_kernel_smallILi21E19rocblas_complex_numIdEPS3_EEvT1_iilPiilS6_bb,"axG",@progbits,_ZN9rocsolver6v33100L18getri_kernel_smallILi21E19rocblas_complex_numIdEPS3_EEvT1_iilPiilS6_bb,comdat
.Lfunc_end20:
	.size	_ZN9rocsolver6v33100L18getri_kernel_smallILi21E19rocblas_complex_numIdEPS3_EEvT1_iilPiilS6_bb, .Lfunc_end20-_ZN9rocsolver6v33100L18getri_kernel_smallILi21E19rocblas_complex_numIdEPS3_EEvT1_iilPiilS6_bb
                                        ; -- End function
	.set _ZN9rocsolver6v33100L18getri_kernel_smallILi21E19rocblas_complex_numIdEPS3_EEvT1_iilPiilS6_bb.num_vgpr, 116
	.set _ZN9rocsolver6v33100L18getri_kernel_smallILi21E19rocblas_complex_numIdEPS3_EEvT1_iilPiilS6_bb.num_agpr, 0
	.set _ZN9rocsolver6v33100L18getri_kernel_smallILi21E19rocblas_complex_numIdEPS3_EEvT1_iilPiilS6_bb.numbered_sgpr, 32
	.set _ZN9rocsolver6v33100L18getri_kernel_smallILi21E19rocblas_complex_numIdEPS3_EEvT1_iilPiilS6_bb.num_named_barrier, 0
	.set _ZN9rocsolver6v33100L18getri_kernel_smallILi21E19rocblas_complex_numIdEPS3_EEvT1_iilPiilS6_bb.private_seg_size, 368
	.set _ZN9rocsolver6v33100L18getri_kernel_smallILi21E19rocblas_complex_numIdEPS3_EEvT1_iilPiilS6_bb.uses_vcc, 1
	.set _ZN9rocsolver6v33100L18getri_kernel_smallILi21E19rocblas_complex_numIdEPS3_EEvT1_iilPiilS6_bb.uses_flat_scratch, 1
	.set _ZN9rocsolver6v33100L18getri_kernel_smallILi21E19rocblas_complex_numIdEPS3_EEvT1_iilPiilS6_bb.has_dyn_sized_stack, 0
	.set _ZN9rocsolver6v33100L18getri_kernel_smallILi21E19rocblas_complex_numIdEPS3_EEvT1_iilPiilS6_bb.has_recursion, 0
	.set _ZN9rocsolver6v33100L18getri_kernel_smallILi21E19rocblas_complex_numIdEPS3_EEvT1_iilPiilS6_bb.has_indirect_call, 0
	.section	.AMDGPU.csdata,"",@progbits
; Kernel info:
; codeLenInByte = 26084
; TotalNumSgprs: 34
; NumVgprs: 116
; ScratchSize: 368
; MemoryBound: 0
; FloatMode: 240
; IeeeMode: 1
; LDSByteSize: 680 bytes/workgroup (compile time only)
; SGPRBlocks: 0
; VGPRBlocks: 14
; NumSGPRsForWavesPerEU: 34
; NumVGPRsForWavesPerEU: 116
; Occupancy: 12
; WaveLimiterHint : 1
; COMPUTE_PGM_RSRC2:SCRATCH_EN: 1
; COMPUTE_PGM_RSRC2:USER_SGPR: 2
; COMPUTE_PGM_RSRC2:TRAP_HANDLER: 0
; COMPUTE_PGM_RSRC2:TGID_X_EN: 1
; COMPUTE_PGM_RSRC2:TGID_Y_EN: 0
; COMPUTE_PGM_RSRC2:TGID_Z_EN: 0
; COMPUTE_PGM_RSRC2:TIDIG_COMP_CNT: 0
	.section	.text._ZN9rocsolver6v33100L18getri_kernel_smallILi22E19rocblas_complex_numIdEPS3_EEvT1_iilPiilS6_bb,"axG",@progbits,_ZN9rocsolver6v33100L18getri_kernel_smallILi22E19rocblas_complex_numIdEPS3_EEvT1_iilPiilS6_bb,comdat
	.globl	_ZN9rocsolver6v33100L18getri_kernel_smallILi22E19rocblas_complex_numIdEPS3_EEvT1_iilPiilS6_bb ; -- Begin function _ZN9rocsolver6v33100L18getri_kernel_smallILi22E19rocblas_complex_numIdEPS3_EEvT1_iilPiilS6_bb
	.p2align	8
	.type	_ZN9rocsolver6v33100L18getri_kernel_smallILi22E19rocblas_complex_numIdEPS3_EEvT1_iilPiilS6_bb,@function
_ZN9rocsolver6v33100L18getri_kernel_smallILi22E19rocblas_complex_numIdEPS3_EEvT1_iilPiilS6_bb: ; @_ZN9rocsolver6v33100L18getri_kernel_smallILi22E19rocblas_complex_numIdEPS3_EEvT1_iilPiilS6_bb
; %bb.0:
	s_mov_b32 s2, exec_lo
	v_cmpx_gt_u32_e32 22, v0
	s_cbranch_execz .LBB21_102
; %bb.1:
	s_clause 0x2
	s_load_b32 s2, s[0:1], 0x38
	s_load_b128 s[12:15], s[0:1], 0x10
	s_load_b128 s[4:7], s[0:1], 0x28
	s_mov_b32 s16, ttmp9
	s_wait_kmcnt 0x0
	s_bitcmp1_b32 s2, 8
	s_cselect_b32 s18, -1, 0
	s_bfe_u32 s2, s2, 0x10008
	s_ashr_i32 s17, ttmp9, 31
	s_cmp_eq_u32 s2, 0
                                        ; implicit-def: $sgpr2_sgpr3
	s_cbranch_scc1 .LBB21_3
; %bb.2:
	s_load_b32 s2, s[0:1], 0x20
	s_mul_u64 s[4:5], s[4:5], s[16:17]
	s_delay_alu instid0(SALU_CYCLE_1) | instskip(NEXT) | instid1(SALU_CYCLE_1)
	s_lshl_b64 s[4:5], s[4:5], 2
	s_add_nc_u64 s[4:5], s[14:15], s[4:5]
	s_wait_kmcnt 0x0
	s_ashr_i32 s3, s2, 31
	s_delay_alu instid0(SALU_CYCLE_1) | instskip(NEXT) | instid1(SALU_CYCLE_1)
	s_lshl_b64 s[2:3], s[2:3], 2
	s_add_nc_u64 s[2:3], s[4:5], s[2:3]
.LBB21_3:
	s_clause 0x1
	s_load_b128 s[8:11], s[0:1], 0x0
	s_load_b32 s30, s[0:1], 0x38
	s_mul_u64 s[0:1], s[12:13], s[16:17]
	v_lshlrev_b32_e32 v57, 4, v0
	s_lshl_b64 s[0:1], s[0:1], 4
	s_mov_b32 s24, 32
	s_mov_b32 s21, 48
	s_mov_b32 s13, 64
	s_movk_i32 s14, 0x50
	s_wait_kmcnt 0x0
	v_add3_u32 v5, s11, s11, v0
	s_ashr_i32 s5, s10, 31
	s_mov_b32 s4, s10
	s_add_nc_u64 s[0:1], s[8:9], s[0:1]
	s_lshl_b64 s[4:5], s[4:5], 4
	v_add_nc_u32_e32 v7, s11, v5
	v_ashrrev_i32_e32 v6, 31, v5
	s_add_nc_u64 s[0:1], s[0:1], s[4:5]
	s_ashr_i32 s9, s11, 31
	v_add_co_u32 v13, s4, s0, v57
	v_add_nc_u32_e32 v23, s11, v7
	v_ashrrev_i32_e32 v8, 31, v7
	s_mov_b32 s8, s11
	v_lshlrev_b64_e32 v[5:6], 4, v[5:6]
	v_add_co_ci_u32_e64 v14, null, s1, 0, s4
	v_ashrrev_i32_e32 v24, 31, v23
	s_lshl_b64 s[8:9], s[8:9], 4
	v_lshlrev_b64_e32 v[19:20], 4, v[7:8]
	v_add_co_u32 v15, vcc_lo, v13, s8
	s_delay_alu instid0(VALU_DEP_3)
	v_lshlrev_b64_e32 v[21:22], 4, v[23:24]
	v_add_co_ci_u32_e64 v16, null, s9, v14, vcc_lo
	v_add_co_u32 v17, vcc_lo, s0, v5
	s_wait_alu 0xfffd
	v_add_co_ci_u32_e64 v18, null, s1, v6, vcc_lo
	v_add_co_u32 v19, vcc_lo, s0, v19
	s_wait_alu 0xfffd
	;; [unrolled: 3-line block ×3, first 2 shown]
	v_add_co_ci_u32_e64 v22, null, s1, v22, vcc_lo
	s_clause 0x4
	global_load_b128 v[1:4], v57, s[0:1]
	global_load_b128 v[5:8], v[15:16], off
	global_load_b128 v[9:12], v[17:18], off
	;; [unrolled: 1-line block ×4, first 2 shown]
	v_add_nc_u32_e32 v23, s11, v23
	s_delay_alu instid0(VALU_DEP_1) | instskip(SKIP_1) | instid1(VALU_DEP_2)
	v_add_nc_u32_e32 v25, s11, v23
	v_ashrrev_i32_e32 v24, 31, v23
	v_add_nc_u32_e32 v27, s11, v25
	v_ashrrev_i32_e32 v26, 31, v25
	s_delay_alu instid0(VALU_DEP_3) | instskip(NEXT) | instid1(VALU_DEP_3)
	v_lshlrev_b64_e32 v[23:24], 4, v[23:24]
	v_add_nc_u32_e32 v29, s11, v27
	v_ashrrev_i32_e32 v28, 31, v27
	s_delay_alu instid0(VALU_DEP_4) | instskip(NEXT) | instid1(VALU_DEP_4)
	v_lshlrev_b64_e32 v[25:26], 4, v[25:26]
	v_add_co_u32 v23, vcc_lo, s0, v23
	s_delay_alu instid0(VALU_DEP_4)
	v_add_nc_u32_e32 v31, s11, v29
	v_ashrrev_i32_e32 v30, 31, v29
	v_lshlrev_b64_e32 v[27:28], 4, v[27:28]
	s_wait_alu 0xfffd
	v_add_co_ci_u32_e64 v24, null, s1, v24, vcc_lo
	v_add_nc_u32_e32 v33, s11, v31
	v_ashrrev_i32_e32 v32, 31, v31
	v_lshlrev_b64_e32 v[29:30], 4, v[29:30]
	v_add_co_u32 v25, vcc_lo, s0, v25
	s_delay_alu instid0(VALU_DEP_4)
	v_add_nc_u32_e32 v35, s11, v33
	v_ashrrev_i32_e32 v34, 31, v33
	v_lshlrev_b64_e32 v[31:32], 4, v[31:32]
	s_wait_alu 0xfffd
	v_add_co_ci_u32_e64 v26, null, s1, v26, vcc_lo
	v_add_nc_u32_e32 v37, s11, v35
	v_ashrrev_i32_e32 v36, 31, v35
	v_add_co_u32 v27, vcc_lo, s0, v27
	v_lshlrev_b64_e32 v[33:34], 4, v[33:34]
	s_delay_alu instid0(VALU_DEP_4)
	v_add_nc_u32_e32 v39, s11, v37
	v_ashrrev_i32_e32 v38, 31, v37
	s_wait_alu 0xfffd
	v_add_co_ci_u32_e64 v28, null, s1, v28, vcc_lo
	v_add_co_u32 v29, vcc_lo, s0, v29
	v_add_nc_u32_e32 v41, s11, v39
	v_ashrrev_i32_e32 v40, 31, v39
	v_lshlrev_b64_e32 v[35:36], 4, v[35:36]
	s_wait_alu 0xfffd
	v_add_co_ci_u32_e64 v30, null, s1, v30, vcc_lo
	v_add_nc_u32_e32 v43, s11, v41
	v_ashrrev_i32_e32 v42, 31, v41
	v_add_co_u32 v31, vcc_lo, s0, v31
	v_lshlrev_b64_e32 v[37:38], 4, v[37:38]
	s_delay_alu instid0(VALU_DEP_4)
	v_add_nc_u32_e32 v45, s11, v43
	v_ashrrev_i32_e32 v44, 31, v43
	s_wait_alu 0xfffd
	v_add_co_ci_u32_e64 v32, null, s1, v32, vcc_lo
	v_add_co_u32 v33, vcc_lo, s0, v33
	v_add_nc_u32_e32 v47, s11, v45
	v_lshlrev_b64_e32 v[39:40], 4, v[39:40]
	v_ashrrev_i32_e32 v46, 31, v45
	s_wait_alu 0xfffd
	v_add_co_ci_u32_e64 v34, null, s1, v34, vcc_lo
	v_add_nc_u32_e32 v49, s11, v47
	v_add_co_u32 v35, vcc_lo, s0, v35
	v_lshlrev_b64_e32 v[41:42], 4, v[41:42]
	v_ashrrev_i32_e32 v48, 31, v47
	s_delay_alu instid0(VALU_DEP_4) | instskip(SKIP_3) | instid1(VALU_DEP_3)
	v_add_nc_u32_e32 v51, s11, v49
	s_wait_alu 0xfffd
	v_add_co_ci_u32_e64 v36, null, s1, v36, vcc_lo
	v_add_co_u32 v37, vcc_lo, s0, v37
	v_add_nc_u32_e32 v53, s11, v51
	v_lshlrev_b64_e32 v[43:44], 4, v[43:44]
	v_ashrrev_i32_e32 v50, 31, v49
	s_wait_alu 0xfffd
	v_add_co_ci_u32_e64 v38, null, s1, v38, vcc_lo
	v_add_co_u32 v39, vcc_lo, s0, v39
	v_lshlrev_b64_e32 v[45:46], 4, v[45:46]
	v_add_nc_u32_e32 v55, s11, v53
	v_ashrrev_i32_e32 v52, 31, v51
	s_wait_alu 0xfffd
	v_add_co_ci_u32_e64 v40, null, s1, v40, vcc_lo
	v_add_co_u32 v41, vcc_lo, s0, v41
	v_lshlrev_b64_e32 v[47:48], 4, v[47:48]
	v_ashrrev_i32_e32 v54, 31, v53
	s_wait_alu 0xfffd
	v_add_co_ci_u32_e64 v42, null, s1, v42, vcc_lo
	v_add_co_u32 v43, vcc_lo, s0, v43
	v_lshlrev_b64_e32 v[49:50], 4, v[49:50]
	;; [unrolled: 5-line block ×3, first 2 shown]
	s_wait_alu 0xfffd
	v_add_co_ci_u32_e64 v46, null, s1, v46, vcc_lo
	v_add_co_u32 v47, vcc_lo, s0, v47
	v_lshlrev_b64_e32 v[53:54], 4, v[53:54]
	s_wait_alu 0xfffd
	v_add_co_ci_u32_e64 v48, null, s1, v48, vcc_lo
	v_add_co_u32 v49, vcc_lo, s0, v49
	v_lshlrev_b64_e32 v[55:56], 4, v[55:56]
	s_wait_alu 0xfffd
	v_add_co_ci_u32_e64 v50, null, s1, v50, vcc_lo
	v_add_co_u32 v51, vcc_lo, s0, v51
	s_wait_alu 0xfffd
	v_add_co_ci_u32_e64 v52, null, s1, v52, vcc_lo
	v_add_co_u32 v53, vcc_lo, s0, v53
	;; [unrolled: 3-line block ×3, first 2 shown]
	s_wait_alu 0xfffd
	v_add_co_ci_u32_e64 v56, null, s1, v56, vcc_lo
	s_clause 0xb
	global_load_b128 v[66:69], v[23:24], off
	global_load_b128 v[70:73], v[25:26], off
	;; [unrolled: 1-line block ×12, first 2 shown]
	s_movk_i32 s0, 0x50
	s_movk_i32 s1, 0x70
	s_wait_alu 0xfffe
	s_add_co_i32 s9, s0, 16
	s_movk_i32 s0, 0x60
	s_add_co_i32 s10, s1, 16
	s_wait_alu 0xfffe
	s_add_co_i32 s15, s0, 16
	s_movk_i32 s0, 0x80
	s_movk_i32 s1, 0x90
	s_wait_alu 0xfffe
	s_add_co_i32 s19, s0, 16
	s_add_co_i32 s11, s1, 16
	s_movk_i32 s0, 0xa0
	s_movk_i32 s1, 0xb0
	s_wait_alu 0xfffe
	s_add_co_i32 s20, s0, 16
	;; [unrolled: 5-line block ×7, first 2 shown]
	s_add_co_i32 s29, s1, 16
	s_mov_b32 s1, -1
	s_bitcmp0_b32 s30, 0
	s_wait_loadcnt 0x10
	scratch_store_b128 off, v[1:4], off offset:16
	s_wait_loadcnt 0xf
	scratch_store_b128 off, v[5:8], off offset:32
	s_clause 0x1
	global_load_b128 v[1:4], v[47:48], off
	global_load_b128 v[5:8], v[49:50], off
	s_wait_loadcnt 0x10
	scratch_store_b128 off, v[9:12], off offset:48
	s_wait_loadcnt 0xf
	scratch_store_b128 off, v[58:61], off offset:64
	s_clause 0x1
	global_load_b128 v[9:12], v[51:52], off
	global_load_b128 v[58:61], v[53:54], off
	s_wait_loadcnt 0x10
	scratch_store_b128 off, v[62:65], off offset:80
	global_load_b128 v[62:65], v[55:56], off
	s_wait_loadcnt 0x10
	scratch_store_b128 off, v[66:69], off offset:96
	s_wait_loadcnt 0xf
	scratch_store_b128 off, v[70:73], off offset:112
	;; [unrolled: 2-line block ×17, first 2 shown]
	s_cbranch_scc1 .LBB21_100
; %bb.4:
	v_cmp_eq_u32_e64 s0, 0, v0
	s_and_saveexec_b32 s1, s0
; %bb.5:
	v_mov_b32_e32 v1, 0
	ds_store_b32 v1, v1 offset:704
; %bb.6:
	s_wait_alu 0xfffe
	s_or_b32 exec_lo, exec_lo, s1
	s_wait_storecnt_dscnt 0x0
	s_barrier_signal -1
	s_barrier_wait -1
	global_inv scope:SCOPE_SE
	scratch_load_b128 v[1:4], v57, off offset:16
	s_wait_loadcnt 0x0
	v_cmp_eq_f64_e32 vcc_lo, 0, v[1:2]
	v_cmp_eq_f64_e64 s1, 0, v[3:4]
	s_and_b32 s1, vcc_lo, s1
	s_wait_alu 0xfffe
	s_and_saveexec_b32 s30, s1
	s_cbranch_execz .LBB21_10
; %bb.7:
	v_mov_b32_e32 v1, 0
	s_mov_b32 s31, 0
	ds_load_b32 v2, v1 offset:704
	s_wait_dscnt 0x0
	v_readfirstlane_b32 s1, v2
	v_add_nc_u32_e32 v2, 1, v0
	s_cmp_eq_u32 s1, 0
	s_delay_alu instid0(VALU_DEP_1) | instskip(SKIP_1) | instid1(SALU_CYCLE_1)
	v_cmp_gt_i32_e32 vcc_lo, s1, v2
	s_cselect_b32 s33, -1, 0
	s_or_b32 s33, s33, vcc_lo
	s_delay_alu instid0(SALU_CYCLE_1)
	s_and_b32 exec_lo, exec_lo, s33
	s_cbranch_execz .LBB21_10
; %bb.8:
	v_mov_b32_e32 v3, s1
.LBB21_9:                               ; =>This Inner Loop Header: Depth=1
	ds_cmpstore_rtn_b32 v3, v1, v2, v3 offset:704
	s_wait_dscnt 0x0
	v_cmp_ne_u32_e32 vcc_lo, 0, v3
	v_cmp_le_i32_e64 s1, v3, v2
	s_and_b32 s1, vcc_lo, s1
	s_wait_alu 0xfffe
	s_and_b32 s1, exec_lo, s1
	s_wait_alu 0xfffe
	s_or_b32 s31, s1, s31
	s_delay_alu instid0(SALU_CYCLE_1)
	s_and_not1_b32 exec_lo, exec_lo, s31
	s_cbranch_execnz .LBB21_9
.LBB21_10:
	s_or_b32 exec_lo, exec_lo, s30
	v_mov_b32_e32 v1, 0
	s_barrier_signal -1
	s_barrier_wait -1
	global_inv scope:SCOPE_SE
	ds_load_b32 v2, v1 offset:704
	s_and_saveexec_b32 s1, s0
	s_cbranch_execz .LBB21_12
; %bb.11:
	s_lshl_b64 s[30:31], s[16:17], 2
	s_delay_alu instid0(SALU_CYCLE_1)
	s_add_nc_u64 s[30:31], s[6:7], s[30:31]
	s_wait_dscnt 0x0
	global_store_b32 v1, v2, s[30:31]
.LBB21_12:
	s_wait_alu 0xfffe
	s_or_b32 exec_lo, exec_lo, s1
	s_wait_dscnt 0x0
	v_cmp_ne_u32_e32 vcc_lo, 0, v2
	s_mov_b32 s1, 0
	s_cbranch_vccnz .LBB21_100
; %bb.13:
	v_add_nc_u32_e32 v58, 16, v57
                                        ; implicit-def: $vgpr1_vgpr2
                                        ; implicit-def: $vgpr9_vgpr10
	scratch_load_b128 v[5:8], v58, off
	s_wait_loadcnt 0x0
	v_cmp_ngt_f64_e64 s1, |v[5:6]|, |v[7:8]|
	s_wait_alu 0xfffe
	s_and_saveexec_b32 s30, s1
	s_delay_alu instid0(SALU_CYCLE_1)
	s_xor_b32 s1, exec_lo, s30
	s_cbranch_execz .LBB21_15
; %bb.14:
	v_div_scale_f64 v[1:2], null, v[7:8], v[7:8], v[5:6]
	v_div_scale_f64 v[11:12], vcc_lo, v[5:6], v[7:8], v[5:6]
	s_delay_alu instid0(VALU_DEP_2) | instskip(NEXT) | instid1(TRANS32_DEP_1)
	v_rcp_f64_e32 v[3:4], v[1:2]
	v_fma_f64 v[9:10], -v[1:2], v[3:4], 1.0
	s_delay_alu instid0(VALU_DEP_1) | instskip(NEXT) | instid1(VALU_DEP_1)
	v_fma_f64 v[3:4], v[3:4], v[9:10], v[3:4]
	v_fma_f64 v[9:10], -v[1:2], v[3:4], 1.0
	s_delay_alu instid0(VALU_DEP_1) | instskip(NEXT) | instid1(VALU_DEP_1)
	v_fma_f64 v[3:4], v[3:4], v[9:10], v[3:4]
	v_mul_f64_e32 v[9:10], v[11:12], v[3:4]
	s_delay_alu instid0(VALU_DEP_1) | instskip(SKIP_1) | instid1(VALU_DEP_1)
	v_fma_f64 v[1:2], -v[1:2], v[9:10], v[11:12]
	s_wait_alu 0xfffd
	v_div_fmas_f64 v[1:2], v[1:2], v[3:4], v[9:10]
	s_delay_alu instid0(VALU_DEP_1) | instskip(NEXT) | instid1(VALU_DEP_1)
	v_div_fixup_f64 v[1:2], v[1:2], v[7:8], v[5:6]
	v_fma_f64 v[3:4], v[5:6], v[1:2], v[7:8]
	s_delay_alu instid0(VALU_DEP_1) | instskip(SKIP_1) | instid1(VALU_DEP_2)
	v_div_scale_f64 v[5:6], null, v[3:4], v[3:4], 1.0
	v_div_scale_f64 v[11:12], vcc_lo, 1.0, v[3:4], 1.0
	v_rcp_f64_e32 v[7:8], v[5:6]
	s_delay_alu instid0(TRANS32_DEP_1) | instskip(NEXT) | instid1(VALU_DEP_1)
	v_fma_f64 v[9:10], -v[5:6], v[7:8], 1.0
	v_fma_f64 v[7:8], v[7:8], v[9:10], v[7:8]
	s_delay_alu instid0(VALU_DEP_1) | instskip(NEXT) | instid1(VALU_DEP_1)
	v_fma_f64 v[9:10], -v[5:6], v[7:8], 1.0
	v_fma_f64 v[7:8], v[7:8], v[9:10], v[7:8]
	s_delay_alu instid0(VALU_DEP_1) | instskip(NEXT) | instid1(VALU_DEP_1)
	v_mul_f64_e32 v[9:10], v[11:12], v[7:8]
	v_fma_f64 v[5:6], -v[5:6], v[9:10], v[11:12]
	s_wait_alu 0xfffd
	s_delay_alu instid0(VALU_DEP_1) | instskip(NEXT) | instid1(VALU_DEP_1)
	v_div_fmas_f64 v[5:6], v[5:6], v[7:8], v[9:10]
	v_div_fixup_f64 v[3:4], v[5:6], v[3:4], 1.0
                                        ; implicit-def: $vgpr5_vgpr6
	s_delay_alu instid0(VALU_DEP_1) | instskip(SKIP_1) | instid1(VALU_DEP_2)
	v_mul_f64_e32 v[1:2], v[1:2], v[3:4]
	v_xor_b32_e32 v4, 0x80000000, v4
	v_xor_b32_e32 v10, 0x80000000, v2
	s_delay_alu instid0(VALU_DEP_3)
	v_mov_b32_e32 v9, v1
.LBB21_15:
	s_wait_alu 0xfffe
	s_and_not1_saveexec_b32 s1, s1
	s_cbranch_execz .LBB21_17
; %bb.16:
	v_div_scale_f64 v[1:2], null, v[5:6], v[5:6], v[7:8]
	v_div_scale_f64 v[11:12], vcc_lo, v[7:8], v[5:6], v[7:8]
	s_delay_alu instid0(VALU_DEP_2) | instskip(NEXT) | instid1(TRANS32_DEP_1)
	v_rcp_f64_e32 v[3:4], v[1:2]
	v_fma_f64 v[9:10], -v[1:2], v[3:4], 1.0
	s_delay_alu instid0(VALU_DEP_1) | instskip(NEXT) | instid1(VALU_DEP_1)
	v_fma_f64 v[3:4], v[3:4], v[9:10], v[3:4]
	v_fma_f64 v[9:10], -v[1:2], v[3:4], 1.0
	s_delay_alu instid0(VALU_DEP_1) | instskip(NEXT) | instid1(VALU_DEP_1)
	v_fma_f64 v[3:4], v[3:4], v[9:10], v[3:4]
	v_mul_f64_e32 v[9:10], v[11:12], v[3:4]
	s_delay_alu instid0(VALU_DEP_1) | instskip(SKIP_1) | instid1(VALU_DEP_1)
	v_fma_f64 v[1:2], -v[1:2], v[9:10], v[11:12]
	s_wait_alu 0xfffd
	v_div_fmas_f64 v[1:2], v[1:2], v[3:4], v[9:10]
	s_delay_alu instid0(VALU_DEP_1) | instskip(NEXT) | instid1(VALU_DEP_1)
	v_div_fixup_f64 v[3:4], v[1:2], v[5:6], v[7:8]
	v_fma_f64 v[1:2], v[7:8], v[3:4], v[5:6]
	s_delay_alu instid0(VALU_DEP_1) | instskip(NEXT) | instid1(VALU_DEP_1)
	v_div_scale_f64 v[5:6], null, v[1:2], v[1:2], 1.0
	v_rcp_f64_e32 v[7:8], v[5:6]
	s_delay_alu instid0(TRANS32_DEP_1) | instskip(NEXT) | instid1(VALU_DEP_1)
	v_fma_f64 v[9:10], -v[5:6], v[7:8], 1.0
	v_fma_f64 v[7:8], v[7:8], v[9:10], v[7:8]
	s_delay_alu instid0(VALU_DEP_1) | instskip(NEXT) | instid1(VALU_DEP_1)
	v_fma_f64 v[9:10], -v[5:6], v[7:8], 1.0
	v_fma_f64 v[7:8], v[7:8], v[9:10], v[7:8]
	v_div_scale_f64 v[9:10], vcc_lo, 1.0, v[1:2], 1.0
	s_delay_alu instid0(VALU_DEP_1) | instskip(NEXT) | instid1(VALU_DEP_1)
	v_mul_f64_e32 v[11:12], v[9:10], v[7:8]
	v_fma_f64 v[5:6], -v[5:6], v[11:12], v[9:10]
	s_wait_alu 0xfffd
	s_delay_alu instid0(VALU_DEP_1) | instskip(NEXT) | instid1(VALU_DEP_1)
	v_div_fmas_f64 v[5:6], v[5:6], v[7:8], v[11:12]
	v_div_fixup_f64 v[1:2], v[5:6], v[1:2], 1.0
	s_delay_alu instid0(VALU_DEP_1)
	v_mul_f64_e64 v[3:4], v[3:4], -v[1:2]
	v_xor_b32_e32 v10, 0x80000000, v2
	v_mov_b32_e32 v9, v1
.LBB21_17:
	s_wait_alu 0xfffe
	s_or_b32 exec_lo, exec_lo, s1
	scratch_store_b128 v58, v[1:4], off
	scratch_load_b128 v[59:62], off, s24
	v_xor_b32_e32 v12, 0x80000000, v4
	v_mov_b32_e32 v11, v3
	v_add_nc_u32_e32 v5, 0x160, v57
	ds_store_b128 v57, v[9:12]
	s_wait_loadcnt 0x0
	ds_store_b128 v57, v[59:62] offset:352
	s_wait_storecnt_dscnt 0x0
	s_barrier_signal -1
	s_barrier_wait -1
	global_inv scope:SCOPE_SE
	s_and_saveexec_b32 s1, s0
	s_cbranch_execz .LBB21_19
; %bb.18:
	scratch_load_b128 v[1:4], v58, off
	ds_load_b128 v[6:9], v5
	v_mov_b32_e32 v10, 0
	ds_load_b128 v[59:62], v10 offset:16
	s_wait_loadcnt_dscnt 0x1
	v_mul_f64_e32 v[10:11], v[6:7], v[3:4]
	v_mul_f64_e32 v[3:4], v[8:9], v[3:4]
	s_delay_alu instid0(VALU_DEP_2) | instskip(NEXT) | instid1(VALU_DEP_2)
	v_fma_f64 v[8:9], v[8:9], v[1:2], v[10:11]
	v_fma_f64 v[1:2], v[6:7], v[1:2], -v[3:4]
	s_delay_alu instid0(VALU_DEP_2) | instskip(NEXT) | instid1(VALU_DEP_2)
	v_add_f64_e32 v[3:4], 0, v[8:9]
	v_add_f64_e32 v[1:2], 0, v[1:2]
	s_wait_dscnt 0x0
	s_delay_alu instid0(VALU_DEP_2) | instskip(NEXT) | instid1(VALU_DEP_2)
	v_mul_f64_e32 v[6:7], v[3:4], v[61:62]
	v_mul_f64_e32 v[8:9], v[1:2], v[61:62]
	s_delay_alu instid0(VALU_DEP_2) | instskip(NEXT) | instid1(VALU_DEP_2)
	v_fma_f64 v[1:2], v[1:2], v[59:60], -v[6:7]
	v_fma_f64 v[3:4], v[3:4], v[59:60], v[8:9]
	scratch_store_b128 off, v[1:4], off offset:32
.LBB21_19:
	s_wait_alu 0xfffe
	s_or_b32 exec_lo, exec_lo, s1
	s_wait_loadcnt 0x0
	s_wait_storecnt 0x0
	s_barrier_signal -1
	s_barrier_wait -1
	global_inv scope:SCOPE_SE
	scratch_load_b128 v[1:4], off, s21
	s_mov_b32 s1, exec_lo
	s_wait_loadcnt 0x0
	ds_store_b128 v5, v[1:4]
	s_wait_dscnt 0x0
	s_barrier_signal -1
	s_barrier_wait -1
	global_inv scope:SCOPE_SE
	v_cmpx_gt_u32_e32 2, v0
	s_cbranch_execz .LBB21_23
; %bb.20:
	scratch_load_b128 v[1:4], v58, off
	ds_load_b128 v[6:9], v5
	s_wait_loadcnt_dscnt 0x0
	v_mul_f64_e32 v[10:11], v[8:9], v[3:4]
	v_mul_f64_e32 v[3:4], v[6:7], v[3:4]
	s_delay_alu instid0(VALU_DEP_2) | instskip(NEXT) | instid1(VALU_DEP_2)
	v_fma_f64 v[6:7], v[6:7], v[1:2], -v[10:11]
	v_fma_f64 v[3:4], v[8:9], v[1:2], v[3:4]
	s_delay_alu instid0(VALU_DEP_2) | instskip(NEXT) | instid1(VALU_DEP_2)
	v_add_f64_e32 v[1:2], 0, v[6:7]
	v_add_f64_e32 v[3:4], 0, v[3:4]
	s_and_saveexec_b32 s30, s0
	s_cbranch_execz .LBB21_22
; %bb.21:
	scratch_load_b128 v[6:9], off, off offset:32
	v_mov_b32_e32 v10, 0
	ds_load_b128 v[59:62], v10 offset:368
	s_wait_loadcnt_dscnt 0x0
	v_mul_f64_e32 v[10:11], v[59:60], v[8:9]
	v_mul_f64_e32 v[8:9], v[61:62], v[8:9]
	s_delay_alu instid0(VALU_DEP_2) | instskip(NEXT) | instid1(VALU_DEP_2)
	v_fma_f64 v[10:11], v[61:62], v[6:7], v[10:11]
	v_fma_f64 v[6:7], v[59:60], v[6:7], -v[8:9]
	s_delay_alu instid0(VALU_DEP_2) | instskip(NEXT) | instid1(VALU_DEP_2)
	v_add_f64_e32 v[3:4], v[3:4], v[10:11]
	v_add_f64_e32 v[1:2], v[1:2], v[6:7]
.LBB21_22:
	s_or_b32 exec_lo, exec_lo, s30
	v_mov_b32_e32 v6, 0
	ds_load_b128 v[6:9], v6 offset:32
	s_wait_dscnt 0x0
	v_mul_f64_e32 v[10:11], v[3:4], v[8:9]
	v_mul_f64_e32 v[8:9], v[1:2], v[8:9]
	s_delay_alu instid0(VALU_DEP_2) | instskip(NEXT) | instid1(VALU_DEP_2)
	v_fma_f64 v[1:2], v[1:2], v[6:7], -v[10:11]
	v_fma_f64 v[3:4], v[3:4], v[6:7], v[8:9]
	scratch_store_b128 off, v[1:4], off offset:48
.LBB21_23:
	s_wait_alu 0xfffe
	s_or_b32 exec_lo, exec_lo, s1
	s_wait_loadcnt 0x0
	s_wait_storecnt 0x0
	s_barrier_signal -1
	s_barrier_wait -1
	global_inv scope:SCOPE_SE
	scratch_load_b128 v[1:4], off, s13
	v_add_nc_u32_e32 v6, -1, v0
	s_mov_b32 s0, exec_lo
	s_wait_loadcnt 0x0
	ds_store_b128 v5, v[1:4]
	s_wait_dscnt 0x0
	s_barrier_signal -1
	s_barrier_wait -1
	global_inv scope:SCOPE_SE
	v_cmpx_gt_u32_e32 3, v0
	s_cbranch_execz .LBB21_27
; %bb.24:
	v_dual_mov_b32 v1, 0 :: v_dual_add_nc_u32 v8, 0x160, v57
	v_mov_b32_e32 v3, 0
	v_dual_mov_b32 v2, 0 :: v_dual_add_nc_u32 v7, -1, v0
	v_mov_b32_e32 v4, 0
	v_or_b32_e32 v9, 8, v58
	s_mov_b32 s1, 0
.LBB21_25:                              ; =>This Inner Loop Header: Depth=1
	scratch_load_b128 v[59:62], v9, off offset:-8
	ds_load_b128 v[63:66], v8
	v_add_nc_u32_e32 v7, 1, v7
	v_add_nc_u32_e32 v8, 16, v8
	v_add_nc_u32_e32 v9, 16, v9
	s_delay_alu instid0(VALU_DEP_3)
	v_cmp_lt_u32_e32 vcc_lo, 1, v7
	s_wait_alu 0xfffe
	s_or_b32 s1, vcc_lo, s1
	s_wait_loadcnt_dscnt 0x0
	v_mul_f64_e32 v[10:11], v[65:66], v[61:62]
	v_mul_f64_e32 v[61:62], v[63:64], v[61:62]
	s_delay_alu instid0(VALU_DEP_2) | instskip(NEXT) | instid1(VALU_DEP_2)
	v_fma_f64 v[10:11], v[63:64], v[59:60], -v[10:11]
	v_fma_f64 v[59:60], v[65:66], v[59:60], v[61:62]
	s_delay_alu instid0(VALU_DEP_2) | instskip(NEXT) | instid1(VALU_DEP_2)
	v_add_f64_e32 v[3:4], v[3:4], v[10:11]
	v_add_f64_e32 v[1:2], v[1:2], v[59:60]
	s_wait_alu 0xfffe
	s_and_not1_b32 exec_lo, exec_lo, s1
	s_cbranch_execnz .LBB21_25
; %bb.26:
	s_or_b32 exec_lo, exec_lo, s1
	v_mov_b32_e32 v7, 0
	ds_load_b128 v[7:10], v7 offset:48
	s_wait_dscnt 0x0
	v_mul_f64_e32 v[11:12], v[1:2], v[9:10]
	v_mul_f64_e32 v[59:60], v[3:4], v[9:10]
	s_delay_alu instid0(VALU_DEP_2) | instskip(NEXT) | instid1(VALU_DEP_2)
	v_fma_f64 v[9:10], v[3:4], v[7:8], -v[11:12]
	v_fma_f64 v[11:12], v[1:2], v[7:8], v[59:60]
	scratch_store_b128 off, v[9:12], off offset:64
.LBB21_27:
	s_wait_alu 0xfffe
	s_or_b32 exec_lo, exec_lo, s0
	s_wait_loadcnt 0x0
	s_wait_storecnt 0x0
	s_barrier_signal -1
	s_barrier_wait -1
	global_inv scope:SCOPE_SE
	scratch_load_b128 v[1:4], off, s14
	s_mov_b32 s0, exec_lo
	s_wait_loadcnt 0x0
	ds_store_b128 v5, v[1:4]
	s_wait_dscnt 0x0
	s_barrier_signal -1
	s_barrier_wait -1
	global_inv scope:SCOPE_SE
	v_cmpx_gt_u32_e32 4, v0
	s_cbranch_execz .LBB21_31
; %bb.28:
	v_dual_mov_b32 v1, 0 :: v_dual_add_nc_u32 v8, 0x160, v57
	v_mov_b32_e32 v3, 0
	v_dual_mov_b32 v2, 0 :: v_dual_add_nc_u32 v7, -1, v0
	v_mov_b32_e32 v4, 0
	v_or_b32_e32 v9, 8, v58
	s_mov_b32 s1, 0
.LBB21_29:                              ; =>This Inner Loop Header: Depth=1
	scratch_load_b128 v[59:62], v9, off offset:-8
	ds_load_b128 v[63:66], v8
	v_add_nc_u32_e32 v7, 1, v7
	v_add_nc_u32_e32 v8, 16, v8
	v_add_nc_u32_e32 v9, 16, v9
	s_delay_alu instid0(VALU_DEP_3)
	v_cmp_lt_u32_e32 vcc_lo, 2, v7
	s_wait_alu 0xfffe
	s_or_b32 s1, vcc_lo, s1
	s_wait_loadcnt_dscnt 0x0
	v_mul_f64_e32 v[10:11], v[65:66], v[61:62]
	v_mul_f64_e32 v[61:62], v[63:64], v[61:62]
	s_delay_alu instid0(VALU_DEP_2) | instskip(NEXT) | instid1(VALU_DEP_2)
	v_fma_f64 v[10:11], v[63:64], v[59:60], -v[10:11]
	v_fma_f64 v[59:60], v[65:66], v[59:60], v[61:62]
	s_delay_alu instid0(VALU_DEP_2) | instskip(NEXT) | instid1(VALU_DEP_2)
	v_add_f64_e32 v[3:4], v[3:4], v[10:11]
	v_add_f64_e32 v[1:2], v[1:2], v[59:60]
	s_wait_alu 0xfffe
	s_and_not1_b32 exec_lo, exec_lo, s1
	s_cbranch_execnz .LBB21_29
; %bb.30:
	s_or_b32 exec_lo, exec_lo, s1
	v_mov_b32_e32 v7, 0
	ds_load_b128 v[7:10], v7 offset:64
	s_wait_dscnt 0x0
	v_mul_f64_e32 v[11:12], v[1:2], v[9:10]
	v_mul_f64_e32 v[59:60], v[3:4], v[9:10]
	s_delay_alu instid0(VALU_DEP_2) | instskip(NEXT) | instid1(VALU_DEP_2)
	v_fma_f64 v[9:10], v[3:4], v[7:8], -v[11:12]
	v_fma_f64 v[11:12], v[1:2], v[7:8], v[59:60]
	scratch_store_b128 off, v[9:12], off offset:80
.LBB21_31:
	s_wait_alu 0xfffe
	s_or_b32 exec_lo, exec_lo, s0
	s_wait_loadcnt 0x0
	s_wait_storecnt 0x0
	s_barrier_signal -1
	s_barrier_wait -1
	global_inv scope:SCOPE_SE
	scratch_load_b128 v[1:4], off, s9
	;; [unrolled: 58-line block ×18, first 2 shown]
	s_mov_b32 s0, exec_lo
	s_wait_loadcnt 0x0
	ds_store_b128 v5, v[1:4]
	s_wait_dscnt 0x0
	s_barrier_signal -1
	s_barrier_wait -1
	global_inv scope:SCOPE_SE
	v_cmpx_ne_u32_e32 21, v0
	s_cbranch_execz .LBB21_99
; %bb.96:
	v_mov_b32_e32 v1, 0
	v_dual_mov_b32 v2, 0 :: v_dual_mov_b32 v3, 0
	v_mov_b32_e32 v4, 0
	v_or_b32_e32 v7, 8, v58
	s_mov_b32 s1, 0
.LBB21_97:                              ; =>This Inner Loop Header: Depth=1
	scratch_load_b128 v[8:11], v7, off offset:-8
	ds_load_b128 v[57:60], v5
	v_add_nc_u32_e32 v6, 1, v6
	v_add_nc_u32_e32 v5, 16, v5
	;; [unrolled: 1-line block ×3, first 2 shown]
	s_delay_alu instid0(VALU_DEP_3)
	v_cmp_lt_u32_e32 vcc_lo, 19, v6
	s_wait_alu 0xfffe
	s_or_b32 s1, vcc_lo, s1
	s_wait_loadcnt_dscnt 0x0
	v_mul_f64_e32 v[61:62], v[59:60], v[10:11]
	v_mul_f64_e32 v[10:11], v[57:58], v[10:11]
	s_delay_alu instid0(VALU_DEP_2) | instskip(NEXT) | instid1(VALU_DEP_2)
	v_fma_f64 v[57:58], v[57:58], v[8:9], -v[61:62]
	v_fma_f64 v[8:9], v[59:60], v[8:9], v[10:11]
	s_delay_alu instid0(VALU_DEP_2) | instskip(NEXT) | instid1(VALU_DEP_2)
	v_add_f64_e32 v[3:4], v[3:4], v[57:58]
	v_add_f64_e32 v[1:2], v[1:2], v[8:9]
	s_wait_alu 0xfffe
	s_and_not1_b32 exec_lo, exec_lo, s1
	s_cbranch_execnz .LBB21_97
; %bb.98:
	s_or_b32 exec_lo, exec_lo, s1
	v_mov_b32_e32 v5, 0
	ds_load_b128 v[5:8], v5 offset:336
	s_wait_dscnt 0x0
	v_mul_f64_e32 v[9:10], v[1:2], v[7:8]
	v_mul_f64_e32 v[7:8], v[3:4], v[7:8]
	s_delay_alu instid0(VALU_DEP_2) | instskip(NEXT) | instid1(VALU_DEP_2)
	v_fma_f64 v[3:4], v[3:4], v[5:6], -v[9:10]
	v_fma_f64 v[5:6], v[1:2], v[5:6], v[7:8]
	scratch_store_b128 off, v[3:6], off offset:352
.LBB21_99:
	s_wait_alu 0xfffe
	s_or_b32 exec_lo, exec_lo, s0
	s_mov_b32 s1, -1
	s_wait_loadcnt 0x0
	s_wait_storecnt 0x0
	s_barrier_signal -1
	s_barrier_wait -1
	global_inv scope:SCOPE_SE
.LBB21_100:
	s_wait_alu 0xfffe
	s_and_b32 vcc_lo, exec_lo, s1
	s_wait_alu 0xfffe
	s_cbranch_vccz .LBB21_102
; %bb.101:
	v_mov_b32_e32 v1, 0
	s_lshl_b64 s[0:1], s[16:17], 2
	s_wait_alu 0xfffe
	s_add_nc_u64 s[0:1], s[6:7], s[0:1]
	global_load_b32 v1, v1, s[0:1]
	s_wait_loadcnt 0x0
	v_cmp_ne_u32_e32 vcc_lo, 0, v1
	s_cbranch_vccz .LBB21_103
.LBB21_102:
	s_nop 0
	s_sendmsg sendmsg(MSG_DEALLOC_VGPRS)
	s_endpgm
.LBB21_103:
	v_lshl_add_u32 v5, v0, 4, 0x160
	s_mov_b32 s0, exec_lo
	v_cmpx_eq_u32_e32 21, v0
	s_cbranch_execz .LBB21_105
; %bb.104:
	scratch_load_b128 v[1:4], off, s23
	v_mov_b32_e32 v6, 0
	s_delay_alu instid0(VALU_DEP_1)
	v_dual_mov_b32 v7, v6 :: v_dual_mov_b32 v8, v6
	v_mov_b32_e32 v9, v6
	scratch_store_b128 off, v[6:9], off offset:336
	s_wait_loadcnt 0x0
	ds_store_b128 v5, v[1:4]
.LBB21_105:
	s_wait_alu 0xfffe
	s_or_b32 exec_lo, exec_lo, s0
	s_wait_storecnt_dscnt 0x0
	s_barrier_signal -1
	s_barrier_wait -1
	global_inv scope:SCOPE_SE
	s_clause 0x1
	scratch_load_b128 v[6:9], off, off offset:352
	scratch_load_b128 v[57:60], off, off offset:336
	v_mov_b32_e32 v1, 0
	s_mov_b32 s0, exec_lo
	ds_load_b128 v[61:64], v1 offset:688
	s_wait_loadcnt_dscnt 0x100
	v_mul_f64_e32 v[2:3], v[63:64], v[8:9]
	v_mul_f64_e32 v[8:9], v[61:62], v[8:9]
	s_delay_alu instid0(VALU_DEP_2) | instskip(NEXT) | instid1(VALU_DEP_2)
	v_fma_f64 v[2:3], v[61:62], v[6:7], -v[2:3]
	v_fma_f64 v[6:7], v[63:64], v[6:7], v[8:9]
	s_delay_alu instid0(VALU_DEP_2) | instskip(NEXT) | instid1(VALU_DEP_2)
	v_add_f64_e32 v[2:3], 0, v[2:3]
	v_add_f64_e32 v[8:9], 0, v[6:7]
	s_wait_loadcnt 0x0
	s_delay_alu instid0(VALU_DEP_2) | instskip(NEXT) | instid1(VALU_DEP_2)
	v_add_f64_e64 v[6:7], v[57:58], -v[2:3]
	v_add_f64_e64 v[8:9], v[59:60], -v[8:9]
	scratch_store_b128 off, v[6:9], off offset:336
	v_cmpx_lt_u32_e32 19, v0
	s_cbranch_execz .LBB21_107
; %bb.106:
	scratch_load_b128 v[6:9], off, s5
	v_dual_mov_b32 v2, v1 :: v_dual_mov_b32 v3, v1
	v_mov_b32_e32 v4, v1
	scratch_store_b128 off, v[1:4], off offset:320
	s_wait_loadcnt 0x0
	ds_store_b128 v5, v[6:9]
.LBB21_107:
	s_wait_alu 0xfffe
	s_or_b32 exec_lo, exec_lo, s0
	s_wait_storecnt_dscnt 0x0
	s_barrier_signal -1
	s_barrier_wait -1
	global_inv scope:SCOPE_SE
	s_clause 0x2
	scratch_load_b128 v[6:9], off, off offset:336
	scratch_load_b128 v[57:60], off, off offset:352
	;; [unrolled: 1-line block ×3, first 2 shown]
	ds_load_b128 v[65:68], v1 offset:672
	ds_load_b128 v[1:4], v1 offset:688
	s_mov_b32 s0, exec_lo
	s_wait_loadcnt_dscnt 0x201
	v_mul_f64_e32 v[10:11], v[67:68], v[8:9]
	v_mul_f64_e32 v[8:9], v[65:66], v[8:9]
	s_wait_loadcnt_dscnt 0x100
	v_mul_f64_e32 v[69:70], v[1:2], v[59:60]
	v_mul_f64_e32 v[59:60], v[3:4], v[59:60]
	s_delay_alu instid0(VALU_DEP_4) | instskip(NEXT) | instid1(VALU_DEP_4)
	v_fma_f64 v[10:11], v[65:66], v[6:7], -v[10:11]
	v_fma_f64 v[6:7], v[67:68], v[6:7], v[8:9]
	s_delay_alu instid0(VALU_DEP_4) | instskip(NEXT) | instid1(VALU_DEP_4)
	v_fma_f64 v[3:4], v[3:4], v[57:58], v[69:70]
	v_fma_f64 v[1:2], v[1:2], v[57:58], -v[59:60]
	s_delay_alu instid0(VALU_DEP_4) | instskip(NEXT) | instid1(VALU_DEP_4)
	v_add_f64_e32 v[8:9], 0, v[10:11]
	v_add_f64_e32 v[6:7], 0, v[6:7]
	s_delay_alu instid0(VALU_DEP_2) | instskip(NEXT) | instid1(VALU_DEP_2)
	v_add_f64_e32 v[1:2], v[8:9], v[1:2]
	v_add_f64_e32 v[3:4], v[6:7], v[3:4]
	s_wait_loadcnt 0x0
	s_delay_alu instid0(VALU_DEP_2) | instskip(NEXT) | instid1(VALU_DEP_2)
	v_add_f64_e64 v[1:2], v[61:62], -v[1:2]
	v_add_f64_e64 v[3:4], v[63:64], -v[3:4]
	scratch_store_b128 off, v[1:4], off offset:320
	v_cmpx_lt_u32_e32 18, v0
	s_cbranch_execz .LBB21_109
; %bb.108:
	scratch_load_b128 v[1:4], off, s8
	v_mov_b32_e32 v6, 0
	s_delay_alu instid0(VALU_DEP_1)
	v_dual_mov_b32 v7, v6 :: v_dual_mov_b32 v8, v6
	v_mov_b32_e32 v9, v6
	scratch_store_b128 off, v[6:9], off offset:304
	s_wait_loadcnt 0x0
	ds_store_b128 v5, v[1:4]
.LBB21_109:
	s_wait_alu 0xfffe
	s_or_b32 exec_lo, exec_lo, s0
	s_wait_storecnt_dscnt 0x0
	s_barrier_signal -1
	s_barrier_wait -1
	global_inv scope:SCOPE_SE
	s_clause 0x3
	scratch_load_b128 v[6:9], off, off offset:320
	scratch_load_b128 v[57:60], off, off offset:336
	;; [unrolled: 1-line block ×4, first 2 shown]
	v_mov_b32_e32 v1, 0
	ds_load_b128 v[69:72], v1 offset:656
	ds_load_b128 v[73:76], v1 offset:672
	s_mov_b32 s0, exec_lo
	s_wait_loadcnt_dscnt 0x301
	v_mul_f64_e32 v[2:3], v[71:72], v[8:9]
	v_mul_f64_e32 v[8:9], v[69:70], v[8:9]
	s_wait_loadcnt_dscnt 0x200
	v_mul_f64_e32 v[10:11], v[73:74], v[59:60]
	v_mul_f64_e32 v[59:60], v[75:76], v[59:60]
	s_delay_alu instid0(VALU_DEP_4) | instskip(NEXT) | instid1(VALU_DEP_4)
	v_fma_f64 v[2:3], v[69:70], v[6:7], -v[2:3]
	v_fma_f64 v[69:70], v[71:72], v[6:7], v[8:9]
	ds_load_b128 v[6:9], v1 offset:688
	v_fma_f64 v[10:11], v[75:76], v[57:58], v[10:11]
	v_fma_f64 v[57:58], v[73:74], v[57:58], -v[59:60]
	s_wait_loadcnt_dscnt 0x100
	v_mul_f64_e32 v[71:72], v[6:7], v[63:64]
	v_mul_f64_e32 v[63:64], v[8:9], v[63:64]
	v_add_f64_e32 v[2:3], 0, v[2:3]
	v_add_f64_e32 v[59:60], 0, v[69:70]
	s_delay_alu instid0(VALU_DEP_4) | instskip(NEXT) | instid1(VALU_DEP_4)
	v_fma_f64 v[8:9], v[8:9], v[61:62], v[71:72]
	v_fma_f64 v[6:7], v[6:7], v[61:62], -v[63:64]
	s_delay_alu instid0(VALU_DEP_4) | instskip(NEXT) | instid1(VALU_DEP_4)
	v_add_f64_e32 v[2:3], v[2:3], v[57:58]
	v_add_f64_e32 v[10:11], v[59:60], v[10:11]
	s_delay_alu instid0(VALU_DEP_2) | instskip(NEXT) | instid1(VALU_DEP_2)
	v_add_f64_e32 v[2:3], v[2:3], v[6:7]
	v_add_f64_e32 v[8:9], v[10:11], v[8:9]
	s_wait_loadcnt 0x0
	s_delay_alu instid0(VALU_DEP_2) | instskip(NEXT) | instid1(VALU_DEP_2)
	v_add_f64_e64 v[6:7], v[65:66], -v[2:3]
	v_add_f64_e64 v[8:9], v[67:68], -v[8:9]
	scratch_store_b128 off, v[6:9], off offset:304
	v_cmpx_lt_u32_e32 17, v0
	s_cbranch_execz .LBB21_111
; %bb.110:
	scratch_load_b128 v[6:9], off, s4
	v_dual_mov_b32 v2, v1 :: v_dual_mov_b32 v3, v1
	v_mov_b32_e32 v4, v1
	scratch_store_b128 off, v[1:4], off offset:288
	s_wait_loadcnt 0x0
	ds_store_b128 v5, v[6:9]
.LBB21_111:
	s_wait_alu 0xfffe
	s_or_b32 exec_lo, exec_lo, s0
	s_wait_storecnt_dscnt 0x0
	s_barrier_signal -1
	s_barrier_wait -1
	global_inv scope:SCOPE_SE
	s_clause 0x4
	scratch_load_b128 v[6:9], off, off offset:304
	scratch_load_b128 v[57:60], off, off offset:320
	;; [unrolled: 1-line block ×5, first 2 shown]
	ds_load_b128 v[73:76], v1 offset:640
	ds_load_b128 v[77:80], v1 offset:656
	s_mov_b32 s0, exec_lo
	s_wait_loadcnt_dscnt 0x401
	v_mul_f64_e32 v[2:3], v[75:76], v[8:9]
	v_mul_f64_e32 v[8:9], v[73:74], v[8:9]
	s_wait_loadcnt_dscnt 0x300
	v_mul_f64_e32 v[10:11], v[77:78], v[59:60]
	v_mul_f64_e32 v[59:60], v[79:80], v[59:60]
	s_delay_alu instid0(VALU_DEP_4) | instskip(NEXT) | instid1(VALU_DEP_4)
	v_fma_f64 v[73:74], v[73:74], v[6:7], -v[2:3]
	v_fma_f64 v[75:76], v[75:76], v[6:7], v[8:9]
	ds_load_b128 v[6:9], v1 offset:672
	ds_load_b128 v[1:4], v1 offset:688
	v_fma_f64 v[10:11], v[79:80], v[57:58], v[10:11]
	v_fma_f64 v[57:58], v[77:78], v[57:58], -v[59:60]
	s_wait_loadcnt_dscnt 0x201
	v_mul_f64_e32 v[81:82], v[6:7], v[63:64]
	v_mul_f64_e32 v[63:64], v[8:9], v[63:64]
	v_add_f64_e32 v[59:60], 0, v[73:74]
	v_add_f64_e32 v[73:74], 0, v[75:76]
	s_wait_loadcnt_dscnt 0x100
	v_mul_f64_e32 v[75:76], v[1:2], v[67:68]
	v_mul_f64_e32 v[67:68], v[3:4], v[67:68]
	v_fma_f64 v[8:9], v[8:9], v[61:62], v[81:82]
	v_fma_f64 v[6:7], v[6:7], v[61:62], -v[63:64]
	v_add_f64_e32 v[57:58], v[59:60], v[57:58]
	v_add_f64_e32 v[10:11], v[73:74], v[10:11]
	v_fma_f64 v[3:4], v[3:4], v[65:66], v[75:76]
	v_fma_f64 v[1:2], v[1:2], v[65:66], -v[67:68]
	s_delay_alu instid0(VALU_DEP_4) | instskip(NEXT) | instid1(VALU_DEP_4)
	v_add_f64_e32 v[6:7], v[57:58], v[6:7]
	v_add_f64_e32 v[8:9], v[10:11], v[8:9]
	s_delay_alu instid0(VALU_DEP_2) | instskip(NEXT) | instid1(VALU_DEP_2)
	v_add_f64_e32 v[1:2], v[6:7], v[1:2]
	v_add_f64_e32 v[3:4], v[8:9], v[3:4]
	s_wait_loadcnt 0x0
	s_delay_alu instid0(VALU_DEP_2) | instskip(NEXT) | instid1(VALU_DEP_2)
	v_add_f64_e64 v[1:2], v[69:70], -v[1:2]
	v_add_f64_e64 v[3:4], v[71:72], -v[3:4]
	scratch_store_b128 off, v[1:4], off offset:288
	v_cmpx_lt_u32_e32 16, v0
	s_cbranch_execz .LBB21_113
; %bb.112:
	scratch_load_b128 v[1:4], off, s28
	v_mov_b32_e32 v6, 0
	s_delay_alu instid0(VALU_DEP_1)
	v_dual_mov_b32 v7, v6 :: v_dual_mov_b32 v8, v6
	v_mov_b32_e32 v9, v6
	scratch_store_b128 off, v[6:9], off offset:272
	s_wait_loadcnt 0x0
	ds_store_b128 v5, v[1:4]
.LBB21_113:
	s_wait_alu 0xfffe
	s_or_b32 exec_lo, exec_lo, s0
	s_wait_storecnt_dscnt 0x0
	s_barrier_signal -1
	s_barrier_wait -1
	global_inv scope:SCOPE_SE
	s_clause 0x5
	scratch_load_b128 v[6:9], off, off offset:288
	scratch_load_b128 v[57:60], off, off offset:304
	;; [unrolled: 1-line block ×6, first 2 shown]
	v_mov_b32_e32 v1, 0
	ds_load_b128 v[77:80], v1 offset:624
	ds_load_b128 v[81:84], v1 offset:640
	s_mov_b32 s0, exec_lo
	s_wait_loadcnt_dscnt 0x501
	v_mul_f64_e32 v[2:3], v[79:80], v[8:9]
	v_mul_f64_e32 v[8:9], v[77:78], v[8:9]
	s_wait_loadcnt_dscnt 0x400
	v_mul_f64_e32 v[10:11], v[81:82], v[59:60]
	v_mul_f64_e32 v[59:60], v[83:84], v[59:60]
	s_delay_alu instid0(VALU_DEP_4) | instskip(NEXT) | instid1(VALU_DEP_4)
	v_fma_f64 v[2:3], v[77:78], v[6:7], -v[2:3]
	v_fma_f64 v[85:86], v[79:80], v[6:7], v[8:9]
	ds_load_b128 v[6:9], v1 offset:656
	ds_load_b128 v[77:80], v1 offset:672
	v_fma_f64 v[10:11], v[83:84], v[57:58], v[10:11]
	v_fma_f64 v[57:58], v[81:82], v[57:58], -v[59:60]
	s_wait_loadcnt_dscnt 0x301
	v_mul_f64_e32 v[87:88], v[6:7], v[63:64]
	v_mul_f64_e32 v[63:64], v[8:9], v[63:64]
	s_wait_loadcnt_dscnt 0x200
	v_mul_f64_e32 v[81:82], v[77:78], v[67:68]
	v_mul_f64_e32 v[67:68], v[79:80], v[67:68]
	v_add_f64_e32 v[2:3], 0, v[2:3]
	v_add_f64_e32 v[59:60], 0, v[85:86]
	v_fma_f64 v[83:84], v[8:9], v[61:62], v[87:88]
	v_fma_f64 v[61:62], v[6:7], v[61:62], -v[63:64]
	ds_load_b128 v[6:9], v1 offset:688
	v_fma_f64 v[63:64], v[79:80], v[65:66], v[81:82]
	v_fma_f64 v[65:66], v[77:78], v[65:66], -v[67:68]
	v_add_f64_e32 v[2:3], v[2:3], v[57:58]
	v_add_f64_e32 v[10:11], v[59:60], v[10:11]
	s_wait_loadcnt_dscnt 0x100
	v_mul_f64_e32 v[57:58], v[6:7], v[71:72]
	v_mul_f64_e32 v[59:60], v[8:9], v[71:72]
	s_delay_alu instid0(VALU_DEP_4) | instskip(NEXT) | instid1(VALU_DEP_4)
	v_add_f64_e32 v[2:3], v[2:3], v[61:62]
	v_add_f64_e32 v[10:11], v[10:11], v[83:84]
	s_delay_alu instid0(VALU_DEP_4) | instskip(NEXT) | instid1(VALU_DEP_4)
	v_fma_f64 v[8:9], v[8:9], v[69:70], v[57:58]
	v_fma_f64 v[6:7], v[6:7], v[69:70], -v[59:60]
	s_delay_alu instid0(VALU_DEP_4) | instskip(NEXT) | instid1(VALU_DEP_4)
	v_add_f64_e32 v[2:3], v[2:3], v[65:66]
	v_add_f64_e32 v[10:11], v[10:11], v[63:64]
	s_delay_alu instid0(VALU_DEP_2) | instskip(NEXT) | instid1(VALU_DEP_2)
	v_add_f64_e32 v[2:3], v[2:3], v[6:7]
	v_add_f64_e32 v[8:9], v[10:11], v[8:9]
	s_wait_loadcnt 0x0
	s_delay_alu instid0(VALU_DEP_2) | instskip(NEXT) | instid1(VALU_DEP_2)
	v_add_f64_e64 v[6:7], v[73:74], -v[2:3]
	v_add_f64_e64 v[8:9], v[75:76], -v[8:9]
	scratch_store_b128 off, v[6:9], off offset:272
	v_cmpx_lt_u32_e32 15, v0
	s_cbranch_execz .LBB21_115
; %bb.114:
	scratch_load_b128 v[6:9], off, s26
	v_dual_mov_b32 v2, v1 :: v_dual_mov_b32 v3, v1
	v_mov_b32_e32 v4, v1
	scratch_store_b128 off, v[1:4], off offset:256
	s_wait_loadcnt 0x0
	ds_store_b128 v5, v[6:9]
.LBB21_115:
	s_wait_alu 0xfffe
	s_or_b32 exec_lo, exec_lo, s0
	s_wait_storecnt_dscnt 0x0
	s_barrier_signal -1
	s_barrier_wait -1
	global_inv scope:SCOPE_SE
	s_clause 0x5
	scratch_load_b128 v[6:9], off, off offset:272
	scratch_load_b128 v[57:60], off, off offset:288
	;; [unrolled: 1-line block ×6, first 2 shown]
	ds_load_b128 v[77:80], v1 offset:608
	ds_load_b128 v[85:88], v1 offset:624
	scratch_load_b128 v[81:84], off, off offset:256
	s_mov_b32 s0, exec_lo
	s_wait_loadcnt_dscnt 0x601
	v_mul_f64_e32 v[2:3], v[79:80], v[8:9]
	v_mul_f64_e32 v[8:9], v[77:78], v[8:9]
	s_wait_loadcnt_dscnt 0x500
	v_mul_f64_e32 v[10:11], v[85:86], v[59:60]
	v_mul_f64_e32 v[59:60], v[87:88], v[59:60]
	s_delay_alu instid0(VALU_DEP_4) | instskip(NEXT) | instid1(VALU_DEP_4)
	v_fma_f64 v[2:3], v[77:78], v[6:7], -v[2:3]
	v_fma_f64 v[89:90], v[79:80], v[6:7], v[8:9]
	ds_load_b128 v[6:9], v1 offset:640
	ds_load_b128 v[77:80], v1 offset:656
	v_fma_f64 v[10:11], v[87:88], v[57:58], v[10:11]
	v_fma_f64 v[57:58], v[85:86], v[57:58], -v[59:60]
	s_wait_loadcnt_dscnt 0x401
	v_mul_f64_e32 v[91:92], v[6:7], v[63:64]
	v_mul_f64_e32 v[63:64], v[8:9], v[63:64]
	s_wait_loadcnt_dscnt 0x300
	v_mul_f64_e32 v[85:86], v[77:78], v[67:68]
	v_mul_f64_e32 v[67:68], v[79:80], v[67:68]
	v_add_f64_e32 v[2:3], 0, v[2:3]
	v_add_f64_e32 v[59:60], 0, v[89:90]
	v_fma_f64 v[87:88], v[8:9], v[61:62], v[91:92]
	v_fma_f64 v[61:62], v[6:7], v[61:62], -v[63:64]
	s_delay_alu instid0(VALU_DEP_4) | instskip(NEXT) | instid1(VALU_DEP_4)
	v_add_f64_e32 v[57:58], v[2:3], v[57:58]
	v_add_f64_e32 v[10:11], v[59:60], v[10:11]
	ds_load_b128 v[6:9], v1 offset:672
	ds_load_b128 v[1:4], v1 offset:688
	s_wait_loadcnt_dscnt 0x201
	v_mul_f64_e32 v[59:60], v[6:7], v[71:72]
	v_mul_f64_e32 v[63:64], v[8:9], v[71:72]
	v_fma_f64 v[71:72], v[79:80], v[65:66], v[85:86]
	v_fma_f64 v[65:66], v[77:78], v[65:66], -v[67:68]
	s_wait_loadcnt_dscnt 0x100
	v_mul_f64_e32 v[67:68], v[3:4], v[75:76]
	v_add_f64_e32 v[57:58], v[57:58], v[61:62]
	v_add_f64_e32 v[10:11], v[10:11], v[87:88]
	v_mul_f64_e32 v[61:62], v[1:2], v[75:76]
	v_fma_f64 v[8:9], v[8:9], v[69:70], v[59:60]
	v_fma_f64 v[6:7], v[6:7], v[69:70], -v[63:64]
	v_fma_f64 v[1:2], v[1:2], v[73:74], -v[67:68]
	v_add_f64_e32 v[57:58], v[57:58], v[65:66]
	v_add_f64_e32 v[10:11], v[10:11], v[71:72]
	v_fma_f64 v[3:4], v[3:4], v[73:74], v[61:62]
	s_delay_alu instid0(VALU_DEP_3) | instskip(NEXT) | instid1(VALU_DEP_3)
	v_add_f64_e32 v[6:7], v[57:58], v[6:7]
	v_add_f64_e32 v[8:9], v[10:11], v[8:9]
	s_delay_alu instid0(VALU_DEP_2) | instskip(NEXT) | instid1(VALU_DEP_2)
	v_add_f64_e32 v[1:2], v[6:7], v[1:2]
	v_add_f64_e32 v[3:4], v[8:9], v[3:4]
	s_wait_loadcnt 0x0
	s_delay_alu instid0(VALU_DEP_2) | instskip(NEXT) | instid1(VALU_DEP_2)
	v_add_f64_e64 v[1:2], v[81:82], -v[1:2]
	v_add_f64_e64 v[3:4], v[83:84], -v[3:4]
	scratch_store_b128 off, v[1:4], off offset:256
	v_cmpx_lt_u32_e32 14, v0
	s_cbranch_execz .LBB21_117
; %bb.116:
	scratch_load_b128 v[1:4], off, s27
	v_mov_b32_e32 v6, 0
	s_delay_alu instid0(VALU_DEP_1)
	v_dual_mov_b32 v7, v6 :: v_dual_mov_b32 v8, v6
	v_mov_b32_e32 v9, v6
	scratch_store_b128 off, v[6:9], off offset:240
	s_wait_loadcnt 0x0
	ds_store_b128 v5, v[1:4]
.LBB21_117:
	s_wait_alu 0xfffe
	s_or_b32 exec_lo, exec_lo, s0
	s_wait_storecnt_dscnt 0x0
	s_barrier_signal -1
	s_barrier_wait -1
	global_inv scope:SCOPE_SE
	s_clause 0x6
	scratch_load_b128 v[6:9], off, off offset:256
	scratch_load_b128 v[57:60], off, off offset:272
	;; [unrolled: 1-line block ×7, first 2 shown]
	v_mov_b32_e32 v1, 0
	scratch_load_b128 v[85:88], off, off offset:240
	s_mov_b32 s0, exec_lo
	ds_load_b128 v[81:84], v1 offset:592
	s_wait_loadcnt_dscnt 0x700
	v_mul_f64_e32 v[2:3], v[83:84], v[8:9]
	v_mul_f64_e32 v[89:90], v[81:82], v[8:9]
	ds_load_b128 v[8:11], v1 offset:608
	v_fma_f64 v[2:3], v[81:82], v[6:7], -v[2:3]
	v_fma_f64 v[6:7], v[83:84], v[6:7], v[89:90]
	ds_load_b128 v[81:84], v1 offset:624
	s_wait_loadcnt_dscnt 0x601
	v_mul_f64_e32 v[91:92], v[8:9], v[59:60]
	v_mul_f64_e32 v[59:60], v[10:11], v[59:60]
	s_wait_loadcnt_dscnt 0x500
	v_mul_f64_e32 v[89:90], v[81:82], v[63:64]
	v_mul_f64_e32 v[63:64], v[83:84], v[63:64]
	v_add_f64_e32 v[2:3], 0, v[2:3]
	v_fma_f64 v[10:11], v[10:11], v[57:58], v[91:92]
	v_fma_f64 v[57:58], v[8:9], v[57:58], -v[59:60]
	v_add_f64_e32 v[59:60], 0, v[6:7]
	ds_load_b128 v[6:9], v1 offset:640
	v_fma_f64 v[83:84], v[83:84], v[61:62], v[89:90]
	v_fma_f64 v[61:62], v[81:82], v[61:62], -v[63:64]
	v_add_f64_e32 v[2:3], v[2:3], v[57:58]
	v_add_f64_e32 v[10:11], v[59:60], v[10:11]
	ds_load_b128 v[57:60], v1 offset:656
	s_wait_loadcnt_dscnt 0x401
	v_mul_f64_e32 v[91:92], v[6:7], v[67:68]
	v_mul_f64_e32 v[67:68], v[8:9], v[67:68]
	s_wait_loadcnt_dscnt 0x300
	v_mul_f64_e32 v[63:64], v[57:58], v[71:72]
	v_mul_f64_e32 v[71:72], v[59:60], v[71:72]
	v_add_f64_e32 v[2:3], v[2:3], v[61:62]
	v_add_f64_e32 v[10:11], v[10:11], v[83:84]
	v_fma_f64 v[81:82], v[8:9], v[65:66], v[91:92]
	v_fma_f64 v[65:66], v[6:7], v[65:66], -v[67:68]
	ds_load_b128 v[6:9], v1 offset:672
	v_fma_f64 v[63:64], v[59:60], v[69:70], v[63:64]
	v_fma_f64 v[69:70], v[57:58], v[69:70], -v[71:72]
	ds_load_b128 v[57:60], v1 offset:688
	s_wait_loadcnt_dscnt 0x201
	v_mul_f64_e32 v[61:62], v[6:7], v[75:76]
	v_mul_f64_e32 v[67:68], v[8:9], v[75:76]
	v_add_f64_e32 v[10:11], v[10:11], v[81:82]
	v_add_f64_e32 v[2:3], v[2:3], v[65:66]
	s_wait_loadcnt_dscnt 0x100
	v_mul_f64_e32 v[65:66], v[57:58], v[79:80]
	v_mul_f64_e32 v[71:72], v[59:60], v[79:80]
	v_fma_f64 v[8:9], v[8:9], v[73:74], v[61:62]
	v_fma_f64 v[6:7], v[6:7], v[73:74], -v[67:68]
	v_add_f64_e32 v[10:11], v[10:11], v[63:64]
	v_add_f64_e32 v[2:3], v[2:3], v[69:70]
	v_fma_f64 v[59:60], v[59:60], v[77:78], v[65:66]
	v_fma_f64 v[57:58], v[57:58], v[77:78], -v[71:72]
	s_delay_alu instid0(VALU_DEP_3) | instskip(SKIP_1) | instid1(VALU_DEP_2)
	v_add_f64_e32 v[2:3], v[2:3], v[6:7]
	v_add_f64_e32 v[6:7], v[10:11], v[8:9]
	;; [unrolled: 1-line block ×3, first 2 shown]
	s_delay_alu instid0(VALU_DEP_2) | instskip(SKIP_1) | instid1(VALU_DEP_2)
	v_add_f64_e32 v[8:9], v[6:7], v[59:60]
	s_wait_loadcnt 0x0
	v_add_f64_e64 v[6:7], v[85:86], -v[2:3]
	s_delay_alu instid0(VALU_DEP_2)
	v_add_f64_e64 v[8:9], v[87:88], -v[8:9]
	scratch_store_b128 off, v[6:9], off offset:240
	v_cmpx_lt_u32_e32 13, v0
	s_cbranch_execz .LBB21_119
; %bb.118:
	scratch_load_b128 v[6:9], off, s22
	v_dual_mov_b32 v2, v1 :: v_dual_mov_b32 v3, v1
	v_mov_b32_e32 v4, v1
	scratch_store_b128 off, v[1:4], off offset:224
	s_wait_loadcnt 0x0
	ds_store_b128 v5, v[6:9]
.LBB21_119:
	s_wait_alu 0xfffe
	s_or_b32 exec_lo, exec_lo, s0
	s_wait_storecnt_dscnt 0x0
	s_barrier_signal -1
	s_barrier_wait -1
	global_inv scope:SCOPE_SE
	s_clause 0x7
	scratch_load_b128 v[6:9], off, off offset:240
	scratch_load_b128 v[57:60], off, off offset:256
	;; [unrolled: 1-line block ×8, first 2 shown]
	ds_load_b128 v[85:88], v1 offset:576
	s_mov_b32 s0, exec_lo
	s_wait_loadcnt_dscnt 0x700
	v_mul_f64_e32 v[2:3], v[87:88], v[8:9]
	v_mul_f64_e32 v[89:90], v[85:86], v[8:9]
	ds_load_b128 v[8:11], v1 offset:592
	v_fma_f64 v[2:3], v[85:86], v[6:7], -v[2:3]
	v_fma_f64 v[6:7], v[87:88], v[6:7], v[89:90]
	ds_load_b128 v[85:88], v1 offset:608
	s_wait_loadcnt_dscnt 0x601
	v_mul_f64_e32 v[93:94], v[8:9], v[59:60]
	v_mul_f64_e32 v[59:60], v[10:11], v[59:60]
	scratch_load_b128 v[89:92], off, off offset:224
	s_wait_loadcnt_dscnt 0x600
	v_mul_f64_e32 v[95:96], v[85:86], v[63:64]
	v_mul_f64_e32 v[63:64], v[87:88], v[63:64]
	v_add_f64_e32 v[2:3], 0, v[2:3]
	v_fma_f64 v[10:11], v[10:11], v[57:58], v[93:94]
	v_fma_f64 v[57:58], v[8:9], v[57:58], -v[59:60]
	v_add_f64_e32 v[59:60], 0, v[6:7]
	ds_load_b128 v[6:9], v1 offset:624
	v_fma_f64 v[87:88], v[87:88], v[61:62], v[95:96]
	v_fma_f64 v[61:62], v[85:86], v[61:62], -v[63:64]
	v_add_f64_e32 v[2:3], v[2:3], v[57:58]
	v_add_f64_e32 v[10:11], v[59:60], v[10:11]
	ds_load_b128 v[57:60], v1 offset:640
	s_wait_loadcnt_dscnt 0x501
	v_mul_f64_e32 v[93:94], v[6:7], v[67:68]
	v_mul_f64_e32 v[67:68], v[8:9], v[67:68]
	s_wait_loadcnt_dscnt 0x400
	v_mul_f64_e32 v[63:64], v[57:58], v[71:72]
	v_mul_f64_e32 v[71:72], v[59:60], v[71:72]
	v_add_f64_e32 v[2:3], v[2:3], v[61:62]
	v_add_f64_e32 v[10:11], v[10:11], v[87:88]
	v_fma_f64 v[85:86], v[8:9], v[65:66], v[93:94]
	v_fma_f64 v[65:66], v[6:7], v[65:66], -v[67:68]
	ds_load_b128 v[6:9], v1 offset:656
	v_fma_f64 v[63:64], v[59:60], v[69:70], v[63:64]
	v_fma_f64 v[69:70], v[57:58], v[69:70], -v[71:72]
	ds_load_b128 v[57:60], v1 offset:672
	s_wait_loadcnt_dscnt 0x301
	v_mul_f64_e32 v[61:62], v[6:7], v[75:76]
	v_mul_f64_e32 v[67:68], v[8:9], v[75:76]
	v_add_f64_e32 v[10:11], v[10:11], v[85:86]
	v_add_f64_e32 v[2:3], v[2:3], v[65:66]
	s_wait_loadcnt_dscnt 0x200
	v_mul_f64_e32 v[65:66], v[57:58], v[79:80]
	v_mul_f64_e32 v[71:72], v[59:60], v[79:80]
	v_fma_f64 v[8:9], v[8:9], v[73:74], v[61:62]
	v_fma_f64 v[6:7], v[6:7], v[73:74], -v[67:68]
	v_add_f64_e32 v[10:11], v[10:11], v[63:64]
	v_add_f64_e32 v[61:62], v[2:3], v[69:70]
	ds_load_b128 v[1:4], v1 offset:688
	v_fma_f64 v[59:60], v[59:60], v[77:78], v[65:66]
	v_fma_f64 v[57:58], v[57:58], v[77:78], -v[71:72]
	s_wait_loadcnt_dscnt 0x100
	v_mul_f64_e32 v[63:64], v[1:2], v[83:84]
	v_mul_f64_e32 v[67:68], v[3:4], v[83:84]
	v_add_f64_e32 v[8:9], v[10:11], v[8:9]
	v_add_f64_e32 v[6:7], v[61:62], v[6:7]
	s_delay_alu instid0(VALU_DEP_4) | instskip(NEXT) | instid1(VALU_DEP_4)
	v_fma_f64 v[3:4], v[3:4], v[81:82], v[63:64]
	v_fma_f64 v[1:2], v[1:2], v[81:82], -v[67:68]
	s_delay_alu instid0(VALU_DEP_4) | instskip(NEXT) | instid1(VALU_DEP_4)
	v_add_f64_e32 v[8:9], v[8:9], v[59:60]
	v_add_f64_e32 v[6:7], v[6:7], v[57:58]
	s_delay_alu instid0(VALU_DEP_2) | instskip(NEXT) | instid1(VALU_DEP_2)
	v_add_f64_e32 v[3:4], v[8:9], v[3:4]
	v_add_f64_e32 v[1:2], v[6:7], v[1:2]
	s_wait_loadcnt 0x0
	s_delay_alu instid0(VALU_DEP_2) | instskip(NEXT) | instid1(VALU_DEP_2)
	v_add_f64_e64 v[3:4], v[91:92], -v[3:4]
	v_add_f64_e64 v[1:2], v[89:90], -v[1:2]
	scratch_store_b128 off, v[1:4], off offset:224
	v_cmpx_lt_u32_e32 12, v0
	s_cbranch_execz .LBB21_121
; %bb.120:
	scratch_load_b128 v[1:4], off, s25
	v_mov_b32_e32 v6, 0
	s_delay_alu instid0(VALU_DEP_1)
	v_dual_mov_b32 v7, v6 :: v_dual_mov_b32 v8, v6
	v_mov_b32_e32 v9, v6
	scratch_store_b128 off, v[6:9], off offset:208
	s_wait_loadcnt 0x0
	ds_store_b128 v5, v[1:4]
.LBB21_121:
	s_wait_alu 0xfffe
	s_or_b32 exec_lo, exec_lo, s0
	s_wait_storecnt_dscnt 0x0
	s_barrier_signal -1
	s_barrier_wait -1
	global_inv scope:SCOPE_SE
	s_clause 0x7
	scratch_load_b128 v[6:9], off, off offset:224
	scratch_load_b128 v[57:60], off, off offset:240
	;; [unrolled: 1-line block ×8, first 2 shown]
	v_mov_b32_e32 v1, 0
	s_mov_b32 s0, exec_lo
	ds_load_b128 v[85:88], v1 offset:560
	s_clause 0x1
	scratch_load_b128 v[89:92], off, off offset:352
	scratch_load_b128 v[93:96], off, off offset:208
	ds_load_b128 v[97:100], v1 offset:576
	s_wait_loadcnt_dscnt 0x901
	v_mul_f64_e32 v[2:3], v[87:88], v[8:9]
	v_mul_f64_e32 v[8:9], v[85:86], v[8:9]
	s_wait_loadcnt_dscnt 0x800
	v_mul_f64_e32 v[10:11], v[97:98], v[59:60]
	v_mul_f64_e32 v[59:60], v[99:100], v[59:60]
	s_delay_alu instid0(VALU_DEP_4) | instskip(NEXT) | instid1(VALU_DEP_4)
	v_fma_f64 v[2:3], v[85:86], v[6:7], -v[2:3]
	v_fma_f64 v[101:102], v[87:88], v[6:7], v[8:9]
	ds_load_b128 v[6:9], v1 offset:592
	ds_load_b128 v[85:88], v1 offset:608
	v_fma_f64 v[10:11], v[99:100], v[57:58], v[10:11]
	v_fma_f64 v[57:58], v[97:98], v[57:58], -v[59:60]
	s_wait_loadcnt_dscnt 0x701
	v_mul_f64_e32 v[103:104], v[6:7], v[63:64]
	v_mul_f64_e32 v[63:64], v[8:9], v[63:64]
	s_wait_loadcnt_dscnt 0x600
	v_mul_f64_e32 v[97:98], v[85:86], v[67:68]
	v_mul_f64_e32 v[67:68], v[87:88], v[67:68]
	v_add_f64_e32 v[2:3], 0, v[2:3]
	v_add_f64_e32 v[59:60], 0, v[101:102]
	v_fma_f64 v[99:100], v[8:9], v[61:62], v[103:104]
	v_fma_f64 v[61:62], v[6:7], v[61:62], -v[63:64]
	v_fma_f64 v[87:88], v[87:88], v[65:66], v[97:98]
	v_fma_f64 v[65:66], v[85:86], v[65:66], -v[67:68]
	v_add_f64_e32 v[2:3], v[2:3], v[57:58]
	v_add_f64_e32 v[10:11], v[59:60], v[10:11]
	ds_load_b128 v[6:9], v1 offset:624
	ds_load_b128 v[57:60], v1 offset:640
	s_wait_loadcnt_dscnt 0x501
	v_mul_f64_e32 v[63:64], v[6:7], v[71:72]
	v_mul_f64_e32 v[71:72], v[8:9], v[71:72]
	s_wait_loadcnt_dscnt 0x400
	v_mul_f64_e32 v[67:68], v[57:58], v[75:76]
	v_mul_f64_e32 v[75:76], v[59:60], v[75:76]
	v_add_f64_e32 v[2:3], v[2:3], v[61:62]
	v_add_f64_e32 v[10:11], v[10:11], v[99:100]
	v_fma_f64 v[85:86], v[8:9], v[69:70], v[63:64]
	v_fma_f64 v[69:70], v[6:7], v[69:70], -v[71:72]
	ds_load_b128 v[6:9], v1 offset:656
	ds_load_b128 v[61:64], v1 offset:672
	v_fma_f64 v[59:60], v[59:60], v[73:74], v[67:68]
	v_fma_f64 v[57:58], v[57:58], v[73:74], -v[75:76]
	v_add_f64_e32 v[2:3], v[2:3], v[65:66]
	v_add_f64_e32 v[10:11], v[10:11], v[87:88]
	s_wait_loadcnt_dscnt 0x301
	v_mul_f64_e32 v[65:66], v[6:7], v[79:80]
	v_mul_f64_e32 v[71:72], v[8:9], v[79:80]
	s_wait_loadcnt_dscnt 0x200
	v_mul_f64_e32 v[67:68], v[61:62], v[83:84]
	v_add_f64_e32 v[2:3], v[2:3], v[69:70]
	v_add_f64_e32 v[10:11], v[10:11], v[85:86]
	v_mul_f64_e32 v[69:70], v[63:64], v[83:84]
	v_fma_f64 v[65:66], v[8:9], v[77:78], v[65:66]
	v_fma_f64 v[71:72], v[6:7], v[77:78], -v[71:72]
	ds_load_b128 v[6:9], v1 offset:688
	v_fma_f64 v[63:64], v[63:64], v[81:82], v[67:68]
	v_add_f64_e32 v[2:3], v[2:3], v[57:58]
	v_add_f64_e32 v[10:11], v[10:11], v[59:60]
	s_wait_loadcnt_dscnt 0x100
	v_mul_f64_e32 v[57:58], v[6:7], v[91:92]
	v_mul_f64_e32 v[59:60], v[8:9], v[91:92]
	v_fma_f64 v[61:62], v[61:62], v[81:82], -v[69:70]
	v_add_f64_e32 v[2:3], v[2:3], v[71:72]
	v_add_f64_e32 v[10:11], v[10:11], v[65:66]
	v_fma_f64 v[8:9], v[8:9], v[89:90], v[57:58]
	v_fma_f64 v[6:7], v[6:7], v[89:90], -v[59:60]
	s_delay_alu instid0(VALU_DEP_4) | instskip(NEXT) | instid1(VALU_DEP_4)
	v_add_f64_e32 v[2:3], v[2:3], v[61:62]
	v_add_f64_e32 v[10:11], v[10:11], v[63:64]
	s_delay_alu instid0(VALU_DEP_2) | instskip(NEXT) | instid1(VALU_DEP_2)
	v_add_f64_e32 v[2:3], v[2:3], v[6:7]
	v_add_f64_e32 v[8:9], v[10:11], v[8:9]
	s_wait_loadcnt 0x0
	s_delay_alu instid0(VALU_DEP_2) | instskip(NEXT) | instid1(VALU_DEP_2)
	v_add_f64_e64 v[6:7], v[93:94], -v[2:3]
	v_add_f64_e64 v[8:9], v[95:96], -v[8:9]
	scratch_store_b128 off, v[6:9], off offset:208
	v_cmpx_lt_u32_e32 11, v0
	s_cbranch_execz .LBB21_123
; %bb.122:
	scratch_load_b128 v[6:9], off, s12
	v_dual_mov_b32 v2, v1 :: v_dual_mov_b32 v3, v1
	v_mov_b32_e32 v4, v1
	scratch_store_b128 off, v[1:4], off offset:192
	s_wait_loadcnt 0x0
	ds_store_b128 v5, v[6:9]
.LBB21_123:
	s_wait_alu 0xfffe
	s_or_b32 exec_lo, exec_lo, s0
	s_wait_storecnt_dscnt 0x0
	s_barrier_signal -1
	s_barrier_wait -1
	global_inv scope:SCOPE_SE
	s_clause 0x8
	scratch_load_b128 v[6:9], off, off offset:208
	scratch_load_b128 v[57:60], off, off offset:224
	;; [unrolled: 1-line block ×9, first 2 shown]
	ds_load_b128 v[89:92], v1 offset:544
	ds_load_b128 v[93:96], v1 offset:560
	scratch_load_b128 v[97:100], off, off offset:192
	s_mov_b32 s0, exec_lo
	s_wait_loadcnt_dscnt 0x901
	v_mul_f64_e32 v[2:3], v[91:92], v[8:9]
	v_mul_f64_e32 v[101:102], v[89:90], v[8:9]
	scratch_load_b128 v[8:11], off, off offset:352
	s_wait_loadcnt_dscnt 0x900
	v_mul_f64_e32 v[105:106], v[93:94], v[59:60]
	v_mul_f64_e32 v[59:60], v[95:96], v[59:60]
	v_fma_f64 v[2:3], v[89:90], v[6:7], -v[2:3]
	v_fma_f64 v[6:7], v[91:92], v[6:7], v[101:102]
	ds_load_b128 v[89:92], v1 offset:576
	ds_load_b128 v[101:104], v1 offset:592
	v_fma_f64 v[95:96], v[95:96], v[57:58], v[105:106]
	v_fma_f64 v[57:58], v[93:94], v[57:58], -v[59:60]
	s_wait_loadcnt_dscnt 0x801
	v_mul_f64_e32 v[107:108], v[89:90], v[63:64]
	v_mul_f64_e32 v[63:64], v[91:92], v[63:64]
	s_wait_loadcnt_dscnt 0x700
	v_mul_f64_e32 v[93:94], v[101:102], v[67:68]
	v_mul_f64_e32 v[67:68], v[103:104], v[67:68]
	v_add_f64_e32 v[2:3], 0, v[2:3]
	v_add_f64_e32 v[6:7], 0, v[6:7]
	v_fma_f64 v[91:92], v[91:92], v[61:62], v[107:108]
	v_fma_f64 v[89:90], v[89:90], v[61:62], -v[63:64]
	v_fma_f64 v[93:94], v[103:104], v[65:66], v[93:94]
	v_fma_f64 v[65:66], v[101:102], v[65:66], -v[67:68]
	v_add_f64_e32 v[2:3], v[2:3], v[57:58]
	v_add_f64_e32 v[6:7], v[6:7], v[95:96]
	ds_load_b128 v[57:60], v1 offset:608
	ds_load_b128 v[61:64], v1 offset:624
	s_wait_loadcnt_dscnt 0x601
	v_mul_f64_e32 v[95:96], v[57:58], v[71:72]
	v_mul_f64_e32 v[71:72], v[59:60], v[71:72]
	v_add_f64_e32 v[2:3], v[2:3], v[89:90]
	v_add_f64_e32 v[6:7], v[6:7], v[91:92]
	s_wait_loadcnt_dscnt 0x500
	v_mul_f64_e32 v[89:90], v[61:62], v[75:76]
	v_mul_f64_e32 v[75:76], v[63:64], v[75:76]
	v_fma_f64 v[91:92], v[59:60], v[69:70], v[95:96]
	v_fma_f64 v[69:70], v[57:58], v[69:70], -v[71:72]
	v_add_f64_e32 v[2:3], v[2:3], v[65:66]
	v_add_f64_e32 v[6:7], v[6:7], v[93:94]
	ds_load_b128 v[57:60], v1 offset:640
	ds_load_b128 v[65:68], v1 offset:656
	v_fma_f64 v[63:64], v[63:64], v[73:74], v[89:90]
	v_fma_f64 v[61:62], v[61:62], v[73:74], -v[75:76]
	s_wait_loadcnt_dscnt 0x401
	v_mul_f64_e32 v[71:72], v[57:58], v[79:80]
	v_mul_f64_e32 v[79:80], v[59:60], v[79:80]
	s_wait_loadcnt_dscnt 0x300
	v_mul_f64_e32 v[73:74], v[67:68], v[83:84]
	v_add_f64_e32 v[2:3], v[2:3], v[69:70]
	v_add_f64_e32 v[6:7], v[6:7], v[91:92]
	v_mul_f64_e32 v[69:70], v[65:66], v[83:84]
	v_fma_f64 v[71:72], v[59:60], v[77:78], v[71:72]
	v_fma_f64 v[75:76], v[57:58], v[77:78], -v[79:80]
	v_fma_f64 v[65:66], v[65:66], v[81:82], -v[73:74]
	v_add_f64_e32 v[61:62], v[2:3], v[61:62]
	v_add_f64_e32 v[6:7], v[6:7], v[63:64]
	ds_load_b128 v[57:60], v1 offset:672
	ds_load_b128 v[1:4], v1 offset:688
	v_fma_f64 v[67:68], v[67:68], v[81:82], v[69:70]
	s_wait_loadcnt_dscnt 0x201
	v_mul_f64_e32 v[63:64], v[57:58], v[87:88]
	v_mul_f64_e32 v[77:78], v[59:60], v[87:88]
	v_add_f64_e32 v[61:62], v[61:62], v[75:76]
	v_add_f64_e32 v[6:7], v[6:7], v[71:72]
	s_wait_loadcnt_dscnt 0x0
	v_mul_f64_e32 v[69:70], v[1:2], v[10:11]
	v_mul_f64_e32 v[10:11], v[3:4], v[10:11]
	v_fma_f64 v[59:60], v[59:60], v[85:86], v[63:64]
	v_fma_f64 v[57:58], v[57:58], v[85:86], -v[77:78]
	v_add_f64_e32 v[61:62], v[61:62], v[65:66]
	v_add_f64_e32 v[6:7], v[6:7], v[67:68]
	v_fma_f64 v[3:4], v[3:4], v[8:9], v[69:70]
	v_fma_f64 v[1:2], v[1:2], v[8:9], -v[10:11]
	s_delay_alu instid0(VALU_DEP_4) | instskip(NEXT) | instid1(VALU_DEP_4)
	v_add_f64_e32 v[8:9], v[61:62], v[57:58]
	v_add_f64_e32 v[6:7], v[6:7], v[59:60]
	s_delay_alu instid0(VALU_DEP_2) | instskip(NEXT) | instid1(VALU_DEP_2)
	v_add_f64_e32 v[1:2], v[8:9], v[1:2]
	v_add_f64_e32 v[3:4], v[6:7], v[3:4]
	s_delay_alu instid0(VALU_DEP_2) | instskip(NEXT) | instid1(VALU_DEP_2)
	v_add_f64_e64 v[1:2], v[97:98], -v[1:2]
	v_add_f64_e64 v[3:4], v[99:100], -v[3:4]
	scratch_store_b128 off, v[1:4], off offset:192
	v_cmpx_lt_u32_e32 10, v0
	s_cbranch_execz .LBB21_125
; %bb.124:
	scratch_load_b128 v[1:4], off, s20
	v_mov_b32_e32 v6, 0
	s_delay_alu instid0(VALU_DEP_1)
	v_dual_mov_b32 v7, v6 :: v_dual_mov_b32 v8, v6
	v_mov_b32_e32 v9, v6
	scratch_store_b128 off, v[6:9], off offset:176
	s_wait_loadcnt 0x0
	ds_store_b128 v5, v[1:4]
.LBB21_125:
	s_wait_alu 0xfffe
	s_or_b32 exec_lo, exec_lo, s0
	s_wait_storecnt_dscnt 0x0
	s_barrier_signal -1
	s_barrier_wait -1
	global_inv scope:SCOPE_SE
	s_clause 0x7
	scratch_load_b128 v[6:9], off, off offset:192
	scratch_load_b128 v[57:60], off, off offset:208
	;; [unrolled: 1-line block ×8, first 2 shown]
	v_mov_b32_e32 v1, 0
	s_mov_b32 s0, exec_lo
	ds_load_b128 v[85:88], v1 offset:528
	s_clause 0x1
	scratch_load_b128 v[89:92], off, off offset:320
	scratch_load_b128 v[93:96], off, off offset:176
	ds_load_b128 v[97:100], v1 offset:544
	ds_load_b128 v[105:108], v1 offset:576
	s_wait_loadcnt_dscnt 0x902
	v_mul_f64_e32 v[2:3], v[87:88], v[8:9]
	v_mul_f64_e32 v[101:102], v[85:86], v[8:9]
	scratch_load_b128 v[8:11], off, off offset:336
	v_fma_f64 v[2:3], v[85:86], v[6:7], -v[2:3]
	v_fma_f64 v[6:7], v[87:88], v[6:7], v[101:102]
	ds_load_b128 v[85:88], v1 offset:560
	s_wait_loadcnt_dscnt 0x902
	v_mul_f64_e32 v[109:110], v[97:98], v[59:60]
	v_mul_f64_e32 v[59:60], v[99:100], v[59:60]
	scratch_load_b128 v[101:104], off, off offset:352
	s_wait_loadcnt_dscnt 0x900
	v_mul_f64_e32 v[111:112], v[85:86], v[63:64]
	v_mul_f64_e32 v[63:64], v[87:88], v[63:64]
	v_add_f64_e32 v[2:3], 0, v[2:3]
	v_add_f64_e32 v[6:7], 0, v[6:7]
	v_fma_f64 v[99:100], v[99:100], v[57:58], v[109:110]
	v_fma_f64 v[57:58], v[97:98], v[57:58], -v[59:60]
	s_wait_loadcnt 0x8
	v_mul_f64_e32 v[97:98], v[105:106], v[67:68]
	v_mul_f64_e32 v[67:68], v[107:108], v[67:68]
	v_fma_f64 v[87:88], v[87:88], v[61:62], v[111:112]
	v_fma_f64 v[85:86], v[85:86], v[61:62], -v[63:64]
	v_add_f64_e32 v[6:7], v[6:7], v[99:100]
	v_add_f64_e32 v[2:3], v[2:3], v[57:58]
	ds_load_b128 v[57:60], v1 offset:592
	ds_load_b128 v[61:64], v1 offset:608
	v_fma_f64 v[97:98], v[107:108], v[65:66], v[97:98]
	v_fma_f64 v[65:66], v[105:106], v[65:66], -v[67:68]
	s_wait_loadcnt_dscnt 0x701
	v_mul_f64_e32 v[99:100], v[57:58], v[71:72]
	v_mul_f64_e32 v[71:72], v[59:60], v[71:72]
	v_add_f64_e32 v[6:7], v[6:7], v[87:88]
	v_add_f64_e32 v[2:3], v[2:3], v[85:86]
	s_wait_loadcnt_dscnt 0x600
	v_mul_f64_e32 v[85:86], v[61:62], v[75:76]
	v_mul_f64_e32 v[75:76], v[63:64], v[75:76]
	v_fma_f64 v[87:88], v[59:60], v[69:70], v[99:100]
	v_fma_f64 v[69:70], v[57:58], v[69:70], -v[71:72]
	v_add_f64_e32 v[6:7], v[6:7], v[97:98]
	v_add_f64_e32 v[2:3], v[2:3], v[65:66]
	ds_load_b128 v[57:60], v1 offset:624
	ds_load_b128 v[65:68], v1 offset:640
	v_fma_f64 v[63:64], v[63:64], v[73:74], v[85:86]
	v_fma_f64 v[61:62], v[61:62], v[73:74], -v[75:76]
	s_wait_loadcnt_dscnt 0x501
	v_mul_f64_e32 v[71:72], v[57:58], v[79:80]
	v_mul_f64_e32 v[79:80], v[59:60], v[79:80]
	s_wait_loadcnt_dscnt 0x400
	v_mul_f64_e32 v[73:74], v[67:68], v[83:84]
	v_add_f64_e32 v[6:7], v[6:7], v[87:88]
	v_add_f64_e32 v[2:3], v[2:3], v[69:70]
	v_mul_f64_e32 v[69:70], v[65:66], v[83:84]
	v_fma_f64 v[71:72], v[59:60], v[77:78], v[71:72]
	v_fma_f64 v[75:76], v[57:58], v[77:78], -v[79:80]
	v_fma_f64 v[65:66], v[65:66], v[81:82], -v[73:74]
	v_add_f64_e32 v[6:7], v[6:7], v[63:64]
	v_add_f64_e32 v[2:3], v[2:3], v[61:62]
	ds_load_b128 v[57:60], v1 offset:656
	ds_load_b128 v[61:64], v1 offset:672
	v_fma_f64 v[67:68], v[67:68], v[81:82], v[69:70]
	s_wait_loadcnt_dscnt 0x301
	v_mul_f64_e32 v[77:78], v[57:58], v[91:92]
	v_mul_f64_e32 v[79:80], v[59:60], v[91:92]
	v_add_f64_e32 v[6:7], v[6:7], v[71:72]
	v_add_f64_e32 v[2:3], v[2:3], v[75:76]
	s_wait_loadcnt_dscnt 0x100
	v_mul_f64_e32 v[69:70], v[61:62], v[10:11]
	v_mul_f64_e32 v[10:11], v[63:64], v[10:11]
	v_fma_f64 v[71:72], v[59:60], v[89:90], v[77:78]
	v_fma_f64 v[73:74], v[57:58], v[89:90], -v[79:80]
	ds_load_b128 v[57:60], v1 offset:688
	v_add_f64_e32 v[6:7], v[6:7], v[67:68]
	v_add_f64_e32 v[2:3], v[2:3], v[65:66]
	v_fma_f64 v[63:64], v[63:64], v[8:9], v[69:70]
	v_fma_f64 v[8:9], v[61:62], v[8:9], -v[10:11]
	s_wait_loadcnt_dscnt 0x0
	v_mul_f64_e32 v[65:66], v[57:58], v[103:104]
	v_mul_f64_e32 v[67:68], v[59:60], v[103:104]
	v_add_f64_e32 v[6:7], v[6:7], v[71:72]
	v_add_f64_e32 v[2:3], v[2:3], v[73:74]
	s_delay_alu instid0(VALU_DEP_4) | instskip(NEXT) | instid1(VALU_DEP_4)
	v_fma_f64 v[10:11], v[59:60], v[101:102], v[65:66]
	v_fma_f64 v[57:58], v[57:58], v[101:102], -v[67:68]
	s_delay_alu instid0(VALU_DEP_4) | instskip(NEXT) | instid1(VALU_DEP_4)
	v_add_f64_e32 v[6:7], v[6:7], v[63:64]
	v_add_f64_e32 v[2:3], v[2:3], v[8:9]
	s_delay_alu instid0(VALU_DEP_2) | instskip(NEXT) | instid1(VALU_DEP_2)
	v_add_f64_e32 v[8:9], v[6:7], v[10:11]
	v_add_f64_e32 v[2:3], v[2:3], v[57:58]
	s_delay_alu instid0(VALU_DEP_2) | instskip(NEXT) | instid1(VALU_DEP_2)
	v_add_f64_e64 v[8:9], v[95:96], -v[8:9]
	v_add_f64_e64 v[6:7], v[93:94], -v[2:3]
	scratch_store_b128 off, v[6:9], off offset:176
	v_cmpx_lt_u32_e32 9, v0
	s_cbranch_execz .LBB21_127
; %bb.126:
	scratch_load_b128 v[6:9], off, s11
	v_dual_mov_b32 v2, v1 :: v_dual_mov_b32 v3, v1
	v_mov_b32_e32 v4, v1
	scratch_store_b128 off, v[1:4], off offset:160
	s_wait_loadcnt 0x0
	ds_store_b128 v5, v[6:9]
.LBB21_127:
	s_wait_alu 0xfffe
	s_or_b32 exec_lo, exec_lo, s0
	s_wait_storecnt_dscnt 0x0
	s_barrier_signal -1
	s_barrier_wait -1
	global_inv scope:SCOPE_SE
	s_clause 0x8
	scratch_load_b128 v[6:9], off, off offset:176
	scratch_load_b128 v[57:60], off, off offset:192
	;; [unrolled: 1-line block ×9, first 2 shown]
	ds_load_b128 v[89:92], v1 offset:512
	ds_load_b128 v[93:96], v1 offset:528
	scratch_load_b128 v[97:100], off, off offset:160
	s_mov_b32 s0, exec_lo
	ds_load_b128 v[105:108], v1 offset:560
	s_wait_loadcnt_dscnt 0x902
	v_mul_f64_e32 v[2:3], v[91:92], v[8:9]
	v_mul_f64_e32 v[101:102], v[89:90], v[8:9]
	scratch_load_b128 v[8:11], off, off offset:320
	s_wait_loadcnt_dscnt 0x901
	v_mul_f64_e32 v[109:110], v[93:94], v[59:60]
	v_mul_f64_e32 v[59:60], v[95:96], v[59:60]
	v_fma_f64 v[2:3], v[89:90], v[6:7], -v[2:3]
	v_fma_f64 v[6:7], v[91:92], v[6:7], v[101:102]
	ds_load_b128 v[89:92], v1 offset:544
	scratch_load_b128 v[101:104], off, off offset:336
	v_fma_f64 v[95:96], v[95:96], v[57:58], v[109:110]
	v_fma_f64 v[93:94], v[93:94], v[57:58], -v[59:60]
	scratch_load_b128 v[57:60], off, off offset:352
	s_wait_loadcnt_dscnt 0x901
	v_mul_f64_e32 v[109:110], v[105:106], v[67:68]
	v_mul_f64_e32 v[67:68], v[107:108], v[67:68]
	s_wait_dscnt 0x0
	v_mul_f64_e32 v[111:112], v[89:90], v[63:64]
	v_mul_f64_e32 v[63:64], v[91:92], v[63:64]
	v_add_f64_e32 v[2:3], 0, v[2:3]
	v_add_f64_e32 v[6:7], 0, v[6:7]
	s_delay_alu instid0(VALU_DEP_4) | instskip(NEXT) | instid1(VALU_DEP_4)
	v_fma_f64 v[111:112], v[91:92], v[61:62], v[111:112]
	v_fma_f64 v[113:114], v[89:90], v[61:62], -v[63:64]
	ds_load_b128 v[61:64], v1 offset:576
	ds_load_b128 v[89:92], v1 offset:592
	v_add_f64_e32 v[2:3], v[2:3], v[93:94]
	v_add_f64_e32 v[6:7], v[6:7], v[95:96]
	v_fma_f64 v[95:96], v[107:108], v[65:66], v[109:110]
	v_fma_f64 v[65:66], v[105:106], v[65:66], -v[67:68]
	s_wait_loadcnt_dscnt 0x801
	v_mul_f64_e32 v[93:94], v[61:62], v[71:72]
	v_mul_f64_e32 v[71:72], v[63:64], v[71:72]
	s_wait_loadcnt_dscnt 0x700
	v_mul_f64_e32 v[105:106], v[89:90], v[75:76]
	v_mul_f64_e32 v[75:76], v[91:92], v[75:76]
	v_add_f64_e32 v[2:3], v[2:3], v[113:114]
	v_add_f64_e32 v[6:7], v[6:7], v[111:112]
	v_fma_f64 v[93:94], v[63:64], v[69:70], v[93:94]
	v_fma_f64 v[69:70], v[61:62], v[69:70], -v[71:72]
	v_fma_f64 v[91:92], v[91:92], v[73:74], v[105:106]
	v_fma_f64 v[73:74], v[89:90], v[73:74], -v[75:76]
	v_add_f64_e32 v[2:3], v[2:3], v[65:66]
	v_add_f64_e32 v[6:7], v[6:7], v[95:96]
	ds_load_b128 v[61:64], v1 offset:608
	ds_load_b128 v[65:68], v1 offset:624
	s_wait_loadcnt_dscnt 0x601
	v_mul_f64_e32 v[71:72], v[61:62], v[79:80]
	v_mul_f64_e32 v[79:80], v[63:64], v[79:80]
	s_wait_loadcnt_dscnt 0x500
	v_mul_f64_e32 v[75:76], v[65:66], v[83:84]
	v_mul_f64_e32 v[83:84], v[67:68], v[83:84]
	v_add_f64_e32 v[2:3], v[2:3], v[69:70]
	v_add_f64_e32 v[6:7], v[6:7], v[93:94]
	v_fma_f64 v[89:90], v[63:64], v[77:78], v[71:72]
	v_fma_f64 v[77:78], v[61:62], v[77:78], -v[79:80]
	ds_load_b128 v[61:64], v1 offset:640
	ds_load_b128 v[69:72], v1 offset:656
	v_fma_f64 v[67:68], v[67:68], v[81:82], v[75:76]
	v_fma_f64 v[65:66], v[65:66], v[81:82], -v[83:84]
	v_add_f64_e32 v[2:3], v[2:3], v[73:74]
	v_add_f64_e32 v[6:7], v[6:7], v[91:92]
	s_wait_loadcnt_dscnt 0x401
	v_mul_f64_e32 v[73:74], v[61:62], v[87:88]
	v_mul_f64_e32 v[79:80], v[63:64], v[87:88]
	s_delay_alu instid0(VALU_DEP_4) | instskip(NEXT) | instid1(VALU_DEP_4)
	v_add_f64_e32 v[2:3], v[2:3], v[77:78]
	v_add_f64_e32 v[6:7], v[6:7], v[89:90]
	s_delay_alu instid0(VALU_DEP_4) | instskip(NEXT) | instid1(VALU_DEP_4)
	v_fma_f64 v[73:74], v[63:64], v[85:86], v[73:74]
	v_fma_f64 v[77:78], v[61:62], v[85:86], -v[79:80]
	s_wait_loadcnt_dscnt 0x200
	v_mul_f64_e32 v[75:76], v[69:70], v[10:11]
	v_mul_f64_e32 v[10:11], v[71:72], v[10:11]
	v_add_f64_e32 v[65:66], v[2:3], v[65:66]
	v_add_f64_e32 v[6:7], v[6:7], v[67:68]
	ds_load_b128 v[61:64], v1 offset:672
	ds_load_b128 v[1:4], v1 offset:688
	v_fma_f64 v[71:72], v[71:72], v[8:9], v[75:76]
	v_fma_f64 v[8:9], v[69:70], v[8:9], -v[10:11]
	s_wait_loadcnt_dscnt 0x101
	v_mul_f64_e32 v[67:68], v[61:62], v[103:104]
	v_mul_f64_e32 v[79:80], v[63:64], v[103:104]
	v_add_f64_e32 v[10:11], v[65:66], v[77:78]
	v_add_f64_e32 v[6:7], v[6:7], v[73:74]
	s_wait_loadcnt_dscnt 0x0
	v_mul_f64_e32 v[65:66], v[1:2], v[59:60]
	v_mul_f64_e32 v[59:60], v[3:4], v[59:60]
	v_fma_f64 v[63:64], v[63:64], v[101:102], v[67:68]
	v_fma_f64 v[61:62], v[61:62], v[101:102], -v[79:80]
	v_add_f64_e32 v[8:9], v[10:11], v[8:9]
	v_add_f64_e32 v[6:7], v[6:7], v[71:72]
	v_fma_f64 v[3:4], v[3:4], v[57:58], v[65:66]
	v_fma_f64 v[1:2], v[1:2], v[57:58], -v[59:60]
	s_delay_alu instid0(VALU_DEP_4) | instskip(NEXT) | instid1(VALU_DEP_4)
	v_add_f64_e32 v[8:9], v[8:9], v[61:62]
	v_add_f64_e32 v[6:7], v[6:7], v[63:64]
	s_delay_alu instid0(VALU_DEP_2) | instskip(NEXT) | instid1(VALU_DEP_2)
	v_add_f64_e32 v[1:2], v[8:9], v[1:2]
	v_add_f64_e32 v[3:4], v[6:7], v[3:4]
	s_delay_alu instid0(VALU_DEP_2) | instskip(NEXT) | instid1(VALU_DEP_2)
	v_add_f64_e64 v[1:2], v[97:98], -v[1:2]
	v_add_f64_e64 v[3:4], v[99:100], -v[3:4]
	scratch_store_b128 off, v[1:4], off offset:160
	v_cmpx_lt_u32_e32 8, v0
	s_cbranch_execz .LBB21_129
; %bb.128:
	scratch_load_b128 v[1:4], off, s19
	v_mov_b32_e32 v6, 0
	s_delay_alu instid0(VALU_DEP_1)
	v_dual_mov_b32 v7, v6 :: v_dual_mov_b32 v8, v6
	v_mov_b32_e32 v9, v6
	scratch_store_b128 off, v[6:9], off offset:144
	s_wait_loadcnt 0x0
	ds_store_b128 v5, v[1:4]
.LBB21_129:
	s_wait_alu 0xfffe
	s_or_b32 exec_lo, exec_lo, s0
	s_wait_storecnt_dscnt 0x0
	s_barrier_signal -1
	s_barrier_wait -1
	global_inv scope:SCOPE_SE
	s_clause 0x7
	scratch_load_b128 v[6:9], off, off offset:160
	scratch_load_b128 v[57:60], off, off offset:176
	;; [unrolled: 1-line block ×8, first 2 shown]
	v_mov_b32_e32 v1, 0
	s_mov_b32 s0, exec_lo
	ds_load_b128 v[85:88], v1 offset:496
	s_clause 0x1
	scratch_load_b128 v[89:92], off, off offset:288
	scratch_load_b128 v[93:96], off, off offset:144
	ds_load_b128 v[97:100], v1 offset:512
	ds_load_b128 v[105:108], v1 offset:544
	s_wait_loadcnt_dscnt 0x902
	v_mul_f64_e32 v[2:3], v[87:88], v[8:9]
	v_mul_f64_e32 v[101:102], v[85:86], v[8:9]
	scratch_load_b128 v[8:11], off, off offset:304
	v_fma_f64 v[2:3], v[85:86], v[6:7], -v[2:3]
	v_fma_f64 v[6:7], v[87:88], v[6:7], v[101:102]
	ds_load_b128 v[85:88], v1 offset:528
	s_wait_loadcnt_dscnt 0x902
	v_mul_f64_e32 v[109:110], v[97:98], v[59:60]
	v_mul_f64_e32 v[59:60], v[99:100], v[59:60]
	scratch_load_b128 v[101:104], off, off offset:320
	s_wait_loadcnt_dscnt 0x900
	v_mul_f64_e32 v[111:112], v[85:86], v[63:64]
	v_mul_f64_e32 v[63:64], v[87:88], v[63:64]
	v_add_f64_e32 v[2:3], 0, v[2:3]
	v_add_f64_e32 v[6:7], 0, v[6:7]
	v_fma_f64 v[99:100], v[99:100], v[57:58], v[109:110]
	v_fma_f64 v[97:98], v[97:98], v[57:58], -v[59:60]
	scratch_load_b128 v[57:60], off, off offset:336
	v_fma_f64 v[111:112], v[87:88], v[61:62], v[111:112]
	v_fma_f64 v[113:114], v[85:86], v[61:62], -v[63:64]
	ds_load_b128 v[61:64], v1 offset:560
	s_wait_loadcnt 0x9
	v_mul_f64_e32 v[109:110], v[105:106], v[67:68]
	v_mul_f64_e32 v[67:68], v[107:108], v[67:68]
	scratch_load_b128 v[85:88], off, off offset:352
	v_add_f64_e32 v[6:7], v[6:7], v[99:100]
	v_add_f64_e32 v[2:3], v[2:3], v[97:98]
	ds_load_b128 v[97:100], v1 offset:576
	s_wait_loadcnt_dscnt 0x901
	v_mul_f64_e32 v[115:116], v[61:62], v[71:72]
	v_mul_f64_e32 v[71:72], v[63:64], v[71:72]
	v_fma_f64 v[107:108], v[107:108], v[65:66], v[109:110]
	v_fma_f64 v[65:66], v[105:106], v[65:66], -v[67:68]
	s_wait_loadcnt_dscnt 0x800
	v_mul_f64_e32 v[105:106], v[97:98], v[75:76]
	v_mul_f64_e32 v[75:76], v[99:100], v[75:76]
	v_add_f64_e32 v[6:7], v[6:7], v[111:112]
	v_add_f64_e32 v[2:3], v[2:3], v[113:114]
	v_fma_f64 v[109:110], v[63:64], v[69:70], v[115:116]
	v_fma_f64 v[69:70], v[61:62], v[69:70], -v[71:72]
	v_fma_f64 v[99:100], v[99:100], v[73:74], v[105:106]
	v_fma_f64 v[73:74], v[97:98], v[73:74], -v[75:76]
	v_add_f64_e32 v[6:7], v[6:7], v[107:108]
	v_add_f64_e32 v[2:3], v[2:3], v[65:66]
	ds_load_b128 v[61:64], v1 offset:592
	ds_load_b128 v[65:68], v1 offset:608
	s_wait_loadcnt_dscnt 0x701
	v_mul_f64_e32 v[71:72], v[61:62], v[79:80]
	v_mul_f64_e32 v[79:80], v[63:64], v[79:80]
	s_wait_loadcnt_dscnt 0x600
	v_mul_f64_e32 v[75:76], v[65:66], v[83:84]
	v_mul_f64_e32 v[83:84], v[67:68], v[83:84]
	v_add_f64_e32 v[6:7], v[6:7], v[109:110]
	v_add_f64_e32 v[2:3], v[2:3], v[69:70]
	v_fma_f64 v[97:98], v[63:64], v[77:78], v[71:72]
	v_fma_f64 v[77:78], v[61:62], v[77:78], -v[79:80]
	ds_load_b128 v[61:64], v1 offset:624
	ds_load_b128 v[69:72], v1 offset:640
	v_fma_f64 v[67:68], v[67:68], v[81:82], v[75:76]
	v_fma_f64 v[65:66], v[65:66], v[81:82], -v[83:84]
	v_add_f64_e32 v[6:7], v[6:7], v[99:100]
	v_add_f64_e32 v[2:3], v[2:3], v[73:74]
	s_wait_loadcnt_dscnt 0x501
	v_mul_f64_e32 v[73:74], v[61:62], v[91:92]
	v_mul_f64_e32 v[79:80], v[63:64], v[91:92]
	s_delay_alu instid0(VALU_DEP_4) | instskip(NEXT) | instid1(VALU_DEP_4)
	v_add_f64_e32 v[6:7], v[6:7], v[97:98]
	v_add_f64_e32 v[2:3], v[2:3], v[77:78]
	s_delay_alu instid0(VALU_DEP_4) | instskip(NEXT) | instid1(VALU_DEP_4)
	v_fma_f64 v[73:74], v[63:64], v[89:90], v[73:74]
	v_fma_f64 v[77:78], v[61:62], v[89:90], -v[79:80]
	s_wait_loadcnt_dscnt 0x300
	v_mul_f64_e32 v[75:76], v[69:70], v[10:11]
	v_mul_f64_e32 v[10:11], v[71:72], v[10:11]
	v_add_f64_e32 v[6:7], v[6:7], v[67:68]
	v_add_f64_e32 v[2:3], v[2:3], v[65:66]
	ds_load_b128 v[61:64], v1 offset:656
	ds_load_b128 v[65:68], v1 offset:672
	v_fma_f64 v[71:72], v[71:72], v[8:9], v[75:76]
	v_fma_f64 v[8:9], v[69:70], v[8:9], -v[10:11]
	s_wait_loadcnt_dscnt 0x201
	v_mul_f64_e32 v[79:80], v[61:62], v[103:104]
	v_mul_f64_e32 v[81:82], v[63:64], v[103:104]
	v_add_f64_e32 v[6:7], v[6:7], v[73:74]
	v_add_f64_e32 v[2:3], v[2:3], v[77:78]
	s_wait_loadcnt_dscnt 0x100
	v_mul_f64_e32 v[10:11], v[65:66], v[59:60]
	v_mul_f64_e32 v[59:60], v[67:68], v[59:60]
	v_fma_f64 v[63:64], v[63:64], v[101:102], v[79:80]
	v_fma_f64 v[61:62], v[61:62], v[101:102], -v[81:82]
	v_add_f64_e32 v[69:70], v[6:7], v[71:72]
	v_add_f64_e32 v[2:3], v[2:3], v[8:9]
	ds_load_b128 v[6:9], v1 offset:688
	v_fma_f64 v[10:11], v[67:68], v[57:58], v[10:11]
	v_fma_f64 v[57:58], v[65:66], v[57:58], -v[59:60]
	s_wait_loadcnt_dscnt 0x0
	v_mul_f64_e32 v[71:72], v[6:7], v[87:88]
	v_mul_f64_e32 v[73:74], v[8:9], v[87:88]
	v_add_f64_e32 v[59:60], v[69:70], v[63:64]
	v_add_f64_e32 v[2:3], v[2:3], v[61:62]
	s_delay_alu instid0(VALU_DEP_4) | instskip(NEXT) | instid1(VALU_DEP_4)
	v_fma_f64 v[8:9], v[8:9], v[85:86], v[71:72]
	v_fma_f64 v[6:7], v[6:7], v[85:86], -v[73:74]
	s_delay_alu instid0(VALU_DEP_4) | instskip(NEXT) | instid1(VALU_DEP_4)
	v_add_f64_e32 v[10:11], v[59:60], v[10:11]
	v_add_f64_e32 v[2:3], v[2:3], v[57:58]
	s_delay_alu instid0(VALU_DEP_2) | instskip(NEXT) | instid1(VALU_DEP_2)
	v_add_f64_e32 v[8:9], v[10:11], v[8:9]
	v_add_f64_e32 v[2:3], v[2:3], v[6:7]
	s_delay_alu instid0(VALU_DEP_2) | instskip(NEXT) | instid1(VALU_DEP_2)
	v_add_f64_e64 v[8:9], v[95:96], -v[8:9]
	v_add_f64_e64 v[6:7], v[93:94], -v[2:3]
	scratch_store_b128 off, v[6:9], off offset:144
	v_cmpx_lt_u32_e32 7, v0
	s_cbranch_execz .LBB21_131
; %bb.130:
	scratch_load_b128 v[6:9], off, s10
	v_dual_mov_b32 v2, v1 :: v_dual_mov_b32 v3, v1
	v_mov_b32_e32 v4, v1
	scratch_store_b128 off, v[1:4], off offset:128
	s_wait_loadcnt 0x0
	ds_store_b128 v5, v[6:9]
.LBB21_131:
	s_wait_alu 0xfffe
	s_or_b32 exec_lo, exec_lo, s0
	s_wait_storecnt_dscnt 0x0
	s_barrier_signal -1
	s_barrier_wait -1
	global_inv scope:SCOPE_SE
	s_clause 0x8
	scratch_load_b128 v[6:9], off, off offset:144
	scratch_load_b128 v[57:60], off, off offset:160
	;; [unrolled: 1-line block ×9, first 2 shown]
	ds_load_b128 v[89:92], v1 offset:480
	ds_load_b128 v[93:96], v1 offset:496
	scratch_load_b128 v[97:100], off, off offset:128
	s_mov_b32 s0, exec_lo
	ds_load_b128 v[105:108], v1 offset:528
	s_wait_loadcnt_dscnt 0x902
	v_mul_f64_e32 v[2:3], v[91:92], v[8:9]
	v_mul_f64_e32 v[101:102], v[89:90], v[8:9]
	scratch_load_b128 v[8:11], off, off offset:288
	s_wait_loadcnt_dscnt 0x901
	v_mul_f64_e32 v[109:110], v[93:94], v[59:60]
	v_mul_f64_e32 v[59:60], v[95:96], v[59:60]
	v_fma_f64 v[2:3], v[89:90], v[6:7], -v[2:3]
	v_fma_f64 v[6:7], v[91:92], v[6:7], v[101:102]
	ds_load_b128 v[89:92], v1 offset:512
	scratch_load_b128 v[101:104], off, off offset:304
	v_fma_f64 v[95:96], v[95:96], v[57:58], v[109:110]
	v_fma_f64 v[93:94], v[93:94], v[57:58], -v[59:60]
	scratch_load_b128 v[57:60], off, off offset:320
	s_wait_loadcnt_dscnt 0x901
	v_mul_f64_e32 v[109:110], v[105:106], v[67:68]
	v_mul_f64_e32 v[67:68], v[107:108], v[67:68]
	s_wait_dscnt 0x0
	v_mul_f64_e32 v[111:112], v[89:90], v[63:64]
	v_mul_f64_e32 v[63:64], v[91:92], v[63:64]
	v_add_f64_e32 v[2:3], 0, v[2:3]
	v_add_f64_e32 v[6:7], 0, v[6:7]
	v_fma_f64 v[107:108], v[107:108], v[65:66], v[109:110]
	v_fma_f64 v[105:106], v[105:106], v[65:66], -v[67:68]
	scratch_load_b128 v[65:68], off, off offset:352
	v_fma_f64 v[111:112], v[91:92], v[61:62], v[111:112]
	v_fma_f64 v[113:114], v[89:90], v[61:62], -v[63:64]
	ds_load_b128 v[61:64], v1 offset:544
	scratch_load_b128 v[89:92], off, off offset:336
	v_add_f64_e32 v[2:3], v[2:3], v[93:94]
	v_add_f64_e32 v[6:7], v[6:7], v[95:96]
	ds_load_b128 v[93:96], v1 offset:560
	s_wait_loadcnt_dscnt 0xa01
	v_mul_f64_e32 v[115:116], v[61:62], v[71:72]
	v_mul_f64_e32 v[71:72], v[63:64], v[71:72]
	s_wait_loadcnt_dscnt 0x900
	v_mul_f64_e32 v[109:110], v[93:94], v[75:76]
	v_mul_f64_e32 v[75:76], v[95:96], v[75:76]
	v_add_f64_e32 v[2:3], v[2:3], v[113:114]
	v_add_f64_e32 v[6:7], v[6:7], v[111:112]
	v_fma_f64 v[111:112], v[63:64], v[69:70], v[115:116]
	v_fma_f64 v[113:114], v[61:62], v[69:70], -v[71:72]
	ds_load_b128 v[61:64], v1 offset:576
	ds_load_b128 v[69:72], v1 offset:592
	v_fma_f64 v[95:96], v[95:96], v[73:74], v[109:110]
	v_fma_f64 v[73:74], v[93:94], v[73:74], -v[75:76]
	s_wait_loadcnt_dscnt 0x700
	v_mul_f64_e32 v[93:94], v[69:70], v[83:84]
	v_mul_f64_e32 v[83:84], v[71:72], v[83:84]
	v_add_f64_e32 v[2:3], v[2:3], v[105:106]
	v_add_f64_e32 v[6:7], v[6:7], v[107:108]
	v_mul_f64_e32 v[105:106], v[61:62], v[79:80]
	v_mul_f64_e32 v[79:80], v[63:64], v[79:80]
	v_fma_f64 v[71:72], v[71:72], v[81:82], v[93:94]
	v_fma_f64 v[69:70], v[69:70], v[81:82], -v[83:84]
	v_add_f64_e32 v[2:3], v[2:3], v[113:114]
	v_add_f64_e32 v[6:7], v[6:7], v[111:112]
	v_fma_f64 v[105:106], v[63:64], v[77:78], v[105:106]
	v_fma_f64 v[77:78], v[61:62], v[77:78], -v[79:80]
	s_delay_alu instid0(VALU_DEP_4) | instskip(NEXT) | instid1(VALU_DEP_4)
	v_add_f64_e32 v[2:3], v[2:3], v[73:74]
	v_add_f64_e32 v[6:7], v[6:7], v[95:96]
	ds_load_b128 v[61:64], v1 offset:608
	ds_load_b128 v[73:76], v1 offset:624
	s_wait_loadcnt_dscnt 0x601
	v_mul_f64_e32 v[79:80], v[61:62], v[87:88]
	v_mul_f64_e32 v[87:88], v[63:64], v[87:88]
	v_add_f64_e32 v[2:3], v[2:3], v[77:78]
	v_add_f64_e32 v[6:7], v[6:7], v[105:106]
	s_wait_loadcnt_dscnt 0x400
	v_mul_f64_e32 v[77:78], v[73:74], v[10:11]
	v_mul_f64_e32 v[10:11], v[75:76], v[10:11]
	v_fma_f64 v[79:80], v[63:64], v[85:86], v[79:80]
	v_fma_f64 v[81:82], v[61:62], v[85:86], -v[87:88]
	v_add_f64_e32 v[2:3], v[2:3], v[69:70]
	v_add_f64_e32 v[6:7], v[6:7], v[71:72]
	ds_load_b128 v[61:64], v1 offset:640
	ds_load_b128 v[69:72], v1 offset:656
	v_fma_f64 v[75:76], v[75:76], v[8:9], v[77:78]
	v_fma_f64 v[8:9], v[73:74], v[8:9], -v[10:11]
	s_wait_loadcnt_dscnt 0x301
	v_mul_f64_e32 v[83:84], v[61:62], v[103:104]
	v_mul_f64_e32 v[85:86], v[63:64], v[103:104]
	s_wait_loadcnt_dscnt 0x200
	v_mul_f64_e32 v[10:11], v[69:70], v[59:60]
	v_mul_f64_e32 v[59:60], v[71:72], v[59:60]
	v_add_f64_e32 v[2:3], v[2:3], v[81:82]
	v_add_f64_e32 v[6:7], v[6:7], v[79:80]
	v_fma_f64 v[63:64], v[63:64], v[101:102], v[83:84]
	v_fma_f64 v[61:62], v[61:62], v[101:102], -v[85:86]
	v_fma_f64 v[10:11], v[71:72], v[57:58], v[10:11]
	v_fma_f64 v[57:58], v[69:70], v[57:58], -v[59:60]
	v_add_f64_e32 v[73:74], v[2:3], v[8:9]
	v_add_f64_e32 v[75:76], v[6:7], v[75:76]
	ds_load_b128 v[6:9], v1 offset:672
	ds_load_b128 v[1:4], v1 offset:688
	s_wait_loadcnt_dscnt 0x1
	v_mul_f64_e32 v[77:78], v[6:7], v[91:92]
	v_mul_f64_e32 v[79:80], v[8:9], v[91:92]
	v_add_f64_e32 v[59:60], v[73:74], v[61:62]
	v_add_f64_e32 v[61:62], v[75:76], v[63:64]
	s_wait_dscnt 0x0
	v_mul_f64_e32 v[63:64], v[1:2], v[67:68]
	v_mul_f64_e32 v[67:68], v[3:4], v[67:68]
	v_fma_f64 v[8:9], v[8:9], v[89:90], v[77:78]
	v_fma_f64 v[6:7], v[6:7], v[89:90], -v[79:80]
	v_add_f64_e32 v[57:58], v[59:60], v[57:58]
	v_add_f64_e32 v[10:11], v[61:62], v[10:11]
	v_fma_f64 v[3:4], v[3:4], v[65:66], v[63:64]
	v_fma_f64 v[1:2], v[1:2], v[65:66], -v[67:68]
	s_delay_alu instid0(VALU_DEP_4) | instskip(NEXT) | instid1(VALU_DEP_4)
	v_add_f64_e32 v[6:7], v[57:58], v[6:7]
	v_add_f64_e32 v[8:9], v[10:11], v[8:9]
	s_delay_alu instid0(VALU_DEP_2) | instskip(NEXT) | instid1(VALU_DEP_2)
	v_add_f64_e32 v[1:2], v[6:7], v[1:2]
	v_add_f64_e32 v[3:4], v[8:9], v[3:4]
	s_delay_alu instid0(VALU_DEP_2) | instskip(NEXT) | instid1(VALU_DEP_2)
	v_add_f64_e64 v[1:2], v[97:98], -v[1:2]
	v_add_f64_e64 v[3:4], v[99:100], -v[3:4]
	scratch_store_b128 off, v[1:4], off offset:128
	v_cmpx_lt_u32_e32 6, v0
	s_cbranch_execz .LBB21_133
; %bb.132:
	scratch_load_b128 v[1:4], off, s15
	v_mov_b32_e32 v6, 0
	s_delay_alu instid0(VALU_DEP_1)
	v_dual_mov_b32 v7, v6 :: v_dual_mov_b32 v8, v6
	v_mov_b32_e32 v9, v6
	scratch_store_b128 off, v[6:9], off offset:112
	s_wait_loadcnt 0x0
	ds_store_b128 v5, v[1:4]
.LBB21_133:
	s_wait_alu 0xfffe
	s_or_b32 exec_lo, exec_lo, s0
	s_wait_storecnt_dscnt 0x0
	s_barrier_signal -1
	s_barrier_wait -1
	global_inv scope:SCOPE_SE
	s_clause 0x7
	scratch_load_b128 v[6:9], off, off offset:128
	scratch_load_b128 v[57:60], off, off offset:144
	scratch_load_b128 v[61:64], off, off offset:160
	scratch_load_b128 v[65:68], off, off offset:176
	scratch_load_b128 v[69:72], off, off offset:192
	scratch_load_b128 v[73:76], off, off offset:208
	scratch_load_b128 v[77:80], off, off offset:224
	scratch_load_b128 v[81:84], off, off offset:240
	v_mov_b32_e32 v1, 0
	s_mov_b32 s0, exec_lo
	ds_load_b128 v[85:88], v1 offset:464
	s_clause 0x1
	scratch_load_b128 v[89:92], off, off offset:256
	scratch_load_b128 v[93:96], off, off offset:112
	ds_load_b128 v[97:100], v1 offset:480
	ds_load_b128 v[105:108], v1 offset:512
	s_wait_loadcnt_dscnt 0x902
	v_mul_f64_e32 v[2:3], v[87:88], v[8:9]
	v_mul_f64_e32 v[101:102], v[85:86], v[8:9]
	scratch_load_b128 v[8:11], off, off offset:272
	v_fma_f64 v[2:3], v[85:86], v[6:7], -v[2:3]
	v_fma_f64 v[6:7], v[87:88], v[6:7], v[101:102]
	ds_load_b128 v[85:88], v1 offset:496
	s_wait_loadcnt_dscnt 0x902
	v_mul_f64_e32 v[109:110], v[97:98], v[59:60]
	v_mul_f64_e32 v[59:60], v[99:100], v[59:60]
	scratch_load_b128 v[101:104], off, off offset:288
	s_wait_loadcnt_dscnt 0x900
	v_mul_f64_e32 v[111:112], v[85:86], v[63:64]
	v_mul_f64_e32 v[63:64], v[87:88], v[63:64]
	v_add_f64_e32 v[2:3], 0, v[2:3]
	v_add_f64_e32 v[6:7], 0, v[6:7]
	v_fma_f64 v[99:100], v[99:100], v[57:58], v[109:110]
	v_fma_f64 v[97:98], v[97:98], v[57:58], -v[59:60]
	scratch_load_b128 v[57:60], off, off offset:304
	v_fma_f64 v[111:112], v[87:88], v[61:62], v[111:112]
	v_fma_f64 v[113:114], v[85:86], v[61:62], -v[63:64]
	ds_load_b128 v[61:64], v1 offset:528
	s_wait_loadcnt 0x9
	v_mul_f64_e32 v[109:110], v[105:106], v[67:68]
	v_mul_f64_e32 v[67:68], v[107:108], v[67:68]
	scratch_load_b128 v[85:88], off, off offset:320
	v_add_f64_e32 v[6:7], v[6:7], v[99:100]
	v_add_f64_e32 v[2:3], v[2:3], v[97:98]
	ds_load_b128 v[97:100], v1 offset:544
	s_wait_loadcnt_dscnt 0x901
	v_mul_f64_e32 v[115:116], v[61:62], v[71:72]
	v_mul_f64_e32 v[71:72], v[63:64], v[71:72]
	v_fma_f64 v[107:108], v[107:108], v[65:66], v[109:110]
	v_fma_f64 v[105:106], v[105:106], v[65:66], -v[67:68]
	scratch_load_b128 v[65:68], off, off offset:336
	v_add_f64_e32 v[6:7], v[6:7], v[111:112]
	v_add_f64_e32 v[2:3], v[2:3], v[113:114]
	v_fma_f64 v[111:112], v[63:64], v[69:70], v[115:116]
	v_fma_f64 v[113:114], v[61:62], v[69:70], -v[71:72]
	ds_load_b128 v[61:64], v1 offset:560
	s_wait_loadcnt_dscnt 0x901
	v_mul_f64_e32 v[109:110], v[97:98], v[75:76]
	v_mul_f64_e32 v[75:76], v[99:100], v[75:76]
	scratch_load_b128 v[69:72], off, off offset:352
	s_wait_loadcnt_dscnt 0x900
	v_mul_f64_e32 v[115:116], v[61:62], v[79:80]
	v_mul_f64_e32 v[79:80], v[63:64], v[79:80]
	v_add_f64_e32 v[6:7], v[6:7], v[107:108]
	v_add_f64_e32 v[2:3], v[2:3], v[105:106]
	ds_load_b128 v[105:108], v1 offset:576
	v_fma_f64 v[99:100], v[99:100], v[73:74], v[109:110]
	v_fma_f64 v[73:74], v[97:98], v[73:74], -v[75:76]
	s_wait_loadcnt_dscnt 0x800
	v_mul_f64_e32 v[97:98], v[105:106], v[83:84]
	v_mul_f64_e32 v[83:84], v[107:108], v[83:84]
	v_fma_f64 v[109:110], v[63:64], v[77:78], v[115:116]
	v_fma_f64 v[77:78], v[61:62], v[77:78], -v[79:80]
	v_add_f64_e32 v[6:7], v[6:7], v[111:112]
	v_add_f64_e32 v[2:3], v[2:3], v[113:114]
	v_fma_f64 v[97:98], v[107:108], v[81:82], v[97:98]
	v_fma_f64 v[81:82], v[105:106], v[81:82], -v[83:84]
	s_delay_alu instid0(VALU_DEP_4) | instskip(NEXT) | instid1(VALU_DEP_4)
	v_add_f64_e32 v[6:7], v[6:7], v[99:100]
	v_add_f64_e32 v[2:3], v[2:3], v[73:74]
	ds_load_b128 v[61:64], v1 offset:592
	ds_load_b128 v[73:76], v1 offset:608
	s_wait_loadcnt_dscnt 0x701
	v_mul_f64_e32 v[79:80], v[61:62], v[91:92]
	v_mul_f64_e32 v[91:92], v[63:64], v[91:92]
	v_add_f64_e32 v[6:7], v[6:7], v[109:110]
	v_add_f64_e32 v[2:3], v[2:3], v[77:78]
	s_wait_loadcnt_dscnt 0x500
	v_mul_f64_e32 v[83:84], v[73:74], v[10:11]
	v_mul_f64_e32 v[10:11], v[75:76], v[10:11]
	v_fma_f64 v[99:100], v[63:64], v[89:90], v[79:80]
	v_fma_f64 v[89:90], v[61:62], v[89:90], -v[91:92]
	ds_load_b128 v[61:64], v1 offset:624
	ds_load_b128 v[77:80], v1 offset:640
	v_add_f64_e32 v[6:7], v[6:7], v[97:98]
	v_add_f64_e32 v[2:3], v[2:3], v[81:82]
	v_fma_f64 v[75:76], v[75:76], v[8:9], v[83:84]
	v_fma_f64 v[8:9], v[73:74], v[8:9], -v[10:11]
	s_wait_loadcnt_dscnt 0x401
	v_mul_f64_e32 v[81:82], v[61:62], v[103:104]
	v_mul_f64_e32 v[91:92], v[63:64], v[103:104]
	v_add_f64_e32 v[6:7], v[6:7], v[99:100]
	v_add_f64_e32 v[2:3], v[2:3], v[89:90]
	s_wait_loadcnt_dscnt 0x300
	v_mul_f64_e32 v[10:11], v[77:78], v[59:60]
	v_mul_f64_e32 v[73:74], v[79:80], v[59:60]
	v_fma_f64 v[63:64], v[63:64], v[101:102], v[81:82]
	v_fma_f64 v[81:82], v[61:62], v[101:102], -v[91:92]
	v_add_f64_e32 v[75:76], v[6:7], v[75:76]
	v_add_f64_e32 v[2:3], v[2:3], v[8:9]
	ds_load_b128 v[6:9], v1 offset:656
	ds_load_b128 v[59:62], v1 offset:672
	v_fma_f64 v[10:11], v[79:80], v[57:58], v[10:11]
	v_fma_f64 v[57:58], v[77:78], v[57:58], -v[73:74]
	s_wait_loadcnt_dscnt 0x201
	v_mul_f64_e32 v[83:84], v[6:7], v[87:88]
	v_mul_f64_e32 v[87:88], v[8:9], v[87:88]
	v_add_f64_e32 v[63:64], v[75:76], v[63:64]
	v_add_f64_e32 v[2:3], v[2:3], v[81:82]
	s_wait_loadcnt_dscnt 0x100
	v_mul_f64_e32 v[73:74], v[59:60], v[67:68]
	v_mul_f64_e32 v[67:68], v[61:62], v[67:68]
	v_fma_f64 v[75:76], v[8:9], v[85:86], v[83:84]
	v_fma_f64 v[77:78], v[6:7], v[85:86], -v[87:88]
	ds_load_b128 v[6:9], v1 offset:688
	v_add_f64_e32 v[10:11], v[63:64], v[10:11]
	v_add_f64_e32 v[2:3], v[2:3], v[57:58]
	v_fma_f64 v[61:62], v[61:62], v[65:66], v[73:74]
	v_fma_f64 v[59:60], v[59:60], v[65:66], -v[67:68]
	s_wait_loadcnt_dscnt 0x0
	v_mul_f64_e32 v[57:58], v[6:7], v[71:72]
	v_mul_f64_e32 v[63:64], v[8:9], v[71:72]
	v_add_f64_e32 v[10:11], v[10:11], v[75:76]
	v_add_f64_e32 v[2:3], v[2:3], v[77:78]
	s_delay_alu instid0(VALU_DEP_4) | instskip(NEXT) | instid1(VALU_DEP_4)
	v_fma_f64 v[8:9], v[8:9], v[69:70], v[57:58]
	v_fma_f64 v[6:7], v[6:7], v[69:70], -v[63:64]
	s_delay_alu instid0(VALU_DEP_4) | instskip(NEXT) | instid1(VALU_DEP_4)
	v_add_f64_e32 v[10:11], v[10:11], v[61:62]
	v_add_f64_e32 v[2:3], v[2:3], v[59:60]
	s_delay_alu instid0(VALU_DEP_2) | instskip(NEXT) | instid1(VALU_DEP_2)
	v_add_f64_e32 v[8:9], v[10:11], v[8:9]
	v_add_f64_e32 v[2:3], v[2:3], v[6:7]
	s_delay_alu instid0(VALU_DEP_2) | instskip(NEXT) | instid1(VALU_DEP_2)
	v_add_f64_e64 v[8:9], v[95:96], -v[8:9]
	v_add_f64_e64 v[6:7], v[93:94], -v[2:3]
	scratch_store_b128 off, v[6:9], off offset:112
	v_cmpx_lt_u32_e32 5, v0
	s_cbranch_execz .LBB21_135
; %bb.134:
	scratch_load_b128 v[6:9], off, s9
	v_dual_mov_b32 v2, v1 :: v_dual_mov_b32 v3, v1
	v_mov_b32_e32 v4, v1
	scratch_store_b128 off, v[1:4], off offset:96
	s_wait_loadcnt 0x0
	ds_store_b128 v5, v[6:9]
.LBB21_135:
	s_wait_alu 0xfffe
	s_or_b32 exec_lo, exec_lo, s0
	s_wait_storecnt_dscnt 0x0
	s_barrier_signal -1
	s_barrier_wait -1
	global_inv scope:SCOPE_SE
	s_clause 0x8
	scratch_load_b128 v[6:9], off, off offset:112
	scratch_load_b128 v[57:60], off, off offset:128
	;; [unrolled: 1-line block ×9, first 2 shown]
	ds_load_b128 v[89:92], v1 offset:448
	ds_load_b128 v[93:96], v1 offset:464
	scratch_load_b128 v[97:100], off, off offset:96
	s_mov_b32 s0, exec_lo
	ds_load_b128 v[105:108], v1 offset:496
	s_wait_loadcnt_dscnt 0x902
	v_mul_f64_e32 v[2:3], v[91:92], v[8:9]
	v_mul_f64_e32 v[101:102], v[89:90], v[8:9]
	scratch_load_b128 v[8:11], off, off offset:256
	s_wait_loadcnt_dscnt 0x901
	v_mul_f64_e32 v[109:110], v[93:94], v[59:60]
	v_mul_f64_e32 v[59:60], v[95:96], v[59:60]
	v_fma_f64 v[2:3], v[89:90], v[6:7], -v[2:3]
	v_fma_f64 v[6:7], v[91:92], v[6:7], v[101:102]
	ds_load_b128 v[89:92], v1 offset:480
	scratch_load_b128 v[101:104], off, off offset:272
	v_fma_f64 v[95:96], v[95:96], v[57:58], v[109:110]
	v_fma_f64 v[93:94], v[93:94], v[57:58], -v[59:60]
	scratch_load_b128 v[57:60], off, off offset:288
	s_wait_loadcnt_dscnt 0x901
	v_mul_f64_e32 v[109:110], v[105:106], v[67:68]
	v_mul_f64_e32 v[67:68], v[107:108], v[67:68]
	s_wait_dscnt 0x0
	v_mul_f64_e32 v[111:112], v[89:90], v[63:64]
	v_mul_f64_e32 v[63:64], v[91:92], v[63:64]
	v_add_f64_e32 v[2:3], 0, v[2:3]
	v_add_f64_e32 v[6:7], 0, v[6:7]
	v_fma_f64 v[107:108], v[107:108], v[65:66], v[109:110]
	v_fma_f64 v[105:106], v[105:106], v[65:66], -v[67:68]
	scratch_load_b128 v[65:68], off, off offset:320
	v_fma_f64 v[111:112], v[91:92], v[61:62], v[111:112]
	v_fma_f64 v[113:114], v[89:90], v[61:62], -v[63:64]
	ds_load_b128 v[61:64], v1 offset:512
	scratch_load_b128 v[89:92], off, off offset:304
	v_add_f64_e32 v[2:3], v[2:3], v[93:94]
	v_add_f64_e32 v[6:7], v[6:7], v[95:96]
	ds_load_b128 v[93:96], v1 offset:528
	s_wait_loadcnt_dscnt 0xa01
	v_mul_f64_e32 v[115:116], v[61:62], v[71:72]
	v_mul_f64_e32 v[71:72], v[63:64], v[71:72]
	s_wait_loadcnt_dscnt 0x900
	v_mul_f64_e32 v[109:110], v[93:94], v[75:76]
	v_mul_f64_e32 v[75:76], v[95:96], v[75:76]
	v_add_f64_e32 v[2:3], v[2:3], v[113:114]
	v_add_f64_e32 v[6:7], v[6:7], v[111:112]
	v_fma_f64 v[111:112], v[63:64], v[69:70], v[115:116]
	v_fma_f64 v[113:114], v[61:62], v[69:70], -v[71:72]
	ds_load_b128 v[61:64], v1 offset:544
	scratch_load_b128 v[69:72], off, off offset:336
	v_fma_f64 v[95:96], v[95:96], v[73:74], v[109:110]
	v_fma_f64 v[93:94], v[93:94], v[73:74], -v[75:76]
	scratch_load_b128 v[73:76], off, off offset:352
	v_add_f64_e32 v[2:3], v[2:3], v[105:106]
	v_add_f64_e32 v[6:7], v[6:7], v[107:108]
	ds_load_b128 v[105:108], v1 offset:560
	s_wait_loadcnt_dscnt 0xa01
	v_mul_f64_e32 v[115:116], v[61:62], v[79:80]
	v_mul_f64_e32 v[79:80], v[63:64], v[79:80]
	s_wait_loadcnt_dscnt 0x900
	v_mul_f64_e32 v[109:110], v[105:106], v[83:84]
	v_mul_f64_e32 v[83:84], v[107:108], v[83:84]
	v_add_f64_e32 v[2:3], v[2:3], v[113:114]
	v_add_f64_e32 v[6:7], v[6:7], v[111:112]
	v_fma_f64 v[111:112], v[63:64], v[77:78], v[115:116]
	v_fma_f64 v[113:114], v[61:62], v[77:78], -v[79:80]
	ds_load_b128 v[61:64], v1 offset:576
	ds_load_b128 v[77:80], v1 offset:592
	v_add_f64_e32 v[2:3], v[2:3], v[93:94]
	v_add_f64_e32 v[6:7], v[6:7], v[95:96]
	s_wait_loadcnt_dscnt 0x801
	v_mul_f64_e32 v[93:94], v[61:62], v[87:88]
	v_mul_f64_e32 v[87:88], v[63:64], v[87:88]
	v_fma_f64 v[95:96], v[107:108], v[81:82], v[109:110]
	v_fma_f64 v[81:82], v[105:106], v[81:82], -v[83:84]
	v_add_f64_e32 v[2:3], v[2:3], v[113:114]
	v_add_f64_e32 v[6:7], v[6:7], v[111:112]
	v_fma_f64 v[93:94], v[63:64], v[85:86], v[93:94]
	v_fma_f64 v[85:86], v[61:62], v[85:86], -v[87:88]
	s_wait_loadcnt_dscnt 0x600
	v_mul_f64_e32 v[105:106], v[77:78], v[10:11]
	v_mul_f64_e32 v[10:11], v[79:80], v[10:11]
	v_add_f64_e32 v[2:3], v[2:3], v[81:82]
	v_add_f64_e32 v[6:7], v[6:7], v[95:96]
	ds_load_b128 v[61:64], v1 offset:608
	ds_load_b128 v[81:84], v1 offset:624
	v_fma_f64 v[79:80], v[79:80], v[8:9], v[105:106]
	v_fma_f64 v[8:9], v[77:78], v[8:9], -v[10:11]
	s_wait_loadcnt_dscnt 0x501
	v_mul_f64_e32 v[87:88], v[61:62], v[103:104]
	v_mul_f64_e32 v[95:96], v[63:64], v[103:104]
	s_wait_loadcnt_dscnt 0x400
	v_mul_f64_e32 v[10:11], v[81:82], v[59:60]
	v_mul_f64_e32 v[77:78], v[83:84], v[59:60]
	v_add_f64_e32 v[2:3], v[2:3], v[85:86]
	v_add_f64_e32 v[6:7], v[6:7], v[93:94]
	v_fma_f64 v[63:64], v[63:64], v[101:102], v[87:88]
	v_fma_f64 v[85:86], v[61:62], v[101:102], -v[95:96]
	v_fma_f64 v[10:11], v[83:84], v[57:58], v[10:11]
	v_fma_f64 v[57:58], v[81:82], v[57:58], -v[77:78]
	v_add_f64_e32 v[2:3], v[2:3], v[8:9]
	v_add_f64_e32 v[79:80], v[6:7], v[79:80]
	ds_load_b128 v[6:9], v1 offset:640
	ds_load_b128 v[59:62], v1 offset:656
	s_wait_loadcnt_dscnt 0x201
	v_mul_f64_e32 v[87:88], v[6:7], v[91:92]
	v_mul_f64_e32 v[91:92], v[8:9], v[91:92]
	s_wait_dscnt 0x0
	v_mul_f64_e32 v[77:78], v[59:60], v[67:68]
	v_mul_f64_e32 v[67:68], v[61:62], v[67:68]
	v_add_f64_e32 v[2:3], v[2:3], v[85:86]
	v_add_f64_e32 v[63:64], v[79:80], v[63:64]
	v_fma_f64 v[79:80], v[8:9], v[89:90], v[87:88]
	v_fma_f64 v[81:82], v[6:7], v[89:90], -v[91:92]
	v_fma_f64 v[61:62], v[61:62], v[65:66], v[77:78]
	v_fma_f64 v[59:60], v[59:60], v[65:66], -v[67:68]
	v_add_f64_e32 v[57:58], v[2:3], v[57:58]
	v_add_f64_e32 v[10:11], v[63:64], v[10:11]
	ds_load_b128 v[6:9], v1 offset:672
	ds_load_b128 v[1:4], v1 offset:688
	s_wait_loadcnt_dscnt 0x101
	v_mul_f64_e32 v[63:64], v[6:7], v[71:72]
	v_mul_f64_e32 v[71:72], v[8:9], v[71:72]
	s_wait_loadcnt_dscnt 0x0
	v_mul_f64_e32 v[65:66], v[1:2], v[75:76]
	v_mul_f64_e32 v[67:68], v[3:4], v[75:76]
	v_add_f64_e32 v[57:58], v[57:58], v[81:82]
	v_add_f64_e32 v[10:11], v[10:11], v[79:80]
	v_fma_f64 v[8:9], v[8:9], v[69:70], v[63:64]
	v_fma_f64 v[6:7], v[6:7], v[69:70], -v[71:72]
	v_fma_f64 v[3:4], v[3:4], v[73:74], v[65:66]
	v_fma_f64 v[1:2], v[1:2], v[73:74], -v[67:68]
	v_add_f64_e32 v[57:58], v[57:58], v[59:60]
	v_add_f64_e32 v[10:11], v[10:11], v[61:62]
	s_delay_alu instid0(VALU_DEP_2) | instskip(NEXT) | instid1(VALU_DEP_2)
	v_add_f64_e32 v[6:7], v[57:58], v[6:7]
	v_add_f64_e32 v[8:9], v[10:11], v[8:9]
	s_delay_alu instid0(VALU_DEP_2) | instskip(NEXT) | instid1(VALU_DEP_2)
	;; [unrolled: 3-line block ×3, first 2 shown]
	v_add_f64_e64 v[1:2], v[97:98], -v[1:2]
	v_add_f64_e64 v[3:4], v[99:100], -v[3:4]
	scratch_store_b128 off, v[1:4], off offset:96
	v_cmpx_lt_u32_e32 4, v0
	s_cbranch_execz .LBB21_137
; %bb.136:
	scratch_load_b128 v[1:4], off, s14
	v_mov_b32_e32 v6, 0
	s_delay_alu instid0(VALU_DEP_1)
	v_dual_mov_b32 v7, v6 :: v_dual_mov_b32 v8, v6
	v_mov_b32_e32 v9, v6
	scratch_store_b128 off, v[6:9], off offset:80
	s_wait_loadcnt 0x0
	ds_store_b128 v5, v[1:4]
.LBB21_137:
	s_wait_alu 0xfffe
	s_or_b32 exec_lo, exec_lo, s0
	s_wait_storecnt_dscnt 0x0
	s_barrier_signal -1
	s_barrier_wait -1
	global_inv scope:SCOPE_SE
	s_clause 0x7
	scratch_load_b128 v[6:9], off, off offset:96
	scratch_load_b128 v[57:60], off, off offset:112
	;; [unrolled: 1-line block ×8, first 2 shown]
	v_mov_b32_e32 v1, 0
	s_mov_b32 s0, exec_lo
	ds_load_b128 v[85:88], v1 offset:432
	s_clause 0x1
	scratch_load_b128 v[89:92], off, off offset:224
	scratch_load_b128 v[93:96], off, off offset:80
	ds_load_b128 v[97:100], v1 offset:448
	ds_load_b128 v[105:108], v1 offset:480
	s_wait_loadcnt_dscnt 0x902
	v_mul_f64_e32 v[2:3], v[87:88], v[8:9]
	v_mul_f64_e32 v[101:102], v[85:86], v[8:9]
	scratch_load_b128 v[8:11], off, off offset:240
	v_fma_f64 v[2:3], v[85:86], v[6:7], -v[2:3]
	v_fma_f64 v[6:7], v[87:88], v[6:7], v[101:102]
	ds_load_b128 v[85:88], v1 offset:464
	s_wait_loadcnt_dscnt 0x902
	v_mul_f64_e32 v[109:110], v[97:98], v[59:60]
	v_mul_f64_e32 v[59:60], v[99:100], v[59:60]
	scratch_load_b128 v[101:104], off, off offset:256
	s_wait_loadcnt_dscnt 0x900
	v_mul_f64_e32 v[111:112], v[85:86], v[63:64]
	v_mul_f64_e32 v[63:64], v[87:88], v[63:64]
	v_add_f64_e32 v[2:3], 0, v[2:3]
	v_add_f64_e32 v[6:7], 0, v[6:7]
	v_fma_f64 v[99:100], v[99:100], v[57:58], v[109:110]
	v_fma_f64 v[97:98], v[97:98], v[57:58], -v[59:60]
	scratch_load_b128 v[57:60], off, off offset:272
	v_fma_f64 v[111:112], v[87:88], v[61:62], v[111:112]
	v_fma_f64 v[113:114], v[85:86], v[61:62], -v[63:64]
	ds_load_b128 v[61:64], v1 offset:496
	s_wait_loadcnt 0x9
	v_mul_f64_e32 v[109:110], v[105:106], v[67:68]
	v_mul_f64_e32 v[67:68], v[107:108], v[67:68]
	scratch_load_b128 v[85:88], off, off offset:288
	v_add_f64_e32 v[6:7], v[6:7], v[99:100]
	v_add_f64_e32 v[2:3], v[2:3], v[97:98]
	ds_load_b128 v[97:100], v1 offset:512
	s_wait_loadcnt_dscnt 0x901
	v_mul_f64_e32 v[115:116], v[61:62], v[71:72]
	v_mul_f64_e32 v[71:72], v[63:64], v[71:72]
	v_fma_f64 v[107:108], v[107:108], v[65:66], v[109:110]
	v_fma_f64 v[105:106], v[105:106], v[65:66], -v[67:68]
	scratch_load_b128 v[65:68], off, off offset:304
	v_add_f64_e32 v[6:7], v[6:7], v[111:112]
	v_add_f64_e32 v[2:3], v[2:3], v[113:114]
	v_fma_f64 v[111:112], v[63:64], v[69:70], v[115:116]
	v_fma_f64 v[113:114], v[61:62], v[69:70], -v[71:72]
	ds_load_b128 v[61:64], v1 offset:528
	s_wait_loadcnt_dscnt 0x901
	v_mul_f64_e32 v[109:110], v[97:98], v[75:76]
	v_mul_f64_e32 v[75:76], v[99:100], v[75:76]
	scratch_load_b128 v[69:72], off, off offset:320
	s_wait_loadcnt_dscnt 0x900
	v_mul_f64_e32 v[115:116], v[61:62], v[79:80]
	v_mul_f64_e32 v[79:80], v[63:64], v[79:80]
	v_add_f64_e32 v[6:7], v[6:7], v[107:108]
	v_add_f64_e32 v[2:3], v[2:3], v[105:106]
	ds_load_b128 v[105:108], v1 offset:544
	v_fma_f64 v[99:100], v[99:100], v[73:74], v[109:110]
	v_fma_f64 v[97:98], v[97:98], v[73:74], -v[75:76]
	scratch_load_b128 v[73:76], off, off offset:336
	v_add_f64_e32 v[6:7], v[6:7], v[111:112]
	v_add_f64_e32 v[2:3], v[2:3], v[113:114]
	v_fma_f64 v[111:112], v[63:64], v[77:78], v[115:116]
	v_fma_f64 v[113:114], v[61:62], v[77:78], -v[79:80]
	ds_load_b128 v[61:64], v1 offset:560
	s_wait_loadcnt_dscnt 0x901
	v_mul_f64_e32 v[109:110], v[105:106], v[83:84]
	v_mul_f64_e32 v[83:84], v[107:108], v[83:84]
	scratch_load_b128 v[77:80], off, off offset:352
	s_wait_loadcnt_dscnt 0x900
	v_mul_f64_e32 v[115:116], v[61:62], v[91:92]
	v_mul_f64_e32 v[91:92], v[63:64], v[91:92]
	v_add_f64_e32 v[6:7], v[6:7], v[99:100]
	v_add_f64_e32 v[2:3], v[2:3], v[97:98]
	ds_load_b128 v[97:100], v1 offset:576
	v_fma_f64 v[107:108], v[107:108], v[81:82], v[109:110]
	v_fma_f64 v[81:82], v[105:106], v[81:82], -v[83:84]
	v_fma_f64 v[109:110], v[63:64], v[89:90], v[115:116]
	v_fma_f64 v[89:90], v[61:62], v[89:90], -v[91:92]
	v_add_f64_e32 v[6:7], v[6:7], v[111:112]
	v_add_f64_e32 v[2:3], v[2:3], v[113:114]
	s_wait_loadcnt_dscnt 0x700
	v_mul_f64_e32 v[105:106], v[97:98], v[10:11]
	v_mul_f64_e32 v[10:11], v[99:100], v[10:11]
	s_delay_alu instid0(VALU_DEP_4) | instskip(NEXT) | instid1(VALU_DEP_4)
	v_add_f64_e32 v[6:7], v[6:7], v[107:108]
	v_add_f64_e32 v[2:3], v[2:3], v[81:82]
	ds_load_b128 v[61:64], v1 offset:592
	ds_load_b128 v[81:84], v1 offset:608
	v_fma_f64 v[99:100], v[99:100], v[8:9], v[105:106]
	v_fma_f64 v[8:9], v[97:98], v[8:9], -v[10:11]
	s_wait_loadcnt_dscnt 0x601
	v_mul_f64_e32 v[91:92], v[61:62], v[103:104]
	v_mul_f64_e32 v[103:104], v[63:64], v[103:104]
	v_add_f64_e32 v[6:7], v[6:7], v[109:110]
	v_add_f64_e32 v[2:3], v[2:3], v[89:90]
	s_wait_loadcnt_dscnt 0x500
	v_mul_f64_e32 v[10:11], v[81:82], v[59:60]
	v_mul_f64_e32 v[89:90], v[83:84], v[59:60]
	v_fma_f64 v[63:64], v[63:64], v[101:102], v[91:92]
	v_fma_f64 v[91:92], v[61:62], v[101:102], -v[103:104]
	v_add_f64_e32 v[97:98], v[6:7], v[99:100]
	v_add_f64_e32 v[2:3], v[2:3], v[8:9]
	ds_load_b128 v[6:9], v1 offset:624
	ds_load_b128 v[59:62], v1 offset:640
	v_fma_f64 v[10:11], v[83:84], v[57:58], v[10:11]
	v_fma_f64 v[57:58], v[81:82], v[57:58], -v[89:90]
	s_wait_loadcnt_dscnt 0x401
	v_mul_f64_e32 v[99:100], v[6:7], v[87:88]
	v_mul_f64_e32 v[87:88], v[8:9], v[87:88]
	v_add_f64_e32 v[63:64], v[97:98], v[63:64]
	v_add_f64_e32 v[2:3], v[2:3], v[91:92]
	s_wait_loadcnt_dscnt 0x300
	v_mul_f64_e32 v[89:90], v[59:60], v[67:68]
	v_mul_f64_e32 v[67:68], v[61:62], v[67:68]
	v_fma_f64 v[91:92], v[8:9], v[85:86], v[99:100]
	v_fma_f64 v[85:86], v[6:7], v[85:86], -v[87:88]
	ds_load_b128 v[6:9], v1 offset:656
	ds_load_b128 v[81:84], v1 offset:672
	v_add_f64_e32 v[10:11], v[63:64], v[10:11]
	v_add_f64_e32 v[2:3], v[2:3], v[57:58]
	v_fma_f64 v[61:62], v[61:62], v[65:66], v[89:90]
	v_fma_f64 v[59:60], v[59:60], v[65:66], -v[67:68]
	s_wait_loadcnt_dscnt 0x201
	v_mul_f64_e32 v[57:58], v[6:7], v[71:72]
	v_mul_f64_e32 v[63:64], v[8:9], v[71:72]
	s_wait_loadcnt_dscnt 0x100
	v_mul_f64_e32 v[65:66], v[81:82], v[75:76]
	v_mul_f64_e32 v[67:68], v[83:84], v[75:76]
	v_add_f64_e32 v[10:11], v[10:11], v[91:92]
	v_add_f64_e32 v[2:3], v[2:3], v[85:86]
	v_fma_f64 v[57:58], v[8:9], v[69:70], v[57:58]
	v_fma_f64 v[63:64], v[6:7], v[69:70], -v[63:64]
	ds_load_b128 v[6:9], v1 offset:688
	v_fma_f64 v[65:66], v[83:84], v[73:74], v[65:66]
	v_fma_f64 v[67:68], v[81:82], v[73:74], -v[67:68]
	v_add_f64_e32 v[10:11], v[10:11], v[61:62]
	v_add_f64_e32 v[2:3], v[2:3], v[59:60]
	s_wait_loadcnt_dscnt 0x0
	v_mul_f64_e32 v[59:60], v[6:7], v[79:80]
	v_mul_f64_e32 v[61:62], v[8:9], v[79:80]
	s_delay_alu instid0(VALU_DEP_4) | instskip(NEXT) | instid1(VALU_DEP_4)
	v_add_f64_e32 v[10:11], v[10:11], v[57:58]
	v_add_f64_e32 v[2:3], v[2:3], v[63:64]
	s_delay_alu instid0(VALU_DEP_4) | instskip(NEXT) | instid1(VALU_DEP_4)
	v_fma_f64 v[8:9], v[8:9], v[77:78], v[59:60]
	v_fma_f64 v[6:7], v[6:7], v[77:78], -v[61:62]
	s_delay_alu instid0(VALU_DEP_4) | instskip(NEXT) | instid1(VALU_DEP_4)
	v_add_f64_e32 v[10:11], v[10:11], v[65:66]
	v_add_f64_e32 v[2:3], v[2:3], v[67:68]
	s_delay_alu instid0(VALU_DEP_2) | instskip(NEXT) | instid1(VALU_DEP_2)
	v_add_f64_e32 v[8:9], v[10:11], v[8:9]
	v_add_f64_e32 v[2:3], v[2:3], v[6:7]
	s_delay_alu instid0(VALU_DEP_2) | instskip(NEXT) | instid1(VALU_DEP_2)
	v_add_f64_e64 v[8:9], v[95:96], -v[8:9]
	v_add_f64_e64 v[6:7], v[93:94], -v[2:3]
	scratch_store_b128 off, v[6:9], off offset:80
	v_cmpx_lt_u32_e32 3, v0
	s_cbranch_execz .LBB21_139
; %bb.138:
	scratch_load_b128 v[6:9], off, s13
	v_dual_mov_b32 v2, v1 :: v_dual_mov_b32 v3, v1
	v_mov_b32_e32 v4, v1
	scratch_store_b128 off, v[1:4], off offset:64
	s_wait_loadcnt 0x0
	ds_store_b128 v5, v[6:9]
.LBB21_139:
	s_wait_alu 0xfffe
	s_or_b32 exec_lo, exec_lo, s0
	s_wait_storecnt_dscnt 0x0
	s_barrier_signal -1
	s_barrier_wait -1
	global_inv scope:SCOPE_SE
	s_clause 0x8
	scratch_load_b128 v[6:9], off, off offset:80
	scratch_load_b128 v[57:60], off, off offset:96
	;; [unrolled: 1-line block ×9, first 2 shown]
	ds_load_b128 v[89:92], v1 offset:416
	ds_load_b128 v[93:96], v1 offset:432
	scratch_load_b128 v[97:100], off, off offset:64
	s_mov_b32 s0, exec_lo
	ds_load_b128 v[105:108], v1 offset:464
	s_wait_loadcnt_dscnt 0x902
	v_mul_f64_e32 v[2:3], v[91:92], v[8:9]
	v_mul_f64_e32 v[101:102], v[89:90], v[8:9]
	scratch_load_b128 v[8:11], off, off offset:224
	s_wait_loadcnt_dscnt 0x901
	v_mul_f64_e32 v[109:110], v[93:94], v[59:60]
	v_mul_f64_e32 v[59:60], v[95:96], v[59:60]
	v_fma_f64 v[2:3], v[89:90], v[6:7], -v[2:3]
	v_fma_f64 v[6:7], v[91:92], v[6:7], v[101:102]
	ds_load_b128 v[89:92], v1 offset:448
	scratch_load_b128 v[101:104], off, off offset:240
	v_fma_f64 v[95:96], v[95:96], v[57:58], v[109:110]
	v_fma_f64 v[93:94], v[93:94], v[57:58], -v[59:60]
	scratch_load_b128 v[57:60], off, off offset:256
	s_wait_loadcnt_dscnt 0x901
	v_mul_f64_e32 v[109:110], v[105:106], v[67:68]
	v_mul_f64_e32 v[67:68], v[107:108], v[67:68]
	s_wait_dscnt 0x0
	v_mul_f64_e32 v[111:112], v[89:90], v[63:64]
	v_mul_f64_e32 v[63:64], v[91:92], v[63:64]
	v_add_f64_e32 v[2:3], 0, v[2:3]
	v_add_f64_e32 v[6:7], 0, v[6:7]
	v_fma_f64 v[107:108], v[107:108], v[65:66], v[109:110]
	v_fma_f64 v[105:106], v[105:106], v[65:66], -v[67:68]
	scratch_load_b128 v[65:68], off, off offset:288
	v_fma_f64 v[111:112], v[91:92], v[61:62], v[111:112]
	v_fma_f64 v[113:114], v[89:90], v[61:62], -v[63:64]
	ds_load_b128 v[61:64], v1 offset:480
	scratch_load_b128 v[89:92], off, off offset:272
	v_add_f64_e32 v[2:3], v[2:3], v[93:94]
	v_add_f64_e32 v[6:7], v[6:7], v[95:96]
	ds_load_b128 v[93:96], v1 offset:496
	s_wait_loadcnt_dscnt 0xa01
	v_mul_f64_e32 v[115:116], v[61:62], v[71:72]
	v_mul_f64_e32 v[71:72], v[63:64], v[71:72]
	s_wait_loadcnt_dscnt 0x900
	v_mul_f64_e32 v[109:110], v[93:94], v[75:76]
	v_mul_f64_e32 v[75:76], v[95:96], v[75:76]
	v_add_f64_e32 v[2:3], v[2:3], v[113:114]
	v_add_f64_e32 v[6:7], v[6:7], v[111:112]
	v_fma_f64 v[111:112], v[63:64], v[69:70], v[115:116]
	v_fma_f64 v[113:114], v[61:62], v[69:70], -v[71:72]
	ds_load_b128 v[61:64], v1 offset:512
	scratch_load_b128 v[69:72], off, off offset:304
	v_fma_f64 v[95:96], v[95:96], v[73:74], v[109:110]
	v_fma_f64 v[93:94], v[93:94], v[73:74], -v[75:76]
	scratch_load_b128 v[73:76], off, off offset:320
	v_add_f64_e32 v[2:3], v[2:3], v[105:106]
	v_add_f64_e32 v[6:7], v[6:7], v[107:108]
	ds_load_b128 v[105:108], v1 offset:528
	s_wait_loadcnt_dscnt 0xa01
	v_mul_f64_e32 v[115:116], v[61:62], v[79:80]
	v_mul_f64_e32 v[79:80], v[63:64], v[79:80]
	s_wait_loadcnt_dscnt 0x900
	v_mul_f64_e32 v[109:110], v[105:106], v[83:84]
	v_mul_f64_e32 v[83:84], v[107:108], v[83:84]
	v_add_f64_e32 v[2:3], v[2:3], v[113:114]
	v_add_f64_e32 v[6:7], v[6:7], v[111:112]
	v_fma_f64 v[111:112], v[63:64], v[77:78], v[115:116]
	v_fma_f64 v[113:114], v[61:62], v[77:78], -v[79:80]
	ds_load_b128 v[61:64], v1 offset:544
	scratch_load_b128 v[77:80], off, off offset:336
	v_fma_f64 v[107:108], v[107:108], v[81:82], v[109:110]
	v_fma_f64 v[105:106], v[105:106], v[81:82], -v[83:84]
	scratch_load_b128 v[81:84], off, off offset:352
	v_add_f64_e32 v[2:3], v[2:3], v[93:94]
	v_add_f64_e32 v[6:7], v[6:7], v[95:96]
	ds_load_b128 v[93:96], v1 offset:560
	s_wait_loadcnt_dscnt 0xa01
	v_mul_f64_e32 v[115:116], v[61:62], v[87:88]
	v_mul_f64_e32 v[87:88], v[63:64], v[87:88]
	v_add_f64_e32 v[2:3], v[2:3], v[113:114]
	v_add_f64_e32 v[6:7], v[6:7], v[111:112]
	s_delay_alu instid0(VALU_DEP_4) | instskip(NEXT) | instid1(VALU_DEP_4)
	v_fma_f64 v[111:112], v[63:64], v[85:86], v[115:116]
	v_fma_f64 v[113:114], v[61:62], v[85:86], -v[87:88]
	ds_load_b128 v[61:64], v1 offset:576
	ds_load_b128 v[85:88], v1 offset:592
	s_wait_loadcnt_dscnt 0x802
	v_mul_f64_e32 v[109:110], v[93:94], v[10:11]
	v_mul_f64_e32 v[10:11], v[95:96], v[10:11]
	v_add_f64_e32 v[2:3], v[2:3], v[105:106]
	v_add_f64_e32 v[6:7], v[6:7], v[107:108]
	s_delay_alu instid0(VALU_DEP_4)
	v_fma_f64 v[95:96], v[95:96], v[8:9], v[109:110]
	s_wait_loadcnt_dscnt 0x701
	v_mul_f64_e32 v[105:106], v[61:62], v[103:104]
	v_mul_f64_e32 v[103:104], v[63:64], v[103:104]
	v_fma_f64 v[8:9], v[93:94], v[8:9], -v[10:11]
	s_wait_loadcnt_dscnt 0x600
	v_mul_f64_e32 v[10:11], v[85:86], v[59:60]
	v_mul_f64_e32 v[93:94], v[87:88], v[59:60]
	v_add_f64_e32 v[2:3], v[2:3], v[113:114]
	v_add_f64_e32 v[6:7], v[6:7], v[111:112]
	v_fma_f64 v[63:64], v[63:64], v[101:102], v[105:106]
	v_fma_f64 v[101:102], v[61:62], v[101:102], -v[103:104]
	v_fma_f64 v[10:11], v[87:88], v[57:58], v[10:11]
	v_fma_f64 v[57:58], v[85:86], v[57:58], -v[93:94]
	v_add_f64_e32 v[2:3], v[2:3], v[8:9]
	v_add_f64_e32 v[95:96], v[6:7], v[95:96]
	ds_load_b128 v[6:9], v1 offset:608
	ds_load_b128 v[59:62], v1 offset:624
	s_wait_loadcnt_dscnt 0x401
	v_mul_f64_e32 v[103:104], v[6:7], v[91:92]
	v_mul_f64_e32 v[91:92], v[8:9], v[91:92]
	s_wait_dscnt 0x0
	v_mul_f64_e32 v[93:94], v[59:60], v[67:68]
	v_mul_f64_e32 v[67:68], v[61:62], v[67:68]
	v_add_f64_e32 v[2:3], v[2:3], v[101:102]
	v_add_f64_e32 v[63:64], v[95:96], v[63:64]
	v_fma_f64 v[95:96], v[8:9], v[89:90], v[103:104]
	v_fma_f64 v[89:90], v[6:7], v[89:90], -v[91:92]
	ds_load_b128 v[6:9], v1 offset:640
	ds_load_b128 v[85:88], v1 offset:656
	v_fma_f64 v[61:62], v[61:62], v[65:66], v[93:94]
	v_fma_f64 v[59:60], v[59:60], v[65:66], -v[67:68]
	v_add_f64_e32 v[2:3], v[2:3], v[57:58]
	v_add_f64_e32 v[10:11], v[63:64], v[10:11]
	s_wait_loadcnt_dscnt 0x301
	v_mul_f64_e32 v[57:58], v[6:7], v[71:72]
	v_mul_f64_e32 v[63:64], v[8:9], v[71:72]
	s_wait_loadcnt_dscnt 0x200
	v_mul_f64_e32 v[65:66], v[85:86], v[75:76]
	v_mul_f64_e32 v[67:68], v[87:88], v[75:76]
	v_add_f64_e32 v[2:3], v[2:3], v[89:90]
	v_add_f64_e32 v[10:11], v[10:11], v[95:96]
	v_fma_f64 v[57:58], v[8:9], v[69:70], v[57:58]
	v_fma_f64 v[63:64], v[6:7], v[69:70], -v[63:64]
	v_fma_f64 v[65:66], v[87:88], v[73:74], v[65:66]
	v_fma_f64 v[67:68], v[85:86], v[73:74], -v[67:68]
	v_add_f64_e32 v[59:60], v[2:3], v[59:60]
	v_add_f64_e32 v[10:11], v[10:11], v[61:62]
	ds_load_b128 v[6:9], v1 offset:672
	ds_load_b128 v[1:4], v1 offset:688
	s_wait_loadcnt_dscnt 0x101
	v_mul_f64_e32 v[61:62], v[6:7], v[79:80]
	v_mul_f64_e32 v[69:70], v[8:9], v[79:80]
	v_add_f64_e32 v[59:60], v[59:60], v[63:64]
	v_add_f64_e32 v[10:11], v[10:11], v[57:58]
	s_wait_loadcnt_dscnt 0x0
	v_mul_f64_e32 v[57:58], v[1:2], v[83:84]
	v_mul_f64_e32 v[63:64], v[3:4], v[83:84]
	v_fma_f64 v[8:9], v[8:9], v[77:78], v[61:62]
	v_fma_f64 v[6:7], v[6:7], v[77:78], -v[69:70]
	v_add_f64_e32 v[59:60], v[59:60], v[67:68]
	v_add_f64_e32 v[10:11], v[10:11], v[65:66]
	v_fma_f64 v[3:4], v[3:4], v[81:82], v[57:58]
	v_fma_f64 v[1:2], v[1:2], v[81:82], -v[63:64]
	s_delay_alu instid0(VALU_DEP_4) | instskip(NEXT) | instid1(VALU_DEP_4)
	v_add_f64_e32 v[6:7], v[59:60], v[6:7]
	v_add_f64_e32 v[8:9], v[10:11], v[8:9]
	s_delay_alu instid0(VALU_DEP_2) | instskip(NEXT) | instid1(VALU_DEP_2)
	v_add_f64_e32 v[1:2], v[6:7], v[1:2]
	v_add_f64_e32 v[3:4], v[8:9], v[3:4]
	s_delay_alu instid0(VALU_DEP_2) | instskip(NEXT) | instid1(VALU_DEP_2)
	v_add_f64_e64 v[1:2], v[97:98], -v[1:2]
	v_add_f64_e64 v[3:4], v[99:100], -v[3:4]
	scratch_store_b128 off, v[1:4], off offset:64
	v_cmpx_lt_u32_e32 2, v0
	s_cbranch_execz .LBB21_141
; %bb.140:
	scratch_load_b128 v[1:4], off, s21
	v_mov_b32_e32 v6, 0
	s_delay_alu instid0(VALU_DEP_1)
	v_dual_mov_b32 v7, v6 :: v_dual_mov_b32 v8, v6
	v_mov_b32_e32 v9, v6
	scratch_store_b128 off, v[6:9], off offset:48
	s_wait_loadcnt 0x0
	ds_store_b128 v5, v[1:4]
.LBB21_141:
	s_wait_alu 0xfffe
	s_or_b32 exec_lo, exec_lo, s0
	s_wait_storecnt_dscnt 0x0
	s_barrier_signal -1
	s_barrier_wait -1
	global_inv scope:SCOPE_SE
	s_clause 0x7
	scratch_load_b128 v[6:9], off, off offset:64
	scratch_load_b128 v[57:60], off, off offset:80
	scratch_load_b128 v[61:64], off, off offset:96
	scratch_load_b128 v[65:68], off, off offset:112
	scratch_load_b128 v[69:72], off, off offset:128
	scratch_load_b128 v[73:76], off, off offset:144
	scratch_load_b128 v[77:80], off, off offset:160
	scratch_load_b128 v[81:84], off, off offset:176
	v_mov_b32_e32 v1, 0
	s_mov_b32 s0, exec_lo
	ds_load_b128 v[85:88], v1 offset:400
	s_clause 0x1
	scratch_load_b128 v[89:92], off, off offset:192
	scratch_load_b128 v[93:96], off, off offset:48
	ds_load_b128 v[97:100], v1 offset:416
	ds_load_b128 v[105:108], v1 offset:448
	s_wait_loadcnt_dscnt 0x902
	v_mul_f64_e32 v[2:3], v[87:88], v[8:9]
	v_mul_f64_e32 v[101:102], v[85:86], v[8:9]
	scratch_load_b128 v[8:11], off, off offset:208
	v_fma_f64 v[2:3], v[85:86], v[6:7], -v[2:3]
	v_fma_f64 v[6:7], v[87:88], v[6:7], v[101:102]
	ds_load_b128 v[85:88], v1 offset:432
	s_wait_loadcnt_dscnt 0x902
	v_mul_f64_e32 v[109:110], v[97:98], v[59:60]
	v_mul_f64_e32 v[59:60], v[99:100], v[59:60]
	scratch_load_b128 v[101:104], off, off offset:224
	s_wait_loadcnt_dscnt 0x900
	v_mul_f64_e32 v[111:112], v[85:86], v[63:64]
	v_mul_f64_e32 v[63:64], v[87:88], v[63:64]
	v_add_f64_e32 v[2:3], 0, v[2:3]
	v_add_f64_e32 v[6:7], 0, v[6:7]
	v_fma_f64 v[99:100], v[99:100], v[57:58], v[109:110]
	v_fma_f64 v[97:98], v[97:98], v[57:58], -v[59:60]
	scratch_load_b128 v[57:60], off, off offset:240
	v_fma_f64 v[111:112], v[87:88], v[61:62], v[111:112]
	v_fma_f64 v[113:114], v[85:86], v[61:62], -v[63:64]
	ds_load_b128 v[61:64], v1 offset:464
	s_wait_loadcnt 0x9
	v_mul_f64_e32 v[109:110], v[105:106], v[67:68]
	v_mul_f64_e32 v[67:68], v[107:108], v[67:68]
	scratch_load_b128 v[85:88], off, off offset:256
	v_add_f64_e32 v[6:7], v[6:7], v[99:100]
	v_add_f64_e32 v[2:3], v[2:3], v[97:98]
	ds_load_b128 v[97:100], v1 offset:480
	s_wait_loadcnt_dscnt 0x901
	v_mul_f64_e32 v[115:116], v[61:62], v[71:72]
	v_mul_f64_e32 v[71:72], v[63:64], v[71:72]
	v_fma_f64 v[107:108], v[107:108], v[65:66], v[109:110]
	v_fma_f64 v[105:106], v[105:106], v[65:66], -v[67:68]
	scratch_load_b128 v[65:68], off, off offset:272
	v_add_f64_e32 v[6:7], v[6:7], v[111:112]
	v_add_f64_e32 v[2:3], v[2:3], v[113:114]
	v_fma_f64 v[111:112], v[63:64], v[69:70], v[115:116]
	v_fma_f64 v[113:114], v[61:62], v[69:70], -v[71:72]
	ds_load_b128 v[61:64], v1 offset:496
	s_wait_loadcnt_dscnt 0x901
	v_mul_f64_e32 v[109:110], v[97:98], v[75:76]
	v_mul_f64_e32 v[75:76], v[99:100], v[75:76]
	scratch_load_b128 v[69:72], off, off offset:288
	s_wait_loadcnt_dscnt 0x900
	v_mul_f64_e32 v[115:116], v[61:62], v[79:80]
	v_mul_f64_e32 v[79:80], v[63:64], v[79:80]
	v_add_f64_e32 v[6:7], v[6:7], v[107:108]
	v_add_f64_e32 v[2:3], v[2:3], v[105:106]
	ds_load_b128 v[105:108], v1 offset:512
	v_fma_f64 v[99:100], v[99:100], v[73:74], v[109:110]
	v_fma_f64 v[97:98], v[97:98], v[73:74], -v[75:76]
	scratch_load_b128 v[73:76], off, off offset:304
	v_add_f64_e32 v[6:7], v[6:7], v[111:112]
	v_add_f64_e32 v[2:3], v[2:3], v[113:114]
	v_fma_f64 v[111:112], v[63:64], v[77:78], v[115:116]
	v_fma_f64 v[113:114], v[61:62], v[77:78], -v[79:80]
	ds_load_b128 v[61:64], v1 offset:528
	s_wait_loadcnt_dscnt 0x901
	v_mul_f64_e32 v[109:110], v[105:106], v[83:84]
	v_mul_f64_e32 v[83:84], v[107:108], v[83:84]
	scratch_load_b128 v[77:80], off, off offset:320
	s_wait_loadcnt_dscnt 0x900
	v_mul_f64_e32 v[115:116], v[61:62], v[91:92]
	v_mul_f64_e32 v[91:92], v[63:64], v[91:92]
	v_add_f64_e32 v[6:7], v[6:7], v[99:100]
	v_add_f64_e32 v[2:3], v[2:3], v[97:98]
	ds_load_b128 v[97:100], v1 offset:544
	v_fma_f64 v[107:108], v[107:108], v[81:82], v[109:110]
	v_fma_f64 v[105:106], v[105:106], v[81:82], -v[83:84]
	scratch_load_b128 v[81:84], off, off offset:336
	v_add_f64_e32 v[6:7], v[6:7], v[111:112]
	v_add_f64_e32 v[2:3], v[2:3], v[113:114]
	v_fma_f64 v[111:112], v[63:64], v[89:90], v[115:116]
	v_fma_f64 v[113:114], v[61:62], v[89:90], -v[91:92]
	ds_load_b128 v[61:64], v1 offset:560
	scratch_load_b128 v[89:92], off, off offset:352
	s_wait_loadcnt_dscnt 0x901
	v_mul_f64_e32 v[109:110], v[97:98], v[10:11]
	v_mul_f64_e32 v[10:11], v[99:100], v[10:11]
	v_add_f64_e32 v[6:7], v[6:7], v[107:108]
	v_add_f64_e32 v[2:3], v[2:3], v[105:106]
	ds_load_b128 v[105:108], v1 offset:576
	v_fma_f64 v[99:100], v[99:100], v[8:9], v[109:110]
	v_fma_f64 v[8:9], v[97:98], v[8:9], -v[10:11]
	s_wait_loadcnt_dscnt 0x801
	v_mul_f64_e32 v[115:116], v[61:62], v[103:104]
	v_mul_f64_e32 v[103:104], v[63:64], v[103:104]
	v_add_f64_e32 v[6:7], v[6:7], v[111:112]
	v_add_f64_e32 v[2:3], v[2:3], v[113:114]
	s_wait_loadcnt_dscnt 0x700
	v_mul_f64_e32 v[10:11], v[105:106], v[59:60]
	v_mul_f64_e32 v[97:98], v[107:108], v[59:60]
	v_fma_f64 v[63:64], v[63:64], v[101:102], v[115:116]
	v_fma_f64 v[101:102], v[61:62], v[101:102], -v[103:104]
	v_add_f64_e32 v[99:100], v[6:7], v[99:100]
	v_add_f64_e32 v[2:3], v[2:3], v[8:9]
	ds_load_b128 v[6:9], v1 offset:592
	ds_load_b128 v[59:62], v1 offset:608
	v_fma_f64 v[10:11], v[107:108], v[57:58], v[10:11]
	v_fma_f64 v[57:58], v[105:106], v[57:58], -v[97:98]
	s_wait_loadcnt_dscnt 0x601
	v_mul_f64_e32 v[103:104], v[6:7], v[87:88]
	v_mul_f64_e32 v[87:88], v[8:9], v[87:88]
	v_add_f64_e32 v[63:64], v[99:100], v[63:64]
	v_add_f64_e32 v[2:3], v[2:3], v[101:102]
	s_wait_loadcnt_dscnt 0x500
	v_mul_f64_e32 v[97:98], v[59:60], v[67:68]
	v_mul_f64_e32 v[67:68], v[61:62], v[67:68]
	v_fma_f64 v[99:100], v[8:9], v[85:86], v[103:104]
	v_fma_f64 v[101:102], v[6:7], v[85:86], -v[87:88]
	ds_load_b128 v[6:9], v1 offset:624
	ds_load_b128 v[85:88], v1 offset:640
	v_add_f64_e32 v[10:11], v[63:64], v[10:11]
	v_add_f64_e32 v[2:3], v[2:3], v[57:58]
	v_fma_f64 v[61:62], v[61:62], v[65:66], v[97:98]
	v_fma_f64 v[59:60], v[59:60], v[65:66], -v[67:68]
	s_wait_loadcnt_dscnt 0x401
	v_mul_f64_e32 v[57:58], v[6:7], v[71:72]
	v_mul_f64_e32 v[63:64], v[8:9], v[71:72]
	s_wait_loadcnt_dscnt 0x300
	v_mul_f64_e32 v[65:66], v[85:86], v[75:76]
	v_mul_f64_e32 v[67:68], v[87:88], v[75:76]
	v_add_f64_e32 v[10:11], v[10:11], v[99:100]
	v_add_f64_e32 v[2:3], v[2:3], v[101:102]
	v_fma_f64 v[71:72], v[8:9], v[69:70], v[57:58]
	v_fma_f64 v[63:64], v[6:7], v[69:70], -v[63:64]
	v_fma_f64 v[65:66], v[87:88], v[73:74], v[65:66]
	v_fma_f64 v[67:68], v[85:86], v[73:74], -v[67:68]
	v_add_f64_e32 v[10:11], v[10:11], v[61:62]
	v_add_f64_e32 v[2:3], v[2:3], v[59:60]
	ds_load_b128 v[6:9], v1 offset:656
	ds_load_b128 v[57:60], v1 offset:672
	s_wait_loadcnt_dscnt 0x201
	v_mul_f64_e32 v[61:62], v[6:7], v[79:80]
	v_mul_f64_e32 v[69:70], v[8:9], v[79:80]
	v_add_f64_e32 v[10:11], v[10:11], v[71:72]
	v_add_f64_e32 v[2:3], v[2:3], v[63:64]
	s_wait_loadcnt_dscnt 0x100
	v_mul_f64_e32 v[63:64], v[57:58], v[83:84]
	v_mul_f64_e32 v[71:72], v[59:60], v[83:84]
	v_fma_f64 v[61:62], v[8:9], v[77:78], v[61:62]
	v_fma_f64 v[69:70], v[6:7], v[77:78], -v[69:70]
	ds_load_b128 v[6:9], v1 offset:688
	v_add_f64_e32 v[10:11], v[10:11], v[65:66]
	v_add_f64_e32 v[2:3], v[2:3], v[67:68]
	v_fma_f64 v[59:60], v[59:60], v[81:82], v[63:64]
	v_fma_f64 v[57:58], v[57:58], v[81:82], -v[71:72]
	s_wait_loadcnt_dscnt 0x0
	v_mul_f64_e32 v[65:66], v[6:7], v[91:92]
	v_mul_f64_e32 v[67:68], v[8:9], v[91:92]
	v_add_f64_e32 v[10:11], v[10:11], v[61:62]
	v_add_f64_e32 v[2:3], v[2:3], v[69:70]
	s_delay_alu instid0(VALU_DEP_4) | instskip(NEXT) | instid1(VALU_DEP_4)
	v_fma_f64 v[8:9], v[8:9], v[89:90], v[65:66]
	v_fma_f64 v[6:7], v[6:7], v[89:90], -v[67:68]
	s_delay_alu instid0(VALU_DEP_4) | instskip(NEXT) | instid1(VALU_DEP_4)
	v_add_f64_e32 v[10:11], v[10:11], v[59:60]
	v_add_f64_e32 v[2:3], v[2:3], v[57:58]
	s_delay_alu instid0(VALU_DEP_2) | instskip(NEXT) | instid1(VALU_DEP_2)
	v_add_f64_e32 v[8:9], v[10:11], v[8:9]
	v_add_f64_e32 v[2:3], v[2:3], v[6:7]
	s_delay_alu instid0(VALU_DEP_2) | instskip(NEXT) | instid1(VALU_DEP_2)
	v_add_f64_e64 v[8:9], v[95:96], -v[8:9]
	v_add_f64_e64 v[6:7], v[93:94], -v[2:3]
	scratch_store_b128 off, v[6:9], off offset:48
	v_cmpx_lt_u32_e32 1, v0
	s_cbranch_execz .LBB21_143
; %bb.142:
	scratch_load_b128 v[6:9], off, s24
	v_dual_mov_b32 v2, v1 :: v_dual_mov_b32 v3, v1
	v_mov_b32_e32 v4, v1
	scratch_store_b128 off, v[1:4], off offset:32
	s_wait_loadcnt 0x0
	ds_store_b128 v5, v[6:9]
.LBB21_143:
	s_wait_alu 0xfffe
	s_or_b32 exec_lo, exec_lo, s0
	s_wait_storecnt_dscnt 0x0
	s_barrier_signal -1
	s_barrier_wait -1
	global_inv scope:SCOPE_SE
	s_clause 0x8
	scratch_load_b128 v[6:9], off, off offset:48
	scratch_load_b128 v[57:60], off, off offset:64
	scratch_load_b128 v[61:64], off, off offset:80
	scratch_load_b128 v[65:68], off, off offset:96
	scratch_load_b128 v[69:72], off, off offset:112
	scratch_load_b128 v[73:76], off, off offset:128
	scratch_load_b128 v[77:80], off, off offset:144
	scratch_load_b128 v[81:84], off, off offset:160
	scratch_load_b128 v[85:88], off, off offset:176
	ds_load_b128 v[89:92], v1 offset:384
	ds_load_b128 v[93:96], v1 offset:400
	scratch_load_b128 v[97:100], off, off offset:32
	s_mov_b32 s0, exec_lo
	ds_load_b128 v[105:108], v1 offset:432
	s_wait_loadcnt_dscnt 0x902
	v_mul_f64_e32 v[2:3], v[91:92], v[8:9]
	v_mul_f64_e32 v[101:102], v[89:90], v[8:9]
	scratch_load_b128 v[8:11], off, off offset:192
	s_wait_loadcnt_dscnt 0x901
	v_mul_f64_e32 v[109:110], v[93:94], v[59:60]
	v_mul_f64_e32 v[59:60], v[95:96], v[59:60]
	v_fma_f64 v[2:3], v[89:90], v[6:7], -v[2:3]
	v_fma_f64 v[6:7], v[91:92], v[6:7], v[101:102]
	ds_load_b128 v[89:92], v1 offset:416
	scratch_load_b128 v[101:104], off, off offset:208
	v_fma_f64 v[95:96], v[95:96], v[57:58], v[109:110]
	v_fma_f64 v[93:94], v[93:94], v[57:58], -v[59:60]
	scratch_load_b128 v[57:60], off, off offset:224
	s_wait_loadcnt_dscnt 0x901
	v_mul_f64_e32 v[109:110], v[105:106], v[67:68]
	v_mul_f64_e32 v[67:68], v[107:108], v[67:68]
	s_wait_dscnt 0x0
	v_mul_f64_e32 v[111:112], v[89:90], v[63:64]
	v_mul_f64_e32 v[63:64], v[91:92], v[63:64]
	v_add_f64_e32 v[2:3], 0, v[2:3]
	v_add_f64_e32 v[6:7], 0, v[6:7]
	v_fma_f64 v[107:108], v[107:108], v[65:66], v[109:110]
	v_fma_f64 v[105:106], v[105:106], v[65:66], -v[67:68]
	scratch_load_b128 v[65:68], off, off offset:256
	v_fma_f64 v[111:112], v[91:92], v[61:62], v[111:112]
	v_fma_f64 v[113:114], v[89:90], v[61:62], -v[63:64]
	ds_load_b128 v[61:64], v1 offset:448
	scratch_load_b128 v[89:92], off, off offset:240
	v_add_f64_e32 v[2:3], v[2:3], v[93:94]
	v_add_f64_e32 v[6:7], v[6:7], v[95:96]
	ds_load_b128 v[93:96], v1 offset:464
	s_wait_loadcnt_dscnt 0xa01
	v_mul_f64_e32 v[115:116], v[61:62], v[71:72]
	v_mul_f64_e32 v[71:72], v[63:64], v[71:72]
	s_wait_loadcnt_dscnt 0x900
	v_mul_f64_e32 v[109:110], v[93:94], v[75:76]
	v_mul_f64_e32 v[75:76], v[95:96], v[75:76]
	v_add_f64_e32 v[2:3], v[2:3], v[113:114]
	v_add_f64_e32 v[6:7], v[6:7], v[111:112]
	v_fma_f64 v[111:112], v[63:64], v[69:70], v[115:116]
	v_fma_f64 v[113:114], v[61:62], v[69:70], -v[71:72]
	ds_load_b128 v[61:64], v1 offset:480
	scratch_load_b128 v[69:72], off, off offset:272
	v_fma_f64 v[95:96], v[95:96], v[73:74], v[109:110]
	v_fma_f64 v[93:94], v[93:94], v[73:74], -v[75:76]
	scratch_load_b128 v[73:76], off, off offset:288
	v_add_f64_e32 v[2:3], v[2:3], v[105:106]
	v_add_f64_e32 v[6:7], v[6:7], v[107:108]
	ds_load_b128 v[105:108], v1 offset:496
	s_wait_loadcnt_dscnt 0xa01
	v_mul_f64_e32 v[115:116], v[61:62], v[79:80]
	v_mul_f64_e32 v[79:80], v[63:64], v[79:80]
	s_wait_loadcnt_dscnt 0x900
	v_mul_f64_e32 v[109:110], v[105:106], v[83:84]
	v_mul_f64_e32 v[83:84], v[107:108], v[83:84]
	v_add_f64_e32 v[2:3], v[2:3], v[113:114]
	v_add_f64_e32 v[6:7], v[6:7], v[111:112]
	v_fma_f64 v[111:112], v[63:64], v[77:78], v[115:116]
	v_fma_f64 v[113:114], v[61:62], v[77:78], -v[79:80]
	ds_load_b128 v[61:64], v1 offset:512
	scratch_load_b128 v[77:80], off, off offset:304
	v_fma_f64 v[107:108], v[107:108], v[81:82], v[109:110]
	v_fma_f64 v[105:106], v[105:106], v[81:82], -v[83:84]
	scratch_load_b128 v[81:84], off, off offset:320
	v_add_f64_e32 v[2:3], v[2:3], v[93:94]
	v_add_f64_e32 v[6:7], v[6:7], v[95:96]
	ds_load_b128 v[93:96], v1 offset:528
	s_wait_loadcnt_dscnt 0xa01
	v_mul_f64_e32 v[115:116], v[61:62], v[87:88]
	v_mul_f64_e32 v[87:88], v[63:64], v[87:88]
	v_add_f64_e32 v[2:3], v[2:3], v[113:114]
	v_add_f64_e32 v[6:7], v[6:7], v[111:112]
	s_delay_alu instid0(VALU_DEP_4) | instskip(NEXT) | instid1(VALU_DEP_4)
	v_fma_f64 v[111:112], v[63:64], v[85:86], v[115:116]
	v_fma_f64 v[113:114], v[61:62], v[85:86], -v[87:88]
	ds_load_b128 v[61:64], v1 offset:544
	scratch_load_b128 v[85:88], off, off offset:336
	s_wait_loadcnt_dscnt 0x901
	v_mul_f64_e32 v[109:110], v[93:94], v[10:11]
	v_mul_f64_e32 v[10:11], v[95:96], v[10:11]
	v_add_f64_e32 v[2:3], v[2:3], v[105:106]
	v_add_f64_e32 v[6:7], v[6:7], v[107:108]
	ds_load_b128 v[105:108], v1 offset:560
	v_fma_f64 v[95:96], v[95:96], v[8:9], v[109:110]
	s_wait_loadcnt_dscnt 0x801
	v_mul_f64_e32 v[115:116], v[61:62], v[103:104]
	v_mul_f64_e32 v[103:104], v[63:64], v[103:104]
	v_fma_f64 v[10:11], v[93:94], v[8:9], -v[10:11]
	s_wait_loadcnt_dscnt 0x700
	v_mul_f64_e32 v[109:110], v[105:106], v[59:60]
	v_add_f64_e32 v[2:3], v[2:3], v[113:114]
	v_add_f64_e32 v[93:94], v[6:7], v[111:112]
	scratch_load_b128 v[6:9], off, off offset:352
	v_mul_f64_e32 v[111:112], v[107:108], v[59:60]
	v_fma_f64 v[63:64], v[63:64], v[101:102], v[115:116]
	v_fma_f64 v[101:102], v[61:62], v[101:102], -v[103:104]
	v_fma_f64 v[107:108], v[107:108], v[57:58], v[109:110]
	v_add_f64_e32 v[2:3], v[2:3], v[10:11]
	v_add_f64_e32 v[10:11], v[93:94], v[95:96]
	ds_load_b128 v[59:62], v1 offset:576
	ds_load_b128 v[93:96], v1 offset:592
	v_fma_f64 v[57:58], v[105:106], v[57:58], -v[111:112]
	s_wait_loadcnt_dscnt 0x601
	v_mul_f64_e32 v[103:104], v[59:60], v[91:92]
	v_mul_f64_e32 v[91:92], v[61:62], v[91:92]
	v_add_f64_e32 v[2:3], v[2:3], v[101:102]
	v_add_f64_e32 v[10:11], v[10:11], v[63:64]
	s_wait_dscnt 0x0
	v_mul_f64_e32 v[101:102], v[93:94], v[67:68]
	v_mul_f64_e32 v[67:68], v[95:96], v[67:68]
	v_fma_f64 v[103:104], v[61:62], v[89:90], v[103:104]
	v_fma_f64 v[89:90], v[59:60], v[89:90], -v[91:92]
	v_add_f64_e32 v[2:3], v[2:3], v[57:58]
	v_add_f64_e32 v[10:11], v[10:11], v[107:108]
	ds_load_b128 v[57:60], v1 offset:608
	ds_load_b128 v[61:64], v1 offset:624
	v_fma_f64 v[95:96], v[95:96], v[65:66], v[101:102]
	v_fma_f64 v[65:66], v[93:94], v[65:66], -v[67:68]
	s_wait_loadcnt_dscnt 0x501
	v_mul_f64_e32 v[91:92], v[57:58], v[71:72]
	v_mul_f64_e32 v[71:72], v[59:60], v[71:72]
	v_add_f64_e32 v[2:3], v[2:3], v[89:90]
	v_add_f64_e32 v[10:11], v[10:11], v[103:104]
	s_wait_loadcnt_dscnt 0x400
	v_mul_f64_e32 v[89:90], v[61:62], v[75:76]
	v_mul_f64_e32 v[75:76], v[63:64], v[75:76]
	v_fma_f64 v[91:92], v[59:60], v[69:70], v[91:92]
	v_fma_f64 v[69:70], v[57:58], v[69:70], -v[71:72]
	v_add_f64_e32 v[2:3], v[2:3], v[65:66]
	v_add_f64_e32 v[10:11], v[10:11], v[95:96]
	ds_load_b128 v[57:60], v1 offset:640
	ds_load_b128 v[65:68], v1 offset:656
	v_fma_f64 v[63:64], v[63:64], v[73:74], v[89:90]
	v_fma_f64 v[61:62], v[61:62], v[73:74], -v[75:76]
	s_wait_loadcnt_dscnt 0x301
	v_mul_f64_e32 v[71:72], v[57:58], v[79:80]
	v_mul_f64_e32 v[79:80], v[59:60], v[79:80]
	s_wait_loadcnt_dscnt 0x200
	v_mul_f64_e32 v[73:74], v[67:68], v[83:84]
	v_add_f64_e32 v[2:3], v[2:3], v[69:70]
	v_add_f64_e32 v[10:11], v[10:11], v[91:92]
	v_mul_f64_e32 v[69:70], v[65:66], v[83:84]
	v_fma_f64 v[71:72], v[59:60], v[77:78], v[71:72]
	v_fma_f64 v[75:76], v[57:58], v[77:78], -v[79:80]
	v_fma_f64 v[65:66], v[65:66], v[81:82], -v[73:74]
	v_add_f64_e32 v[61:62], v[2:3], v[61:62]
	v_add_f64_e32 v[10:11], v[10:11], v[63:64]
	ds_load_b128 v[57:60], v1 offset:672
	ds_load_b128 v[1:4], v1 offset:688
	v_fma_f64 v[67:68], v[67:68], v[81:82], v[69:70]
	s_wait_loadcnt_dscnt 0x101
	v_mul_f64_e32 v[63:64], v[57:58], v[87:88]
	v_mul_f64_e32 v[77:78], v[59:60], v[87:88]
	v_add_f64_e32 v[61:62], v[61:62], v[75:76]
	v_add_f64_e32 v[10:11], v[10:11], v[71:72]
	s_wait_loadcnt_dscnt 0x0
	v_mul_f64_e32 v[69:70], v[1:2], v[8:9]
	v_mul_f64_e32 v[8:9], v[3:4], v[8:9]
	v_fma_f64 v[59:60], v[59:60], v[85:86], v[63:64]
	v_fma_f64 v[57:58], v[57:58], v[85:86], -v[77:78]
	v_add_f64_e32 v[61:62], v[61:62], v[65:66]
	v_add_f64_e32 v[10:11], v[10:11], v[67:68]
	v_fma_f64 v[3:4], v[3:4], v[6:7], v[69:70]
	v_fma_f64 v[1:2], v[1:2], v[6:7], -v[8:9]
	s_delay_alu instid0(VALU_DEP_4) | instskip(NEXT) | instid1(VALU_DEP_4)
	v_add_f64_e32 v[6:7], v[61:62], v[57:58]
	v_add_f64_e32 v[8:9], v[10:11], v[59:60]
	s_delay_alu instid0(VALU_DEP_2) | instskip(NEXT) | instid1(VALU_DEP_2)
	v_add_f64_e32 v[1:2], v[6:7], v[1:2]
	v_add_f64_e32 v[3:4], v[8:9], v[3:4]
	s_delay_alu instid0(VALU_DEP_2) | instskip(NEXT) | instid1(VALU_DEP_2)
	v_add_f64_e64 v[1:2], v[97:98], -v[1:2]
	v_add_f64_e64 v[3:4], v[99:100], -v[3:4]
	scratch_store_b128 off, v[1:4], off offset:32
	v_cmpx_ne_u32_e32 0, v0
	s_cbranch_execz .LBB21_145
; %bb.144:
	scratch_load_b128 v[0:3], off, off offset:16
	v_mov_b32_e32 v6, 0
	s_delay_alu instid0(VALU_DEP_1)
	v_dual_mov_b32 v7, v6 :: v_dual_mov_b32 v8, v6
	v_mov_b32_e32 v9, v6
	scratch_store_b128 off, v[6:9], off offset:16
	s_wait_loadcnt 0x0
	ds_store_b128 v5, v[0:3]
.LBB21_145:
	s_wait_alu 0xfffe
	s_or_b32 exec_lo, exec_lo, s0
	s_wait_storecnt_dscnt 0x0
	s_barrier_signal -1
	s_barrier_wait -1
	global_inv scope:SCOPE_SE
	s_clause 0x7
	scratch_load_b128 v[1:4], off, off offset:32
	scratch_load_b128 v[5:8], off, off offset:48
	;; [unrolled: 1-line block ×8, first 2 shown]
	v_mov_b32_e32 v0, 0
	s_and_b32 vcc_lo, exec_lo, s18
	ds_load_b128 v[77:80], v0 offset:368
	s_clause 0x1
	scratch_load_b128 v[81:84], off, off offset:160
	scratch_load_b128 v[85:88], off, off offset:16
	ds_load_b128 v[89:92], v0 offset:384
	scratch_load_b128 v[93:96], off, off offset:176
	s_wait_loadcnt_dscnt 0xa01
	v_mul_f64_e32 v[97:98], v[79:80], v[3:4]
	v_mul_f64_e32 v[3:4], v[77:78], v[3:4]
	s_delay_alu instid0(VALU_DEP_2) | instskip(NEXT) | instid1(VALU_DEP_2)
	v_fma_f64 v[103:104], v[77:78], v[1:2], -v[97:98]
	v_fma_f64 v[105:106], v[79:80], v[1:2], v[3:4]
	ds_load_b128 v[1:4], v0 offset:400
	s_wait_loadcnt_dscnt 0x901
	v_mul_f64_e32 v[101:102], v[89:90], v[7:8]
	v_mul_f64_e32 v[7:8], v[91:92], v[7:8]
	scratch_load_b128 v[77:80], off, off offset:192
	ds_load_b128 v[97:100], v0 offset:416
	s_wait_loadcnt_dscnt 0x901
	v_mul_f64_e32 v[107:108], v[1:2], v[11:12]
	v_mul_f64_e32 v[11:12], v[3:4], v[11:12]
	v_fma_f64 v[91:92], v[91:92], v[5:6], v[101:102]
	v_fma_f64 v[89:90], v[89:90], v[5:6], -v[7:8]
	v_add_f64_e32 v[101:102], 0, v[103:104]
	v_add_f64_e32 v[103:104], 0, v[105:106]
	scratch_load_b128 v[5:8], off, off offset:208
	v_fma_f64 v[107:108], v[3:4], v[9:10], v[107:108]
	v_fma_f64 v[109:110], v[1:2], v[9:10], -v[11:12]
	ds_load_b128 v[1:4], v0 offset:432
	s_wait_loadcnt_dscnt 0x901
	v_mul_f64_e32 v[105:106], v[97:98], v[59:60]
	v_mul_f64_e32 v[59:60], v[99:100], v[59:60]
	scratch_load_b128 v[9:12], off, off offset:224
	v_add_f64_e32 v[101:102], v[101:102], v[89:90]
	v_add_f64_e32 v[103:104], v[103:104], v[91:92]
	s_wait_loadcnt_dscnt 0x900
	v_mul_f64_e32 v[111:112], v[1:2], v[63:64]
	v_mul_f64_e32 v[63:64], v[3:4], v[63:64]
	ds_load_b128 v[89:92], v0 offset:448
	v_fma_f64 v[99:100], v[99:100], v[57:58], v[105:106]
	v_fma_f64 v[97:98], v[97:98], v[57:58], -v[59:60]
	scratch_load_b128 v[57:60], off, off offset:240
	v_add_f64_e32 v[101:102], v[101:102], v[109:110]
	v_add_f64_e32 v[103:104], v[103:104], v[107:108]
	v_fma_f64 v[107:108], v[3:4], v[61:62], v[111:112]
	v_fma_f64 v[109:110], v[1:2], v[61:62], -v[63:64]
	ds_load_b128 v[1:4], v0 offset:464
	s_wait_loadcnt_dscnt 0x901
	v_mul_f64_e32 v[105:106], v[89:90], v[67:68]
	v_mul_f64_e32 v[67:68], v[91:92], v[67:68]
	scratch_load_b128 v[61:64], off, off offset:256
	s_wait_loadcnt_dscnt 0x900
	v_mul_f64_e32 v[111:112], v[1:2], v[71:72]
	v_mul_f64_e32 v[71:72], v[3:4], v[71:72]
	v_add_f64_e32 v[101:102], v[101:102], v[97:98]
	v_add_f64_e32 v[103:104], v[103:104], v[99:100]
	ds_load_b128 v[97:100], v0 offset:480
	v_fma_f64 v[91:92], v[91:92], v[65:66], v[105:106]
	v_fma_f64 v[89:90], v[89:90], v[65:66], -v[67:68]
	scratch_load_b128 v[65:68], off, off offset:272
	v_add_f64_e32 v[101:102], v[101:102], v[109:110]
	v_add_f64_e32 v[103:104], v[103:104], v[107:108]
	v_fma_f64 v[107:108], v[3:4], v[69:70], v[111:112]
	v_fma_f64 v[109:110], v[1:2], v[69:70], -v[71:72]
	ds_load_b128 v[1:4], v0 offset:496
	s_wait_loadcnt_dscnt 0x901
	v_mul_f64_e32 v[105:106], v[97:98], v[75:76]
	v_mul_f64_e32 v[75:76], v[99:100], v[75:76]
	scratch_load_b128 v[69:72], off, off offset:288
	s_wait_loadcnt_dscnt 0x900
	v_mul_f64_e32 v[111:112], v[1:2], v[83:84]
	v_mul_f64_e32 v[83:84], v[3:4], v[83:84]
	v_add_f64_e32 v[101:102], v[101:102], v[89:90]
	v_add_f64_e32 v[103:104], v[103:104], v[91:92]
	ds_load_b128 v[89:92], v0 offset:512
	v_fma_f64 v[99:100], v[99:100], v[73:74], v[105:106]
	v_fma_f64 v[97:98], v[97:98], v[73:74], -v[75:76]
	scratch_load_b128 v[73:76], off, off offset:304
	v_add_f64_e32 v[101:102], v[101:102], v[109:110]
	v_add_f64_e32 v[103:104], v[103:104], v[107:108]
	v_fma_f64 v[109:110], v[3:4], v[81:82], v[111:112]
	v_fma_f64 v[111:112], v[1:2], v[81:82], -v[83:84]
	ds_load_b128 v[1:4], v0 offset:528
	s_wait_loadcnt_dscnt 0x801
	v_mul_f64_e32 v[105:106], v[89:90], v[95:96]
	v_mul_f64_e32 v[107:108], v[91:92], v[95:96]
	scratch_load_b128 v[81:84], off, off offset:320
	v_add_f64_e32 v[101:102], v[101:102], v[97:98]
	v_add_f64_e32 v[99:100], v[103:104], v[99:100]
	ds_load_b128 v[95:98], v0 offset:544
	v_fma_f64 v[105:106], v[91:92], v[93:94], v[105:106]
	v_fma_f64 v[93:94], v[89:90], v[93:94], -v[107:108]
	scratch_load_b128 v[89:92], off, off offset:336
	s_wait_loadcnt_dscnt 0x901
	v_mul_f64_e32 v[103:104], v[1:2], v[79:80]
	v_mul_f64_e32 v[79:80], v[3:4], v[79:80]
	v_add_f64_e32 v[101:102], v[101:102], v[111:112]
	v_add_f64_e32 v[99:100], v[99:100], v[109:110]
	s_delay_alu instid0(VALU_DEP_4) | instskip(NEXT) | instid1(VALU_DEP_4)
	v_fma_f64 v[103:104], v[3:4], v[77:78], v[103:104]
	v_fma_f64 v[109:110], v[1:2], v[77:78], -v[79:80]
	ds_load_b128 v[1:4], v0 offset:560
	s_wait_loadcnt_dscnt 0x801
	v_mul_f64_e32 v[107:108], v[95:96], v[7:8]
	v_mul_f64_e32 v[7:8], v[97:98], v[7:8]
	scratch_load_b128 v[77:80], off, off offset:352
	s_wait_loadcnt_dscnt 0x800
	v_mul_f64_e32 v[111:112], v[1:2], v[11:12]
	v_add_f64_e32 v[93:94], v[101:102], v[93:94]
	v_add_f64_e32 v[105:106], v[99:100], v[105:106]
	v_mul_f64_e32 v[11:12], v[3:4], v[11:12]
	ds_load_b128 v[99:102], v0 offset:576
	v_fma_f64 v[97:98], v[97:98], v[5:6], v[107:108]
	v_fma_f64 v[5:6], v[95:96], v[5:6], -v[7:8]
	s_wait_loadcnt_dscnt 0x700
	v_mul_f64_e32 v[95:96], v[99:100], v[59:60]
	v_add_f64_e32 v[7:8], v[93:94], v[109:110]
	v_add_f64_e32 v[93:94], v[105:106], v[103:104]
	v_mul_f64_e32 v[59:60], v[101:102], v[59:60]
	v_fma_f64 v[103:104], v[3:4], v[9:10], v[111:112]
	v_fma_f64 v[9:10], v[1:2], v[9:10], -v[11:12]
	v_fma_f64 v[95:96], v[101:102], v[57:58], v[95:96]
	v_add_f64_e32 v[11:12], v[7:8], v[5:6]
	v_add_f64_e32 v[93:94], v[93:94], v[97:98]
	ds_load_b128 v[1:4], v0 offset:592
	ds_load_b128 v[5:8], v0 offset:608
	v_fma_f64 v[57:58], v[99:100], v[57:58], -v[59:60]
	s_wait_loadcnt_dscnt 0x601
	v_mul_f64_e32 v[97:98], v[1:2], v[63:64]
	v_mul_f64_e32 v[63:64], v[3:4], v[63:64]
	s_wait_loadcnt_dscnt 0x500
	v_mul_f64_e32 v[59:60], v[5:6], v[67:68]
	v_mul_f64_e32 v[67:68], v[7:8], v[67:68]
	v_add_f64_e32 v[9:10], v[11:12], v[9:10]
	v_add_f64_e32 v[11:12], v[93:94], v[103:104]
	v_fma_f64 v[93:94], v[3:4], v[61:62], v[97:98]
	v_fma_f64 v[61:62], v[1:2], v[61:62], -v[63:64]
	v_fma_f64 v[7:8], v[7:8], v[65:66], v[59:60]
	v_fma_f64 v[5:6], v[5:6], v[65:66], -v[67:68]
	v_add_f64_e32 v[57:58], v[9:10], v[57:58]
	v_add_f64_e32 v[63:64], v[11:12], v[95:96]
	ds_load_b128 v[1:4], v0 offset:624
	ds_load_b128 v[9:12], v0 offset:640
	s_wait_loadcnt_dscnt 0x401
	v_mul_f64_e32 v[95:96], v[1:2], v[71:72]
	v_mul_f64_e32 v[71:72], v[3:4], v[71:72]
	v_add_f64_e32 v[57:58], v[57:58], v[61:62]
	v_add_f64_e32 v[59:60], v[63:64], v[93:94]
	s_wait_loadcnt_dscnt 0x300
	v_mul_f64_e32 v[61:62], v[9:10], v[75:76]
	v_mul_f64_e32 v[63:64], v[11:12], v[75:76]
	v_fma_f64 v[65:66], v[3:4], v[69:70], v[95:96]
	v_fma_f64 v[67:68], v[1:2], v[69:70], -v[71:72]
	v_add_f64_e32 v[57:58], v[57:58], v[5:6]
	v_add_f64_e32 v[59:60], v[59:60], v[7:8]
	ds_load_b128 v[1:4], v0 offset:656
	ds_load_b128 v[5:8], v0 offset:672
	v_fma_f64 v[11:12], v[11:12], v[73:74], v[61:62]
	v_fma_f64 v[9:10], v[9:10], v[73:74], -v[63:64]
	s_wait_loadcnt_dscnt 0x201
	v_mul_f64_e32 v[69:70], v[1:2], v[83:84]
	v_mul_f64_e32 v[71:72], v[3:4], v[83:84]
	s_wait_loadcnt_dscnt 0x100
	v_mul_f64_e32 v[61:62], v[5:6], v[91:92]
	v_mul_f64_e32 v[63:64], v[7:8], v[91:92]
	v_add_f64_e32 v[57:58], v[57:58], v[67:68]
	v_add_f64_e32 v[59:60], v[59:60], v[65:66]
	v_fma_f64 v[65:66], v[3:4], v[81:82], v[69:70]
	v_fma_f64 v[67:68], v[1:2], v[81:82], -v[71:72]
	ds_load_b128 v[1:4], v0 offset:688
	v_fma_f64 v[7:8], v[7:8], v[89:90], v[61:62]
	v_fma_f64 v[5:6], v[5:6], v[89:90], -v[63:64]
	v_add_f64_e32 v[9:10], v[57:58], v[9:10]
	v_add_f64_e32 v[11:12], v[59:60], v[11:12]
	s_wait_loadcnt_dscnt 0x0
	v_mul_f64_e32 v[57:58], v[1:2], v[79:80]
	v_mul_f64_e32 v[59:60], v[3:4], v[79:80]
	s_delay_alu instid0(VALU_DEP_4) | instskip(NEXT) | instid1(VALU_DEP_4)
	v_add_f64_e32 v[9:10], v[9:10], v[67:68]
	v_add_f64_e32 v[11:12], v[11:12], v[65:66]
	s_delay_alu instid0(VALU_DEP_4) | instskip(NEXT) | instid1(VALU_DEP_4)
	v_fma_f64 v[3:4], v[3:4], v[77:78], v[57:58]
	v_fma_f64 v[1:2], v[1:2], v[77:78], -v[59:60]
	s_delay_alu instid0(VALU_DEP_4) | instskip(NEXT) | instid1(VALU_DEP_4)
	v_add_f64_e32 v[5:6], v[9:10], v[5:6]
	v_add_f64_e32 v[7:8], v[11:12], v[7:8]
	s_delay_alu instid0(VALU_DEP_2) | instskip(NEXT) | instid1(VALU_DEP_2)
	v_add_f64_e32 v[1:2], v[5:6], v[1:2]
	v_add_f64_e32 v[3:4], v[7:8], v[3:4]
	s_delay_alu instid0(VALU_DEP_2) | instskip(NEXT) | instid1(VALU_DEP_2)
	v_add_f64_e64 v[1:2], v[85:86], -v[1:2]
	v_add_f64_e64 v[3:4], v[87:88], -v[3:4]
	scratch_store_b128 off, v[1:4], off offset:16
	s_wait_alu 0xfffe
	s_cbranch_vccz .LBB21_188
; %bb.146:
	global_load_b32 v0, v0, s[2:3] offset:80
	s_wait_loadcnt 0x0
	v_cmp_ne_u32_e32 vcc_lo, 21, v0
	s_cbranch_vccz .LBB21_148
; %bb.147:
	v_lshlrev_b32_e32 v0, 4, v0
	s_delay_alu instid0(VALU_DEP_1)
	v_add_nc_u32_e32 v8, 16, v0
	s_clause 0x1
	scratch_load_b128 v[0:3], v8, off offset:-16
	scratch_load_b128 v[4:7], off, s23
	s_wait_loadcnt 0x1
	scratch_store_b128 off, v[0:3], s23
	s_wait_loadcnt 0x0
	scratch_store_b128 v8, v[4:7], off offset:-16
.LBB21_148:
	v_mov_b32_e32 v0, 0
	global_load_b32 v1, v0, s[2:3] offset:76
	s_wait_loadcnt 0x0
	v_cmp_eq_u32_e32 vcc_lo, 20, v1
	s_cbranch_vccnz .LBB21_150
; %bb.149:
	v_lshlrev_b32_e32 v1, 4, v1
	s_delay_alu instid0(VALU_DEP_1)
	v_add_nc_u32_e32 v9, 16, v1
	s_clause 0x1
	scratch_load_b128 v[1:4], v9, off offset:-16
	scratch_load_b128 v[5:8], off, s5
	s_wait_loadcnt 0x1
	scratch_store_b128 off, v[1:4], s5
	s_wait_loadcnt 0x0
	scratch_store_b128 v9, v[5:8], off offset:-16
.LBB21_150:
	global_load_b32 v0, v0, s[2:3] offset:72
	s_wait_loadcnt 0x0
	v_cmp_eq_u32_e32 vcc_lo, 19, v0
	s_cbranch_vccnz .LBB21_152
; %bb.151:
	v_lshlrev_b32_e32 v0, 4, v0
	s_delay_alu instid0(VALU_DEP_1)
	v_add_nc_u32_e32 v8, 16, v0
	s_clause 0x1
	scratch_load_b128 v[0:3], v8, off offset:-16
	scratch_load_b128 v[4:7], off, s8
	s_wait_loadcnt 0x1
	scratch_store_b128 off, v[0:3], s8
	s_wait_loadcnt 0x0
	scratch_store_b128 v8, v[4:7], off offset:-16
.LBB21_152:
	v_mov_b32_e32 v0, 0
	global_load_b32 v1, v0, s[2:3] offset:68
	s_wait_loadcnt 0x0
	v_cmp_eq_u32_e32 vcc_lo, 18, v1
	s_cbranch_vccnz .LBB21_154
; %bb.153:
	v_lshlrev_b32_e32 v1, 4, v1
	s_delay_alu instid0(VALU_DEP_1)
	v_add_nc_u32_e32 v9, 16, v1
	s_clause 0x1
	scratch_load_b128 v[1:4], v9, off offset:-16
	scratch_load_b128 v[5:8], off, s4
	s_wait_loadcnt 0x1
	scratch_store_b128 off, v[1:4], s4
	s_wait_loadcnt 0x0
	scratch_store_b128 v9, v[5:8], off offset:-16
.LBB21_154:
	global_load_b32 v0, v0, s[2:3] offset:64
	s_wait_loadcnt 0x0
	v_cmp_eq_u32_e32 vcc_lo, 17, v0
	s_cbranch_vccnz .LBB21_156
; %bb.155:
	v_lshlrev_b32_e32 v0, 4, v0
	s_delay_alu instid0(VALU_DEP_1)
	v_add_nc_u32_e32 v8, 16, v0
	s_clause 0x1
	scratch_load_b128 v[0:3], v8, off offset:-16
	scratch_load_b128 v[4:7], off, s28
	s_wait_loadcnt 0x1
	scratch_store_b128 off, v[0:3], s28
	s_wait_loadcnt 0x0
	scratch_store_b128 v8, v[4:7], off offset:-16
.LBB21_156:
	;; [unrolled: 33-line block ×9, first 2 shown]
	v_mov_b32_e32 v0, 0
	global_load_b32 v1, v0, s[2:3] offset:4
	s_wait_loadcnt 0x0
	v_cmp_eq_u32_e32 vcc_lo, 2, v1
	s_cbranch_vccnz .LBB21_186
; %bb.185:
	v_lshlrev_b32_e32 v1, 4, v1
	s_delay_alu instid0(VALU_DEP_1)
	v_add_nc_u32_e32 v9, 16, v1
	s_clause 0x1
	scratch_load_b128 v[1:4], v9, off offset:-16
	scratch_load_b128 v[5:8], off, s24
	s_wait_loadcnt 0x1
	scratch_store_b128 off, v[1:4], s24
	s_wait_loadcnt 0x0
	scratch_store_b128 v9, v[5:8], off offset:-16
.LBB21_186:
	global_load_b32 v0, v0, s[2:3]
	s_wait_loadcnt 0x0
	v_cmp_eq_u32_e32 vcc_lo, 1, v0
	s_cbranch_vccnz .LBB21_188
; %bb.187:
	v_lshlrev_b32_e32 v0, 4, v0
	s_delay_alu instid0(VALU_DEP_1)
	v_add_nc_u32_e32 v8, 16, v0
	scratch_load_b128 v[0:3], v8, off offset:-16
	scratch_load_b128 v[4:7], off, off offset:16
	s_wait_loadcnt 0x1
	scratch_store_b128 off, v[0:3], off offset:16
	s_wait_loadcnt 0x0
	scratch_store_b128 v8, v[4:7], off offset:-16
.LBB21_188:
	scratch_load_b128 v[0:3], off, off offset:16
	s_clause 0x10
	scratch_load_b128 v[4:7], off, s24
	scratch_load_b128 v[8:11], off, s21
	;; [unrolled: 1-line block ×17, first 2 shown]
	s_wait_loadcnt 0x11
	global_store_b128 v[13:14], v[0:3], off
	s_wait_loadcnt 0x10
	global_store_b128 v[15:16], v[4:7], off
	s_clause 0x1
	scratch_load_b128 v[0:3], off, s4
	scratch_load_b128 v[4:7], off, s8
	s_wait_loadcnt 0x11
	global_store_b128 v[17:18], v[8:11], off
	s_clause 0x1
	scratch_load_b128 v[8:11], off, s5
	scratch_load_b128 v[12:15], off, s23
	s_wait_loadcnt 0x12
	global_store_b128 v[19:20], v[57:60], off
	s_wait_loadcnt 0x11
	global_store_b128 v[21:22], v[61:64], off
	;; [unrolled: 2-line block ×17, first 2 shown]
	s_wait_loadcnt 0x0
	s_clause 0x1
	global_store_b128 v[53:54], v[12:15], off
	global_store_b128 v[55:56], v[113:116], off
	s_nop 0
	s_sendmsg sendmsg(MSG_DEALLOC_VGPRS)
	s_endpgm
	.section	.rodata,"a",@progbits
	.p2align	6, 0x0
	.amdhsa_kernel _ZN9rocsolver6v33100L18getri_kernel_smallILi22E19rocblas_complex_numIdEPS3_EEvT1_iilPiilS6_bb
		.amdhsa_group_segment_fixed_size 712
		.amdhsa_private_segment_fixed_size 384
		.amdhsa_kernarg_size 60
		.amdhsa_user_sgpr_count 2
		.amdhsa_user_sgpr_dispatch_ptr 0
		.amdhsa_user_sgpr_queue_ptr 0
		.amdhsa_user_sgpr_kernarg_segment_ptr 1
		.amdhsa_user_sgpr_dispatch_id 0
		.amdhsa_user_sgpr_private_segment_size 0
		.amdhsa_wavefront_size32 1
		.amdhsa_uses_dynamic_stack 0
		.amdhsa_enable_private_segment 1
		.amdhsa_system_sgpr_workgroup_id_x 1
		.amdhsa_system_sgpr_workgroup_id_y 0
		.amdhsa_system_sgpr_workgroup_id_z 0
		.amdhsa_system_sgpr_workgroup_info 0
		.amdhsa_system_vgpr_workitem_id 0
		.amdhsa_next_free_vgpr 117
		.amdhsa_next_free_sgpr 34
		.amdhsa_reserve_vcc 1
		.amdhsa_float_round_mode_32 0
		.amdhsa_float_round_mode_16_64 0
		.amdhsa_float_denorm_mode_32 3
		.amdhsa_float_denorm_mode_16_64 3
		.amdhsa_fp16_overflow 0
		.amdhsa_workgroup_processor_mode 1
		.amdhsa_memory_ordered 1
		.amdhsa_forward_progress 1
		.amdhsa_inst_pref_size 219
		.amdhsa_round_robin_scheduling 0
		.amdhsa_exception_fp_ieee_invalid_op 0
		.amdhsa_exception_fp_denorm_src 0
		.amdhsa_exception_fp_ieee_div_zero 0
		.amdhsa_exception_fp_ieee_overflow 0
		.amdhsa_exception_fp_ieee_underflow 0
		.amdhsa_exception_fp_ieee_inexact 0
		.amdhsa_exception_int_div_zero 0
	.end_amdhsa_kernel
	.section	.text._ZN9rocsolver6v33100L18getri_kernel_smallILi22E19rocblas_complex_numIdEPS3_EEvT1_iilPiilS6_bb,"axG",@progbits,_ZN9rocsolver6v33100L18getri_kernel_smallILi22E19rocblas_complex_numIdEPS3_EEvT1_iilPiilS6_bb,comdat
.Lfunc_end21:
	.size	_ZN9rocsolver6v33100L18getri_kernel_smallILi22E19rocblas_complex_numIdEPS3_EEvT1_iilPiilS6_bb, .Lfunc_end21-_ZN9rocsolver6v33100L18getri_kernel_smallILi22E19rocblas_complex_numIdEPS3_EEvT1_iilPiilS6_bb
                                        ; -- End function
	.set _ZN9rocsolver6v33100L18getri_kernel_smallILi22E19rocblas_complex_numIdEPS3_EEvT1_iilPiilS6_bb.num_vgpr, 117
	.set _ZN9rocsolver6v33100L18getri_kernel_smallILi22E19rocblas_complex_numIdEPS3_EEvT1_iilPiilS6_bb.num_agpr, 0
	.set _ZN9rocsolver6v33100L18getri_kernel_smallILi22E19rocblas_complex_numIdEPS3_EEvT1_iilPiilS6_bb.numbered_sgpr, 34
	.set _ZN9rocsolver6v33100L18getri_kernel_smallILi22E19rocblas_complex_numIdEPS3_EEvT1_iilPiilS6_bb.num_named_barrier, 0
	.set _ZN9rocsolver6v33100L18getri_kernel_smallILi22E19rocblas_complex_numIdEPS3_EEvT1_iilPiilS6_bb.private_seg_size, 384
	.set _ZN9rocsolver6v33100L18getri_kernel_smallILi22E19rocblas_complex_numIdEPS3_EEvT1_iilPiilS6_bb.uses_vcc, 1
	.set _ZN9rocsolver6v33100L18getri_kernel_smallILi22E19rocblas_complex_numIdEPS3_EEvT1_iilPiilS6_bb.uses_flat_scratch, 1
	.set _ZN9rocsolver6v33100L18getri_kernel_smallILi22E19rocblas_complex_numIdEPS3_EEvT1_iilPiilS6_bb.has_dyn_sized_stack, 0
	.set _ZN9rocsolver6v33100L18getri_kernel_smallILi22E19rocblas_complex_numIdEPS3_EEvT1_iilPiilS6_bb.has_recursion, 0
	.set _ZN9rocsolver6v33100L18getri_kernel_smallILi22E19rocblas_complex_numIdEPS3_EEvT1_iilPiilS6_bb.has_indirect_call, 0
	.section	.AMDGPU.csdata,"",@progbits
; Kernel info:
; codeLenInByte = 27928
; TotalNumSgprs: 36
; NumVgprs: 117
; ScratchSize: 384
; MemoryBound: 0
; FloatMode: 240
; IeeeMode: 1
; LDSByteSize: 712 bytes/workgroup (compile time only)
; SGPRBlocks: 0
; VGPRBlocks: 14
; NumSGPRsForWavesPerEU: 36
; NumVGPRsForWavesPerEU: 117
; Occupancy: 12
; WaveLimiterHint : 1
; COMPUTE_PGM_RSRC2:SCRATCH_EN: 1
; COMPUTE_PGM_RSRC2:USER_SGPR: 2
; COMPUTE_PGM_RSRC2:TRAP_HANDLER: 0
; COMPUTE_PGM_RSRC2:TGID_X_EN: 1
; COMPUTE_PGM_RSRC2:TGID_Y_EN: 0
; COMPUTE_PGM_RSRC2:TGID_Z_EN: 0
; COMPUTE_PGM_RSRC2:TIDIG_COMP_CNT: 0
	.section	.text._ZN9rocsolver6v33100L18getri_kernel_smallILi23E19rocblas_complex_numIdEPS3_EEvT1_iilPiilS6_bb,"axG",@progbits,_ZN9rocsolver6v33100L18getri_kernel_smallILi23E19rocblas_complex_numIdEPS3_EEvT1_iilPiilS6_bb,comdat
	.globl	_ZN9rocsolver6v33100L18getri_kernel_smallILi23E19rocblas_complex_numIdEPS3_EEvT1_iilPiilS6_bb ; -- Begin function _ZN9rocsolver6v33100L18getri_kernel_smallILi23E19rocblas_complex_numIdEPS3_EEvT1_iilPiilS6_bb
	.p2align	8
	.type	_ZN9rocsolver6v33100L18getri_kernel_smallILi23E19rocblas_complex_numIdEPS3_EEvT1_iilPiilS6_bb,@function
_ZN9rocsolver6v33100L18getri_kernel_smallILi23E19rocblas_complex_numIdEPS3_EEvT1_iilPiilS6_bb: ; @_ZN9rocsolver6v33100L18getri_kernel_smallILi23E19rocblas_complex_numIdEPS3_EEvT1_iilPiilS6_bb
; %bb.0:
	s_mov_b32 s2, exec_lo
	v_cmpx_gt_u32_e32 23, v0
	s_cbranch_execz .LBB22_106
; %bb.1:
	s_clause 0x2
	s_load_b32 s2, s[0:1], 0x38
	s_load_b128 s[12:15], s[0:1], 0x10
	s_load_b128 s[4:7], s[0:1], 0x28
	s_mov_b32 s16, ttmp9
	s_wait_kmcnt 0x0
	s_bitcmp1_b32 s2, 8
	s_cselect_b32 s18, -1, 0
	s_bfe_u32 s2, s2, 0x10008
	s_ashr_i32 s17, ttmp9, 31
	s_cmp_eq_u32 s2, 0
                                        ; implicit-def: $sgpr2_sgpr3
	s_cbranch_scc1 .LBB22_3
; %bb.2:
	s_load_b32 s2, s[0:1], 0x20
	s_mul_u64 s[4:5], s[4:5], s[16:17]
	s_delay_alu instid0(SALU_CYCLE_1) | instskip(NEXT) | instid1(SALU_CYCLE_1)
	s_lshl_b64 s[4:5], s[4:5], 2
	s_add_nc_u64 s[4:5], s[14:15], s[4:5]
	s_wait_kmcnt 0x0
	s_ashr_i32 s3, s2, 31
	s_delay_alu instid0(SALU_CYCLE_1) | instskip(NEXT) | instid1(SALU_CYCLE_1)
	s_lshl_b64 s[2:3], s[2:3], 2
	s_add_nc_u64 s[2:3], s[4:5], s[2:3]
.LBB22_3:
	s_clause 0x1
	s_load_b128 s[8:11], s[0:1], 0x0
	s_load_b32 s31, s[0:1], 0x38
	s_mul_u64 s[0:1], s[12:13], s[16:17]
	v_lshlrev_b32_e32 v59, 4, v0
	s_lshl_b64 s[0:1], s[0:1], 4
	s_mov_b32 s22, 32
	s_mov_b32 s20, 48
	s_movk_i32 s12, 0x50
	s_wait_kmcnt 0x0
	v_add3_u32 v5, s11, s11, v0
	s_ashr_i32 s5, s10, 31
	s_mov_b32 s4, s10
	s_add_nc_u64 s[0:1], s[8:9], s[0:1]
	s_lshl_b64 s[4:5], s[4:5], 4
	v_add_nc_u32_e32 v7, s11, v5
	v_ashrrev_i32_e32 v6, 31, v5
	s_add_nc_u64 s[0:1], s[0:1], s[4:5]
	s_ashr_i32 s9, s11, 31
	v_add_co_u32 v13, s4, s0, v59
	v_add_nc_u32_e32 v9, s11, v7
	v_ashrrev_i32_e32 v8, 31, v7
	s_mov_b32 s8, s11
	v_lshlrev_b64_e32 v[5:6], 4, v[5:6]
	v_add_co_ci_u32_e64 v14, null, s1, 0, s4
	v_add_nc_u32_e32 v25, s11, v9
	v_ashrrev_i32_e32 v10, 31, v9
	s_lshl_b64 s[8:9], s[8:9], 4
	v_lshlrev_b64_e32 v[19:20], 4, v[7:8]
	v_add_co_u32 v15, vcc_lo, v13, s8
	v_ashrrev_i32_e32 v26, 31, v25
	v_lshlrev_b64_e32 v[21:22], 4, v[9:10]
	v_add_co_ci_u32_e64 v16, null, s9, v14, vcc_lo
	v_add_co_u32 v17, vcc_lo, s0, v5
	s_delay_alu instid0(VALU_DEP_4)
	v_lshlrev_b64_e32 v[23:24], 4, v[25:26]
	s_wait_alu 0xfffd
	v_add_co_ci_u32_e64 v18, null, s1, v6, vcc_lo
	v_add_co_u32 v19, vcc_lo, s0, v19
	s_wait_alu 0xfffd
	v_add_co_ci_u32_e64 v20, null, s1, v20, vcc_lo
	v_add_co_u32 v21, vcc_lo, s0, v21
	;; [unrolled: 3-line block ×3, first 2 shown]
	s_wait_alu 0xfffd
	v_add_co_ci_u32_e64 v24, null, s1, v24, vcc_lo
	s_clause 0x5
	global_load_b128 v[1:4], v59, s[0:1]
	global_load_b128 v[5:8], v[15:16], off
	global_load_b128 v[9:12], v[17:18], off
	;; [unrolled: 1-line block ×5, first 2 shown]
	v_add_nc_u32_e32 v25, s11, v25
	s_delay_alu instid0(VALU_DEP_1) | instskip(SKIP_1) | instid1(VALU_DEP_2)
	v_add_nc_u32_e32 v27, s11, v25
	v_ashrrev_i32_e32 v26, 31, v25
	v_add_nc_u32_e32 v29, s11, v27
	v_ashrrev_i32_e32 v28, 31, v27
	s_delay_alu instid0(VALU_DEP_3) | instskip(NEXT) | instid1(VALU_DEP_3)
	v_lshlrev_b64_e32 v[25:26], 4, v[25:26]
	v_add_nc_u32_e32 v31, s11, v29
	v_ashrrev_i32_e32 v30, 31, v29
	s_delay_alu instid0(VALU_DEP_4) | instskip(NEXT) | instid1(VALU_DEP_4)
	v_lshlrev_b64_e32 v[27:28], 4, v[27:28]
	v_add_co_u32 v25, vcc_lo, s0, v25
	s_delay_alu instid0(VALU_DEP_4)
	v_add_nc_u32_e32 v33, s11, v31
	v_ashrrev_i32_e32 v32, 31, v31
	v_lshlrev_b64_e32 v[29:30], 4, v[29:30]
	s_wait_alu 0xfffd
	v_add_co_ci_u32_e64 v26, null, s1, v26, vcc_lo
	v_add_nc_u32_e32 v35, s11, v33
	v_ashrrev_i32_e32 v34, 31, v33
	v_lshlrev_b64_e32 v[31:32], 4, v[31:32]
	v_add_co_u32 v27, vcc_lo, s0, v27
	s_delay_alu instid0(VALU_DEP_4)
	v_add_nc_u32_e32 v37, s11, v35
	v_ashrrev_i32_e32 v36, 31, v35
	v_lshlrev_b64_e32 v[33:34], 4, v[33:34]
	s_wait_alu 0xfffd
	v_add_co_ci_u32_e64 v28, null, s1, v28, vcc_lo
	v_add_nc_u32_e32 v39, s11, v37
	v_ashrrev_i32_e32 v38, 31, v37
	v_add_co_u32 v29, vcc_lo, s0, v29
	v_lshlrev_b64_e32 v[35:36], 4, v[35:36]
	s_delay_alu instid0(VALU_DEP_4)
	v_add_nc_u32_e32 v41, s11, v39
	v_ashrrev_i32_e32 v40, 31, v39
	s_wait_alu 0xfffd
	v_add_co_ci_u32_e64 v30, null, s1, v30, vcc_lo
	v_add_co_u32 v31, vcc_lo, s0, v31
	v_add_nc_u32_e32 v43, s11, v41
	v_ashrrev_i32_e32 v42, 31, v41
	v_lshlrev_b64_e32 v[37:38], 4, v[37:38]
	s_wait_alu 0xfffd
	v_add_co_ci_u32_e64 v32, null, s1, v32, vcc_lo
	v_add_nc_u32_e32 v45, s11, v43
	v_ashrrev_i32_e32 v44, 31, v43
	v_add_co_u32 v33, vcc_lo, s0, v33
	v_lshlrev_b64_e32 v[39:40], 4, v[39:40]
	s_delay_alu instid0(VALU_DEP_4)
	v_add_nc_u32_e32 v47, s11, v45
	v_ashrrev_i32_e32 v46, 31, v45
	s_wait_alu 0xfffd
	v_add_co_ci_u32_e64 v34, null, s1, v34, vcc_lo
	v_add_co_u32 v35, vcc_lo, s0, v35
	v_add_nc_u32_e32 v49, s11, v47
	v_lshlrev_b64_e32 v[41:42], 4, v[41:42]
	v_ashrrev_i32_e32 v48, 31, v47
	s_wait_alu 0xfffd
	v_add_co_ci_u32_e64 v36, null, s1, v36, vcc_lo
	v_add_nc_u32_e32 v51, s11, v49
	v_add_co_u32 v37, vcc_lo, s0, v37
	v_lshlrev_b64_e32 v[43:44], 4, v[43:44]
	v_ashrrev_i32_e32 v50, 31, v49
	s_delay_alu instid0(VALU_DEP_4) | instskip(SKIP_3) | instid1(VALU_DEP_3)
	v_add_nc_u32_e32 v53, s11, v51
	s_wait_alu 0xfffd
	v_add_co_ci_u32_e64 v38, null, s1, v38, vcc_lo
	v_add_co_u32 v39, vcc_lo, s0, v39
	v_add_nc_u32_e32 v55, s11, v53
	v_lshlrev_b64_e32 v[45:46], 4, v[45:46]
	v_ashrrev_i32_e32 v52, 31, v51
	s_wait_alu 0xfffd
	v_add_co_ci_u32_e64 v40, null, s1, v40, vcc_lo
	v_add_co_u32 v41, vcc_lo, s0, v41
	v_lshlrev_b64_e32 v[47:48], 4, v[47:48]
	v_add_nc_u32_e32 v57, s11, v55
	v_ashrrev_i32_e32 v54, 31, v53
	s_wait_alu 0xfffd
	v_add_co_ci_u32_e64 v42, null, s1, v42, vcc_lo
	v_add_co_u32 v43, vcc_lo, s0, v43
	v_lshlrev_b64_e32 v[49:50], 4, v[49:50]
	v_ashrrev_i32_e32 v56, 31, v55
	s_wait_alu 0xfffd
	v_add_co_ci_u32_e64 v44, null, s1, v44, vcc_lo
	v_add_co_u32 v45, vcc_lo, s0, v45
	v_lshlrev_b64_e32 v[51:52], 4, v[51:52]
	;; [unrolled: 5-line block ×3, first 2 shown]
	s_wait_alu 0xfffd
	v_add_co_ci_u32_e64 v48, null, s1, v48, vcc_lo
	v_add_co_u32 v49, vcc_lo, s0, v49
	v_lshlrev_b64_e32 v[55:56], 4, v[55:56]
	s_wait_alu 0xfffd
	v_add_co_ci_u32_e64 v50, null, s1, v50, vcc_lo
	v_add_co_u32 v51, vcc_lo, s0, v51
	v_lshlrev_b64_e32 v[57:58], 4, v[57:58]
	s_wait_alu 0xfffd
	v_add_co_ci_u32_e64 v52, null, s1, v52, vcc_lo
	v_add_co_u32 v53, vcc_lo, s0, v53
	s_wait_alu 0xfffd
	v_add_co_ci_u32_e64 v54, null, s1, v54, vcc_lo
	v_add_co_u32 v55, vcc_lo, s0, v55
	s_wait_alu 0xfffd
	v_add_co_ci_u32_e64 v56, null, s1, v56, vcc_lo
	v_add_co_u32 v57, vcc_lo, s0, v57
	s_wait_alu 0xfffd
	v_add_co_ci_u32_e64 v58, null, s1, v58, vcc_lo
	s_clause 0xa
	global_load_b128 v[72:75], v[25:26], off
	global_load_b128 v[76:79], v[27:28], off
	;; [unrolled: 1-line block ×11, first 2 shown]
	s_movk_i32 s0, 0x50
	s_movk_i32 s1, 0x70
	s_wait_alu 0xfffe
	s_add_co_i32 s4, s0, 16
	s_movk_i32 s0, 0x60
	s_add_co_i32 s5, s1, 16
	s_wait_alu 0xfffe
	s_add_co_i32 s13, s0, 16
	s_movk_i32 s0, 0x80
	s_movk_i32 s1, 0x90
	s_wait_alu 0xfffe
	s_add_co_i32 s14, s0, 16
	s_movk_i32 s0, 0xa0
	s_add_co_i32 s8, s1, 16
	s_movk_i32 s1, 0xb0
	s_wait_alu 0xfffe
	s_add_co_i32 s15, s0, 16
	s_movk_i32 s0, 0xc0
	s_add_co_i32 s9, s1, 16
	;; [unrolled: 5-line block ×7, first 2 shown]
	s_wait_alu 0xfffe
	s_add_co_i32 s30, s0, 16
	s_mov_b32 s11, 64
	s_bitcmp0_b32 s31, 0
	s_mov_b32 s1, -1
	s_wait_loadcnt 0x10
	scratch_store_b128 off, v[1:4], off offset:16
	s_wait_loadcnt 0xf
	scratch_store_b128 off, v[5:8], off offset:32
	s_clause 0x1
	global_load_b128 v[1:4], v[47:48], off
	global_load_b128 v[5:8], v[49:50], off
	s_wait_loadcnt 0x10
	scratch_store_b128 off, v[9:12], off offset:48
	s_wait_loadcnt 0xf
	scratch_store_b128 off, v[60:63], off offset:64
	s_clause 0x1
	global_load_b128 v[9:12], v[51:52], off
	global_load_b128 v[60:63], v[53:54], off
	;; [unrolled: 7-line block ×3, first 2 shown]
	s_wait_loadcnt 0x10
	scratch_store_b128 off, v[72:75], off offset:112
	s_wait_loadcnt 0xf
	scratch_store_b128 off, v[76:79], off offset:128
	s_wait_loadcnt 0xe
	scratch_store_b128 off, v[80:83], off offset:144
	s_wait_loadcnt 0xd
	scratch_store_b128 off, v[84:87], off offset:160
	s_wait_loadcnt 0xc
	scratch_store_b128 off, v[88:91], off offset:176
	s_wait_loadcnt 0xb
	scratch_store_b128 off, v[92:95], off offset:192
	s_wait_loadcnt 0xa
	scratch_store_b128 off, v[96:99], off offset:208
	s_wait_loadcnt 0x9
	scratch_store_b128 off, v[100:103], off offset:224
	s_wait_loadcnt 0x8
	scratch_store_b128 off, v[104:107], off offset:240
	s_wait_loadcnt 0x7
	scratch_store_b128 off, v[108:111], off offset:256
	s_wait_loadcnt 0x6
	scratch_store_b128 off, v[112:115], off offset:272
	s_wait_loadcnt 0x5
	scratch_store_b128 off, v[1:4], off offset:288
	s_wait_loadcnt 0x4
	scratch_store_b128 off, v[5:8], off offset:304
	s_wait_loadcnt 0x3
	scratch_store_b128 off, v[9:12], off offset:320
	s_wait_loadcnt 0x2
	scratch_store_b128 off, v[60:63], off offset:336
	s_wait_loadcnt 0x1
	scratch_store_b128 off, v[64:67], off offset:352
	s_wait_loadcnt 0x0
	scratch_store_b128 off, v[68:71], off offset:368
	s_cbranch_scc1 .LBB22_104
; %bb.4:
	v_cmp_eq_u32_e64 s0, 0, v0
	s_and_saveexec_b32 s1, s0
; %bb.5:
	v_mov_b32_e32 v1, 0
	ds_store_b32 v1, v1 offset:736
; %bb.6:
	s_wait_alu 0xfffe
	s_or_b32 exec_lo, exec_lo, s1
	s_wait_storecnt_dscnt 0x0
	s_barrier_signal -1
	s_barrier_wait -1
	global_inv scope:SCOPE_SE
	scratch_load_b128 v[1:4], v59, off offset:16
	s_wait_loadcnt 0x0
	v_cmp_eq_f64_e32 vcc_lo, 0, v[1:2]
	v_cmp_eq_f64_e64 s1, 0, v[3:4]
	s_and_b32 s1, vcc_lo, s1
	s_wait_alu 0xfffe
	s_and_saveexec_b32 s31, s1
	s_cbranch_execz .LBB22_10
; %bb.7:
	v_mov_b32_e32 v1, 0
	s_mov_b32 s33, 0
	ds_load_b32 v2, v1 offset:736
	s_wait_dscnt 0x0
	v_readfirstlane_b32 s1, v2
	v_add_nc_u32_e32 v2, 1, v0
	s_cmp_eq_u32 s1, 0
	s_delay_alu instid0(VALU_DEP_1) | instskip(SKIP_1) | instid1(SALU_CYCLE_1)
	v_cmp_gt_i32_e32 vcc_lo, s1, v2
	s_cselect_b32 s34, -1, 0
	s_or_b32 s34, s34, vcc_lo
	s_delay_alu instid0(SALU_CYCLE_1)
	s_and_b32 exec_lo, exec_lo, s34
	s_cbranch_execz .LBB22_10
; %bb.8:
	v_mov_b32_e32 v3, s1
.LBB22_9:                               ; =>This Inner Loop Header: Depth=1
	ds_cmpstore_rtn_b32 v3, v1, v2, v3 offset:736
	s_wait_dscnt 0x0
	v_cmp_ne_u32_e32 vcc_lo, 0, v3
	v_cmp_le_i32_e64 s1, v3, v2
	s_and_b32 s1, vcc_lo, s1
	s_wait_alu 0xfffe
	s_and_b32 s1, exec_lo, s1
	s_wait_alu 0xfffe
	s_or_b32 s33, s1, s33
	s_delay_alu instid0(SALU_CYCLE_1)
	s_and_not1_b32 exec_lo, exec_lo, s33
	s_cbranch_execnz .LBB22_9
.LBB22_10:
	s_or_b32 exec_lo, exec_lo, s31
	v_mov_b32_e32 v1, 0
	s_barrier_signal -1
	s_barrier_wait -1
	global_inv scope:SCOPE_SE
	ds_load_b32 v2, v1 offset:736
	s_and_saveexec_b32 s1, s0
	s_cbranch_execz .LBB22_12
; %bb.11:
	s_lshl_b64 s[34:35], s[16:17], 2
	s_delay_alu instid0(SALU_CYCLE_1)
	s_add_nc_u64 s[34:35], s[6:7], s[34:35]
	s_wait_dscnt 0x0
	global_store_b32 v1, v2, s[34:35]
.LBB22_12:
	s_wait_alu 0xfffe
	s_or_b32 exec_lo, exec_lo, s1
	s_wait_dscnt 0x0
	v_cmp_ne_u32_e32 vcc_lo, 0, v2
	s_mov_b32 s1, 0
	s_cbranch_vccnz .LBB22_104
; %bb.13:
	v_add_nc_u32_e32 v60, 16, v59
                                        ; implicit-def: $vgpr1_vgpr2
                                        ; implicit-def: $vgpr9_vgpr10
	scratch_load_b128 v[5:8], v60, off
	s_wait_loadcnt 0x0
	v_cmp_ngt_f64_e64 s1, |v[5:6]|, |v[7:8]|
	s_wait_alu 0xfffe
	s_and_saveexec_b32 s31, s1
	s_delay_alu instid0(SALU_CYCLE_1)
	s_xor_b32 s1, exec_lo, s31
	s_cbranch_execz .LBB22_15
; %bb.14:
	v_div_scale_f64 v[1:2], null, v[7:8], v[7:8], v[5:6]
	v_div_scale_f64 v[11:12], vcc_lo, v[5:6], v[7:8], v[5:6]
	s_delay_alu instid0(VALU_DEP_2) | instskip(NEXT) | instid1(TRANS32_DEP_1)
	v_rcp_f64_e32 v[3:4], v[1:2]
	v_fma_f64 v[9:10], -v[1:2], v[3:4], 1.0
	s_delay_alu instid0(VALU_DEP_1) | instskip(NEXT) | instid1(VALU_DEP_1)
	v_fma_f64 v[3:4], v[3:4], v[9:10], v[3:4]
	v_fma_f64 v[9:10], -v[1:2], v[3:4], 1.0
	s_delay_alu instid0(VALU_DEP_1) | instskip(NEXT) | instid1(VALU_DEP_1)
	v_fma_f64 v[3:4], v[3:4], v[9:10], v[3:4]
	v_mul_f64_e32 v[9:10], v[11:12], v[3:4]
	s_delay_alu instid0(VALU_DEP_1) | instskip(SKIP_1) | instid1(VALU_DEP_1)
	v_fma_f64 v[1:2], -v[1:2], v[9:10], v[11:12]
	s_wait_alu 0xfffd
	v_div_fmas_f64 v[1:2], v[1:2], v[3:4], v[9:10]
	s_delay_alu instid0(VALU_DEP_1) | instskip(NEXT) | instid1(VALU_DEP_1)
	v_div_fixup_f64 v[1:2], v[1:2], v[7:8], v[5:6]
	v_fma_f64 v[3:4], v[5:6], v[1:2], v[7:8]
	s_delay_alu instid0(VALU_DEP_1) | instskip(SKIP_1) | instid1(VALU_DEP_2)
	v_div_scale_f64 v[5:6], null, v[3:4], v[3:4], 1.0
	v_div_scale_f64 v[11:12], vcc_lo, 1.0, v[3:4], 1.0
	v_rcp_f64_e32 v[7:8], v[5:6]
	s_delay_alu instid0(TRANS32_DEP_1) | instskip(NEXT) | instid1(VALU_DEP_1)
	v_fma_f64 v[9:10], -v[5:6], v[7:8], 1.0
	v_fma_f64 v[7:8], v[7:8], v[9:10], v[7:8]
	s_delay_alu instid0(VALU_DEP_1) | instskip(NEXT) | instid1(VALU_DEP_1)
	v_fma_f64 v[9:10], -v[5:6], v[7:8], 1.0
	v_fma_f64 v[7:8], v[7:8], v[9:10], v[7:8]
	s_delay_alu instid0(VALU_DEP_1) | instskip(NEXT) | instid1(VALU_DEP_1)
	v_mul_f64_e32 v[9:10], v[11:12], v[7:8]
	v_fma_f64 v[5:6], -v[5:6], v[9:10], v[11:12]
	s_wait_alu 0xfffd
	s_delay_alu instid0(VALU_DEP_1) | instskip(NEXT) | instid1(VALU_DEP_1)
	v_div_fmas_f64 v[5:6], v[5:6], v[7:8], v[9:10]
	v_div_fixup_f64 v[3:4], v[5:6], v[3:4], 1.0
                                        ; implicit-def: $vgpr5_vgpr6
	s_delay_alu instid0(VALU_DEP_1) | instskip(SKIP_1) | instid1(VALU_DEP_2)
	v_mul_f64_e32 v[1:2], v[1:2], v[3:4]
	v_xor_b32_e32 v4, 0x80000000, v4
	v_xor_b32_e32 v10, 0x80000000, v2
	s_delay_alu instid0(VALU_DEP_3)
	v_mov_b32_e32 v9, v1
.LBB22_15:
	s_wait_alu 0xfffe
	s_and_not1_saveexec_b32 s1, s1
	s_cbranch_execz .LBB22_17
; %bb.16:
	v_div_scale_f64 v[1:2], null, v[5:6], v[5:6], v[7:8]
	v_div_scale_f64 v[11:12], vcc_lo, v[7:8], v[5:6], v[7:8]
	s_delay_alu instid0(VALU_DEP_2) | instskip(NEXT) | instid1(TRANS32_DEP_1)
	v_rcp_f64_e32 v[3:4], v[1:2]
	v_fma_f64 v[9:10], -v[1:2], v[3:4], 1.0
	s_delay_alu instid0(VALU_DEP_1) | instskip(NEXT) | instid1(VALU_DEP_1)
	v_fma_f64 v[3:4], v[3:4], v[9:10], v[3:4]
	v_fma_f64 v[9:10], -v[1:2], v[3:4], 1.0
	s_delay_alu instid0(VALU_DEP_1) | instskip(NEXT) | instid1(VALU_DEP_1)
	v_fma_f64 v[3:4], v[3:4], v[9:10], v[3:4]
	v_mul_f64_e32 v[9:10], v[11:12], v[3:4]
	s_delay_alu instid0(VALU_DEP_1) | instskip(SKIP_1) | instid1(VALU_DEP_1)
	v_fma_f64 v[1:2], -v[1:2], v[9:10], v[11:12]
	s_wait_alu 0xfffd
	v_div_fmas_f64 v[1:2], v[1:2], v[3:4], v[9:10]
	s_delay_alu instid0(VALU_DEP_1) | instskip(NEXT) | instid1(VALU_DEP_1)
	v_div_fixup_f64 v[3:4], v[1:2], v[5:6], v[7:8]
	v_fma_f64 v[1:2], v[7:8], v[3:4], v[5:6]
	s_delay_alu instid0(VALU_DEP_1) | instskip(NEXT) | instid1(VALU_DEP_1)
	v_div_scale_f64 v[5:6], null, v[1:2], v[1:2], 1.0
	v_rcp_f64_e32 v[7:8], v[5:6]
	s_delay_alu instid0(TRANS32_DEP_1) | instskip(NEXT) | instid1(VALU_DEP_1)
	v_fma_f64 v[9:10], -v[5:6], v[7:8], 1.0
	v_fma_f64 v[7:8], v[7:8], v[9:10], v[7:8]
	s_delay_alu instid0(VALU_DEP_1) | instskip(NEXT) | instid1(VALU_DEP_1)
	v_fma_f64 v[9:10], -v[5:6], v[7:8], 1.0
	v_fma_f64 v[7:8], v[7:8], v[9:10], v[7:8]
	v_div_scale_f64 v[9:10], vcc_lo, 1.0, v[1:2], 1.0
	s_delay_alu instid0(VALU_DEP_1) | instskip(NEXT) | instid1(VALU_DEP_1)
	v_mul_f64_e32 v[11:12], v[9:10], v[7:8]
	v_fma_f64 v[5:6], -v[5:6], v[11:12], v[9:10]
	s_wait_alu 0xfffd
	s_delay_alu instid0(VALU_DEP_1) | instskip(NEXT) | instid1(VALU_DEP_1)
	v_div_fmas_f64 v[5:6], v[5:6], v[7:8], v[11:12]
	v_div_fixup_f64 v[1:2], v[5:6], v[1:2], 1.0
	s_delay_alu instid0(VALU_DEP_1)
	v_mul_f64_e64 v[3:4], v[3:4], -v[1:2]
	v_xor_b32_e32 v10, 0x80000000, v2
	v_mov_b32_e32 v9, v1
.LBB22_17:
	s_wait_alu 0xfffe
	s_or_b32 exec_lo, exec_lo, s1
	scratch_store_b128 v60, v[1:4], off
	scratch_load_b128 v[61:64], off, s22
	v_xor_b32_e32 v12, 0x80000000, v4
	v_mov_b32_e32 v11, v3
	v_add_nc_u32_e32 v5, 0x170, v59
	ds_store_b128 v59, v[9:12]
	s_wait_loadcnt 0x0
	ds_store_b128 v59, v[61:64] offset:368
	s_wait_storecnt_dscnt 0x0
	s_barrier_signal -1
	s_barrier_wait -1
	global_inv scope:SCOPE_SE
	s_and_saveexec_b32 s1, s0
	s_cbranch_execz .LBB22_19
; %bb.18:
	scratch_load_b128 v[1:4], v60, off
	ds_load_b128 v[6:9], v5
	v_mov_b32_e32 v10, 0
	ds_load_b128 v[61:64], v10 offset:16
	s_wait_loadcnt_dscnt 0x1
	v_mul_f64_e32 v[10:11], v[6:7], v[3:4]
	v_mul_f64_e32 v[3:4], v[8:9], v[3:4]
	s_delay_alu instid0(VALU_DEP_2) | instskip(NEXT) | instid1(VALU_DEP_2)
	v_fma_f64 v[8:9], v[8:9], v[1:2], v[10:11]
	v_fma_f64 v[1:2], v[6:7], v[1:2], -v[3:4]
	s_delay_alu instid0(VALU_DEP_2) | instskip(NEXT) | instid1(VALU_DEP_2)
	v_add_f64_e32 v[3:4], 0, v[8:9]
	v_add_f64_e32 v[1:2], 0, v[1:2]
	s_wait_dscnt 0x0
	s_delay_alu instid0(VALU_DEP_2) | instskip(NEXT) | instid1(VALU_DEP_2)
	v_mul_f64_e32 v[6:7], v[3:4], v[63:64]
	v_mul_f64_e32 v[8:9], v[1:2], v[63:64]
	s_delay_alu instid0(VALU_DEP_2) | instskip(NEXT) | instid1(VALU_DEP_2)
	v_fma_f64 v[1:2], v[1:2], v[61:62], -v[6:7]
	v_fma_f64 v[3:4], v[3:4], v[61:62], v[8:9]
	scratch_store_b128 off, v[1:4], off offset:32
.LBB22_19:
	s_wait_alu 0xfffe
	s_or_b32 exec_lo, exec_lo, s1
	s_wait_loadcnt 0x0
	s_wait_storecnt 0x0
	s_barrier_signal -1
	s_barrier_wait -1
	global_inv scope:SCOPE_SE
	scratch_load_b128 v[1:4], off, s20
	s_mov_b32 s1, exec_lo
	s_wait_loadcnt 0x0
	ds_store_b128 v5, v[1:4]
	s_wait_dscnt 0x0
	s_barrier_signal -1
	s_barrier_wait -1
	global_inv scope:SCOPE_SE
	v_cmpx_gt_u32_e32 2, v0
	s_cbranch_execz .LBB22_23
; %bb.20:
	scratch_load_b128 v[1:4], v60, off
	ds_load_b128 v[6:9], v5
	s_wait_loadcnt_dscnt 0x0
	v_mul_f64_e32 v[10:11], v[8:9], v[3:4]
	v_mul_f64_e32 v[3:4], v[6:7], v[3:4]
	s_delay_alu instid0(VALU_DEP_2) | instskip(NEXT) | instid1(VALU_DEP_2)
	v_fma_f64 v[6:7], v[6:7], v[1:2], -v[10:11]
	v_fma_f64 v[3:4], v[8:9], v[1:2], v[3:4]
	s_delay_alu instid0(VALU_DEP_2) | instskip(NEXT) | instid1(VALU_DEP_2)
	v_add_f64_e32 v[1:2], 0, v[6:7]
	v_add_f64_e32 v[3:4], 0, v[3:4]
	s_and_saveexec_b32 s31, s0
	s_cbranch_execz .LBB22_22
; %bb.21:
	scratch_load_b128 v[6:9], off, off offset:32
	v_mov_b32_e32 v10, 0
	ds_load_b128 v[61:64], v10 offset:384
	s_wait_loadcnt_dscnt 0x0
	v_mul_f64_e32 v[10:11], v[61:62], v[8:9]
	v_mul_f64_e32 v[8:9], v[63:64], v[8:9]
	s_delay_alu instid0(VALU_DEP_2) | instskip(NEXT) | instid1(VALU_DEP_2)
	v_fma_f64 v[10:11], v[63:64], v[6:7], v[10:11]
	v_fma_f64 v[6:7], v[61:62], v[6:7], -v[8:9]
	s_delay_alu instid0(VALU_DEP_2) | instskip(NEXT) | instid1(VALU_DEP_2)
	v_add_f64_e32 v[3:4], v[3:4], v[10:11]
	v_add_f64_e32 v[1:2], v[1:2], v[6:7]
.LBB22_22:
	s_or_b32 exec_lo, exec_lo, s31
	v_mov_b32_e32 v6, 0
	ds_load_b128 v[6:9], v6 offset:32
	s_wait_dscnt 0x0
	v_mul_f64_e32 v[10:11], v[3:4], v[8:9]
	v_mul_f64_e32 v[8:9], v[1:2], v[8:9]
	s_delay_alu instid0(VALU_DEP_2) | instskip(NEXT) | instid1(VALU_DEP_2)
	v_fma_f64 v[1:2], v[1:2], v[6:7], -v[10:11]
	v_fma_f64 v[3:4], v[3:4], v[6:7], v[8:9]
	scratch_store_b128 off, v[1:4], off offset:48
.LBB22_23:
	s_wait_alu 0xfffe
	s_or_b32 exec_lo, exec_lo, s1
	s_wait_loadcnt 0x0
	s_wait_storecnt 0x0
	s_barrier_signal -1
	s_barrier_wait -1
	global_inv scope:SCOPE_SE
	scratch_load_b128 v[1:4], off, s11
	v_add_nc_u32_e32 v6, -1, v0
	s_mov_b32 s0, exec_lo
	s_wait_loadcnt 0x0
	ds_store_b128 v5, v[1:4]
	s_wait_dscnt 0x0
	s_barrier_signal -1
	s_barrier_wait -1
	global_inv scope:SCOPE_SE
	v_cmpx_gt_u32_e32 3, v0
	s_cbranch_execz .LBB22_27
; %bb.24:
	v_dual_mov_b32 v1, 0 :: v_dual_add_nc_u32 v8, 0x170, v59
	v_mov_b32_e32 v3, 0
	v_dual_mov_b32 v2, 0 :: v_dual_add_nc_u32 v7, -1, v0
	v_mov_b32_e32 v4, 0
	v_or_b32_e32 v9, 8, v60
	s_mov_b32 s1, 0
.LBB22_25:                              ; =>This Inner Loop Header: Depth=1
	scratch_load_b128 v[61:64], v9, off offset:-8
	ds_load_b128 v[65:68], v8
	v_add_nc_u32_e32 v7, 1, v7
	v_add_nc_u32_e32 v8, 16, v8
	v_add_nc_u32_e32 v9, 16, v9
	s_delay_alu instid0(VALU_DEP_3)
	v_cmp_lt_u32_e32 vcc_lo, 1, v7
	s_wait_alu 0xfffe
	s_or_b32 s1, vcc_lo, s1
	s_wait_loadcnt_dscnt 0x0
	v_mul_f64_e32 v[10:11], v[67:68], v[63:64]
	v_mul_f64_e32 v[63:64], v[65:66], v[63:64]
	s_delay_alu instid0(VALU_DEP_2) | instskip(NEXT) | instid1(VALU_DEP_2)
	v_fma_f64 v[10:11], v[65:66], v[61:62], -v[10:11]
	v_fma_f64 v[61:62], v[67:68], v[61:62], v[63:64]
	s_delay_alu instid0(VALU_DEP_2) | instskip(NEXT) | instid1(VALU_DEP_2)
	v_add_f64_e32 v[3:4], v[3:4], v[10:11]
	v_add_f64_e32 v[1:2], v[1:2], v[61:62]
	s_wait_alu 0xfffe
	s_and_not1_b32 exec_lo, exec_lo, s1
	s_cbranch_execnz .LBB22_25
; %bb.26:
	s_or_b32 exec_lo, exec_lo, s1
	v_mov_b32_e32 v7, 0
	ds_load_b128 v[7:10], v7 offset:48
	s_wait_dscnt 0x0
	v_mul_f64_e32 v[11:12], v[1:2], v[9:10]
	v_mul_f64_e32 v[61:62], v[3:4], v[9:10]
	s_delay_alu instid0(VALU_DEP_2) | instskip(NEXT) | instid1(VALU_DEP_2)
	v_fma_f64 v[9:10], v[3:4], v[7:8], -v[11:12]
	v_fma_f64 v[11:12], v[1:2], v[7:8], v[61:62]
	scratch_store_b128 off, v[9:12], off offset:64
.LBB22_27:
	s_wait_alu 0xfffe
	s_or_b32 exec_lo, exec_lo, s0
	s_wait_loadcnt 0x0
	s_wait_storecnt 0x0
	s_barrier_signal -1
	s_barrier_wait -1
	global_inv scope:SCOPE_SE
	scratch_load_b128 v[1:4], off, s12
	s_mov_b32 s0, exec_lo
	s_wait_loadcnt 0x0
	ds_store_b128 v5, v[1:4]
	s_wait_dscnt 0x0
	s_barrier_signal -1
	s_barrier_wait -1
	global_inv scope:SCOPE_SE
	v_cmpx_gt_u32_e32 4, v0
	s_cbranch_execz .LBB22_31
; %bb.28:
	v_dual_mov_b32 v1, 0 :: v_dual_add_nc_u32 v8, 0x170, v59
	v_mov_b32_e32 v3, 0
	v_dual_mov_b32 v2, 0 :: v_dual_add_nc_u32 v7, -1, v0
	v_mov_b32_e32 v4, 0
	v_or_b32_e32 v9, 8, v60
	s_mov_b32 s1, 0
.LBB22_29:                              ; =>This Inner Loop Header: Depth=1
	scratch_load_b128 v[61:64], v9, off offset:-8
	ds_load_b128 v[65:68], v8
	v_add_nc_u32_e32 v7, 1, v7
	v_add_nc_u32_e32 v8, 16, v8
	v_add_nc_u32_e32 v9, 16, v9
	s_delay_alu instid0(VALU_DEP_3)
	v_cmp_lt_u32_e32 vcc_lo, 2, v7
	s_wait_alu 0xfffe
	s_or_b32 s1, vcc_lo, s1
	s_wait_loadcnt_dscnt 0x0
	v_mul_f64_e32 v[10:11], v[67:68], v[63:64]
	v_mul_f64_e32 v[63:64], v[65:66], v[63:64]
	s_delay_alu instid0(VALU_DEP_2) | instskip(NEXT) | instid1(VALU_DEP_2)
	v_fma_f64 v[10:11], v[65:66], v[61:62], -v[10:11]
	v_fma_f64 v[61:62], v[67:68], v[61:62], v[63:64]
	s_delay_alu instid0(VALU_DEP_2) | instskip(NEXT) | instid1(VALU_DEP_2)
	v_add_f64_e32 v[3:4], v[3:4], v[10:11]
	v_add_f64_e32 v[1:2], v[1:2], v[61:62]
	s_wait_alu 0xfffe
	s_and_not1_b32 exec_lo, exec_lo, s1
	s_cbranch_execnz .LBB22_29
; %bb.30:
	s_or_b32 exec_lo, exec_lo, s1
	v_mov_b32_e32 v7, 0
	ds_load_b128 v[7:10], v7 offset:64
	s_wait_dscnt 0x0
	v_mul_f64_e32 v[11:12], v[1:2], v[9:10]
	v_mul_f64_e32 v[61:62], v[3:4], v[9:10]
	s_delay_alu instid0(VALU_DEP_2) | instskip(NEXT) | instid1(VALU_DEP_2)
	v_fma_f64 v[9:10], v[3:4], v[7:8], -v[11:12]
	v_fma_f64 v[11:12], v[1:2], v[7:8], v[61:62]
	scratch_store_b128 off, v[9:12], off offset:80
.LBB22_31:
	s_wait_alu 0xfffe
	s_or_b32 exec_lo, exec_lo, s0
	s_wait_loadcnt 0x0
	s_wait_storecnt 0x0
	s_barrier_signal -1
	s_barrier_wait -1
	global_inv scope:SCOPE_SE
	scratch_load_b128 v[1:4], off, s4
	;; [unrolled: 58-line block ×19, first 2 shown]
	s_mov_b32 s0, exec_lo
	s_wait_loadcnt 0x0
	ds_store_b128 v5, v[1:4]
	s_wait_dscnt 0x0
	s_barrier_signal -1
	s_barrier_wait -1
	global_inv scope:SCOPE_SE
	v_cmpx_ne_u32_e32 22, v0
	s_cbranch_execz .LBB22_103
; %bb.100:
	v_mov_b32_e32 v1, 0
	v_dual_mov_b32 v2, 0 :: v_dual_mov_b32 v3, 0
	v_mov_b32_e32 v4, 0
	v_or_b32_e32 v7, 8, v60
	s_mov_b32 s1, 0
.LBB22_101:                             ; =>This Inner Loop Header: Depth=1
	scratch_load_b128 v[8:11], v7, off offset:-8
	ds_load_b128 v[59:62], v5
	v_add_nc_u32_e32 v6, 1, v6
	v_add_nc_u32_e32 v5, 16, v5
	;; [unrolled: 1-line block ×3, first 2 shown]
	s_delay_alu instid0(VALU_DEP_3)
	v_cmp_lt_u32_e32 vcc_lo, 20, v6
	s_wait_alu 0xfffe
	s_or_b32 s1, vcc_lo, s1
	s_wait_loadcnt_dscnt 0x0
	v_mul_f64_e32 v[63:64], v[61:62], v[10:11]
	v_mul_f64_e32 v[10:11], v[59:60], v[10:11]
	s_delay_alu instid0(VALU_DEP_2) | instskip(NEXT) | instid1(VALU_DEP_2)
	v_fma_f64 v[59:60], v[59:60], v[8:9], -v[63:64]
	v_fma_f64 v[8:9], v[61:62], v[8:9], v[10:11]
	s_delay_alu instid0(VALU_DEP_2) | instskip(NEXT) | instid1(VALU_DEP_2)
	v_add_f64_e32 v[3:4], v[3:4], v[59:60]
	v_add_f64_e32 v[1:2], v[1:2], v[8:9]
	s_wait_alu 0xfffe
	s_and_not1_b32 exec_lo, exec_lo, s1
	s_cbranch_execnz .LBB22_101
; %bb.102:
	s_or_b32 exec_lo, exec_lo, s1
	v_mov_b32_e32 v5, 0
	ds_load_b128 v[5:8], v5 offset:352
	s_wait_dscnt 0x0
	v_mul_f64_e32 v[9:10], v[1:2], v[7:8]
	v_mul_f64_e32 v[7:8], v[3:4], v[7:8]
	s_delay_alu instid0(VALU_DEP_2) | instskip(NEXT) | instid1(VALU_DEP_2)
	v_fma_f64 v[3:4], v[3:4], v[5:6], -v[9:10]
	v_fma_f64 v[5:6], v[1:2], v[5:6], v[7:8]
	scratch_store_b128 off, v[3:6], off offset:368
.LBB22_103:
	s_wait_alu 0xfffe
	s_or_b32 exec_lo, exec_lo, s0
	s_mov_b32 s1, -1
	s_wait_loadcnt 0x0
	s_wait_storecnt 0x0
	s_barrier_signal -1
	s_barrier_wait -1
	global_inv scope:SCOPE_SE
.LBB22_104:
	s_wait_alu 0xfffe
	s_and_b32 vcc_lo, exec_lo, s1
	s_wait_alu 0xfffe
	s_cbranch_vccz .LBB22_106
; %bb.105:
	v_mov_b32_e32 v1, 0
	s_lshl_b64 s[0:1], s[16:17], 2
	s_wait_alu 0xfffe
	s_add_nc_u64 s[0:1], s[6:7], s[0:1]
	global_load_b32 v1, v1, s[0:1]
	s_wait_loadcnt 0x0
	v_cmp_ne_u32_e32 vcc_lo, 0, v1
	s_cbranch_vccz .LBB22_107
.LBB22_106:
	s_nop 0
	s_sendmsg sendmsg(MSG_DEALLOC_VGPRS)
	s_endpgm
.LBB22_107:
	v_lshl_add_u32 v5, v0, 4, 0x170
	s_mov_b32 s0, exec_lo
	v_cmpx_eq_u32_e32 22, v0
	s_cbranch_execz .LBB22_109
; %bb.108:
	scratch_load_b128 v[1:4], off, s26
	v_mov_b32_e32 v6, 0
	s_delay_alu instid0(VALU_DEP_1)
	v_dual_mov_b32 v7, v6 :: v_dual_mov_b32 v8, v6
	v_mov_b32_e32 v9, v6
	scratch_store_b128 off, v[6:9], off offset:352
	s_wait_loadcnt 0x0
	ds_store_b128 v5, v[1:4]
.LBB22_109:
	s_wait_alu 0xfffe
	s_or_b32 exec_lo, exec_lo, s0
	s_wait_storecnt_dscnt 0x0
	s_barrier_signal -1
	s_barrier_wait -1
	global_inv scope:SCOPE_SE
	s_clause 0x1
	scratch_load_b128 v[6:9], off, off offset:368
	scratch_load_b128 v[59:62], off, off offset:352
	v_mov_b32_e32 v1, 0
	s_mov_b32 s0, exec_lo
	ds_load_b128 v[63:66], v1 offset:720
	s_wait_loadcnt_dscnt 0x100
	v_mul_f64_e32 v[2:3], v[65:66], v[8:9]
	v_mul_f64_e32 v[8:9], v[63:64], v[8:9]
	s_delay_alu instid0(VALU_DEP_2) | instskip(NEXT) | instid1(VALU_DEP_2)
	v_fma_f64 v[2:3], v[63:64], v[6:7], -v[2:3]
	v_fma_f64 v[6:7], v[65:66], v[6:7], v[8:9]
	s_delay_alu instid0(VALU_DEP_2) | instskip(NEXT) | instid1(VALU_DEP_2)
	v_add_f64_e32 v[2:3], 0, v[2:3]
	v_add_f64_e32 v[8:9], 0, v[6:7]
	s_wait_loadcnt 0x0
	s_delay_alu instid0(VALU_DEP_2) | instskip(NEXT) | instid1(VALU_DEP_2)
	v_add_f64_e64 v[6:7], v[59:60], -v[2:3]
	v_add_f64_e64 v[8:9], v[61:62], -v[8:9]
	scratch_store_b128 off, v[6:9], off offset:352
	v_cmpx_lt_u32_e32 20, v0
	s_cbranch_execz .LBB22_111
; %bb.110:
	scratch_load_b128 v[6:9], off, s29
	v_dual_mov_b32 v2, v1 :: v_dual_mov_b32 v3, v1
	v_mov_b32_e32 v4, v1
	scratch_store_b128 off, v[1:4], off offset:336
	s_wait_loadcnt 0x0
	ds_store_b128 v5, v[6:9]
.LBB22_111:
	s_wait_alu 0xfffe
	s_or_b32 exec_lo, exec_lo, s0
	s_wait_storecnt_dscnt 0x0
	s_barrier_signal -1
	s_barrier_wait -1
	global_inv scope:SCOPE_SE
	s_clause 0x2
	scratch_load_b128 v[6:9], off, off offset:352
	scratch_load_b128 v[59:62], off, off offset:368
	;; [unrolled: 1-line block ×3, first 2 shown]
	ds_load_b128 v[67:70], v1 offset:704
	ds_load_b128 v[1:4], v1 offset:720
	s_mov_b32 s0, exec_lo
	s_wait_loadcnt_dscnt 0x201
	v_mul_f64_e32 v[10:11], v[69:70], v[8:9]
	v_mul_f64_e32 v[8:9], v[67:68], v[8:9]
	s_wait_loadcnt_dscnt 0x100
	v_mul_f64_e32 v[71:72], v[1:2], v[61:62]
	v_mul_f64_e32 v[61:62], v[3:4], v[61:62]
	s_delay_alu instid0(VALU_DEP_4) | instskip(NEXT) | instid1(VALU_DEP_4)
	v_fma_f64 v[10:11], v[67:68], v[6:7], -v[10:11]
	v_fma_f64 v[6:7], v[69:70], v[6:7], v[8:9]
	s_delay_alu instid0(VALU_DEP_4) | instskip(NEXT) | instid1(VALU_DEP_4)
	v_fma_f64 v[3:4], v[3:4], v[59:60], v[71:72]
	v_fma_f64 v[1:2], v[1:2], v[59:60], -v[61:62]
	s_delay_alu instid0(VALU_DEP_4) | instskip(NEXT) | instid1(VALU_DEP_4)
	v_add_f64_e32 v[8:9], 0, v[10:11]
	v_add_f64_e32 v[6:7], 0, v[6:7]
	s_delay_alu instid0(VALU_DEP_2) | instskip(NEXT) | instid1(VALU_DEP_2)
	v_add_f64_e32 v[1:2], v[8:9], v[1:2]
	v_add_f64_e32 v[3:4], v[6:7], v[3:4]
	s_wait_loadcnt 0x0
	s_delay_alu instid0(VALU_DEP_2) | instskip(NEXT) | instid1(VALU_DEP_2)
	v_add_f64_e64 v[1:2], v[63:64], -v[1:2]
	v_add_f64_e64 v[3:4], v[65:66], -v[3:4]
	scratch_store_b128 off, v[1:4], off offset:336
	v_cmpx_lt_u32_e32 19, v0
	s_cbranch_execz .LBB22_113
; %bb.112:
	scratch_load_b128 v[1:4], off, s25
	v_mov_b32_e32 v6, 0
	s_delay_alu instid0(VALU_DEP_1)
	v_dual_mov_b32 v7, v6 :: v_dual_mov_b32 v8, v6
	v_mov_b32_e32 v9, v6
	scratch_store_b128 off, v[6:9], off offset:320
	s_wait_loadcnt 0x0
	ds_store_b128 v5, v[1:4]
.LBB22_113:
	s_wait_alu 0xfffe
	s_or_b32 exec_lo, exec_lo, s0
	s_wait_storecnt_dscnt 0x0
	s_barrier_signal -1
	s_barrier_wait -1
	global_inv scope:SCOPE_SE
	s_clause 0x3
	scratch_load_b128 v[6:9], off, off offset:336
	scratch_load_b128 v[59:62], off, off offset:352
	;; [unrolled: 1-line block ×4, first 2 shown]
	v_mov_b32_e32 v1, 0
	ds_load_b128 v[71:74], v1 offset:688
	ds_load_b128 v[75:78], v1 offset:704
	s_mov_b32 s0, exec_lo
	s_wait_loadcnt_dscnt 0x301
	v_mul_f64_e32 v[2:3], v[73:74], v[8:9]
	v_mul_f64_e32 v[8:9], v[71:72], v[8:9]
	s_wait_loadcnt_dscnt 0x200
	v_mul_f64_e32 v[10:11], v[75:76], v[61:62]
	v_mul_f64_e32 v[61:62], v[77:78], v[61:62]
	s_delay_alu instid0(VALU_DEP_4) | instskip(NEXT) | instid1(VALU_DEP_4)
	v_fma_f64 v[2:3], v[71:72], v[6:7], -v[2:3]
	v_fma_f64 v[71:72], v[73:74], v[6:7], v[8:9]
	ds_load_b128 v[6:9], v1 offset:720
	v_fma_f64 v[10:11], v[77:78], v[59:60], v[10:11]
	v_fma_f64 v[59:60], v[75:76], v[59:60], -v[61:62]
	s_wait_loadcnt_dscnt 0x100
	v_mul_f64_e32 v[73:74], v[6:7], v[65:66]
	v_mul_f64_e32 v[65:66], v[8:9], v[65:66]
	v_add_f64_e32 v[2:3], 0, v[2:3]
	v_add_f64_e32 v[61:62], 0, v[71:72]
	s_delay_alu instid0(VALU_DEP_4) | instskip(NEXT) | instid1(VALU_DEP_4)
	v_fma_f64 v[8:9], v[8:9], v[63:64], v[73:74]
	v_fma_f64 v[6:7], v[6:7], v[63:64], -v[65:66]
	s_delay_alu instid0(VALU_DEP_4) | instskip(NEXT) | instid1(VALU_DEP_4)
	v_add_f64_e32 v[2:3], v[2:3], v[59:60]
	v_add_f64_e32 v[10:11], v[61:62], v[10:11]
	s_delay_alu instid0(VALU_DEP_2) | instskip(NEXT) | instid1(VALU_DEP_2)
	v_add_f64_e32 v[2:3], v[2:3], v[6:7]
	v_add_f64_e32 v[8:9], v[10:11], v[8:9]
	s_wait_loadcnt 0x0
	s_delay_alu instid0(VALU_DEP_2) | instskip(NEXT) | instid1(VALU_DEP_2)
	v_add_f64_e64 v[6:7], v[67:68], -v[2:3]
	v_add_f64_e64 v[8:9], v[69:70], -v[8:9]
	scratch_store_b128 off, v[6:9], off offset:320
	v_cmpx_lt_u32_e32 18, v0
	s_cbranch_execz .LBB22_115
; %bb.114:
	scratch_load_b128 v[6:9], off, s28
	v_dual_mov_b32 v2, v1 :: v_dual_mov_b32 v3, v1
	v_mov_b32_e32 v4, v1
	scratch_store_b128 off, v[1:4], off offset:304
	s_wait_loadcnt 0x0
	ds_store_b128 v5, v[6:9]
.LBB22_115:
	s_wait_alu 0xfffe
	s_or_b32 exec_lo, exec_lo, s0
	s_wait_storecnt_dscnt 0x0
	s_barrier_signal -1
	s_barrier_wait -1
	global_inv scope:SCOPE_SE
	s_clause 0x4
	scratch_load_b128 v[6:9], off, off offset:320
	scratch_load_b128 v[59:62], off, off offset:336
	;; [unrolled: 1-line block ×5, first 2 shown]
	ds_load_b128 v[75:78], v1 offset:672
	ds_load_b128 v[79:82], v1 offset:688
	s_mov_b32 s0, exec_lo
	s_wait_loadcnt_dscnt 0x401
	v_mul_f64_e32 v[2:3], v[77:78], v[8:9]
	v_mul_f64_e32 v[8:9], v[75:76], v[8:9]
	s_wait_loadcnt_dscnt 0x300
	v_mul_f64_e32 v[10:11], v[79:80], v[61:62]
	v_mul_f64_e32 v[61:62], v[81:82], v[61:62]
	s_delay_alu instid0(VALU_DEP_4) | instskip(NEXT) | instid1(VALU_DEP_4)
	v_fma_f64 v[75:76], v[75:76], v[6:7], -v[2:3]
	v_fma_f64 v[77:78], v[77:78], v[6:7], v[8:9]
	ds_load_b128 v[6:9], v1 offset:704
	ds_load_b128 v[1:4], v1 offset:720
	v_fma_f64 v[10:11], v[81:82], v[59:60], v[10:11]
	v_fma_f64 v[59:60], v[79:80], v[59:60], -v[61:62]
	s_wait_loadcnt_dscnt 0x201
	v_mul_f64_e32 v[83:84], v[6:7], v[65:66]
	v_mul_f64_e32 v[65:66], v[8:9], v[65:66]
	v_add_f64_e32 v[61:62], 0, v[75:76]
	v_add_f64_e32 v[75:76], 0, v[77:78]
	s_wait_loadcnt_dscnt 0x100
	v_mul_f64_e32 v[77:78], v[1:2], v[69:70]
	v_mul_f64_e32 v[69:70], v[3:4], v[69:70]
	v_fma_f64 v[8:9], v[8:9], v[63:64], v[83:84]
	v_fma_f64 v[6:7], v[6:7], v[63:64], -v[65:66]
	v_add_f64_e32 v[59:60], v[61:62], v[59:60]
	v_add_f64_e32 v[10:11], v[75:76], v[10:11]
	v_fma_f64 v[3:4], v[3:4], v[67:68], v[77:78]
	v_fma_f64 v[1:2], v[1:2], v[67:68], -v[69:70]
	s_delay_alu instid0(VALU_DEP_4) | instskip(NEXT) | instid1(VALU_DEP_4)
	v_add_f64_e32 v[6:7], v[59:60], v[6:7]
	v_add_f64_e32 v[8:9], v[10:11], v[8:9]
	s_delay_alu instid0(VALU_DEP_2) | instskip(NEXT) | instid1(VALU_DEP_2)
	v_add_f64_e32 v[1:2], v[6:7], v[1:2]
	v_add_f64_e32 v[3:4], v[8:9], v[3:4]
	s_wait_loadcnt 0x0
	s_delay_alu instid0(VALU_DEP_2) | instskip(NEXT) | instid1(VALU_DEP_2)
	v_add_f64_e64 v[1:2], v[71:72], -v[1:2]
	v_add_f64_e64 v[3:4], v[73:74], -v[3:4]
	scratch_store_b128 off, v[1:4], off offset:304
	v_cmpx_lt_u32_e32 17, v0
	s_cbranch_execz .LBB22_117
; %bb.116:
	scratch_load_b128 v[1:4], off, s24
	v_mov_b32_e32 v6, 0
	s_delay_alu instid0(VALU_DEP_1)
	v_dual_mov_b32 v7, v6 :: v_dual_mov_b32 v8, v6
	v_mov_b32_e32 v9, v6
	scratch_store_b128 off, v[6:9], off offset:288
	s_wait_loadcnt 0x0
	ds_store_b128 v5, v[1:4]
.LBB22_117:
	s_wait_alu 0xfffe
	s_or_b32 exec_lo, exec_lo, s0
	s_wait_storecnt_dscnt 0x0
	s_barrier_signal -1
	s_barrier_wait -1
	global_inv scope:SCOPE_SE
	s_clause 0x5
	scratch_load_b128 v[6:9], off, off offset:304
	scratch_load_b128 v[59:62], off, off offset:320
	;; [unrolled: 1-line block ×6, first 2 shown]
	v_mov_b32_e32 v1, 0
	ds_load_b128 v[79:82], v1 offset:656
	ds_load_b128 v[83:86], v1 offset:672
	s_mov_b32 s0, exec_lo
	s_wait_loadcnt_dscnt 0x501
	v_mul_f64_e32 v[2:3], v[81:82], v[8:9]
	v_mul_f64_e32 v[8:9], v[79:80], v[8:9]
	s_wait_loadcnt_dscnt 0x400
	v_mul_f64_e32 v[10:11], v[83:84], v[61:62]
	v_mul_f64_e32 v[61:62], v[85:86], v[61:62]
	s_delay_alu instid0(VALU_DEP_4) | instskip(NEXT) | instid1(VALU_DEP_4)
	v_fma_f64 v[2:3], v[79:80], v[6:7], -v[2:3]
	v_fma_f64 v[87:88], v[81:82], v[6:7], v[8:9]
	ds_load_b128 v[6:9], v1 offset:688
	ds_load_b128 v[79:82], v1 offset:704
	v_fma_f64 v[10:11], v[85:86], v[59:60], v[10:11]
	v_fma_f64 v[59:60], v[83:84], v[59:60], -v[61:62]
	s_wait_loadcnt_dscnt 0x301
	v_mul_f64_e32 v[89:90], v[6:7], v[65:66]
	v_mul_f64_e32 v[65:66], v[8:9], v[65:66]
	s_wait_loadcnt_dscnt 0x200
	v_mul_f64_e32 v[83:84], v[79:80], v[69:70]
	v_mul_f64_e32 v[69:70], v[81:82], v[69:70]
	v_add_f64_e32 v[2:3], 0, v[2:3]
	v_add_f64_e32 v[61:62], 0, v[87:88]
	v_fma_f64 v[85:86], v[8:9], v[63:64], v[89:90]
	v_fma_f64 v[63:64], v[6:7], v[63:64], -v[65:66]
	ds_load_b128 v[6:9], v1 offset:720
	v_fma_f64 v[65:66], v[81:82], v[67:68], v[83:84]
	v_fma_f64 v[67:68], v[79:80], v[67:68], -v[69:70]
	v_add_f64_e32 v[2:3], v[2:3], v[59:60]
	v_add_f64_e32 v[10:11], v[61:62], v[10:11]
	s_wait_loadcnt_dscnt 0x100
	v_mul_f64_e32 v[59:60], v[6:7], v[73:74]
	v_mul_f64_e32 v[61:62], v[8:9], v[73:74]
	s_delay_alu instid0(VALU_DEP_4) | instskip(NEXT) | instid1(VALU_DEP_4)
	v_add_f64_e32 v[2:3], v[2:3], v[63:64]
	v_add_f64_e32 v[10:11], v[10:11], v[85:86]
	s_delay_alu instid0(VALU_DEP_4) | instskip(NEXT) | instid1(VALU_DEP_4)
	v_fma_f64 v[8:9], v[8:9], v[71:72], v[59:60]
	v_fma_f64 v[6:7], v[6:7], v[71:72], -v[61:62]
	s_delay_alu instid0(VALU_DEP_4) | instskip(NEXT) | instid1(VALU_DEP_4)
	v_add_f64_e32 v[2:3], v[2:3], v[67:68]
	v_add_f64_e32 v[10:11], v[10:11], v[65:66]
	s_delay_alu instid0(VALU_DEP_2) | instskip(NEXT) | instid1(VALU_DEP_2)
	v_add_f64_e32 v[2:3], v[2:3], v[6:7]
	v_add_f64_e32 v[8:9], v[10:11], v[8:9]
	s_wait_loadcnt 0x0
	s_delay_alu instid0(VALU_DEP_2) | instskip(NEXT) | instid1(VALU_DEP_2)
	v_add_f64_e64 v[6:7], v[75:76], -v[2:3]
	v_add_f64_e64 v[8:9], v[77:78], -v[8:9]
	scratch_store_b128 off, v[6:9], off offset:288
	v_cmpx_lt_u32_e32 16, v0
	s_cbranch_execz .LBB22_119
; %bb.118:
	scratch_load_b128 v[6:9], off, s27
	v_dual_mov_b32 v2, v1 :: v_dual_mov_b32 v3, v1
	v_mov_b32_e32 v4, v1
	scratch_store_b128 off, v[1:4], off offset:272
	s_wait_loadcnt 0x0
	ds_store_b128 v5, v[6:9]
.LBB22_119:
	s_wait_alu 0xfffe
	s_or_b32 exec_lo, exec_lo, s0
	s_wait_storecnt_dscnt 0x0
	s_barrier_signal -1
	s_barrier_wait -1
	global_inv scope:SCOPE_SE
	s_clause 0x5
	scratch_load_b128 v[6:9], off, off offset:288
	scratch_load_b128 v[59:62], off, off offset:304
	;; [unrolled: 1-line block ×6, first 2 shown]
	ds_load_b128 v[79:82], v1 offset:640
	ds_load_b128 v[87:90], v1 offset:656
	scratch_load_b128 v[83:86], off, off offset:272
	s_mov_b32 s0, exec_lo
	s_wait_loadcnt_dscnt 0x601
	v_mul_f64_e32 v[2:3], v[81:82], v[8:9]
	v_mul_f64_e32 v[8:9], v[79:80], v[8:9]
	s_wait_loadcnt_dscnt 0x500
	v_mul_f64_e32 v[10:11], v[87:88], v[61:62]
	v_mul_f64_e32 v[61:62], v[89:90], v[61:62]
	s_delay_alu instid0(VALU_DEP_4) | instskip(NEXT) | instid1(VALU_DEP_4)
	v_fma_f64 v[2:3], v[79:80], v[6:7], -v[2:3]
	v_fma_f64 v[91:92], v[81:82], v[6:7], v[8:9]
	ds_load_b128 v[6:9], v1 offset:672
	ds_load_b128 v[79:82], v1 offset:688
	v_fma_f64 v[10:11], v[89:90], v[59:60], v[10:11]
	v_fma_f64 v[59:60], v[87:88], v[59:60], -v[61:62]
	s_wait_loadcnt_dscnt 0x401
	v_mul_f64_e32 v[93:94], v[6:7], v[65:66]
	v_mul_f64_e32 v[65:66], v[8:9], v[65:66]
	s_wait_loadcnt_dscnt 0x300
	v_mul_f64_e32 v[87:88], v[79:80], v[69:70]
	v_mul_f64_e32 v[69:70], v[81:82], v[69:70]
	v_add_f64_e32 v[2:3], 0, v[2:3]
	v_add_f64_e32 v[61:62], 0, v[91:92]
	v_fma_f64 v[89:90], v[8:9], v[63:64], v[93:94]
	v_fma_f64 v[63:64], v[6:7], v[63:64], -v[65:66]
	s_delay_alu instid0(VALU_DEP_4) | instskip(NEXT) | instid1(VALU_DEP_4)
	v_add_f64_e32 v[59:60], v[2:3], v[59:60]
	v_add_f64_e32 v[10:11], v[61:62], v[10:11]
	ds_load_b128 v[6:9], v1 offset:704
	ds_load_b128 v[1:4], v1 offset:720
	s_wait_loadcnt_dscnt 0x201
	v_mul_f64_e32 v[61:62], v[6:7], v[73:74]
	v_mul_f64_e32 v[65:66], v[8:9], v[73:74]
	v_fma_f64 v[73:74], v[81:82], v[67:68], v[87:88]
	v_fma_f64 v[67:68], v[79:80], v[67:68], -v[69:70]
	s_wait_loadcnt_dscnt 0x100
	v_mul_f64_e32 v[69:70], v[3:4], v[77:78]
	v_add_f64_e32 v[59:60], v[59:60], v[63:64]
	v_add_f64_e32 v[10:11], v[10:11], v[89:90]
	v_mul_f64_e32 v[63:64], v[1:2], v[77:78]
	v_fma_f64 v[8:9], v[8:9], v[71:72], v[61:62]
	v_fma_f64 v[6:7], v[6:7], v[71:72], -v[65:66]
	v_fma_f64 v[1:2], v[1:2], v[75:76], -v[69:70]
	v_add_f64_e32 v[59:60], v[59:60], v[67:68]
	v_add_f64_e32 v[10:11], v[10:11], v[73:74]
	v_fma_f64 v[3:4], v[3:4], v[75:76], v[63:64]
	s_delay_alu instid0(VALU_DEP_3) | instskip(NEXT) | instid1(VALU_DEP_3)
	v_add_f64_e32 v[6:7], v[59:60], v[6:7]
	v_add_f64_e32 v[8:9], v[10:11], v[8:9]
	s_delay_alu instid0(VALU_DEP_2) | instskip(NEXT) | instid1(VALU_DEP_2)
	v_add_f64_e32 v[1:2], v[6:7], v[1:2]
	v_add_f64_e32 v[3:4], v[8:9], v[3:4]
	s_wait_loadcnt 0x0
	s_delay_alu instid0(VALU_DEP_2) | instskip(NEXT) | instid1(VALU_DEP_2)
	v_add_f64_e64 v[1:2], v[83:84], -v[1:2]
	v_add_f64_e64 v[3:4], v[85:86], -v[3:4]
	scratch_store_b128 off, v[1:4], off offset:272
	v_cmpx_lt_u32_e32 15, v0
	s_cbranch_execz .LBB22_121
; %bb.120:
	scratch_load_b128 v[1:4], off, s21
	v_mov_b32_e32 v6, 0
	s_delay_alu instid0(VALU_DEP_1)
	v_dual_mov_b32 v7, v6 :: v_dual_mov_b32 v8, v6
	v_mov_b32_e32 v9, v6
	scratch_store_b128 off, v[6:9], off offset:256
	s_wait_loadcnt 0x0
	ds_store_b128 v5, v[1:4]
.LBB22_121:
	s_wait_alu 0xfffe
	s_or_b32 exec_lo, exec_lo, s0
	s_wait_storecnt_dscnt 0x0
	s_barrier_signal -1
	s_barrier_wait -1
	global_inv scope:SCOPE_SE
	s_clause 0x6
	scratch_load_b128 v[6:9], off, off offset:272
	scratch_load_b128 v[59:62], off, off offset:288
	;; [unrolled: 1-line block ×7, first 2 shown]
	v_mov_b32_e32 v1, 0
	scratch_load_b128 v[87:90], off, off offset:256
	s_mov_b32 s0, exec_lo
	ds_load_b128 v[83:86], v1 offset:624
	s_wait_loadcnt_dscnt 0x700
	v_mul_f64_e32 v[2:3], v[85:86], v[8:9]
	v_mul_f64_e32 v[91:92], v[83:84], v[8:9]
	ds_load_b128 v[8:11], v1 offset:640
	v_fma_f64 v[2:3], v[83:84], v[6:7], -v[2:3]
	v_fma_f64 v[6:7], v[85:86], v[6:7], v[91:92]
	ds_load_b128 v[83:86], v1 offset:656
	s_wait_loadcnt_dscnt 0x601
	v_mul_f64_e32 v[93:94], v[8:9], v[61:62]
	v_mul_f64_e32 v[61:62], v[10:11], v[61:62]
	s_wait_loadcnt_dscnt 0x500
	v_mul_f64_e32 v[91:92], v[83:84], v[65:66]
	v_mul_f64_e32 v[65:66], v[85:86], v[65:66]
	v_add_f64_e32 v[2:3], 0, v[2:3]
	v_fma_f64 v[10:11], v[10:11], v[59:60], v[93:94]
	v_fma_f64 v[59:60], v[8:9], v[59:60], -v[61:62]
	v_add_f64_e32 v[61:62], 0, v[6:7]
	ds_load_b128 v[6:9], v1 offset:672
	v_fma_f64 v[85:86], v[85:86], v[63:64], v[91:92]
	v_fma_f64 v[63:64], v[83:84], v[63:64], -v[65:66]
	v_add_f64_e32 v[2:3], v[2:3], v[59:60]
	v_add_f64_e32 v[10:11], v[61:62], v[10:11]
	ds_load_b128 v[59:62], v1 offset:688
	s_wait_loadcnt_dscnt 0x401
	v_mul_f64_e32 v[93:94], v[6:7], v[69:70]
	v_mul_f64_e32 v[69:70], v[8:9], v[69:70]
	s_wait_loadcnt_dscnt 0x300
	v_mul_f64_e32 v[65:66], v[59:60], v[73:74]
	v_mul_f64_e32 v[73:74], v[61:62], v[73:74]
	v_add_f64_e32 v[2:3], v[2:3], v[63:64]
	v_add_f64_e32 v[10:11], v[10:11], v[85:86]
	v_fma_f64 v[83:84], v[8:9], v[67:68], v[93:94]
	v_fma_f64 v[67:68], v[6:7], v[67:68], -v[69:70]
	ds_load_b128 v[6:9], v1 offset:704
	v_fma_f64 v[65:66], v[61:62], v[71:72], v[65:66]
	v_fma_f64 v[71:72], v[59:60], v[71:72], -v[73:74]
	ds_load_b128 v[59:62], v1 offset:720
	s_wait_loadcnt_dscnt 0x201
	v_mul_f64_e32 v[63:64], v[6:7], v[77:78]
	v_mul_f64_e32 v[69:70], v[8:9], v[77:78]
	v_add_f64_e32 v[10:11], v[10:11], v[83:84]
	v_add_f64_e32 v[2:3], v[2:3], v[67:68]
	s_wait_loadcnt_dscnt 0x100
	v_mul_f64_e32 v[67:68], v[59:60], v[81:82]
	v_mul_f64_e32 v[73:74], v[61:62], v[81:82]
	v_fma_f64 v[8:9], v[8:9], v[75:76], v[63:64]
	v_fma_f64 v[6:7], v[6:7], v[75:76], -v[69:70]
	v_add_f64_e32 v[10:11], v[10:11], v[65:66]
	v_add_f64_e32 v[2:3], v[2:3], v[71:72]
	v_fma_f64 v[61:62], v[61:62], v[79:80], v[67:68]
	v_fma_f64 v[59:60], v[59:60], v[79:80], -v[73:74]
	s_delay_alu instid0(VALU_DEP_3) | instskip(SKIP_1) | instid1(VALU_DEP_2)
	v_add_f64_e32 v[2:3], v[2:3], v[6:7]
	v_add_f64_e32 v[6:7], v[10:11], v[8:9]
	;; [unrolled: 1-line block ×3, first 2 shown]
	s_delay_alu instid0(VALU_DEP_2) | instskip(SKIP_1) | instid1(VALU_DEP_2)
	v_add_f64_e32 v[8:9], v[6:7], v[61:62]
	s_wait_loadcnt 0x0
	v_add_f64_e64 v[6:7], v[87:88], -v[2:3]
	s_delay_alu instid0(VALU_DEP_2)
	v_add_f64_e64 v[8:9], v[89:90], -v[8:9]
	scratch_store_b128 off, v[6:9], off offset:256
	v_cmpx_lt_u32_e32 14, v0
	s_cbranch_execz .LBB22_123
; %bb.122:
	scratch_load_b128 v[6:9], off, s23
	v_dual_mov_b32 v2, v1 :: v_dual_mov_b32 v3, v1
	v_mov_b32_e32 v4, v1
	scratch_store_b128 off, v[1:4], off offset:240
	s_wait_loadcnt 0x0
	ds_store_b128 v5, v[6:9]
.LBB22_123:
	s_wait_alu 0xfffe
	s_or_b32 exec_lo, exec_lo, s0
	s_wait_storecnt_dscnt 0x0
	s_barrier_signal -1
	s_barrier_wait -1
	global_inv scope:SCOPE_SE
	s_clause 0x7
	scratch_load_b128 v[6:9], off, off offset:256
	scratch_load_b128 v[59:62], off, off offset:272
	;; [unrolled: 1-line block ×8, first 2 shown]
	ds_load_b128 v[87:90], v1 offset:608
	s_mov_b32 s0, exec_lo
	s_wait_loadcnt_dscnt 0x700
	v_mul_f64_e32 v[2:3], v[89:90], v[8:9]
	v_mul_f64_e32 v[91:92], v[87:88], v[8:9]
	ds_load_b128 v[8:11], v1 offset:624
	v_fma_f64 v[2:3], v[87:88], v[6:7], -v[2:3]
	v_fma_f64 v[6:7], v[89:90], v[6:7], v[91:92]
	ds_load_b128 v[87:90], v1 offset:640
	s_wait_loadcnt_dscnt 0x601
	v_mul_f64_e32 v[95:96], v[8:9], v[61:62]
	v_mul_f64_e32 v[61:62], v[10:11], v[61:62]
	scratch_load_b128 v[91:94], off, off offset:240
	s_wait_loadcnt_dscnt 0x600
	v_mul_f64_e32 v[97:98], v[87:88], v[65:66]
	v_mul_f64_e32 v[65:66], v[89:90], v[65:66]
	v_add_f64_e32 v[2:3], 0, v[2:3]
	v_fma_f64 v[10:11], v[10:11], v[59:60], v[95:96]
	v_fma_f64 v[59:60], v[8:9], v[59:60], -v[61:62]
	v_add_f64_e32 v[61:62], 0, v[6:7]
	ds_load_b128 v[6:9], v1 offset:656
	v_fma_f64 v[89:90], v[89:90], v[63:64], v[97:98]
	v_fma_f64 v[63:64], v[87:88], v[63:64], -v[65:66]
	v_add_f64_e32 v[2:3], v[2:3], v[59:60]
	v_add_f64_e32 v[10:11], v[61:62], v[10:11]
	ds_load_b128 v[59:62], v1 offset:672
	s_wait_loadcnt_dscnt 0x501
	v_mul_f64_e32 v[95:96], v[6:7], v[69:70]
	v_mul_f64_e32 v[69:70], v[8:9], v[69:70]
	s_wait_loadcnt_dscnt 0x400
	v_mul_f64_e32 v[65:66], v[59:60], v[73:74]
	v_mul_f64_e32 v[73:74], v[61:62], v[73:74]
	v_add_f64_e32 v[2:3], v[2:3], v[63:64]
	v_add_f64_e32 v[10:11], v[10:11], v[89:90]
	v_fma_f64 v[87:88], v[8:9], v[67:68], v[95:96]
	v_fma_f64 v[67:68], v[6:7], v[67:68], -v[69:70]
	ds_load_b128 v[6:9], v1 offset:688
	v_fma_f64 v[65:66], v[61:62], v[71:72], v[65:66]
	v_fma_f64 v[71:72], v[59:60], v[71:72], -v[73:74]
	ds_load_b128 v[59:62], v1 offset:704
	s_wait_loadcnt_dscnt 0x301
	v_mul_f64_e32 v[63:64], v[6:7], v[77:78]
	v_mul_f64_e32 v[69:70], v[8:9], v[77:78]
	v_add_f64_e32 v[10:11], v[10:11], v[87:88]
	v_add_f64_e32 v[2:3], v[2:3], v[67:68]
	s_wait_loadcnt_dscnt 0x200
	v_mul_f64_e32 v[67:68], v[59:60], v[81:82]
	v_mul_f64_e32 v[73:74], v[61:62], v[81:82]
	v_fma_f64 v[8:9], v[8:9], v[75:76], v[63:64]
	v_fma_f64 v[6:7], v[6:7], v[75:76], -v[69:70]
	v_add_f64_e32 v[10:11], v[10:11], v[65:66]
	v_add_f64_e32 v[63:64], v[2:3], v[71:72]
	ds_load_b128 v[1:4], v1 offset:720
	v_fma_f64 v[61:62], v[61:62], v[79:80], v[67:68]
	v_fma_f64 v[59:60], v[59:60], v[79:80], -v[73:74]
	s_wait_loadcnt_dscnt 0x100
	v_mul_f64_e32 v[65:66], v[1:2], v[85:86]
	v_mul_f64_e32 v[69:70], v[3:4], v[85:86]
	v_add_f64_e32 v[8:9], v[10:11], v[8:9]
	v_add_f64_e32 v[6:7], v[63:64], v[6:7]
	s_delay_alu instid0(VALU_DEP_4) | instskip(NEXT) | instid1(VALU_DEP_4)
	v_fma_f64 v[3:4], v[3:4], v[83:84], v[65:66]
	v_fma_f64 v[1:2], v[1:2], v[83:84], -v[69:70]
	s_delay_alu instid0(VALU_DEP_4) | instskip(NEXT) | instid1(VALU_DEP_4)
	v_add_f64_e32 v[8:9], v[8:9], v[61:62]
	v_add_f64_e32 v[6:7], v[6:7], v[59:60]
	s_delay_alu instid0(VALU_DEP_2) | instskip(NEXT) | instid1(VALU_DEP_2)
	v_add_f64_e32 v[3:4], v[8:9], v[3:4]
	v_add_f64_e32 v[1:2], v[6:7], v[1:2]
	s_wait_loadcnt 0x0
	s_delay_alu instid0(VALU_DEP_2) | instskip(NEXT) | instid1(VALU_DEP_2)
	v_add_f64_e64 v[3:4], v[93:94], -v[3:4]
	v_add_f64_e64 v[1:2], v[91:92], -v[1:2]
	scratch_store_b128 off, v[1:4], off offset:240
	v_cmpx_lt_u32_e32 13, v0
	s_cbranch_execz .LBB22_125
; %bb.124:
	scratch_load_b128 v[1:4], off, s10
	v_mov_b32_e32 v6, 0
	s_delay_alu instid0(VALU_DEP_1)
	v_dual_mov_b32 v7, v6 :: v_dual_mov_b32 v8, v6
	v_mov_b32_e32 v9, v6
	scratch_store_b128 off, v[6:9], off offset:224
	s_wait_loadcnt 0x0
	ds_store_b128 v5, v[1:4]
.LBB22_125:
	s_wait_alu 0xfffe
	s_or_b32 exec_lo, exec_lo, s0
	s_wait_storecnt_dscnt 0x0
	s_barrier_signal -1
	s_barrier_wait -1
	global_inv scope:SCOPE_SE
	s_clause 0x7
	scratch_load_b128 v[6:9], off, off offset:240
	scratch_load_b128 v[59:62], off, off offset:256
	scratch_load_b128 v[63:66], off, off offset:272
	scratch_load_b128 v[67:70], off, off offset:288
	scratch_load_b128 v[71:74], off, off offset:304
	scratch_load_b128 v[75:78], off, off offset:320
	scratch_load_b128 v[79:82], off, off offset:336
	scratch_load_b128 v[83:86], off, off offset:352
	v_mov_b32_e32 v1, 0
	s_mov_b32 s0, exec_lo
	ds_load_b128 v[87:90], v1 offset:592
	s_clause 0x1
	scratch_load_b128 v[91:94], off, off offset:368
	scratch_load_b128 v[95:98], off, off offset:224
	ds_load_b128 v[99:102], v1 offset:608
	s_wait_loadcnt_dscnt 0x901
	v_mul_f64_e32 v[2:3], v[89:90], v[8:9]
	v_mul_f64_e32 v[8:9], v[87:88], v[8:9]
	s_wait_loadcnt_dscnt 0x800
	v_mul_f64_e32 v[10:11], v[99:100], v[61:62]
	v_mul_f64_e32 v[61:62], v[101:102], v[61:62]
	s_delay_alu instid0(VALU_DEP_4) | instskip(NEXT) | instid1(VALU_DEP_4)
	v_fma_f64 v[2:3], v[87:88], v[6:7], -v[2:3]
	v_fma_f64 v[103:104], v[89:90], v[6:7], v[8:9]
	ds_load_b128 v[6:9], v1 offset:624
	ds_load_b128 v[87:90], v1 offset:640
	v_fma_f64 v[10:11], v[101:102], v[59:60], v[10:11]
	v_fma_f64 v[59:60], v[99:100], v[59:60], -v[61:62]
	s_wait_loadcnt_dscnt 0x701
	v_mul_f64_e32 v[105:106], v[6:7], v[65:66]
	v_mul_f64_e32 v[65:66], v[8:9], v[65:66]
	s_wait_loadcnt_dscnt 0x600
	v_mul_f64_e32 v[99:100], v[87:88], v[69:70]
	v_mul_f64_e32 v[69:70], v[89:90], v[69:70]
	v_add_f64_e32 v[2:3], 0, v[2:3]
	v_add_f64_e32 v[61:62], 0, v[103:104]
	v_fma_f64 v[101:102], v[8:9], v[63:64], v[105:106]
	v_fma_f64 v[63:64], v[6:7], v[63:64], -v[65:66]
	v_fma_f64 v[89:90], v[89:90], v[67:68], v[99:100]
	v_fma_f64 v[67:68], v[87:88], v[67:68], -v[69:70]
	v_add_f64_e32 v[2:3], v[2:3], v[59:60]
	v_add_f64_e32 v[10:11], v[61:62], v[10:11]
	ds_load_b128 v[6:9], v1 offset:656
	ds_load_b128 v[59:62], v1 offset:672
	s_wait_loadcnt_dscnt 0x501
	v_mul_f64_e32 v[65:66], v[6:7], v[73:74]
	v_mul_f64_e32 v[73:74], v[8:9], v[73:74]
	s_wait_loadcnt_dscnt 0x400
	v_mul_f64_e32 v[69:70], v[59:60], v[77:78]
	v_mul_f64_e32 v[77:78], v[61:62], v[77:78]
	v_add_f64_e32 v[2:3], v[2:3], v[63:64]
	v_add_f64_e32 v[10:11], v[10:11], v[101:102]
	v_fma_f64 v[87:88], v[8:9], v[71:72], v[65:66]
	v_fma_f64 v[71:72], v[6:7], v[71:72], -v[73:74]
	ds_load_b128 v[6:9], v1 offset:688
	ds_load_b128 v[63:66], v1 offset:704
	v_fma_f64 v[61:62], v[61:62], v[75:76], v[69:70]
	v_fma_f64 v[59:60], v[59:60], v[75:76], -v[77:78]
	v_add_f64_e32 v[2:3], v[2:3], v[67:68]
	v_add_f64_e32 v[10:11], v[10:11], v[89:90]
	s_wait_loadcnt_dscnt 0x301
	v_mul_f64_e32 v[67:68], v[6:7], v[81:82]
	v_mul_f64_e32 v[73:74], v[8:9], v[81:82]
	s_wait_loadcnt_dscnt 0x200
	v_mul_f64_e32 v[69:70], v[63:64], v[85:86]
	v_add_f64_e32 v[2:3], v[2:3], v[71:72]
	v_add_f64_e32 v[10:11], v[10:11], v[87:88]
	v_mul_f64_e32 v[71:72], v[65:66], v[85:86]
	v_fma_f64 v[67:68], v[8:9], v[79:80], v[67:68]
	v_fma_f64 v[73:74], v[6:7], v[79:80], -v[73:74]
	ds_load_b128 v[6:9], v1 offset:720
	v_fma_f64 v[65:66], v[65:66], v[83:84], v[69:70]
	v_add_f64_e32 v[2:3], v[2:3], v[59:60]
	v_add_f64_e32 v[10:11], v[10:11], v[61:62]
	s_wait_loadcnt_dscnt 0x100
	v_mul_f64_e32 v[59:60], v[6:7], v[93:94]
	v_mul_f64_e32 v[61:62], v[8:9], v[93:94]
	v_fma_f64 v[63:64], v[63:64], v[83:84], -v[71:72]
	v_add_f64_e32 v[2:3], v[2:3], v[73:74]
	v_add_f64_e32 v[10:11], v[10:11], v[67:68]
	v_fma_f64 v[8:9], v[8:9], v[91:92], v[59:60]
	v_fma_f64 v[6:7], v[6:7], v[91:92], -v[61:62]
	s_delay_alu instid0(VALU_DEP_4) | instskip(NEXT) | instid1(VALU_DEP_4)
	v_add_f64_e32 v[2:3], v[2:3], v[63:64]
	v_add_f64_e32 v[10:11], v[10:11], v[65:66]
	s_delay_alu instid0(VALU_DEP_2) | instskip(NEXT) | instid1(VALU_DEP_2)
	v_add_f64_e32 v[2:3], v[2:3], v[6:7]
	v_add_f64_e32 v[8:9], v[10:11], v[8:9]
	s_wait_loadcnt 0x0
	s_delay_alu instid0(VALU_DEP_2) | instskip(NEXT) | instid1(VALU_DEP_2)
	v_add_f64_e64 v[6:7], v[95:96], -v[2:3]
	v_add_f64_e64 v[8:9], v[97:98], -v[8:9]
	scratch_store_b128 off, v[6:9], off offset:224
	v_cmpx_lt_u32_e32 12, v0
	s_cbranch_execz .LBB22_127
; %bb.126:
	scratch_load_b128 v[6:9], off, s19
	v_dual_mov_b32 v2, v1 :: v_dual_mov_b32 v3, v1
	v_mov_b32_e32 v4, v1
	scratch_store_b128 off, v[1:4], off offset:208
	s_wait_loadcnt 0x0
	ds_store_b128 v5, v[6:9]
.LBB22_127:
	s_wait_alu 0xfffe
	s_or_b32 exec_lo, exec_lo, s0
	s_wait_storecnt_dscnt 0x0
	s_barrier_signal -1
	s_barrier_wait -1
	global_inv scope:SCOPE_SE
	s_clause 0x8
	scratch_load_b128 v[6:9], off, off offset:224
	scratch_load_b128 v[59:62], off, off offset:240
	;; [unrolled: 1-line block ×9, first 2 shown]
	ds_load_b128 v[91:94], v1 offset:576
	ds_load_b128 v[95:98], v1 offset:592
	scratch_load_b128 v[99:102], off, off offset:208
	s_mov_b32 s0, exec_lo
	s_wait_loadcnt_dscnt 0x901
	v_mul_f64_e32 v[2:3], v[93:94], v[8:9]
	v_mul_f64_e32 v[103:104], v[91:92], v[8:9]
	scratch_load_b128 v[8:11], off, off offset:368
	s_wait_loadcnt_dscnt 0x900
	v_mul_f64_e32 v[107:108], v[95:96], v[61:62]
	v_mul_f64_e32 v[61:62], v[97:98], v[61:62]
	v_fma_f64 v[2:3], v[91:92], v[6:7], -v[2:3]
	v_fma_f64 v[6:7], v[93:94], v[6:7], v[103:104]
	ds_load_b128 v[91:94], v1 offset:608
	ds_load_b128 v[103:106], v1 offset:624
	v_fma_f64 v[97:98], v[97:98], v[59:60], v[107:108]
	v_fma_f64 v[59:60], v[95:96], v[59:60], -v[61:62]
	s_wait_loadcnt_dscnt 0x801
	v_mul_f64_e32 v[109:110], v[91:92], v[65:66]
	v_mul_f64_e32 v[65:66], v[93:94], v[65:66]
	s_wait_loadcnt_dscnt 0x700
	v_mul_f64_e32 v[95:96], v[103:104], v[69:70]
	v_mul_f64_e32 v[69:70], v[105:106], v[69:70]
	v_add_f64_e32 v[2:3], 0, v[2:3]
	v_add_f64_e32 v[6:7], 0, v[6:7]
	v_fma_f64 v[93:94], v[93:94], v[63:64], v[109:110]
	v_fma_f64 v[91:92], v[91:92], v[63:64], -v[65:66]
	v_fma_f64 v[95:96], v[105:106], v[67:68], v[95:96]
	v_fma_f64 v[67:68], v[103:104], v[67:68], -v[69:70]
	v_add_f64_e32 v[2:3], v[2:3], v[59:60]
	v_add_f64_e32 v[6:7], v[6:7], v[97:98]
	ds_load_b128 v[59:62], v1 offset:640
	ds_load_b128 v[63:66], v1 offset:656
	s_wait_loadcnt_dscnt 0x601
	v_mul_f64_e32 v[97:98], v[59:60], v[73:74]
	v_mul_f64_e32 v[73:74], v[61:62], v[73:74]
	v_add_f64_e32 v[2:3], v[2:3], v[91:92]
	v_add_f64_e32 v[6:7], v[6:7], v[93:94]
	s_wait_loadcnt_dscnt 0x500
	v_mul_f64_e32 v[91:92], v[63:64], v[77:78]
	v_mul_f64_e32 v[77:78], v[65:66], v[77:78]
	v_fma_f64 v[93:94], v[61:62], v[71:72], v[97:98]
	v_fma_f64 v[71:72], v[59:60], v[71:72], -v[73:74]
	v_add_f64_e32 v[2:3], v[2:3], v[67:68]
	v_add_f64_e32 v[6:7], v[6:7], v[95:96]
	ds_load_b128 v[59:62], v1 offset:672
	ds_load_b128 v[67:70], v1 offset:688
	v_fma_f64 v[65:66], v[65:66], v[75:76], v[91:92]
	v_fma_f64 v[63:64], v[63:64], v[75:76], -v[77:78]
	s_wait_loadcnt_dscnt 0x401
	v_mul_f64_e32 v[73:74], v[59:60], v[81:82]
	v_mul_f64_e32 v[81:82], v[61:62], v[81:82]
	s_wait_loadcnt_dscnt 0x300
	v_mul_f64_e32 v[75:76], v[69:70], v[85:86]
	v_add_f64_e32 v[2:3], v[2:3], v[71:72]
	v_add_f64_e32 v[6:7], v[6:7], v[93:94]
	v_mul_f64_e32 v[71:72], v[67:68], v[85:86]
	v_fma_f64 v[73:74], v[61:62], v[79:80], v[73:74]
	v_fma_f64 v[77:78], v[59:60], v[79:80], -v[81:82]
	v_fma_f64 v[67:68], v[67:68], v[83:84], -v[75:76]
	v_add_f64_e32 v[63:64], v[2:3], v[63:64]
	v_add_f64_e32 v[6:7], v[6:7], v[65:66]
	ds_load_b128 v[59:62], v1 offset:704
	ds_load_b128 v[1:4], v1 offset:720
	v_fma_f64 v[69:70], v[69:70], v[83:84], v[71:72]
	s_wait_loadcnt_dscnt 0x201
	v_mul_f64_e32 v[65:66], v[59:60], v[89:90]
	v_mul_f64_e32 v[79:80], v[61:62], v[89:90]
	v_add_f64_e32 v[63:64], v[63:64], v[77:78]
	v_add_f64_e32 v[6:7], v[6:7], v[73:74]
	s_wait_loadcnt_dscnt 0x0
	v_mul_f64_e32 v[71:72], v[1:2], v[10:11]
	v_mul_f64_e32 v[10:11], v[3:4], v[10:11]
	v_fma_f64 v[61:62], v[61:62], v[87:88], v[65:66]
	v_fma_f64 v[59:60], v[59:60], v[87:88], -v[79:80]
	v_add_f64_e32 v[63:64], v[63:64], v[67:68]
	v_add_f64_e32 v[6:7], v[6:7], v[69:70]
	v_fma_f64 v[3:4], v[3:4], v[8:9], v[71:72]
	v_fma_f64 v[1:2], v[1:2], v[8:9], -v[10:11]
	s_delay_alu instid0(VALU_DEP_4) | instskip(NEXT) | instid1(VALU_DEP_4)
	v_add_f64_e32 v[8:9], v[63:64], v[59:60]
	v_add_f64_e32 v[6:7], v[6:7], v[61:62]
	s_delay_alu instid0(VALU_DEP_2) | instskip(NEXT) | instid1(VALU_DEP_2)
	v_add_f64_e32 v[1:2], v[8:9], v[1:2]
	v_add_f64_e32 v[3:4], v[6:7], v[3:4]
	s_delay_alu instid0(VALU_DEP_2) | instskip(NEXT) | instid1(VALU_DEP_2)
	v_add_f64_e64 v[1:2], v[99:100], -v[1:2]
	v_add_f64_e64 v[3:4], v[101:102], -v[3:4]
	scratch_store_b128 off, v[1:4], off offset:208
	v_cmpx_lt_u32_e32 11, v0
	s_cbranch_execz .LBB22_129
; %bb.128:
	scratch_load_b128 v[1:4], off, s9
	v_mov_b32_e32 v6, 0
	s_delay_alu instid0(VALU_DEP_1)
	v_dual_mov_b32 v7, v6 :: v_dual_mov_b32 v8, v6
	v_mov_b32_e32 v9, v6
	scratch_store_b128 off, v[6:9], off offset:192
	s_wait_loadcnt 0x0
	ds_store_b128 v5, v[1:4]
.LBB22_129:
	s_wait_alu 0xfffe
	s_or_b32 exec_lo, exec_lo, s0
	s_wait_storecnt_dscnt 0x0
	s_barrier_signal -1
	s_barrier_wait -1
	global_inv scope:SCOPE_SE
	s_clause 0x7
	scratch_load_b128 v[6:9], off, off offset:208
	scratch_load_b128 v[59:62], off, off offset:224
	;; [unrolled: 1-line block ×8, first 2 shown]
	v_mov_b32_e32 v1, 0
	s_mov_b32 s0, exec_lo
	ds_load_b128 v[87:90], v1 offset:560
	s_clause 0x1
	scratch_load_b128 v[91:94], off, off offset:336
	scratch_load_b128 v[95:98], off, off offset:192
	ds_load_b128 v[99:102], v1 offset:576
	ds_load_b128 v[107:110], v1 offset:608
	s_wait_loadcnt_dscnt 0x902
	v_mul_f64_e32 v[2:3], v[89:90], v[8:9]
	v_mul_f64_e32 v[103:104], v[87:88], v[8:9]
	scratch_load_b128 v[8:11], off, off offset:352
	v_fma_f64 v[2:3], v[87:88], v[6:7], -v[2:3]
	v_fma_f64 v[6:7], v[89:90], v[6:7], v[103:104]
	ds_load_b128 v[87:90], v1 offset:592
	s_wait_loadcnt_dscnt 0x902
	v_mul_f64_e32 v[111:112], v[99:100], v[61:62]
	v_mul_f64_e32 v[61:62], v[101:102], v[61:62]
	scratch_load_b128 v[103:106], off, off offset:368
	s_wait_loadcnt_dscnt 0x900
	v_mul_f64_e32 v[113:114], v[87:88], v[65:66]
	v_mul_f64_e32 v[65:66], v[89:90], v[65:66]
	v_add_f64_e32 v[2:3], 0, v[2:3]
	v_add_f64_e32 v[6:7], 0, v[6:7]
	v_fma_f64 v[101:102], v[101:102], v[59:60], v[111:112]
	v_fma_f64 v[59:60], v[99:100], v[59:60], -v[61:62]
	s_wait_loadcnt 0x8
	v_mul_f64_e32 v[99:100], v[107:108], v[69:70]
	v_mul_f64_e32 v[69:70], v[109:110], v[69:70]
	v_fma_f64 v[89:90], v[89:90], v[63:64], v[113:114]
	v_fma_f64 v[87:88], v[87:88], v[63:64], -v[65:66]
	v_add_f64_e32 v[6:7], v[6:7], v[101:102]
	v_add_f64_e32 v[2:3], v[2:3], v[59:60]
	ds_load_b128 v[59:62], v1 offset:624
	ds_load_b128 v[63:66], v1 offset:640
	v_fma_f64 v[99:100], v[109:110], v[67:68], v[99:100]
	v_fma_f64 v[67:68], v[107:108], v[67:68], -v[69:70]
	s_wait_loadcnt_dscnt 0x701
	v_mul_f64_e32 v[101:102], v[59:60], v[73:74]
	v_mul_f64_e32 v[73:74], v[61:62], v[73:74]
	v_add_f64_e32 v[6:7], v[6:7], v[89:90]
	v_add_f64_e32 v[2:3], v[2:3], v[87:88]
	s_wait_loadcnt_dscnt 0x600
	v_mul_f64_e32 v[87:88], v[63:64], v[77:78]
	v_mul_f64_e32 v[77:78], v[65:66], v[77:78]
	v_fma_f64 v[89:90], v[61:62], v[71:72], v[101:102]
	v_fma_f64 v[71:72], v[59:60], v[71:72], -v[73:74]
	v_add_f64_e32 v[6:7], v[6:7], v[99:100]
	v_add_f64_e32 v[2:3], v[2:3], v[67:68]
	ds_load_b128 v[59:62], v1 offset:656
	ds_load_b128 v[67:70], v1 offset:672
	v_fma_f64 v[65:66], v[65:66], v[75:76], v[87:88]
	v_fma_f64 v[63:64], v[63:64], v[75:76], -v[77:78]
	s_wait_loadcnt_dscnt 0x501
	v_mul_f64_e32 v[73:74], v[59:60], v[81:82]
	v_mul_f64_e32 v[81:82], v[61:62], v[81:82]
	s_wait_loadcnt_dscnt 0x400
	v_mul_f64_e32 v[75:76], v[69:70], v[85:86]
	v_add_f64_e32 v[6:7], v[6:7], v[89:90]
	v_add_f64_e32 v[2:3], v[2:3], v[71:72]
	v_mul_f64_e32 v[71:72], v[67:68], v[85:86]
	v_fma_f64 v[73:74], v[61:62], v[79:80], v[73:74]
	v_fma_f64 v[77:78], v[59:60], v[79:80], -v[81:82]
	v_fma_f64 v[67:68], v[67:68], v[83:84], -v[75:76]
	v_add_f64_e32 v[6:7], v[6:7], v[65:66]
	v_add_f64_e32 v[2:3], v[2:3], v[63:64]
	ds_load_b128 v[59:62], v1 offset:688
	ds_load_b128 v[63:66], v1 offset:704
	v_fma_f64 v[69:70], v[69:70], v[83:84], v[71:72]
	s_wait_loadcnt_dscnt 0x301
	v_mul_f64_e32 v[79:80], v[59:60], v[93:94]
	v_mul_f64_e32 v[81:82], v[61:62], v[93:94]
	v_add_f64_e32 v[6:7], v[6:7], v[73:74]
	v_add_f64_e32 v[2:3], v[2:3], v[77:78]
	s_wait_loadcnt_dscnt 0x100
	v_mul_f64_e32 v[71:72], v[63:64], v[10:11]
	v_mul_f64_e32 v[10:11], v[65:66], v[10:11]
	v_fma_f64 v[73:74], v[61:62], v[91:92], v[79:80]
	v_fma_f64 v[75:76], v[59:60], v[91:92], -v[81:82]
	ds_load_b128 v[59:62], v1 offset:720
	v_add_f64_e32 v[6:7], v[6:7], v[69:70]
	v_add_f64_e32 v[2:3], v[2:3], v[67:68]
	v_fma_f64 v[65:66], v[65:66], v[8:9], v[71:72]
	v_fma_f64 v[8:9], v[63:64], v[8:9], -v[10:11]
	s_wait_loadcnt_dscnt 0x0
	v_mul_f64_e32 v[67:68], v[59:60], v[105:106]
	v_mul_f64_e32 v[69:70], v[61:62], v[105:106]
	v_add_f64_e32 v[6:7], v[6:7], v[73:74]
	v_add_f64_e32 v[2:3], v[2:3], v[75:76]
	s_delay_alu instid0(VALU_DEP_4) | instskip(NEXT) | instid1(VALU_DEP_4)
	v_fma_f64 v[10:11], v[61:62], v[103:104], v[67:68]
	v_fma_f64 v[59:60], v[59:60], v[103:104], -v[69:70]
	s_delay_alu instid0(VALU_DEP_4) | instskip(NEXT) | instid1(VALU_DEP_4)
	v_add_f64_e32 v[6:7], v[6:7], v[65:66]
	v_add_f64_e32 v[2:3], v[2:3], v[8:9]
	s_delay_alu instid0(VALU_DEP_2) | instskip(NEXT) | instid1(VALU_DEP_2)
	v_add_f64_e32 v[8:9], v[6:7], v[10:11]
	v_add_f64_e32 v[2:3], v[2:3], v[59:60]
	s_delay_alu instid0(VALU_DEP_2) | instskip(NEXT) | instid1(VALU_DEP_2)
	v_add_f64_e64 v[8:9], v[97:98], -v[8:9]
	v_add_f64_e64 v[6:7], v[95:96], -v[2:3]
	scratch_store_b128 off, v[6:9], off offset:192
	v_cmpx_lt_u32_e32 10, v0
	s_cbranch_execz .LBB22_131
; %bb.130:
	scratch_load_b128 v[6:9], off, s15
	v_dual_mov_b32 v2, v1 :: v_dual_mov_b32 v3, v1
	v_mov_b32_e32 v4, v1
	scratch_store_b128 off, v[1:4], off offset:176
	s_wait_loadcnt 0x0
	ds_store_b128 v5, v[6:9]
.LBB22_131:
	s_wait_alu 0xfffe
	s_or_b32 exec_lo, exec_lo, s0
	s_wait_storecnt_dscnt 0x0
	s_barrier_signal -1
	s_barrier_wait -1
	global_inv scope:SCOPE_SE
	s_clause 0x8
	scratch_load_b128 v[6:9], off, off offset:192
	scratch_load_b128 v[59:62], off, off offset:208
	;; [unrolled: 1-line block ×9, first 2 shown]
	ds_load_b128 v[91:94], v1 offset:544
	ds_load_b128 v[95:98], v1 offset:560
	scratch_load_b128 v[99:102], off, off offset:176
	s_mov_b32 s0, exec_lo
	ds_load_b128 v[107:110], v1 offset:592
	s_wait_loadcnt_dscnt 0x902
	v_mul_f64_e32 v[2:3], v[93:94], v[8:9]
	v_mul_f64_e32 v[103:104], v[91:92], v[8:9]
	scratch_load_b128 v[8:11], off, off offset:336
	s_wait_loadcnt_dscnt 0x901
	v_mul_f64_e32 v[111:112], v[95:96], v[61:62]
	v_mul_f64_e32 v[61:62], v[97:98], v[61:62]
	v_fma_f64 v[2:3], v[91:92], v[6:7], -v[2:3]
	v_fma_f64 v[6:7], v[93:94], v[6:7], v[103:104]
	ds_load_b128 v[91:94], v1 offset:576
	scratch_load_b128 v[103:106], off, off offset:352
	v_fma_f64 v[97:98], v[97:98], v[59:60], v[111:112]
	v_fma_f64 v[95:96], v[95:96], v[59:60], -v[61:62]
	scratch_load_b128 v[59:62], off, off offset:368
	s_wait_loadcnt_dscnt 0x901
	v_mul_f64_e32 v[111:112], v[107:108], v[69:70]
	v_mul_f64_e32 v[69:70], v[109:110], v[69:70]
	s_wait_dscnt 0x0
	v_mul_f64_e32 v[113:114], v[91:92], v[65:66]
	v_mul_f64_e32 v[65:66], v[93:94], v[65:66]
	v_add_f64_e32 v[2:3], 0, v[2:3]
	v_add_f64_e32 v[6:7], 0, v[6:7]
	s_delay_alu instid0(VALU_DEP_4) | instskip(NEXT) | instid1(VALU_DEP_4)
	v_fma_f64 v[113:114], v[93:94], v[63:64], v[113:114]
	v_fma_f64 v[115:116], v[91:92], v[63:64], -v[65:66]
	ds_load_b128 v[63:66], v1 offset:608
	ds_load_b128 v[91:94], v1 offset:624
	v_add_f64_e32 v[2:3], v[2:3], v[95:96]
	v_add_f64_e32 v[6:7], v[6:7], v[97:98]
	v_fma_f64 v[97:98], v[109:110], v[67:68], v[111:112]
	v_fma_f64 v[67:68], v[107:108], v[67:68], -v[69:70]
	s_wait_loadcnt_dscnt 0x801
	v_mul_f64_e32 v[95:96], v[63:64], v[73:74]
	v_mul_f64_e32 v[73:74], v[65:66], v[73:74]
	s_wait_loadcnt_dscnt 0x700
	v_mul_f64_e32 v[107:108], v[91:92], v[77:78]
	v_mul_f64_e32 v[77:78], v[93:94], v[77:78]
	v_add_f64_e32 v[2:3], v[2:3], v[115:116]
	v_add_f64_e32 v[6:7], v[6:7], v[113:114]
	v_fma_f64 v[95:96], v[65:66], v[71:72], v[95:96]
	v_fma_f64 v[71:72], v[63:64], v[71:72], -v[73:74]
	v_fma_f64 v[93:94], v[93:94], v[75:76], v[107:108]
	v_fma_f64 v[75:76], v[91:92], v[75:76], -v[77:78]
	v_add_f64_e32 v[2:3], v[2:3], v[67:68]
	v_add_f64_e32 v[6:7], v[6:7], v[97:98]
	ds_load_b128 v[63:66], v1 offset:640
	ds_load_b128 v[67:70], v1 offset:656
	s_wait_loadcnt_dscnt 0x601
	v_mul_f64_e32 v[73:74], v[63:64], v[81:82]
	v_mul_f64_e32 v[81:82], v[65:66], v[81:82]
	s_wait_loadcnt_dscnt 0x500
	v_mul_f64_e32 v[77:78], v[67:68], v[85:86]
	v_mul_f64_e32 v[85:86], v[69:70], v[85:86]
	v_add_f64_e32 v[2:3], v[2:3], v[71:72]
	v_add_f64_e32 v[6:7], v[6:7], v[95:96]
	v_fma_f64 v[91:92], v[65:66], v[79:80], v[73:74]
	v_fma_f64 v[79:80], v[63:64], v[79:80], -v[81:82]
	ds_load_b128 v[63:66], v1 offset:672
	ds_load_b128 v[71:74], v1 offset:688
	v_fma_f64 v[69:70], v[69:70], v[83:84], v[77:78]
	v_fma_f64 v[67:68], v[67:68], v[83:84], -v[85:86]
	v_add_f64_e32 v[2:3], v[2:3], v[75:76]
	v_add_f64_e32 v[6:7], v[6:7], v[93:94]
	s_wait_loadcnt_dscnt 0x401
	v_mul_f64_e32 v[75:76], v[63:64], v[89:90]
	v_mul_f64_e32 v[81:82], v[65:66], v[89:90]
	s_delay_alu instid0(VALU_DEP_4) | instskip(NEXT) | instid1(VALU_DEP_4)
	v_add_f64_e32 v[2:3], v[2:3], v[79:80]
	v_add_f64_e32 v[6:7], v[6:7], v[91:92]
	s_delay_alu instid0(VALU_DEP_4) | instskip(NEXT) | instid1(VALU_DEP_4)
	v_fma_f64 v[75:76], v[65:66], v[87:88], v[75:76]
	v_fma_f64 v[79:80], v[63:64], v[87:88], -v[81:82]
	s_wait_loadcnt_dscnt 0x200
	v_mul_f64_e32 v[77:78], v[71:72], v[10:11]
	v_mul_f64_e32 v[10:11], v[73:74], v[10:11]
	v_add_f64_e32 v[67:68], v[2:3], v[67:68]
	v_add_f64_e32 v[6:7], v[6:7], v[69:70]
	ds_load_b128 v[63:66], v1 offset:704
	ds_load_b128 v[1:4], v1 offset:720
	v_fma_f64 v[73:74], v[73:74], v[8:9], v[77:78]
	v_fma_f64 v[8:9], v[71:72], v[8:9], -v[10:11]
	s_wait_loadcnt_dscnt 0x101
	v_mul_f64_e32 v[69:70], v[63:64], v[105:106]
	v_mul_f64_e32 v[81:82], v[65:66], v[105:106]
	v_add_f64_e32 v[10:11], v[67:68], v[79:80]
	v_add_f64_e32 v[6:7], v[6:7], v[75:76]
	s_wait_loadcnt_dscnt 0x0
	v_mul_f64_e32 v[67:68], v[1:2], v[61:62]
	v_mul_f64_e32 v[61:62], v[3:4], v[61:62]
	v_fma_f64 v[65:66], v[65:66], v[103:104], v[69:70]
	v_fma_f64 v[63:64], v[63:64], v[103:104], -v[81:82]
	v_add_f64_e32 v[8:9], v[10:11], v[8:9]
	v_add_f64_e32 v[6:7], v[6:7], v[73:74]
	v_fma_f64 v[3:4], v[3:4], v[59:60], v[67:68]
	v_fma_f64 v[1:2], v[1:2], v[59:60], -v[61:62]
	s_delay_alu instid0(VALU_DEP_4) | instskip(NEXT) | instid1(VALU_DEP_4)
	v_add_f64_e32 v[8:9], v[8:9], v[63:64]
	v_add_f64_e32 v[6:7], v[6:7], v[65:66]
	s_delay_alu instid0(VALU_DEP_2) | instskip(NEXT) | instid1(VALU_DEP_2)
	v_add_f64_e32 v[1:2], v[8:9], v[1:2]
	v_add_f64_e32 v[3:4], v[6:7], v[3:4]
	s_delay_alu instid0(VALU_DEP_2) | instskip(NEXT) | instid1(VALU_DEP_2)
	v_add_f64_e64 v[1:2], v[99:100], -v[1:2]
	v_add_f64_e64 v[3:4], v[101:102], -v[3:4]
	scratch_store_b128 off, v[1:4], off offset:176
	v_cmpx_lt_u32_e32 9, v0
	s_cbranch_execz .LBB22_133
; %bb.132:
	scratch_load_b128 v[1:4], off, s8
	v_mov_b32_e32 v6, 0
	s_delay_alu instid0(VALU_DEP_1)
	v_dual_mov_b32 v7, v6 :: v_dual_mov_b32 v8, v6
	v_mov_b32_e32 v9, v6
	scratch_store_b128 off, v[6:9], off offset:160
	s_wait_loadcnt 0x0
	ds_store_b128 v5, v[1:4]
.LBB22_133:
	s_wait_alu 0xfffe
	s_or_b32 exec_lo, exec_lo, s0
	s_wait_storecnt_dscnt 0x0
	s_barrier_signal -1
	s_barrier_wait -1
	global_inv scope:SCOPE_SE
	s_clause 0x7
	scratch_load_b128 v[6:9], off, off offset:176
	scratch_load_b128 v[59:62], off, off offset:192
	;; [unrolled: 1-line block ×8, first 2 shown]
	v_mov_b32_e32 v1, 0
	s_mov_b32 s0, exec_lo
	ds_load_b128 v[87:90], v1 offset:528
	s_clause 0x1
	scratch_load_b128 v[91:94], off, off offset:304
	scratch_load_b128 v[95:98], off, off offset:160
	ds_load_b128 v[99:102], v1 offset:544
	ds_load_b128 v[107:110], v1 offset:576
	s_wait_loadcnt_dscnt 0x902
	v_mul_f64_e32 v[2:3], v[89:90], v[8:9]
	v_mul_f64_e32 v[103:104], v[87:88], v[8:9]
	scratch_load_b128 v[8:11], off, off offset:320
	v_fma_f64 v[2:3], v[87:88], v[6:7], -v[2:3]
	v_fma_f64 v[6:7], v[89:90], v[6:7], v[103:104]
	ds_load_b128 v[87:90], v1 offset:560
	s_wait_loadcnt_dscnt 0x902
	v_mul_f64_e32 v[111:112], v[99:100], v[61:62]
	v_mul_f64_e32 v[61:62], v[101:102], v[61:62]
	scratch_load_b128 v[103:106], off, off offset:336
	s_wait_loadcnt_dscnt 0x900
	v_mul_f64_e32 v[113:114], v[87:88], v[65:66]
	v_mul_f64_e32 v[65:66], v[89:90], v[65:66]
	v_add_f64_e32 v[2:3], 0, v[2:3]
	v_add_f64_e32 v[6:7], 0, v[6:7]
	v_fma_f64 v[101:102], v[101:102], v[59:60], v[111:112]
	v_fma_f64 v[99:100], v[99:100], v[59:60], -v[61:62]
	scratch_load_b128 v[59:62], off, off offset:352
	v_fma_f64 v[113:114], v[89:90], v[63:64], v[113:114]
	v_fma_f64 v[115:116], v[87:88], v[63:64], -v[65:66]
	ds_load_b128 v[63:66], v1 offset:592
	s_wait_loadcnt 0x9
	v_mul_f64_e32 v[111:112], v[107:108], v[69:70]
	v_mul_f64_e32 v[69:70], v[109:110], v[69:70]
	scratch_load_b128 v[87:90], off, off offset:368
	v_add_f64_e32 v[6:7], v[6:7], v[101:102]
	v_add_f64_e32 v[2:3], v[2:3], v[99:100]
	ds_load_b128 v[99:102], v1 offset:608
	s_wait_loadcnt_dscnt 0x901
	v_mul_f64_e32 v[117:118], v[63:64], v[73:74]
	v_mul_f64_e32 v[73:74], v[65:66], v[73:74]
	v_fma_f64 v[109:110], v[109:110], v[67:68], v[111:112]
	v_fma_f64 v[67:68], v[107:108], v[67:68], -v[69:70]
	s_wait_loadcnt_dscnt 0x800
	v_mul_f64_e32 v[107:108], v[99:100], v[77:78]
	v_mul_f64_e32 v[77:78], v[101:102], v[77:78]
	v_add_f64_e32 v[6:7], v[6:7], v[113:114]
	v_add_f64_e32 v[2:3], v[2:3], v[115:116]
	v_fma_f64 v[111:112], v[65:66], v[71:72], v[117:118]
	v_fma_f64 v[71:72], v[63:64], v[71:72], -v[73:74]
	v_fma_f64 v[101:102], v[101:102], v[75:76], v[107:108]
	v_fma_f64 v[75:76], v[99:100], v[75:76], -v[77:78]
	v_add_f64_e32 v[6:7], v[6:7], v[109:110]
	v_add_f64_e32 v[2:3], v[2:3], v[67:68]
	ds_load_b128 v[63:66], v1 offset:624
	ds_load_b128 v[67:70], v1 offset:640
	s_wait_loadcnt_dscnt 0x701
	v_mul_f64_e32 v[73:74], v[63:64], v[81:82]
	v_mul_f64_e32 v[81:82], v[65:66], v[81:82]
	s_wait_loadcnt_dscnt 0x600
	v_mul_f64_e32 v[77:78], v[67:68], v[85:86]
	v_mul_f64_e32 v[85:86], v[69:70], v[85:86]
	v_add_f64_e32 v[6:7], v[6:7], v[111:112]
	v_add_f64_e32 v[2:3], v[2:3], v[71:72]
	v_fma_f64 v[99:100], v[65:66], v[79:80], v[73:74]
	v_fma_f64 v[79:80], v[63:64], v[79:80], -v[81:82]
	ds_load_b128 v[63:66], v1 offset:656
	ds_load_b128 v[71:74], v1 offset:672
	v_fma_f64 v[69:70], v[69:70], v[83:84], v[77:78]
	v_fma_f64 v[67:68], v[67:68], v[83:84], -v[85:86]
	v_add_f64_e32 v[6:7], v[6:7], v[101:102]
	v_add_f64_e32 v[2:3], v[2:3], v[75:76]
	s_wait_loadcnt_dscnt 0x501
	v_mul_f64_e32 v[75:76], v[63:64], v[93:94]
	v_mul_f64_e32 v[81:82], v[65:66], v[93:94]
	s_delay_alu instid0(VALU_DEP_4) | instskip(NEXT) | instid1(VALU_DEP_4)
	v_add_f64_e32 v[6:7], v[6:7], v[99:100]
	v_add_f64_e32 v[2:3], v[2:3], v[79:80]
	s_delay_alu instid0(VALU_DEP_4) | instskip(NEXT) | instid1(VALU_DEP_4)
	v_fma_f64 v[75:76], v[65:66], v[91:92], v[75:76]
	v_fma_f64 v[79:80], v[63:64], v[91:92], -v[81:82]
	s_wait_loadcnt_dscnt 0x300
	v_mul_f64_e32 v[77:78], v[71:72], v[10:11]
	v_mul_f64_e32 v[10:11], v[73:74], v[10:11]
	v_add_f64_e32 v[6:7], v[6:7], v[69:70]
	v_add_f64_e32 v[2:3], v[2:3], v[67:68]
	ds_load_b128 v[63:66], v1 offset:688
	ds_load_b128 v[67:70], v1 offset:704
	v_fma_f64 v[73:74], v[73:74], v[8:9], v[77:78]
	v_fma_f64 v[8:9], v[71:72], v[8:9], -v[10:11]
	s_wait_loadcnt_dscnt 0x201
	v_mul_f64_e32 v[81:82], v[63:64], v[105:106]
	v_mul_f64_e32 v[83:84], v[65:66], v[105:106]
	v_add_f64_e32 v[6:7], v[6:7], v[75:76]
	v_add_f64_e32 v[2:3], v[2:3], v[79:80]
	s_wait_loadcnt_dscnt 0x100
	v_mul_f64_e32 v[10:11], v[67:68], v[61:62]
	v_mul_f64_e32 v[61:62], v[69:70], v[61:62]
	v_fma_f64 v[65:66], v[65:66], v[103:104], v[81:82]
	v_fma_f64 v[63:64], v[63:64], v[103:104], -v[83:84]
	v_add_f64_e32 v[71:72], v[6:7], v[73:74]
	v_add_f64_e32 v[2:3], v[2:3], v[8:9]
	ds_load_b128 v[6:9], v1 offset:720
	v_fma_f64 v[10:11], v[69:70], v[59:60], v[10:11]
	v_fma_f64 v[59:60], v[67:68], v[59:60], -v[61:62]
	s_wait_loadcnt_dscnt 0x0
	v_mul_f64_e32 v[73:74], v[6:7], v[89:90]
	v_mul_f64_e32 v[75:76], v[8:9], v[89:90]
	v_add_f64_e32 v[61:62], v[71:72], v[65:66]
	v_add_f64_e32 v[2:3], v[2:3], v[63:64]
	s_delay_alu instid0(VALU_DEP_4) | instskip(NEXT) | instid1(VALU_DEP_4)
	v_fma_f64 v[8:9], v[8:9], v[87:88], v[73:74]
	v_fma_f64 v[6:7], v[6:7], v[87:88], -v[75:76]
	s_delay_alu instid0(VALU_DEP_4) | instskip(NEXT) | instid1(VALU_DEP_4)
	v_add_f64_e32 v[10:11], v[61:62], v[10:11]
	v_add_f64_e32 v[2:3], v[2:3], v[59:60]
	s_delay_alu instid0(VALU_DEP_2) | instskip(NEXT) | instid1(VALU_DEP_2)
	v_add_f64_e32 v[8:9], v[10:11], v[8:9]
	v_add_f64_e32 v[2:3], v[2:3], v[6:7]
	s_delay_alu instid0(VALU_DEP_2) | instskip(NEXT) | instid1(VALU_DEP_2)
	v_add_f64_e64 v[8:9], v[97:98], -v[8:9]
	v_add_f64_e64 v[6:7], v[95:96], -v[2:3]
	scratch_store_b128 off, v[6:9], off offset:160
	v_cmpx_lt_u32_e32 8, v0
	s_cbranch_execz .LBB22_135
; %bb.134:
	scratch_load_b128 v[6:9], off, s14
	v_dual_mov_b32 v2, v1 :: v_dual_mov_b32 v3, v1
	v_mov_b32_e32 v4, v1
	scratch_store_b128 off, v[1:4], off offset:144
	s_wait_loadcnt 0x0
	ds_store_b128 v5, v[6:9]
.LBB22_135:
	s_wait_alu 0xfffe
	s_or_b32 exec_lo, exec_lo, s0
	s_wait_storecnt_dscnt 0x0
	s_barrier_signal -1
	s_barrier_wait -1
	global_inv scope:SCOPE_SE
	s_clause 0x8
	scratch_load_b128 v[6:9], off, off offset:160
	scratch_load_b128 v[59:62], off, off offset:176
	;; [unrolled: 1-line block ×9, first 2 shown]
	ds_load_b128 v[91:94], v1 offset:512
	ds_load_b128 v[95:98], v1 offset:528
	scratch_load_b128 v[99:102], off, off offset:144
	s_mov_b32 s0, exec_lo
	ds_load_b128 v[107:110], v1 offset:560
	s_wait_loadcnt_dscnt 0x902
	v_mul_f64_e32 v[2:3], v[93:94], v[8:9]
	v_mul_f64_e32 v[103:104], v[91:92], v[8:9]
	scratch_load_b128 v[8:11], off, off offset:304
	s_wait_loadcnt_dscnt 0x901
	v_mul_f64_e32 v[111:112], v[95:96], v[61:62]
	v_mul_f64_e32 v[61:62], v[97:98], v[61:62]
	v_fma_f64 v[2:3], v[91:92], v[6:7], -v[2:3]
	v_fma_f64 v[6:7], v[93:94], v[6:7], v[103:104]
	ds_load_b128 v[91:94], v1 offset:544
	scratch_load_b128 v[103:106], off, off offset:320
	v_fma_f64 v[97:98], v[97:98], v[59:60], v[111:112]
	v_fma_f64 v[95:96], v[95:96], v[59:60], -v[61:62]
	scratch_load_b128 v[59:62], off, off offset:336
	s_wait_loadcnt_dscnt 0x901
	v_mul_f64_e32 v[111:112], v[107:108], v[69:70]
	v_mul_f64_e32 v[69:70], v[109:110], v[69:70]
	s_wait_dscnt 0x0
	v_mul_f64_e32 v[113:114], v[91:92], v[65:66]
	v_mul_f64_e32 v[65:66], v[93:94], v[65:66]
	v_add_f64_e32 v[2:3], 0, v[2:3]
	v_add_f64_e32 v[6:7], 0, v[6:7]
	v_fma_f64 v[109:110], v[109:110], v[67:68], v[111:112]
	v_fma_f64 v[107:108], v[107:108], v[67:68], -v[69:70]
	scratch_load_b128 v[67:70], off, off offset:368
	v_fma_f64 v[113:114], v[93:94], v[63:64], v[113:114]
	v_fma_f64 v[115:116], v[91:92], v[63:64], -v[65:66]
	ds_load_b128 v[63:66], v1 offset:576
	scratch_load_b128 v[91:94], off, off offset:352
	v_add_f64_e32 v[2:3], v[2:3], v[95:96]
	v_add_f64_e32 v[6:7], v[6:7], v[97:98]
	ds_load_b128 v[95:98], v1 offset:592
	s_wait_loadcnt_dscnt 0xa01
	v_mul_f64_e32 v[117:118], v[63:64], v[73:74]
	v_mul_f64_e32 v[73:74], v[65:66], v[73:74]
	s_wait_loadcnt_dscnt 0x900
	v_mul_f64_e32 v[111:112], v[95:96], v[77:78]
	v_mul_f64_e32 v[77:78], v[97:98], v[77:78]
	v_add_f64_e32 v[2:3], v[2:3], v[115:116]
	v_add_f64_e32 v[6:7], v[6:7], v[113:114]
	v_fma_f64 v[113:114], v[65:66], v[71:72], v[117:118]
	v_fma_f64 v[115:116], v[63:64], v[71:72], -v[73:74]
	ds_load_b128 v[63:66], v1 offset:608
	ds_load_b128 v[71:74], v1 offset:624
	v_fma_f64 v[97:98], v[97:98], v[75:76], v[111:112]
	v_fma_f64 v[75:76], v[95:96], v[75:76], -v[77:78]
	s_wait_loadcnt_dscnt 0x700
	v_mul_f64_e32 v[95:96], v[71:72], v[85:86]
	v_mul_f64_e32 v[85:86], v[73:74], v[85:86]
	v_add_f64_e32 v[2:3], v[2:3], v[107:108]
	v_add_f64_e32 v[6:7], v[6:7], v[109:110]
	v_mul_f64_e32 v[107:108], v[63:64], v[81:82]
	v_mul_f64_e32 v[81:82], v[65:66], v[81:82]
	v_fma_f64 v[73:74], v[73:74], v[83:84], v[95:96]
	v_fma_f64 v[71:72], v[71:72], v[83:84], -v[85:86]
	v_add_f64_e32 v[2:3], v[2:3], v[115:116]
	v_add_f64_e32 v[6:7], v[6:7], v[113:114]
	v_fma_f64 v[107:108], v[65:66], v[79:80], v[107:108]
	v_fma_f64 v[79:80], v[63:64], v[79:80], -v[81:82]
	s_delay_alu instid0(VALU_DEP_4) | instskip(NEXT) | instid1(VALU_DEP_4)
	v_add_f64_e32 v[2:3], v[2:3], v[75:76]
	v_add_f64_e32 v[6:7], v[6:7], v[97:98]
	ds_load_b128 v[63:66], v1 offset:640
	ds_load_b128 v[75:78], v1 offset:656
	s_wait_loadcnt_dscnt 0x601
	v_mul_f64_e32 v[81:82], v[63:64], v[89:90]
	v_mul_f64_e32 v[89:90], v[65:66], v[89:90]
	v_add_f64_e32 v[2:3], v[2:3], v[79:80]
	v_add_f64_e32 v[6:7], v[6:7], v[107:108]
	s_wait_loadcnt_dscnt 0x400
	v_mul_f64_e32 v[79:80], v[75:76], v[10:11]
	v_mul_f64_e32 v[10:11], v[77:78], v[10:11]
	v_fma_f64 v[81:82], v[65:66], v[87:88], v[81:82]
	v_fma_f64 v[83:84], v[63:64], v[87:88], -v[89:90]
	v_add_f64_e32 v[2:3], v[2:3], v[71:72]
	v_add_f64_e32 v[6:7], v[6:7], v[73:74]
	ds_load_b128 v[63:66], v1 offset:672
	ds_load_b128 v[71:74], v1 offset:688
	v_fma_f64 v[77:78], v[77:78], v[8:9], v[79:80]
	v_fma_f64 v[8:9], v[75:76], v[8:9], -v[10:11]
	s_wait_loadcnt_dscnt 0x301
	v_mul_f64_e32 v[85:86], v[63:64], v[105:106]
	v_mul_f64_e32 v[87:88], v[65:66], v[105:106]
	s_wait_loadcnt_dscnt 0x200
	v_mul_f64_e32 v[10:11], v[71:72], v[61:62]
	v_mul_f64_e32 v[61:62], v[73:74], v[61:62]
	v_add_f64_e32 v[2:3], v[2:3], v[83:84]
	v_add_f64_e32 v[6:7], v[6:7], v[81:82]
	v_fma_f64 v[65:66], v[65:66], v[103:104], v[85:86]
	v_fma_f64 v[63:64], v[63:64], v[103:104], -v[87:88]
	v_fma_f64 v[10:11], v[73:74], v[59:60], v[10:11]
	v_fma_f64 v[59:60], v[71:72], v[59:60], -v[61:62]
	v_add_f64_e32 v[75:76], v[2:3], v[8:9]
	v_add_f64_e32 v[77:78], v[6:7], v[77:78]
	ds_load_b128 v[6:9], v1 offset:704
	ds_load_b128 v[1:4], v1 offset:720
	s_wait_loadcnt_dscnt 0x1
	v_mul_f64_e32 v[79:80], v[6:7], v[93:94]
	v_mul_f64_e32 v[81:82], v[8:9], v[93:94]
	v_add_f64_e32 v[61:62], v[75:76], v[63:64]
	v_add_f64_e32 v[63:64], v[77:78], v[65:66]
	s_wait_dscnt 0x0
	v_mul_f64_e32 v[65:66], v[1:2], v[69:70]
	v_mul_f64_e32 v[69:70], v[3:4], v[69:70]
	v_fma_f64 v[8:9], v[8:9], v[91:92], v[79:80]
	v_fma_f64 v[6:7], v[6:7], v[91:92], -v[81:82]
	v_add_f64_e32 v[59:60], v[61:62], v[59:60]
	v_add_f64_e32 v[10:11], v[63:64], v[10:11]
	v_fma_f64 v[3:4], v[3:4], v[67:68], v[65:66]
	v_fma_f64 v[1:2], v[1:2], v[67:68], -v[69:70]
	s_delay_alu instid0(VALU_DEP_4) | instskip(NEXT) | instid1(VALU_DEP_4)
	v_add_f64_e32 v[6:7], v[59:60], v[6:7]
	v_add_f64_e32 v[8:9], v[10:11], v[8:9]
	s_delay_alu instid0(VALU_DEP_2) | instskip(NEXT) | instid1(VALU_DEP_2)
	v_add_f64_e32 v[1:2], v[6:7], v[1:2]
	v_add_f64_e32 v[3:4], v[8:9], v[3:4]
	s_delay_alu instid0(VALU_DEP_2) | instskip(NEXT) | instid1(VALU_DEP_2)
	v_add_f64_e64 v[1:2], v[99:100], -v[1:2]
	v_add_f64_e64 v[3:4], v[101:102], -v[3:4]
	scratch_store_b128 off, v[1:4], off offset:144
	v_cmpx_lt_u32_e32 7, v0
	s_cbranch_execz .LBB22_137
; %bb.136:
	scratch_load_b128 v[1:4], off, s5
	v_mov_b32_e32 v6, 0
	s_delay_alu instid0(VALU_DEP_1)
	v_dual_mov_b32 v7, v6 :: v_dual_mov_b32 v8, v6
	v_mov_b32_e32 v9, v6
	scratch_store_b128 off, v[6:9], off offset:128
	s_wait_loadcnt 0x0
	ds_store_b128 v5, v[1:4]
.LBB22_137:
	s_wait_alu 0xfffe
	s_or_b32 exec_lo, exec_lo, s0
	s_wait_storecnt_dscnt 0x0
	s_barrier_signal -1
	s_barrier_wait -1
	global_inv scope:SCOPE_SE
	s_clause 0x7
	scratch_load_b128 v[6:9], off, off offset:144
	scratch_load_b128 v[59:62], off, off offset:160
	;; [unrolled: 1-line block ×8, first 2 shown]
	v_mov_b32_e32 v1, 0
	s_mov_b32 s0, exec_lo
	ds_load_b128 v[87:90], v1 offset:496
	s_clause 0x1
	scratch_load_b128 v[91:94], off, off offset:272
	scratch_load_b128 v[95:98], off, off offset:128
	ds_load_b128 v[99:102], v1 offset:512
	ds_load_b128 v[107:110], v1 offset:544
	s_wait_loadcnt_dscnt 0x902
	v_mul_f64_e32 v[2:3], v[89:90], v[8:9]
	v_mul_f64_e32 v[103:104], v[87:88], v[8:9]
	scratch_load_b128 v[8:11], off, off offset:288
	v_fma_f64 v[2:3], v[87:88], v[6:7], -v[2:3]
	v_fma_f64 v[6:7], v[89:90], v[6:7], v[103:104]
	ds_load_b128 v[87:90], v1 offset:528
	s_wait_loadcnt_dscnt 0x902
	v_mul_f64_e32 v[111:112], v[99:100], v[61:62]
	v_mul_f64_e32 v[61:62], v[101:102], v[61:62]
	scratch_load_b128 v[103:106], off, off offset:304
	s_wait_loadcnt_dscnt 0x900
	v_mul_f64_e32 v[113:114], v[87:88], v[65:66]
	v_mul_f64_e32 v[65:66], v[89:90], v[65:66]
	v_add_f64_e32 v[2:3], 0, v[2:3]
	v_add_f64_e32 v[6:7], 0, v[6:7]
	v_fma_f64 v[101:102], v[101:102], v[59:60], v[111:112]
	v_fma_f64 v[99:100], v[99:100], v[59:60], -v[61:62]
	scratch_load_b128 v[59:62], off, off offset:320
	v_fma_f64 v[113:114], v[89:90], v[63:64], v[113:114]
	v_fma_f64 v[115:116], v[87:88], v[63:64], -v[65:66]
	ds_load_b128 v[63:66], v1 offset:560
	s_wait_loadcnt 0x9
	v_mul_f64_e32 v[111:112], v[107:108], v[69:70]
	v_mul_f64_e32 v[69:70], v[109:110], v[69:70]
	scratch_load_b128 v[87:90], off, off offset:336
	v_add_f64_e32 v[6:7], v[6:7], v[101:102]
	v_add_f64_e32 v[2:3], v[2:3], v[99:100]
	ds_load_b128 v[99:102], v1 offset:576
	s_wait_loadcnt_dscnt 0x901
	v_mul_f64_e32 v[117:118], v[63:64], v[73:74]
	v_mul_f64_e32 v[73:74], v[65:66], v[73:74]
	v_fma_f64 v[109:110], v[109:110], v[67:68], v[111:112]
	v_fma_f64 v[107:108], v[107:108], v[67:68], -v[69:70]
	scratch_load_b128 v[67:70], off, off offset:352
	v_add_f64_e32 v[6:7], v[6:7], v[113:114]
	v_add_f64_e32 v[2:3], v[2:3], v[115:116]
	v_fma_f64 v[113:114], v[65:66], v[71:72], v[117:118]
	v_fma_f64 v[115:116], v[63:64], v[71:72], -v[73:74]
	ds_load_b128 v[63:66], v1 offset:592
	s_wait_loadcnt_dscnt 0x901
	v_mul_f64_e32 v[111:112], v[99:100], v[77:78]
	v_mul_f64_e32 v[77:78], v[101:102], v[77:78]
	scratch_load_b128 v[71:74], off, off offset:368
	s_wait_loadcnt_dscnt 0x900
	v_mul_f64_e32 v[117:118], v[63:64], v[81:82]
	v_mul_f64_e32 v[81:82], v[65:66], v[81:82]
	v_add_f64_e32 v[6:7], v[6:7], v[109:110]
	v_add_f64_e32 v[2:3], v[2:3], v[107:108]
	ds_load_b128 v[107:110], v1 offset:608
	v_fma_f64 v[101:102], v[101:102], v[75:76], v[111:112]
	v_fma_f64 v[75:76], v[99:100], v[75:76], -v[77:78]
	s_wait_loadcnt_dscnt 0x800
	v_mul_f64_e32 v[99:100], v[107:108], v[85:86]
	v_mul_f64_e32 v[85:86], v[109:110], v[85:86]
	v_fma_f64 v[111:112], v[65:66], v[79:80], v[117:118]
	v_fma_f64 v[79:80], v[63:64], v[79:80], -v[81:82]
	v_add_f64_e32 v[6:7], v[6:7], v[113:114]
	v_add_f64_e32 v[2:3], v[2:3], v[115:116]
	v_fma_f64 v[99:100], v[109:110], v[83:84], v[99:100]
	v_fma_f64 v[83:84], v[107:108], v[83:84], -v[85:86]
	s_delay_alu instid0(VALU_DEP_4) | instskip(NEXT) | instid1(VALU_DEP_4)
	v_add_f64_e32 v[6:7], v[6:7], v[101:102]
	v_add_f64_e32 v[2:3], v[2:3], v[75:76]
	ds_load_b128 v[63:66], v1 offset:624
	ds_load_b128 v[75:78], v1 offset:640
	s_wait_loadcnt_dscnt 0x701
	v_mul_f64_e32 v[81:82], v[63:64], v[93:94]
	v_mul_f64_e32 v[93:94], v[65:66], v[93:94]
	v_add_f64_e32 v[6:7], v[6:7], v[111:112]
	v_add_f64_e32 v[2:3], v[2:3], v[79:80]
	s_wait_loadcnt_dscnt 0x500
	v_mul_f64_e32 v[85:86], v[75:76], v[10:11]
	v_mul_f64_e32 v[10:11], v[77:78], v[10:11]
	v_fma_f64 v[101:102], v[65:66], v[91:92], v[81:82]
	v_fma_f64 v[91:92], v[63:64], v[91:92], -v[93:94]
	ds_load_b128 v[63:66], v1 offset:656
	ds_load_b128 v[79:82], v1 offset:672
	v_add_f64_e32 v[6:7], v[6:7], v[99:100]
	v_add_f64_e32 v[2:3], v[2:3], v[83:84]
	v_fma_f64 v[77:78], v[77:78], v[8:9], v[85:86]
	v_fma_f64 v[8:9], v[75:76], v[8:9], -v[10:11]
	s_wait_loadcnt_dscnt 0x401
	v_mul_f64_e32 v[83:84], v[63:64], v[105:106]
	v_mul_f64_e32 v[93:94], v[65:66], v[105:106]
	v_add_f64_e32 v[6:7], v[6:7], v[101:102]
	v_add_f64_e32 v[2:3], v[2:3], v[91:92]
	s_wait_loadcnt_dscnt 0x300
	v_mul_f64_e32 v[10:11], v[79:80], v[61:62]
	v_mul_f64_e32 v[75:76], v[81:82], v[61:62]
	v_fma_f64 v[65:66], v[65:66], v[103:104], v[83:84]
	v_fma_f64 v[83:84], v[63:64], v[103:104], -v[93:94]
	v_add_f64_e32 v[77:78], v[6:7], v[77:78]
	v_add_f64_e32 v[2:3], v[2:3], v[8:9]
	ds_load_b128 v[6:9], v1 offset:688
	ds_load_b128 v[61:64], v1 offset:704
	v_fma_f64 v[10:11], v[81:82], v[59:60], v[10:11]
	v_fma_f64 v[59:60], v[79:80], v[59:60], -v[75:76]
	s_wait_loadcnt_dscnt 0x201
	v_mul_f64_e32 v[85:86], v[6:7], v[89:90]
	v_mul_f64_e32 v[89:90], v[8:9], v[89:90]
	v_add_f64_e32 v[65:66], v[77:78], v[65:66]
	v_add_f64_e32 v[2:3], v[2:3], v[83:84]
	s_wait_loadcnt_dscnt 0x100
	v_mul_f64_e32 v[75:76], v[61:62], v[69:70]
	v_mul_f64_e32 v[69:70], v[63:64], v[69:70]
	v_fma_f64 v[77:78], v[8:9], v[87:88], v[85:86]
	v_fma_f64 v[79:80], v[6:7], v[87:88], -v[89:90]
	ds_load_b128 v[6:9], v1 offset:720
	v_add_f64_e32 v[10:11], v[65:66], v[10:11]
	v_add_f64_e32 v[2:3], v[2:3], v[59:60]
	v_fma_f64 v[63:64], v[63:64], v[67:68], v[75:76]
	v_fma_f64 v[61:62], v[61:62], v[67:68], -v[69:70]
	s_wait_loadcnt_dscnt 0x0
	v_mul_f64_e32 v[59:60], v[6:7], v[73:74]
	v_mul_f64_e32 v[65:66], v[8:9], v[73:74]
	v_add_f64_e32 v[10:11], v[10:11], v[77:78]
	v_add_f64_e32 v[2:3], v[2:3], v[79:80]
	s_delay_alu instid0(VALU_DEP_4) | instskip(NEXT) | instid1(VALU_DEP_4)
	v_fma_f64 v[8:9], v[8:9], v[71:72], v[59:60]
	v_fma_f64 v[6:7], v[6:7], v[71:72], -v[65:66]
	s_delay_alu instid0(VALU_DEP_4) | instskip(NEXT) | instid1(VALU_DEP_4)
	v_add_f64_e32 v[10:11], v[10:11], v[63:64]
	v_add_f64_e32 v[2:3], v[2:3], v[61:62]
	s_delay_alu instid0(VALU_DEP_2) | instskip(NEXT) | instid1(VALU_DEP_2)
	v_add_f64_e32 v[8:9], v[10:11], v[8:9]
	v_add_f64_e32 v[2:3], v[2:3], v[6:7]
	s_delay_alu instid0(VALU_DEP_2) | instskip(NEXT) | instid1(VALU_DEP_2)
	v_add_f64_e64 v[8:9], v[97:98], -v[8:9]
	v_add_f64_e64 v[6:7], v[95:96], -v[2:3]
	scratch_store_b128 off, v[6:9], off offset:128
	v_cmpx_lt_u32_e32 6, v0
	s_cbranch_execz .LBB22_139
; %bb.138:
	scratch_load_b128 v[6:9], off, s13
	v_dual_mov_b32 v2, v1 :: v_dual_mov_b32 v3, v1
	v_mov_b32_e32 v4, v1
	scratch_store_b128 off, v[1:4], off offset:112
	s_wait_loadcnt 0x0
	ds_store_b128 v5, v[6:9]
.LBB22_139:
	s_wait_alu 0xfffe
	s_or_b32 exec_lo, exec_lo, s0
	s_wait_storecnt_dscnt 0x0
	s_barrier_signal -1
	s_barrier_wait -1
	global_inv scope:SCOPE_SE
	s_clause 0x8
	scratch_load_b128 v[6:9], off, off offset:128
	scratch_load_b128 v[59:62], off, off offset:144
	;; [unrolled: 1-line block ×9, first 2 shown]
	ds_load_b128 v[91:94], v1 offset:480
	ds_load_b128 v[95:98], v1 offset:496
	scratch_load_b128 v[99:102], off, off offset:112
	s_mov_b32 s0, exec_lo
	ds_load_b128 v[107:110], v1 offset:528
	s_wait_loadcnt_dscnt 0x902
	v_mul_f64_e32 v[2:3], v[93:94], v[8:9]
	v_mul_f64_e32 v[103:104], v[91:92], v[8:9]
	scratch_load_b128 v[8:11], off, off offset:272
	s_wait_loadcnt_dscnt 0x901
	v_mul_f64_e32 v[111:112], v[95:96], v[61:62]
	v_mul_f64_e32 v[61:62], v[97:98], v[61:62]
	v_fma_f64 v[2:3], v[91:92], v[6:7], -v[2:3]
	v_fma_f64 v[6:7], v[93:94], v[6:7], v[103:104]
	ds_load_b128 v[91:94], v1 offset:512
	scratch_load_b128 v[103:106], off, off offset:288
	v_fma_f64 v[97:98], v[97:98], v[59:60], v[111:112]
	v_fma_f64 v[95:96], v[95:96], v[59:60], -v[61:62]
	scratch_load_b128 v[59:62], off, off offset:304
	s_wait_loadcnt_dscnt 0x901
	v_mul_f64_e32 v[111:112], v[107:108], v[69:70]
	v_mul_f64_e32 v[69:70], v[109:110], v[69:70]
	s_wait_dscnt 0x0
	v_mul_f64_e32 v[113:114], v[91:92], v[65:66]
	v_mul_f64_e32 v[65:66], v[93:94], v[65:66]
	v_add_f64_e32 v[2:3], 0, v[2:3]
	v_add_f64_e32 v[6:7], 0, v[6:7]
	v_fma_f64 v[109:110], v[109:110], v[67:68], v[111:112]
	v_fma_f64 v[107:108], v[107:108], v[67:68], -v[69:70]
	scratch_load_b128 v[67:70], off, off offset:336
	v_fma_f64 v[113:114], v[93:94], v[63:64], v[113:114]
	v_fma_f64 v[115:116], v[91:92], v[63:64], -v[65:66]
	ds_load_b128 v[63:66], v1 offset:544
	scratch_load_b128 v[91:94], off, off offset:320
	v_add_f64_e32 v[2:3], v[2:3], v[95:96]
	v_add_f64_e32 v[6:7], v[6:7], v[97:98]
	ds_load_b128 v[95:98], v1 offset:560
	s_wait_loadcnt_dscnt 0xa01
	v_mul_f64_e32 v[117:118], v[63:64], v[73:74]
	v_mul_f64_e32 v[73:74], v[65:66], v[73:74]
	s_wait_loadcnt_dscnt 0x900
	v_mul_f64_e32 v[111:112], v[95:96], v[77:78]
	v_mul_f64_e32 v[77:78], v[97:98], v[77:78]
	v_add_f64_e32 v[2:3], v[2:3], v[115:116]
	v_add_f64_e32 v[6:7], v[6:7], v[113:114]
	v_fma_f64 v[113:114], v[65:66], v[71:72], v[117:118]
	v_fma_f64 v[115:116], v[63:64], v[71:72], -v[73:74]
	ds_load_b128 v[63:66], v1 offset:576
	scratch_load_b128 v[71:74], off, off offset:352
	v_fma_f64 v[97:98], v[97:98], v[75:76], v[111:112]
	v_fma_f64 v[95:96], v[95:96], v[75:76], -v[77:78]
	scratch_load_b128 v[75:78], off, off offset:368
	v_add_f64_e32 v[2:3], v[2:3], v[107:108]
	v_add_f64_e32 v[6:7], v[6:7], v[109:110]
	ds_load_b128 v[107:110], v1 offset:592
	s_wait_loadcnt_dscnt 0xa01
	v_mul_f64_e32 v[117:118], v[63:64], v[81:82]
	v_mul_f64_e32 v[81:82], v[65:66], v[81:82]
	s_wait_loadcnt_dscnt 0x900
	v_mul_f64_e32 v[111:112], v[107:108], v[85:86]
	v_mul_f64_e32 v[85:86], v[109:110], v[85:86]
	v_add_f64_e32 v[2:3], v[2:3], v[115:116]
	v_add_f64_e32 v[6:7], v[6:7], v[113:114]
	v_fma_f64 v[113:114], v[65:66], v[79:80], v[117:118]
	v_fma_f64 v[115:116], v[63:64], v[79:80], -v[81:82]
	ds_load_b128 v[63:66], v1 offset:608
	ds_load_b128 v[79:82], v1 offset:624
	v_add_f64_e32 v[2:3], v[2:3], v[95:96]
	v_add_f64_e32 v[6:7], v[6:7], v[97:98]
	s_wait_loadcnt_dscnt 0x801
	v_mul_f64_e32 v[95:96], v[63:64], v[89:90]
	v_mul_f64_e32 v[89:90], v[65:66], v[89:90]
	v_fma_f64 v[97:98], v[109:110], v[83:84], v[111:112]
	v_fma_f64 v[83:84], v[107:108], v[83:84], -v[85:86]
	v_add_f64_e32 v[2:3], v[2:3], v[115:116]
	v_add_f64_e32 v[6:7], v[6:7], v[113:114]
	v_fma_f64 v[95:96], v[65:66], v[87:88], v[95:96]
	v_fma_f64 v[87:88], v[63:64], v[87:88], -v[89:90]
	s_wait_loadcnt_dscnt 0x600
	v_mul_f64_e32 v[107:108], v[79:80], v[10:11]
	v_mul_f64_e32 v[10:11], v[81:82], v[10:11]
	v_add_f64_e32 v[2:3], v[2:3], v[83:84]
	v_add_f64_e32 v[6:7], v[6:7], v[97:98]
	ds_load_b128 v[63:66], v1 offset:640
	ds_load_b128 v[83:86], v1 offset:656
	v_fma_f64 v[81:82], v[81:82], v[8:9], v[107:108]
	v_fma_f64 v[8:9], v[79:80], v[8:9], -v[10:11]
	s_wait_loadcnt_dscnt 0x501
	v_mul_f64_e32 v[89:90], v[63:64], v[105:106]
	v_mul_f64_e32 v[97:98], v[65:66], v[105:106]
	s_wait_loadcnt_dscnt 0x400
	v_mul_f64_e32 v[10:11], v[83:84], v[61:62]
	v_mul_f64_e32 v[79:80], v[85:86], v[61:62]
	v_add_f64_e32 v[2:3], v[2:3], v[87:88]
	v_add_f64_e32 v[6:7], v[6:7], v[95:96]
	v_fma_f64 v[65:66], v[65:66], v[103:104], v[89:90]
	v_fma_f64 v[87:88], v[63:64], v[103:104], -v[97:98]
	v_fma_f64 v[10:11], v[85:86], v[59:60], v[10:11]
	v_fma_f64 v[59:60], v[83:84], v[59:60], -v[79:80]
	v_add_f64_e32 v[2:3], v[2:3], v[8:9]
	v_add_f64_e32 v[81:82], v[6:7], v[81:82]
	ds_load_b128 v[6:9], v1 offset:672
	ds_load_b128 v[61:64], v1 offset:688
	s_wait_loadcnt_dscnt 0x201
	v_mul_f64_e32 v[89:90], v[6:7], v[93:94]
	v_mul_f64_e32 v[93:94], v[8:9], v[93:94]
	s_wait_dscnt 0x0
	v_mul_f64_e32 v[79:80], v[61:62], v[69:70]
	v_mul_f64_e32 v[69:70], v[63:64], v[69:70]
	v_add_f64_e32 v[2:3], v[2:3], v[87:88]
	v_add_f64_e32 v[65:66], v[81:82], v[65:66]
	v_fma_f64 v[81:82], v[8:9], v[91:92], v[89:90]
	v_fma_f64 v[83:84], v[6:7], v[91:92], -v[93:94]
	v_fma_f64 v[63:64], v[63:64], v[67:68], v[79:80]
	v_fma_f64 v[61:62], v[61:62], v[67:68], -v[69:70]
	v_add_f64_e32 v[59:60], v[2:3], v[59:60]
	v_add_f64_e32 v[10:11], v[65:66], v[10:11]
	ds_load_b128 v[6:9], v1 offset:704
	ds_load_b128 v[1:4], v1 offset:720
	s_wait_loadcnt_dscnt 0x101
	v_mul_f64_e32 v[65:66], v[6:7], v[73:74]
	v_mul_f64_e32 v[73:74], v[8:9], v[73:74]
	s_wait_loadcnt_dscnt 0x0
	v_mul_f64_e32 v[67:68], v[1:2], v[77:78]
	v_mul_f64_e32 v[69:70], v[3:4], v[77:78]
	v_add_f64_e32 v[59:60], v[59:60], v[83:84]
	v_add_f64_e32 v[10:11], v[10:11], v[81:82]
	v_fma_f64 v[8:9], v[8:9], v[71:72], v[65:66]
	v_fma_f64 v[6:7], v[6:7], v[71:72], -v[73:74]
	v_fma_f64 v[3:4], v[3:4], v[75:76], v[67:68]
	v_fma_f64 v[1:2], v[1:2], v[75:76], -v[69:70]
	v_add_f64_e32 v[59:60], v[59:60], v[61:62]
	v_add_f64_e32 v[10:11], v[10:11], v[63:64]
	s_delay_alu instid0(VALU_DEP_2) | instskip(NEXT) | instid1(VALU_DEP_2)
	v_add_f64_e32 v[6:7], v[59:60], v[6:7]
	v_add_f64_e32 v[8:9], v[10:11], v[8:9]
	s_delay_alu instid0(VALU_DEP_2) | instskip(NEXT) | instid1(VALU_DEP_2)
	;; [unrolled: 3-line block ×3, first 2 shown]
	v_add_f64_e64 v[1:2], v[99:100], -v[1:2]
	v_add_f64_e64 v[3:4], v[101:102], -v[3:4]
	scratch_store_b128 off, v[1:4], off offset:112
	v_cmpx_lt_u32_e32 5, v0
	s_cbranch_execz .LBB22_141
; %bb.140:
	scratch_load_b128 v[1:4], off, s4
	v_mov_b32_e32 v6, 0
	s_delay_alu instid0(VALU_DEP_1)
	v_dual_mov_b32 v7, v6 :: v_dual_mov_b32 v8, v6
	v_mov_b32_e32 v9, v6
	scratch_store_b128 off, v[6:9], off offset:96
	s_wait_loadcnt 0x0
	ds_store_b128 v5, v[1:4]
.LBB22_141:
	s_wait_alu 0xfffe
	s_or_b32 exec_lo, exec_lo, s0
	s_wait_storecnt_dscnt 0x0
	s_barrier_signal -1
	s_barrier_wait -1
	global_inv scope:SCOPE_SE
	s_clause 0x7
	scratch_load_b128 v[6:9], off, off offset:112
	scratch_load_b128 v[59:62], off, off offset:128
	;; [unrolled: 1-line block ×8, first 2 shown]
	v_mov_b32_e32 v1, 0
	s_mov_b32 s0, exec_lo
	ds_load_b128 v[87:90], v1 offset:464
	s_clause 0x1
	scratch_load_b128 v[91:94], off, off offset:240
	scratch_load_b128 v[95:98], off, off offset:96
	ds_load_b128 v[99:102], v1 offset:480
	ds_load_b128 v[107:110], v1 offset:512
	s_wait_loadcnt_dscnt 0x902
	v_mul_f64_e32 v[2:3], v[89:90], v[8:9]
	v_mul_f64_e32 v[103:104], v[87:88], v[8:9]
	scratch_load_b128 v[8:11], off, off offset:256
	v_fma_f64 v[2:3], v[87:88], v[6:7], -v[2:3]
	v_fma_f64 v[6:7], v[89:90], v[6:7], v[103:104]
	ds_load_b128 v[87:90], v1 offset:496
	s_wait_loadcnt_dscnt 0x902
	v_mul_f64_e32 v[111:112], v[99:100], v[61:62]
	v_mul_f64_e32 v[61:62], v[101:102], v[61:62]
	scratch_load_b128 v[103:106], off, off offset:272
	s_wait_loadcnt_dscnt 0x900
	v_mul_f64_e32 v[113:114], v[87:88], v[65:66]
	v_mul_f64_e32 v[65:66], v[89:90], v[65:66]
	v_add_f64_e32 v[2:3], 0, v[2:3]
	v_add_f64_e32 v[6:7], 0, v[6:7]
	v_fma_f64 v[101:102], v[101:102], v[59:60], v[111:112]
	v_fma_f64 v[99:100], v[99:100], v[59:60], -v[61:62]
	scratch_load_b128 v[59:62], off, off offset:288
	v_fma_f64 v[113:114], v[89:90], v[63:64], v[113:114]
	v_fma_f64 v[115:116], v[87:88], v[63:64], -v[65:66]
	ds_load_b128 v[63:66], v1 offset:528
	s_wait_loadcnt 0x9
	v_mul_f64_e32 v[111:112], v[107:108], v[69:70]
	v_mul_f64_e32 v[69:70], v[109:110], v[69:70]
	scratch_load_b128 v[87:90], off, off offset:304
	v_add_f64_e32 v[6:7], v[6:7], v[101:102]
	v_add_f64_e32 v[2:3], v[2:3], v[99:100]
	ds_load_b128 v[99:102], v1 offset:544
	s_wait_loadcnt_dscnt 0x901
	v_mul_f64_e32 v[117:118], v[63:64], v[73:74]
	v_mul_f64_e32 v[73:74], v[65:66], v[73:74]
	v_fma_f64 v[109:110], v[109:110], v[67:68], v[111:112]
	v_fma_f64 v[107:108], v[107:108], v[67:68], -v[69:70]
	scratch_load_b128 v[67:70], off, off offset:320
	v_add_f64_e32 v[6:7], v[6:7], v[113:114]
	v_add_f64_e32 v[2:3], v[2:3], v[115:116]
	v_fma_f64 v[113:114], v[65:66], v[71:72], v[117:118]
	v_fma_f64 v[115:116], v[63:64], v[71:72], -v[73:74]
	ds_load_b128 v[63:66], v1 offset:560
	s_wait_loadcnt_dscnt 0x901
	v_mul_f64_e32 v[111:112], v[99:100], v[77:78]
	v_mul_f64_e32 v[77:78], v[101:102], v[77:78]
	scratch_load_b128 v[71:74], off, off offset:336
	s_wait_loadcnt_dscnt 0x900
	v_mul_f64_e32 v[117:118], v[63:64], v[81:82]
	v_mul_f64_e32 v[81:82], v[65:66], v[81:82]
	v_add_f64_e32 v[6:7], v[6:7], v[109:110]
	v_add_f64_e32 v[2:3], v[2:3], v[107:108]
	ds_load_b128 v[107:110], v1 offset:576
	v_fma_f64 v[101:102], v[101:102], v[75:76], v[111:112]
	v_fma_f64 v[99:100], v[99:100], v[75:76], -v[77:78]
	scratch_load_b128 v[75:78], off, off offset:352
	v_add_f64_e32 v[6:7], v[6:7], v[113:114]
	v_add_f64_e32 v[2:3], v[2:3], v[115:116]
	v_fma_f64 v[113:114], v[65:66], v[79:80], v[117:118]
	v_fma_f64 v[115:116], v[63:64], v[79:80], -v[81:82]
	ds_load_b128 v[63:66], v1 offset:592
	s_wait_loadcnt_dscnt 0x901
	v_mul_f64_e32 v[111:112], v[107:108], v[85:86]
	v_mul_f64_e32 v[85:86], v[109:110], v[85:86]
	scratch_load_b128 v[79:82], off, off offset:368
	s_wait_loadcnt_dscnt 0x900
	v_mul_f64_e32 v[117:118], v[63:64], v[93:94]
	v_mul_f64_e32 v[93:94], v[65:66], v[93:94]
	v_add_f64_e32 v[6:7], v[6:7], v[101:102]
	v_add_f64_e32 v[2:3], v[2:3], v[99:100]
	ds_load_b128 v[99:102], v1 offset:608
	v_fma_f64 v[109:110], v[109:110], v[83:84], v[111:112]
	v_fma_f64 v[83:84], v[107:108], v[83:84], -v[85:86]
	v_fma_f64 v[111:112], v[65:66], v[91:92], v[117:118]
	v_fma_f64 v[91:92], v[63:64], v[91:92], -v[93:94]
	v_add_f64_e32 v[6:7], v[6:7], v[113:114]
	v_add_f64_e32 v[2:3], v[2:3], v[115:116]
	s_wait_loadcnt_dscnt 0x700
	v_mul_f64_e32 v[107:108], v[99:100], v[10:11]
	v_mul_f64_e32 v[10:11], v[101:102], v[10:11]
	s_delay_alu instid0(VALU_DEP_4) | instskip(NEXT) | instid1(VALU_DEP_4)
	v_add_f64_e32 v[6:7], v[6:7], v[109:110]
	v_add_f64_e32 v[2:3], v[2:3], v[83:84]
	ds_load_b128 v[63:66], v1 offset:624
	ds_load_b128 v[83:86], v1 offset:640
	v_fma_f64 v[101:102], v[101:102], v[8:9], v[107:108]
	v_fma_f64 v[8:9], v[99:100], v[8:9], -v[10:11]
	s_wait_loadcnt_dscnt 0x601
	v_mul_f64_e32 v[93:94], v[63:64], v[105:106]
	v_mul_f64_e32 v[105:106], v[65:66], v[105:106]
	v_add_f64_e32 v[6:7], v[6:7], v[111:112]
	v_add_f64_e32 v[2:3], v[2:3], v[91:92]
	s_wait_loadcnt_dscnt 0x500
	v_mul_f64_e32 v[10:11], v[83:84], v[61:62]
	v_mul_f64_e32 v[91:92], v[85:86], v[61:62]
	v_fma_f64 v[65:66], v[65:66], v[103:104], v[93:94]
	v_fma_f64 v[93:94], v[63:64], v[103:104], -v[105:106]
	v_add_f64_e32 v[99:100], v[6:7], v[101:102]
	v_add_f64_e32 v[2:3], v[2:3], v[8:9]
	ds_load_b128 v[6:9], v1 offset:656
	ds_load_b128 v[61:64], v1 offset:672
	v_fma_f64 v[10:11], v[85:86], v[59:60], v[10:11]
	v_fma_f64 v[59:60], v[83:84], v[59:60], -v[91:92]
	s_wait_loadcnt_dscnt 0x401
	v_mul_f64_e32 v[101:102], v[6:7], v[89:90]
	v_mul_f64_e32 v[89:90], v[8:9], v[89:90]
	v_add_f64_e32 v[65:66], v[99:100], v[65:66]
	v_add_f64_e32 v[2:3], v[2:3], v[93:94]
	s_wait_loadcnt_dscnt 0x300
	v_mul_f64_e32 v[91:92], v[61:62], v[69:70]
	v_mul_f64_e32 v[69:70], v[63:64], v[69:70]
	v_fma_f64 v[93:94], v[8:9], v[87:88], v[101:102]
	v_fma_f64 v[87:88], v[6:7], v[87:88], -v[89:90]
	ds_load_b128 v[6:9], v1 offset:688
	ds_load_b128 v[83:86], v1 offset:704
	v_add_f64_e32 v[10:11], v[65:66], v[10:11]
	v_add_f64_e32 v[2:3], v[2:3], v[59:60]
	v_fma_f64 v[63:64], v[63:64], v[67:68], v[91:92]
	v_fma_f64 v[61:62], v[61:62], v[67:68], -v[69:70]
	s_wait_loadcnt_dscnt 0x201
	v_mul_f64_e32 v[59:60], v[6:7], v[73:74]
	v_mul_f64_e32 v[65:66], v[8:9], v[73:74]
	s_wait_loadcnt_dscnt 0x100
	v_mul_f64_e32 v[67:68], v[83:84], v[77:78]
	v_mul_f64_e32 v[69:70], v[85:86], v[77:78]
	v_add_f64_e32 v[10:11], v[10:11], v[93:94]
	v_add_f64_e32 v[2:3], v[2:3], v[87:88]
	v_fma_f64 v[59:60], v[8:9], v[71:72], v[59:60]
	v_fma_f64 v[65:66], v[6:7], v[71:72], -v[65:66]
	ds_load_b128 v[6:9], v1 offset:720
	v_fma_f64 v[67:68], v[85:86], v[75:76], v[67:68]
	v_fma_f64 v[69:70], v[83:84], v[75:76], -v[69:70]
	v_add_f64_e32 v[10:11], v[10:11], v[63:64]
	v_add_f64_e32 v[2:3], v[2:3], v[61:62]
	s_wait_loadcnt_dscnt 0x0
	v_mul_f64_e32 v[61:62], v[6:7], v[81:82]
	v_mul_f64_e32 v[63:64], v[8:9], v[81:82]
	s_delay_alu instid0(VALU_DEP_4) | instskip(NEXT) | instid1(VALU_DEP_4)
	v_add_f64_e32 v[10:11], v[10:11], v[59:60]
	v_add_f64_e32 v[2:3], v[2:3], v[65:66]
	s_delay_alu instid0(VALU_DEP_4) | instskip(NEXT) | instid1(VALU_DEP_4)
	v_fma_f64 v[8:9], v[8:9], v[79:80], v[61:62]
	v_fma_f64 v[6:7], v[6:7], v[79:80], -v[63:64]
	s_delay_alu instid0(VALU_DEP_4) | instskip(NEXT) | instid1(VALU_DEP_4)
	v_add_f64_e32 v[10:11], v[10:11], v[67:68]
	v_add_f64_e32 v[2:3], v[2:3], v[69:70]
	s_delay_alu instid0(VALU_DEP_2) | instskip(NEXT) | instid1(VALU_DEP_2)
	v_add_f64_e32 v[8:9], v[10:11], v[8:9]
	v_add_f64_e32 v[2:3], v[2:3], v[6:7]
	s_delay_alu instid0(VALU_DEP_2) | instskip(NEXT) | instid1(VALU_DEP_2)
	v_add_f64_e64 v[8:9], v[97:98], -v[8:9]
	v_add_f64_e64 v[6:7], v[95:96], -v[2:3]
	scratch_store_b128 off, v[6:9], off offset:96
	v_cmpx_lt_u32_e32 4, v0
	s_cbranch_execz .LBB22_143
; %bb.142:
	scratch_load_b128 v[6:9], off, s12
	v_dual_mov_b32 v2, v1 :: v_dual_mov_b32 v3, v1
	v_mov_b32_e32 v4, v1
	scratch_store_b128 off, v[1:4], off offset:80
	s_wait_loadcnt 0x0
	ds_store_b128 v5, v[6:9]
.LBB22_143:
	s_wait_alu 0xfffe
	s_or_b32 exec_lo, exec_lo, s0
	s_wait_storecnt_dscnt 0x0
	s_barrier_signal -1
	s_barrier_wait -1
	global_inv scope:SCOPE_SE
	s_clause 0x8
	scratch_load_b128 v[6:9], off, off offset:96
	scratch_load_b128 v[59:62], off, off offset:112
	;; [unrolled: 1-line block ×9, first 2 shown]
	ds_load_b128 v[91:94], v1 offset:448
	ds_load_b128 v[95:98], v1 offset:464
	scratch_load_b128 v[99:102], off, off offset:80
	s_mov_b32 s0, exec_lo
	ds_load_b128 v[107:110], v1 offset:496
	s_wait_loadcnt_dscnt 0x902
	v_mul_f64_e32 v[2:3], v[93:94], v[8:9]
	v_mul_f64_e32 v[103:104], v[91:92], v[8:9]
	scratch_load_b128 v[8:11], off, off offset:240
	s_wait_loadcnt_dscnt 0x901
	v_mul_f64_e32 v[111:112], v[95:96], v[61:62]
	v_mul_f64_e32 v[61:62], v[97:98], v[61:62]
	v_fma_f64 v[2:3], v[91:92], v[6:7], -v[2:3]
	v_fma_f64 v[6:7], v[93:94], v[6:7], v[103:104]
	ds_load_b128 v[91:94], v1 offset:480
	scratch_load_b128 v[103:106], off, off offset:256
	v_fma_f64 v[97:98], v[97:98], v[59:60], v[111:112]
	v_fma_f64 v[95:96], v[95:96], v[59:60], -v[61:62]
	scratch_load_b128 v[59:62], off, off offset:272
	s_wait_loadcnt_dscnt 0x901
	v_mul_f64_e32 v[111:112], v[107:108], v[69:70]
	v_mul_f64_e32 v[69:70], v[109:110], v[69:70]
	s_wait_dscnt 0x0
	v_mul_f64_e32 v[113:114], v[91:92], v[65:66]
	v_mul_f64_e32 v[65:66], v[93:94], v[65:66]
	v_add_f64_e32 v[2:3], 0, v[2:3]
	v_add_f64_e32 v[6:7], 0, v[6:7]
	v_fma_f64 v[109:110], v[109:110], v[67:68], v[111:112]
	v_fma_f64 v[107:108], v[107:108], v[67:68], -v[69:70]
	scratch_load_b128 v[67:70], off, off offset:304
	v_fma_f64 v[113:114], v[93:94], v[63:64], v[113:114]
	v_fma_f64 v[115:116], v[91:92], v[63:64], -v[65:66]
	ds_load_b128 v[63:66], v1 offset:512
	scratch_load_b128 v[91:94], off, off offset:288
	v_add_f64_e32 v[2:3], v[2:3], v[95:96]
	v_add_f64_e32 v[6:7], v[6:7], v[97:98]
	ds_load_b128 v[95:98], v1 offset:528
	s_wait_loadcnt_dscnt 0xa01
	v_mul_f64_e32 v[117:118], v[63:64], v[73:74]
	v_mul_f64_e32 v[73:74], v[65:66], v[73:74]
	s_wait_loadcnt_dscnt 0x900
	v_mul_f64_e32 v[111:112], v[95:96], v[77:78]
	v_mul_f64_e32 v[77:78], v[97:98], v[77:78]
	v_add_f64_e32 v[2:3], v[2:3], v[115:116]
	v_add_f64_e32 v[6:7], v[6:7], v[113:114]
	v_fma_f64 v[113:114], v[65:66], v[71:72], v[117:118]
	v_fma_f64 v[115:116], v[63:64], v[71:72], -v[73:74]
	ds_load_b128 v[63:66], v1 offset:544
	scratch_load_b128 v[71:74], off, off offset:320
	v_fma_f64 v[97:98], v[97:98], v[75:76], v[111:112]
	v_fma_f64 v[95:96], v[95:96], v[75:76], -v[77:78]
	scratch_load_b128 v[75:78], off, off offset:336
	v_add_f64_e32 v[2:3], v[2:3], v[107:108]
	v_add_f64_e32 v[6:7], v[6:7], v[109:110]
	ds_load_b128 v[107:110], v1 offset:560
	s_wait_loadcnt_dscnt 0xa01
	v_mul_f64_e32 v[117:118], v[63:64], v[81:82]
	v_mul_f64_e32 v[81:82], v[65:66], v[81:82]
	s_wait_loadcnt_dscnt 0x900
	v_mul_f64_e32 v[111:112], v[107:108], v[85:86]
	v_mul_f64_e32 v[85:86], v[109:110], v[85:86]
	v_add_f64_e32 v[2:3], v[2:3], v[115:116]
	v_add_f64_e32 v[6:7], v[6:7], v[113:114]
	v_fma_f64 v[113:114], v[65:66], v[79:80], v[117:118]
	v_fma_f64 v[115:116], v[63:64], v[79:80], -v[81:82]
	ds_load_b128 v[63:66], v1 offset:576
	scratch_load_b128 v[79:82], off, off offset:352
	v_fma_f64 v[109:110], v[109:110], v[83:84], v[111:112]
	v_fma_f64 v[107:108], v[107:108], v[83:84], -v[85:86]
	scratch_load_b128 v[83:86], off, off offset:368
	v_add_f64_e32 v[2:3], v[2:3], v[95:96]
	v_add_f64_e32 v[6:7], v[6:7], v[97:98]
	ds_load_b128 v[95:98], v1 offset:592
	s_wait_loadcnt_dscnt 0xa01
	v_mul_f64_e32 v[117:118], v[63:64], v[89:90]
	v_mul_f64_e32 v[89:90], v[65:66], v[89:90]
	v_add_f64_e32 v[2:3], v[2:3], v[115:116]
	v_add_f64_e32 v[6:7], v[6:7], v[113:114]
	s_delay_alu instid0(VALU_DEP_4) | instskip(NEXT) | instid1(VALU_DEP_4)
	v_fma_f64 v[113:114], v[65:66], v[87:88], v[117:118]
	v_fma_f64 v[115:116], v[63:64], v[87:88], -v[89:90]
	ds_load_b128 v[63:66], v1 offset:608
	ds_load_b128 v[87:90], v1 offset:624
	s_wait_loadcnt_dscnt 0x802
	v_mul_f64_e32 v[111:112], v[95:96], v[10:11]
	v_mul_f64_e32 v[10:11], v[97:98], v[10:11]
	v_add_f64_e32 v[2:3], v[2:3], v[107:108]
	v_add_f64_e32 v[6:7], v[6:7], v[109:110]
	s_delay_alu instid0(VALU_DEP_4)
	v_fma_f64 v[97:98], v[97:98], v[8:9], v[111:112]
	s_wait_loadcnt_dscnt 0x701
	v_mul_f64_e32 v[107:108], v[63:64], v[105:106]
	v_mul_f64_e32 v[105:106], v[65:66], v[105:106]
	v_fma_f64 v[8:9], v[95:96], v[8:9], -v[10:11]
	s_wait_loadcnt_dscnt 0x600
	v_mul_f64_e32 v[10:11], v[87:88], v[61:62]
	v_mul_f64_e32 v[95:96], v[89:90], v[61:62]
	v_add_f64_e32 v[2:3], v[2:3], v[115:116]
	v_add_f64_e32 v[6:7], v[6:7], v[113:114]
	v_fma_f64 v[65:66], v[65:66], v[103:104], v[107:108]
	v_fma_f64 v[103:104], v[63:64], v[103:104], -v[105:106]
	v_fma_f64 v[10:11], v[89:90], v[59:60], v[10:11]
	v_fma_f64 v[59:60], v[87:88], v[59:60], -v[95:96]
	v_add_f64_e32 v[2:3], v[2:3], v[8:9]
	v_add_f64_e32 v[97:98], v[6:7], v[97:98]
	ds_load_b128 v[6:9], v1 offset:640
	ds_load_b128 v[61:64], v1 offset:656
	s_wait_loadcnt_dscnt 0x401
	v_mul_f64_e32 v[105:106], v[6:7], v[93:94]
	v_mul_f64_e32 v[93:94], v[8:9], v[93:94]
	s_wait_dscnt 0x0
	v_mul_f64_e32 v[95:96], v[61:62], v[69:70]
	v_mul_f64_e32 v[69:70], v[63:64], v[69:70]
	v_add_f64_e32 v[2:3], v[2:3], v[103:104]
	v_add_f64_e32 v[65:66], v[97:98], v[65:66]
	v_fma_f64 v[97:98], v[8:9], v[91:92], v[105:106]
	v_fma_f64 v[91:92], v[6:7], v[91:92], -v[93:94]
	ds_load_b128 v[6:9], v1 offset:672
	ds_load_b128 v[87:90], v1 offset:688
	v_fma_f64 v[63:64], v[63:64], v[67:68], v[95:96]
	v_fma_f64 v[61:62], v[61:62], v[67:68], -v[69:70]
	v_add_f64_e32 v[2:3], v[2:3], v[59:60]
	v_add_f64_e32 v[10:11], v[65:66], v[10:11]
	s_wait_loadcnt_dscnt 0x301
	v_mul_f64_e32 v[59:60], v[6:7], v[73:74]
	v_mul_f64_e32 v[65:66], v[8:9], v[73:74]
	s_wait_loadcnt_dscnt 0x200
	v_mul_f64_e32 v[67:68], v[87:88], v[77:78]
	v_mul_f64_e32 v[69:70], v[89:90], v[77:78]
	v_add_f64_e32 v[2:3], v[2:3], v[91:92]
	v_add_f64_e32 v[10:11], v[10:11], v[97:98]
	v_fma_f64 v[59:60], v[8:9], v[71:72], v[59:60]
	v_fma_f64 v[65:66], v[6:7], v[71:72], -v[65:66]
	v_fma_f64 v[67:68], v[89:90], v[75:76], v[67:68]
	v_fma_f64 v[69:70], v[87:88], v[75:76], -v[69:70]
	v_add_f64_e32 v[61:62], v[2:3], v[61:62]
	v_add_f64_e32 v[10:11], v[10:11], v[63:64]
	ds_load_b128 v[6:9], v1 offset:704
	ds_load_b128 v[1:4], v1 offset:720
	s_wait_loadcnt_dscnt 0x101
	v_mul_f64_e32 v[63:64], v[6:7], v[81:82]
	v_mul_f64_e32 v[71:72], v[8:9], v[81:82]
	v_add_f64_e32 v[61:62], v[61:62], v[65:66]
	v_add_f64_e32 v[10:11], v[10:11], v[59:60]
	s_wait_loadcnt_dscnt 0x0
	v_mul_f64_e32 v[59:60], v[1:2], v[85:86]
	v_mul_f64_e32 v[65:66], v[3:4], v[85:86]
	v_fma_f64 v[8:9], v[8:9], v[79:80], v[63:64]
	v_fma_f64 v[6:7], v[6:7], v[79:80], -v[71:72]
	v_add_f64_e32 v[61:62], v[61:62], v[69:70]
	v_add_f64_e32 v[10:11], v[10:11], v[67:68]
	v_fma_f64 v[3:4], v[3:4], v[83:84], v[59:60]
	v_fma_f64 v[1:2], v[1:2], v[83:84], -v[65:66]
	s_delay_alu instid0(VALU_DEP_4) | instskip(NEXT) | instid1(VALU_DEP_4)
	v_add_f64_e32 v[6:7], v[61:62], v[6:7]
	v_add_f64_e32 v[8:9], v[10:11], v[8:9]
	s_delay_alu instid0(VALU_DEP_2) | instskip(NEXT) | instid1(VALU_DEP_2)
	v_add_f64_e32 v[1:2], v[6:7], v[1:2]
	v_add_f64_e32 v[3:4], v[8:9], v[3:4]
	s_delay_alu instid0(VALU_DEP_2) | instskip(NEXT) | instid1(VALU_DEP_2)
	v_add_f64_e64 v[1:2], v[99:100], -v[1:2]
	v_add_f64_e64 v[3:4], v[101:102], -v[3:4]
	scratch_store_b128 off, v[1:4], off offset:80
	v_cmpx_lt_u32_e32 3, v0
	s_cbranch_execz .LBB22_145
; %bb.144:
	scratch_load_b128 v[1:4], off, s11
	v_mov_b32_e32 v6, 0
	s_delay_alu instid0(VALU_DEP_1)
	v_dual_mov_b32 v7, v6 :: v_dual_mov_b32 v8, v6
	v_mov_b32_e32 v9, v6
	scratch_store_b128 off, v[6:9], off offset:64
	s_wait_loadcnt 0x0
	ds_store_b128 v5, v[1:4]
.LBB22_145:
	s_wait_alu 0xfffe
	s_or_b32 exec_lo, exec_lo, s0
	s_wait_storecnt_dscnt 0x0
	s_barrier_signal -1
	s_barrier_wait -1
	global_inv scope:SCOPE_SE
	s_clause 0x7
	scratch_load_b128 v[6:9], off, off offset:80
	scratch_load_b128 v[59:62], off, off offset:96
	;; [unrolled: 1-line block ×8, first 2 shown]
	v_mov_b32_e32 v1, 0
	s_mov_b32 s0, exec_lo
	ds_load_b128 v[87:90], v1 offset:432
	s_clause 0x1
	scratch_load_b128 v[91:94], off, off offset:208
	scratch_load_b128 v[95:98], off, off offset:64
	ds_load_b128 v[99:102], v1 offset:448
	ds_load_b128 v[107:110], v1 offset:480
	s_wait_loadcnt_dscnt 0x902
	v_mul_f64_e32 v[2:3], v[89:90], v[8:9]
	v_mul_f64_e32 v[103:104], v[87:88], v[8:9]
	scratch_load_b128 v[8:11], off, off offset:224
	v_fma_f64 v[2:3], v[87:88], v[6:7], -v[2:3]
	v_fma_f64 v[6:7], v[89:90], v[6:7], v[103:104]
	ds_load_b128 v[87:90], v1 offset:464
	s_wait_loadcnt_dscnt 0x902
	v_mul_f64_e32 v[111:112], v[99:100], v[61:62]
	v_mul_f64_e32 v[61:62], v[101:102], v[61:62]
	scratch_load_b128 v[103:106], off, off offset:240
	s_wait_loadcnt_dscnt 0x900
	v_mul_f64_e32 v[113:114], v[87:88], v[65:66]
	v_mul_f64_e32 v[65:66], v[89:90], v[65:66]
	v_add_f64_e32 v[2:3], 0, v[2:3]
	v_add_f64_e32 v[6:7], 0, v[6:7]
	v_fma_f64 v[101:102], v[101:102], v[59:60], v[111:112]
	v_fma_f64 v[99:100], v[99:100], v[59:60], -v[61:62]
	scratch_load_b128 v[59:62], off, off offset:256
	v_fma_f64 v[113:114], v[89:90], v[63:64], v[113:114]
	v_fma_f64 v[115:116], v[87:88], v[63:64], -v[65:66]
	ds_load_b128 v[63:66], v1 offset:496
	s_wait_loadcnt 0x9
	v_mul_f64_e32 v[111:112], v[107:108], v[69:70]
	v_mul_f64_e32 v[69:70], v[109:110], v[69:70]
	scratch_load_b128 v[87:90], off, off offset:272
	v_add_f64_e32 v[6:7], v[6:7], v[101:102]
	v_add_f64_e32 v[2:3], v[2:3], v[99:100]
	ds_load_b128 v[99:102], v1 offset:512
	s_wait_loadcnt_dscnt 0x901
	v_mul_f64_e32 v[117:118], v[63:64], v[73:74]
	v_mul_f64_e32 v[73:74], v[65:66], v[73:74]
	v_fma_f64 v[109:110], v[109:110], v[67:68], v[111:112]
	v_fma_f64 v[107:108], v[107:108], v[67:68], -v[69:70]
	scratch_load_b128 v[67:70], off, off offset:288
	v_add_f64_e32 v[6:7], v[6:7], v[113:114]
	v_add_f64_e32 v[2:3], v[2:3], v[115:116]
	v_fma_f64 v[113:114], v[65:66], v[71:72], v[117:118]
	v_fma_f64 v[115:116], v[63:64], v[71:72], -v[73:74]
	ds_load_b128 v[63:66], v1 offset:528
	s_wait_loadcnt_dscnt 0x901
	v_mul_f64_e32 v[111:112], v[99:100], v[77:78]
	v_mul_f64_e32 v[77:78], v[101:102], v[77:78]
	scratch_load_b128 v[71:74], off, off offset:304
	s_wait_loadcnt_dscnt 0x900
	v_mul_f64_e32 v[117:118], v[63:64], v[81:82]
	v_mul_f64_e32 v[81:82], v[65:66], v[81:82]
	v_add_f64_e32 v[6:7], v[6:7], v[109:110]
	v_add_f64_e32 v[2:3], v[2:3], v[107:108]
	ds_load_b128 v[107:110], v1 offset:544
	v_fma_f64 v[101:102], v[101:102], v[75:76], v[111:112]
	v_fma_f64 v[99:100], v[99:100], v[75:76], -v[77:78]
	scratch_load_b128 v[75:78], off, off offset:320
	v_add_f64_e32 v[6:7], v[6:7], v[113:114]
	v_add_f64_e32 v[2:3], v[2:3], v[115:116]
	v_fma_f64 v[113:114], v[65:66], v[79:80], v[117:118]
	v_fma_f64 v[115:116], v[63:64], v[79:80], -v[81:82]
	ds_load_b128 v[63:66], v1 offset:560
	s_wait_loadcnt_dscnt 0x901
	v_mul_f64_e32 v[111:112], v[107:108], v[85:86]
	v_mul_f64_e32 v[85:86], v[109:110], v[85:86]
	scratch_load_b128 v[79:82], off, off offset:336
	s_wait_loadcnt_dscnt 0x900
	v_mul_f64_e32 v[117:118], v[63:64], v[93:94]
	v_mul_f64_e32 v[93:94], v[65:66], v[93:94]
	v_add_f64_e32 v[6:7], v[6:7], v[101:102]
	v_add_f64_e32 v[2:3], v[2:3], v[99:100]
	ds_load_b128 v[99:102], v1 offset:576
	v_fma_f64 v[109:110], v[109:110], v[83:84], v[111:112]
	v_fma_f64 v[107:108], v[107:108], v[83:84], -v[85:86]
	scratch_load_b128 v[83:86], off, off offset:352
	v_add_f64_e32 v[6:7], v[6:7], v[113:114]
	v_add_f64_e32 v[2:3], v[2:3], v[115:116]
	v_fma_f64 v[113:114], v[65:66], v[91:92], v[117:118]
	v_fma_f64 v[115:116], v[63:64], v[91:92], -v[93:94]
	ds_load_b128 v[63:66], v1 offset:592
	scratch_load_b128 v[91:94], off, off offset:368
	s_wait_loadcnt_dscnt 0x901
	v_mul_f64_e32 v[111:112], v[99:100], v[10:11]
	v_mul_f64_e32 v[10:11], v[101:102], v[10:11]
	v_add_f64_e32 v[6:7], v[6:7], v[109:110]
	v_add_f64_e32 v[2:3], v[2:3], v[107:108]
	ds_load_b128 v[107:110], v1 offset:608
	v_fma_f64 v[101:102], v[101:102], v[8:9], v[111:112]
	v_fma_f64 v[8:9], v[99:100], v[8:9], -v[10:11]
	s_wait_loadcnt_dscnt 0x801
	v_mul_f64_e32 v[117:118], v[63:64], v[105:106]
	v_mul_f64_e32 v[105:106], v[65:66], v[105:106]
	v_add_f64_e32 v[6:7], v[6:7], v[113:114]
	v_add_f64_e32 v[2:3], v[2:3], v[115:116]
	s_wait_loadcnt_dscnt 0x700
	v_mul_f64_e32 v[10:11], v[107:108], v[61:62]
	v_mul_f64_e32 v[99:100], v[109:110], v[61:62]
	v_fma_f64 v[65:66], v[65:66], v[103:104], v[117:118]
	v_fma_f64 v[103:104], v[63:64], v[103:104], -v[105:106]
	v_add_f64_e32 v[101:102], v[6:7], v[101:102]
	v_add_f64_e32 v[2:3], v[2:3], v[8:9]
	ds_load_b128 v[6:9], v1 offset:624
	ds_load_b128 v[61:64], v1 offset:640
	v_fma_f64 v[10:11], v[109:110], v[59:60], v[10:11]
	v_fma_f64 v[59:60], v[107:108], v[59:60], -v[99:100]
	s_wait_loadcnt_dscnt 0x601
	v_mul_f64_e32 v[105:106], v[6:7], v[89:90]
	v_mul_f64_e32 v[89:90], v[8:9], v[89:90]
	v_add_f64_e32 v[65:66], v[101:102], v[65:66]
	v_add_f64_e32 v[2:3], v[2:3], v[103:104]
	s_wait_loadcnt_dscnt 0x500
	v_mul_f64_e32 v[99:100], v[61:62], v[69:70]
	v_mul_f64_e32 v[69:70], v[63:64], v[69:70]
	v_fma_f64 v[101:102], v[8:9], v[87:88], v[105:106]
	v_fma_f64 v[103:104], v[6:7], v[87:88], -v[89:90]
	ds_load_b128 v[6:9], v1 offset:656
	ds_load_b128 v[87:90], v1 offset:672
	v_add_f64_e32 v[10:11], v[65:66], v[10:11]
	v_add_f64_e32 v[2:3], v[2:3], v[59:60]
	v_fma_f64 v[63:64], v[63:64], v[67:68], v[99:100]
	v_fma_f64 v[61:62], v[61:62], v[67:68], -v[69:70]
	s_wait_loadcnt_dscnt 0x401
	v_mul_f64_e32 v[59:60], v[6:7], v[73:74]
	v_mul_f64_e32 v[65:66], v[8:9], v[73:74]
	s_wait_loadcnt_dscnt 0x300
	v_mul_f64_e32 v[67:68], v[87:88], v[77:78]
	v_mul_f64_e32 v[69:70], v[89:90], v[77:78]
	v_add_f64_e32 v[10:11], v[10:11], v[101:102]
	v_add_f64_e32 v[2:3], v[2:3], v[103:104]
	v_fma_f64 v[73:74], v[8:9], v[71:72], v[59:60]
	v_fma_f64 v[65:66], v[6:7], v[71:72], -v[65:66]
	v_fma_f64 v[67:68], v[89:90], v[75:76], v[67:68]
	v_fma_f64 v[69:70], v[87:88], v[75:76], -v[69:70]
	v_add_f64_e32 v[10:11], v[10:11], v[63:64]
	v_add_f64_e32 v[2:3], v[2:3], v[61:62]
	ds_load_b128 v[6:9], v1 offset:688
	ds_load_b128 v[59:62], v1 offset:704
	s_wait_loadcnt_dscnt 0x201
	v_mul_f64_e32 v[63:64], v[6:7], v[81:82]
	v_mul_f64_e32 v[71:72], v[8:9], v[81:82]
	v_add_f64_e32 v[10:11], v[10:11], v[73:74]
	v_add_f64_e32 v[2:3], v[2:3], v[65:66]
	s_wait_loadcnt_dscnt 0x100
	v_mul_f64_e32 v[65:66], v[59:60], v[85:86]
	v_mul_f64_e32 v[73:74], v[61:62], v[85:86]
	v_fma_f64 v[63:64], v[8:9], v[79:80], v[63:64]
	v_fma_f64 v[71:72], v[6:7], v[79:80], -v[71:72]
	ds_load_b128 v[6:9], v1 offset:720
	v_add_f64_e32 v[10:11], v[10:11], v[67:68]
	v_add_f64_e32 v[2:3], v[2:3], v[69:70]
	v_fma_f64 v[61:62], v[61:62], v[83:84], v[65:66]
	v_fma_f64 v[59:60], v[59:60], v[83:84], -v[73:74]
	s_wait_loadcnt_dscnt 0x0
	v_mul_f64_e32 v[67:68], v[6:7], v[93:94]
	v_mul_f64_e32 v[69:70], v[8:9], v[93:94]
	v_add_f64_e32 v[10:11], v[10:11], v[63:64]
	v_add_f64_e32 v[2:3], v[2:3], v[71:72]
	s_delay_alu instid0(VALU_DEP_4) | instskip(NEXT) | instid1(VALU_DEP_4)
	v_fma_f64 v[8:9], v[8:9], v[91:92], v[67:68]
	v_fma_f64 v[6:7], v[6:7], v[91:92], -v[69:70]
	s_delay_alu instid0(VALU_DEP_4) | instskip(NEXT) | instid1(VALU_DEP_4)
	v_add_f64_e32 v[10:11], v[10:11], v[61:62]
	v_add_f64_e32 v[2:3], v[2:3], v[59:60]
	s_delay_alu instid0(VALU_DEP_2) | instskip(NEXT) | instid1(VALU_DEP_2)
	v_add_f64_e32 v[8:9], v[10:11], v[8:9]
	v_add_f64_e32 v[2:3], v[2:3], v[6:7]
	s_delay_alu instid0(VALU_DEP_2) | instskip(NEXT) | instid1(VALU_DEP_2)
	v_add_f64_e64 v[8:9], v[97:98], -v[8:9]
	v_add_f64_e64 v[6:7], v[95:96], -v[2:3]
	scratch_store_b128 off, v[6:9], off offset:64
	v_cmpx_lt_u32_e32 2, v0
	s_cbranch_execz .LBB22_147
; %bb.146:
	scratch_load_b128 v[6:9], off, s20
	v_dual_mov_b32 v2, v1 :: v_dual_mov_b32 v3, v1
	v_mov_b32_e32 v4, v1
	scratch_store_b128 off, v[1:4], off offset:48
	s_wait_loadcnt 0x0
	ds_store_b128 v5, v[6:9]
.LBB22_147:
	s_wait_alu 0xfffe
	s_or_b32 exec_lo, exec_lo, s0
	s_wait_storecnt_dscnt 0x0
	s_barrier_signal -1
	s_barrier_wait -1
	global_inv scope:SCOPE_SE
	s_clause 0x8
	scratch_load_b128 v[6:9], off, off offset:64
	scratch_load_b128 v[59:62], off, off offset:80
	;; [unrolled: 1-line block ×9, first 2 shown]
	ds_load_b128 v[91:94], v1 offset:416
	ds_load_b128 v[95:98], v1 offset:432
	scratch_load_b128 v[99:102], off, off offset:48
	s_mov_b32 s0, exec_lo
	ds_load_b128 v[107:110], v1 offset:464
	s_wait_loadcnt_dscnt 0x902
	v_mul_f64_e32 v[2:3], v[93:94], v[8:9]
	v_mul_f64_e32 v[103:104], v[91:92], v[8:9]
	scratch_load_b128 v[8:11], off, off offset:208
	s_wait_loadcnt_dscnt 0x901
	v_mul_f64_e32 v[111:112], v[95:96], v[61:62]
	v_mul_f64_e32 v[61:62], v[97:98], v[61:62]
	v_fma_f64 v[2:3], v[91:92], v[6:7], -v[2:3]
	v_fma_f64 v[6:7], v[93:94], v[6:7], v[103:104]
	ds_load_b128 v[91:94], v1 offset:448
	scratch_load_b128 v[103:106], off, off offset:224
	v_fma_f64 v[97:98], v[97:98], v[59:60], v[111:112]
	v_fma_f64 v[95:96], v[95:96], v[59:60], -v[61:62]
	scratch_load_b128 v[59:62], off, off offset:240
	s_wait_loadcnt_dscnt 0x901
	v_mul_f64_e32 v[111:112], v[107:108], v[69:70]
	v_mul_f64_e32 v[69:70], v[109:110], v[69:70]
	s_wait_dscnt 0x0
	v_mul_f64_e32 v[113:114], v[91:92], v[65:66]
	v_mul_f64_e32 v[65:66], v[93:94], v[65:66]
	v_add_f64_e32 v[2:3], 0, v[2:3]
	v_add_f64_e32 v[6:7], 0, v[6:7]
	v_fma_f64 v[109:110], v[109:110], v[67:68], v[111:112]
	v_fma_f64 v[107:108], v[107:108], v[67:68], -v[69:70]
	scratch_load_b128 v[67:70], off, off offset:272
	v_fma_f64 v[113:114], v[93:94], v[63:64], v[113:114]
	v_fma_f64 v[115:116], v[91:92], v[63:64], -v[65:66]
	ds_load_b128 v[63:66], v1 offset:480
	scratch_load_b128 v[91:94], off, off offset:256
	v_add_f64_e32 v[2:3], v[2:3], v[95:96]
	v_add_f64_e32 v[6:7], v[6:7], v[97:98]
	ds_load_b128 v[95:98], v1 offset:496
	s_wait_loadcnt_dscnt 0xa01
	v_mul_f64_e32 v[117:118], v[63:64], v[73:74]
	v_mul_f64_e32 v[73:74], v[65:66], v[73:74]
	s_wait_loadcnt_dscnt 0x900
	v_mul_f64_e32 v[111:112], v[95:96], v[77:78]
	v_mul_f64_e32 v[77:78], v[97:98], v[77:78]
	v_add_f64_e32 v[2:3], v[2:3], v[115:116]
	v_add_f64_e32 v[6:7], v[6:7], v[113:114]
	v_fma_f64 v[113:114], v[65:66], v[71:72], v[117:118]
	v_fma_f64 v[115:116], v[63:64], v[71:72], -v[73:74]
	ds_load_b128 v[63:66], v1 offset:512
	scratch_load_b128 v[71:74], off, off offset:288
	v_fma_f64 v[97:98], v[97:98], v[75:76], v[111:112]
	v_fma_f64 v[95:96], v[95:96], v[75:76], -v[77:78]
	scratch_load_b128 v[75:78], off, off offset:304
	v_add_f64_e32 v[2:3], v[2:3], v[107:108]
	v_add_f64_e32 v[6:7], v[6:7], v[109:110]
	ds_load_b128 v[107:110], v1 offset:528
	s_wait_loadcnt_dscnt 0xa01
	v_mul_f64_e32 v[117:118], v[63:64], v[81:82]
	v_mul_f64_e32 v[81:82], v[65:66], v[81:82]
	s_wait_loadcnt_dscnt 0x900
	v_mul_f64_e32 v[111:112], v[107:108], v[85:86]
	v_mul_f64_e32 v[85:86], v[109:110], v[85:86]
	v_add_f64_e32 v[2:3], v[2:3], v[115:116]
	v_add_f64_e32 v[6:7], v[6:7], v[113:114]
	v_fma_f64 v[113:114], v[65:66], v[79:80], v[117:118]
	v_fma_f64 v[115:116], v[63:64], v[79:80], -v[81:82]
	ds_load_b128 v[63:66], v1 offset:544
	scratch_load_b128 v[79:82], off, off offset:320
	v_fma_f64 v[109:110], v[109:110], v[83:84], v[111:112]
	v_fma_f64 v[107:108], v[107:108], v[83:84], -v[85:86]
	scratch_load_b128 v[83:86], off, off offset:336
	v_add_f64_e32 v[2:3], v[2:3], v[95:96]
	v_add_f64_e32 v[6:7], v[6:7], v[97:98]
	ds_load_b128 v[95:98], v1 offset:560
	s_wait_loadcnt_dscnt 0xa01
	v_mul_f64_e32 v[117:118], v[63:64], v[89:90]
	v_mul_f64_e32 v[89:90], v[65:66], v[89:90]
	v_add_f64_e32 v[2:3], v[2:3], v[115:116]
	v_add_f64_e32 v[6:7], v[6:7], v[113:114]
	s_delay_alu instid0(VALU_DEP_4) | instskip(NEXT) | instid1(VALU_DEP_4)
	v_fma_f64 v[113:114], v[65:66], v[87:88], v[117:118]
	v_fma_f64 v[115:116], v[63:64], v[87:88], -v[89:90]
	ds_load_b128 v[63:66], v1 offset:576
	scratch_load_b128 v[87:90], off, off offset:352
	s_wait_loadcnt_dscnt 0x901
	v_mul_f64_e32 v[111:112], v[95:96], v[10:11]
	v_mul_f64_e32 v[10:11], v[97:98], v[10:11]
	v_add_f64_e32 v[2:3], v[2:3], v[107:108]
	v_add_f64_e32 v[6:7], v[6:7], v[109:110]
	ds_load_b128 v[107:110], v1 offset:592
	v_fma_f64 v[97:98], v[97:98], v[8:9], v[111:112]
	s_wait_loadcnt_dscnt 0x801
	v_mul_f64_e32 v[117:118], v[63:64], v[105:106]
	v_mul_f64_e32 v[105:106], v[65:66], v[105:106]
	v_fma_f64 v[10:11], v[95:96], v[8:9], -v[10:11]
	s_wait_loadcnt_dscnt 0x700
	v_mul_f64_e32 v[111:112], v[107:108], v[61:62]
	v_add_f64_e32 v[2:3], v[2:3], v[115:116]
	v_add_f64_e32 v[95:96], v[6:7], v[113:114]
	scratch_load_b128 v[6:9], off, off offset:368
	v_mul_f64_e32 v[113:114], v[109:110], v[61:62]
	v_fma_f64 v[65:66], v[65:66], v[103:104], v[117:118]
	v_fma_f64 v[103:104], v[63:64], v[103:104], -v[105:106]
	v_fma_f64 v[109:110], v[109:110], v[59:60], v[111:112]
	v_add_f64_e32 v[2:3], v[2:3], v[10:11]
	v_add_f64_e32 v[10:11], v[95:96], v[97:98]
	ds_load_b128 v[61:64], v1 offset:608
	ds_load_b128 v[95:98], v1 offset:624
	v_fma_f64 v[59:60], v[107:108], v[59:60], -v[113:114]
	s_wait_loadcnt_dscnt 0x601
	v_mul_f64_e32 v[105:106], v[61:62], v[93:94]
	v_mul_f64_e32 v[93:94], v[63:64], v[93:94]
	v_add_f64_e32 v[2:3], v[2:3], v[103:104]
	v_add_f64_e32 v[10:11], v[10:11], v[65:66]
	s_wait_dscnt 0x0
	v_mul_f64_e32 v[103:104], v[95:96], v[69:70]
	v_mul_f64_e32 v[69:70], v[97:98], v[69:70]
	v_fma_f64 v[105:106], v[63:64], v[91:92], v[105:106]
	v_fma_f64 v[91:92], v[61:62], v[91:92], -v[93:94]
	v_add_f64_e32 v[2:3], v[2:3], v[59:60]
	v_add_f64_e32 v[10:11], v[10:11], v[109:110]
	ds_load_b128 v[59:62], v1 offset:640
	ds_load_b128 v[63:66], v1 offset:656
	v_fma_f64 v[97:98], v[97:98], v[67:68], v[103:104]
	v_fma_f64 v[67:68], v[95:96], v[67:68], -v[69:70]
	s_wait_loadcnt_dscnt 0x501
	v_mul_f64_e32 v[93:94], v[59:60], v[73:74]
	v_mul_f64_e32 v[73:74], v[61:62], v[73:74]
	v_add_f64_e32 v[2:3], v[2:3], v[91:92]
	v_add_f64_e32 v[10:11], v[10:11], v[105:106]
	s_wait_loadcnt_dscnt 0x400
	v_mul_f64_e32 v[91:92], v[63:64], v[77:78]
	v_mul_f64_e32 v[77:78], v[65:66], v[77:78]
	v_fma_f64 v[93:94], v[61:62], v[71:72], v[93:94]
	v_fma_f64 v[71:72], v[59:60], v[71:72], -v[73:74]
	v_add_f64_e32 v[2:3], v[2:3], v[67:68]
	v_add_f64_e32 v[10:11], v[10:11], v[97:98]
	ds_load_b128 v[59:62], v1 offset:672
	ds_load_b128 v[67:70], v1 offset:688
	v_fma_f64 v[65:66], v[65:66], v[75:76], v[91:92]
	v_fma_f64 v[63:64], v[63:64], v[75:76], -v[77:78]
	s_wait_loadcnt_dscnt 0x301
	v_mul_f64_e32 v[73:74], v[59:60], v[81:82]
	v_mul_f64_e32 v[81:82], v[61:62], v[81:82]
	s_wait_loadcnt_dscnt 0x200
	v_mul_f64_e32 v[75:76], v[69:70], v[85:86]
	v_add_f64_e32 v[2:3], v[2:3], v[71:72]
	v_add_f64_e32 v[10:11], v[10:11], v[93:94]
	v_mul_f64_e32 v[71:72], v[67:68], v[85:86]
	v_fma_f64 v[73:74], v[61:62], v[79:80], v[73:74]
	v_fma_f64 v[77:78], v[59:60], v[79:80], -v[81:82]
	v_fma_f64 v[67:68], v[67:68], v[83:84], -v[75:76]
	v_add_f64_e32 v[63:64], v[2:3], v[63:64]
	v_add_f64_e32 v[10:11], v[10:11], v[65:66]
	ds_load_b128 v[59:62], v1 offset:704
	ds_load_b128 v[1:4], v1 offset:720
	v_fma_f64 v[69:70], v[69:70], v[83:84], v[71:72]
	s_wait_loadcnt_dscnt 0x101
	v_mul_f64_e32 v[65:66], v[59:60], v[89:90]
	v_mul_f64_e32 v[79:80], v[61:62], v[89:90]
	v_add_f64_e32 v[63:64], v[63:64], v[77:78]
	v_add_f64_e32 v[10:11], v[10:11], v[73:74]
	s_wait_loadcnt_dscnt 0x0
	v_mul_f64_e32 v[71:72], v[1:2], v[8:9]
	v_mul_f64_e32 v[8:9], v[3:4], v[8:9]
	v_fma_f64 v[61:62], v[61:62], v[87:88], v[65:66]
	v_fma_f64 v[59:60], v[59:60], v[87:88], -v[79:80]
	v_add_f64_e32 v[63:64], v[63:64], v[67:68]
	v_add_f64_e32 v[10:11], v[10:11], v[69:70]
	v_fma_f64 v[3:4], v[3:4], v[6:7], v[71:72]
	v_fma_f64 v[1:2], v[1:2], v[6:7], -v[8:9]
	s_delay_alu instid0(VALU_DEP_4) | instskip(NEXT) | instid1(VALU_DEP_4)
	v_add_f64_e32 v[6:7], v[63:64], v[59:60]
	v_add_f64_e32 v[8:9], v[10:11], v[61:62]
	s_delay_alu instid0(VALU_DEP_2) | instskip(NEXT) | instid1(VALU_DEP_2)
	v_add_f64_e32 v[1:2], v[6:7], v[1:2]
	v_add_f64_e32 v[3:4], v[8:9], v[3:4]
	s_delay_alu instid0(VALU_DEP_2) | instskip(NEXT) | instid1(VALU_DEP_2)
	v_add_f64_e64 v[1:2], v[99:100], -v[1:2]
	v_add_f64_e64 v[3:4], v[101:102], -v[3:4]
	scratch_store_b128 off, v[1:4], off offset:48
	v_cmpx_lt_u32_e32 1, v0
	s_cbranch_execz .LBB22_149
; %bb.148:
	scratch_load_b128 v[1:4], off, s22
	v_mov_b32_e32 v6, 0
	s_delay_alu instid0(VALU_DEP_1)
	v_dual_mov_b32 v7, v6 :: v_dual_mov_b32 v8, v6
	v_mov_b32_e32 v9, v6
	scratch_store_b128 off, v[6:9], off offset:32
	s_wait_loadcnt 0x0
	ds_store_b128 v5, v[1:4]
.LBB22_149:
	s_wait_alu 0xfffe
	s_or_b32 exec_lo, exec_lo, s0
	s_wait_storecnt_dscnt 0x0
	s_barrier_signal -1
	s_barrier_wait -1
	global_inv scope:SCOPE_SE
	s_clause 0x7
	scratch_load_b128 v[6:9], off, off offset:48
	scratch_load_b128 v[59:62], off, off offset:64
	;; [unrolled: 1-line block ×8, first 2 shown]
	v_mov_b32_e32 v1, 0
	s_mov_b32 s0, exec_lo
	ds_load_b128 v[87:90], v1 offset:400
	s_clause 0x1
	scratch_load_b128 v[91:94], off, off offset:176
	scratch_load_b128 v[95:98], off, off offset:32
	ds_load_b128 v[99:102], v1 offset:416
	ds_load_b128 v[107:110], v1 offset:448
	s_wait_loadcnt_dscnt 0x902
	v_mul_f64_e32 v[2:3], v[89:90], v[8:9]
	v_mul_f64_e32 v[103:104], v[87:88], v[8:9]
	scratch_load_b128 v[8:11], off, off offset:192
	v_fma_f64 v[2:3], v[87:88], v[6:7], -v[2:3]
	v_fma_f64 v[6:7], v[89:90], v[6:7], v[103:104]
	ds_load_b128 v[87:90], v1 offset:432
	s_wait_loadcnt_dscnt 0x902
	v_mul_f64_e32 v[111:112], v[99:100], v[61:62]
	v_mul_f64_e32 v[61:62], v[101:102], v[61:62]
	scratch_load_b128 v[103:106], off, off offset:208
	s_wait_loadcnt_dscnt 0x900
	v_mul_f64_e32 v[113:114], v[87:88], v[65:66]
	v_mul_f64_e32 v[65:66], v[89:90], v[65:66]
	v_add_f64_e32 v[2:3], 0, v[2:3]
	v_add_f64_e32 v[6:7], 0, v[6:7]
	v_fma_f64 v[101:102], v[101:102], v[59:60], v[111:112]
	v_fma_f64 v[99:100], v[99:100], v[59:60], -v[61:62]
	scratch_load_b128 v[59:62], off, off offset:224
	v_fma_f64 v[113:114], v[89:90], v[63:64], v[113:114]
	v_fma_f64 v[115:116], v[87:88], v[63:64], -v[65:66]
	ds_load_b128 v[63:66], v1 offset:464
	s_wait_loadcnt 0x9
	v_mul_f64_e32 v[111:112], v[107:108], v[69:70]
	v_mul_f64_e32 v[69:70], v[109:110], v[69:70]
	scratch_load_b128 v[87:90], off, off offset:240
	v_add_f64_e32 v[6:7], v[6:7], v[101:102]
	v_add_f64_e32 v[2:3], v[2:3], v[99:100]
	ds_load_b128 v[99:102], v1 offset:480
	s_wait_loadcnt_dscnt 0x901
	v_mul_f64_e32 v[117:118], v[63:64], v[73:74]
	v_mul_f64_e32 v[73:74], v[65:66], v[73:74]
	v_fma_f64 v[109:110], v[109:110], v[67:68], v[111:112]
	v_fma_f64 v[107:108], v[107:108], v[67:68], -v[69:70]
	scratch_load_b128 v[67:70], off, off offset:256
	v_add_f64_e32 v[6:7], v[6:7], v[113:114]
	v_add_f64_e32 v[2:3], v[2:3], v[115:116]
	v_fma_f64 v[113:114], v[65:66], v[71:72], v[117:118]
	v_fma_f64 v[115:116], v[63:64], v[71:72], -v[73:74]
	ds_load_b128 v[63:66], v1 offset:496
	s_wait_loadcnt_dscnt 0x901
	v_mul_f64_e32 v[111:112], v[99:100], v[77:78]
	v_mul_f64_e32 v[77:78], v[101:102], v[77:78]
	scratch_load_b128 v[71:74], off, off offset:272
	s_wait_loadcnt_dscnt 0x900
	v_mul_f64_e32 v[117:118], v[63:64], v[81:82]
	v_mul_f64_e32 v[81:82], v[65:66], v[81:82]
	v_add_f64_e32 v[6:7], v[6:7], v[109:110]
	v_add_f64_e32 v[2:3], v[2:3], v[107:108]
	ds_load_b128 v[107:110], v1 offset:512
	v_fma_f64 v[101:102], v[101:102], v[75:76], v[111:112]
	v_fma_f64 v[99:100], v[99:100], v[75:76], -v[77:78]
	scratch_load_b128 v[75:78], off, off offset:288
	v_add_f64_e32 v[6:7], v[6:7], v[113:114]
	v_add_f64_e32 v[2:3], v[2:3], v[115:116]
	v_fma_f64 v[113:114], v[65:66], v[79:80], v[117:118]
	v_fma_f64 v[115:116], v[63:64], v[79:80], -v[81:82]
	ds_load_b128 v[63:66], v1 offset:528
	s_wait_loadcnt_dscnt 0x901
	v_mul_f64_e32 v[111:112], v[107:108], v[85:86]
	v_mul_f64_e32 v[85:86], v[109:110], v[85:86]
	scratch_load_b128 v[79:82], off, off offset:304
	s_wait_loadcnt_dscnt 0x900
	v_mul_f64_e32 v[117:118], v[63:64], v[93:94]
	v_mul_f64_e32 v[93:94], v[65:66], v[93:94]
	v_add_f64_e32 v[6:7], v[6:7], v[101:102]
	v_add_f64_e32 v[2:3], v[2:3], v[99:100]
	ds_load_b128 v[99:102], v1 offset:544
	v_fma_f64 v[109:110], v[109:110], v[83:84], v[111:112]
	v_fma_f64 v[107:108], v[107:108], v[83:84], -v[85:86]
	scratch_load_b128 v[83:86], off, off offset:320
	v_add_f64_e32 v[6:7], v[6:7], v[113:114]
	v_add_f64_e32 v[2:3], v[2:3], v[115:116]
	v_fma_f64 v[113:114], v[65:66], v[91:92], v[117:118]
	v_fma_f64 v[115:116], v[63:64], v[91:92], -v[93:94]
	ds_load_b128 v[63:66], v1 offset:560
	scratch_load_b128 v[91:94], off, off offset:336
	s_wait_loadcnt_dscnt 0x901
	v_mul_f64_e32 v[111:112], v[99:100], v[10:11]
	v_mul_f64_e32 v[10:11], v[101:102], v[10:11]
	v_add_f64_e32 v[6:7], v[6:7], v[109:110]
	v_add_f64_e32 v[2:3], v[2:3], v[107:108]
	ds_load_b128 v[107:110], v1 offset:576
	v_fma_f64 v[101:102], v[101:102], v[8:9], v[111:112]
	v_fma_f64 v[10:11], v[99:100], v[8:9], -v[10:11]
	s_wait_loadcnt_dscnt 0x801
	v_mul_f64_e32 v[117:118], v[63:64], v[105:106]
	v_mul_f64_e32 v[105:106], v[65:66], v[105:106]
	v_add_f64_e32 v[99:100], v[6:7], v[113:114]
	v_add_f64_e32 v[2:3], v[2:3], v[115:116]
	scratch_load_b128 v[6:9], off, off offset:352
	v_fma_f64 v[65:66], v[65:66], v[103:104], v[117:118]
	v_fma_f64 v[115:116], v[63:64], v[103:104], -v[105:106]
	ds_load_b128 v[103:106], v1 offset:608
	s_wait_loadcnt_dscnt 0x801
	v_mul_f64_e32 v[111:112], v[107:108], v[61:62]
	v_mul_f64_e32 v[113:114], v[109:110], v[61:62]
	ds_load_b128 v[61:64], v1 offset:592
	v_add_f64_e32 v[2:3], v[2:3], v[10:11]
	v_add_f64_e32 v[10:11], v[99:100], v[101:102]
	scratch_load_b128 v[99:102], off, off offset:368
	s_wait_loadcnt_dscnt 0x800
	v_mul_f64_e32 v[117:118], v[61:62], v[89:90]
	v_mul_f64_e32 v[89:90], v[63:64], v[89:90]
	v_fma_f64 v[109:110], v[109:110], v[59:60], v[111:112]
	v_fma_f64 v[59:60], v[107:108], v[59:60], -v[113:114]
	v_add_f64_e32 v[2:3], v[2:3], v[115:116]
	v_add_f64_e32 v[10:11], v[10:11], v[65:66]
	s_wait_loadcnt 0x7
	v_mul_f64_e32 v[107:108], v[103:104], v[69:70]
	v_mul_f64_e32 v[69:70], v[105:106], v[69:70]
	v_fma_f64 v[111:112], v[63:64], v[87:88], v[117:118]
	v_fma_f64 v[87:88], v[61:62], v[87:88], -v[89:90]
	v_add_f64_e32 v[2:3], v[2:3], v[59:60]
	v_add_f64_e32 v[10:11], v[10:11], v[109:110]
	ds_load_b128 v[59:62], v1 offset:624
	ds_load_b128 v[63:66], v1 offset:640
	v_fma_f64 v[105:106], v[105:106], v[67:68], v[107:108]
	v_fma_f64 v[67:68], v[103:104], v[67:68], -v[69:70]
	s_wait_loadcnt_dscnt 0x601
	v_mul_f64_e32 v[89:90], v[59:60], v[73:74]
	v_mul_f64_e32 v[73:74], v[61:62], v[73:74]
	v_add_f64_e32 v[2:3], v[2:3], v[87:88]
	v_add_f64_e32 v[10:11], v[10:11], v[111:112]
	s_wait_loadcnt_dscnt 0x500
	v_mul_f64_e32 v[87:88], v[63:64], v[77:78]
	v_mul_f64_e32 v[77:78], v[65:66], v[77:78]
	v_fma_f64 v[89:90], v[61:62], v[71:72], v[89:90]
	v_fma_f64 v[71:72], v[59:60], v[71:72], -v[73:74]
	v_add_f64_e32 v[2:3], v[2:3], v[67:68]
	v_add_f64_e32 v[10:11], v[10:11], v[105:106]
	ds_load_b128 v[59:62], v1 offset:656
	ds_load_b128 v[67:70], v1 offset:672
	v_fma_f64 v[65:66], v[65:66], v[75:76], v[87:88]
	v_fma_f64 v[63:64], v[63:64], v[75:76], -v[77:78]
	s_wait_loadcnt_dscnt 0x401
	v_mul_f64_e32 v[73:74], v[59:60], v[81:82]
	v_mul_f64_e32 v[81:82], v[61:62], v[81:82]
	s_wait_loadcnt_dscnt 0x300
	v_mul_f64_e32 v[75:76], v[69:70], v[85:86]
	v_add_f64_e32 v[2:3], v[2:3], v[71:72]
	v_add_f64_e32 v[10:11], v[10:11], v[89:90]
	v_mul_f64_e32 v[71:72], v[67:68], v[85:86]
	v_fma_f64 v[73:74], v[61:62], v[79:80], v[73:74]
	v_fma_f64 v[77:78], v[59:60], v[79:80], -v[81:82]
	v_fma_f64 v[67:68], v[67:68], v[83:84], -v[75:76]
	v_add_f64_e32 v[2:3], v[2:3], v[63:64]
	v_add_f64_e32 v[10:11], v[10:11], v[65:66]
	ds_load_b128 v[59:62], v1 offset:688
	ds_load_b128 v[63:66], v1 offset:704
	v_fma_f64 v[69:70], v[69:70], v[83:84], v[71:72]
	s_wait_loadcnt_dscnt 0x201
	v_mul_f64_e32 v[79:80], v[59:60], v[93:94]
	v_mul_f64_e32 v[81:82], v[61:62], v[93:94]
	v_add_f64_e32 v[2:3], v[2:3], v[77:78]
	v_add_f64_e32 v[10:11], v[10:11], v[73:74]
	s_wait_loadcnt_dscnt 0x100
	v_mul_f64_e32 v[71:72], v[63:64], v[8:9]
	v_mul_f64_e32 v[73:74], v[65:66], v[8:9]
	v_fma_f64 v[61:62], v[61:62], v[91:92], v[79:80]
	v_fma_f64 v[59:60], v[59:60], v[91:92], -v[81:82]
	v_add_f64_e32 v[2:3], v[2:3], v[67:68]
	v_add_f64_e32 v[67:68], v[10:11], v[69:70]
	ds_load_b128 v[8:11], v1 offset:720
	v_fma_f64 v[65:66], v[65:66], v[6:7], v[71:72]
	v_fma_f64 v[6:7], v[63:64], v[6:7], -v[73:74]
	s_wait_loadcnt_dscnt 0x0
	v_mul_f64_e32 v[69:70], v[8:9], v[101:102]
	v_mul_f64_e32 v[75:76], v[10:11], v[101:102]
	v_add_f64_e32 v[2:3], v[2:3], v[59:60]
	v_add_f64_e32 v[59:60], v[67:68], v[61:62]
	s_delay_alu instid0(VALU_DEP_4) | instskip(NEXT) | instid1(VALU_DEP_4)
	v_fma_f64 v[10:11], v[10:11], v[99:100], v[69:70]
	v_fma_f64 v[8:9], v[8:9], v[99:100], -v[75:76]
	s_delay_alu instid0(VALU_DEP_4) | instskip(NEXT) | instid1(VALU_DEP_4)
	v_add_f64_e32 v[2:3], v[2:3], v[6:7]
	v_add_f64_e32 v[6:7], v[59:60], v[65:66]
	s_delay_alu instid0(VALU_DEP_2) | instskip(NEXT) | instid1(VALU_DEP_2)
	v_add_f64_e32 v[2:3], v[2:3], v[8:9]
	v_add_f64_e32 v[8:9], v[6:7], v[10:11]
	s_delay_alu instid0(VALU_DEP_2) | instskip(NEXT) | instid1(VALU_DEP_2)
	v_add_f64_e64 v[6:7], v[95:96], -v[2:3]
	v_add_f64_e64 v[8:9], v[97:98], -v[8:9]
	scratch_store_b128 off, v[6:9], off offset:32
	v_cmpx_ne_u32_e32 0, v0
	s_cbranch_execz .LBB22_151
; %bb.150:
	scratch_load_b128 v[6:9], off, off offset:16
	v_dual_mov_b32 v2, v1 :: v_dual_mov_b32 v3, v1
	v_mov_b32_e32 v4, v1
	scratch_store_b128 off, v[1:4], off offset:16
	s_wait_loadcnt 0x0
	ds_store_b128 v5, v[6:9]
.LBB22_151:
	s_wait_alu 0xfffe
	s_or_b32 exec_lo, exec_lo, s0
	s_wait_storecnt_dscnt 0x0
	s_barrier_signal -1
	s_barrier_wait -1
	global_inv scope:SCOPE_SE
	s_clause 0x8
	scratch_load_b128 v[2:5], off, off offset:32
	scratch_load_b128 v[6:9], off, off offset:48
	;; [unrolled: 1-line block ×9, first 2 shown]
	ds_load_b128 v[87:90], v1 offset:384
	ds_load_b128 v[91:94], v1 offset:400
	s_clause 0x1
	scratch_load_b128 v[95:98], off, off offset:16
	scratch_load_b128 v[99:102], off, off offset:176
	s_and_b32 vcc_lo, exec_lo, s18
	s_wait_loadcnt_dscnt 0xa01
	v_mul_f64_e32 v[10:11], v[89:90], v[4:5]
	v_mul_f64_e32 v[4:5], v[87:88], v[4:5]
	s_wait_loadcnt_dscnt 0x900
	v_mul_f64_e32 v[103:104], v[91:92], v[8:9]
	v_mul_f64_e32 v[105:106], v[93:94], v[8:9]
	s_delay_alu instid0(VALU_DEP_4) | instskip(NEXT) | instid1(VALU_DEP_4)
	v_fma_f64 v[107:108], v[87:88], v[2:3], -v[10:11]
	v_fma_f64 v[109:110], v[89:90], v[2:3], v[4:5]
	ds_load_b128 v[2:5], v1 offset:416
	ds_load_b128 v[87:90], v1 offset:432
	scratch_load_b128 v[8:11], off, off offset:192
	v_fma_f64 v[103:104], v[93:94], v[6:7], v[103:104]
	v_fma_f64 v[6:7], v[91:92], v[6:7], -v[105:106]
	scratch_load_b128 v[91:94], off, off offset:208
	s_wait_loadcnt_dscnt 0xa01
	v_mul_f64_e32 v[111:112], v[2:3], v[61:62]
	v_mul_f64_e32 v[61:62], v[4:5], v[61:62]
	v_add_f64_e32 v[105:106], 0, v[107:108]
	v_add_f64_e32 v[107:108], 0, v[109:110]
	s_wait_loadcnt_dscnt 0x900
	v_mul_f64_e32 v[109:110], v[87:88], v[65:66]
	v_mul_f64_e32 v[65:66], v[89:90], v[65:66]
	v_fma_f64 v[111:112], v[4:5], v[59:60], v[111:112]
	v_fma_f64 v[113:114], v[2:3], v[59:60], -v[61:62]
	ds_load_b128 v[2:5], v1 offset:448
	scratch_load_b128 v[59:62], off, off offset:224
	v_add_f64_e32 v[6:7], v[105:106], v[6:7]
	v_add_f64_e32 v[107:108], v[107:108], v[103:104]
	ds_load_b128 v[103:106], v1 offset:464
	v_fma_f64 v[89:90], v[89:90], v[63:64], v[109:110]
	v_fma_f64 v[87:88], v[87:88], v[63:64], -v[65:66]
	scratch_load_b128 v[63:66], off, off offset:240
	s_wait_loadcnt_dscnt 0xa01
	v_mul_f64_e32 v[115:116], v[2:3], v[69:70]
	v_mul_f64_e32 v[69:70], v[4:5], v[69:70]
	s_wait_loadcnt_dscnt 0x900
	v_mul_f64_e32 v[109:110], v[103:104], v[73:74]
	v_mul_f64_e32 v[73:74], v[105:106], v[73:74]
	v_add_f64_e32 v[6:7], v[6:7], v[113:114]
	v_add_f64_e32 v[107:108], v[107:108], v[111:112]
	v_fma_f64 v[111:112], v[4:5], v[67:68], v[115:116]
	v_fma_f64 v[113:114], v[2:3], v[67:68], -v[69:70]
	ds_load_b128 v[2:5], v1 offset:480
	scratch_load_b128 v[67:70], off, off offset:256
	v_fma_f64 v[105:106], v[105:106], v[71:72], v[109:110]
	v_fma_f64 v[103:104], v[103:104], v[71:72], -v[73:74]
	scratch_load_b128 v[71:74], off, off offset:272
	v_add_f64_e32 v[6:7], v[6:7], v[87:88]
	v_add_f64_e32 v[107:108], v[107:108], v[89:90]
	ds_load_b128 v[87:90], v1 offset:496
	s_wait_loadcnt_dscnt 0xa01
	v_mul_f64_e32 v[115:116], v[2:3], v[77:78]
	v_mul_f64_e32 v[77:78], v[4:5], v[77:78]
	s_wait_loadcnt_dscnt 0x900
	v_mul_f64_e32 v[109:110], v[87:88], v[81:82]
	v_mul_f64_e32 v[81:82], v[89:90], v[81:82]
	v_add_f64_e32 v[6:7], v[6:7], v[113:114]
	v_add_f64_e32 v[107:108], v[107:108], v[111:112]
	v_fma_f64 v[111:112], v[4:5], v[75:76], v[115:116]
	v_fma_f64 v[113:114], v[2:3], v[75:76], -v[77:78]
	ds_load_b128 v[2:5], v1 offset:512
	scratch_load_b128 v[75:78], off, off offset:288
	v_fma_f64 v[89:90], v[89:90], v[79:80], v[109:110]
	v_fma_f64 v[87:88], v[87:88], v[79:80], -v[81:82]
	scratch_load_b128 v[79:82], off, off offset:304
	v_add_f64_e32 v[6:7], v[6:7], v[103:104]
	v_add_f64_e32 v[107:108], v[107:108], v[105:106]
	ds_load_b128 v[103:106], v1 offset:528
	s_wait_loadcnt_dscnt 0xa01
	v_mul_f64_e32 v[115:116], v[2:3], v[85:86]
	v_mul_f64_e32 v[85:86], v[4:5], v[85:86]
	s_wait_loadcnt_dscnt 0x800
	v_mul_f64_e32 v[109:110], v[103:104], v[101:102]
	v_mul_f64_e32 v[101:102], v[105:106], v[101:102]
	v_add_f64_e32 v[6:7], v[6:7], v[113:114]
	v_add_f64_e32 v[107:108], v[107:108], v[111:112]
	v_fma_f64 v[111:112], v[4:5], v[83:84], v[115:116]
	v_fma_f64 v[113:114], v[2:3], v[83:84], -v[85:86]
	ds_load_b128 v[2:5], v1 offset:544
	scratch_load_b128 v[83:86], off, off offset:320
	v_fma_f64 v[105:106], v[105:106], v[99:100], v[109:110]
	v_fma_f64 v[103:104], v[103:104], v[99:100], -v[101:102]
	scratch_load_b128 v[99:102], off, off offset:336
	v_add_f64_e32 v[6:7], v[6:7], v[87:88]
	v_add_f64_e32 v[107:108], v[107:108], v[89:90]
	ds_load_b128 v[87:90], v1 offset:560
	s_wait_loadcnt_dscnt 0x901
	v_mul_f64_e32 v[115:116], v[2:3], v[10:11]
	v_mul_f64_e32 v[10:11], v[4:5], v[10:11]
	s_wait_loadcnt_dscnt 0x800
	v_mul_f64_e32 v[109:110], v[87:88], v[93:94]
	v_mul_f64_e32 v[93:94], v[89:90], v[93:94]
	v_add_f64_e32 v[6:7], v[6:7], v[113:114]
	v_add_f64_e32 v[107:108], v[107:108], v[111:112]
	v_fma_f64 v[111:112], v[4:5], v[8:9], v[115:116]
	v_fma_f64 v[10:11], v[2:3], v[8:9], -v[10:11]
	ds_load_b128 v[2:5], v1 offset:576
	v_fma_f64 v[109:110], v[89:90], v[91:92], v[109:110]
	v_fma_f64 v[91:92], v[87:88], v[91:92], -v[93:94]
	scratch_load_b128 v[87:90], off, off offset:368
	v_add_f64_e32 v[113:114], v[6:7], v[103:104]
	v_add_f64_e32 v[107:108], v[107:108], v[105:106]
	scratch_load_b128 v[6:9], off, off offset:352
	ds_load_b128 v[103:106], v1 offset:592
	s_wait_loadcnt_dscnt 0x901
	v_mul_f64_e32 v[115:116], v[2:3], v[61:62]
	v_mul_f64_e32 v[61:62], v[4:5], v[61:62]
	v_add_f64_e32 v[10:11], v[113:114], v[10:11]
	v_add_f64_e32 v[93:94], v[107:108], v[111:112]
	s_wait_loadcnt_dscnt 0x800
	v_mul_f64_e32 v[107:108], v[103:104], v[65:66]
	v_mul_f64_e32 v[65:66], v[105:106], v[65:66]
	v_fma_f64 v[111:112], v[4:5], v[59:60], v[115:116]
	v_fma_f64 v[113:114], v[2:3], v[59:60], -v[61:62]
	ds_load_b128 v[2:5], v1 offset:608
	ds_load_b128 v[59:62], v1 offset:624
	v_add_f64_e32 v[10:11], v[10:11], v[91:92]
	v_add_f64_e32 v[91:92], v[93:94], v[109:110]
	s_wait_loadcnt_dscnt 0x701
	v_mul_f64_e32 v[93:94], v[2:3], v[69:70]
	v_mul_f64_e32 v[69:70], v[4:5], v[69:70]
	v_fma_f64 v[105:106], v[105:106], v[63:64], v[107:108]
	v_fma_f64 v[63:64], v[103:104], v[63:64], -v[65:66]
	v_add_f64_e32 v[10:11], v[10:11], v[113:114]
	v_add_f64_e32 v[65:66], v[91:92], v[111:112]
	s_wait_loadcnt_dscnt 0x600
	v_mul_f64_e32 v[91:92], v[59:60], v[73:74]
	v_mul_f64_e32 v[73:74], v[61:62], v[73:74]
	v_fma_f64 v[93:94], v[4:5], v[67:68], v[93:94]
	v_fma_f64 v[67:68], v[2:3], v[67:68], -v[69:70]
	v_add_f64_e32 v[10:11], v[10:11], v[63:64]
	v_add_f64_e32 v[69:70], v[65:66], v[105:106]
	ds_load_b128 v[2:5], v1 offset:640
	ds_load_b128 v[63:66], v1 offset:656
	v_fma_f64 v[61:62], v[61:62], v[71:72], v[91:92]
	v_fma_f64 v[59:60], v[59:60], v[71:72], -v[73:74]
	s_wait_loadcnt_dscnt 0x501
	v_mul_f64_e32 v[103:104], v[2:3], v[77:78]
	v_mul_f64_e32 v[77:78], v[4:5], v[77:78]
	s_wait_loadcnt_dscnt 0x400
	v_mul_f64_e32 v[71:72], v[65:66], v[81:82]
	v_add_f64_e32 v[10:11], v[10:11], v[67:68]
	v_add_f64_e32 v[67:68], v[69:70], v[93:94]
	v_mul_f64_e32 v[69:70], v[63:64], v[81:82]
	v_fma_f64 v[73:74], v[4:5], v[75:76], v[103:104]
	v_fma_f64 v[75:76], v[2:3], v[75:76], -v[77:78]
	v_fma_f64 v[63:64], v[63:64], v[79:80], -v[71:72]
	v_add_f64_e32 v[10:11], v[10:11], v[59:60]
	v_add_f64_e32 v[67:68], v[67:68], v[61:62]
	ds_load_b128 v[2:5], v1 offset:672
	ds_load_b128 v[59:62], v1 offset:688
	v_fma_f64 v[65:66], v[65:66], v[79:80], v[69:70]
	s_wait_loadcnt_dscnt 0x301
	v_mul_f64_e32 v[77:78], v[2:3], v[85:86]
	v_mul_f64_e32 v[81:82], v[4:5], v[85:86]
	s_wait_loadcnt_dscnt 0x200
	v_mul_f64_e32 v[69:70], v[59:60], v[101:102]
	v_mul_f64_e32 v[71:72], v[61:62], v[101:102]
	v_add_f64_e32 v[10:11], v[10:11], v[75:76]
	v_add_f64_e32 v[67:68], v[67:68], v[73:74]
	v_fma_f64 v[73:74], v[4:5], v[83:84], v[77:78]
	v_fma_f64 v[75:76], v[2:3], v[83:84], -v[81:82]
	v_fma_f64 v[61:62], v[61:62], v[99:100], v[69:70]
	v_fma_f64 v[59:60], v[59:60], v[99:100], -v[71:72]
	v_add_f64_e32 v[10:11], v[10:11], v[63:64]
	v_add_f64_e32 v[67:68], v[67:68], v[65:66]
	ds_load_b128 v[2:5], v1 offset:704
	ds_load_b128 v[63:66], v1 offset:720
	s_wait_loadcnt_dscnt 0x1
	v_mul_f64_e32 v[0:1], v[2:3], v[8:9]
	v_mul_f64_e32 v[8:9], v[4:5], v[8:9]
	s_wait_dscnt 0x0
	v_mul_f64_e32 v[69:70], v[63:64], v[89:90]
	v_mul_f64_e32 v[71:72], v[65:66], v[89:90]
	v_add_f64_e32 v[10:11], v[10:11], v[75:76]
	v_add_f64_e32 v[67:68], v[67:68], v[73:74]
	v_fma_f64 v[0:1], v[4:5], v[6:7], v[0:1]
	v_fma_f64 v[2:3], v[2:3], v[6:7], -v[8:9]
	v_fma_f64 v[8:9], v[65:66], v[87:88], v[69:70]
	v_add_f64_e32 v[4:5], v[10:11], v[59:60]
	v_add_f64_e32 v[6:7], v[67:68], v[61:62]
	v_fma_f64 v[10:11], v[63:64], v[87:88], -v[71:72]
	s_delay_alu instid0(VALU_DEP_3) | instskip(NEXT) | instid1(VALU_DEP_3)
	v_add_f64_e32 v[2:3], v[4:5], v[2:3]
	v_add_f64_e32 v[0:1], v[6:7], v[0:1]
	s_delay_alu instid0(VALU_DEP_2) | instskip(NEXT) | instid1(VALU_DEP_2)
	v_add_f64_e32 v[2:3], v[2:3], v[10:11]
	v_add_f64_e32 v[4:5], v[0:1], v[8:9]
	s_delay_alu instid0(VALU_DEP_2) | instskip(NEXT) | instid1(VALU_DEP_2)
	v_add_f64_e64 v[0:1], v[95:96], -v[2:3]
	v_add_f64_e64 v[2:3], v[97:98], -v[4:5]
	scratch_store_b128 off, v[0:3], off offset:16
	s_wait_alu 0xfffe
	s_cbranch_vccz .LBB22_196
; %bb.152:
	v_mov_b32_e32 v0, 0
	global_load_b32 v1, v0, s[2:3] offset:84
	s_wait_loadcnt 0x0
	v_cmp_ne_u32_e32 vcc_lo, 22, v1
	s_cbranch_vccz .LBB22_154
; %bb.153:
	v_lshlrev_b32_e32 v1, 4, v1
	s_delay_alu instid0(VALU_DEP_1)
	v_add_nc_u32_e32 v9, 16, v1
	s_clause 0x1
	scratch_load_b128 v[1:4], v9, off offset:-16
	scratch_load_b128 v[5:8], off, s26
	s_wait_loadcnt 0x1
	scratch_store_b128 off, v[1:4], s26
	s_wait_loadcnt 0x0
	scratch_store_b128 v9, v[5:8], off offset:-16
.LBB22_154:
	global_load_b32 v0, v0, s[2:3] offset:80
	s_wait_loadcnt 0x0
	v_cmp_eq_u32_e32 vcc_lo, 21, v0
	s_cbranch_vccnz .LBB22_156
; %bb.155:
	v_lshlrev_b32_e32 v0, 4, v0
	s_delay_alu instid0(VALU_DEP_1)
	v_add_nc_u32_e32 v8, 16, v0
	s_clause 0x1
	scratch_load_b128 v[0:3], v8, off offset:-16
	scratch_load_b128 v[4:7], off, s29
	s_wait_loadcnt 0x1
	scratch_store_b128 off, v[0:3], s29
	s_wait_loadcnt 0x0
	scratch_store_b128 v8, v[4:7], off offset:-16
.LBB22_156:
	v_mov_b32_e32 v0, 0
	global_load_b32 v1, v0, s[2:3] offset:76
	s_wait_loadcnt 0x0
	v_cmp_eq_u32_e32 vcc_lo, 20, v1
	s_cbranch_vccnz .LBB22_158
; %bb.157:
	v_lshlrev_b32_e32 v1, 4, v1
	s_delay_alu instid0(VALU_DEP_1)
	v_add_nc_u32_e32 v9, 16, v1
	s_clause 0x1
	scratch_load_b128 v[1:4], v9, off offset:-16
	scratch_load_b128 v[5:8], off, s25
	s_wait_loadcnt 0x1
	scratch_store_b128 off, v[1:4], s25
	s_wait_loadcnt 0x0
	scratch_store_b128 v9, v[5:8], off offset:-16
.LBB22_158:
	global_load_b32 v0, v0, s[2:3] offset:72
	s_wait_loadcnt 0x0
	v_cmp_eq_u32_e32 vcc_lo, 19, v0
	s_cbranch_vccnz .LBB22_160
; %bb.159:
	v_lshlrev_b32_e32 v0, 4, v0
	s_delay_alu instid0(VALU_DEP_1)
	v_add_nc_u32_e32 v8, 16, v0
	s_clause 0x1
	scratch_load_b128 v[0:3], v8, off offset:-16
	scratch_load_b128 v[4:7], off, s28
	s_wait_loadcnt 0x1
	scratch_store_b128 off, v[0:3], s28
	s_wait_loadcnt 0x0
	scratch_store_b128 v8, v[4:7], off offset:-16
.LBB22_160:
	v_mov_b32_e32 v0, 0
	global_load_b32 v1, v0, s[2:3] offset:68
	s_wait_loadcnt 0x0
	v_cmp_eq_u32_e32 vcc_lo, 18, v1
	s_cbranch_vccnz .LBB22_162
; %bb.161:
	v_lshlrev_b32_e32 v1, 4, v1
	s_delay_alu instid0(VALU_DEP_1)
	v_add_nc_u32_e32 v9, 16, v1
	s_clause 0x1
	scratch_load_b128 v[1:4], v9, off offset:-16
	scratch_load_b128 v[5:8], off, s24
	s_wait_loadcnt 0x1
	scratch_store_b128 off, v[1:4], s24
	s_wait_loadcnt 0x0
	scratch_store_b128 v9, v[5:8], off offset:-16
.LBB22_162:
	;; [unrolled: 33-line block ×10, first 2 shown]
	global_load_b32 v0, v0, s[2:3]
	s_wait_loadcnt 0x0
	v_cmp_eq_u32_e32 vcc_lo, 1, v0
	s_cbranch_vccnz .LBB22_196
; %bb.195:
	v_lshlrev_b32_e32 v0, 4, v0
	s_delay_alu instid0(VALU_DEP_1)
	v_add_nc_u32_e32 v8, 16, v0
	scratch_load_b128 v[0:3], v8, off offset:-16
	scratch_load_b128 v[4:7], off, off offset:16
	s_wait_loadcnt 0x1
	scratch_store_b128 off, v[0:3], off offset:16
	s_wait_loadcnt 0x0
	scratch_store_b128 v8, v[4:7], off offset:-16
.LBB22_196:
	scratch_load_b128 v[0:3], off, off offset:16
	s_clause 0xf
	scratch_load_b128 v[4:7], off, s22
	scratch_load_b128 v[8:11], off, s20
	scratch_load_b128 v[59:62], off, s11
	scratch_load_b128 v[63:66], off, s12
	scratch_load_b128 v[67:70], off, s4
	scratch_load_b128 v[71:74], off, s13
	scratch_load_b128 v[75:78], off, s5
	scratch_load_b128 v[79:82], off, s14
	scratch_load_b128 v[83:86], off, s8
	scratch_load_b128 v[87:90], off, s15
	scratch_load_b128 v[91:94], off, s9
	scratch_load_b128 v[95:98], off, s19
	scratch_load_b128 v[99:102], off, s10
	scratch_load_b128 v[103:106], off, s23
	scratch_load_b128 v[107:110], off, s21
	scratch_load_b128 v[111:114], off, s27
	s_wait_loadcnt 0x10
	global_store_b128 v[13:14], v[0:3], off
	s_clause 0x1
	scratch_load_b128 v[0:3], off, s24
	scratch_load_b128 v[115:118], off, s28
	s_wait_loadcnt 0x11
	global_store_b128 v[15:16], v[4:7], off
	s_wait_loadcnt 0x10
	global_store_b128 v[17:18], v[8:11], off
	s_clause 0x1
	scratch_load_b128 v[4:7], off, s25
	scratch_load_b128 v[8:11], off, s29
	s_wait_loadcnt 0x11
	global_store_b128 v[19:20], v[59:62], off
	s_clause 0x1
	scratch_load_b128 v[12:15], off, s26
	scratch_load_b128 v[16:19], off, s30
	s_wait_loadcnt 0x12
	global_store_b128 v[21:22], v[63:66], off
	s_wait_loadcnt 0x11
	global_store_b128 v[23:24], v[67:70], off
	;; [unrolled: 2-line block ×19, first 2 shown]
	s_nop 0
	s_sendmsg sendmsg(MSG_DEALLOC_VGPRS)
	s_endpgm
	.section	.rodata,"a",@progbits
	.p2align	6, 0x0
	.amdhsa_kernel _ZN9rocsolver6v33100L18getri_kernel_smallILi23E19rocblas_complex_numIdEPS3_EEvT1_iilPiilS6_bb
		.amdhsa_group_segment_fixed_size 744
		.amdhsa_private_segment_fixed_size 400
		.amdhsa_kernarg_size 60
		.amdhsa_user_sgpr_count 2
		.amdhsa_user_sgpr_dispatch_ptr 0
		.amdhsa_user_sgpr_queue_ptr 0
		.amdhsa_user_sgpr_kernarg_segment_ptr 1
		.amdhsa_user_sgpr_dispatch_id 0
		.amdhsa_user_sgpr_private_segment_size 0
		.amdhsa_wavefront_size32 1
		.amdhsa_uses_dynamic_stack 0
		.amdhsa_enable_private_segment 1
		.amdhsa_system_sgpr_workgroup_id_x 1
		.amdhsa_system_sgpr_workgroup_id_y 0
		.amdhsa_system_sgpr_workgroup_id_z 0
		.amdhsa_system_sgpr_workgroup_info 0
		.amdhsa_system_vgpr_workitem_id 0
		.amdhsa_next_free_vgpr 119
		.amdhsa_next_free_sgpr 36
		.amdhsa_reserve_vcc 1
		.amdhsa_float_round_mode_32 0
		.amdhsa_float_round_mode_16_64 0
		.amdhsa_float_denorm_mode_32 3
		.amdhsa_float_denorm_mode_16_64 3
		.amdhsa_fp16_overflow 0
		.amdhsa_workgroup_processor_mode 1
		.amdhsa_memory_ordered 1
		.amdhsa_forward_progress 1
		.amdhsa_inst_pref_size 233
		.amdhsa_round_robin_scheduling 0
		.amdhsa_exception_fp_ieee_invalid_op 0
		.amdhsa_exception_fp_denorm_src 0
		.amdhsa_exception_fp_ieee_div_zero 0
		.amdhsa_exception_fp_ieee_overflow 0
		.amdhsa_exception_fp_ieee_underflow 0
		.amdhsa_exception_fp_ieee_inexact 0
		.amdhsa_exception_int_div_zero 0
	.end_amdhsa_kernel
	.section	.text._ZN9rocsolver6v33100L18getri_kernel_smallILi23E19rocblas_complex_numIdEPS3_EEvT1_iilPiilS6_bb,"axG",@progbits,_ZN9rocsolver6v33100L18getri_kernel_smallILi23E19rocblas_complex_numIdEPS3_EEvT1_iilPiilS6_bb,comdat
.Lfunc_end22:
	.size	_ZN9rocsolver6v33100L18getri_kernel_smallILi23E19rocblas_complex_numIdEPS3_EEvT1_iilPiilS6_bb, .Lfunc_end22-_ZN9rocsolver6v33100L18getri_kernel_smallILi23E19rocblas_complex_numIdEPS3_EEvT1_iilPiilS6_bb
                                        ; -- End function
	.set _ZN9rocsolver6v33100L18getri_kernel_smallILi23E19rocblas_complex_numIdEPS3_EEvT1_iilPiilS6_bb.num_vgpr, 119
	.set _ZN9rocsolver6v33100L18getri_kernel_smallILi23E19rocblas_complex_numIdEPS3_EEvT1_iilPiilS6_bb.num_agpr, 0
	.set _ZN9rocsolver6v33100L18getri_kernel_smallILi23E19rocblas_complex_numIdEPS3_EEvT1_iilPiilS6_bb.numbered_sgpr, 36
	.set _ZN9rocsolver6v33100L18getri_kernel_smallILi23E19rocblas_complex_numIdEPS3_EEvT1_iilPiilS6_bb.num_named_barrier, 0
	.set _ZN9rocsolver6v33100L18getri_kernel_smallILi23E19rocblas_complex_numIdEPS3_EEvT1_iilPiilS6_bb.private_seg_size, 400
	.set _ZN9rocsolver6v33100L18getri_kernel_smallILi23E19rocblas_complex_numIdEPS3_EEvT1_iilPiilS6_bb.uses_vcc, 1
	.set _ZN9rocsolver6v33100L18getri_kernel_smallILi23E19rocblas_complex_numIdEPS3_EEvT1_iilPiilS6_bb.uses_flat_scratch, 1
	.set _ZN9rocsolver6v33100L18getri_kernel_smallILi23E19rocblas_complex_numIdEPS3_EEvT1_iilPiilS6_bb.has_dyn_sized_stack, 0
	.set _ZN9rocsolver6v33100L18getri_kernel_smallILi23E19rocblas_complex_numIdEPS3_EEvT1_iilPiilS6_bb.has_recursion, 0
	.set _ZN9rocsolver6v33100L18getri_kernel_smallILi23E19rocblas_complex_numIdEPS3_EEvT1_iilPiilS6_bb.has_indirect_call, 0
	.section	.AMDGPU.csdata,"",@progbits
; Kernel info:
; codeLenInByte = 29808
; TotalNumSgprs: 38
; NumVgprs: 119
; ScratchSize: 400
; MemoryBound: 0
; FloatMode: 240
; IeeeMode: 1
; LDSByteSize: 744 bytes/workgroup (compile time only)
; SGPRBlocks: 0
; VGPRBlocks: 14
; NumSGPRsForWavesPerEU: 38
; NumVGPRsForWavesPerEU: 119
; Occupancy: 12
; WaveLimiterHint : 1
; COMPUTE_PGM_RSRC2:SCRATCH_EN: 1
; COMPUTE_PGM_RSRC2:USER_SGPR: 2
; COMPUTE_PGM_RSRC2:TRAP_HANDLER: 0
; COMPUTE_PGM_RSRC2:TGID_X_EN: 1
; COMPUTE_PGM_RSRC2:TGID_Y_EN: 0
; COMPUTE_PGM_RSRC2:TGID_Z_EN: 0
; COMPUTE_PGM_RSRC2:TIDIG_COMP_CNT: 0
	.section	.text._ZN9rocsolver6v33100L18getri_kernel_smallILi24E19rocblas_complex_numIdEPS3_EEvT1_iilPiilS6_bb,"axG",@progbits,_ZN9rocsolver6v33100L18getri_kernel_smallILi24E19rocblas_complex_numIdEPS3_EEvT1_iilPiilS6_bb,comdat
	.globl	_ZN9rocsolver6v33100L18getri_kernel_smallILi24E19rocblas_complex_numIdEPS3_EEvT1_iilPiilS6_bb ; -- Begin function _ZN9rocsolver6v33100L18getri_kernel_smallILi24E19rocblas_complex_numIdEPS3_EEvT1_iilPiilS6_bb
	.p2align	8
	.type	_ZN9rocsolver6v33100L18getri_kernel_smallILi24E19rocblas_complex_numIdEPS3_EEvT1_iilPiilS6_bb,@function
_ZN9rocsolver6v33100L18getri_kernel_smallILi24E19rocblas_complex_numIdEPS3_EEvT1_iilPiilS6_bb: ; @_ZN9rocsolver6v33100L18getri_kernel_smallILi24E19rocblas_complex_numIdEPS3_EEvT1_iilPiilS6_bb
; %bb.0:
	s_mov_b32 s2, exec_lo
	v_cmpx_gt_u32_e32 24, v0
	s_cbranch_execz .LBB23_110
; %bb.1:
	s_clause 0x2
	s_load_b32 s2, s[0:1], 0x38
	s_load_b128 s[12:15], s[0:1], 0x10
	s_load_b128 s[4:7], s[0:1], 0x28
	s_mov_b32 s16, ttmp9
	s_wait_kmcnt 0x0
	s_bitcmp1_b32 s2, 8
	s_cselect_b32 s18, -1, 0
	s_bfe_u32 s2, s2, 0x10008
	s_ashr_i32 s17, ttmp9, 31
	s_cmp_eq_u32 s2, 0
                                        ; implicit-def: $sgpr2_sgpr3
	s_cbranch_scc1 .LBB23_3
; %bb.2:
	s_load_b32 s2, s[0:1], 0x20
	s_mul_u64 s[4:5], s[4:5], s[16:17]
	s_delay_alu instid0(SALU_CYCLE_1) | instskip(NEXT) | instid1(SALU_CYCLE_1)
	s_lshl_b64 s[4:5], s[4:5], 2
	s_add_nc_u64 s[4:5], s[14:15], s[4:5]
	s_wait_kmcnt 0x0
	s_ashr_i32 s3, s2, 31
	s_delay_alu instid0(SALU_CYCLE_1) | instskip(NEXT) | instid1(SALU_CYCLE_1)
	s_lshl_b64 s[2:3], s[2:3], 2
	s_add_nc_u64 s[2:3], s[4:5], s[2:3]
.LBB23_3:
	s_clause 0x1
	s_load_b128 s[8:11], s[0:1], 0x0
	s_load_b32 s33, s[0:1], 0x38
	s_mul_u64 s[0:1], s[12:13], s[16:17]
	v_lshlrev_b32_e32 v61, 4, v0
	s_lshl_b64 s[0:1], s[0:1], 4
	s_mov_b32 s20, 32
	s_mov_b32 s19, 48
	;; [unrolled: 1-line block ×3, first 2 shown]
	s_movk_i32 s26, 0x50
	s_wait_kmcnt 0x0
	v_add3_u32 v5, s11, s11, v0
	s_ashr_i32 s5, s10, 31
	s_mov_b32 s4, s10
	s_add_nc_u64 s[0:1], s[8:9], s[0:1]
	s_lshl_b64 s[4:5], s[4:5], 4
	v_add_nc_u32_e32 v7, s11, v5
	v_ashrrev_i32_e32 v6, 31, v5
	s_add_nc_u64 s[0:1], s[0:1], s[4:5]
	s_ashr_i32 s9, s11, 31
	v_add_co_u32 v13, s4, s0, v61
	v_add_nc_u32_e32 v9, s11, v7
	v_ashrrev_i32_e32 v8, 31, v7
	s_mov_b32 s8, s11
	v_lshlrev_b64_e32 v[5:6], 4, v[5:6]
	v_add_co_ci_u32_e64 v14, null, s1, 0, s4
	v_add_nc_u32_e32 v21, s11, v9
	v_ashrrev_i32_e32 v10, 31, v9
	s_lshl_b64 s[8:9], s[8:9], 4
	v_lshlrev_b64_e32 v[19:20], 4, v[7:8]
	v_add_co_u32 v15, vcc_lo, v13, s8
	v_ashrrev_i32_e32 v22, 31, v21
	v_add_nc_u32_e32 v25, s11, v21
	v_lshlrev_b64_e32 v[23:24], 4, v[9:10]
	v_add_co_ci_u32_e64 v16, null, s9, v14, vcc_lo
	v_add_co_u32 v17, vcc_lo, s0, v5
	v_lshlrev_b64_e32 v[27:28], 4, v[21:22]
	v_add_nc_u32_e32 v29, s11, v25
	s_wait_alu 0xfffd
	v_add_co_ci_u32_e64 v18, null, s1, v6, vcc_lo
	v_add_co_u32 v19, vcc_lo, s0, v19
	s_wait_alu 0xfffd
	v_add_co_ci_u32_e64 v20, null, s1, v20, vcc_lo
	v_add_co_u32 v21, vcc_lo, s0, v23
	v_ashrrev_i32_e32 v26, 31, v25
	s_wait_alu 0xfffd
	v_add_co_ci_u32_e64 v22, null, s1, v24, vcc_lo
	v_add_co_u32 v23, vcc_lo, s0, v27
	v_ashrrev_i32_e32 v30, 31, v29
	s_wait_alu 0xfffd
	v_add_co_ci_u32_e64 v24, null, s1, v28, vcc_lo
	global_load_b128 v[1:4], v61, s[0:1]
	v_lshlrev_b64_e32 v[25:26], 4, v[25:26]
	s_clause 0x4
	global_load_b128 v[5:8], v[15:16], off
	global_load_b128 v[9:12], v[17:18], off
	;; [unrolled: 1-line block ×5, first 2 shown]
	v_lshlrev_b64_e32 v[27:28], 4, v[29:30]
	v_add_nc_u32_e32 v29, s11, v29
	v_add_co_u32 v25, vcc_lo, s0, v25
	s_wait_alu 0xfffd
	v_add_co_ci_u32_e64 v26, null, s1, v26, vcc_lo
	s_delay_alu instid0(VALU_DEP_4)
	v_add_co_u32 v27, vcc_lo, s0, v27
	s_wait_alu 0xfffd
	v_add_co_ci_u32_e64 v28, null, s1, v28, vcc_lo
	s_clause 0x1
	global_load_b128 v[70:73], v[25:26], off
	global_load_b128 v[74:77], v[27:28], off
	v_add_nc_u32_e32 v31, s11, v29
	v_ashrrev_i32_e32 v30, 31, v29
	s_delay_alu instid0(VALU_DEP_2) | instskip(SKIP_1) | instid1(VALU_DEP_3)
	v_add_nc_u32_e32 v33, s11, v31
	v_ashrrev_i32_e32 v32, 31, v31
	v_lshlrev_b64_e32 v[29:30], 4, v[29:30]
	s_delay_alu instid0(VALU_DEP_3) | instskip(SKIP_1) | instid1(VALU_DEP_4)
	v_add_nc_u32_e32 v35, s11, v33
	v_ashrrev_i32_e32 v34, 31, v33
	v_lshlrev_b64_e32 v[31:32], 4, v[31:32]
	s_delay_alu instid0(VALU_DEP_4) | instskip(NEXT) | instid1(VALU_DEP_4)
	v_add_co_u32 v29, vcc_lo, s0, v29
	v_add_nc_u32_e32 v37, s11, v35
	v_ashrrev_i32_e32 v36, 31, v35
	v_lshlrev_b64_e32 v[33:34], 4, v[33:34]
	s_wait_alu 0xfffd
	v_add_co_ci_u32_e64 v30, null, s1, v30, vcc_lo
	v_add_nc_u32_e32 v39, s11, v37
	v_ashrrev_i32_e32 v38, 31, v37
	v_lshlrev_b64_e32 v[35:36], 4, v[35:36]
	v_add_co_u32 v31, vcc_lo, s0, v31
	s_delay_alu instid0(VALU_DEP_4)
	v_add_nc_u32_e32 v41, s11, v39
	v_ashrrev_i32_e32 v40, 31, v39
	v_lshlrev_b64_e32 v[37:38], 4, v[37:38]
	s_wait_alu 0xfffd
	v_add_co_ci_u32_e64 v32, null, s1, v32, vcc_lo
	v_add_nc_u32_e32 v43, s11, v41
	v_ashrrev_i32_e32 v42, 31, v41
	v_add_co_u32 v33, vcc_lo, s0, v33
	v_lshlrev_b64_e32 v[39:40], 4, v[39:40]
	s_delay_alu instid0(VALU_DEP_4)
	v_add_nc_u32_e32 v45, s11, v43
	v_ashrrev_i32_e32 v44, 31, v43
	s_wait_alu 0xfffd
	v_add_co_ci_u32_e64 v34, null, s1, v34, vcc_lo
	v_add_co_u32 v35, vcc_lo, s0, v35
	v_add_nc_u32_e32 v47, s11, v45
	v_ashrrev_i32_e32 v46, 31, v45
	v_lshlrev_b64_e32 v[41:42], 4, v[41:42]
	s_wait_alu 0xfffd
	v_add_co_ci_u32_e64 v36, null, s1, v36, vcc_lo
	v_add_nc_u32_e32 v49, s11, v47
	v_ashrrev_i32_e32 v48, 31, v47
	v_add_co_u32 v37, vcc_lo, s0, v37
	v_lshlrev_b64_e32 v[43:44], 4, v[43:44]
	s_delay_alu instid0(VALU_DEP_4)
	v_add_nc_u32_e32 v51, s11, v49
	v_ashrrev_i32_e32 v50, 31, v49
	s_wait_alu 0xfffd
	v_add_co_ci_u32_e64 v38, null, s1, v38, vcc_lo
	v_add_co_u32 v39, vcc_lo, s0, v39
	v_add_nc_u32_e32 v53, s11, v51
	v_lshlrev_b64_e32 v[45:46], 4, v[45:46]
	s_wait_alu 0xfffd
	v_add_co_ci_u32_e64 v40, null, s1, v40, vcc_lo
	v_add_co_u32 v41, vcc_lo, s0, v41
	v_add_nc_u32_e32 v55, s11, v53
	v_lshlrev_b64_e32 v[47:48], 4, v[47:48]
	v_ashrrev_i32_e32 v52, 31, v51
	s_wait_alu 0xfffd
	v_add_co_ci_u32_e64 v42, null, s1, v42, vcc_lo
	v_add_nc_u32_e32 v114, s11, v55
	v_add_co_u32 v43, vcc_lo, s0, v43
	v_lshlrev_b64_e32 v[49:50], 4, v[49:50]
	v_ashrrev_i32_e32 v54, 31, v53
	s_wait_alu 0xfffd
	v_add_co_ci_u32_e64 v44, null, s1, v44, vcc_lo
	v_add_co_u32 v45, vcc_lo, s0, v45
	v_add_nc_u32_e32 v116, s11, v114
	v_ashrrev_i32_e32 v56, 31, v55
	s_wait_alu 0xfffd
	v_add_co_ci_u32_e64 v46, null, s1, v46, vcc_lo
	v_add_co_u32 v47, vcc_lo, s0, v47
	v_lshlrev_b64_e32 v[51:52], 4, v[51:52]
	v_ashrrev_i32_e32 v115, 31, v114
	s_wait_alu 0xfffd
	v_add_co_ci_u32_e64 v48, null, s1, v48, vcc_lo
	v_add_co_u32 v49, vcc_lo, s0, v49
	v_lshlrev_b64_e32 v[53:54], 4, v[53:54]
	v_ashrrev_i32_e32 v117, 31, v116
	s_wait_alu 0xfffd
	v_add_co_ci_u32_e64 v50, null, s1, v50, vcc_lo
	v_lshlrev_b64_e32 v[55:56], 4, v[55:56]
	v_add_co_u32 v51, vcc_lo, s0, v51
	v_lshlrev_b64_e32 v[114:115], 4, v[114:115]
	s_clause 0x8
	global_load_b128 v[78:81], v[29:30], off
	global_load_b128 v[82:85], v[31:32], off
	;; [unrolled: 1-line block ×9, first 2 shown]
	s_wait_alu 0xfffd
	v_add_co_ci_u32_e64 v52, null, s1, v52, vcc_lo
	v_add_co_u32 v53, vcc_lo, s0, v53
	s_wait_alu 0xfffd
	v_add_co_ci_u32_e64 v54, null, s1, v54, vcc_lo
	v_add_co_u32 v55, vcc_lo, s0, v55
	s_wait_alu 0xfffd
	v_add_co_ci_u32_e64 v56, null, s1, v56, vcc_lo
	s_wait_loadcnt 0x10
	scratch_store_b128 off, v[1:4], off offset:16
	s_wait_loadcnt 0xf
	scratch_store_b128 off, v[5:8], off offset:32
	s_clause 0x1
	global_load_b128 v[1:4], v[47:48], off
	global_load_b128 v[5:8], v[49:50], off
	s_wait_loadcnt 0x10
	scratch_store_b128 off, v[9:12], off offset:48
	s_wait_loadcnt 0xf
	scratch_store_b128 off, v[57:60], off offset:64
	;; [unrolled: 2-line block ×3, first 2 shown]
	v_lshlrev_b64_e32 v[59:60], 4, v[116:117]
	v_add_co_u32 v57, vcc_lo, s0, v114
	s_wait_alu 0xfffd
	v_add_co_ci_u32_e64 v58, null, s1, v115, vcc_lo
	s_clause 0x1
	global_load_b128 v[9:12], v[51:52], off
	global_load_b128 v[62:65], v[53:54], off
	v_add_co_u32 v59, vcc_lo, s0, v59
	s_wait_alu 0xfffd
	v_add_co_ci_u32_e64 v60, null, s1, v60, vcc_lo
	s_wait_loadcnt 0xf
	scratch_store_b128 off, v[66:69], off offset:96
	s_wait_loadcnt 0xe
	scratch_store_b128 off, v[70:73], off offset:112
	s_clause 0x1
	global_load_b128 v[66:69], v[55:56], off
	global_load_b128 v[70:73], v[57:58], off
	s_wait_loadcnt 0xf
	scratch_store_b128 off, v[74:77], off offset:128
	global_load_b128 v[74:77], v[59:60], off
	s_movk_i32 s0, 0x50
	s_movk_i32 s1, 0x70
	s_wait_alu 0xfffe
	s_add_co_i32 s21, s0, 16
	s_movk_i32 s0, 0x60
	s_add_co_i32 s22, s1, 16
	s_wait_alu 0xfffe
	s_add_co_i32 s27, s0, 16
	s_movk_i32 s0, 0x80
	s_movk_i32 s1, 0x90
	s_wait_alu 0xfffe
	s_add_co_i32 s28, s0, 16
	s_add_co_i32 s23, s1, 16
	s_movk_i32 s0, 0xa0
	s_movk_i32 s1, 0xb0
	s_wait_alu 0xfffe
	s_add_co_i32 s29, s0, 16
	;; [unrolled: 5-line block ×8, first 2 shown]
	s_add_co_i32 s14, s1, 16
	s_mov_b32 s1, -1
	s_bitcmp0_b32 s33, 0
	s_wait_loadcnt 0xf
	scratch_store_b128 off, v[78:81], off offset:144
	s_wait_loadcnt 0xe
	scratch_store_b128 off, v[82:85], off offset:160
	;; [unrolled: 2-line block ×16, first 2 shown]
	s_cbranch_scc1 .LBB23_108
; %bb.4:
	v_cmp_eq_u32_e64 s0, 0, v0
	s_and_saveexec_b32 s1, s0
; %bb.5:
	v_mov_b32_e32 v1, 0
	ds_store_b32 v1, v1 offset:768
; %bb.6:
	s_wait_alu 0xfffe
	s_or_b32 exec_lo, exec_lo, s1
	s_wait_storecnt_dscnt 0x0
	s_barrier_signal -1
	s_barrier_wait -1
	global_inv scope:SCOPE_SE
	scratch_load_b128 v[1:4], v61, off offset:16
	s_wait_loadcnt 0x0
	v_cmp_eq_f64_e32 vcc_lo, 0, v[1:2]
	v_cmp_eq_f64_e64 s1, 0, v[3:4]
	s_and_b32 s1, vcc_lo, s1
	s_wait_alu 0xfffe
	s_and_saveexec_b32 s33, s1
	s_cbranch_execz .LBB23_10
; %bb.7:
	v_mov_b32_e32 v1, 0
	s_mov_b32 s34, 0
	ds_load_b32 v2, v1 offset:768
	s_wait_dscnt 0x0
	v_readfirstlane_b32 s1, v2
	v_add_nc_u32_e32 v2, 1, v0
	s_cmp_eq_u32 s1, 0
	s_delay_alu instid0(VALU_DEP_1) | instskip(SKIP_1) | instid1(SALU_CYCLE_1)
	v_cmp_gt_i32_e32 vcc_lo, s1, v2
	s_cselect_b32 s35, -1, 0
	s_or_b32 s35, s35, vcc_lo
	s_delay_alu instid0(SALU_CYCLE_1)
	s_and_b32 exec_lo, exec_lo, s35
	s_cbranch_execz .LBB23_10
; %bb.8:
	v_mov_b32_e32 v3, s1
.LBB23_9:                               ; =>This Inner Loop Header: Depth=1
	ds_cmpstore_rtn_b32 v3, v1, v2, v3 offset:768
	s_wait_dscnt 0x0
	v_cmp_ne_u32_e32 vcc_lo, 0, v3
	v_cmp_le_i32_e64 s1, v3, v2
	s_and_b32 s1, vcc_lo, s1
	s_wait_alu 0xfffe
	s_and_b32 s1, exec_lo, s1
	s_wait_alu 0xfffe
	s_or_b32 s34, s1, s34
	s_delay_alu instid0(SALU_CYCLE_1)
	s_and_not1_b32 exec_lo, exec_lo, s34
	s_cbranch_execnz .LBB23_9
.LBB23_10:
	s_or_b32 exec_lo, exec_lo, s33
	v_mov_b32_e32 v1, 0
	s_barrier_signal -1
	s_barrier_wait -1
	global_inv scope:SCOPE_SE
	ds_load_b32 v2, v1 offset:768
	s_and_saveexec_b32 s1, s0
	s_cbranch_execz .LBB23_12
; %bb.11:
	s_lshl_b64 s[34:35], s[16:17], 2
	s_delay_alu instid0(SALU_CYCLE_1)
	s_add_nc_u64 s[34:35], s[6:7], s[34:35]
	s_wait_dscnt 0x0
	global_store_b32 v1, v2, s[34:35]
.LBB23_12:
	s_wait_alu 0xfffe
	s_or_b32 exec_lo, exec_lo, s1
	s_wait_dscnt 0x0
	v_cmp_ne_u32_e32 vcc_lo, 0, v2
	s_mov_b32 s1, 0
	s_cbranch_vccnz .LBB23_108
; %bb.13:
	v_add_nc_u32_e32 v62, 16, v61
                                        ; implicit-def: $vgpr1_vgpr2
                                        ; implicit-def: $vgpr9_vgpr10
	scratch_load_b128 v[5:8], v62, off
	s_wait_loadcnt 0x0
	v_cmp_ngt_f64_e64 s1, |v[5:6]|, |v[7:8]|
	s_wait_alu 0xfffe
	s_and_saveexec_b32 s33, s1
	s_delay_alu instid0(SALU_CYCLE_1)
	s_xor_b32 s1, exec_lo, s33
	s_cbranch_execz .LBB23_15
; %bb.14:
	v_div_scale_f64 v[1:2], null, v[7:8], v[7:8], v[5:6]
	v_div_scale_f64 v[11:12], vcc_lo, v[5:6], v[7:8], v[5:6]
	s_delay_alu instid0(VALU_DEP_2) | instskip(NEXT) | instid1(TRANS32_DEP_1)
	v_rcp_f64_e32 v[3:4], v[1:2]
	v_fma_f64 v[9:10], -v[1:2], v[3:4], 1.0
	s_delay_alu instid0(VALU_DEP_1) | instskip(NEXT) | instid1(VALU_DEP_1)
	v_fma_f64 v[3:4], v[3:4], v[9:10], v[3:4]
	v_fma_f64 v[9:10], -v[1:2], v[3:4], 1.0
	s_delay_alu instid0(VALU_DEP_1) | instskip(NEXT) | instid1(VALU_DEP_1)
	v_fma_f64 v[3:4], v[3:4], v[9:10], v[3:4]
	v_mul_f64_e32 v[9:10], v[11:12], v[3:4]
	s_delay_alu instid0(VALU_DEP_1) | instskip(SKIP_1) | instid1(VALU_DEP_1)
	v_fma_f64 v[1:2], -v[1:2], v[9:10], v[11:12]
	s_wait_alu 0xfffd
	v_div_fmas_f64 v[1:2], v[1:2], v[3:4], v[9:10]
	s_delay_alu instid0(VALU_DEP_1) | instskip(NEXT) | instid1(VALU_DEP_1)
	v_div_fixup_f64 v[1:2], v[1:2], v[7:8], v[5:6]
	v_fma_f64 v[3:4], v[5:6], v[1:2], v[7:8]
	s_delay_alu instid0(VALU_DEP_1) | instskip(SKIP_1) | instid1(VALU_DEP_2)
	v_div_scale_f64 v[5:6], null, v[3:4], v[3:4], 1.0
	v_div_scale_f64 v[11:12], vcc_lo, 1.0, v[3:4], 1.0
	v_rcp_f64_e32 v[7:8], v[5:6]
	s_delay_alu instid0(TRANS32_DEP_1) | instskip(NEXT) | instid1(VALU_DEP_1)
	v_fma_f64 v[9:10], -v[5:6], v[7:8], 1.0
	v_fma_f64 v[7:8], v[7:8], v[9:10], v[7:8]
	s_delay_alu instid0(VALU_DEP_1) | instskip(NEXT) | instid1(VALU_DEP_1)
	v_fma_f64 v[9:10], -v[5:6], v[7:8], 1.0
	v_fma_f64 v[7:8], v[7:8], v[9:10], v[7:8]
	s_delay_alu instid0(VALU_DEP_1) | instskip(NEXT) | instid1(VALU_DEP_1)
	v_mul_f64_e32 v[9:10], v[11:12], v[7:8]
	v_fma_f64 v[5:6], -v[5:6], v[9:10], v[11:12]
	s_wait_alu 0xfffd
	s_delay_alu instid0(VALU_DEP_1) | instskip(NEXT) | instid1(VALU_DEP_1)
	v_div_fmas_f64 v[5:6], v[5:6], v[7:8], v[9:10]
	v_div_fixup_f64 v[3:4], v[5:6], v[3:4], 1.0
                                        ; implicit-def: $vgpr5_vgpr6
	s_delay_alu instid0(VALU_DEP_1) | instskip(SKIP_1) | instid1(VALU_DEP_2)
	v_mul_f64_e32 v[1:2], v[1:2], v[3:4]
	v_xor_b32_e32 v4, 0x80000000, v4
	v_xor_b32_e32 v10, 0x80000000, v2
	s_delay_alu instid0(VALU_DEP_3)
	v_mov_b32_e32 v9, v1
.LBB23_15:
	s_wait_alu 0xfffe
	s_and_not1_saveexec_b32 s1, s1
	s_cbranch_execz .LBB23_17
; %bb.16:
	v_div_scale_f64 v[1:2], null, v[5:6], v[5:6], v[7:8]
	v_div_scale_f64 v[11:12], vcc_lo, v[7:8], v[5:6], v[7:8]
	s_delay_alu instid0(VALU_DEP_2) | instskip(NEXT) | instid1(TRANS32_DEP_1)
	v_rcp_f64_e32 v[3:4], v[1:2]
	v_fma_f64 v[9:10], -v[1:2], v[3:4], 1.0
	s_delay_alu instid0(VALU_DEP_1) | instskip(NEXT) | instid1(VALU_DEP_1)
	v_fma_f64 v[3:4], v[3:4], v[9:10], v[3:4]
	v_fma_f64 v[9:10], -v[1:2], v[3:4], 1.0
	s_delay_alu instid0(VALU_DEP_1) | instskip(NEXT) | instid1(VALU_DEP_1)
	v_fma_f64 v[3:4], v[3:4], v[9:10], v[3:4]
	v_mul_f64_e32 v[9:10], v[11:12], v[3:4]
	s_delay_alu instid0(VALU_DEP_1) | instskip(SKIP_1) | instid1(VALU_DEP_1)
	v_fma_f64 v[1:2], -v[1:2], v[9:10], v[11:12]
	s_wait_alu 0xfffd
	v_div_fmas_f64 v[1:2], v[1:2], v[3:4], v[9:10]
	s_delay_alu instid0(VALU_DEP_1) | instskip(NEXT) | instid1(VALU_DEP_1)
	v_div_fixup_f64 v[3:4], v[1:2], v[5:6], v[7:8]
	v_fma_f64 v[1:2], v[7:8], v[3:4], v[5:6]
	s_delay_alu instid0(VALU_DEP_1) | instskip(NEXT) | instid1(VALU_DEP_1)
	v_div_scale_f64 v[5:6], null, v[1:2], v[1:2], 1.0
	v_rcp_f64_e32 v[7:8], v[5:6]
	s_delay_alu instid0(TRANS32_DEP_1) | instskip(NEXT) | instid1(VALU_DEP_1)
	v_fma_f64 v[9:10], -v[5:6], v[7:8], 1.0
	v_fma_f64 v[7:8], v[7:8], v[9:10], v[7:8]
	s_delay_alu instid0(VALU_DEP_1) | instskip(NEXT) | instid1(VALU_DEP_1)
	v_fma_f64 v[9:10], -v[5:6], v[7:8], 1.0
	v_fma_f64 v[7:8], v[7:8], v[9:10], v[7:8]
	v_div_scale_f64 v[9:10], vcc_lo, 1.0, v[1:2], 1.0
	s_delay_alu instid0(VALU_DEP_1) | instskip(NEXT) | instid1(VALU_DEP_1)
	v_mul_f64_e32 v[11:12], v[9:10], v[7:8]
	v_fma_f64 v[5:6], -v[5:6], v[11:12], v[9:10]
	s_wait_alu 0xfffd
	s_delay_alu instid0(VALU_DEP_1) | instskip(NEXT) | instid1(VALU_DEP_1)
	v_div_fmas_f64 v[5:6], v[5:6], v[7:8], v[11:12]
	v_div_fixup_f64 v[1:2], v[5:6], v[1:2], 1.0
	s_delay_alu instid0(VALU_DEP_1)
	v_mul_f64_e64 v[3:4], v[3:4], -v[1:2]
	v_xor_b32_e32 v10, 0x80000000, v2
	v_mov_b32_e32 v9, v1
.LBB23_17:
	s_wait_alu 0xfffe
	s_or_b32 exec_lo, exec_lo, s1
	scratch_store_b128 v62, v[1:4], off
	scratch_load_b128 v[63:66], off, s20
	v_xor_b32_e32 v12, 0x80000000, v4
	v_mov_b32_e32 v11, v3
	v_add_nc_u32_e32 v5, 0x180, v61
	ds_store_b128 v61, v[9:12]
	s_wait_loadcnt 0x0
	ds_store_b128 v61, v[63:66] offset:384
	s_wait_storecnt_dscnt 0x0
	s_barrier_signal -1
	s_barrier_wait -1
	global_inv scope:SCOPE_SE
	s_and_saveexec_b32 s1, s0
	s_cbranch_execz .LBB23_19
; %bb.18:
	scratch_load_b128 v[1:4], v62, off
	ds_load_b128 v[6:9], v5
	v_mov_b32_e32 v10, 0
	ds_load_b128 v[63:66], v10 offset:16
	s_wait_loadcnt_dscnt 0x1
	v_mul_f64_e32 v[10:11], v[6:7], v[3:4]
	v_mul_f64_e32 v[3:4], v[8:9], v[3:4]
	s_delay_alu instid0(VALU_DEP_2) | instskip(NEXT) | instid1(VALU_DEP_2)
	v_fma_f64 v[8:9], v[8:9], v[1:2], v[10:11]
	v_fma_f64 v[1:2], v[6:7], v[1:2], -v[3:4]
	s_delay_alu instid0(VALU_DEP_2) | instskip(NEXT) | instid1(VALU_DEP_2)
	v_add_f64_e32 v[3:4], 0, v[8:9]
	v_add_f64_e32 v[1:2], 0, v[1:2]
	s_wait_dscnt 0x0
	s_delay_alu instid0(VALU_DEP_2) | instskip(NEXT) | instid1(VALU_DEP_2)
	v_mul_f64_e32 v[6:7], v[3:4], v[65:66]
	v_mul_f64_e32 v[8:9], v[1:2], v[65:66]
	s_delay_alu instid0(VALU_DEP_2) | instskip(NEXT) | instid1(VALU_DEP_2)
	v_fma_f64 v[1:2], v[1:2], v[63:64], -v[6:7]
	v_fma_f64 v[3:4], v[3:4], v[63:64], v[8:9]
	scratch_store_b128 off, v[1:4], off offset:32
.LBB23_19:
	s_wait_alu 0xfffe
	s_or_b32 exec_lo, exec_lo, s1
	s_wait_loadcnt 0x0
	s_wait_storecnt 0x0
	s_barrier_signal -1
	s_barrier_wait -1
	global_inv scope:SCOPE_SE
	scratch_load_b128 v[1:4], off, s19
	s_mov_b32 s1, exec_lo
	s_wait_loadcnt 0x0
	ds_store_b128 v5, v[1:4]
	s_wait_dscnt 0x0
	s_barrier_signal -1
	s_barrier_wait -1
	global_inv scope:SCOPE_SE
	v_cmpx_gt_u32_e32 2, v0
	s_cbranch_execz .LBB23_23
; %bb.20:
	scratch_load_b128 v[1:4], v62, off
	ds_load_b128 v[6:9], v5
	s_wait_loadcnt_dscnt 0x0
	v_mul_f64_e32 v[10:11], v[8:9], v[3:4]
	v_mul_f64_e32 v[3:4], v[6:7], v[3:4]
	s_delay_alu instid0(VALU_DEP_2) | instskip(NEXT) | instid1(VALU_DEP_2)
	v_fma_f64 v[6:7], v[6:7], v[1:2], -v[10:11]
	v_fma_f64 v[3:4], v[8:9], v[1:2], v[3:4]
	s_delay_alu instid0(VALU_DEP_2) | instskip(NEXT) | instid1(VALU_DEP_2)
	v_add_f64_e32 v[1:2], 0, v[6:7]
	v_add_f64_e32 v[3:4], 0, v[3:4]
	s_and_saveexec_b32 s33, s0
	s_cbranch_execz .LBB23_22
; %bb.21:
	scratch_load_b128 v[6:9], off, off offset:32
	v_mov_b32_e32 v10, 0
	ds_load_b128 v[63:66], v10 offset:400
	s_wait_loadcnt_dscnt 0x0
	v_mul_f64_e32 v[10:11], v[63:64], v[8:9]
	v_mul_f64_e32 v[8:9], v[65:66], v[8:9]
	s_delay_alu instid0(VALU_DEP_2) | instskip(NEXT) | instid1(VALU_DEP_2)
	v_fma_f64 v[10:11], v[65:66], v[6:7], v[10:11]
	v_fma_f64 v[6:7], v[63:64], v[6:7], -v[8:9]
	s_delay_alu instid0(VALU_DEP_2) | instskip(NEXT) | instid1(VALU_DEP_2)
	v_add_f64_e32 v[3:4], v[3:4], v[10:11]
	v_add_f64_e32 v[1:2], v[1:2], v[6:7]
.LBB23_22:
	s_or_b32 exec_lo, exec_lo, s33
	v_mov_b32_e32 v6, 0
	ds_load_b128 v[6:9], v6 offset:32
	s_wait_dscnt 0x0
	v_mul_f64_e32 v[10:11], v[3:4], v[8:9]
	v_mul_f64_e32 v[8:9], v[1:2], v[8:9]
	s_delay_alu instid0(VALU_DEP_2) | instskip(NEXT) | instid1(VALU_DEP_2)
	v_fma_f64 v[1:2], v[1:2], v[6:7], -v[10:11]
	v_fma_f64 v[3:4], v[3:4], v[6:7], v[8:9]
	scratch_store_b128 off, v[1:4], off offset:48
.LBB23_23:
	s_wait_alu 0xfffe
	s_or_b32 exec_lo, exec_lo, s1
	s_wait_loadcnt 0x0
	s_wait_storecnt 0x0
	s_barrier_signal -1
	s_barrier_wait -1
	global_inv scope:SCOPE_SE
	scratch_load_b128 v[1:4], off, s15
	v_add_nc_u32_e32 v6, -1, v0
	s_mov_b32 s0, exec_lo
	s_wait_loadcnt 0x0
	ds_store_b128 v5, v[1:4]
	s_wait_dscnt 0x0
	s_barrier_signal -1
	s_barrier_wait -1
	global_inv scope:SCOPE_SE
	v_cmpx_gt_u32_e32 3, v0
	s_cbranch_execz .LBB23_27
; %bb.24:
	v_dual_mov_b32 v1, 0 :: v_dual_add_nc_u32 v8, 0x180, v61
	v_mov_b32_e32 v3, 0
	v_dual_mov_b32 v2, 0 :: v_dual_add_nc_u32 v7, -1, v0
	v_mov_b32_e32 v4, 0
	v_or_b32_e32 v9, 8, v62
	s_mov_b32 s1, 0
.LBB23_25:                              ; =>This Inner Loop Header: Depth=1
	scratch_load_b128 v[63:66], v9, off offset:-8
	ds_load_b128 v[67:70], v8
	v_add_nc_u32_e32 v7, 1, v7
	v_add_nc_u32_e32 v8, 16, v8
	v_add_nc_u32_e32 v9, 16, v9
	s_delay_alu instid0(VALU_DEP_3)
	v_cmp_lt_u32_e32 vcc_lo, 1, v7
	s_wait_alu 0xfffe
	s_or_b32 s1, vcc_lo, s1
	s_wait_loadcnt_dscnt 0x0
	v_mul_f64_e32 v[10:11], v[69:70], v[65:66]
	v_mul_f64_e32 v[65:66], v[67:68], v[65:66]
	s_delay_alu instid0(VALU_DEP_2) | instskip(NEXT) | instid1(VALU_DEP_2)
	v_fma_f64 v[10:11], v[67:68], v[63:64], -v[10:11]
	v_fma_f64 v[63:64], v[69:70], v[63:64], v[65:66]
	s_delay_alu instid0(VALU_DEP_2) | instskip(NEXT) | instid1(VALU_DEP_2)
	v_add_f64_e32 v[3:4], v[3:4], v[10:11]
	v_add_f64_e32 v[1:2], v[1:2], v[63:64]
	s_wait_alu 0xfffe
	s_and_not1_b32 exec_lo, exec_lo, s1
	s_cbranch_execnz .LBB23_25
; %bb.26:
	s_or_b32 exec_lo, exec_lo, s1
	v_mov_b32_e32 v7, 0
	ds_load_b128 v[7:10], v7 offset:48
	s_wait_dscnt 0x0
	v_mul_f64_e32 v[11:12], v[1:2], v[9:10]
	v_mul_f64_e32 v[63:64], v[3:4], v[9:10]
	s_delay_alu instid0(VALU_DEP_2) | instskip(NEXT) | instid1(VALU_DEP_2)
	v_fma_f64 v[9:10], v[3:4], v[7:8], -v[11:12]
	v_fma_f64 v[11:12], v[1:2], v[7:8], v[63:64]
	scratch_store_b128 off, v[9:12], off offset:64
.LBB23_27:
	s_wait_alu 0xfffe
	s_or_b32 exec_lo, exec_lo, s0
	s_wait_loadcnt 0x0
	s_wait_storecnt 0x0
	s_barrier_signal -1
	s_barrier_wait -1
	global_inv scope:SCOPE_SE
	scratch_load_b128 v[1:4], off, s26
	s_mov_b32 s0, exec_lo
	s_wait_loadcnt 0x0
	ds_store_b128 v5, v[1:4]
	s_wait_dscnt 0x0
	s_barrier_signal -1
	s_barrier_wait -1
	global_inv scope:SCOPE_SE
	v_cmpx_gt_u32_e32 4, v0
	s_cbranch_execz .LBB23_31
; %bb.28:
	v_dual_mov_b32 v1, 0 :: v_dual_add_nc_u32 v8, 0x180, v61
	v_mov_b32_e32 v3, 0
	v_dual_mov_b32 v2, 0 :: v_dual_add_nc_u32 v7, -1, v0
	v_mov_b32_e32 v4, 0
	v_or_b32_e32 v9, 8, v62
	s_mov_b32 s1, 0
.LBB23_29:                              ; =>This Inner Loop Header: Depth=1
	scratch_load_b128 v[63:66], v9, off offset:-8
	ds_load_b128 v[67:70], v8
	v_add_nc_u32_e32 v7, 1, v7
	v_add_nc_u32_e32 v8, 16, v8
	v_add_nc_u32_e32 v9, 16, v9
	s_delay_alu instid0(VALU_DEP_3)
	v_cmp_lt_u32_e32 vcc_lo, 2, v7
	s_wait_alu 0xfffe
	s_or_b32 s1, vcc_lo, s1
	s_wait_loadcnt_dscnt 0x0
	v_mul_f64_e32 v[10:11], v[69:70], v[65:66]
	v_mul_f64_e32 v[65:66], v[67:68], v[65:66]
	s_delay_alu instid0(VALU_DEP_2) | instskip(NEXT) | instid1(VALU_DEP_2)
	v_fma_f64 v[10:11], v[67:68], v[63:64], -v[10:11]
	v_fma_f64 v[63:64], v[69:70], v[63:64], v[65:66]
	s_delay_alu instid0(VALU_DEP_2) | instskip(NEXT) | instid1(VALU_DEP_2)
	v_add_f64_e32 v[3:4], v[3:4], v[10:11]
	v_add_f64_e32 v[1:2], v[1:2], v[63:64]
	s_wait_alu 0xfffe
	s_and_not1_b32 exec_lo, exec_lo, s1
	s_cbranch_execnz .LBB23_29
; %bb.30:
	s_or_b32 exec_lo, exec_lo, s1
	v_mov_b32_e32 v7, 0
	ds_load_b128 v[7:10], v7 offset:64
	s_wait_dscnt 0x0
	v_mul_f64_e32 v[11:12], v[1:2], v[9:10]
	v_mul_f64_e32 v[63:64], v[3:4], v[9:10]
	s_delay_alu instid0(VALU_DEP_2) | instskip(NEXT) | instid1(VALU_DEP_2)
	v_fma_f64 v[9:10], v[3:4], v[7:8], -v[11:12]
	v_fma_f64 v[11:12], v[1:2], v[7:8], v[63:64]
	scratch_store_b128 off, v[9:12], off offset:80
.LBB23_31:
	s_wait_alu 0xfffe
	s_or_b32 exec_lo, exec_lo, s0
	s_wait_loadcnt 0x0
	s_wait_storecnt 0x0
	s_barrier_signal -1
	s_barrier_wait -1
	global_inv scope:SCOPE_SE
	scratch_load_b128 v[1:4], off, s21
	;; [unrolled: 58-line block ×19, first 2 shown]
	s_mov_b32 s0, exec_lo
	s_wait_loadcnt 0x0
	ds_store_b128 v5, v[1:4]
	s_wait_dscnt 0x0
	s_barrier_signal -1
	s_barrier_wait -1
	global_inv scope:SCOPE_SE
	v_cmpx_gt_u32_e32 22, v0
	s_cbranch_execz .LBB23_103
; %bb.100:
	v_dual_mov_b32 v1, 0 :: v_dual_add_nc_u32 v8, 0x180, v61
	v_mov_b32_e32 v3, 0
	v_dual_mov_b32 v2, 0 :: v_dual_add_nc_u32 v7, -1, v0
	v_mov_b32_e32 v4, 0
	v_or_b32_e32 v9, 8, v62
	s_mov_b32 s1, 0
.LBB23_101:                             ; =>This Inner Loop Header: Depth=1
	scratch_load_b128 v[63:66], v9, off offset:-8
	ds_load_b128 v[67:70], v8
	v_add_nc_u32_e32 v7, 1, v7
	v_add_nc_u32_e32 v8, 16, v8
	;; [unrolled: 1-line block ×3, first 2 shown]
	s_delay_alu instid0(VALU_DEP_3)
	v_cmp_lt_u32_e32 vcc_lo, 20, v7
	s_wait_alu 0xfffe
	s_or_b32 s1, vcc_lo, s1
	s_wait_loadcnt_dscnt 0x0
	v_mul_f64_e32 v[10:11], v[69:70], v[65:66]
	v_mul_f64_e32 v[65:66], v[67:68], v[65:66]
	s_delay_alu instid0(VALU_DEP_2) | instskip(NEXT) | instid1(VALU_DEP_2)
	v_fma_f64 v[10:11], v[67:68], v[63:64], -v[10:11]
	v_fma_f64 v[63:64], v[69:70], v[63:64], v[65:66]
	s_delay_alu instid0(VALU_DEP_2) | instskip(NEXT) | instid1(VALU_DEP_2)
	v_add_f64_e32 v[3:4], v[3:4], v[10:11]
	v_add_f64_e32 v[1:2], v[1:2], v[63:64]
	s_wait_alu 0xfffe
	s_and_not1_b32 exec_lo, exec_lo, s1
	s_cbranch_execnz .LBB23_101
; %bb.102:
	s_or_b32 exec_lo, exec_lo, s1
	v_mov_b32_e32 v7, 0
	ds_load_b128 v[7:10], v7 offset:352
	s_wait_dscnt 0x0
	v_mul_f64_e32 v[11:12], v[1:2], v[9:10]
	v_mul_f64_e32 v[63:64], v[3:4], v[9:10]
	s_delay_alu instid0(VALU_DEP_2) | instskip(NEXT) | instid1(VALU_DEP_2)
	v_fma_f64 v[9:10], v[3:4], v[7:8], -v[11:12]
	v_fma_f64 v[11:12], v[1:2], v[7:8], v[63:64]
	scratch_store_b128 off, v[9:12], off offset:368
.LBB23_103:
	s_wait_alu 0xfffe
	s_or_b32 exec_lo, exec_lo, s0
	s_wait_loadcnt 0x0
	s_wait_storecnt 0x0
	s_barrier_signal -1
	s_barrier_wait -1
	global_inv scope:SCOPE_SE
	scratch_load_b128 v[1:4], off, s14
	s_mov_b32 s0, exec_lo
	s_wait_loadcnt 0x0
	ds_store_b128 v5, v[1:4]
	s_wait_dscnt 0x0
	s_barrier_signal -1
	s_barrier_wait -1
	global_inv scope:SCOPE_SE
	v_cmpx_ne_u32_e32 23, v0
	s_cbranch_execz .LBB23_107
; %bb.104:
	v_mov_b32_e32 v1, 0
	v_dual_mov_b32 v2, 0 :: v_dual_mov_b32 v3, 0
	v_mov_b32_e32 v4, 0
	v_or_b32_e32 v7, 8, v62
	s_mov_b32 s1, 0
.LBB23_105:                             ; =>This Inner Loop Header: Depth=1
	scratch_load_b128 v[8:11], v7, off offset:-8
	ds_load_b128 v[61:64], v5
	v_add_nc_u32_e32 v6, 1, v6
	v_add_nc_u32_e32 v5, 16, v5
	;; [unrolled: 1-line block ×3, first 2 shown]
	s_delay_alu instid0(VALU_DEP_3)
	v_cmp_lt_u32_e32 vcc_lo, 21, v6
	s_wait_alu 0xfffe
	s_or_b32 s1, vcc_lo, s1
	s_wait_loadcnt_dscnt 0x0
	v_mul_f64_e32 v[65:66], v[63:64], v[10:11]
	v_mul_f64_e32 v[10:11], v[61:62], v[10:11]
	s_delay_alu instid0(VALU_DEP_2) | instskip(NEXT) | instid1(VALU_DEP_2)
	v_fma_f64 v[61:62], v[61:62], v[8:9], -v[65:66]
	v_fma_f64 v[8:9], v[63:64], v[8:9], v[10:11]
	s_delay_alu instid0(VALU_DEP_2) | instskip(NEXT) | instid1(VALU_DEP_2)
	v_add_f64_e32 v[3:4], v[3:4], v[61:62]
	v_add_f64_e32 v[1:2], v[1:2], v[8:9]
	s_wait_alu 0xfffe
	s_and_not1_b32 exec_lo, exec_lo, s1
	s_cbranch_execnz .LBB23_105
; %bb.106:
	s_or_b32 exec_lo, exec_lo, s1
	v_mov_b32_e32 v5, 0
	ds_load_b128 v[5:8], v5 offset:368
	s_wait_dscnt 0x0
	v_mul_f64_e32 v[9:10], v[1:2], v[7:8]
	v_mul_f64_e32 v[7:8], v[3:4], v[7:8]
	s_delay_alu instid0(VALU_DEP_2) | instskip(NEXT) | instid1(VALU_DEP_2)
	v_fma_f64 v[3:4], v[3:4], v[5:6], -v[9:10]
	v_fma_f64 v[5:6], v[1:2], v[5:6], v[7:8]
	scratch_store_b128 off, v[3:6], off offset:384
.LBB23_107:
	s_wait_alu 0xfffe
	s_or_b32 exec_lo, exec_lo, s0
	s_mov_b32 s1, -1
	s_wait_loadcnt 0x0
	s_wait_storecnt 0x0
	s_barrier_signal -1
	s_barrier_wait -1
	global_inv scope:SCOPE_SE
.LBB23_108:
	s_wait_alu 0xfffe
	s_and_b32 vcc_lo, exec_lo, s1
	s_wait_alu 0xfffe
	s_cbranch_vccz .LBB23_110
; %bb.109:
	v_mov_b32_e32 v1, 0
	s_lshl_b64 s[0:1], s[16:17], 2
	s_wait_alu 0xfffe
	s_add_nc_u64 s[0:1], s[6:7], s[0:1]
	global_load_b32 v1, v1, s[0:1]
	s_wait_loadcnt 0x0
	v_cmp_ne_u32_e32 vcc_lo, 0, v1
	s_cbranch_vccz .LBB23_111
.LBB23_110:
	s_nop 0
	s_sendmsg sendmsg(MSG_DEALLOC_VGPRS)
	s_endpgm
.LBB23_111:
	v_lshl_add_u32 v5, v0, 4, 0x180
	s_mov_b32 s0, exec_lo
	v_cmpx_eq_u32_e32 23, v0
	s_cbranch_execz .LBB23_113
; %bb.112:
	scratch_load_b128 v[1:4], off, s13
	v_mov_b32_e32 v6, 0
	s_delay_alu instid0(VALU_DEP_1)
	v_dual_mov_b32 v7, v6 :: v_dual_mov_b32 v8, v6
	v_mov_b32_e32 v9, v6
	scratch_store_b128 off, v[6:9], off offset:368
	s_wait_loadcnt 0x0
	ds_store_b128 v5, v[1:4]
.LBB23_113:
	s_wait_alu 0xfffe
	s_or_b32 exec_lo, exec_lo, s0
	s_wait_storecnt_dscnt 0x0
	s_barrier_signal -1
	s_barrier_wait -1
	global_inv scope:SCOPE_SE
	s_clause 0x1
	scratch_load_b128 v[6:9], off, off offset:384
	scratch_load_b128 v[61:64], off, off offset:368
	v_mov_b32_e32 v1, 0
	s_mov_b32 s0, exec_lo
	ds_load_b128 v[65:68], v1 offset:752
	s_wait_loadcnt_dscnt 0x100
	v_mul_f64_e32 v[2:3], v[67:68], v[8:9]
	v_mul_f64_e32 v[8:9], v[65:66], v[8:9]
	s_delay_alu instid0(VALU_DEP_2) | instskip(NEXT) | instid1(VALU_DEP_2)
	v_fma_f64 v[2:3], v[65:66], v[6:7], -v[2:3]
	v_fma_f64 v[6:7], v[67:68], v[6:7], v[8:9]
	s_delay_alu instid0(VALU_DEP_2) | instskip(NEXT) | instid1(VALU_DEP_2)
	v_add_f64_e32 v[2:3], 0, v[2:3]
	v_add_f64_e32 v[8:9], 0, v[6:7]
	s_wait_loadcnt 0x0
	s_delay_alu instid0(VALU_DEP_2) | instskip(NEXT) | instid1(VALU_DEP_2)
	v_add_f64_e64 v[6:7], v[61:62], -v[2:3]
	v_add_f64_e64 v[8:9], v[63:64], -v[8:9]
	scratch_store_b128 off, v[6:9], off offset:368
	v_cmpx_lt_u32_e32 21, v0
	s_cbranch_execz .LBB23_115
; %bb.114:
	scratch_load_b128 v[6:9], off, s11
	v_dual_mov_b32 v2, v1 :: v_dual_mov_b32 v3, v1
	v_mov_b32_e32 v4, v1
	scratch_store_b128 off, v[1:4], off offset:352
	s_wait_loadcnt 0x0
	ds_store_b128 v5, v[6:9]
.LBB23_115:
	s_wait_alu 0xfffe
	s_or_b32 exec_lo, exec_lo, s0
	s_wait_storecnt_dscnt 0x0
	s_barrier_signal -1
	s_barrier_wait -1
	global_inv scope:SCOPE_SE
	s_clause 0x2
	scratch_load_b128 v[6:9], off, off offset:368
	scratch_load_b128 v[61:64], off, off offset:384
	;; [unrolled: 1-line block ×3, first 2 shown]
	ds_load_b128 v[69:72], v1 offset:736
	ds_load_b128 v[1:4], v1 offset:752
	s_mov_b32 s0, exec_lo
	s_wait_loadcnt_dscnt 0x201
	v_mul_f64_e32 v[10:11], v[71:72], v[8:9]
	v_mul_f64_e32 v[8:9], v[69:70], v[8:9]
	s_wait_loadcnt_dscnt 0x100
	v_mul_f64_e32 v[73:74], v[1:2], v[63:64]
	v_mul_f64_e32 v[63:64], v[3:4], v[63:64]
	s_delay_alu instid0(VALU_DEP_4) | instskip(NEXT) | instid1(VALU_DEP_4)
	v_fma_f64 v[10:11], v[69:70], v[6:7], -v[10:11]
	v_fma_f64 v[6:7], v[71:72], v[6:7], v[8:9]
	s_delay_alu instid0(VALU_DEP_4) | instskip(NEXT) | instid1(VALU_DEP_4)
	v_fma_f64 v[3:4], v[3:4], v[61:62], v[73:74]
	v_fma_f64 v[1:2], v[1:2], v[61:62], -v[63:64]
	s_delay_alu instid0(VALU_DEP_4) | instskip(NEXT) | instid1(VALU_DEP_4)
	v_add_f64_e32 v[8:9], 0, v[10:11]
	v_add_f64_e32 v[6:7], 0, v[6:7]
	s_delay_alu instid0(VALU_DEP_2) | instskip(NEXT) | instid1(VALU_DEP_2)
	v_add_f64_e32 v[1:2], v[8:9], v[1:2]
	v_add_f64_e32 v[3:4], v[6:7], v[3:4]
	s_wait_loadcnt 0x0
	s_delay_alu instid0(VALU_DEP_2) | instskip(NEXT) | instid1(VALU_DEP_2)
	v_add_f64_e64 v[1:2], v[65:66], -v[1:2]
	v_add_f64_e64 v[3:4], v[67:68], -v[3:4]
	scratch_store_b128 off, v[1:4], off offset:352
	v_cmpx_lt_u32_e32 20, v0
	s_cbranch_execz .LBB23_117
; %bb.116:
	scratch_load_b128 v[1:4], off, s12
	v_mov_b32_e32 v6, 0
	s_delay_alu instid0(VALU_DEP_1)
	v_dual_mov_b32 v7, v6 :: v_dual_mov_b32 v8, v6
	v_mov_b32_e32 v9, v6
	scratch_store_b128 off, v[6:9], off offset:336
	s_wait_loadcnt 0x0
	ds_store_b128 v5, v[1:4]
.LBB23_117:
	s_wait_alu 0xfffe
	s_or_b32 exec_lo, exec_lo, s0
	s_wait_storecnt_dscnt 0x0
	s_barrier_signal -1
	s_barrier_wait -1
	global_inv scope:SCOPE_SE
	s_clause 0x3
	scratch_load_b128 v[6:9], off, off offset:352
	scratch_load_b128 v[61:64], off, off offset:368
	scratch_load_b128 v[65:68], off, off offset:384
	scratch_load_b128 v[69:72], off, off offset:336
	v_mov_b32_e32 v1, 0
	ds_load_b128 v[73:76], v1 offset:720
	ds_load_b128 v[77:80], v1 offset:736
	s_mov_b32 s0, exec_lo
	s_wait_loadcnt_dscnt 0x301
	v_mul_f64_e32 v[2:3], v[75:76], v[8:9]
	v_mul_f64_e32 v[8:9], v[73:74], v[8:9]
	s_wait_loadcnt_dscnt 0x200
	v_mul_f64_e32 v[10:11], v[77:78], v[63:64]
	v_mul_f64_e32 v[63:64], v[79:80], v[63:64]
	s_delay_alu instid0(VALU_DEP_4) | instskip(NEXT) | instid1(VALU_DEP_4)
	v_fma_f64 v[2:3], v[73:74], v[6:7], -v[2:3]
	v_fma_f64 v[73:74], v[75:76], v[6:7], v[8:9]
	ds_load_b128 v[6:9], v1 offset:752
	v_fma_f64 v[10:11], v[79:80], v[61:62], v[10:11]
	v_fma_f64 v[61:62], v[77:78], v[61:62], -v[63:64]
	s_wait_loadcnt_dscnt 0x100
	v_mul_f64_e32 v[75:76], v[6:7], v[67:68]
	v_mul_f64_e32 v[67:68], v[8:9], v[67:68]
	v_add_f64_e32 v[2:3], 0, v[2:3]
	v_add_f64_e32 v[63:64], 0, v[73:74]
	s_delay_alu instid0(VALU_DEP_4) | instskip(NEXT) | instid1(VALU_DEP_4)
	v_fma_f64 v[8:9], v[8:9], v[65:66], v[75:76]
	v_fma_f64 v[6:7], v[6:7], v[65:66], -v[67:68]
	s_delay_alu instid0(VALU_DEP_4) | instskip(NEXT) | instid1(VALU_DEP_4)
	v_add_f64_e32 v[2:3], v[2:3], v[61:62]
	v_add_f64_e32 v[10:11], v[63:64], v[10:11]
	s_delay_alu instid0(VALU_DEP_2) | instskip(NEXT) | instid1(VALU_DEP_2)
	v_add_f64_e32 v[2:3], v[2:3], v[6:7]
	v_add_f64_e32 v[8:9], v[10:11], v[8:9]
	s_wait_loadcnt 0x0
	s_delay_alu instid0(VALU_DEP_2) | instskip(NEXT) | instid1(VALU_DEP_2)
	v_add_f64_e64 v[6:7], v[69:70], -v[2:3]
	v_add_f64_e64 v[8:9], v[71:72], -v[8:9]
	scratch_store_b128 off, v[6:9], off offset:336
	v_cmpx_lt_u32_e32 19, v0
	s_cbranch_execz .LBB23_119
; %bb.118:
	scratch_load_b128 v[6:9], off, s9
	v_dual_mov_b32 v2, v1 :: v_dual_mov_b32 v3, v1
	v_mov_b32_e32 v4, v1
	scratch_store_b128 off, v[1:4], off offset:320
	s_wait_loadcnt 0x0
	ds_store_b128 v5, v[6:9]
.LBB23_119:
	s_wait_alu 0xfffe
	s_or_b32 exec_lo, exec_lo, s0
	s_wait_storecnt_dscnt 0x0
	s_barrier_signal -1
	s_barrier_wait -1
	global_inv scope:SCOPE_SE
	s_clause 0x4
	scratch_load_b128 v[6:9], off, off offset:336
	scratch_load_b128 v[61:64], off, off offset:352
	scratch_load_b128 v[65:68], off, off offset:368
	scratch_load_b128 v[69:72], off, off offset:384
	scratch_load_b128 v[73:76], off, off offset:320
	ds_load_b128 v[77:80], v1 offset:704
	ds_load_b128 v[81:84], v1 offset:720
	s_mov_b32 s0, exec_lo
	s_wait_loadcnt_dscnt 0x401
	v_mul_f64_e32 v[2:3], v[79:80], v[8:9]
	v_mul_f64_e32 v[8:9], v[77:78], v[8:9]
	s_wait_loadcnt_dscnt 0x300
	v_mul_f64_e32 v[10:11], v[81:82], v[63:64]
	v_mul_f64_e32 v[63:64], v[83:84], v[63:64]
	s_delay_alu instid0(VALU_DEP_4) | instskip(NEXT) | instid1(VALU_DEP_4)
	v_fma_f64 v[77:78], v[77:78], v[6:7], -v[2:3]
	v_fma_f64 v[79:80], v[79:80], v[6:7], v[8:9]
	ds_load_b128 v[6:9], v1 offset:736
	ds_load_b128 v[1:4], v1 offset:752
	v_fma_f64 v[10:11], v[83:84], v[61:62], v[10:11]
	v_fma_f64 v[61:62], v[81:82], v[61:62], -v[63:64]
	s_wait_loadcnt_dscnt 0x201
	v_mul_f64_e32 v[85:86], v[6:7], v[67:68]
	v_mul_f64_e32 v[67:68], v[8:9], v[67:68]
	v_add_f64_e32 v[63:64], 0, v[77:78]
	v_add_f64_e32 v[77:78], 0, v[79:80]
	s_wait_loadcnt_dscnt 0x100
	v_mul_f64_e32 v[79:80], v[1:2], v[71:72]
	v_mul_f64_e32 v[71:72], v[3:4], v[71:72]
	v_fma_f64 v[8:9], v[8:9], v[65:66], v[85:86]
	v_fma_f64 v[6:7], v[6:7], v[65:66], -v[67:68]
	v_add_f64_e32 v[61:62], v[63:64], v[61:62]
	v_add_f64_e32 v[10:11], v[77:78], v[10:11]
	v_fma_f64 v[3:4], v[3:4], v[69:70], v[79:80]
	v_fma_f64 v[1:2], v[1:2], v[69:70], -v[71:72]
	s_delay_alu instid0(VALU_DEP_4) | instskip(NEXT) | instid1(VALU_DEP_4)
	v_add_f64_e32 v[6:7], v[61:62], v[6:7]
	v_add_f64_e32 v[8:9], v[10:11], v[8:9]
	s_delay_alu instid0(VALU_DEP_2) | instskip(NEXT) | instid1(VALU_DEP_2)
	v_add_f64_e32 v[1:2], v[6:7], v[1:2]
	v_add_f64_e32 v[3:4], v[8:9], v[3:4]
	s_wait_loadcnt 0x0
	s_delay_alu instid0(VALU_DEP_2) | instskip(NEXT) | instid1(VALU_DEP_2)
	v_add_f64_e64 v[1:2], v[73:74], -v[1:2]
	v_add_f64_e64 v[3:4], v[75:76], -v[3:4]
	scratch_store_b128 off, v[1:4], off offset:320
	v_cmpx_lt_u32_e32 18, v0
	s_cbranch_execz .LBB23_121
; %bb.120:
	scratch_load_b128 v[1:4], off, s10
	v_mov_b32_e32 v6, 0
	s_delay_alu instid0(VALU_DEP_1)
	v_dual_mov_b32 v7, v6 :: v_dual_mov_b32 v8, v6
	v_mov_b32_e32 v9, v6
	scratch_store_b128 off, v[6:9], off offset:304
	s_wait_loadcnt 0x0
	ds_store_b128 v5, v[1:4]
.LBB23_121:
	s_wait_alu 0xfffe
	s_or_b32 exec_lo, exec_lo, s0
	s_wait_storecnt_dscnt 0x0
	s_barrier_signal -1
	s_barrier_wait -1
	global_inv scope:SCOPE_SE
	s_clause 0x5
	scratch_load_b128 v[6:9], off, off offset:320
	scratch_load_b128 v[61:64], off, off offset:336
	;; [unrolled: 1-line block ×6, first 2 shown]
	v_mov_b32_e32 v1, 0
	ds_load_b128 v[81:84], v1 offset:688
	ds_load_b128 v[85:88], v1 offset:704
	s_mov_b32 s0, exec_lo
	s_wait_loadcnt_dscnt 0x501
	v_mul_f64_e32 v[2:3], v[83:84], v[8:9]
	v_mul_f64_e32 v[8:9], v[81:82], v[8:9]
	s_wait_loadcnt_dscnt 0x400
	v_mul_f64_e32 v[10:11], v[85:86], v[63:64]
	v_mul_f64_e32 v[63:64], v[87:88], v[63:64]
	s_delay_alu instid0(VALU_DEP_4) | instskip(NEXT) | instid1(VALU_DEP_4)
	v_fma_f64 v[2:3], v[81:82], v[6:7], -v[2:3]
	v_fma_f64 v[89:90], v[83:84], v[6:7], v[8:9]
	ds_load_b128 v[6:9], v1 offset:720
	ds_load_b128 v[81:84], v1 offset:736
	v_fma_f64 v[10:11], v[87:88], v[61:62], v[10:11]
	v_fma_f64 v[61:62], v[85:86], v[61:62], -v[63:64]
	s_wait_loadcnt_dscnt 0x301
	v_mul_f64_e32 v[91:92], v[6:7], v[67:68]
	v_mul_f64_e32 v[67:68], v[8:9], v[67:68]
	s_wait_loadcnt_dscnt 0x200
	v_mul_f64_e32 v[85:86], v[81:82], v[71:72]
	v_mul_f64_e32 v[71:72], v[83:84], v[71:72]
	v_add_f64_e32 v[2:3], 0, v[2:3]
	v_add_f64_e32 v[63:64], 0, v[89:90]
	v_fma_f64 v[87:88], v[8:9], v[65:66], v[91:92]
	v_fma_f64 v[65:66], v[6:7], v[65:66], -v[67:68]
	ds_load_b128 v[6:9], v1 offset:752
	v_fma_f64 v[67:68], v[83:84], v[69:70], v[85:86]
	v_fma_f64 v[69:70], v[81:82], v[69:70], -v[71:72]
	v_add_f64_e32 v[2:3], v[2:3], v[61:62]
	v_add_f64_e32 v[10:11], v[63:64], v[10:11]
	s_wait_loadcnt_dscnt 0x100
	v_mul_f64_e32 v[61:62], v[6:7], v[75:76]
	v_mul_f64_e32 v[63:64], v[8:9], v[75:76]
	s_delay_alu instid0(VALU_DEP_4) | instskip(NEXT) | instid1(VALU_DEP_4)
	v_add_f64_e32 v[2:3], v[2:3], v[65:66]
	v_add_f64_e32 v[10:11], v[10:11], v[87:88]
	s_delay_alu instid0(VALU_DEP_4) | instskip(NEXT) | instid1(VALU_DEP_4)
	v_fma_f64 v[8:9], v[8:9], v[73:74], v[61:62]
	v_fma_f64 v[6:7], v[6:7], v[73:74], -v[63:64]
	s_delay_alu instid0(VALU_DEP_4) | instskip(NEXT) | instid1(VALU_DEP_4)
	v_add_f64_e32 v[2:3], v[2:3], v[69:70]
	v_add_f64_e32 v[10:11], v[10:11], v[67:68]
	s_delay_alu instid0(VALU_DEP_2) | instskip(NEXT) | instid1(VALU_DEP_2)
	v_add_f64_e32 v[2:3], v[2:3], v[6:7]
	v_add_f64_e32 v[8:9], v[10:11], v[8:9]
	s_wait_loadcnt 0x0
	s_delay_alu instid0(VALU_DEP_2) | instskip(NEXT) | instid1(VALU_DEP_2)
	v_add_f64_e64 v[6:7], v[77:78], -v[2:3]
	v_add_f64_e64 v[8:9], v[79:80], -v[8:9]
	scratch_store_b128 off, v[6:9], off offset:304
	v_cmpx_lt_u32_e32 17, v0
	s_cbranch_execz .LBB23_123
; %bb.122:
	scratch_load_b128 v[6:9], off, s5
	v_dual_mov_b32 v2, v1 :: v_dual_mov_b32 v3, v1
	v_mov_b32_e32 v4, v1
	scratch_store_b128 off, v[1:4], off offset:288
	s_wait_loadcnt 0x0
	ds_store_b128 v5, v[6:9]
.LBB23_123:
	s_wait_alu 0xfffe
	s_or_b32 exec_lo, exec_lo, s0
	s_wait_storecnt_dscnt 0x0
	s_barrier_signal -1
	s_barrier_wait -1
	global_inv scope:SCOPE_SE
	s_clause 0x5
	scratch_load_b128 v[6:9], off, off offset:304
	scratch_load_b128 v[61:64], off, off offset:320
	;; [unrolled: 1-line block ×6, first 2 shown]
	ds_load_b128 v[81:84], v1 offset:672
	ds_load_b128 v[89:92], v1 offset:688
	scratch_load_b128 v[85:88], off, off offset:288
	s_mov_b32 s0, exec_lo
	s_wait_loadcnt_dscnt 0x601
	v_mul_f64_e32 v[2:3], v[83:84], v[8:9]
	v_mul_f64_e32 v[8:9], v[81:82], v[8:9]
	s_wait_loadcnt_dscnt 0x500
	v_mul_f64_e32 v[10:11], v[89:90], v[63:64]
	v_mul_f64_e32 v[63:64], v[91:92], v[63:64]
	s_delay_alu instid0(VALU_DEP_4) | instskip(NEXT) | instid1(VALU_DEP_4)
	v_fma_f64 v[2:3], v[81:82], v[6:7], -v[2:3]
	v_fma_f64 v[93:94], v[83:84], v[6:7], v[8:9]
	ds_load_b128 v[6:9], v1 offset:704
	ds_load_b128 v[81:84], v1 offset:720
	v_fma_f64 v[10:11], v[91:92], v[61:62], v[10:11]
	v_fma_f64 v[61:62], v[89:90], v[61:62], -v[63:64]
	s_wait_loadcnt_dscnt 0x401
	v_mul_f64_e32 v[95:96], v[6:7], v[67:68]
	v_mul_f64_e32 v[67:68], v[8:9], v[67:68]
	s_wait_loadcnt_dscnt 0x300
	v_mul_f64_e32 v[89:90], v[81:82], v[71:72]
	v_mul_f64_e32 v[71:72], v[83:84], v[71:72]
	v_add_f64_e32 v[2:3], 0, v[2:3]
	v_add_f64_e32 v[63:64], 0, v[93:94]
	v_fma_f64 v[91:92], v[8:9], v[65:66], v[95:96]
	v_fma_f64 v[65:66], v[6:7], v[65:66], -v[67:68]
	s_delay_alu instid0(VALU_DEP_4) | instskip(NEXT) | instid1(VALU_DEP_4)
	v_add_f64_e32 v[61:62], v[2:3], v[61:62]
	v_add_f64_e32 v[10:11], v[63:64], v[10:11]
	ds_load_b128 v[6:9], v1 offset:736
	ds_load_b128 v[1:4], v1 offset:752
	s_wait_loadcnt_dscnt 0x201
	v_mul_f64_e32 v[63:64], v[6:7], v[75:76]
	v_mul_f64_e32 v[67:68], v[8:9], v[75:76]
	v_fma_f64 v[75:76], v[83:84], v[69:70], v[89:90]
	v_fma_f64 v[69:70], v[81:82], v[69:70], -v[71:72]
	s_wait_loadcnt_dscnt 0x100
	v_mul_f64_e32 v[71:72], v[3:4], v[79:80]
	v_add_f64_e32 v[61:62], v[61:62], v[65:66]
	v_add_f64_e32 v[10:11], v[10:11], v[91:92]
	v_mul_f64_e32 v[65:66], v[1:2], v[79:80]
	v_fma_f64 v[8:9], v[8:9], v[73:74], v[63:64]
	v_fma_f64 v[6:7], v[6:7], v[73:74], -v[67:68]
	v_fma_f64 v[1:2], v[1:2], v[77:78], -v[71:72]
	v_add_f64_e32 v[61:62], v[61:62], v[69:70]
	v_add_f64_e32 v[10:11], v[10:11], v[75:76]
	v_fma_f64 v[3:4], v[3:4], v[77:78], v[65:66]
	s_delay_alu instid0(VALU_DEP_3) | instskip(NEXT) | instid1(VALU_DEP_3)
	v_add_f64_e32 v[6:7], v[61:62], v[6:7]
	v_add_f64_e32 v[8:9], v[10:11], v[8:9]
	s_delay_alu instid0(VALU_DEP_2) | instskip(NEXT) | instid1(VALU_DEP_2)
	v_add_f64_e32 v[1:2], v[6:7], v[1:2]
	v_add_f64_e32 v[3:4], v[8:9], v[3:4]
	s_wait_loadcnt 0x0
	s_delay_alu instid0(VALU_DEP_2) | instskip(NEXT) | instid1(VALU_DEP_2)
	v_add_f64_e64 v[1:2], v[85:86], -v[1:2]
	v_add_f64_e64 v[3:4], v[87:88], -v[3:4]
	scratch_store_b128 off, v[1:4], off offset:288
	v_cmpx_lt_u32_e32 16, v0
	s_cbranch_execz .LBB23_125
; %bb.124:
	scratch_load_b128 v[1:4], off, s8
	v_mov_b32_e32 v6, 0
	s_delay_alu instid0(VALU_DEP_1)
	v_dual_mov_b32 v7, v6 :: v_dual_mov_b32 v8, v6
	v_mov_b32_e32 v9, v6
	scratch_store_b128 off, v[6:9], off offset:272
	s_wait_loadcnt 0x0
	ds_store_b128 v5, v[1:4]
.LBB23_125:
	s_wait_alu 0xfffe
	s_or_b32 exec_lo, exec_lo, s0
	s_wait_storecnt_dscnt 0x0
	s_barrier_signal -1
	s_barrier_wait -1
	global_inv scope:SCOPE_SE
	s_clause 0x6
	scratch_load_b128 v[6:9], off, off offset:288
	scratch_load_b128 v[61:64], off, off offset:304
	;; [unrolled: 1-line block ×7, first 2 shown]
	v_mov_b32_e32 v1, 0
	scratch_load_b128 v[89:92], off, off offset:272
	s_mov_b32 s0, exec_lo
	ds_load_b128 v[85:88], v1 offset:656
	ds_load_b128 v[93:96], v1 offset:672
	s_wait_loadcnt_dscnt 0x701
	v_mul_f64_e32 v[2:3], v[87:88], v[8:9]
	v_mul_f64_e32 v[8:9], v[85:86], v[8:9]
	s_wait_loadcnt_dscnt 0x600
	v_mul_f64_e32 v[10:11], v[93:94], v[63:64]
	v_mul_f64_e32 v[63:64], v[95:96], v[63:64]
	s_delay_alu instid0(VALU_DEP_4) | instskip(NEXT) | instid1(VALU_DEP_4)
	v_fma_f64 v[2:3], v[85:86], v[6:7], -v[2:3]
	v_fma_f64 v[97:98], v[87:88], v[6:7], v[8:9]
	ds_load_b128 v[6:9], v1 offset:688
	ds_load_b128 v[85:88], v1 offset:704
	v_fma_f64 v[10:11], v[95:96], v[61:62], v[10:11]
	v_fma_f64 v[61:62], v[93:94], v[61:62], -v[63:64]
	s_wait_loadcnt_dscnt 0x501
	v_mul_f64_e32 v[99:100], v[6:7], v[67:68]
	v_mul_f64_e32 v[67:68], v[8:9], v[67:68]
	s_wait_loadcnt_dscnt 0x400
	v_mul_f64_e32 v[93:94], v[85:86], v[71:72]
	v_mul_f64_e32 v[71:72], v[87:88], v[71:72]
	v_add_f64_e32 v[2:3], 0, v[2:3]
	v_add_f64_e32 v[63:64], 0, v[97:98]
	v_fma_f64 v[95:96], v[8:9], v[65:66], v[99:100]
	v_fma_f64 v[65:66], v[6:7], v[65:66], -v[67:68]
	v_fma_f64 v[87:88], v[87:88], v[69:70], v[93:94]
	v_fma_f64 v[69:70], v[85:86], v[69:70], -v[71:72]
	v_add_f64_e32 v[2:3], v[2:3], v[61:62]
	v_add_f64_e32 v[10:11], v[63:64], v[10:11]
	ds_load_b128 v[6:9], v1 offset:720
	ds_load_b128 v[61:64], v1 offset:736
	s_wait_loadcnt_dscnt 0x301
	v_mul_f64_e32 v[67:68], v[6:7], v[75:76]
	v_mul_f64_e32 v[75:76], v[8:9], v[75:76]
	s_wait_loadcnt_dscnt 0x200
	v_mul_f64_e32 v[71:72], v[63:64], v[79:80]
	v_add_f64_e32 v[2:3], v[2:3], v[65:66]
	v_add_f64_e32 v[10:11], v[10:11], v[95:96]
	v_mul_f64_e32 v[65:66], v[61:62], v[79:80]
	v_fma_f64 v[67:68], v[8:9], v[73:74], v[67:68]
	v_fma_f64 v[73:74], v[6:7], v[73:74], -v[75:76]
	ds_load_b128 v[6:9], v1 offset:752
	v_fma_f64 v[61:62], v[61:62], v[77:78], -v[71:72]
	v_add_f64_e32 v[2:3], v[2:3], v[69:70]
	v_add_f64_e32 v[10:11], v[10:11], v[87:88]
	v_fma_f64 v[63:64], v[63:64], v[77:78], v[65:66]
	s_wait_loadcnt_dscnt 0x100
	v_mul_f64_e32 v[69:70], v[6:7], v[83:84]
	v_mul_f64_e32 v[75:76], v[8:9], v[83:84]
	v_add_f64_e32 v[2:3], v[2:3], v[73:74]
	v_add_f64_e32 v[10:11], v[10:11], v[67:68]
	s_delay_alu instid0(VALU_DEP_4) | instskip(NEXT) | instid1(VALU_DEP_4)
	v_fma_f64 v[8:9], v[8:9], v[81:82], v[69:70]
	v_fma_f64 v[6:7], v[6:7], v[81:82], -v[75:76]
	s_delay_alu instid0(VALU_DEP_4) | instskip(NEXT) | instid1(VALU_DEP_4)
	v_add_f64_e32 v[2:3], v[2:3], v[61:62]
	v_add_f64_e32 v[10:11], v[10:11], v[63:64]
	s_delay_alu instid0(VALU_DEP_2) | instskip(NEXT) | instid1(VALU_DEP_2)
	v_add_f64_e32 v[2:3], v[2:3], v[6:7]
	v_add_f64_e32 v[8:9], v[10:11], v[8:9]
	s_wait_loadcnt 0x0
	s_delay_alu instid0(VALU_DEP_2) | instskip(NEXT) | instid1(VALU_DEP_2)
	v_add_f64_e64 v[6:7], v[89:90], -v[2:3]
	v_add_f64_e64 v[8:9], v[91:92], -v[8:9]
	scratch_store_b128 off, v[6:9], off offset:272
	v_cmpx_lt_u32_e32 15, v0
	s_cbranch_execz .LBB23_127
; %bb.126:
	scratch_load_b128 v[6:9], off, s4
	v_dual_mov_b32 v2, v1 :: v_dual_mov_b32 v3, v1
	v_mov_b32_e32 v4, v1
	scratch_store_b128 off, v[1:4], off offset:256
	s_wait_loadcnt 0x0
	ds_store_b128 v5, v[6:9]
.LBB23_127:
	s_wait_alu 0xfffe
	s_or_b32 exec_lo, exec_lo, s0
	s_wait_storecnt_dscnt 0x0
	s_barrier_signal -1
	s_barrier_wait -1
	global_inv scope:SCOPE_SE
	s_clause 0x7
	scratch_load_b128 v[6:9], off, off offset:272
	scratch_load_b128 v[61:64], off, off offset:288
	;; [unrolled: 1-line block ×8, first 2 shown]
	ds_load_b128 v[89:92], v1 offset:640
	ds_load_b128 v[93:96], v1 offset:656
	scratch_load_b128 v[97:100], off, off offset:256
	s_mov_b32 s0, exec_lo
	s_wait_loadcnt_dscnt 0x801
	v_mul_f64_e32 v[2:3], v[91:92], v[8:9]
	v_mul_f64_e32 v[8:9], v[89:90], v[8:9]
	s_wait_loadcnt_dscnt 0x700
	v_mul_f64_e32 v[10:11], v[93:94], v[63:64]
	v_mul_f64_e32 v[63:64], v[95:96], v[63:64]
	s_delay_alu instid0(VALU_DEP_4) | instskip(NEXT) | instid1(VALU_DEP_4)
	v_fma_f64 v[2:3], v[89:90], v[6:7], -v[2:3]
	v_fma_f64 v[101:102], v[91:92], v[6:7], v[8:9]
	ds_load_b128 v[6:9], v1 offset:672
	ds_load_b128 v[89:92], v1 offset:688
	v_fma_f64 v[10:11], v[95:96], v[61:62], v[10:11]
	v_fma_f64 v[61:62], v[93:94], v[61:62], -v[63:64]
	s_wait_loadcnt_dscnt 0x601
	v_mul_f64_e32 v[103:104], v[6:7], v[67:68]
	v_mul_f64_e32 v[67:68], v[8:9], v[67:68]
	s_wait_loadcnt_dscnt 0x500
	v_mul_f64_e32 v[93:94], v[89:90], v[71:72]
	v_mul_f64_e32 v[71:72], v[91:92], v[71:72]
	v_add_f64_e32 v[2:3], 0, v[2:3]
	v_add_f64_e32 v[63:64], 0, v[101:102]
	v_fma_f64 v[95:96], v[8:9], v[65:66], v[103:104]
	v_fma_f64 v[65:66], v[6:7], v[65:66], -v[67:68]
	v_fma_f64 v[91:92], v[91:92], v[69:70], v[93:94]
	v_fma_f64 v[69:70], v[89:90], v[69:70], -v[71:72]
	v_add_f64_e32 v[2:3], v[2:3], v[61:62]
	v_add_f64_e32 v[10:11], v[63:64], v[10:11]
	ds_load_b128 v[6:9], v1 offset:704
	ds_load_b128 v[61:64], v1 offset:720
	s_wait_loadcnt_dscnt 0x401
	v_mul_f64_e32 v[67:68], v[6:7], v[75:76]
	v_mul_f64_e32 v[75:76], v[8:9], v[75:76]
	s_wait_loadcnt_dscnt 0x300
	v_mul_f64_e32 v[71:72], v[63:64], v[79:80]
	v_add_f64_e32 v[2:3], v[2:3], v[65:66]
	v_add_f64_e32 v[10:11], v[10:11], v[95:96]
	v_mul_f64_e32 v[65:66], v[61:62], v[79:80]
	v_fma_f64 v[67:68], v[8:9], v[73:74], v[67:68]
	v_fma_f64 v[73:74], v[6:7], v[73:74], -v[75:76]
	v_fma_f64 v[61:62], v[61:62], v[77:78], -v[71:72]
	v_add_f64_e32 v[69:70], v[2:3], v[69:70]
	v_add_f64_e32 v[10:11], v[10:11], v[91:92]
	ds_load_b128 v[6:9], v1 offset:736
	ds_load_b128 v[1:4], v1 offset:752
	v_fma_f64 v[63:64], v[63:64], v[77:78], v[65:66]
	s_wait_loadcnt_dscnt 0x201
	v_mul_f64_e32 v[75:76], v[6:7], v[83:84]
	v_mul_f64_e32 v[79:80], v[8:9], v[83:84]
	v_add_f64_e32 v[65:66], v[69:70], v[73:74]
	v_add_f64_e32 v[10:11], v[10:11], v[67:68]
	s_wait_loadcnt_dscnt 0x100
	v_mul_f64_e32 v[67:68], v[1:2], v[87:88]
	v_mul_f64_e32 v[69:70], v[3:4], v[87:88]
	v_fma_f64 v[8:9], v[8:9], v[81:82], v[75:76]
	v_fma_f64 v[6:7], v[6:7], v[81:82], -v[79:80]
	v_add_f64_e32 v[61:62], v[65:66], v[61:62]
	v_add_f64_e32 v[10:11], v[10:11], v[63:64]
	v_fma_f64 v[3:4], v[3:4], v[85:86], v[67:68]
	v_fma_f64 v[1:2], v[1:2], v[85:86], -v[69:70]
	s_delay_alu instid0(VALU_DEP_4) | instskip(NEXT) | instid1(VALU_DEP_4)
	v_add_f64_e32 v[6:7], v[61:62], v[6:7]
	v_add_f64_e32 v[8:9], v[10:11], v[8:9]
	s_delay_alu instid0(VALU_DEP_2) | instskip(NEXT) | instid1(VALU_DEP_2)
	v_add_f64_e32 v[1:2], v[6:7], v[1:2]
	v_add_f64_e32 v[3:4], v[8:9], v[3:4]
	s_wait_loadcnt 0x0
	s_delay_alu instid0(VALU_DEP_2) | instskip(NEXT) | instid1(VALU_DEP_2)
	v_add_f64_e64 v[1:2], v[97:98], -v[1:2]
	v_add_f64_e64 v[3:4], v[99:100], -v[3:4]
	scratch_store_b128 off, v[1:4], off offset:256
	v_cmpx_lt_u32_e32 14, v0
	s_cbranch_execz .LBB23_129
; %bb.128:
	scratch_load_b128 v[1:4], off, s31
	v_mov_b32_e32 v6, 0
	s_delay_alu instid0(VALU_DEP_1)
	v_dual_mov_b32 v7, v6 :: v_dual_mov_b32 v8, v6
	v_mov_b32_e32 v9, v6
	scratch_store_b128 off, v[6:9], off offset:240
	s_wait_loadcnt 0x0
	ds_store_b128 v5, v[1:4]
.LBB23_129:
	s_wait_alu 0xfffe
	s_or_b32 exec_lo, exec_lo, s0
	s_wait_storecnt_dscnt 0x0
	s_barrier_signal -1
	s_barrier_wait -1
	global_inv scope:SCOPE_SE
	s_clause 0x7
	scratch_load_b128 v[6:9], off, off offset:256
	scratch_load_b128 v[61:64], off, off offset:272
	;; [unrolled: 1-line block ×8, first 2 shown]
	v_mov_b32_e32 v1, 0
	s_mov_b32 s0, exec_lo
	ds_load_b128 v[89:92], v1 offset:624
	s_clause 0x1
	scratch_load_b128 v[93:96], off, off offset:384
	scratch_load_b128 v[97:100], off, off offset:240
	ds_load_b128 v[101:104], v1 offset:640
	s_wait_loadcnt_dscnt 0x901
	v_mul_f64_e32 v[2:3], v[91:92], v[8:9]
	v_mul_f64_e32 v[8:9], v[89:90], v[8:9]
	s_wait_loadcnt_dscnt 0x800
	v_mul_f64_e32 v[10:11], v[101:102], v[63:64]
	v_mul_f64_e32 v[63:64], v[103:104], v[63:64]
	s_delay_alu instid0(VALU_DEP_4) | instskip(NEXT) | instid1(VALU_DEP_4)
	v_fma_f64 v[2:3], v[89:90], v[6:7], -v[2:3]
	v_fma_f64 v[105:106], v[91:92], v[6:7], v[8:9]
	ds_load_b128 v[6:9], v1 offset:656
	ds_load_b128 v[89:92], v1 offset:672
	v_fma_f64 v[10:11], v[103:104], v[61:62], v[10:11]
	v_fma_f64 v[61:62], v[101:102], v[61:62], -v[63:64]
	s_wait_loadcnt_dscnt 0x701
	v_mul_f64_e32 v[107:108], v[6:7], v[67:68]
	v_mul_f64_e32 v[67:68], v[8:9], v[67:68]
	s_wait_loadcnt_dscnt 0x600
	v_mul_f64_e32 v[101:102], v[89:90], v[71:72]
	v_mul_f64_e32 v[71:72], v[91:92], v[71:72]
	v_add_f64_e32 v[2:3], 0, v[2:3]
	v_add_f64_e32 v[63:64], 0, v[105:106]
	v_fma_f64 v[103:104], v[8:9], v[65:66], v[107:108]
	v_fma_f64 v[65:66], v[6:7], v[65:66], -v[67:68]
	v_fma_f64 v[91:92], v[91:92], v[69:70], v[101:102]
	v_fma_f64 v[69:70], v[89:90], v[69:70], -v[71:72]
	v_add_f64_e32 v[2:3], v[2:3], v[61:62]
	v_add_f64_e32 v[10:11], v[63:64], v[10:11]
	ds_load_b128 v[6:9], v1 offset:688
	ds_load_b128 v[61:64], v1 offset:704
	s_wait_loadcnt_dscnt 0x501
	v_mul_f64_e32 v[67:68], v[6:7], v[75:76]
	v_mul_f64_e32 v[75:76], v[8:9], v[75:76]
	s_wait_loadcnt_dscnt 0x400
	v_mul_f64_e32 v[71:72], v[61:62], v[79:80]
	v_mul_f64_e32 v[79:80], v[63:64], v[79:80]
	v_add_f64_e32 v[2:3], v[2:3], v[65:66]
	v_add_f64_e32 v[10:11], v[10:11], v[103:104]
	v_fma_f64 v[89:90], v[8:9], v[73:74], v[67:68]
	v_fma_f64 v[73:74], v[6:7], v[73:74], -v[75:76]
	ds_load_b128 v[6:9], v1 offset:720
	ds_load_b128 v[65:68], v1 offset:736
	v_fma_f64 v[63:64], v[63:64], v[77:78], v[71:72]
	v_fma_f64 v[61:62], v[61:62], v[77:78], -v[79:80]
	v_add_f64_e32 v[2:3], v[2:3], v[69:70]
	v_add_f64_e32 v[10:11], v[10:11], v[91:92]
	s_wait_loadcnt_dscnt 0x301
	v_mul_f64_e32 v[69:70], v[6:7], v[83:84]
	v_mul_f64_e32 v[75:76], v[8:9], v[83:84]
	s_wait_loadcnt_dscnt 0x200
	v_mul_f64_e32 v[71:72], v[65:66], v[87:88]
	v_add_f64_e32 v[2:3], v[2:3], v[73:74]
	v_add_f64_e32 v[10:11], v[10:11], v[89:90]
	v_mul_f64_e32 v[73:74], v[67:68], v[87:88]
	v_fma_f64 v[69:70], v[8:9], v[81:82], v[69:70]
	v_fma_f64 v[75:76], v[6:7], v[81:82], -v[75:76]
	ds_load_b128 v[6:9], v1 offset:752
	v_fma_f64 v[67:68], v[67:68], v[85:86], v[71:72]
	v_add_f64_e32 v[2:3], v[2:3], v[61:62]
	v_add_f64_e32 v[10:11], v[10:11], v[63:64]
	s_wait_loadcnt_dscnt 0x100
	v_mul_f64_e32 v[61:62], v[6:7], v[95:96]
	v_mul_f64_e32 v[63:64], v[8:9], v[95:96]
	v_fma_f64 v[65:66], v[65:66], v[85:86], -v[73:74]
	v_add_f64_e32 v[2:3], v[2:3], v[75:76]
	v_add_f64_e32 v[10:11], v[10:11], v[69:70]
	v_fma_f64 v[8:9], v[8:9], v[93:94], v[61:62]
	v_fma_f64 v[6:7], v[6:7], v[93:94], -v[63:64]
	s_delay_alu instid0(VALU_DEP_4) | instskip(NEXT) | instid1(VALU_DEP_4)
	v_add_f64_e32 v[2:3], v[2:3], v[65:66]
	v_add_f64_e32 v[10:11], v[10:11], v[67:68]
	s_delay_alu instid0(VALU_DEP_2) | instskip(NEXT) | instid1(VALU_DEP_2)
	v_add_f64_e32 v[2:3], v[2:3], v[6:7]
	v_add_f64_e32 v[8:9], v[10:11], v[8:9]
	s_wait_loadcnt 0x0
	s_delay_alu instid0(VALU_DEP_2) | instskip(NEXT) | instid1(VALU_DEP_2)
	v_add_f64_e64 v[6:7], v[97:98], -v[2:3]
	v_add_f64_e64 v[8:9], v[99:100], -v[8:9]
	scratch_store_b128 off, v[6:9], off offset:240
	v_cmpx_lt_u32_e32 13, v0
	s_cbranch_execz .LBB23_131
; %bb.130:
	scratch_load_b128 v[6:9], off, s25
	v_dual_mov_b32 v2, v1 :: v_dual_mov_b32 v3, v1
	v_mov_b32_e32 v4, v1
	scratch_store_b128 off, v[1:4], off offset:224
	s_wait_loadcnt 0x0
	ds_store_b128 v5, v[6:9]
.LBB23_131:
	s_wait_alu 0xfffe
	s_or_b32 exec_lo, exec_lo, s0
	s_wait_storecnt_dscnt 0x0
	s_barrier_signal -1
	s_barrier_wait -1
	global_inv scope:SCOPE_SE
	s_clause 0x8
	scratch_load_b128 v[6:9], off, off offset:240
	scratch_load_b128 v[61:64], off, off offset:256
	;; [unrolled: 1-line block ×9, first 2 shown]
	ds_load_b128 v[93:96], v1 offset:608
	ds_load_b128 v[97:100], v1 offset:624
	scratch_load_b128 v[101:104], off, off offset:224
	s_mov_b32 s0, exec_lo
	s_wait_loadcnt_dscnt 0x901
	v_mul_f64_e32 v[2:3], v[95:96], v[8:9]
	v_mul_f64_e32 v[105:106], v[93:94], v[8:9]
	scratch_load_b128 v[8:11], off, off offset:384
	s_wait_loadcnt_dscnt 0x900
	v_mul_f64_e32 v[109:110], v[97:98], v[63:64]
	v_mul_f64_e32 v[63:64], v[99:100], v[63:64]
	v_fma_f64 v[2:3], v[93:94], v[6:7], -v[2:3]
	v_fma_f64 v[6:7], v[95:96], v[6:7], v[105:106]
	ds_load_b128 v[93:96], v1 offset:640
	ds_load_b128 v[105:108], v1 offset:656
	v_fma_f64 v[99:100], v[99:100], v[61:62], v[109:110]
	v_fma_f64 v[61:62], v[97:98], v[61:62], -v[63:64]
	s_wait_loadcnt_dscnt 0x801
	v_mul_f64_e32 v[111:112], v[93:94], v[67:68]
	v_mul_f64_e32 v[67:68], v[95:96], v[67:68]
	s_wait_loadcnt_dscnt 0x700
	v_mul_f64_e32 v[97:98], v[105:106], v[71:72]
	v_mul_f64_e32 v[71:72], v[107:108], v[71:72]
	v_add_f64_e32 v[2:3], 0, v[2:3]
	v_add_f64_e32 v[6:7], 0, v[6:7]
	v_fma_f64 v[95:96], v[95:96], v[65:66], v[111:112]
	v_fma_f64 v[93:94], v[93:94], v[65:66], -v[67:68]
	v_fma_f64 v[97:98], v[107:108], v[69:70], v[97:98]
	v_fma_f64 v[69:70], v[105:106], v[69:70], -v[71:72]
	v_add_f64_e32 v[2:3], v[2:3], v[61:62]
	v_add_f64_e32 v[6:7], v[6:7], v[99:100]
	ds_load_b128 v[61:64], v1 offset:672
	ds_load_b128 v[65:68], v1 offset:688
	s_wait_loadcnt_dscnt 0x601
	v_mul_f64_e32 v[99:100], v[61:62], v[75:76]
	v_mul_f64_e32 v[75:76], v[63:64], v[75:76]
	v_add_f64_e32 v[2:3], v[2:3], v[93:94]
	v_add_f64_e32 v[6:7], v[6:7], v[95:96]
	s_wait_loadcnt_dscnt 0x500
	v_mul_f64_e32 v[93:94], v[65:66], v[79:80]
	v_mul_f64_e32 v[79:80], v[67:68], v[79:80]
	v_fma_f64 v[95:96], v[63:64], v[73:74], v[99:100]
	v_fma_f64 v[73:74], v[61:62], v[73:74], -v[75:76]
	v_add_f64_e32 v[2:3], v[2:3], v[69:70]
	v_add_f64_e32 v[6:7], v[6:7], v[97:98]
	ds_load_b128 v[61:64], v1 offset:704
	ds_load_b128 v[69:72], v1 offset:720
	v_fma_f64 v[67:68], v[67:68], v[77:78], v[93:94]
	v_fma_f64 v[65:66], v[65:66], v[77:78], -v[79:80]
	s_wait_loadcnt_dscnt 0x401
	v_mul_f64_e32 v[75:76], v[61:62], v[83:84]
	v_mul_f64_e32 v[83:84], v[63:64], v[83:84]
	s_wait_loadcnt_dscnt 0x300
	v_mul_f64_e32 v[77:78], v[71:72], v[87:88]
	v_add_f64_e32 v[2:3], v[2:3], v[73:74]
	v_add_f64_e32 v[6:7], v[6:7], v[95:96]
	v_mul_f64_e32 v[73:74], v[69:70], v[87:88]
	v_fma_f64 v[75:76], v[63:64], v[81:82], v[75:76]
	v_fma_f64 v[79:80], v[61:62], v[81:82], -v[83:84]
	v_fma_f64 v[69:70], v[69:70], v[85:86], -v[77:78]
	v_add_f64_e32 v[65:66], v[2:3], v[65:66]
	v_add_f64_e32 v[6:7], v[6:7], v[67:68]
	ds_load_b128 v[61:64], v1 offset:736
	ds_load_b128 v[1:4], v1 offset:752
	v_fma_f64 v[71:72], v[71:72], v[85:86], v[73:74]
	s_wait_loadcnt_dscnt 0x201
	v_mul_f64_e32 v[67:68], v[61:62], v[91:92]
	v_mul_f64_e32 v[81:82], v[63:64], v[91:92]
	v_add_f64_e32 v[65:66], v[65:66], v[79:80]
	v_add_f64_e32 v[6:7], v[6:7], v[75:76]
	s_wait_loadcnt_dscnt 0x0
	v_mul_f64_e32 v[73:74], v[1:2], v[10:11]
	v_mul_f64_e32 v[10:11], v[3:4], v[10:11]
	v_fma_f64 v[63:64], v[63:64], v[89:90], v[67:68]
	v_fma_f64 v[61:62], v[61:62], v[89:90], -v[81:82]
	v_add_f64_e32 v[65:66], v[65:66], v[69:70]
	v_add_f64_e32 v[6:7], v[6:7], v[71:72]
	v_fma_f64 v[3:4], v[3:4], v[8:9], v[73:74]
	v_fma_f64 v[1:2], v[1:2], v[8:9], -v[10:11]
	s_delay_alu instid0(VALU_DEP_4) | instskip(NEXT) | instid1(VALU_DEP_4)
	v_add_f64_e32 v[8:9], v[65:66], v[61:62]
	v_add_f64_e32 v[6:7], v[6:7], v[63:64]
	s_delay_alu instid0(VALU_DEP_2) | instskip(NEXT) | instid1(VALU_DEP_2)
	v_add_f64_e32 v[1:2], v[8:9], v[1:2]
	v_add_f64_e32 v[3:4], v[6:7], v[3:4]
	s_delay_alu instid0(VALU_DEP_2) | instskip(NEXT) | instid1(VALU_DEP_2)
	v_add_f64_e64 v[1:2], v[101:102], -v[1:2]
	v_add_f64_e64 v[3:4], v[103:104], -v[3:4]
	scratch_store_b128 off, v[1:4], off offset:224
	v_cmpx_lt_u32_e32 12, v0
	s_cbranch_execz .LBB23_133
; %bb.132:
	scratch_load_b128 v[1:4], off, s30
	v_mov_b32_e32 v6, 0
	s_delay_alu instid0(VALU_DEP_1)
	v_dual_mov_b32 v7, v6 :: v_dual_mov_b32 v8, v6
	v_mov_b32_e32 v9, v6
	scratch_store_b128 off, v[6:9], off offset:208
	s_wait_loadcnt 0x0
	ds_store_b128 v5, v[1:4]
.LBB23_133:
	s_wait_alu 0xfffe
	s_or_b32 exec_lo, exec_lo, s0
	s_wait_storecnt_dscnt 0x0
	s_barrier_signal -1
	s_barrier_wait -1
	global_inv scope:SCOPE_SE
	s_clause 0x7
	scratch_load_b128 v[6:9], off, off offset:224
	scratch_load_b128 v[61:64], off, off offset:240
	;; [unrolled: 1-line block ×8, first 2 shown]
	v_mov_b32_e32 v1, 0
	s_mov_b32 s0, exec_lo
	ds_load_b128 v[89:92], v1 offset:592
	s_clause 0x1
	scratch_load_b128 v[93:96], off, off offset:352
	scratch_load_b128 v[97:100], off, off offset:208
	ds_load_b128 v[101:104], v1 offset:608
	ds_load_b128 v[109:112], v1 offset:640
	s_wait_loadcnt_dscnt 0x902
	v_mul_f64_e32 v[2:3], v[91:92], v[8:9]
	v_mul_f64_e32 v[105:106], v[89:90], v[8:9]
	scratch_load_b128 v[8:11], off, off offset:368
	v_fma_f64 v[2:3], v[89:90], v[6:7], -v[2:3]
	v_fma_f64 v[6:7], v[91:92], v[6:7], v[105:106]
	ds_load_b128 v[89:92], v1 offset:624
	s_wait_loadcnt_dscnt 0x902
	v_mul_f64_e32 v[113:114], v[101:102], v[63:64]
	v_mul_f64_e32 v[63:64], v[103:104], v[63:64]
	scratch_load_b128 v[105:108], off, off offset:384
	s_wait_loadcnt_dscnt 0x900
	v_mul_f64_e32 v[115:116], v[89:90], v[67:68]
	v_mul_f64_e32 v[67:68], v[91:92], v[67:68]
	v_add_f64_e32 v[2:3], 0, v[2:3]
	v_add_f64_e32 v[6:7], 0, v[6:7]
	v_fma_f64 v[103:104], v[103:104], v[61:62], v[113:114]
	v_fma_f64 v[61:62], v[101:102], v[61:62], -v[63:64]
	s_wait_loadcnt 0x8
	v_mul_f64_e32 v[101:102], v[109:110], v[71:72]
	v_mul_f64_e32 v[71:72], v[111:112], v[71:72]
	v_fma_f64 v[91:92], v[91:92], v[65:66], v[115:116]
	v_fma_f64 v[89:90], v[89:90], v[65:66], -v[67:68]
	v_add_f64_e32 v[6:7], v[6:7], v[103:104]
	v_add_f64_e32 v[2:3], v[2:3], v[61:62]
	ds_load_b128 v[61:64], v1 offset:656
	ds_load_b128 v[65:68], v1 offset:672
	v_fma_f64 v[101:102], v[111:112], v[69:70], v[101:102]
	v_fma_f64 v[69:70], v[109:110], v[69:70], -v[71:72]
	s_wait_loadcnt_dscnt 0x701
	v_mul_f64_e32 v[103:104], v[61:62], v[75:76]
	v_mul_f64_e32 v[75:76], v[63:64], v[75:76]
	v_add_f64_e32 v[6:7], v[6:7], v[91:92]
	v_add_f64_e32 v[2:3], v[2:3], v[89:90]
	s_wait_loadcnt_dscnt 0x600
	v_mul_f64_e32 v[89:90], v[65:66], v[79:80]
	v_mul_f64_e32 v[79:80], v[67:68], v[79:80]
	v_fma_f64 v[91:92], v[63:64], v[73:74], v[103:104]
	v_fma_f64 v[73:74], v[61:62], v[73:74], -v[75:76]
	v_add_f64_e32 v[6:7], v[6:7], v[101:102]
	v_add_f64_e32 v[2:3], v[2:3], v[69:70]
	ds_load_b128 v[61:64], v1 offset:688
	ds_load_b128 v[69:72], v1 offset:704
	v_fma_f64 v[67:68], v[67:68], v[77:78], v[89:90]
	v_fma_f64 v[65:66], v[65:66], v[77:78], -v[79:80]
	s_wait_loadcnt_dscnt 0x501
	v_mul_f64_e32 v[75:76], v[61:62], v[83:84]
	v_mul_f64_e32 v[83:84], v[63:64], v[83:84]
	s_wait_loadcnt_dscnt 0x400
	v_mul_f64_e32 v[77:78], v[71:72], v[87:88]
	v_add_f64_e32 v[6:7], v[6:7], v[91:92]
	v_add_f64_e32 v[2:3], v[2:3], v[73:74]
	v_mul_f64_e32 v[73:74], v[69:70], v[87:88]
	v_fma_f64 v[75:76], v[63:64], v[81:82], v[75:76]
	v_fma_f64 v[79:80], v[61:62], v[81:82], -v[83:84]
	v_fma_f64 v[69:70], v[69:70], v[85:86], -v[77:78]
	v_add_f64_e32 v[6:7], v[6:7], v[67:68]
	v_add_f64_e32 v[2:3], v[2:3], v[65:66]
	ds_load_b128 v[61:64], v1 offset:720
	ds_load_b128 v[65:68], v1 offset:736
	v_fma_f64 v[71:72], v[71:72], v[85:86], v[73:74]
	s_wait_loadcnt_dscnt 0x301
	v_mul_f64_e32 v[81:82], v[61:62], v[95:96]
	v_mul_f64_e32 v[83:84], v[63:64], v[95:96]
	v_add_f64_e32 v[6:7], v[6:7], v[75:76]
	v_add_f64_e32 v[2:3], v[2:3], v[79:80]
	s_wait_loadcnt_dscnt 0x100
	v_mul_f64_e32 v[73:74], v[65:66], v[10:11]
	v_mul_f64_e32 v[10:11], v[67:68], v[10:11]
	v_fma_f64 v[75:76], v[63:64], v[93:94], v[81:82]
	v_fma_f64 v[77:78], v[61:62], v[93:94], -v[83:84]
	ds_load_b128 v[61:64], v1 offset:752
	v_add_f64_e32 v[6:7], v[6:7], v[71:72]
	v_add_f64_e32 v[2:3], v[2:3], v[69:70]
	v_fma_f64 v[67:68], v[67:68], v[8:9], v[73:74]
	v_fma_f64 v[8:9], v[65:66], v[8:9], -v[10:11]
	s_wait_loadcnt_dscnt 0x0
	v_mul_f64_e32 v[69:70], v[61:62], v[107:108]
	v_mul_f64_e32 v[71:72], v[63:64], v[107:108]
	v_add_f64_e32 v[6:7], v[6:7], v[75:76]
	v_add_f64_e32 v[2:3], v[2:3], v[77:78]
	s_delay_alu instid0(VALU_DEP_4) | instskip(NEXT) | instid1(VALU_DEP_4)
	v_fma_f64 v[10:11], v[63:64], v[105:106], v[69:70]
	v_fma_f64 v[61:62], v[61:62], v[105:106], -v[71:72]
	s_delay_alu instid0(VALU_DEP_4) | instskip(NEXT) | instid1(VALU_DEP_4)
	v_add_f64_e32 v[6:7], v[6:7], v[67:68]
	v_add_f64_e32 v[2:3], v[2:3], v[8:9]
	s_delay_alu instid0(VALU_DEP_2) | instskip(NEXT) | instid1(VALU_DEP_2)
	v_add_f64_e32 v[8:9], v[6:7], v[10:11]
	v_add_f64_e32 v[2:3], v[2:3], v[61:62]
	s_delay_alu instid0(VALU_DEP_2) | instskip(NEXT) | instid1(VALU_DEP_2)
	v_add_f64_e64 v[8:9], v[99:100], -v[8:9]
	v_add_f64_e64 v[6:7], v[97:98], -v[2:3]
	scratch_store_b128 off, v[6:9], off offset:208
	v_cmpx_lt_u32_e32 11, v0
	s_cbranch_execz .LBB23_135
; %bb.134:
	scratch_load_b128 v[6:9], off, s24
	v_dual_mov_b32 v2, v1 :: v_dual_mov_b32 v3, v1
	v_mov_b32_e32 v4, v1
	scratch_store_b128 off, v[1:4], off offset:192
	s_wait_loadcnt 0x0
	ds_store_b128 v5, v[6:9]
.LBB23_135:
	s_wait_alu 0xfffe
	s_or_b32 exec_lo, exec_lo, s0
	s_wait_storecnt_dscnt 0x0
	s_barrier_signal -1
	s_barrier_wait -1
	global_inv scope:SCOPE_SE
	s_clause 0x8
	scratch_load_b128 v[6:9], off, off offset:208
	scratch_load_b128 v[61:64], off, off offset:224
	;; [unrolled: 1-line block ×9, first 2 shown]
	ds_load_b128 v[93:96], v1 offset:576
	ds_load_b128 v[97:100], v1 offset:592
	scratch_load_b128 v[101:104], off, off offset:192
	s_mov_b32 s0, exec_lo
	ds_load_b128 v[109:112], v1 offset:624
	s_wait_loadcnt_dscnt 0x902
	v_mul_f64_e32 v[2:3], v[95:96], v[8:9]
	v_mul_f64_e32 v[105:106], v[93:94], v[8:9]
	scratch_load_b128 v[8:11], off, off offset:352
	s_wait_loadcnt_dscnt 0x901
	v_mul_f64_e32 v[113:114], v[97:98], v[63:64]
	v_mul_f64_e32 v[63:64], v[99:100], v[63:64]
	v_fma_f64 v[2:3], v[93:94], v[6:7], -v[2:3]
	v_fma_f64 v[6:7], v[95:96], v[6:7], v[105:106]
	ds_load_b128 v[93:96], v1 offset:608
	scratch_load_b128 v[105:108], off, off offset:368
	v_fma_f64 v[99:100], v[99:100], v[61:62], v[113:114]
	v_fma_f64 v[97:98], v[97:98], v[61:62], -v[63:64]
	scratch_load_b128 v[61:64], off, off offset:384
	s_wait_loadcnt_dscnt 0x901
	v_mul_f64_e32 v[113:114], v[109:110], v[71:72]
	v_mul_f64_e32 v[71:72], v[111:112], v[71:72]
	s_wait_dscnt 0x0
	v_mul_f64_e32 v[115:116], v[93:94], v[67:68]
	v_mul_f64_e32 v[67:68], v[95:96], v[67:68]
	v_add_f64_e32 v[2:3], 0, v[2:3]
	v_add_f64_e32 v[6:7], 0, v[6:7]
	s_delay_alu instid0(VALU_DEP_4) | instskip(NEXT) | instid1(VALU_DEP_4)
	v_fma_f64 v[115:116], v[95:96], v[65:66], v[115:116]
	v_fma_f64 v[117:118], v[93:94], v[65:66], -v[67:68]
	ds_load_b128 v[65:68], v1 offset:640
	ds_load_b128 v[93:96], v1 offset:656
	v_add_f64_e32 v[2:3], v[2:3], v[97:98]
	v_add_f64_e32 v[6:7], v[6:7], v[99:100]
	v_fma_f64 v[99:100], v[111:112], v[69:70], v[113:114]
	v_fma_f64 v[69:70], v[109:110], v[69:70], -v[71:72]
	s_wait_loadcnt_dscnt 0x801
	v_mul_f64_e32 v[97:98], v[65:66], v[75:76]
	v_mul_f64_e32 v[75:76], v[67:68], v[75:76]
	s_wait_loadcnt_dscnt 0x700
	v_mul_f64_e32 v[109:110], v[93:94], v[79:80]
	v_mul_f64_e32 v[79:80], v[95:96], v[79:80]
	v_add_f64_e32 v[2:3], v[2:3], v[117:118]
	v_add_f64_e32 v[6:7], v[6:7], v[115:116]
	v_fma_f64 v[97:98], v[67:68], v[73:74], v[97:98]
	v_fma_f64 v[73:74], v[65:66], v[73:74], -v[75:76]
	v_fma_f64 v[95:96], v[95:96], v[77:78], v[109:110]
	v_fma_f64 v[77:78], v[93:94], v[77:78], -v[79:80]
	v_add_f64_e32 v[2:3], v[2:3], v[69:70]
	v_add_f64_e32 v[6:7], v[6:7], v[99:100]
	ds_load_b128 v[65:68], v1 offset:672
	ds_load_b128 v[69:72], v1 offset:688
	s_wait_loadcnt_dscnt 0x601
	v_mul_f64_e32 v[75:76], v[65:66], v[83:84]
	v_mul_f64_e32 v[83:84], v[67:68], v[83:84]
	s_wait_loadcnt_dscnt 0x500
	v_mul_f64_e32 v[79:80], v[69:70], v[87:88]
	v_mul_f64_e32 v[87:88], v[71:72], v[87:88]
	v_add_f64_e32 v[2:3], v[2:3], v[73:74]
	v_add_f64_e32 v[6:7], v[6:7], v[97:98]
	v_fma_f64 v[93:94], v[67:68], v[81:82], v[75:76]
	v_fma_f64 v[81:82], v[65:66], v[81:82], -v[83:84]
	ds_load_b128 v[65:68], v1 offset:704
	ds_load_b128 v[73:76], v1 offset:720
	v_fma_f64 v[71:72], v[71:72], v[85:86], v[79:80]
	v_fma_f64 v[69:70], v[69:70], v[85:86], -v[87:88]
	v_add_f64_e32 v[2:3], v[2:3], v[77:78]
	v_add_f64_e32 v[6:7], v[6:7], v[95:96]
	s_wait_loadcnt_dscnt 0x401
	v_mul_f64_e32 v[77:78], v[65:66], v[91:92]
	v_mul_f64_e32 v[83:84], v[67:68], v[91:92]
	s_delay_alu instid0(VALU_DEP_4) | instskip(NEXT) | instid1(VALU_DEP_4)
	v_add_f64_e32 v[2:3], v[2:3], v[81:82]
	v_add_f64_e32 v[6:7], v[6:7], v[93:94]
	s_delay_alu instid0(VALU_DEP_4) | instskip(NEXT) | instid1(VALU_DEP_4)
	v_fma_f64 v[77:78], v[67:68], v[89:90], v[77:78]
	v_fma_f64 v[81:82], v[65:66], v[89:90], -v[83:84]
	s_wait_loadcnt_dscnt 0x200
	v_mul_f64_e32 v[79:80], v[73:74], v[10:11]
	v_mul_f64_e32 v[10:11], v[75:76], v[10:11]
	v_add_f64_e32 v[69:70], v[2:3], v[69:70]
	v_add_f64_e32 v[6:7], v[6:7], v[71:72]
	ds_load_b128 v[65:68], v1 offset:736
	ds_load_b128 v[1:4], v1 offset:752
	v_fma_f64 v[75:76], v[75:76], v[8:9], v[79:80]
	v_fma_f64 v[8:9], v[73:74], v[8:9], -v[10:11]
	s_wait_loadcnt_dscnt 0x101
	v_mul_f64_e32 v[71:72], v[65:66], v[107:108]
	v_mul_f64_e32 v[83:84], v[67:68], v[107:108]
	v_add_f64_e32 v[10:11], v[69:70], v[81:82]
	v_add_f64_e32 v[6:7], v[6:7], v[77:78]
	s_wait_loadcnt_dscnt 0x0
	v_mul_f64_e32 v[69:70], v[1:2], v[63:64]
	v_mul_f64_e32 v[63:64], v[3:4], v[63:64]
	v_fma_f64 v[67:68], v[67:68], v[105:106], v[71:72]
	v_fma_f64 v[65:66], v[65:66], v[105:106], -v[83:84]
	v_add_f64_e32 v[8:9], v[10:11], v[8:9]
	v_add_f64_e32 v[6:7], v[6:7], v[75:76]
	v_fma_f64 v[3:4], v[3:4], v[61:62], v[69:70]
	v_fma_f64 v[1:2], v[1:2], v[61:62], -v[63:64]
	s_delay_alu instid0(VALU_DEP_4) | instskip(NEXT) | instid1(VALU_DEP_4)
	v_add_f64_e32 v[8:9], v[8:9], v[65:66]
	v_add_f64_e32 v[6:7], v[6:7], v[67:68]
	s_delay_alu instid0(VALU_DEP_2) | instskip(NEXT) | instid1(VALU_DEP_2)
	v_add_f64_e32 v[1:2], v[8:9], v[1:2]
	v_add_f64_e32 v[3:4], v[6:7], v[3:4]
	s_delay_alu instid0(VALU_DEP_2) | instskip(NEXT) | instid1(VALU_DEP_2)
	v_add_f64_e64 v[1:2], v[101:102], -v[1:2]
	v_add_f64_e64 v[3:4], v[103:104], -v[3:4]
	scratch_store_b128 off, v[1:4], off offset:192
	v_cmpx_lt_u32_e32 10, v0
	s_cbranch_execz .LBB23_137
; %bb.136:
	scratch_load_b128 v[1:4], off, s29
	v_mov_b32_e32 v6, 0
	s_delay_alu instid0(VALU_DEP_1)
	v_dual_mov_b32 v7, v6 :: v_dual_mov_b32 v8, v6
	v_mov_b32_e32 v9, v6
	scratch_store_b128 off, v[6:9], off offset:176
	s_wait_loadcnt 0x0
	ds_store_b128 v5, v[1:4]
.LBB23_137:
	s_wait_alu 0xfffe
	s_or_b32 exec_lo, exec_lo, s0
	s_wait_storecnt_dscnt 0x0
	s_barrier_signal -1
	s_barrier_wait -1
	global_inv scope:SCOPE_SE
	s_clause 0x7
	scratch_load_b128 v[6:9], off, off offset:192
	scratch_load_b128 v[61:64], off, off offset:208
	scratch_load_b128 v[65:68], off, off offset:224
	scratch_load_b128 v[69:72], off, off offset:240
	scratch_load_b128 v[73:76], off, off offset:256
	scratch_load_b128 v[77:80], off, off offset:272
	scratch_load_b128 v[81:84], off, off offset:288
	scratch_load_b128 v[85:88], off, off offset:304
	v_mov_b32_e32 v1, 0
	s_clause 0x1
	scratch_load_b128 v[93:96], off, off offset:320
	scratch_load_b128 v[97:100], off, off offset:336
	s_mov_b32 s0, exec_lo
	ds_load_b128 v[89:92], v1 offset:560
	s_wait_loadcnt_dscnt 0x900
	v_mul_f64_e32 v[2:3], v[91:92], v[8:9]
	v_mul_f64_e32 v[101:102], v[89:90], v[8:9]
	ds_load_b128 v[8:11], v1 offset:576
	v_fma_f64 v[2:3], v[89:90], v[6:7], -v[2:3]
	v_fma_f64 v[6:7], v[91:92], v[6:7], v[101:102]
	ds_load_b128 v[89:92], v1 offset:592
	s_wait_loadcnt_dscnt 0x801
	v_mul_f64_e32 v[105:106], v[8:9], v[63:64]
	v_mul_f64_e32 v[63:64], v[10:11], v[63:64]
	scratch_load_b128 v[101:104], off, off offset:352
	s_wait_loadcnt_dscnt 0x800
	v_mul_f64_e32 v[107:108], v[89:90], v[67:68]
	v_mul_f64_e32 v[67:68], v[91:92], v[67:68]
	v_add_f64_e32 v[2:3], 0, v[2:3]
	v_add_f64_e32 v[109:110], 0, v[6:7]
	v_fma_f64 v[10:11], v[10:11], v[61:62], v[105:106]
	v_fma_f64 v[105:106], v[8:9], v[61:62], -v[63:64]
	ds_load_b128 v[6:9], v1 offset:608
	scratch_load_b128 v[61:64], off, off offset:368
	v_fma_f64 v[107:108], v[91:92], v[65:66], v[107:108]
	v_fma_f64 v[113:114], v[89:90], v[65:66], -v[67:68]
	ds_load_b128 v[65:68], v1 offset:624
	s_wait_loadcnt_dscnt 0x801
	v_mul_f64_e32 v[111:112], v[6:7], v[71:72]
	v_mul_f64_e32 v[71:72], v[8:9], v[71:72]
	scratch_load_b128 v[89:92], off, off offset:384
	v_add_f64_e32 v[10:11], v[109:110], v[10:11]
	v_add_f64_e32 v[2:3], v[2:3], v[105:106]
	s_wait_loadcnt_dscnt 0x800
	v_mul_f64_e32 v[105:106], v[65:66], v[75:76]
	v_mul_f64_e32 v[75:76], v[67:68], v[75:76]
	v_fma_f64 v[109:110], v[8:9], v[69:70], v[111:112]
	v_fma_f64 v[69:70], v[6:7], v[69:70], -v[71:72]
	ds_load_b128 v[6:9], v1 offset:640
	v_add_f64_e32 v[10:11], v[10:11], v[107:108]
	v_add_f64_e32 v[2:3], v[2:3], v[113:114]
	v_fma_f64 v[105:106], v[67:68], v[73:74], v[105:106]
	v_fma_f64 v[73:74], v[65:66], v[73:74], -v[75:76]
	ds_load_b128 v[65:68], v1 offset:656
	s_wait_loadcnt_dscnt 0x701
	v_mul_f64_e32 v[71:72], v[6:7], v[79:80]
	v_mul_f64_e32 v[79:80], v[8:9], v[79:80]
	s_wait_loadcnt_dscnt 0x600
	v_mul_f64_e32 v[75:76], v[65:66], v[83:84]
	v_mul_f64_e32 v[83:84], v[67:68], v[83:84]
	v_add_f64_e32 v[10:11], v[10:11], v[109:110]
	v_add_f64_e32 v[2:3], v[2:3], v[69:70]
	v_fma_f64 v[107:108], v[8:9], v[77:78], v[71:72]
	v_fma_f64 v[77:78], v[6:7], v[77:78], -v[79:80]
	ds_load_b128 v[6:9], v1 offset:672
	scratch_load_b128 v[69:72], off, off offset:176
	v_fma_f64 v[75:76], v[67:68], v[81:82], v[75:76]
	v_fma_f64 v[81:82], v[65:66], v[81:82], -v[83:84]
	ds_load_b128 v[65:68], v1 offset:688
	s_wait_loadcnt_dscnt 0x601
	v_mul_f64_e32 v[79:80], v[8:9], v[87:88]
	v_add_f64_e32 v[10:11], v[10:11], v[105:106]
	v_add_f64_e32 v[2:3], v[2:3], v[73:74]
	v_mul_f64_e32 v[73:74], v[6:7], v[87:88]
	s_wait_loadcnt_dscnt 0x500
	v_mul_f64_e32 v[83:84], v[67:68], v[95:96]
	v_fma_f64 v[79:80], v[6:7], v[85:86], -v[79:80]
	v_add_f64_e32 v[10:11], v[10:11], v[107:108]
	v_add_f64_e32 v[2:3], v[2:3], v[77:78]
	v_mul_f64_e32 v[77:78], v[65:66], v[95:96]
	v_fma_f64 v[73:74], v[8:9], v[85:86], v[73:74]
	ds_load_b128 v[6:9], v1 offset:704
	v_fma_f64 v[83:84], v[65:66], v[93:94], -v[83:84]
	v_add_f64_e32 v[10:11], v[10:11], v[75:76]
	v_add_f64_e32 v[2:3], v[2:3], v[81:82]
	v_fma_f64 v[77:78], v[67:68], v[93:94], v[77:78]
	ds_load_b128 v[65:68], v1 offset:720
	s_wait_loadcnt_dscnt 0x401
	v_mul_f64_e32 v[75:76], v[6:7], v[99:100]
	v_mul_f64_e32 v[81:82], v[8:9], v[99:100]
	v_add_f64_e32 v[10:11], v[10:11], v[73:74]
	v_add_f64_e32 v[2:3], v[2:3], v[79:80]
	s_delay_alu instid0(VALU_DEP_4) | instskip(NEXT) | instid1(VALU_DEP_4)
	v_fma_f64 v[75:76], v[8:9], v[97:98], v[75:76]
	v_fma_f64 v[81:82], v[6:7], v[97:98], -v[81:82]
	ds_load_b128 v[6:9], v1 offset:736
	s_wait_loadcnt_dscnt 0x301
	v_mul_f64_e32 v[73:74], v[65:66], v[103:104]
	v_mul_f64_e32 v[79:80], v[67:68], v[103:104]
	v_add_f64_e32 v[10:11], v[10:11], v[77:78]
	v_add_f64_e32 v[2:3], v[2:3], v[83:84]
	s_delay_alu instid0(VALU_DEP_4)
	v_fma_f64 v[67:68], v[67:68], v[101:102], v[73:74]
	s_wait_loadcnt_dscnt 0x200
	v_mul_f64_e32 v[77:78], v[6:7], v[63:64]
	v_mul_f64_e32 v[83:84], v[8:9], v[63:64]
	v_fma_f64 v[73:74], v[65:66], v[101:102], -v[79:80]
	ds_load_b128 v[63:66], v1 offset:752
	v_add_f64_e32 v[10:11], v[10:11], v[75:76]
	v_add_f64_e32 v[2:3], v[2:3], v[81:82]
	s_wait_loadcnt_dscnt 0x100
	v_mul_f64_e32 v[75:76], v[63:64], v[91:92]
	v_mul_f64_e32 v[79:80], v[65:66], v[91:92]
	v_fma_f64 v[8:9], v[8:9], v[61:62], v[77:78]
	v_fma_f64 v[6:7], v[6:7], v[61:62], -v[83:84]
	v_add_f64_e32 v[10:11], v[10:11], v[67:68]
	v_add_f64_e32 v[2:3], v[2:3], v[73:74]
	v_fma_f64 v[61:62], v[65:66], v[89:90], v[75:76]
	v_fma_f64 v[63:64], v[63:64], v[89:90], -v[79:80]
	s_delay_alu instid0(VALU_DEP_3) | instskip(SKIP_1) | instid1(VALU_DEP_2)
	v_add_f64_e32 v[2:3], v[2:3], v[6:7]
	v_add_f64_e32 v[6:7], v[10:11], v[8:9]
	;; [unrolled: 1-line block ×3, first 2 shown]
	s_delay_alu instid0(VALU_DEP_2) | instskip(SKIP_1) | instid1(VALU_DEP_2)
	v_add_f64_e32 v[8:9], v[6:7], v[61:62]
	s_wait_loadcnt 0x0
	v_add_f64_e64 v[6:7], v[69:70], -v[2:3]
	s_delay_alu instid0(VALU_DEP_2)
	v_add_f64_e64 v[8:9], v[71:72], -v[8:9]
	scratch_store_b128 off, v[6:9], off offset:176
	v_cmpx_lt_u32_e32 9, v0
	s_cbranch_execz .LBB23_139
; %bb.138:
	scratch_load_b128 v[6:9], off, s23
	v_dual_mov_b32 v2, v1 :: v_dual_mov_b32 v3, v1
	v_mov_b32_e32 v4, v1
	scratch_store_b128 off, v[1:4], off offset:160
	s_wait_loadcnt 0x0
	ds_store_b128 v5, v[6:9]
.LBB23_139:
	s_wait_alu 0xfffe
	s_or_b32 exec_lo, exec_lo, s0
	s_wait_storecnt_dscnt 0x0
	s_barrier_signal -1
	s_barrier_wait -1
	global_inv scope:SCOPE_SE
	s_clause 0x7
	scratch_load_b128 v[6:9], off, off offset:176
	scratch_load_b128 v[61:64], off, off offset:192
	;; [unrolled: 1-line block ×8, first 2 shown]
	ds_load_b128 v[89:92], v1 offset:544
	s_clause 0x1
	scratch_load_b128 v[93:96], off, off offset:304
	scratch_load_b128 v[97:100], off, off offset:320
	s_mov_b32 s0, exec_lo
	s_wait_loadcnt_dscnt 0x900
	v_mul_f64_e32 v[2:3], v[91:92], v[8:9]
	v_mul_f64_e32 v[101:102], v[89:90], v[8:9]
	ds_load_b128 v[8:11], v1 offset:560
	v_fma_f64 v[2:3], v[89:90], v[6:7], -v[2:3]
	v_fma_f64 v[6:7], v[91:92], v[6:7], v[101:102]
	ds_load_b128 v[89:92], v1 offset:576
	s_wait_loadcnt_dscnt 0x801
	v_mul_f64_e32 v[105:106], v[8:9], v[63:64]
	v_mul_f64_e32 v[63:64], v[10:11], v[63:64]
	scratch_load_b128 v[101:104], off, off offset:336
	s_wait_loadcnt_dscnt 0x800
	v_mul_f64_e32 v[107:108], v[89:90], v[67:68]
	v_mul_f64_e32 v[67:68], v[91:92], v[67:68]
	v_add_f64_e32 v[2:3], 0, v[2:3]
	v_add_f64_e32 v[109:110], 0, v[6:7]
	v_fma_f64 v[10:11], v[10:11], v[61:62], v[105:106]
	v_fma_f64 v[105:106], v[8:9], v[61:62], -v[63:64]
	ds_load_b128 v[6:9], v1 offset:592
	scratch_load_b128 v[61:64], off, off offset:352
	v_fma_f64 v[107:108], v[91:92], v[65:66], v[107:108]
	v_fma_f64 v[113:114], v[89:90], v[65:66], -v[67:68]
	ds_load_b128 v[65:68], v1 offset:608
	s_wait_loadcnt_dscnt 0x801
	v_mul_f64_e32 v[111:112], v[6:7], v[71:72]
	v_mul_f64_e32 v[71:72], v[8:9], v[71:72]
	scratch_load_b128 v[89:92], off, off offset:368
	v_add_f64_e32 v[10:11], v[109:110], v[10:11]
	v_add_f64_e32 v[2:3], v[2:3], v[105:106]
	s_wait_loadcnt_dscnt 0x800
	v_mul_f64_e32 v[105:106], v[65:66], v[75:76]
	v_mul_f64_e32 v[75:76], v[67:68], v[75:76]
	v_fma_f64 v[109:110], v[8:9], v[69:70], v[111:112]
	v_fma_f64 v[111:112], v[6:7], v[69:70], -v[71:72]
	ds_load_b128 v[6:9], v1 offset:624
	scratch_load_b128 v[69:72], off, off offset:384
	v_add_f64_e32 v[10:11], v[10:11], v[107:108]
	v_add_f64_e32 v[2:3], v[2:3], v[113:114]
	v_fma_f64 v[105:106], v[67:68], v[73:74], v[105:106]
	v_fma_f64 v[73:74], v[65:66], v[73:74], -v[75:76]
	ds_load_b128 v[65:68], v1 offset:640
	s_wait_loadcnt_dscnt 0x801
	v_mul_f64_e32 v[107:108], v[6:7], v[79:80]
	v_mul_f64_e32 v[79:80], v[8:9], v[79:80]
	s_wait_loadcnt_dscnt 0x700
	v_mul_f64_e32 v[75:76], v[65:66], v[83:84]
	v_mul_f64_e32 v[83:84], v[67:68], v[83:84]
	v_add_f64_e32 v[10:11], v[10:11], v[109:110]
	v_add_f64_e32 v[2:3], v[2:3], v[111:112]
	v_fma_f64 v[107:108], v[8:9], v[77:78], v[107:108]
	v_fma_f64 v[77:78], v[6:7], v[77:78], -v[79:80]
	ds_load_b128 v[6:9], v1 offset:656
	v_add_f64_e32 v[10:11], v[10:11], v[105:106]
	v_add_f64_e32 v[2:3], v[2:3], v[73:74]
	v_fma_f64 v[105:106], v[67:68], v[81:82], v[75:76]
	v_fma_f64 v[81:82], v[65:66], v[81:82], -v[83:84]
	ds_load_b128 v[65:68], v1 offset:672
	s_wait_loadcnt_dscnt 0x601
	v_mul_f64_e32 v[79:80], v[6:7], v[87:88]
	v_mul_f64_e32 v[87:88], v[8:9], v[87:88]
	scratch_load_b128 v[73:76], off, off offset:160
	s_wait_loadcnt_dscnt 0x600
	v_mul_f64_e32 v[83:84], v[67:68], v[95:96]
	v_add_f64_e32 v[10:11], v[10:11], v[107:108]
	v_add_f64_e32 v[2:3], v[2:3], v[77:78]
	v_mul_f64_e32 v[77:78], v[65:66], v[95:96]
	v_fma_f64 v[79:80], v[8:9], v[85:86], v[79:80]
	v_fma_f64 v[85:86], v[6:7], v[85:86], -v[87:88]
	ds_load_b128 v[6:9], v1 offset:688
	v_fma_f64 v[83:84], v[65:66], v[93:94], -v[83:84]
	v_add_f64_e32 v[10:11], v[10:11], v[105:106]
	v_add_f64_e32 v[2:3], v[2:3], v[81:82]
	v_fma_f64 v[77:78], v[67:68], v[93:94], v[77:78]
	ds_load_b128 v[65:68], v1 offset:704
	s_wait_loadcnt_dscnt 0x501
	v_mul_f64_e32 v[81:82], v[6:7], v[99:100]
	v_mul_f64_e32 v[87:88], v[8:9], v[99:100]
	v_add_f64_e32 v[10:11], v[10:11], v[79:80]
	v_add_f64_e32 v[2:3], v[2:3], v[85:86]
	s_delay_alu instid0(VALU_DEP_4) | instskip(NEXT) | instid1(VALU_DEP_4)
	v_fma_f64 v[81:82], v[8:9], v[97:98], v[81:82]
	v_fma_f64 v[87:88], v[6:7], v[97:98], -v[87:88]
	ds_load_b128 v[6:9], v1 offset:720
	s_wait_loadcnt_dscnt 0x401
	v_mul_f64_e32 v[79:80], v[65:66], v[103:104]
	v_mul_f64_e32 v[85:86], v[67:68], v[103:104]
	v_add_f64_e32 v[10:11], v[10:11], v[77:78]
	v_add_f64_e32 v[2:3], v[2:3], v[83:84]
	s_delay_alu instid0(VALU_DEP_4)
	v_fma_f64 v[67:68], v[67:68], v[101:102], v[79:80]
	s_wait_loadcnt_dscnt 0x300
	v_mul_f64_e32 v[77:78], v[6:7], v[63:64]
	v_mul_f64_e32 v[83:84], v[8:9], v[63:64]
	v_fma_f64 v[79:80], v[65:66], v[101:102], -v[85:86]
	ds_load_b128 v[63:66], v1 offset:736
	v_add_f64_e32 v[10:11], v[10:11], v[81:82]
	v_add_f64_e32 v[2:3], v[2:3], v[87:88]
	s_wait_loadcnt_dscnt 0x200
	v_mul_f64_e32 v[81:82], v[63:64], v[91:92]
	v_mul_f64_e32 v[85:86], v[65:66], v[91:92]
	v_fma_f64 v[8:9], v[8:9], v[61:62], v[77:78]
	v_fma_f64 v[6:7], v[6:7], v[61:62], -v[83:84]
	v_add_f64_e32 v[10:11], v[10:11], v[67:68]
	v_add_f64_e32 v[61:62], v[2:3], v[79:80]
	ds_load_b128 v[1:4], v1 offset:752
	v_fma_f64 v[65:66], v[65:66], v[89:90], v[81:82]
	v_fma_f64 v[63:64], v[63:64], v[89:90], -v[85:86]
	s_wait_loadcnt_dscnt 0x100
	v_mul_f64_e32 v[67:68], v[1:2], v[71:72]
	v_mul_f64_e32 v[71:72], v[3:4], v[71:72]
	v_add_f64_e32 v[8:9], v[10:11], v[8:9]
	v_add_f64_e32 v[6:7], v[61:62], v[6:7]
	s_delay_alu instid0(VALU_DEP_4) | instskip(NEXT) | instid1(VALU_DEP_4)
	v_fma_f64 v[3:4], v[3:4], v[69:70], v[67:68]
	v_fma_f64 v[1:2], v[1:2], v[69:70], -v[71:72]
	s_delay_alu instid0(VALU_DEP_4) | instskip(NEXT) | instid1(VALU_DEP_4)
	v_add_f64_e32 v[8:9], v[8:9], v[65:66]
	v_add_f64_e32 v[6:7], v[6:7], v[63:64]
	s_delay_alu instid0(VALU_DEP_2) | instskip(NEXT) | instid1(VALU_DEP_2)
	v_add_f64_e32 v[3:4], v[8:9], v[3:4]
	v_add_f64_e32 v[1:2], v[6:7], v[1:2]
	s_wait_loadcnt 0x0
	s_delay_alu instid0(VALU_DEP_2) | instskip(NEXT) | instid1(VALU_DEP_2)
	v_add_f64_e64 v[3:4], v[75:76], -v[3:4]
	v_add_f64_e64 v[1:2], v[73:74], -v[1:2]
	scratch_store_b128 off, v[1:4], off offset:160
	v_cmpx_lt_u32_e32 8, v0
	s_cbranch_execz .LBB23_141
; %bb.140:
	scratch_load_b128 v[1:4], off, s28
	v_mov_b32_e32 v6, 0
	s_delay_alu instid0(VALU_DEP_1)
	v_dual_mov_b32 v7, v6 :: v_dual_mov_b32 v8, v6
	v_mov_b32_e32 v9, v6
	scratch_store_b128 off, v[6:9], off offset:144
	s_wait_loadcnt 0x0
	ds_store_b128 v5, v[1:4]
.LBB23_141:
	s_wait_alu 0xfffe
	s_or_b32 exec_lo, exec_lo, s0
	s_wait_storecnt_dscnt 0x0
	s_barrier_signal -1
	s_barrier_wait -1
	global_inv scope:SCOPE_SE
	s_clause 0x7
	scratch_load_b128 v[6:9], off, off offset:160
	scratch_load_b128 v[61:64], off, off offset:176
	;; [unrolled: 1-line block ×8, first 2 shown]
	v_mov_b32_e32 v1, 0
	s_clause 0x1
	scratch_load_b128 v[93:96], off, off offset:288
	scratch_load_b128 v[97:100], off, off offset:304
	s_mov_b32 s0, exec_lo
	ds_load_b128 v[89:92], v1 offset:528
	s_wait_loadcnt_dscnt 0x900
	v_mul_f64_e32 v[2:3], v[91:92], v[8:9]
	v_mul_f64_e32 v[101:102], v[89:90], v[8:9]
	ds_load_b128 v[8:11], v1 offset:544
	v_fma_f64 v[2:3], v[89:90], v[6:7], -v[2:3]
	v_fma_f64 v[6:7], v[91:92], v[6:7], v[101:102]
	ds_load_b128 v[89:92], v1 offset:560
	s_wait_loadcnt_dscnt 0x801
	v_mul_f64_e32 v[105:106], v[8:9], v[63:64]
	v_mul_f64_e32 v[63:64], v[10:11], v[63:64]
	scratch_load_b128 v[101:104], off, off offset:320
	s_wait_loadcnt_dscnt 0x800
	v_mul_f64_e32 v[107:108], v[89:90], v[67:68]
	v_mul_f64_e32 v[67:68], v[91:92], v[67:68]
	v_add_f64_e32 v[2:3], 0, v[2:3]
	v_add_f64_e32 v[109:110], 0, v[6:7]
	v_fma_f64 v[10:11], v[10:11], v[61:62], v[105:106]
	v_fma_f64 v[105:106], v[8:9], v[61:62], -v[63:64]
	ds_load_b128 v[6:9], v1 offset:576
	scratch_load_b128 v[61:64], off, off offset:336
	v_fma_f64 v[107:108], v[91:92], v[65:66], v[107:108]
	v_fma_f64 v[113:114], v[89:90], v[65:66], -v[67:68]
	ds_load_b128 v[65:68], v1 offset:592
	s_wait_loadcnt_dscnt 0x801
	v_mul_f64_e32 v[111:112], v[6:7], v[71:72]
	v_mul_f64_e32 v[71:72], v[8:9], v[71:72]
	scratch_load_b128 v[89:92], off, off offset:352
	v_add_f64_e32 v[10:11], v[109:110], v[10:11]
	v_add_f64_e32 v[2:3], v[2:3], v[105:106]
	s_wait_loadcnt_dscnt 0x800
	v_mul_f64_e32 v[105:106], v[65:66], v[75:76]
	v_mul_f64_e32 v[75:76], v[67:68], v[75:76]
	v_fma_f64 v[109:110], v[8:9], v[69:70], v[111:112]
	v_fma_f64 v[111:112], v[6:7], v[69:70], -v[71:72]
	ds_load_b128 v[6:9], v1 offset:608
	scratch_load_b128 v[69:72], off, off offset:368
	v_add_f64_e32 v[10:11], v[10:11], v[107:108]
	v_add_f64_e32 v[2:3], v[2:3], v[113:114]
	v_fma_f64 v[105:106], v[67:68], v[73:74], v[105:106]
	v_fma_f64 v[113:114], v[65:66], v[73:74], -v[75:76]
	ds_load_b128 v[65:68], v1 offset:624
	s_wait_loadcnt_dscnt 0x801
	v_mul_f64_e32 v[107:108], v[6:7], v[79:80]
	v_mul_f64_e32 v[79:80], v[8:9], v[79:80]
	scratch_load_b128 v[73:76], off, off offset:384
	v_add_f64_e32 v[10:11], v[10:11], v[109:110]
	v_add_f64_e32 v[2:3], v[2:3], v[111:112]
	s_wait_loadcnt_dscnt 0x800
	v_mul_f64_e32 v[109:110], v[65:66], v[83:84]
	v_mul_f64_e32 v[83:84], v[67:68], v[83:84]
	v_fma_f64 v[107:108], v[8:9], v[77:78], v[107:108]
	v_fma_f64 v[77:78], v[6:7], v[77:78], -v[79:80]
	ds_load_b128 v[6:9], v1 offset:640
	v_add_f64_e32 v[10:11], v[10:11], v[105:106]
	v_add_f64_e32 v[2:3], v[2:3], v[113:114]
	v_fma_f64 v[105:106], v[67:68], v[81:82], v[109:110]
	v_fma_f64 v[81:82], v[65:66], v[81:82], -v[83:84]
	ds_load_b128 v[65:68], v1 offset:656
	s_wait_loadcnt_dscnt 0x701
	v_mul_f64_e32 v[79:80], v[6:7], v[87:88]
	v_mul_f64_e32 v[87:88], v[8:9], v[87:88]
	v_add_f64_e32 v[10:11], v[10:11], v[107:108]
	v_add_f64_e32 v[2:3], v[2:3], v[77:78]
	s_delay_alu instid0(VALU_DEP_4) | instskip(NEXT) | instid1(VALU_DEP_4)
	v_fma_f64 v[107:108], v[8:9], v[85:86], v[79:80]
	v_fma_f64 v[85:86], v[6:7], v[85:86], -v[87:88]
	scratch_load_b128 v[77:80], off, off offset:144
	s_wait_loadcnt_dscnt 0x700
	v_mul_f64_e32 v[83:84], v[65:66], v[95:96]
	v_mul_f64_e32 v[95:96], v[67:68], v[95:96]
	ds_load_b128 v[6:9], v1 offset:672
	v_add_f64_e32 v[10:11], v[10:11], v[105:106]
	v_add_f64_e32 v[2:3], v[2:3], v[81:82]
	v_fma_f64 v[83:84], v[67:68], v[93:94], v[83:84]
	v_fma_f64 v[93:94], v[65:66], v[93:94], -v[95:96]
	ds_load_b128 v[65:68], v1 offset:688
	s_wait_loadcnt_dscnt 0x601
	v_mul_f64_e32 v[81:82], v[6:7], v[99:100]
	v_mul_f64_e32 v[87:88], v[8:9], v[99:100]
	v_add_f64_e32 v[10:11], v[10:11], v[107:108]
	v_add_f64_e32 v[2:3], v[2:3], v[85:86]
	s_delay_alu instid0(VALU_DEP_4) | instskip(NEXT) | instid1(VALU_DEP_4)
	v_fma_f64 v[81:82], v[8:9], v[97:98], v[81:82]
	v_fma_f64 v[87:88], v[6:7], v[97:98], -v[87:88]
	ds_load_b128 v[6:9], v1 offset:704
	s_wait_loadcnt_dscnt 0x501
	v_mul_f64_e32 v[85:86], v[65:66], v[103:104]
	v_mul_f64_e32 v[95:96], v[67:68], v[103:104]
	v_add_f64_e32 v[10:11], v[10:11], v[83:84]
	v_add_f64_e32 v[2:3], v[2:3], v[93:94]
	s_delay_alu instid0(VALU_DEP_4)
	v_fma_f64 v[67:68], v[67:68], v[101:102], v[85:86]
	s_wait_loadcnt_dscnt 0x400
	v_mul_f64_e32 v[83:84], v[6:7], v[63:64]
	v_mul_f64_e32 v[93:94], v[8:9], v[63:64]
	v_fma_f64 v[85:86], v[65:66], v[101:102], -v[95:96]
	ds_load_b128 v[63:66], v1 offset:720
	v_add_f64_e32 v[10:11], v[10:11], v[81:82]
	v_add_f64_e32 v[2:3], v[2:3], v[87:88]
	v_fma_f64 v[83:84], v[8:9], v[61:62], v[83:84]
	v_fma_f64 v[61:62], v[6:7], v[61:62], -v[93:94]
	ds_load_b128 v[6:9], v1 offset:736
	s_wait_loadcnt_dscnt 0x301
	v_mul_f64_e32 v[81:82], v[63:64], v[91:92]
	v_mul_f64_e32 v[87:88], v[65:66], v[91:92]
	v_add_f64_e32 v[10:11], v[10:11], v[67:68]
	v_add_f64_e32 v[2:3], v[2:3], v[85:86]
	s_wait_loadcnt_dscnt 0x200
	v_mul_f64_e32 v[67:68], v[6:7], v[71:72]
	v_mul_f64_e32 v[71:72], v[8:9], v[71:72]
	v_fma_f64 v[65:66], v[65:66], v[89:90], v[81:82]
	v_fma_f64 v[81:82], v[63:64], v[89:90], -v[87:88]
	v_add_f64_e32 v[10:11], v[10:11], v[83:84]
	v_add_f64_e32 v[2:3], v[2:3], v[61:62]
	ds_load_b128 v[61:64], v1 offset:752
	v_fma_f64 v[8:9], v[8:9], v[69:70], v[67:68]
	v_fma_f64 v[6:7], v[6:7], v[69:70], -v[71:72]
	s_wait_loadcnt_dscnt 0x100
	v_mul_f64_e32 v[83:84], v[61:62], v[75:76]
	v_mul_f64_e32 v[75:76], v[63:64], v[75:76]
	v_add_f64_e32 v[10:11], v[10:11], v[65:66]
	v_add_f64_e32 v[2:3], v[2:3], v[81:82]
	s_delay_alu instid0(VALU_DEP_4) | instskip(NEXT) | instid1(VALU_DEP_4)
	v_fma_f64 v[63:64], v[63:64], v[73:74], v[83:84]
	v_fma_f64 v[61:62], v[61:62], v[73:74], -v[75:76]
	s_delay_alu instid0(VALU_DEP_3) | instskip(SKIP_1) | instid1(VALU_DEP_2)
	v_add_f64_e32 v[2:3], v[2:3], v[6:7]
	v_add_f64_e32 v[6:7], v[10:11], v[8:9]
	;; [unrolled: 1-line block ×3, first 2 shown]
	s_delay_alu instid0(VALU_DEP_2) | instskip(SKIP_1) | instid1(VALU_DEP_2)
	v_add_f64_e32 v[8:9], v[6:7], v[63:64]
	s_wait_loadcnt 0x0
	v_add_f64_e64 v[6:7], v[77:78], -v[2:3]
	s_delay_alu instid0(VALU_DEP_2)
	v_add_f64_e64 v[8:9], v[79:80], -v[8:9]
	scratch_store_b128 off, v[6:9], off offset:144
	v_cmpx_lt_u32_e32 7, v0
	s_cbranch_execz .LBB23_143
; %bb.142:
	scratch_load_b128 v[6:9], off, s22
	v_dual_mov_b32 v2, v1 :: v_dual_mov_b32 v3, v1
	v_mov_b32_e32 v4, v1
	scratch_store_b128 off, v[1:4], off offset:128
	s_wait_loadcnt 0x0
	ds_store_b128 v5, v[6:9]
.LBB23_143:
	s_wait_alu 0xfffe
	s_or_b32 exec_lo, exec_lo, s0
	s_wait_storecnt_dscnt 0x0
	s_barrier_signal -1
	s_barrier_wait -1
	global_inv scope:SCOPE_SE
	s_clause 0x7
	scratch_load_b128 v[6:9], off, off offset:144
	scratch_load_b128 v[61:64], off, off offset:160
	;; [unrolled: 1-line block ×8, first 2 shown]
	ds_load_b128 v[89:92], v1 offset:512
	s_clause 0x1
	scratch_load_b128 v[93:96], off, off offset:272
	scratch_load_b128 v[97:100], off, off offset:288
	s_mov_b32 s0, exec_lo
	s_wait_loadcnt_dscnt 0x900
	v_mul_f64_e32 v[2:3], v[91:92], v[8:9]
	v_mul_f64_e32 v[101:102], v[89:90], v[8:9]
	ds_load_b128 v[8:11], v1 offset:528
	v_fma_f64 v[2:3], v[89:90], v[6:7], -v[2:3]
	v_fma_f64 v[6:7], v[91:92], v[6:7], v[101:102]
	ds_load_b128 v[89:92], v1 offset:544
	s_wait_loadcnt_dscnt 0x801
	v_mul_f64_e32 v[105:106], v[8:9], v[63:64]
	v_mul_f64_e32 v[63:64], v[10:11], v[63:64]
	scratch_load_b128 v[101:104], off, off offset:304
	s_wait_loadcnt_dscnt 0x800
	v_mul_f64_e32 v[107:108], v[89:90], v[67:68]
	v_mul_f64_e32 v[67:68], v[91:92], v[67:68]
	v_add_f64_e32 v[2:3], 0, v[2:3]
	v_add_f64_e32 v[109:110], 0, v[6:7]
	v_fma_f64 v[10:11], v[10:11], v[61:62], v[105:106]
	v_fma_f64 v[105:106], v[8:9], v[61:62], -v[63:64]
	ds_load_b128 v[6:9], v1 offset:560
	scratch_load_b128 v[61:64], off, off offset:320
	v_fma_f64 v[107:108], v[91:92], v[65:66], v[107:108]
	v_fma_f64 v[113:114], v[89:90], v[65:66], -v[67:68]
	ds_load_b128 v[65:68], v1 offset:576
	s_wait_loadcnt_dscnt 0x801
	v_mul_f64_e32 v[111:112], v[6:7], v[71:72]
	v_mul_f64_e32 v[71:72], v[8:9], v[71:72]
	scratch_load_b128 v[89:92], off, off offset:336
	v_add_f64_e32 v[10:11], v[109:110], v[10:11]
	v_add_f64_e32 v[2:3], v[2:3], v[105:106]
	s_wait_loadcnt_dscnt 0x800
	v_mul_f64_e32 v[105:106], v[65:66], v[75:76]
	v_mul_f64_e32 v[75:76], v[67:68], v[75:76]
	v_fma_f64 v[109:110], v[8:9], v[69:70], v[111:112]
	v_fma_f64 v[111:112], v[6:7], v[69:70], -v[71:72]
	ds_load_b128 v[6:9], v1 offset:592
	scratch_load_b128 v[69:72], off, off offset:352
	v_add_f64_e32 v[10:11], v[10:11], v[107:108]
	v_add_f64_e32 v[2:3], v[2:3], v[113:114]
	v_fma_f64 v[105:106], v[67:68], v[73:74], v[105:106]
	v_fma_f64 v[113:114], v[65:66], v[73:74], -v[75:76]
	ds_load_b128 v[65:68], v1 offset:608
	s_wait_loadcnt_dscnt 0x801
	v_mul_f64_e32 v[107:108], v[6:7], v[79:80]
	v_mul_f64_e32 v[79:80], v[8:9], v[79:80]
	scratch_load_b128 v[73:76], off, off offset:368
	v_add_f64_e32 v[10:11], v[10:11], v[109:110]
	v_add_f64_e32 v[2:3], v[2:3], v[111:112]
	s_wait_loadcnt_dscnt 0x800
	v_mul_f64_e32 v[109:110], v[65:66], v[83:84]
	v_mul_f64_e32 v[83:84], v[67:68], v[83:84]
	v_fma_f64 v[107:108], v[8:9], v[77:78], v[107:108]
	v_fma_f64 v[111:112], v[6:7], v[77:78], -v[79:80]
	ds_load_b128 v[6:9], v1 offset:624
	scratch_load_b128 v[77:80], off, off offset:384
	v_add_f64_e32 v[10:11], v[10:11], v[105:106]
	v_add_f64_e32 v[2:3], v[2:3], v[113:114]
	v_fma_f64 v[109:110], v[67:68], v[81:82], v[109:110]
	v_fma_f64 v[81:82], v[65:66], v[81:82], -v[83:84]
	ds_load_b128 v[65:68], v1 offset:640
	s_wait_loadcnt_dscnt 0x801
	v_mul_f64_e32 v[105:106], v[6:7], v[87:88]
	v_mul_f64_e32 v[87:88], v[8:9], v[87:88]
	s_wait_loadcnt_dscnt 0x700
	v_mul_f64_e32 v[83:84], v[65:66], v[95:96]
	v_mul_f64_e32 v[95:96], v[67:68], v[95:96]
	v_add_f64_e32 v[10:11], v[10:11], v[107:108]
	v_add_f64_e32 v[2:3], v[2:3], v[111:112]
	v_fma_f64 v[105:106], v[8:9], v[85:86], v[105:106]
	v_fma_f64 v[85:86], v[6:7], v[85:86], -v[87:88]
	ds_load_b128 v[6:9], v1 offset:656
	v_fma_f64 v[107:108], v[67:68], v[93:94], v[83:84]
	v_fma_f64 v[93:94], v[65:66], v[93:94], -v[95:96]
	ds_load_b128 v[65:68], v1 offset:672
	v_add_f64_e32 v[10:11], v[10:11], v[109:110]
	v_add_f64_e32 v[2:3], v[2:3], v[81:82]
	scratch_load_b128 v[81:84], off, off offset:128
	s_wait_loadcnt_dscnt 0x701
	v_mul_f64_e32 v[87:88], v[6:7], v[99:100]
	v_mul_f64_e32 v[99:100], v[8:9], v[99:100]
	v_add_f64_e32 v[10:11], v[10:11], v[105:106]
	v_add_f64_e32 v[2:3], v[2:3], v[85:86]
	s_delay_alu instid0(VALU_DEP_4) | instskip(NEXT) | instid1(VALU_DEP_4)
	v_fma_f64 v[87:88], v[8:9], v[97:98], v[87:88]
	v_fma_f64 v[97:98], v[6:7], v[97:98], -v[99:100]
	ds_load_b128 v[6:9], v1 offset:688
	s_wait_loadcnt_dscnt 0x601
	v_mul_f64_e32 v[85:86], v[65:66], v[103:104]
	v_mul_f64_e32 v[95:96], v[67:68], v[103:104]
	v_add_f64_e32 v[10:11], v[10:11], v[107:108]
	v_add_f64_e32 v[2:3], v[2:3], v[93:94]
	s_delay_alu instid0(VALU_DEP_4)
	v_fma_f64 v[67:68], v[67:68], v[101:102], v[85:86]
	s_wait_loadcnt_dscnt 0x500
	v_mul_f64_e32 v[93:94], v[6:7], v[63:64]
	v_mul_f64_e32 v[99:100], v[8:9], v[63:64]
	v_fma_f64 v[85:86], v[65:66], v[101:102], -v[95:96]
	ds_load_b128 v[63:66], v1 offset:704
	v_add_f64_e32 v[10:11], v[10:11], v[87:88]
	v_add_f64_e32 v[2:3], v[2:3], v[97:98]
	v_fma_f64 v[93:94], v[8:9], v[61:62], v[93:94]
	v_fma_f64 v[61:62], v[6:7], v[61:62], -v[99:100]
	ds_load_b128 v[6:9], v1 offset:720
	s_wait_loadcnt_dscnt 0x401
	v_mul_f64_e32 v[87:88], v[63:64], v[91:92]
	v_mul_f64_e32 v[91:92], v[65:66], v[91:92]
	v_add_f64_e32 v[10:11], v[10:11], v[67:68]
	v_add_f64_e32 v[2:3], v[2:3], v[85:86]
	s_wait_loadcnt_dscnt 0x300
	v_mul_f64_e32 v[67:68], v[6:7], v[71:72]
	v_mul_f64_e32 v[71:72], v[8:9], v[71:72]
	v_fma_f64 v[65:66], v[65:66], v[89:90], v[87:88]
	v_fma_f64 v[85:86], v[63:64], v[89:90], -v[91:92]
	v_add_f64_e32 v[10:11], v[10:11], v[93:94]
	v_add_f64_e32 v[2:3], v[2:3], v[61:62]
	ds_load_b128 v[61:64], v1 offset:736
	v_fma_f64 v[8:9], v[8:9], v[69:70], v[67:68]
	v_fma_f64 v[6:7], v[6:7], v[69:70], -v[71:72]
	s_wait_loadcnt_dscnt 0x200
	v_mul_f64_e32 v[87:88], v[61:62], v[75:76]
	v_mul_f64_e32 v[75:76], v[63:64], v[75:76]
	v_add_f64_e32 v[10:11], v[10:11], v[65:66]
	v_add_f64_e32 v[67:68], v[2:3], v[85:86]
	ds_load_b128 v[1:4], v1 offset:752
	s_wait_loadcnt_dscnt 0x100
	v_mul_f64_e32 v[65:66], v[1:2], v[79:80]
	v_mul_f64_e32 v[69:70], v[3:4], v[79:80]
	v_fma_f64 v[63:64], v[63:64], v[73:74], v[87:88]
	v_fma_f64 v[61:62], v[61:62], v[73:74], -v[75:76]
	v_add_f64_e32 v[8:9], v[10:11], v[8:9]
	v_add_f64_e32 v[6:7], v[67:68], v[6:7]
	v_fma_f64 v[3:4], v[3:4], v[77:78], v[65:66]
	v_fma_f64 v[1:2], v[1:2], v[77:78], -v[69:70]
	s_delay_alu instid0(VALU_DEP_4) | instskip(NEXT) | instid1(VALU_DEP_4)
	v_add_f64_e32 v[8:9], v[8:9], v[63:64]
	v_add_f64_e32 v[6:7], v[6:7], v[61:62]
	s_delay_alu instid0(VALU_DEP_2) | instskip(NEXT) | instid1(VALU_DEP_2)
	v_add_f64_e32 v[3:4], v[8:9], v[3:4]
	v_add_f64_e32 v[1:2], v[6:7], v[1:2]
	s_wait_loadcnt 0x0
	s_delay_alu instid0(VALU_DEP_2) | instskip(NEXT) | instid1(VALU_DEP_2)
	v_add_f64_e64 v[3:4], v[83:84], -v[3:4]
	v_add_f64_e64 v[1:2], v[81:82], -v[1:2]
	scratch_store_b128 off, v[1:4], off offset:128
	v_cmpx_lt_u32_e32 6, v0
	s_cbranch_execz .LBB23_145
; %bb.144:
	scratch_load_b128 v[1:4], off, s27
	v_mov_b32_e32 v6, 0
	s_delay_alu instid0(VALU_DEP_1)
	v_dual_mov_b32 v7, v6 :: v_dual_mov_b32 v8, v6
	v_mov_b32_e32 v9, v6
	scratch_store_b128 off, v[6:9], off offset:112
	s_wait_loadcnt 0x0
	ds_store_b128 v5, v[1:4]
.LBB23_145:
	s_wait_alu 0xfffe
	s_or_b32 exec_lo, exec_lo, s0
	s_wait_storecnt_dscnt 0x0
	s_barrier_signal -1
	s_barrier_wait -1
	global_inv scope:SCOPE_SE
	s_clause 0x7
	scratch_load_b128 v[6:9], off, off offset:128
	scratch_load_b128 v[61:64], off, off offset:144
	;; [unrolled: 1-line block ×8, first 2 shown]
	v_mov_b32_e32 v1, 0
	s_clause 0x1
	scratch_load_b128 v[97:100], off, off offset:272
	scratch_load_b128 v[93:96], off, off offset:256
	s_mov_b32 s0, exec_lo
	ds_load_b128 v[89:92], v1 offset:496
	s_wait_loadcnt_dscnt 0x900
	v_mul_f64_e32 v[2:3], v[91:92], v[8:9]
	v_mul_f64_e32 v[101:102], v[89:90], v[8:9]
	ds_load_b128 v[8:11], v1 offset:512
	v_fma_f64 v[2:3], v[89:90], v[6:7], -v[2:3]
	v_fma_f64 v[6:7], v[91:92], v[6:7], v[101:102]
	ds_load_b128 v[89:92], v1 offset:528
	s_wait_loadcnt_dscnt 0x801
	v_mul_f64_e32 v[105:106], v[8:9], v[63:64]
	v_mul_f64_e32 v[63:64], v[10:11], v[63:64]
	scratch_load_b128 v[101:104], off, off offset:288
	s_wait_loadcnt_dscnt 0x800
	v_mul_f64_e32 v[107:108], v[89:90], v[67:68]
	v_mul_f64_e32 v[67:68], v[91:92], v[67:68]
	v_add_f64_e32 v[2:3], 0, v[2:3]
	v_add_f64_e32 v[109:110], 0, v[6:7]
	v_fma_f64 v[10:11], v[10:11], v[61:62], v[105:106]
	v_fma_f64 v[105:106], v[8:9], v[61:62], -v[63:64]
	ds_load_b128 v[6:9], v1 offset:544
	scratch_load_b128 v[61:64], off, off offset:304
	v_fma_f64 v[107:108], v[91:92], v[65:66], v[107:108]
	v_fma_f64 v[113:114], v[89:90], v[65:66], -v[67:68]
	ds_load_b128 v[65:68], v1 offset:560
	s_wait_loadcnt_dscnt 0x801
	v_mul_f64_e32 v[111:112], v[6:7], v[71:72]
	v_mul_f64_e32 v[71:72], v[8:9], v[71:72]
	scratch_load_b128 v[89:92], off, off offset:320
	v_add_f64_e32 v[10:11], v[109:110], v[10:11]
	v_add_f64_e32 v[2:3], v[2:3], v[105:106]
	s_wait_loadcnt_dscnt 0x800
	v_mul_f64_e32 v[105:106], v[65:66], v[75:76]
	v_mul_f64_e32 v[75:76], v[67:68], v[75:76]
	v_fma_f64 v[109:110], v[8:9], v[69:70], v[111:112]
	v_fma_f64 v[111:112], v[6:7], v[69:70], -v[71:72]
	ds_load_b128 v[6:9], v1 offset:576
	scratch_load_b128 v[69:72], off, off offset:336
	v_add_f64_e32 v[10:11], v[10:11], v[107:108]
	v_add_f64_e32 v[2:3], v[2:3], v[113:114]
	v_fma_f64 v[105:106], v[67:68], v[73:74], v[105:106]
	v_fma_f64 v[113:114], v[65:66], v[73:74], -v[75:76]
	ds_load_b128 v[65:68], v1 offset:592
	s_wait_loadcnt_dscnt 0x801
	v_mul_f64_e32 v[107:108], v[6:7], v[79:80]
	v_mul_f64_e32 v[79:80], v[8:9], v[79:80]
	scratch_load_b128 v[73:76], off, off offset:352
	v_add_f64_e32 v[10:11], v[10:11], v[109:110]
	v_add_f64_e32 v[2:3], v[2:3], v[111:112]
	s_wait_loadcnt_dscnt 0x800
	v_mul_f64_e32 v[109:110], v[65:66], v[83:84]
	v_mul_f64_e32 v[83:84], v[67:68], v[83:84]
	v_fma_f64 v[107:108], v[8:9], v[77:78], v[107:108]
	v_fma_f64 v[111:112], v[6:7], v[77:78], -v[79:80]
	ds_load_b128 v[6:9], v1 offset:608
	scratch_load_b128 v[77:80], off, off offset:368
	v_add_f64_e32 v[10:11], v[10:11], v[105:106]
	v_add_f64_e32 v[2:3], v[2:3], v[113:114]
	v_fma_f64 v[109:110], v[67:68], v[81:82], v[109:110]
	v_fma_f64 v[113:114], v[65:66], v[81:82], -v[83:84]
	ds_load_b128 v[65:68], v1 offset:624
	s_wait_loadcnt_dscnt 0x801
	v_mul_f64_e32 v[105:106], v[6:7], v[87:88]
	v_mul_f64_e32 v[87:88], v[8:9], v[87:88]
	scratch_load_b128 v[81:84], off, off offset:384
	v_add_f64_e32 v[10:11], v[10:11], v[107:108]
	v_add_f64_e32 v[2:3], v[2:3], v[111:112]
	v_fma_f64 v[105:106], v[8:9], v[85:86], v[105:106]
	v_fma_f64 v[85:86], v[6:7], v[85:86], -v[87:88]
	ds_load_b128 v[6:9], v1 offset:640
	s_wait_loadcnt_dscnt 0x800
	v_mul_f64_e32 v[87:88], v[6:7], v[99:100]
	v_mul_f64_e32 v[99:100], v[8:9], v[99:100]
	v_add_f64_e32 v[10:11], v[10:11], v[109:110]
	v_add_f64_e32 v[2:3], v[2:3], v[113:114]
	s_delay_alu instid0(VALU_DEP_2) | instskip(NEXT) | instid1(VALU_DEP_2)
	v_add_f64_e32 v[10:11], v[10:11], v[105:106]
	v_add_f64_e32 v[2:3], v[2:3], v[85:86]
	v_fma_f64 v[105:106], v[8:9], v[97:98], v[87:88]
	scratch_load_b128 v[85:88], off, off offset:112
	s_wait_loadcnt 0x8
	v_mul_f64_e32 v[107:108], v[65:66], v[95:96]
	v_mul_f64_e32 v[95:96], v[67:68], v[95:96]
	v_fma_f64 v[97:98], v[6:7], v[97:98], -v[99:100]
	ds_load_b128 v[6:9], v1 offset:672
	v_fma_f64 v[107:108], v[67:68], v[93:94], v[107:108]
	v_fma_f64 v[93:94], v[65:66], v[93:94], -v[95:96]
	ds_load_b128 v[65:68], v1 offset:656
	s_wait_loadcnt_dscnt 0x601
	v_mul_f64_e32 v[99:100], v[8:9], v[63:64]
	s_wait_dscnt 0x0
	v_mul_f64_e32 v[95:96], v[65:66], v[103:104]
	v_mul_f64_e32 v[103:104], v[67:68], v[103:104]
	v_add_f64_e32 v[10:11], v[10:11], v[107:108]
	v_add_f64_e32 v[2:3], v[2:3], v[93:94]
	v_mul_f64_e32 v[93:94], v[6:7], v[63:64]
	v_fma_f64 v[67:68], v[67:68], v[101:102], v[95:96]
	v_fma_f64 v[95:96], v[65:66], v[101:102], -v[103:104]
	ds_load_b128 v[63:66], v1 offset:688
	v_add_f64_e32 v[10:11], v[10:11], v[105:106]
	v_add_f64_e32 v[2:3], v[2:3], v[97:98]
	v_fma_f64 v[93:94], v[8:9], v[61:62], v[93:94]
	v_fma_f64 v[61:62], v[6:7], v[61:62], -v[99:100]
	ds_load_b128 v[6:9], v1 offset:704
	s_wait_loadcnt_dscnt 0x501
	v_mul_f64_e32 v[97:98], v[63:64], v[91:92]
	v_mul_f64_e32 v[91:92], v[65:66], v[91:92]
	v_add_f64_e32 v[10:11], v[10:11], v[67:68]
	v_add_f64_e32 v[2:3], v[2:3], v[95:96]
	s_wait_loadcnt_dscnt 0x400
	v_mul_f64_e32 v[67:68], v[6:7], v[71:72]
	v_mul_f64_e32 v[71:72], v[8:9], v[71:72]
	v_fma_f64 v[65:66], v[65:66], v[89:90], v[97:98]
	v_fma_f64 v[89:90], v[63:64], v[89:90], -v[91:92]
	v_add_f64_e32 v[10:11], v[10:11], v[93:94]
	v_add_f64_e32 v[2:3], v[2:3], v[61:62]
	ds_load_b128 v[61:64], v1 offset:720
	v_fma_f64 v[67:68], v[8:9], v[69:70], v[67:68]
	v_fma_f64 v[69:70], v[6:7], v[69:70], -v[71:72]
	ds_load_b128 v[6:9], v1 offset:736
	s_wait_loadcnt_dscnt 0x301
	v_mul_f64_e32 v[91:92], v[61:62], v[75:76]
	v_mul_f64_e32 v[75:76], v[63:64], v[75:76]
	s_wait_loadcnt_dscnt 0x200
	v_mul_f64_e32 v[71:72], v[8:9], v[79:80]
	v_add_f64_e32 v[10:11], v[10:11], v[65:66]
	v_add_f64_e32 v[2:3], v[2:3], v[89:90]
	v_mul_f64_e32 v[65:66], v[6:7], v[79:80]
	v_fma_f64 v[79:80], v[63:64], v[73:74], v[91:92]
	v_fma_f64 v[73:74], v[61:62], v[73:74], -v[75:76]
	ds_load_b128 v[61:64], v1 offset:752
	v_fma_f64 v[6:7], v[6:7], v[77:78], -v[71:72]
	v_add_f64_e32 v[10:11], v[10:11], v[67:68]
	v_add_f64_e32 v[2:3], v[2:3], v[69:70]
	v_fma_f64 v[8:9], v[8:9], v[77:78], v[65:66]
	s_wait_loadcnt_dscnt 0x100
	v_mul_f64_e32 v[67:68], v[61:62], v[83:84]
	v_mul_f64_e32 v[69:70], v[63:64], v[83:84]
	v_add_f64_e32 v[10:11], v[10:11], v[79:80]
	v_add_f64_e32 v[2:3], v[2:3], v[73:74]
	s_delay_alu instid0(VALU_DEP_4) | instskip(NEXT) | instid1(VALU_DEP_4)
	v_fma_f64 v[63:64], v[63:64], v[81:82], v[67:68]
	v_fma_f64 v[61:62], v[61:62], v[81:82], -v[69:70]
	s_delay_alu instid0(VALU_DEP_3) | instskip(SKIP_1) | instid1(VALU_DEP_2)
	v_add_f64_e32 v[2:3], v[2:3], v[6:7]
	v_add_f64_e32 v[6:7], v[10:11], v[8:9]
	;; [unrolled: 1-line block ×3, first 2 shown]
	s_delay_alu instid0(VALU_DEP_2) | instskip(SKIP_1) | instid1(VALU_DEP_2)
	v_add_f64_e32 v[8:9], v[6:7], v[63:64]
	s_wait_loadcnt 0x0
	v_add_f64_e64 v[6:7], v[85:86], -v[2:3]
	s_delay_alu instid0(VALU_DEP_2)
	v_add_f64_e64 v[8:9], v[87:88], -v[8:9]
	scratch_store_b128 off, v[6:9], off offset:112
	v_cmpx_lt_u32_e32 5, v0
	s_cbranch_execz .LBB23_147
; %bb.146:
	scratch_load_b128 v[6:9], off, s21
	v_dual_mov_b32 v2, v1 :: v_dual_mov_b32 v3, v1
	v_mov_b32_e32 v4, v1
	scratch_store_b128 off, v[1:4], off offset:96
	s_wait_loadcnt 0x0
	ds_store_b128 v5, v[6:9]
.LBB23_147:
	s_wait_alu 0xfffe
	s_or_b32 exec_lo, exec_lo, s0
	s_wait_storecnt_dscnt 0x0
	s_barrier_signal -1
	s_barrier_wait -1
	global_inv scope:SCOPE_SE
	s_clause 0x7
	scratch_load_b128 v[6:9], off, off offset:112
	scratch_load_b128 v[61:64], off, off offset:128
	;; [unrolled: 1-line block ×8, first 2 shown]
	ds_load_b128 v[89:92], v1 offset:480
	s_clause 0x1
	scratch_load_b128 v[93:96], off, off offset:240
	scratch_load_b128 v[97:100], off, off offset:256
	s_mov_b32 s0, exec_lo
	s_wait_loadcnt_dscnt 0x900
	v_mul_f64_e32 v[2:3], v[91:92], v[8:9]
	v_mul_f64_e32 v[101:102], v[89:90], v[8:9]
	ds_load_b128 v[8:11], v1 offset:496
	v_fma_f64 v[2:3], v[89:90], v[6:7], -v[2:3]
	v_fma_f64 v[6:7], v[91:92], v[6:7], v[101:102]
	scratch_load_b128 v[101:104], off, off offset:272
	ds_load_b128 v[89:92], v1 offset:512
	s_wait_loadcnt_dscnt 0x901
	v_mul_f64_e32 v[105:106], v[8:9], v[63:64]
	v_mul_f64_e32 v[63:64], v[10:11], v[63:64]
	s_wait_loadcnt_dscnt 0x800
	v_mul_f64_e32 v[107:108], v[89:90], v[67:68]
	v_mul_f64_e32 v[67:68], v[91:92], v[67:68]
	v_add_f64_e32 v[2:3], 0, v[2:3]
	v_add_f64_e32 v[109:110], 0, v[6:7]
	v_fma_f64 v[10:11], v[10:11], v[61:62], v[105:106]
	v_fma_f64 v[105:106], v[8:9], v[61:62], -v[63:64]
	ds_load_b128 v[6:9], v1 offset:528
	scratch_load_b128 v[61:64], off, off offset:288
	v_fma_f64 v[107:108], v[91:92], v[65:66], v[107:108]
	v_fma_f64 v[113:114], v[89:90], v[65:66], -v[67:68]
	ds_load_b128 v[65:68], v1 offset:544
	s_wait_loadcnt_dscnt 0x801
	v_mul_f64_e32 v[111:112], v[6:7], v[71:72]
	v_mul_f64_e32 v[71:72], v[8:9], v[71:72]
	scratch_load_b128 v[89:92], off, off offset:304
	v_add_f64_e32 v[10:11], v[109:110], v[10:11]
	v_add_f64_e32 v[2:3], v[2:3], v[105:106]
	s_wait_loadcnt_dscnt 0x800
	v_mul_f64_e32 v[105:106], v[65:66], v[75:76]
	v_mul_f64_e32 v[75:76], v[67:68], v[75:76]
	v_fma_f64 v[109:110], v[8:9], v[69:70], v[111:112]
	v_fma_f64 v[111:112], v[6:7], v[69:70], -v[71:72]
	ds_load_b128 v[6:9], v1 offset:560
	scratch_load_b128 v[69:72], off, off offset:320
	v_add_f64_e32 v[10:11], v[10:11], v[107:108]
	v_add_f64_e32 v[2:3], v[2:3], v[113:114]
	v_fma_f64 v[105:106], v[67:68], v[73:74], v[105:106]
	v_fma_f64 v[113:114], v[65:66], v[73:74], -v[75:76]
	ds_load_b128 v[65:68], v1 offset:576
	s_wait_loadcnt_dscnt 0x801
	v_mul_f64_e32 v[107:108], v[6:7], v[79:80]
	v_mul_f64_e32 v[79:80], v[8:9], v[79:80]
	scratch_load_b128 v[73:76], off, off offset:336
	v_add_f64_e32 v[10:11], v[10:11], v[109:110]
	v_add_f64_e32 v[2:3], v[2:3], v[111:112]
	s_wait_loadcnt_dscnt 0x800
	v_mul_f64_e32 v[109:110], v[65:66], v[83:84]
	v_mul_f64_e32 v[83:84], v[67:68], v[83:84]
	v_fma_f64 v[107:108], v[8:9], v[77:78], v[107:108]
	v_fma_f64 v[111:112], v[6:7], v[77:78], -v[79:80]
	ds_load_b128 v[6:9], v1 offset:592
	scratch_load_b128 v[77:80], off, off offset:352
	v_add_f64_e32 v[10:11], v[10:11], v[105:106]
	v_add_f64_e32 v[2:3], v[2:3], v[113:114]
	;; [unrolled: 18-line block ×3, first 2 shown]
	v_fma_f64 v[107:108], v[67:68], v[93:94], v[107:108]
	v_fma_f64 v[93:94], v[65:66], v[93:94], -v[95:96]
	ds_load_b128 v[65:68], v1 offset:640
	v_add_f64_e32 v[10:11], v[10:11], v[105:106]
	v_add_f64_e32 v[2:3], v[2:3], v[111:112]
	s_wait_loadcnt_dscnt 0x700
	v_mul_f64_e32 v[95:96], v[65:66], v[103:104]
	v_mul_f64_e32 v[103:104], v[67:68], v[103:104]
	s_delay_alu instid0(VALU_DEP_4) | instskip(NEXT) | instid1(VALU_DEP_4)
	v_add_f64_e32 v[10:11], v[10:11], v[107:108]
	v_add_f64_e32 v[2:3], v[2:3], v[93:94]
	s_delay_alu instid0(VALU_DEP_4) | instskip(SKIP_4) | instid1(VALU_DEP_3)
	v_fma_f64 v[67:68], v[67:68], v[101:102], v[95:96]
	scratch_load_b128 v[93:96], off, off offset:96
	v_mul_f64_e32 v[109:110], v[6:7], v[99:100]
	v_mul_f64_e32 v[99:100], v[8:9], v[99:100]
	v_fma_f64 v[101:102], v[65:66], v[101:102], -v[103:104]
	v_fma_f64 v[105:106], v[8:9], v[97:98], v[109:110]
	s_delay_alu instid0(VALU_DEP_3)
	v_fma_f64 v[97:98], v[6:7], v[97:98], -v[99:100]
	ds_load_b128 v[6:9], v1 offset:656
	s_wait_loadcnt_dscnt 0x700
	v_mul_f64_e32 v[99:100], v[6:7], v[63:64]
	v_mul_f64_e32 v[107:108], v[8:9], v[63:64]
	ds_load_b128 v[63:66], v1 offset:672
	v_add_f64_e32 v[10:11], v[10:11], v[105:106]
	v_add_f64_e32 v[2:3], v[2:3], v[97:98]
	v_fma_f64 v[99:100], v[8:9], v[61:62], v[99:100]
	v_fma_f64 v[61:62], v[6:7], v[61:62], -v[107:108]
	ds_load_b128 v[6:9], v1 offset:688
	s_wait_loadcnt_dscnt 0x601
	v_mul_f64_e32 v[97:98], v[63:64], v[91:92]
	v_mul_f64_e32 v[91:92], v[65:66], v[91:92]
	v_add_f64_e32 v[10:11], v[10:11], v[67:68]
	v_add_f64_e32 v[2:3], v[2:3], v[101:102]
	s_wait_loadcnt_dscnt 0x500
	v_mul_f64_e32 v[67:68], v[6:7], v[71:72]
	v_mul_f64_e32 v[71:72], v[8:9], v[71:72]
	v_fma_f64 v[65:66], v[65:66], v[89:90], v[97:98]
	v_fma_f64 v[89:90], v[63:64], v[89:90], -v[91:92]
	v_add_f64_e32 v[10:11], v[10:11], v[99:100]
	v_add_f64_e32 v[2:3], v[2:3], v[61:62]
	ds_load_b128 v[61:64], v1 offset:704
	v_fma_f64 v[67:68], v[8:9], v[69:70], v[67:68]
	v_fma_f64 v[69:70], v[6:7], v[69:70], -v[71:72]
	ds_load_b128 v[6:9], v1 offset:720
	s_wait_loadcnt_dscnt 0x401
	v_mul_f64_e32 v[91:92], v[61:62], v[75:76]
	v_mul_f64_e32 v[75:76], v[63:64], v[75:76]
	s_wait_loadcnt_dscnt 0x300
	v_mul_f64_e32 v[71:72], v[8:9], v[79:80]
	v_add_f64_e32 v[10:11], v[10:11], v[65:66]
	v_add_f64_e32 v[2:3], v[2:3], v[89:90]
	v_mul_f64_e32 v[65:66], v[6:7], v[79:80]
	v_fma_f64 v[79:80], v[63:64], v[73:74], v[91:92]
	v_fma_f64 v[73:74], v[61:62], v[73:74], -v[75:76]
	ds_load_b128 v[61:64], v1 offset:736
	v_fma_f64 v[6:7], v[6:7], v[77:78], -v[71:72]
	v_add_f64_e32 v[10:11], v[10:11], v[67:68]
	v_add_f64_e32 v[2:3], v[2:3], v[69:70]
	v_fma_f64 v[8:9], v[8:9], v[77:78], v[65:66]
	s_wait_loadcnt_dscnt 0x200
	v_mul_f64_e32 v[67:68], v[61:62], v[83:84]
	v_mul_f64_e32 v[69:70], v[63:64], v[83:84]
	v_add_f64_e32 v[10:11], v[10:11], v[79:80]
	v_add_f64_e32 v[65:66], v[2:3], v[73:74]
	ds_load_b128 v[1:4], v1 offset:752
	v_fma_f64 v[63:64], v[63:64], v[81:82], v[67:68]
	v_fma_f64 v[61:62], v[61:62], v[81:82], -v[69:70]
	s_wait_loadcnt_dscnt 0x100
	v_mul_f64_e32 v[71:72], v[1:2], v[87:88]
	v_mul_f64_e32 v[73:74], v[3:4], v[87:88]
	v_add_f64_e32 v[8:9], v[10:11], v[8:9]
	v_add_f64_e32 v[6:7], v[65:66], v[6:7]
	s_delay_alu instid0(VALU_DEP_4) | instskip(NEXT) | instid1(VALU_DEP_4)
	v_fma_f64 v[3:4], v[3:4], v[85:86], v[71:72]
	v_fma_f64 v[1:2], v[1:2], v[85:86], -v[73:74]
	s_delay_alu instid0(VALU_DEP_4) | instskip(NEXT) | instid1(VALU_DEP_4)
	v_add_f64_e32 v[8:9], v[8:9], v[63:64]
	v_add_f64_e32 v[6:7], v[6:7], v[61:62]
	s_delay_alu instid0(VALU_DEP_2) | instskip(NEXT) | instid1(VALU_DEP_2)
	v_add_f64_e32 v[3:4], v[8:9], v[3:4]
	v_add_f64_e32 v[1:2], v[6:7], v[1:2]
	s_wait_loadcnt 0x0
	s_delay_alu instid0(VALU_DEP_2) | instskip(NEXT) | instid1(VALU_DEP_2)
	v_add_f64_e64 v[3:4], v[95:96], -v[3:4]
	v_add_f64_e64 v[1:2], v[93:94], -v[1:2]
	scratch_store_b128 off, v[1:4], off offset:96
	v_cmpx_lt_u32_e32 4, v0
	s_cbranch_execz .LBB23_149
; %bb.148:
	scratch_load_b128 v[1:4], off, s26
	v_mov_b32_e32 v6, 0
	s_delay_alu instid0(VALU_DEP_1)
	v_dual_mov_b32 v7, v6 :: v_dual_mov_b32 v8, v6
	v_mov_b32_e32 v9, v6
	scratch_store_b128 off, v[6:9], off offset:80
	s_wait_loadcnt 0x0
	ds_store_b128 v5, v[1:4]
.LBB23_149:
	s_wait_alu 0xfffe
	s_or_b32 exec_lo, exec_lo, s0
	s_wait_storecnt_dscnt 0x0
	s_barrier_signal -1
	s_barrier_wait -1
	global_inv scope:SCOPE_SE
	s_clause 0x7
	scratch_load_b128 v[6:9], off, off offset:96
	scratch_load_b128 v[61:64], off, off offset:112
	;; [unrolled: 1-line block ×8, first 2 shown]
	v_mov_b32_e32 v1, 0
	s_clause 0x1
	scratch_load_b128 v[93:96], off, off offset:224
	scratch_load_b128 v[97:100], off, off offset:240
	s_mov_b32 s0, exec_lo
	ds_load_b128 v[89:92], v1 offset:464
	s_wait_loadcnt_dscnt 0x900
	v_mul_f64_e32 v[2:3], v[91:92], v[8:9]
	v_mul_f64_e32 v[101:102], v[89:90], v[8:9]
	ds_load_b128 v[8:11], v1 offset:480
	v_fma_f64 v[2:3], v[89:90], v[6:7], -v[2:3]
	v_fma_f64 v[6:7], v[91:92], v[6:7], v[101:102]
	ds_load_b128 v[89:92], v1 offset:496
	s_wait_loadcnt_dscnt 0x801
	v_mul_f64_e32 v[105:106], v[8:9], v[63:64]
	v_mul_f64_e32 v[63:64], v[10:11], v[63:64]
	scratch_load_b128 v[101:104], off, off offset:256
	s_wait_loadcnt_dscnt 0x800
	v_mul_f64_e32 v[107:108], v[89:90], v[67:68]
	v_mul_f64_e32 v[67:68], v[91:92], v[67:68]
	v_add_f64_e32 v[2:3], 0, v[2:3]
	v_add_f64_e32 v[109:110], 0, v[6:7]
	v_fma_f64 v[10:11], v[10:11], v[61:62], v[105:106]
	v_fma_f64 v[105:106], v[8:9], v[61:62], -v[63:64]
	ds_load_b128 v[6:9], v1 offset:512
	scratch_load_b128 v[61:64], off, off offset:272
	v_fma_f64 v[107:108], v[91:92], v[65:66], v[107:108]
	v_fma_f64 v[113:114], v[89:90], v[65:66], -v[67:68]
	ds_load_b128 v[65:68], v1 offset:528
	s_wait_loadcnt_dscnt 0x801
	v_mul_f64_e32 v[111:112], v[6:7], v[71:72]
	v_mul_f64_e32 v[71:72], v[8:9], v[71:72]
	scratch_load_b128 v[89:92], off, off offset:288
	v_add_f64_e32 v[10:11], v[109:110], v[10:11]
	v_add_f64_e32 v[2:3], v[2:3], v[105:106]
	s_wait_loadcnt_dscnt 0x800
	v_mul_f64_e32 v[105:106], v[65:66], v[75:76]
	v_mul_f64_e32 v[75:76], v[67:68], v[75:76]
	v_fma_f64 v[109:110], v[8:9], v[69:70], v[111:112]
	v_fma_f64 v[111:112], v[6:7], v[69:70], -v[71:72]
	ds_load_b128 v[6:9], v1 offset:544
	scratch_load_b128 v[69:72], off, off offset:304
	v_add_f64_e32 v[10:11], v[10:11], v[107:108]
	v_add_f64_e32 v[2:3], v[2:3], v[113:114]
	v_fma_f64 v[105:106], v[67:68], v[73:74], v[105:106]
	v_fma_f64 v[113:114], v[65:66], v[73:74], -v[75:76]
	ds_load_b128 v[65:68], v1 offset:560
	s_wait_loadcnt_dscnt 0x801
	v_mul_f64_e32 v[107:108], v[6:7], v[79:80]
	v_mul_f64_e32 v[79:80], v[8:9], v[79:80]
	scratch_load_b128 v[73:76], off, off offset:320
	v_add_f64_e32 v[10:11], v[10:11], v[109:110]
	v_add_f64_e32 v[2:3], v[2:3], v[111:112]
	s_wait_loadcnt_dscnt 0x800
	v_mul_f64_e32 v[109:110], v[65:66], v[83:84]
	v_mul_f64_e32 v[83:84], v[67:68], v[83:84]
	v_fma_f64 v[107:108], v[8:9], v[77:78], v[107:108]
	v_fma_f64 v[111:112], v[6:7], v[77:78], -v[79:80]
	ds_load_b128 v[6:9], v1 offset:576
	scratch_load_b128 v[77:80], off, off offset:336
	v_add_f64_e32 v[10:11], v[10:11], v[105:106]
	v_add_f64_e32 v[2:3], v[2:3], v[113:114]
	;; [unrolled: 18-line block ×3, first 2 shown]
	v_fma_f64 v[107:108], v[67:68], v[93:94], v[107:108]
	v_fma_f64 v[113:114], v[65:66], v[93:94], -v[95:96]
	ds_load_b128 v[65:68], v1 offset:624
	s_wait_loadcnt_dscnt 0x801
	v_mul_f64_e32 v[109:110], v[6:7], v[99:100]
	v_mul_f64_e32 v[99:100], v[8:9], v[99:100]
	scratch_load_b128 v[93:96], off, off offset:384
	v_add_f64_e32 v[10:11], v[10:11], v[105:106]
	v_add_f64_e32 v[2:3], v[2:3], v[111:112]
	v_fma_f64 v[109:110], v[8:9], v[97:98], v[109:110]
	v_fma_f64 v[97:98], v[6:7], v[97:98], -v[99:100]
	ds_load_b128 v[6:9], v1 offset:640
	s_wait_loadcnt_dscnt 0x801
	v_mul_f64_e32 v[105:106], v[65:66], v[103:104]
	v_mul_f64_e32 v[103:104], v[67:68], v[103:104]
	v_add_f64_e32 v[10:11], v[10:11], v[107:108]
	v_add_f64_e32 v[2:3], v[2:3], v[113:114]
	s_delay_alu instid0(VALU_DEP_4)
	v_fma_f64 v[67:68], v[67:68], v[101:102], v[105:106]
	s_wait_loadcnt_dscnt 0x700
	v_mul_f64_e32 v[99:100], v[6:7], v[63:64]
	v_mul_f64_e32 v[107:108], v[8:9], v[63:64]
	v_fma_f64 v[101:102], v[65:66], v[101:102], -v[103:104]
	ds_load_b128 v[63:66], v1 offset:656
	v_add_f64_e32 v[10:11], v[10:11], v[109:110]
	v_add_f64_e32 v[2:3], v[2:3], v[97:98]
	v_fma_f64 v[105:106], v[8:9], v[61:62], v[99:100]
	v_fma_f64 v[61:62], v[6:7], v[61:62], -v[107:108]
	ds_load_b128 v[6:9], v1 offset:672
	scratch_load_b128 v[97:100], off, off offset:80
	s_wait_loadcnt_dscnt 0x701
	v_mul_f64_e32 v[103:104], v[63:64], v[91:92]
	v_mul_f64_e32 v[91:92], v[65:66], v[91:92]
	v_add_f64_e32 v[10:11], v[10:11], v[67:68]
	v_add_f64_e32 v[2:3], v[2:3], v[101:102]
	s_wait_loadcnt_dscnt 0x600
	v_mul_f64_e32 v[67:68], v[6:7], v[71:72]
	v_mul_f64_e32 v[71:72], v[8:9], v[71:72]
	v_fma_f64 v[65:66], v[65:66], v[89:90], v[103:104]
	v_fma_f64 v[89:90], v[63:64], v[89:90], -v[91:92]
	v_add_f64_e32 v[10:11], v[10:11], v[105:106]
	v_add_f64_e32 v[2:3], v[2:3], v[61:62]
	ds_load_b128 v[61:64], v1 offset:688
	v_fma_f64 v[67:68], v[8:9], v[69:70], v[67:68]
	v_fma_f64 v[69:70], v[6:7], v[69:70], -v[71:72]
	ds_load_b128 v[6:9], v1 offset:704
	s_wait_loadcnt_dscnt 0x501
	v_mul_f64_e32 v[91:92], v[61:62], v[75:76]
	v_mul_f64_e32 v[75:76], v[63:64], v[75:76]
	s_wait_loadcnt_dscnt 0x400
	v_mul_f64_e32 v[71:72], v[8:9], v[79:80]
	v_add_f64_e32 v[10:11], v[10:11], v[65:66]
	v_add_f64_e32 v[2:3], v[2:3], v[89:90]
	v_mul_f64_e32 v[65:66], v[6:7], v[79:80]
	v_fma_f64 v[79:80], v[63:64], v[73:74], v[91:92]
	v_fma_f64 v[73:74], v[61:62], v[73:74], -v[75:76]
	ds_load_b128 v[61:64], v1 offset:720
	v_fma_f64 v[71:72], v[6:7], v[77:78], -v[71:72]
	v_add_f64_e32 v[10:11], v[10:11], v[67:68]
	v_add_f64_e32 v[2:3], v[2:3], v[69:70]
	v_fma_f64 v[65:66], v[8:9], v[77:78], v[65:66]
	ds_load_b128 v[6:9], v1 offset:736
	s_wait_loadcnt_dscnt 0x301
	v_mul_f64_e32 v[67:68], v[61:62], v[83:84]
	v_mul_f64_e32 v[69:70], v[63:64], v[83:84]
	s_wait_loadcnt_dscnt 0x200
	v_mul_f64_e32 v[75:76], v[8:9], v[87:88]
	v_add_f64_e32 v[10:11], v[10:11], v[79:80]
	v_add_f64_e32 v[2:3], v[2:3], v[73:74]
	v_mul_f64_e32 v[73:74], v[6:7], v[87:88]
	v_fma_f64 v[67:68], v[63:64], v[81:82], v[67:68]
	v_fma_f64 v[69:70], v[61:62], v[81:82], -v[69:70]
	ds_load_b128 v[61:64], v1 offset:752
	v_fma_f64 v[6:7], v[6:7], v[85:86], -v[75:76]
	v_add_f64_e32 v[10:11], v[10:11], v[65:66]
	v_add_f64_e32 v[2:3], v[2:3], v[71:72]
	s_wait_loadcnt_dscnt 0x100
	v_mul_f64_e32 v[65:66], v[61:62], v[95:96]
	v_mul_f64_e32 v[71:72], v[63:64], v[95:96]
	v_fma_f64 v[8:9], v[8:9], v[85:86], v[73:74]
	v_add_f64_e32 v[10:11], v[10:11], v[67:68]
	v_add_f64_e32 v[2:3], v[2:3], v[69:70]
	v_fma_f64 v[63:64], v[63:64], v[93:94], v[65:66]
	v_fma_f64 v[61:62], v[61:62], v[93:94], -v[71:72]
	s_delay_alu instid0(VALU_DEP_3) | instskip(SKIP_1) | instid1(VALU_DEP_2)
	v_add_f64_e32 v[2:3], v[2:3], v[6:7]
	v_add_f64_e32 v[6:7], v[10:11], v[8:9]
	;; [unrolled: 1-line block ×3, first 2 shown]
	s_delay_alu instid0(VALU_DEP_2) | instskip(SKIP_1) | instid1(VALU_DEP_2)
	v_add_f64_e32 v[8:9], v[6:7], v[63:64]
	s_wait_loadcnt 0x0
	v_add_f64_e64 v[6:7], v[97:98], -v[2:3]
	s_delay_alu instid0(VALU_DEP_2)
	v_add_f64_e64 v[8:9], v[99:100], -v[8:9]
	scratch_store_b128 off, v[6:9], off offset:80
	v_cmpx_lt_u32_e32 3, v0
	s_cbranch_execz .LBB23_151
; %bb.150:
	scratch_load_b128 v[6:9], off, s15
	v_dual_mov_b32 v2, v1 :: v_dual_mov_b32 v3, v1
	v_mov_b32_e32 v4, v1
	scratch_store_b128 off, v[1:4], off offset:64
	s_wait_loadcnt 0x0
	ds_store_b128 v5, v[6:9]
.LBB23_151:
	s_wait_alu 0xfffe
	s_or_b32 exec_lo, exec_lo, s0
	s_wait_storecnt_dscnt 0x0
	s_barrier_signal -1
	s_barrier_wait -1
	global_inv scope:SCOPE_SE
	s_clause 0x7
	scratch_load_b128 v[6:9], off, off offset:80
	scratch_load_b128 v[61:64], off, off offset:96
	;; [unrolled: 1-line block ×8, first 2 shown]
	ds_load_b128 v[89:92], v1 offset:448
	s_clause 0x1
	scratch_load_b128 v[93:96], off, off offset:208
	scratch_load_b128 v[97:100], off, off offset:224
	s_mov_b32 s0, exec_lo
	s_wait_loadcnt_dscnt 0x900
	v_mul_f64_e32 v[2:3], v[91:92], v[8:9]
	v_mul_f64_e32 v[101:102], v[89:90], v[8:9]
	ds_load_b128 v[8:11], v1 offset:464
	v_fma_f64 v[2:3], v[89:90], v[6:7], -v[2:3]
	v_fma_f64 v[6:7], v[91:92], v[6:7], v[101:102]
	ds_load_b128 v[89:92], v1 offset:480
	s_wait_loadcnt_dscnt 0x801
	v_mul_f64_e32 v[105:106], v[8:9], v[63:64]
	v_mul_f64_e32 v[63:64], v[10:11], v[63:64]
	scratch_load_b128 v[101:104], off, off offset:240
	s_wait_loadcnt_dscnt 0x800
	v_mul_f64_e32 v[107:108], v[89:90], v[67:68]
	v_mul_f64_e32 v[67:68], v[91:92], v[67:68]
	v_add_f64_e32 v[2:3], 0, v[2:3]
	v_add_f64_e32 v[109:110], 0, v[6:7]
	v_fma_f64 v[10:11], v[10:11], v[61:62], v[105:106]
	v_fma_f64 v[105:106], v[8:9], v[61:62], -v[63:64]
	ds_load_b128 v[6:9], v1 offset:496
	scratch_load_b128 v[61:64], off, off offset:256
	v_fma_f64 v[107:108], v[91:92], v[65:66], v[107:108]
	v_fma_f64 v[113:114], v[89:90], v[65:66], -v[67:68]
	ds_load_b128 v[65:68], v1 offset:512
	s_wait_loadcnt_dscnt 0x801
	v_mul_f64_e32 v[111:112], v[6:7], v[71:72]
	v_mul_f64_e32 v[71:72], v[8:9], v[71:72]
	scratch_load_b128 v[89:92], off, off offset:272
	v_add_f64_e32 v[10:11], v[109:110], v[10:11]
	v_add_f64_e32 v[2:3], v[2:3], v[105:106]
	s_wait_loadcnt_dscnt 0x800
	v_mul_f64_e32 v[105:106], v[65:66], v[75:76]
	v_mul_f64_e32 v[75:76], v[67:68], v[75:76]
	v_fma_f64 v[109:110], v[8:9], v[69:70], v[111:112]
	v_fma_f64 v[111:112], v[6:7], v[69:70], -v[71:72]
	ds_load_b128 v[6:9], v1 offset:528
	scratch_load_b128 v[69:72], off, off offset:288
	v_add_f64_e32 v[10:11], v[10:11], v[107:108]
	v_add_f64_e32 v[2:3], v[2:3], v[113:114]
	v_fma_f64 v[105:106], v[67:68], v[73:74], v[105:106]
	v_fma_f64 v[113:114], v[65:66], v[73:74], -v[75:76]
	ds_load_b128 v[65:68], v1 offset:544
	s_wait_loadcnt_dscnt 0x801
	v_mul_f64_e32 v[107:108], v[6:7], v[79:80]
	v_mul_f64_e32 v[79:80], v[8:9], v[79:80]
	scratch_load_b128 v[73:76], off, off offset:304
	v_add_f64_e32 v[10:11], v[10:11], v[109:110]
	v_add_f64_e32 v[2:3], v[2:3], v[111:112]
	s_wait_loadcnt_dscnt 0x800
	v_mul_f64_e32 v[109:110], v[65:66], v[83:84]
	v_mul_f64_e32 v[83:84], v[67:68], v[83:84]
	v_fma_f64 v[107:108], v[8:9], v[77:78], v[107:108]
	v_fma_f64 v[111:112], v[6:7], v[77:78], -v[79:80]
	ds_load_b128 v[6:9], v1 offset:560
	scratch_load_b128 v[77:80], off, off offset:320
	v_add_f64_e32 v[10:11], v[10:11], v[105:106]
	v_add_f64_e32 v[2:3], v[2:3], v[113:114]
	;; [unrolled: 18-line block ×3, first 2 shown]
	v_fma_f64 v[107:108], v[67:68], v[93:94], v[107:108]
	v_fma_f64 v[113:114], v[65:66], v[93:94], -v[95:96]
	ds_load_b128 v[65:68], v1 offset:608
	s_wait_loadcnt_dscnt 0x801
	v_mul_f64_e32 v[109:110], v[6:7], v[99:100]
	v_mul_f64_e32 v[99:100], v[8:9], v[99:100]
	scratch_load_b128 v[93:96], off, off offset:368
	v_add_f64_e32 v[10:11], v[10:11], v[105:106]
	v_add_f64_e32 v[2:3], v[2:3], v[111:112]
	v_fma_f64 v[109:110], v[8:9], v[97:98], v[109:110]
	v_fma_f64 v[111:112], v[6:7], v[97:98], -v[99:100]
	ds_load_b128 v[6:9], v1 offset:624
	scratch_load_b128 v[97:100], off, off offset:384
	s_wait_loadcnt_dscnt 0x901
	v_mul_f64_e32 v[105:106], v[65:66], v[103:104]
	v_mul_f64_e32 v[103:104], v[67:68], v[103:104]
	v_add_f64_e32 v[10:11], v[10:11], v[107:108]
	v_add_f64_e32 v[2:3], v[2:3], v[113:114]
	s_delay_alu instid0(VALU_DEP_4)
	v_fma_f64 v[67:68], v[67:68], v[101:102], v[105:106]
	s_wait_loadcnt_dscnt 0x800
	v_mul_f64_e32 v[107:108], v[6:7], v[63:64]
	v_mul_f64_e32 v[113:114], v[8:9], v[63:64]
	v_fma_f64 v[101:102], v[65:66], v[101:102], -v[103:104]
	ds_load_b128 v[63:66], v1 offset:640
	v_add_f64_e32 v[10:11], v[10:11], v[109:110]
	v_add_f64_e32 v[2:3], v[2:3], v[111:112]
	v_fma_f64 v[105:106], v[8:9], v[61:62], v[107:108]
	v_fma_f64 v[61:62], v[6:7], v[61:62], -v[113:114]
	ds_load_b128 v[6:9], v1 offset:656
	s_wait_loadcnt_dscnt 0x701
	v_mul_f64_e32 v[103:104], v[63:64], v[91:92]
	v_mul_f64_e32 v[91:92], v[65:66], v[91:92]
	v_add_f64_e32 v[10:11], v[10:11], v[67:68]
	v_add_f64_e32 v[2:3], v[2:3], v[101:102]
	s_delay_alu instid0(VALU_DEP_4) | instskip(NEXT) | instid1(VALU_DEP_4)
	v_fma_f64 v[103:104], v[65:66], v[89:90], v[103:104]
	v_fma_f64 v[89:90], v[63:64], v[89:90], -v[91:92]
	scratch_load_b128 v[65:68], off, off offset:64
	s_wait_loadcnt_dscnt 0x700
	v_mul_f64_e32 v[101:102], v[6:7], v[71:72]
	v_mul_f64_e32 v[71:72], v[8:9], v[71:72]
	v_add_f64_e32 v[10:11], v[10:11], v[105:106]
	v_add_f64_e32 v[2:3], v[2:3], v[61:62]
	ds_load_b128 v[61:64], v1 offset:672
	v_fma_f64 v[101:102], v[8:9], v[69:70], v[101:102]
	v_fma_f64 v[69:70], v[6:7], v[69:70], -v[71:72]
	ds_load_b128 v[6:9], v1 offset:688
	s_wait_loadcnt_dscnt 0x601
	v_mul_f64_e32 v[91:92], v[61:62], v[75:76]
	v_mul_f64_e32 v[75:76], v[63:64], v[75:76]
	v_add_f64_e32 v[10:11], v[10:11], v[103:104]
	v_add_f64_e32 v[2:3], v[2:3], v[89:90]
	s_wait_loadcnt_dscnt 0x500
	v_mul_f64_e32 v[71:72], v[6:7], v[79:80]
	v_mul_f64_e32 v[79:80], v[8:9], v[79:80]
	v_fma_f64 v[89:90], v[63:64], v[73:74], v[91:92]
	v_fma_f64 v[73:74], v[61:62], v[73:74], -v[75:76]
	ds_load_b128 v[61:64], v1 offset:704
	v_add_f64_e32 v[10:11], v[10:11], v[101:102]
	v_add_f64_e32 v[2:3], v[2:3], v[69:70]
	v_fma_f64 v[71:72], v[8:9], v[77:78], v[71:72]
	v_fma_f64 v[77:78], v[6:7], v[77:78], -v[79:80]
	ds_load_b128 v[6:9], v1 offset:720
	s_wait_loadcnt_dscnt 0x401
	v_mul_f64_e32 v[69:70], v[61:62], v[83:84]
	v_mul_f64_e32 v[75:76], v[63:64], v[83:84]
	s_wait_loadcnt_dscnt 0x300
	v_mul_f64_e32 v[79:80], v[8:9], v[87:88]
	v_add_f64_e32 v[10:11], v[10:11], v[89:90]
	v_add_f64_e32 v[2:3], v[2:3], v[73:74]
	v_mul_f64_e32 v[73:74], v[6:7], v[87:88]
	v_fma_f64 v[69:70], v[63:64], v[81:82], v[69:70]
	v_fma_f64 v[75:76], v[61:62], v[81:82], -v[75:76]
	ds_load_b128 v[61:64], v1 offset:736
	v_fma_f64 v[6:7], v[6:7], v[85:86], -v[79:80]
	v_add_f64_e32 v[10:11], v[10:11], v[71:72]
	v_add_f64_e32 v[2:3], v[2:3], v[77:78]
	s_wait_loadcnt_dscnt 0x200
	v_mul_f64_e32 v[71:72], v[61:62], v[95:96]
	v_mul_f64_e32 v[77:78], v[63:64], v[95:96]
	v_fma_f64 v[8:9], v[8:9], v[85:86], v[73:74]
	v_add_f64_e32 v[10:11], v[10:11], v[69:70]
	v_add_f64_e32 v[73:74], v[2:3], v[75:76]
	ds_load_b128 v[1:4], v1 offset:752
	v_fma_f64 v[63:64], v[63:64], v[93:94], v[71:72]
	v_fma_f64 v[61:62], v[61:62], v[93:94], -v[77:78]
	s_wait_loadcnt_dscnt 0x100
	v_mul_f64_e32 v[69:70], v[1:2], v[99:100]
	v_mul_f64_e32 v[75:76], v[3:4], v[99:100]
	v_add_f64_e32 v[8:9], v[10:11], v[8:9]
	v_add_f64_e32 v[6:7], v[73:74], v[6:7]
	s_delay_alu instid0(VALU_DEP_4) | instskip(NEXT) | instid1(VALU_DEP_4)
	v_fma_f64 v[3:4], v[3:4], v[97:98], v[69:70]
	v_fma_f64 v[1:2], v[1:2], v[97:98], -v[75:76]
	s_delay_alu instid0(VALU_DEP_4) | instskip(NEXT) | instid1(VALU_DEP_4)
	v_add_f64_e32 v[8:9], v[8:9], v[63:64]
	v_add_f64_e32 v[6:7], v[6:7], v[61:62]
	s_delay_alu instid0(VALU_DEP_2) | instskip(NEXT) | instid1(VALU_DEP_2)
	v_add_f64_e32 v[3:4], v[8:9], v[3:4]
	v_add_f64_e32 v[1:2], v[6:7], v[1:2]
	s_wait_loadcnt 0x0
	s_delay_alu instid0(VALU_DEP_2) | instskip(NEXT) | instid1(VALU_DEP_2)
	v_add_f64_e64 v[3:4], v[67:68], -v[3:4]
	v_add_f64_e64 v[1:2], v[65:66], -v[1:2]
	scratch_store_b128 off, v[1:4], off offset:64
	v_cmpx_lt_u32_e32 2, v0
	s_cbranch_execz .LBB23_153
; %bb.152:
	scratch_load_b128 v[1:4], off, s19
	v_mov_b32_e32 v6, 0
	s_delay_alu instid0(VALU_DEP_1)
	v_dual_mov_b32 v7, v6 :: v_dual_mov_b32 v8, v6
	v_mov_b32_e32 v9, v6
	scratch_store_b128 off, v[6:9], off offset:48
	s_wait_loadcnt 0x0
	ds_store_b128 v5, v[1:4]
.LBB23_153:
	s_wait_alu 0xfffe
	s_or_b32 exec_lo, exec_lo, s0
	s_wait_storecnt_dscnt 0x0
	s_barrier_signal -1
	s_barrier_wait -1
	global_inv scope:SCOPE_SE
	s_clause 0x7
	scratch_load_b128 v[6:9], off, off offset:64
	scratch_load_b128 v[61:64], off, off offset:80
	;; [unrolled: 1-line block ×8, first 2 shown]
	v_mov_b32_e32 v1, 0
	s_clause 0x1
	scratch_load_b128 v[93:96], off, off offset:192
	scratch_load_b128 v[97:100], off, off offset:208
	s_mov_b32 s0, exec_lo
	ds_load_b128 v[89:92], v1 offset:432
	s_wait_loadcnt_dscnt 0x900
	v_mul_f64_e32 v[2:3], v[91:92], v[8:9]
	v_mul_f64_e32 v[101:102], v[89:90], v[8:9]
	ds_load_b128 v[8:11], v1 offset:448
	v_fma_f64 v[2:3], v[89:90], v[6:7], -v[2:3]
	v_fma_f64 v[6:7], v[91:92], v[6:7], v[101:102]
	ds_load_b128 v[89:92], v1 offset:464
	s_wait_loadcnt_dscnt 0x801
	v_mul_f64_e32 v[105:106], v[8:9], v[63:64]
	v_mul_f64_e32 v[63:64], v[10:11], v[63:64]
	scratch_load_b128 v[101:104], off, off offset:224
	s_wait_loadcnt_dscnt 0x800
	v_mul_f64_e32 v[107:108], v[89:90], v[67:68]
	v_mul_f64_e32 v[67:68], v[91:92], v[67:68]
	v_add_f64_e32 v[2:3], 0, v[2:3]
	v_add_f64_e32 v[109:110], 0, v[6:7]
	v_fma_f64 v[10:11], v[10:11], v[61:62], v[105:106]
	v_fma_f64 v[105:106], v[8:9], v[61:62], -v[63:64]
	ds_load_b128 v[6:9], v1 offset:480
	scratch_load_b128 v[61:64], off, off offset:240
	v_fma_f64 v[107:108], v[91:92], v[65:66], v[107:108]
	v_fma_f64 v[113:114], v[89:90], v[65:66], -v[67:68]
	ds_load_b128 v[65:68], v1 offset:496
	s_wait_loadcnt_dscnt 0x801
	v_mul_f64_e32 v[111:112], v[6:7], v[71:72]
	v_mul_f64_e32 v[71:72], v[8:9], v[71:72]
	scratch_load_b128 v[89:92], off, off offset:256
	v_add_f64_e32 v[10:11], v[109:110], v[10:11]
	v_add_f64_e32 v[2:3], v[2:3], v[105:106]
	s_wait_loadcnt_dscnt 0x800
	v_mul_f64_e32 v[105:106], v[65:66], v[75:76]
	v_mul_f64_e32 v[75:76], v[67:68], v[75:76]
	v_fma_f64 v[109:110], v[8:9], v[69:70], v[111:112]
	v_fma_f64 v[111:112], v[6:7], v[69:70], -v[71:72]
	ds_load_b128 v[6:9], v1 offset:512
	scratch_load_b128 v[69:72], off, off offset:272
	v_add_f64_e32 v[10:11], v[10:11], v[107:108]
	v_add_f64_e32 v[2:3], v[2:3], v[113:114]
	v_fma_f64 v[105:106], v[67:68], v[73:74], v[105:106]
	v_fma_f64 v[113:114], v[65:66], v[73:74], -v[75:76]
	ds_load_b128 v[65:68], v1 offset:528
	s_wait_loadcnt_dscnt 0x801
	v_mul_f64_e32 v[107:108], v[6:7], v[79:80]
	v_mul_f64_e32 v[79:80], v[8:9], v[79:80]
	scratch_load_b128 v[73:76], off, off offset:288
	v_add_f64_e32 v[10:11], v[10:11], v[109:110]
	v_add_f64_e32 v[2:3], v[2:3], v[111:112]
	s_wait_loadcnt_dscnt 0x800
	v_mul_f64_e32 v[109:110], v[65:66], v[83:84]
	v_mul_f64_e32 v[83:84], v[67:68], v[83:84]
	v_fma_f64 v[107:108], v[8:9], v[77:78], v[107:108]
	v_fma_f64 v[111:112], v[6:7], v[77:78], -v[79:80]
	ds_load_b128 v[6:9], v1 offset:544
	scratch_load_b128 v[77:80], off, off offset:304
	v_add_f64_e32 v[10:11], v[10:11], v[105:106]
	v_add_f64_e32 v[2:3], v[2:3], v[113:114]
	;; [unrolled: 18-line block ×3, first 2 shown]
	v_fma_f64 v[107:108], v[67:68], v[93:94], v[107:108]
	v_fma_f64 v[113:114], v[65:66], v[93:94], -v[95:96]
	ds_load_b128 v[65:68], v1 offset:592
	s_wait_loadcnt_dscnt 0x801
	v_mul_f64_e32 v[109:110], v[6:7], v[99:100]
	v_mul_f64_e32 v[99:100], v[8:9], v[99:100]
	scratch_load_b128 v[93:96], off, off offset:352
	v_add_f64_e32 v[10:11], v[10:11], v[105:106]
	v_add_f64_e32 v[2:3], v[2:3], v[111:112]
	v_fma_f64 v[109:110], v[8:9], v[97:98], v[109:110]
	v_fma_f64 v[111:112], v[6:7], v[97:98], -v[99:100]
	ds_load_b128 v[6:9], v1 offset:608
	scratch_load_b128 v[97:100], off, off offset:368
	s_wait_loadcnt_dscnt 0x901
	v_mul_f64_e32 v[105:106], v[65:66], v[103:104]
	v_mul_f64_e32 v[103:104], v[67:68], v[103:104]
	v_add_f64_e32 v[10:11], v[10:11], v[107:108]
	v_add_f64_e32 v[2:3], v[2:3], v[113:114]
	s_delay_alu instid0(VALU_DEP_4)
	v_fma_f64 v[67:68], v[67:68], v[101:102], v[105:106]
	s_wait_loadcnt_dscnt 0x800
	v_mul_f64_e32 v[107:108], v[6:7], v[63:64]
	v_mul_f64_e32 v[113:114], v[8:9], v[63:64]
	v_fma_f64 v[105:106], v[65:66], v[101:102], -v[103:104]
	ds_load_b128 v[63:66], v1 offset:624
	scratch_load_b128 v[101:104], off, off offset:384
	v_add_f64_e32 v[10:11], v[10:11], v[109:110]
	v_add_f64_e32 v[2:3], v[2:3], v[111:112]
	v_fma_f64 v[107:108], v[8:9], v[61:62], v[107:108]
	v_fma_f64 v[61:62], v[6:7], v[61:62], -v[113:114]
	ds_load_b128 v[6:9], v1 offset:640
	s_wait_loadcnt_dscnt 0x801
	v_mul_f64_e32 v[109:110], v[63:64], v[91:92]
	v_mul_f64_e32 v[91:92], v[65:66], v[91:92]
	v_add_f64_e32 v[10:11], v[10:11], v[67:68]
	v_add_f64_e32 v[2:3], v[2:3], v[105:106]
	s_wait_loadcnt_dscnt 0x700
	v_mul_f64_e32 v[67:68], v[6:7], v[71:72]
	v_mul_f64_e32 v[71:72], v[8:9], v[71:72]
	v_fma_f64 v[65:66], v[65:66], v[89:90], v[109:110]
	v_fma_f64 v[89:90], v[63:64], v[89:90], -v[91:92]
	v_add_f64_e32 v[10:11], v[10:11], v[107:108]
	v_add_f64_e32 v[2:3], v[2:3], v[61:62]
	ds_load_b128 v[61:64], v1 offset:656
	v_fma_f64 v[105:106], v[8:9], v[69:70], v[67:68]
	v_fma_f64 v[69:70], v[6:7], v[69:70], -v[71:72]
	ds_load_b128 v[6:9], v1 offset:672
	s_wait_loadcnt_dscnt 0x500
	v_mul_f64_e32 v[71:72], v[6:7], v[79:80]
	v_mul_f64_e32 v[79:80], v[8:9], v[79:80]
	v_add_f64_e32 v[10:11], v[10:11], v[65:66]
	v_add_f64_e32 v[2:3], v[2:3], v[89:90]
	scratch_load_b128 v[65:68], off, off offset:48
	v_mul_f64_e32 v[91:92], v[61:62], v[75:76]
	v_mul_f64_e32 v[75:76], v[63:64], v[75:76]
	v_fma_f64 v[71:72], v[8:9], v[77:78], v[71:72]
	v_fma_f64 v[77:78], v[6:7], v[77:78], -v[79:80]
	ds_load_b128 v[6:9], v1 offset:704
	v_add_f64_e32 v[10:11], v[10:11], v[105:106]
	v_add_f64_e32 v[2:3], v[2:3], v[69:70]
	v_fma_f64 v[89:90], v[63:64], v[73:74], v[91:92]
	v_fma_f64 v[73:74], v[61:62], v[73:74], -v[75:76]
	ds_load_b128 v[61:64], v1 offset:688
	s_wait_loadcnt_dscnt 0x401
	v_mul_f64_e32 v[79:80], v[8:9], v[87:88]
	s_wait_dscnt 0x0
	v_mul_f64_e32 v[69:70], v[61:62], v[83:84]
	v_mul_f64_e32 v[75:76], v[63:64], v[83:84]
	v_add_f64_e32 v[10:11], v[10:11], v[89:90]
	v_add_f64_e32 v[2:3], v[2:3], v[73:74]
	v_mul_f64_e32 v[73:74], v[6:7], v[87:88]
	v_fma_f64 v[79:80], v[6:7], v[85:86], -v[79:80]
	v_fma_f64 v[69:70], v[63:64], v[81:82], v[69:70]
	v_fma_f64 v[75:76], v[61:62], v[81:82], -v[75:76]
	ds_load_b128 v[61:64], v1 offset:720
	v_add_f64_e32 v[10:11], v[10:11], v[71:72]
	v_add_f64_e32 v[2:3], v[2:3], v[77:78]
	v_fma_f64 v[73:74], v[8:9], v[85:86], v[73:74]
	ds_load_b128 v[6:9], v1 offset:736
	s_wait_loadcnt_dscnt 0x301
	v_mul_f64_e32 v[71:72], v[61:62], v[95:96]
	v_mul_f64_e32 v[77:78], v[63:64], v[95:96]
	v_add_f64_e32 v[10:11], v[10:11], v[69:70]
	v_add_f64_e32 v[2:3], v[2:3], v[75:76]
	s_wait_loadcnt_dscnt 0x200
	v_mul_f64_e32 v[69:70], v[6:7], v[99:100]
	v_mul_f64_e32 v[75:76], v[8:9], v[99:100]
	v_fma_f64 v[71:72], v[63:64], v[93:94], v[71:72]
	v_fma_f64 v[77:78], v[61:62], v[93:94], -v[77:78]
	ds_load_b128 v[61:64], v1 offset:752
	v_add_f64_e32 v[10:11], v[10:11], v[73:74]
	v_add_f64_e32 v[2:3], v[2:3], v[79:80]
	s_wait_loadcnt_dscnt 0x100
	v_mul_f64_e32 v[73:74], v[61:62], v[103:104]
	v_mul_f64_e32 v[79:80], v[63:64], v[103:104]
	v_fma_f64 v[8:9], v[8:9], v[97:98], v[69:70]
	v_fma_f64 v[6:7], v[6:7], v[97:98], -v[75:76]
	v_add_f64_e32 v[10:11], v[10:11], v[71:72]
	v_add_f64_e32 v[2:3], v[2:3], v[77:78]
	v_fma_f64 v[63:64], v[63:64], v[101:102], v[73:74]
	v_fma_f64 v[61:62], v[61:62], v[101:102], -v[79:80]
	s_delay_alu instid0(VALU_DEP_3) | instskip(SKIP_1) | instid1(VALU_DEP_2)
	v_add_f64_e32 v[2:3], v[2:3], v[6:7]
	v_add_f64_e32 v[6:7], v[10:11], v[8:9]
	;; [unrolled: 1-line block ×3, first 2 shown]
	s_delay_alu instid0(VALU_DEP_2) | instskip(SKIP_1) | instid1(VALU_DEP_2)
	v_add_f64_e32 v[8:9], v[6:7], v[63:64]
	s_wait_loadcnt 0x0
	v_add_f64_e64 v[6:7], v[65:66], -v[2:3]
	s_delay_alu instid0(VALU_DEP_2)
	v_add_f64_e64 v[8:9], v[67:68], -v[8:9]
	scratch_store_b128 off, v[6:9], off offset:48
	v_cmpx_lt_u32_e32 1, v0
	s_cbranch_execz .LBB23_155
; %bb.154:
	scratch_load_b128 v[6:9], off, s20
	v_dual_mov_b32 v2, v1 :: v_dual_mov_b32 v3, v1
	v_mov_b32_e32 v4, v1
	scratch_store_b128 off, v[1:4], off offset:32
	s_wait_loadcnt 0x0
	ds_store_b128 v5, v[6:9]
.LBB23_155:
	s_wait_alu 0xfffe
	s_or_b32 exec_lo, exec_lo, s0
	s_wait_storecnt_dscnt 0x0
	s_barrier_signal -1
	s_barrier_wait -1
	global_inv scope:SCOPE_SE
	s_clause 0x7
	scratch_load_b128 v[6:9], off, off offset:48
	scratch_load_b128 v[61:64], off, off offset:64
	;; [unrolled: 1-line block ×8, first 2 shown]
	ds_load_b128 v[89:92], v1 offset:416
	s_clause 0x1
	scratch_load_b128 v[93:96], off, off offset:176
	scratch_load_b128 v[97:100], off, off offset:192
	s_mov_b32 s0, exec_lo
	s_wait_loadcnt_dscnt 0x900
	v_mul_f64_e32 v[2:3], v[91:92], v[8:9]
	v_mul_f64_e32 v[101:102], v[89:90], v[8:9]
	ds_load_b128 v[8:11], v1 offset:432
	v_fma_f64 v[2:3], v[89:90], v[6:7], -v[2:3]
	v_fma_f64 v[6:7], v[91:92], v[6:7], v[101:102]
	ds_load_b128 v[89:92], v1 offset:448
	s_wait_loadcnt_dscnt 0x801
	v_mul_f64_e32 v[105:106], v[8:9], v[63:64]
	v_mul_f64_e32 v[63:64], v[10:11], v[63:64]
	scratch_load_b128 v[101:104], off, off offset:208
	s_wait_loadcnt_dscnt 0x800
	v_mul_f64_e32 v[107:108], v[89:90], v[67:68]
	v_mul_f64_e32 v[67:68], v[91:92], v[67:68]
	v_add_f64_e32 v[2:3], 0, v[2:3]
	v_add_f64_e32 v[109:110], 0, v[6:7]
	v_fma_f64 v[10:11], v[10:11], v[61:62], v[105:106]
	v_fma_f64 v[105:106], v[8:9], v[61:62], -v[63:64]
	ds_load_b128 v[6:9], v1 offset:464
	scratch_load_b128 v[61:64], off, off offset:224
	v_fma_f64 v[107:108], v[91:92], v[65:66], v[107:108]
	v_fma_f64 v[113:114], v[89:90], v[65:66], -v[67:68]
	ds_load_b128 v[65:68], v1 offset:480
	s_wait_loadcnt_dscnt 0x801
	v_mul_f64_e32 v[111:112], v[6:7], v[71:72]
	v_mul_f64_e32 v[71:72], v[8:9], v[71:72]
	scratch_load_b128 v[89:92], off, off offset:240
	v_add_f64_e32 v[10:11], v[109:110], v[10:11]
	v_add_f64_e32 v[2:3], v[2:3], v[105:106]
	s_wait_loadcnt_dscnt 0x800
	v_mul_f64_e32 v[105:106], v[65:66], v[75:76]
	v_mul_f64_e32 v[75:76], v[67:68], v[75:76]
	v_fma_f64 v[109:110], v[8:9], v[69:70], v[111:112]
	v_fma_f64 v[111:112], v[6:7], v[69:70], -v[71:72]
	ds_load_b128 v[6:9], v1 offset:496
	scratch_load_b128 v[69:72], off, off offset:256
	v_add_f64_e32 v[10:11], v[10:11], v[107:108]
	v_add_f64_e32 v[2:3], v[2:3], v[113:114]
	v_fma_f64 v[105:106], v[67:68], v[73:74], v[105:106]
	v_fma_f64 v[113:114], v[65:66], v[73:74], -v[75:76]
	ds_load_b128 v[65:68], v1 offset:512
	s_wait_loadcnt_dscnt 0x801
	v_mul_f64_e32 v[107:108], v[6:7], v[79:80]
	v_mul_f64_e32 v[79:80], v[8:9], v[79:80]
	scratch_load_b128 v[73:76], off, off offset:272
	v_add_f64_e32 v[10:11], v[10:11], v[109:110]
	v_add_f64_e32 v[2:3], v[2:3], v[111:112]
	s_wait_loadcnt_dscnt 0x800
	v_mul_f64_e32 v[109:110], v[65:66], v[83:84]
	v_mul_f64_e32 v[83:84], v[67:68], v[83:84]
	v_fma_f64 v[107:108], v[8:9], v[77:78], v[107:108]
	v_fma_f64 v[111:112], v[6:7], v[77:78], -v[79:80]
	ds_load_b128 v[6:9], v1 offset:528
	scratch_load_b128 v[77:80], off, off offset:288
	v_add_f64_e32 v[10:11], v[10:11], v[105:106]
	v_add_f64_e32 v[2:3], v[2:3], v[113:114]
	;; [unrolled: 18-line block ×3, first 2 shown]
	v_fma_f64 v[107:108], v[67:68], v[93:94], v[107:108]
	v_fma_f64 v[113:114], v[65:66], v[93:94], -v[95:96]
	ds_load_b128 v[65:68], v1 offset:576
	s_wait_loadcnt_dscnt 0x801
	v_mul_f64_e32 v[109:110], v[6:7], v[99:100]
	v_mul_f64_e32 v[99:100], v[8:9], v[99:100]
	scratch_load_b128 v[93:96], off, off offset:336
	v_add_f64_e32 v[10:11], v[10:11], v[105:106]
	v_add_f64_e32 v[2:3], v[2:3], v[111:112]
	v_fma_f64 v[109:110], v[8:9], v[97:98], v[109:110]
	v_fma_f64 v[111:112], v[6:7], v[97:98], -v[99:100]
	ds_load_b128 v[6:9], v1 offset:592
	scratch_load_b128 v[97:100], off, off offset:352
	s_wait_loadcnt_dscnt 0x901
	v_mul_f64_e32 v[105:106], v[65:66], v[103:104]
	v_mul_f64_e32 v[103:104], v[67:68], v[103:104]
	v_add_f64_e32 v[10:11], v[10:11], v[107:108]
	v_add_f64_e32 v[2:3], v[2:3], v[113:114]
	s_delay_alu instid0(VALU_DEP_4)
	v_fma_f64 v[67:68], v[67:68], v[101:102], v[105:106]
	s_wait_loadcnt_dscnt 0x800
	v_mul_f64_e32 v[107:108], v[6:7], v[63:64]
	v_mul_f64_e32 v[113:114], v[8:9], v[63:64]
	v_fma_f64 v[105:106], v[65:66], v[101:102], -v[103:104]
	ds_load_b128 v[63:66], v1 offset:608
	scratch_load_b128 v[101:104], off, off offset:368
	v_add_f64_e32 v[10:11], v[10:11], v[109:110]
	v_add_f64_e32 v[2:3], v[2:3], v[111:112]
	v_fma_f64 v[111:112], v[8:9], v[61:62], v[107:108]
	v_fma_f64 v[61:62], v[6:7], v[61:62], -v[113:114]
	ds_load_b128 v[6:9], v1 offset:624
	s_wait_loadcnt_dscnt 0x801
	v_mul_f64_e32 v[109:110], v[63:64], v[91:92]
	v_mul_f64_e32 v[91:92], v[65:66], v[91:92]
	v_add_f64_e32 v[10:11], v[10:11], v[67:68]
	v_add_f64_e32 v[2:3], v[2:3], v[105:106]
	scratch_load_b128 v[105:108], off, off offset:384
	s_wait_loadcnt_dscnt 0x800
	v_mul_f64_e32 v[67:68], v[6:7], v[71:72]
	v_mul_f64_e32 v[71:72], v[8:9], v[71:72]
	v_fma_f64 v[65:66], v[65:66], v[89:90], v[109:110]
	v_fma_f64 v[89:90], v[63:64], v[89:90], -v[91:92]
	v_add_f64_e32 v[10:11], v[10:11], v[111:112]
	v_add_f64_e32 v[2:3], v[2:3], v[61:62]
	ds_load_b128 v[61:64], v1 offset:640
	v_fma_f64 v[67:68], v[8:9], v[69:70], v[67:68]
	v_fma_f64 v[69:70], v[6:7], v[69:70], -v[71:72]
	ds_load_b128 v[6:9], v1 offset:656
	s_wait_loadcnt_dscnt 0x600
	v_mul_f64_e32 v[71:72], v[6:7], v[79:80]
	v_mul_f64_e32 v[79:80], v[8:9], v[79:80]
	v_add_f64_e32 v[10:11], v[10:11], v[65:66]
	v_add_f64_e32 v[2:3], v[2:3], v[89:90]
	s_delay_alu instid0(VALU_DEP_4) | instskip(NEXT) | instid1(VALU_DEP_4)
	v_fma_f64 v[71:72], v[8:9], v[77:78], v[71:72]
	v_fma_f64 v[77:78], v[6:7], v[77:78], -v[79:80]
	ds_load_b128 v[6:9], v1 offset:688
	v_add_f64_e32 v[10:11], v[10:11], v[67:68]
	scratch_load_b128 v[65:68], off, off offset:32
	v_mul_f64_e32 v[91:92], v[61:62], v[75:76]
	v_mul_f64_e32 v[75:76], v[63:64], v[75:76]
	v_add_f64_e32 v[2:3], v[2:3], v[69:70]
	s_wait_loadcnt_dscnt 0x500
	v_mul_f64_e32 v[79:80], v[8:9], v[87:88]
	s_delay_alu instid0(VALU_DEP_4) | instskip(NEXT) | instid1(VALU_DEP_4)
	v_fma_f64 v[89:90], v[63:64], v[73:74], v[91:92]
	v_fma_f64 v[73:74], v[61:62], v[73:74], -v[75:76]
	ds_load_b128 v[61:64], v1 offset:672
	s_wait_dscnt 0x0
	v_mul_f64_e32 v[69:70], v[61:62], v[83:84]
	v_mul_f64_e32 v[75:76], v[63:64], v[83:84]
	v_fma_f64 v[79:80], v[6:7], v[85:86], -v[79:80]
	v_add_f64_e32 v[10:11], v[10:11], v[89:90]
	v_add_f64_e32 v[2:3], v[2:3], v[73:74]
	v_mul_f64_e32 v[73:74], v[6:7], v[87:88]
	v_fma_f64 v[69:70], v[63:64], v[81:82], v[69:70]
	v_fma_f64 v[75:76], v[61:62], v[81:82], -v[75:76]
	ds_load_b128 v[61:64], v1 offset:704
	v_add_f64_e32 v[10:11], v[10:11], v[71:72]
	v_add_f64_e32 v[2:3], v[2:3], v[77:78]
	v_fma_f64 v[73:74], v[8:9], v[85:86], v[73:74]
	ds_load_b128 v[6:9], v1 offset:720
	s_wait_loadcnt_dscnt 0x401
	v_mul_f64_e32 v[71:72], v[61:62], v[95:96]
	v_mul_f64_e32 v[77:78], v[63:64], v[95:96]
	v_add_f64_e32 v[10:11], v[10:11], v[69:70]
	v_add_f64_e32 v[2:3], v[2:3], v[75:76]
	s_wait_loadcnt_dscnt 0x300
	v_mul_f64_e32 v[69:70], v[6:7], v[99:100]
	v_mul_f64_e32 v[75:76], v[8:9], v[99:100]
	v_fma_f64 v[71:72], v[63:64], v[93:94], v[71:72]
	v_fma_f64 v[77:78], v[61:62], v[93:94], -v[77:78]
	ds_load_b128 v[61:64], v1 offset:736
	v_add_f64_e32 v[10:11], v[10:11], v[73:74]
	v_add_f64_e32 v[2:3], v[2:3], v[79:80]
	s_wait_loadcnt_dscnt 0x200
	v_mul_f64_e32 v[73:74], v[61:62], v[103:104]
	v_mul_f64_e32 v[79:80], v[63:64], v[103:104]
	v_fma_f64 v[8:9], v[8:9], v[97:98], v[69:70]
	v_fma_f64 v[6:7], v[6:7], v[97:98], -v[75:76]
	v_add_f64_e32 v[10:11], v[10:11], v[71:72]
	v_add_f64_e32 v[69:70], v[2:3], v[77:78]
	ds_load_b128 v[1:4], v1 offset:752
	v_fma_f64 v[63:64], v[63:64], v[101:102], v[73:74]
	v_fma_f64 v[61:62], v[61:62], v[101:102], -v[79:80]
	s_wait_loadcnt_dscnt 0x100
	v_mul_f64_e32 v[71:72], v[1:2], v[107:108]
	v_mul_f64_e32 v[75:76], v[3:4], v[107:108]
	v_add_f64_e32 v[8:9], v[10:11], v[8:9]
	v_add_f64_e32 v[6:7], v[69:70], v[6:7]
	s_delay_alu instid0(VALU_DEP_4) | instskip(NEXT) | instid1(VALU_DEP_4)
	v_fma_f64 v[3:4], v[3:4], v[105:106], v[71:72]
	v_fma_f64 v[1:2], v[1:2], v[105:106], -v[75:76]
	s_delay_alu instid0(VALU_DEP_4) | instskip(NEXT) | instid1(VALU_DEP_4)
	v_add_f64_e32 v[8:9], v[8:9], v[63:64]
	v_add_f64_e32 v[6:7], v[6:7], v[61:62]
	s_delay_alu instid0(VALU_DEP_2) | instskip(NEXT) | instid1(VALU_DEP_2)
	v_add_f64_e32 v[3:4], v[8:9], v[3:4]
	v_add_f64_e32 v[1:2], v[6:7], v[1:2]
	s_wait_loadcnt 0x0
	s_delay_alu instid0(VALU_DEP_2) | instskip(NEXT) | instid1(VALU_DEP_2)
	v_add_f64_e64 v[3:4], v[67:68], -v[3:4]
	v_add_f64_e64 v[1:2], v[65:66], -v[1:2]
	scratch_store_b128 off, v[1:4], off offset:32
	v_cmpx_ne_u32_e32 0, v0
	s_cbranch_execz .LBB23_157
; %bb.156:
	scratch_load_b128 v[0:3], off, off offset:16
	v_mov_b32_e32 v6, 0
	s_delay_alu instid0(VALU_DEP_1)
	v_dual_mov_b32 v7, v6 :: v_dual_mov_b32 v8, v6
	v_mov_b32_e32 v9, v6
	scratch_store_b128 off, v[6:9], off offset:16
	s_wait_loadcnt 0x0
	ds_store_b128 v5, v[0:3]
.LBB23_157:
	s_wait_alu 0xfffe
	s_or_b32 exec_lo, exec_lo, s0
	s_wait_storecnt_dscnt 0x0
	s_barrier_signal -1
	s_barrier_wait -1
	global_inv scope:SCOPE_SE
	s_clause 0x7
	scratch_load_b128 v[1:4], off, off offset:32
	scratch_load_b128 v[5:8], off, off offset:48
	;; [unrolled: 1-line block ×8, first 2 shown]
	v_mov_b32_e32 v0, 0
	s_and_b32 vcc_lo, exec_lo, s18
	ds_load_b128 v[81:84], v0 offset:400
	s_clause 0x1
	scratch_load_b128 v[85:88], off, off offset:160
	scratch_load_b128 v[89:92], off, off offset:16
	ds_load_b128 v[93:96], v0 offset:416
	scratch_load_b128 v[97:100], off, off offset:176
	s_wait_loadcnt_dscnt 0xa01
	v_mul_f64_e32 v[101:102], v[83:84], v[3:4]
	v_mul_f64_e32 v[3:4], v[81:82], v[3:4]
	s_delay_alu instid0(VALU_DEP_2) | instskip(NEXT) | instid1(VALU_DEP_2)
	v_fma_f64 v[107:108], v[81:82], v[1:2], -v[101:102]
	v_fma_f64 v[109:110], v[83:84], v[1:2], v[3:4]
	ds_load_b128 v[1:4], v0 offset:432
	s_wait_loadcnt_dscnt 0x901
	v_mul_f64_e32 v[105:106], v[93:94], v[7:8]
	v_mul_f64_e32 v[7:8], v[95:96], v[7:8]
	scratch_load_b128 v[81:84], off, off offset:192
	ds_load_b128 v[101:104], v0 offset:448
	s_wait_loadcnt_dscnt 0x901
	v_mul_f64_e32 v[111:112], v[1:2], v[11:12]
	v_mul_f64_e32 v[11:12], v[3:4], v[11:12]
	v_fma_f64 v[95:96], v[95:96], v[5:6], v[105:106]
	v_fma_f64 v[93:94], v[93:94], v[5:6], -v[7:8]
	v_add_f64_e32 v[105:106], 0, v[107:108]
	v_add_f64_e32 v[107:108], 0, v[109:110]
	scratch_load_b128 v[5:8], off, off offset:208
	v_fma_f64 v[111:112], v[3:4], v[9:10], v[111:112]
	v_fma_f64 v[113:114], v[1:2], v[9:10], -v[11:12]
	ds_load_b128 v[1:4], v0 offset:464
	s_wait_loadcnt_dscnt 0x901
	v_mul_f64_e32 v[109:110], v[101:102], v[63:64]
	v_mul_f64_e32 v[63:64], v[103:104], v[63:64]
	scratch_load_b128 v[9:12], off, off offset:224
	v_add_f64_e32 v[105:106], v[105:106], v[93:94]
	v_add_f64_e32 v[107:108], v[107:108], v[95:96]
	s_wait_loadcnt_dscnt 0x900
	v_mul_f64_e32 v[115:116], v[1:2], v[67:68]
	v_mul_f64_e32 v[67:68], v[3:4], v[67:68]
	ds_load_b128 v[93:96], v0 offset:480
	v_fma_f64 v[103:104], v[103:104], v[61:62], v[109:110]
	v_fma_f64 v[101:102], v[101:102], v[61:62], -v[63:64]
	scratch_load_b128 v[61:64], off, off offset:240
	v_add_f64_e32 v[105:106], v[105:106], v[113:114]
	v_add_f64_e32 v[107:108], v[107:108], v[111:112]
	v_fma_f64 v[111:112], v[3:4], v[65:66], v[115:116]
	v_fma_f64 v[113:114], v[1:2], v[65:66], -v[67:68]
	ds_load_b128 v[1:4], v0 offset:496
	s_wait_loadcnt_dscnt 0x901
	v_mul_f64_e32 v[109:110], v[93:94], v[71:72]
	v_mul_f64_e32 v[71:72], v[95:96], v[71:72]
	scratch_load_b128 v[65:68], off, off offset:256
	s_wait_loadcnt_dscnt 0x900
	v_mul_f64_e32 v[115:116], v[1:2], v[75:76]
	v_mul_f64_e32 v[75:76], v[3:4], v[75:76]
	v_add_f64_e32 v[105:106], v[105:106], v[101:102]
	v_add_f64_e32 v[107:108], v[107:108], v[103:104]
	ds_load_b128 v[101:104], v0 offset:512
	v_fma_f64 v[95:96], v[95:96], v[69:70], v[109:110]
	v_fma_f64 v[93:94], v[93:94], v[69:70], -v[71:72]
	scratch_load_b128 v[69:72], off, off offset:272
	v_add_f64_e32 v[105:106], v[105:106], v[113:114]
	v_add_f64_e32 v[107:108], v[107:108], v[111:112]
	v_fma_f64 v[111:112], v[3:4], v[73:74], v[115:116]
	v_fma_f64 v[113:114], v[1:2], v[73:74], -v[75:76]
	ds_load_b128 v[1:4], v0 offset:528
	s_wait_loadcnt_dscnt 0x901
	v_mul_f64_e32 v[109:110], v[101:102], v[79:80]
	v_mul_f64_e32 v[79:80], v[103:104], v[79:80]
	scratch_load_b128 v[73:76], off, off offset:288
	s_wait_loadcnt_dscnt 0x900
	v_mul_f64_e32 v[115:116], v[1:2], v[87:88]
	v_mul_f64_e32 v[87:88], v[3:4], v[87:88]
	v_add_f64_e32 v[105:106], v[105:106], v[93:94]
	v_add_f64_e32 v[107:108], v[107:108], v[95:96]
	ds_load_b128 v[93:96], v0 offset:544
	v_fma_f64 v[103:104], v[103:104], v[77:78], v[109:110]
	v_fma_f64 v[101:102], v[101:102], v[77:78], -v[79:80]
	scratch_load_b128 v[77:80], off, off offset:304
	v_add_f64_e32 v[105:106], v[105:106], v[113:114]
	v_add_f64_e32 v[107:108], v[107:108], v[111:112]
	v_fma_f64 v[113:114], v[3:4], v[85:86], v[115:116]
	v_fma_f64 v[115:116], v[1:2], v[85:86], -v[87:88]
	ds_load_b128 v[1:4], v0 offset:560
	s_wait_loadcnt_dscnt 0x801
	v_mul_f64_e32 v[109:110], v[93:94], v[99:100]
	v_mul_f64_e32 v[111:112], v[95:96], v[99:100]
	scratch_load_b128 v[85:88], off, off offset:320
	v_add_f64_e32 v[105:106], v[105:106], v[101:102]
	v_add_f64_e32 v[103:104], v[107:108], v[103:104]
	ds_load_b128 v[99:102], v0 offset:576
	v_fma_f64 v[109:110], v[95:96], v[97:98], v[109:110]
	v_fma_f64 v[97:98], v[93:94], v[97:98], -v[111:112]
	scratch_load_b128 v[93:96], off, off offset:336
	s_wait_loadcnt_dscnt 0x901
	v_mul_f64_e32 v[107:108], v[1:2], v[83:84]
	v_mul_f64_e32 v[83:84], v[3:4], v[83:84]
	v_add_f64_e32 v[105:106], v[105:106], v[115:116]
	v_add_f64_e32 v[103:104], v[103:104], v[113:114]
	s_delay_alu instid0(VALU_DEP_4) | instskip(NEXT) | instid1(VALU_DEP_4)
	v_fma_f64 v[107:108], v[3:4], v[81:82], v[107:108]
	v_fma_f64 v[113:114], v[1:2], v[81:82], -v[83:84]
	ds_load_b128 v[1:4], v0 offset:592
	s_wait_loadcnt_dscnt 0x801
	v_mul_f64_e32 v[111:112], v[99:100], v[7:8]
	v_mul_f64_e32 v[7:8], v[101:102], v[7:8]
	scratch_load_b128 v[81:84], off, off offset:352
	s_wait_loadcnt_dscnt 0x800
	v_mul_f64_e32 v[115:116], v[1:2], v[11:12]
	v_add_f64_e32 v[97:98], v[105:106], v[97:98]
	v_add_f64_e32 v[109:110], v[103:104], v[109:110]
	v_mul_f64_e32 v[11:12], v[3:4], v[11:12]
	ds_load_b128 v[103:106], v0 offset:608
	v_fma_f64 v[101:102], v[101:102], v[5:6], v[111:112]
	v_fma_f64 v[99:100], v[99:100], v[5:6], -v[7:8]
	scratch_load_b128 v[5:8], off, off offset:368
	v_fma_f64 v[111:112], v[3:4], v[9:10], v[115:116]
	v_add_f64_e32 v[97:98], v[97:98], v[113:114]
	v_add_f64_e32 v[107:108], v[109:110], v[107:108]
	v_fma_f64 v[113:114], v[1:2], v[9:10], -v[11:12]
	ds_load_b128 v[1:4], v0 offset:624
	s_wait_loadcnt_dscnt 0x801
	v_mul_f64_e32 v[109:110], v[103:104], v[63:64]
	v_mul_f64_e32 v[63:64], v[105:106], v[63:64]
	scratch_load_b128 v[9:12], off, off offset:384
	v_add_f64_e32 v[115:116], v[97:98], v[99:100]
	v_add_f64_e32 v[101:102], v[107:108], v[101:102]
	s_wait_loadcnt_dscnt 0x800
	v_mul_f64_e32 v[107:108], v[1:2], v[67:68]
	v_mul_f64_e32 v[67:68], v[3:4], v[67:68]
	v_fma_f64 v[105:106], v[105:106], v[61:62], v[109:110]
	v_fma_f64 v[61:62], v[103:104], v[61:62], -v[63:64]
	ds_load_b128 v[97:100], v0 offset:640
	s_wait_loadcnt_dscnt 0x700
	v_mul_f64_e32 v[103:104], v[97:98], v[71:72]
	v_mul_f64_e32 v[71:72], v[99:100], v[71:72]
	v_add_f64_e32 v[63:64], v[115:116], v[113:114]
	v_add_f64_e32 v[101:102], v[101:102], v[111:112]
	v_fma_f64 v[107:108], v[3:4], v[65:66], v[107:108]
	v_fma_f64 v[65:66], v[1:2], v[65:66], -v[67:68]
	v_fma_f64 v[99:100], v[99:100], v[69:70], v[103:104]
	v_fma_f64 v[69:70], v[97:98], v[69:70], -v[71:72]
	v_add_f64_e32 v[67:68], v[63:64], v[61:62]
	v_add_f64_e32 v[101:102], v[101:102], v[105:106]
	ds_load_b128 v[1:4], v0 offset:656
	ds_load_b128 v[61:64], v0 offset:672
	s_wait_loadcnt_dscnt 0x601
	v_mul_f64_e32 v[105:106], v[1:2], v[75:76]
	v_mul_f64_e32 v[75:76], v[3:4], v[75:76]
	s_wait_loadcnt_dscnt 0x500
	v_mul_f64_e32 v[71:72], v[61:62], v[79:80]
	v_mul_f64_e32 v[79:80], v[63:64], v[79:80]
	v_add_f64_e32 v[65:66], v[67:68], v[65:66]
	v_add_f64_e32 v[67:68], v[101:102], v[107:108]
	v_fma_f64 v[97:98], v[3:4], v[73:74], v[105:106]
	v_fma_f64 v[73:74], v[1:2], v[73:74], -v[75:76]
	v_fma_f64 v[63:64], v[63:64], v[77:78], v[71:72]
	v_fma_f64 v[61:62], v[61:62], v[77:78], -v[79:80]
	v_add_f64_e32 v[69:70], v[65:66], v[69:70]
	v_add_f64_e32 v[75:76], v[67:68], v[99:100]
	ds_load_b128 v[1:4], v0 offset:688
	ds_load_b128 v[65:68], v0 offset:704
	s_wait_loadcnt_dscnt 0x401
	v_mul_f64_e32 v[99:100], v[1:2], v[87:88]
	v_mul_f64_e32 v[87:88], v[3:4], v[87:88]
	v_add_f64_e32 v[69:70], v[69:70], v[73:74]
	v_add_f64_e32 v[71:72], v[75:76], v[97:98]
	s_wait_loadcnt_dscnt 0x300
	v_mul_f64_e32 v[73:74], v[65:66], v[95:96]
	v_mul_f64_e32 v[75:76], v[67:68], v[95:96]
	v_fma_f64 v[77:78], v[3:4], v[85:86], v[99:100]
	v_fma_f64 v[79:80], v[1:2], v[85:86], -v[87:88]
	v_add_f64_e32 v[69:70], v[69:70], v[61:62]
	v_add_f64_e32 v[71:72], v[71:72], v[63:64]
	ds_load_b128 v[1:4], v0 offset:720
	ds_load_b128 v[61:64], v0 offset:736
	v_fma_f64 v[67:68], v[67:68], v[93:94], v[73:74]
	v_fma_f64 v[65:66], v[65:66], v[93:94], -v[75:76]
	s_wait_loadcnt_dscnt 0x201
	v_mul_f64_e32 v[85:86], v[1:2], v[83:84]
	v_mul_f64_e32 v[83:84], v[3:4], v[83:84]
	s_wait_loadcnt_dscnt 0x100
	v_mul_f64_e32 v[73:74], v[61:62], v[7:8]
	v_mul_f64_e32 v[7:8], v[63:64], v[7:8]
	v_add_f64_e32 v[69:70], v[69:70], v[79:80]
	v_add_f64_e32 v[71:72], v[71:72], v[77:78]
	v_fma_f64 v[75:76], v[3:4], v[81:82], v[85:86]
	v_fma_f64 v[77:78], v[1:2], v[81:82], -v[83:84]
	ds_load_b128 v[1:4], v0 offset:752
	v_fma_f64 v[63:64], v[63:64], v[5:6], v[73:74]
	v_fma_f64 v[5:6], v[61:62], v[5:6], -v[7:8]
	v_add_f64_e32 v[65:66], v[69:70], v[65:66]
	v_add_f64_e32 v[67:68], v[71:72], v[67:68]
	s_wait_loadcnt_dscnt 0x0
	v_mul_f64_e32 v[69:70], v[1:2], v[11:12]
	v_mul_f64_e32 v[11:12], v[3:4], v[11:12]
	s_delay_alu instid0(VALU_DEP_4) | instskip(NEXT) | instid1(VALU_DEP_4)
	v_add_f64_e32 v[7:8], v[65:66], v[77:78]
	v_add_f64_e32 v[61:62], v[67:68], v[75:76]
	s_delay_alu instid0(VALU_DEP_4) | instskip(NEXT) | instid1(VALU_DEP_4)
	v_fma_f64 v[3:4], v[3:4], v[9:10], v[69:70]
	v_fma_f64 v[1:2], v[1:2], v[9:10], -v[11:12]
	s_delay_alu instid0(VALU_DEP_4) | instskip(NEXT) | instid1(VALU_DEP_4)
	v_add_f64_e32 v[5:6], v[7:8], v[5:6]
	v_add_f64_e32 v[7:8], v[61:62], v[63:64]
	s_delay_alu instid0(VALU_DEP_2) | instskip(NEXT) | instid1(VALU_DEP_2)
	v_add_f64_e32 v[1:2], v[5:6], v[1:2]
	v_add_f64_e32 v[3:4], v[7:8], v[3:4]
	s_delay_alu instid0(VALU_DEP_2) | instskip(NEXT) | instid1(VALU_DEP_2)
	v_add_f64_e64 v[1:2], v[89:90], -v[1:2]
	v_add_f64_e64 v[3:4], v[91:92], -v[3:4]
	scratch_store_b128 off, v[1:4], off offset:16
	s_wait_alu 0xfffe
	s_cbranch_vccz .LBB23_204
; %bb.158:
	global_load_b32 v0, v0, s[2:3] offset:88
	s_wait_loadcnt 0x0
	v_cmp_ne_u32_e32 vcc_lo, 23, v0
	s_cbranch_vccz .LBB23_160
; %bb.159:
	v_lshlrev_b32_e32 v0, 4, v0
	s_delay_alu instid0(VALU_DEP_1)
	v_add_nc_u32_e32 v8, 16, v0
	s_clause 0x1
	scratch_load_b128 v[0:3], v8, off offset:-16
	scratch_load_b128 v[4:7], off, s13
	s_wait_loadcnt 0x1
	scratch_store_b128 off, v[0:3], s13
	s_wait_loadcnt 0x0
	scratch_store_b128 v8, v[4:7], off offset:-16
.LBB23_160:
	v_mov_b32_e32 v0, 0
	global_load_b32 v1, v0, s[2:3] offset:84
	s_wait_loadcnt 0x0
	v_cmp_eq_u32_e32 vcc_lo, 22, v1
	s_cbranch_vccnz .LBB23_162
; %bb.161:
	v_lshlrev_b32_e32 v1, 4, v1
	s_delay_alu instid0(VALU_DEP_1)
	v_add_nc_u32_e32 v9, 16, v1
	s_clause 0x1
	scratch_load_b128 v[1:4], v9, off offset:-16
	scratch_load_b128 v[5:8], off, s11
	s_wait_loadcnt 0x1
	scratch_store_b128 off, v[1:4], s11
	s_wait_loadcnt 0x0
	scratch_store_b128 v9, v[5:8], off offset:-16
.LBB23_162:
	global_load_b32 v0, v0, s[2:3] offset:80
	s_wait_loadcnt 0x0
	v_cmp_eq_u32_e32 vcc_lo, 21, v0
	s_cbranch_vccnz .LBB23_164
; %bb.163:
	v_lshlrev_b32_e32 v0, 4, v0
	s_delay_alu instid0(VALU_DEP_1)
	v_add_nc_u32_e32 v8, 16, v0
	s_clause 0x1
	scratch_load_b128 v[0:3], v8, off offset:-16
	scratch_load_b128 v[4:7], off, s12
	s_wait_loadcnt 0x1
	scratch_store_b128 off, v[0:3], s12
	s_wait_loadcnt 0x0
	scratch_store_b128 v8, v[4:7], off offset:-16
.LBB23_164:
	v_mov_b32_e32 v0, 0
	global_load_b32 v1, v0, s[2:3] offset:76
	s_wait_loadcnt 0x0
	v_cmp_eq_u32_e32 vcc_lo, 20, v1
	s_cbranch_vccnz .LBB23_166
; %bb.165:
	v_lshlrev_b32_e32 v1, 4, v1
	s_delay_alu instid0(VALU_DEP_1)
	v_add_nc_u32_e32 v9, 16, v1
	s_clause 0x1
	scratch_load_b128 v[1:4], v9, off offset:-16
	scratch_load_b128 v[5:8], off, s9
	s_wait_loadcnt 0x1
	scratch_store_b128 off, v[1:4], s9
	s_wait_loadcnt 0x0
	scratch_store_b128 v9, v[5:8], off offset:-16
.LBB23_166:
	global_load_b32 v0, v0, s[2:3] offset:72
	s_wait_loadcnt 0x0
	v_cmp_eq_u32_e32 vcc_lo, 19, v0
	s_cbranch_vccnz .LBB23_168
; %bb.167:
	v_lshlrev_b32_e32 v0, 4, v0
	s_delay_alu instid0(VALU_DEP_1)
	v_add_nc_u32_e32 v8, 16, v0
	s_clause 0x1
	scratch_load_b128 v[0:3], v8, off offset:-16
	scratch_load_b128 v[4:7], off, s10
	s_wait_loadcnt 0x1
	scratch_store_b128 off, v[0:3], s10
	s_wait_loadcnt 0x0
	scratch_store_b128 v8, v[4:7], off offset:-16
.LBB23_168:
	;; [unrolled: 33-line block ×10, first 2 shown]
	v_mov_b32_e32 v0, 0
	global_load_b32 v1, v0, s[2:3] offset:4
	s_wait_loadcnt 0x0
	v_cmp_eq_u32_e32 vcc_lo, 2, v1
	s_cbranch_vccnz .LBB23_202
; %bb.201:
	v_lshlrev_b32_e32 v1, 4, v1
	s_delay_alu instid0(VALU_DEP_1)
	v_add_nc_u32_e32 v9, 16, v1
	s_clause 0x1
	scratch_load_b128 v[1:4], v9, off offset:-16
	scratch_load_b128 v[5:8], off, s20
	s_wait_loadcnt 0x1
	scratch_store_b128 off, v[1:4], s20
	s_wait_loadcnt 0x0
	scratch_store_b128 v9, v[5:8], off offset:-16
.LBB23_202:
	global_load_b32 v0, v0, s[2:3]
	s_wait_loadcnt 0x0
	v_cmp_eq_u32_e32 vcc_lo, 1, v0
	s_cbranch_vccnz .LBB23_204
; %bb.203:
	v_lshlrev_b32_e32 v0, 4, v0
	s_delay_alu instid0(VALU_DEP_1)
	v_add_nc_u32_e32 v8, 16, v0
	scratch_load_b128 v[0:3], v8, off offset:-16
	scratch_load_b128 v[4:7], off, off offset:16
	s_wait_loadcnt 0x1
	scratch_store_b128 off, v[0:3], off offset:16
	s_wait_loadcnt 0x0
	scratch_store_b128 v8, v[4:7], off offset:-16
.LBB23_204:
	scratch_load_b128 v[0:3], off, off offset:16
	s_clause 0xe
	scratch_load_b128 v[4:7], off, s20
	scratch_load_b128 v[8:11], off, s19
	;; [unrolled: 1-line block ×15, first 2 shown]
	s_wait_loadcnt 0xf
	global_store_b128 v[13:14], v[0:3], off
	s_clause 0x1
	scratch_load_b128 v[0:3], off, s4
	scratch_load_b128 v[113:116], off, s8
	s_wait_loadcnt 0x10
	global_store_b128 v[15:16], v[4:7], off
	s_clause 0x1
	scratch_load_b128 v[4:7], off, s5
	scratch_load_b128 v[12:15], off, s10
	s_wait_loadcnt 0x11
	global_store_b128 v[17:18], v[8:11], off
	s_wait_loadcnt 0x10
	global_store_b128 v[19:20], v[61:64], off
	s_clause 0x1
	scratch_load_b128 v[8:11], off, s9
	scratch_load_b128 v[16:19], off, s12
	s_wait_loadcnt 0x11
	global_store_b128 v[21:22], v[65:68], off
	s_clause 0x1
	scratch_load_b128 v[61:64], off, s11
	scratch_load_b128 v[65:68], off, s13
	s_wait_loadcnt 0x12
	global_store_b128 v[23:24], v[69:72], off
	s_wait_loadcnt 0x11
	global_store_b128 v[25:26], v[73:76], off
	;; [unrolled: 2-line block ×17, first 2 shown]
	s_wait_loadcnt 0x0
	s_clause 0x1
	global_store_b128 v[57:58], v[65:68], off
	global_store_b128 v[59:60], v[109:112], off
	s_nop 0
	s_sendmsg sendmsg(MSG_DEALLOC_VGPRS)
	s_endpgm
	.section	.rodata,"a",@progbits
	.p2align	6, 0x0
	.amdhsa_kernel _ZN9rocsolver6v33100L18getri_kernel_smallILi24E19rocblas_complex_numIdEPS3_EEvT1_iilPiilS6_bb
		.amdhsa_group_segment_fixed_size 776
		.amdhsa_private_segment_fixed_size 416
		.amdhsa_kernarg_size 60
		.amdhsa_user_sgpr_count 2
		.amdhsa_user_sgpr_dispatch_ptr 0
		.amdhsa_user_sgpr_queue_ptr 0
		.amdhsa_user_sgpr_kernarg_segment_ptr 1
		.amdhsa_user_sgpr_dispatch_id 0
		.amdhsa_user_sgpr_private_segment_size 0
		.amdhsa_wavefront_size32 1
		.amdhsa_uses_dynamic_stack 0
		.amdhsa_enable_private_segment 1
		.amdhsa_system_sgpr_workgroup_id_x 1
		.amdhsa_system_sgpr_workgroup_id_y 0
		.amdhsa_system_sgpr_workgroup_id_z 0
		.amdhsa_system_sgpr_workgroup_info 0
		.amdhsa_system_vgpr_workitem_id 0
		.amdhsa_next_free_vgpr 119
		.amdhsa_next_free_sgpr 36
		.amdhsa_reserve_vcc 1
		.amdhsa_float_round_mode_32 0
		.amdhsa_float_round_mode_16_64 0
		.amdhsa_float_denorm_mode_32 3
		.amdhsa_float_denorm_mode_16_64 3
		.amdhsa_fp16_overflow 0
		.amdhsa_workgroup_processor_mode 1
		.amdhsa_memory_ordered 1
		.amdhsa_forward_progress 1
		.amdhsa_inst_pref_size 249
		.amdhsa_round_robin_scheduling 0
		.amdhsa_exception_fp_ieee_invalid_op 0
		.amdhsa_exception_fp_denorm_src 0
		.amdhsa_exception_fp_ieee_div_zero 0
		.amdhsa_exception_fp_ieee_overflow 0
		.amdhsa_exception_fp_ieee_underflow 0
		.amdhsa_exception_fp_ieee_inexact 0
		.amdhsa_exception_int_div_zero 0
	.end_amdhsa_kernel
	.section	.text._ZN9rocsolver6v33100L18getri_kernel_smallILi24E19rocblas_complex_numIdEPS3_EEvT1_iilPiilS6_bb,"axG",@progbits,_ZN9rocsolver6v33100L18getri_kernel_smallILi24E19rocblas_complex_numIdEPS3_EEvT1_iilPiilS6_bb,comdat
.Lfunc_end23:
	.size	_ZN9rocsolver6v33100L18getri_kernel_smallILi24E19rocblas_complex_numIdEPS3_EEvT1_iilPiilS6_bb, .Lfunc_end23-_ZN9rocsolver6v33100L18getri_kernel_smallILi24E19rocblas_complex_numIdEPS3_EEvT1_iilPiilS6_bb
                                        ; -- End function
	.set _ZN9rocsolver6v33100L18getri_kernel_smallILi24E19rocblas_complex_numIdEPS3_EEvT1_iilPiilS6_bb.num_vgpr, 119
	.set _ZN9rocsolver6v33100L18getri_kernel_smallILi24E19rocblas_complex_numIdEPS3_EEvT1_iilPiilS6_bb.num_agpr, 0
	.set _ZN9rocsolver6v33100L18getri_kernel_smallILi24E19rocblas_complex_numIdEPS3_EEvT1_iilPiilS6_bb.numbered_sgpr, 36
	.set _ZN9rocsolver6v33100L18getri_kernel_smallILi24E19rocblas_complex_numIdEPS3_EEvT1_iilPiilS6_bb.num_named_barrier, 0
	.set _ZN9rocsolver6v33100L18getri_kernel_smallILi24E19rocblas_complex_numIdEPS3_EEvT1_iilPiilS6_bb.private_seg_size, 416
	.set _ZN9rocsolver6v33100L18getri_kernel_smallILi24E19rocblas_complex_numIdEPS3_EEvT1_iilPiilS6_bb.uses_vcc, 1
	.set _ZN9rocsolver6v33100L18getri_kernel_smallILi24E19rocblas_complex_numIdEPS3_EEvT1_iilPiilS6_bb.uses_flat_scratch, 1
	.set _ZN9rocsolver6v33100L18getri_kernel_smallILi24E19rocblas_complex_numIdEPS3_EEvT1_iilPiilS6_bb.has_dyn_sized_stack, 0
	.set _ZN9rocsolver6v33100L18getri_kernel_smallILi24E19rocblas_complex_numIdEPS3_EEvT1_iilPiilS6_bb.has_recursion, 0
	.set _ZN9rocsolver6v33100L18getri_kernel_smallILi24E19rocblas_complex_numIdEPS3_EEvT1_iilPiilS6_bb.has_indirect_call, 0
	.section	.AMDGPU.csdata,"",@progbits
; Kernel info:
; codeLenInByte = 31864
; TotalNumSgprs: 38
; NumVgprs: 119
; ScratchSize: 416
; MemoryBound: 0
; FloatMode: 240
; IeeeMode: 1
; LDSByteSize: 776 bytes/workgroup (compile time only)
; SGPRBlocks: 0
; VGPRBlocks: 14
; NumSGPRsForWavesPerEU: 38
; NumVGPRsForWavesPerEU: 119
; Occupancy: 12
; WaveLimiterHint : 1
; COMPUTE_PGM_RSRC2:SCRATCH_EN: 1
; COMPUTE_PGM_RSRC2:USER_SGPR: 2
; COMPUTE_PGM_RSRC2:TRAP_HANDLER: 0
; COMPUTE_PGM_RSRC2:TGID_X_EN: 1
; COMPUTE_PGM_RSRC2:TGID_Y_EN: 0
; COMPUTE_PGM_RSRC2:TGID_Z_EN: 0
; COMPUTE_PGM_RSRC2:TIDIG_COMP_CNT: 0
	.section	.text._ZN9rocsolver6v33100L18getri_kernel_smallILi25E19rocblas_complex_numIdEPS3_EEvT1_iilPiilS6_bb,"axG",@progbits,_ZN9rocsolver6v33100L18getri_kernel_smallILi25E19rocblas_complex_numIdEPS3_EEvT1_iilPiilS6_bb,comdat
	.globl	_ZN9rocsolver6v33100L18getri_kernel_smallILi25E19rocblas_complex_numIdEPS3_EEvT1_iilPiilS6_bb ; -- Begin function _ZN9rocsolver6v33100L18getri_kernel_smallILi25E19rocblas_complex_numIdEPS3_EEvT1_iilPiilS6_bb
	.p2align	8
	.type	_ZN9rocsolver6v33100L18getri_kernel_smallILi25E19rocblas_complex_numIdEPS3_EEvT1_iilPiilS6_bb,@function
_ZN9rocsolver6v33100L18getri_kernel_smallILi25E19rocblas_complex_numIdEPS3_EEvT1_iilPiilS6_bb: ; @_ZN9rocsolver6v33100L18getri_kernel_smallILi25E19rocblas_complex_numIdEPS3_EEvT1_iilPiilS6_bb
; %bb.0:
	s_mov_b32 s2, exec_lo
	v_cmpx_gt_u32_e32 25, v0
	s_cbranch_execz .LBB24_114
; %bb.1:
	s_clause 0x2
	s_load_b32 s2, s[0:1], 0x38
	s_load_b128 s[12:15], s[0:1], 0x10
	s_load_b128 s[4:7], s[0:1], 0x28
	s_mov_b32 s16, ttmp9
	s_wait_kmcnt 0x0
	s_bitcmp1_b32 s2, 8
	s_cselect_b32 s18, -1, 0
	s_bfe_u32 s2, s2, 0x10008
	s_ashr_i32 s17, ttmp9, 31
	s_cmp_eq_u32 s2, 0
                                        ; implicit-def: $sgpr2_sgpr3
	s_cbranch_scc1 .LBB24_3
; %bb.2:
	s_load_b32 s2, s[0:1], 0x20
	s_mul_u64 s[4:5], s[4:5], s[16:17]
	s_delay_alu instid0(SALU_CYCLE_1) | instskip(NEXT) | instid1(SALU_CYCLE_1)
	s_lshl_b64 s[4:5], s[4:5], 2
	s_add_nc_u64 s[4:5], s[14:15], s[4:5]
	s_wait_kmcnt 0x0
	s_ashr_i32 s3, s2, 31
	s_delay_alu instid0(SALU_CYCLE_1) | instskip(NEXT) | instid1(SALU_CYCLE_1)
	s_lshl_b64 s[2:3], s[2:3], 2
	s_add_nc_u64 s[2:3], s[4:5], s[2:3]
.LBB24_3:
	s_clause 0x1
	s_load_b128 s[8:11], s[0:1], 0x0
	s_load_b32 s34, s[0:1], 0x38
	s_mul_u64 s[0:1], s[12:13], s[16:17]
	v_lshlrev_b32_e32 v63, 4, v0
	s_lshl_b64 s[0:1], s[0:1], 4
	s_mov_b32 s20, 32
	s_mov_b32 s33, 48
	s_mov_b32 s26, 64
	s_movk_i32 s27, 0x50
	s_wait_kmcnt 0x0
	v_add3_u32 v5, s11, s11, v0
	s_ashr_i32 s5, s10, 31
	s_mov_b32 s4, s10
	s_add_nc_u64 s[0:1], s[8:9], s[0:1]
	s_lshl_b64 s[4:5], s[4:5], 4
	v_add_nc_u32_e32 v7, s11, v5
	v_ashrrev_i32_e32 v6, 31, v5
	s_add_nc_u64 s[0:1], s[0:1], s[4:5]
	s_ashr_i32 s9, s11, 31
	v_add_co_u32 v13, s4, s0, v63
	v_add_nc_u32_e32 v9, s11, v7
	v_ashrrev_i32_e32 v8, 31, v7
	s_mov_b32 s8, s11
	v_lshlrev_b64_e32 v[5:6], 4, v[5:6]
	v_add_co_ci_u32_e64 v14, null, s1, 0, s4
	v_add_nc_u32_e32 v21, s11, v9
	v_ashrrev_i32_e32 v10, 31, v9
	s_lshl_b64 s[8:9], s[8:9], 4
	v_lshlrev_b64_e32 v[19:20], 4, v[7:8]
	v_add_co_u32 v15, vcc_lo, v13, s8
	v_add_nc_u32_e32 v25, s11, v21
	v_ashrrev_i32_e32 v22, 31, v21
	v_lshlrev_b64_e32 v[23:24], 4, v[9:10]
	v_add_co_ci_u32_e64 v16, null, s9, v14, vcc_lo
	s_delay_alu instid0(VALU_DEP_4) | instskip(SKIP_3) | instid1(VALU_DEP_4)
	v_add_nc_u32_e32 v27, s11, v25
	v_ashrrev_i32_e32 v26, 31, v25
	v_add_co_u32 v17, vcc_lo, s0, v5
	v_lshlrev_b64_e32 v[29:30], 4, v[21:22]
	v_add_nc_u32_e32 v31, s11, v27
	v_ashrrev_i32_e32 v28, 31, v27
	s_wait_alu 0xfffd
	v_add_co_ci_u32_e64 v18, null, s1, v6, vcc_lo
	v_add_co_u32 v19, vcc_lo, s0, v19
	v_ashrrev_i32_e32 v32, 31, v31
	s_wait_alu 0xfffd
	v_add_co_ci_u32_e64 v20, null, s1, v20, vcc_lo
	v_add_co_u32 v21, vcc_lo, s0, v23
	v_lshlrev_b64_e32 v[25:26], 4, v[25:26]
	s_wait_alu 0xfffd
	v_add_co_ci_u32_e64 v22, null, s1, v24, vcc_lo
	v_add_co_u32 v23, vcc_lo, s0, v29
	v_lshlrev_b64_e32 v[27:28], 4, v[27:28]
	s_wait_alu 0xfffd
	v_add_co_ci_u32_e64 v24, null, s1, v30, vcc_lo
	v_lshlrev_b64_e32 v[29:30], 4, v[31:32]
	v_add_co_u32 v25, vcc_lo, s0, v25
	s_wait_alu 0xfffd
	v_add_co_ci_u32_e64 v26, null, s1, v26, vcc_lo
	v_add_co_u32 v27, vcc_lo, s0, v27
	s_wait_alu 0xfffd
	v_add_co_ci_u32_e64 v28, null, s1, v28, vcc_lo
	;; [unrolled: 3-line block ×3, first 2 shown]
	s_clause 0x8
	global_load_b128 v[1:4], v63, s[0:1]
	global_load_b128 v[5:8], v[15:16], off
	global_load_b128 v[9:12], v[17:18], off
	;; [unrolled: 1-line block ×8, first 2 shown]
	v_add_nc_u32_e32 v31, s11, v31
	s_delay_alu instid0(VALU_DEP_1) | instskip(SKIP_1) | instid1(VALU_DEP_2)
	v_add_nc_u32_e32 v33, s11, v31
	v_ashrrev_i32_e32 v32, 31, v31
	v_add_nc_u32_e32 v35, s11, v33
	v_ashrrev_i32_e32 v34, 31, v33
	s_delay_alu instid0(VALU_DEP_3) | instskip(NEXT) | instid1(VALU_DEP_3)
	v_lshlrev_b64_e32 v[31:32], 4, v[31:32]
	v_add_nc_u32_e32 v37, s11, v35
	v_ashrrev_i32_e32 v36, 31, v35
	s_delay_alu instid0(VALU_DEP_4) | instskip(NEXT) | instid1(VALU_DEP_4)
	v_lshlrev_b64_e32 v[33:34], 4, v[33:34]
	v_add_co_u32 v31, vcc_lo, s0, v31
	s_delay_alu instid0(VALU_DEP_4)
	v_add_nc_u32_e32 v39, s11, v37
	v_ashrrev_i32_e32 v38, 31, v37
	v_lshlrev_b64_e32 v[35:36], 4, v[35:36]
	s_wait_alu 0xfffd
	v_add_co_ci_u32_e64 v32, null, s1, v32, vcc_lo
	v_add_nc_u32_e32 v41, s11, v39
	v_ashrrev_i32_e32 v40, 31, v39
	v_lshlrev_b64_e32 v[37:38], 4, v[37:38]
	v_add_co_u32 v33, vcc_lo, s0, v33
	s_delay_alu instid0(VALU_DEP_4)
	v_add_nc_u32_e32 v43, s11, v41
	v_ashrrev_i32_e32 v42, 31, v41
	v_lshlrev_b64_e32 v[39:40], 4, v[39:40]
	s_wait_alu 0xfffd
	v_add_co_ci_u32_e64 v34, null, s1, v34, vcc_lo
	v_add_nc_u32_e32 v45, s11, v43
	v_ashrrev_i32_e32 v44, 31, v43
	v_add_co_u32 v35, vcc_lo, s0, v35
	v_lshlrev_b64_e32 v[41:42], 4, v[41:42]
	s_delay_alu instid0(VALU_DEP_4)
	v_add_nc_u32_e32 v47, s11, v45
	v_ashrrev_i32_e32 v46, 31, v45
	s_wait_alu 0xfffd
	v_add_co_ci_u32_e64 v36, null, s1, v36, vcc_lo
	v_add_co_u32 v37, vcc_lo, s0, v37
	v_add_nc_u32_e32 v49, s11, v47
	v_ashrrev_i32_e32 v48, 31, v47
	v_lshlrev_b64_e32 v[43:44], 4, v[43:44]
	s_wait_alu 0xfffd
	v_add_co_ci_u32_e64 v38, null, s1, v38, vcc_lo
	v_add_nc_u32_e32 v51, s11, v49
	v_ashrrev_i32_e32 v50, 31, v49
	v_add_co_u32 v39, vcc_lo, s0, v39
	v_lshlrev_b64_e32 v[45:46], 4, v[45:46]
	s_delay_alu instid0(VALU_DEP_4)
	v_add_nc_u32_e32 v53, s11, v51
	v_ashrrev_i32_e32 v52, 31, v51
	s_wait_alu 0xfffd
	v_add_co_ci_u32_e64 v40, null, s1, v40, vcc_lo
	v_add_co_u32 v41, vcc_lo, s0, v41
	v_add_nc_u32_e32 v55, s11, v53
	v_lshlrev_b64_e32 v[47:48], 4, v[47:48]
	v_ashrrev_i32_e32 v54, 31, v53
	s_wait_alu 0xfffd
	v_add_co_ci_u32_e64 v42, null, s1, v42, vcc_lo
	v_add_nc_u32_e32 v57, s11, v55
	v_add_co_u32 v43, vcc_lo, s0, v43
	v_lshlrev_b64_e32 v[49:50], 4, v[49:50]
	v_ashrrev_i32_e32 v56, 31, v55
	s_delay_alu instid0(VALU_DEP_4)
	v_add_nc_u32_e32 v59, s11, v57
	s_wait_alu 0xfffd
	v_add_co_ci_u32_e64 v44, null, s1, v44, vcc_lo
	v_add_co_u32 v45, vcc_lo, s0, v45
	v_lshlrev_b64_e32 v[51:52], 4, v[51:52]
	v_add_nc_u32_e32 v61, s11, v59
	v_ashrrev_i32_e32 v58, 31, v57
	s_wait_alu 0xfffd
	v_add_co_ci_u32_e64 v46, null, s1, v46, vcc_lo
	v_add_co_u32 v47, vcc_lo, s0, v47
	v_lshlrev_b64_e32 v[53:54], 4, v[53:54]
	v_ashrrev_i32_e32 v60, 31, v59
	s_wait_alu 0xfffd
	v_add_co_ci_u32_e64 v48, null, s1, v48, vcc_lo
	v_add_co_u32 v49, vcc_lo, s0, v49
	v_lshlrev_b64_e32 v[55:56], 4, v[55:56]
	;; [unrolled: 5-line block ×3, first 2 shown]
	s_wait_alu 0xfffd
	v_add_co_ci_u32_e64 v52, null, s1, v52, vcc_lo
	v_add_co_u32 v53, vcc_lo, s0, v53
	v_lshlrev_b64_e32 v[59:60], 4, v[59:60]
	s_wait_alu 0xfffd
	v_add_co_ci_u32_e64 v54, null, s1, v54, vcc_lo
	v_add_co_u32 v55, vcc_lo, s0, v55
	v_lshlrev_b64_e32 v[61:62], 4, v[61:62]
	s_wait_alu 0xfffd
	v_add_co_ci_u32_e64 v56, null, s1, v56, vcc_lo
	v_add_co_u32 v57, vcc_lo, s0, v57
	s_wait_alu 0xfffd
	v_add_co_ci_u32_e64 v58, null, s1, v58, vcc_lo
	v_add_co_u32 v59, vcc_lo, s0, v59
	;; [unrolled: 3-line block ×3, first 2 shown]
	s_wait_alu 0xfffd
	v_add_co_ci_u32_e64 v62, null, s1, v62, vcc_lo
	s_clause 0x6
	global_load_b128 v[88:91], v[31:32], off
	global_load_b128 v[92:95], v[33:34], off
	;; [unrolled: 1-line block ×7, first 2 shown]
	s_movk_i32 s0, 0x50
	s_movk_i32 s1, 0x70
	s_wait_alu 0xfffe
	s_add_co_i32 s21, s0, 16
	s_movk_i32 s0, 0x60
	s_add_co_i32 s22, s1, 16
	s_wait_alu 0xfffe
	s_add_co_i32 s28, s0, 16
	s_movk_i32 s0, 0x80
	s_movk_i32 s1, 0x90
	s_wait_alu 0xfffe
	s_add_co_i32 s29, s0, 16
	s_movk_i32 s0, 0xa0
	s_add_co_i32 s23, s1, 16
	s_movk_i32 s1, 0xb0
	s_wait_alu 0xfffe
	s_add_co_i32 s30, s0, 16
	s_movk_i32 s0, 0xc0
	s_add_co_i32 s24, s1, 16
	;; [unrolled: 5-line block ×8, first 2 shown]
	s_wait_alu 0xfffe
	s_add_co_i32 s15, s0, 16
	s_bitcmp0_b32 s34, 0
	s_mov_b32 s1, -1
	s_wait_loadcnt 0xf
	scratch_store_b128 off, v[1:4], off offset:16
	s_wait_loadcnt 0xe
	scratch_store_b128 off, v[5:8], off offset:32
	s_clause 0x1
	global_load_b128 v[1:4], v[45:46], off
	global_load_b128 v[5:8], v[47:48], off
	s_wait_loadcnt 0xf
	scratch_store_b128 off, v[9:12], off offset:48
	s_wait_loadcnt 0xe
	scratch_store_b128 off, v[64:67], off offset:64
	s_clause 0x1
	global_load_b128 v[9:12], v[49:50], off
	global_load_b128 v[64:67], v[51:52], off
	;; [unrolled: 7-line block ×4, first 2 shown]
	s_wait_loadcnt 0xf
	scratch_store_b128 off, v[84:87], off offset:144
	global_load_b128 v[84:87], v[61:62], off
	s_wait_loadcnt 0xf
	scratch_store_b128 off, v[88:91], off offset:160
	s_wait_loadcnt 0xe
	scratch_store_b128 off, v[92:95], off offset:176
	s_wait_loadcnt 0xd
	scratch_store_b128 off, v[96:99], off offset:192
	s_wait_loadcnt 0xc
	scratch_store_b128 off, v[100:103], off offset:208
	s_wait_loadcnt 0xb
	scratch_store_b128 off, v[104:107], off offset:224
	s_wait_loadcnt 0xa
	scratch_store_b128 off, v[108:111], off offset:240
	s_wait_loadcnt 0x9
	scratch_store_b128 off, v[112:115], off offset:256
	s_wait_loadcnt 0x8
	scratch_store_b128 off, v[1:4], off offset:272
	s_wait_loadcnt 0x7
	scratch_store_b128 off, v[5:8], off offset:288
	s_wait_loadcnt 0x6
	scratch_store_b128 off, v[9:12], off offset:304
	s_wait_loadcnt 0x5
	scratch_store_b128 off, v[64:67], off offset:320
	s_wait_loadcnt 0x4
	scratch_store_b128 off, v[68:71], off offset:336
	s_wait_loadcnt 0x3
	scratch_store_b128 off, v[72:75], off offset:352
	s_wait_loadcnt 0x2
	scratch_store_b128 off, v[76:79], off offset:368
	s_wait_loadcnt 0x1
	scratch_store_b128 off, v[80:83], off offset:384
	s_wait_loadcnt 0x0
	scratch_store_b128 off, v[84:87], off offset:400
	s_cbranch_scc1 .LBB24_112
; %bb.4:
	v_cmp_eq_u32_e64 s0, 0, v0
	s_and_saveexec_b32 s1, s0
; %bb.5:
	v_mov_b32_e32 v1, 0
	ds_store_b32 v1, v1 offset:800
; %bb.6:
	s_wait_alu 0xfffe
	s_or_b32 exec_lo, exec_lo, s1
	s_wait_storecnt_dscnt 0x0
	s_barrier_signal -1
	s_barrier_wait -1
	global_inv scope:SCOPE_SE
	scratch_load_b128 v[1:4], v63, off offset:16
	s_wait_loadcnt 0x0
	v_cmp_eq_f64_e32 vcc_lo, 0, v[1:2]
	v_cmp_eq_f64_e64 s1, 0, v[3:4]
	s_and_b32 s1, vcc_lo, s1
	s_wait_alu 0xfffe
	s_and_saveexec_b32 s34, s1
	s_cbranch_execz .LBB24_10
; %bb.7:
	v_mov_b32_e32 v1, 0
	s_mov_b32 s35, 0
	ds_load_b32 v2, v1 offset:800
	s_wait_dscnt 0x0
	v_readfirstlane_b32 s1, v2
	v_add_nc_u32_e32 v2, 1, v0
	s_cmp_eq_u32 s1, 0
	s_delay_alu instid0(VALU_DEP_1) | instskip(SKIP_1) | instid1(SALU_CYCLE_1)
	v_cmp_gt_i32_e32 vcc_lo, s1, v2
	s_cselect_b32 s36, -1, 0
	s_or_b32 s36, s36, vcc_lo
	s_delay_alu instid0(SALU_CYCLE_1)
	s_and_b32 exec_lo, exec_lo, s36
	s_cbranch_execz .LBB24_10
; %bb.8:
	v_mov_b32_e32 v3, s1
.LBB24_9:                               ; =>This Inner Loop Header: Depth=1
	ds_cmpstore_rtn_b32 v3, v1, v2, v3 offset:800
	s_wait_dscnt 0x0
	v_cmp_ne_u32_e32 vcc_lo, 0, v3
	v_cmp_le_i32_e64 s1, v3, v2
	s_and_b32 s1, vcc_lo, s1
	s_wait_alu 0xfffe
	s_and_b32 s1, exec_lo, s1
	s_wait_alu 0xfffe
	s_or_b32 s35, s1, s35
	s_delay_alu instid0(SALU_CYCLE_1)
	s_and_not1_b32 exec_lo, exec_lo, s35
	s_cbranch_execnz .LBB24_9
.LBB24_10:
	s_or_b32 exec_lo, exec_lo, s34
	v_mov_b32_e32 v1, 0
	s_barrier_signal -1
	s_barrier_wait -1
	global_inv scope:SCOPE_SE
	ds_load_b32 v2, v1 offset:800
	s_and_saveexec_b32 s1, s0
	s_cbranch_execz .LBB24_12
; %bb.11:
	s_lshl_b64 s[34:35], s[16:17], 2
	s_delay_alu instid0(SALU_CYCLE_1)
	s_add_nc_u64 s[34:35], s[6:7], s[34:35]
	s_wait_dscnt 0x0
	global_store_b32 v1, v2, s[34:35]
.LBB24_12:
	s_wait_alu 0xfffe
	s_or_b32 exec_lo, exec_lo, s1
	s_wait_dscnt 0x0
	v_cmp_ne_u32_e32 vcc_lo, 0, v2
	s_mov_b32 s1, 0
	s_cbranch_vccnz .LBB24_112
; %bb.13:
	v_add_nc_u32_e32 v64, 16, v63
                                        ; implicit-def: $vgpr1_vgpr2
                                        ; implicit-def: $vgpr9_vgpr10
	scratch_load_b128 v[5:8], v64, off
	s_wait_loadcnt 0x0
	v_cmp_ngt_f64_e64 s1, |v[5:6]|, |v[7:8]|
	s_wait_alu 0xfffe
	s_and_saveexec_b32 s34, s1
	s_delay_alu instid0(SALU_CYCLE_1)
	s_xor_b32 s1, exec_lo, s34
	s_cbranch_execz .LBB24_15
; %bb.14:
	v_div_scale_f64 v[1:2], null, v[7:8], v[7:8], v[5:6]
	v_div_scale_f64 v[11:12], vcc_lo, v[5:6], v[7:8], v[5:6]
	s_delay_alu instid0(VALU_DEP_2) | instskip(NEXT) | instid1(TRANS32_DEP_1)
	v_rcp_f64_e32 v[3:4], v[1:2]
	v_fma_f64 v[9:10], -v[1:2], v[3:4], 1.0
	s_delay_alu instid0(VALU_DEP_1) | instskip(NEXT) | instid1(VALU_DEP_1)
	v_fma_f64 v[3:4], v[3:4], v[9:10], v[3:4]
	v_fma_f64 v[9:10], -v[1:2], v[3:4], 1.0
	s_delay_alu instid0(VALU_DEP_1) | instskip(NEXT) | instid1(VALU_DEP_1)
	v_fma_f64 v[3:4], v[3:4], v[9:10], v[3:4]
	v_mul_f64_e32 v[9:10], v[11:12], v[3:4]
	s_delay_alu instid0(VALU_DEP_1) | instskip(SKIP_1) | instid1(VALU_DEP_1)
	v_fma_f64 v[1:2], -v[1:2], v[9:10], v[11:12]
	s_wait_alu 0xfffd
	v_div_fmas_f64 v[1:2], v[1:2], v[3:4], v[9:10]
	s_delay_alu instid0(VALU_DEP_1) | instskip(NEXT) | instid1(VALU_DEP_1)
	v_div_fixup_f64 v[1:2], v[1:2], v[7:8], v[5:6]
	v_fma_f64 v[3:4], v[5:6], v[1:2], v[7:8]
	s_delay_alu instid0(VALU_DEP_1) | instskip(SKIP_1) | instid1(VALU_DEP_2)
	v_div_scale_f64 v[5:6], null, v[3:4], v[3:4], 1.0
	v_div_scale_f64 v[11:12], vcc_lo, 1.0, v[3:4], 1.0
	v_rcp_f64_e32 v[7:8], v[5:6]
	s_delay_alu instid0(TRANS32_DEP_1) | instskip(NEXT) | instid1(VALU_DEP_1)
	v_fma_f64 v[9:10], -v[5:6], v[7:8], 1.0
	v_fma_f64 v[7:8], v[7:8], v[9:10], v[7:8]
	s_delay_alu instid0(VALU_DEP_1) | instskip(NEXT) | instid1(VALU_DEP_1)
	v_fma_f64 v[9:10], -v[5:6], v[7:8], 1.0
	v_fma_f64 v[7:8], v[7:8], v[9:10], v[7:8]
	s_delay_alu instid0(VALU_DEP_1) | instskip(NEXT) | instid1(VALU_DEP_1)
	v_mul_f64_e32 v[9:10], v[11:12], v[7:8]
	v_fma_f64 v[5:6], -v[5:6], v[9:10], v[11:12]
	s_wait_alu 0xfffd
	s_delay_alu instid0(VALU_DEP_1) | instskip(NEXT) | instid1(VALU_DEP_1)
	v_div_fmas_f64 v[5:6], v[5:6], v[7:8], v[9:10]
	v_div_fixup_f64 v[3:4], v[5:6], v[3:4], 1.0
                                        ; implicit-def: $vgpr5_vgpr6
	s_delay_alu instid0(VALU_DEP_1) | instskip(SKIP_1) | instid1(VALU_DEP_2)
	v_mul_f64_e32 v[1:2], v[1:2], v[3:4]
	v_xor_b32_e32 v4, 0x80000000, v4
	v_xor_b32_e32 v10, 0x80000000, v2
	s_delay_alu instid0(VALU_DEP_3)
	v_mov_b32_e32 v9, v1
.LBB24_15:
	s_wait_alu 0xfffe
	s_and_not1_saveexec_b32 s1, s1
	s_cbranch_execz .LBB24_17
; %bb.16:
	v_div_scale_f64 v[1:2], null, v[5:6], v[5:6], v[7:8]
	v_div_scale_f64 v[11:12], vcc_lo, v[7:8], v[5:6], v[7:8]
	s_delay_alu instid0(VALU_DEP_2) | instskip(NEXT) | instid1(TRANS32_DEP_1)
	v_rcp_f64_e32 v[3:4], v[1:2]
	v_fma_f64 v[9:10], -v[1:2], v[3:4], 1.0
	s_delay_alu instid0(VALU_DEP_1) | instskip(NEXT) | instid1(VALU_DEP_1)
	v_fma_f64 v[3:4], v[3:4], v[9:10], v[3:4]
	v_fma_f64 v[9:10], -v[1:2], v[3:4], 1.0
	s_delay_alu instid0(VALU_DEP_1) | instskip(NEXT) | instid1(VALU_DEP_1)
	v_fma_f64 v[3:4], v[3:4], v[9:10], v[3:4]
	v_mul_f64_e32 v[9:10], v[11:12], v[3:4]
	s_delay_alu instid0(VALU_DEP_1) | instskip(SKIP_1) | instid1(VALU_DEP_1)
	v_fma_f64 v[1:2], -v[1:2], v[9:10], v[11:12]
	s_wait_alu 0xfffd
	v_div_fmas_f64 v[1:2], v[1:2], v[3:4], v[9:10]
	s_delay_alu instid0(VALU_DEP_1) | instskip(NEXT) | instid1(VALU_DEP_1)
	v_div_fixup_f64 v[3:4], v[1:2], v[5:6], v[7:8]
	v_fma_f64 v[1:2], v[7:8], v[3:4], v[5:6]
	s_delay_alu instid0(VALU_DEP_1) | instskip(NEXT) | instid1(VALU_DEP_1)
	v_div_scale_f64 v[5:6], null, v[1:2], v[1:2], 1.0
	v_rcp_f64_e32 v[7:8], v[5:6]
	s_delay_alu instid0(TRANS32_DEP_1) | instskip(NEXT) | instid1(VALU_DEP_1)
	v_fma_f64 v[9:10], -v[5:6], v[7:8], 1.0
	v_fma_f64 v[7:8], v[7:8], v[9:10], v[7:8]
	s_delay_alu instid0(VALU_DEP_1) | instskip(NEXT) | instid1(VALU_DEP_1)
	v_fma_f64 v[9:10], -v[5:6], v[7:8], 1.0
	v_fma_f64 v[7:8], v[7:8], v[9:10], v[7:8]
	v_div_scale_f64 v[9:10], vcc_lo, 1.0, v[1:2], 1.0
	s_delay_alu instid0(VALU_DEP_1) | instskip(NEXT) | instid1(VALU_DEP_1)
	v_mul_f64_e32 v[11:12], v[9:10], v[7:8]
	v_fma_f64 v[5:6], -v[5:6], v[11:12], v[9:10]
	s_wait_alu 0xfffd
	s_delay_alu instid0(VALU_DEP_1) | instskip(NEXT) | instid1(VALU_DEP_1)
	v_div_fmas_f64 v[5:6], v[5:6], v[7:8], v[11:12]
	v_div_fixup_f64 v[1:2], v[5:6], v[1:2], 1.0
	s_delay_alu instid0(VALU_DEP_1)
	v_mul_f64_e64 v[3:4], v[3:4], -v[1:2]
	v_xor_b32_e32 v10, 0x80000000, v2
	v_mov_b32_e32 v9, v1
.LBB24_17:
	s_wait_alu 0xfffe
	s_or_b32 exec_lo, exec_lo, s1
	scratch_store_b128 v64, v[1:4], off
	scratch_load_b128 v[65:68], off, s20
	v_xor_b32_e32 v12, 0x80000000, v4
	v_mov_b32_e32 v11, v3
	v_add_nc_u32_e32 v5, 0x190, v63
	ds_store_b128 v63, v[9:12]
	s_wait_loadcnt 0x0
	ds_store_b128 v63, v[65:68] offset:400
	s_wait_storecnt_dscnt 0x0
	s_barrier_signal -1
	s_barrier_wait -1
	global_inv scope:SCOPE_SE
	s_and_saveexec_b32 s1, s0
	s_cbranch_execz .LBB24_19
; %bb.18:
	scratch_load_b128 v[1:4], v64, off
	ds_load_b128 v[6:9], v5
	v_mov_b32_e32 v10, 0
	ds_load_b128 v[65:68], v10 offset:16
	s_wait_loadcnt_dscnt 0x1
	v_mul_f64_e32 v[10:11], v[6:7], v[3:4]
	v_mul_f64_e32 v[3:4], v[8:9], v[3:4]
	s_delay_alu instid0(VALU_DEP_2) | instskip(NEXT) | instid1(VALU_DEP_2)
	v_fma_f64 v[8:9], v[8:9], v[1:2], v[10:11]
	v_fma_f64 v[1:2], v[6:7], v[1:2], -v[3:4]
	s_delay_alu instid0(VALU_DEP_2) | instskip(NEXT) | instid1(VALU_DEP_2)
	v_add_f64_e32 v[3:4], 0, v[8:9]
	v_add_f64_e32 v[1:2], 0, v[1:2]
	s_wait_dscnt 0x0
	s_delay_alu instid0(VALU_DEP_2) | instskip(NEXT) | instid1(VALU_DEP_2)
	v_mul_f64_e32 v[6:7], v[3:4], v[67:68]
	v_mul_f64_e32 v[8:9], v[1:2], v[67:68]
	s_delay_alu instid0(VALU_DEP_2) | instskip(NEXT) | instid1(VALU_DEP_2)
	v_fma_f64 v[1:2], v[1:2], v[65:66], -v[6:7]
	v_fma_f64 v[3:4], v[3:4], v[65:66], v[8:9]
	scratch_store_b128 off, v[1:4], off offset:32
.LBB24_19:
	s_wait_alu 0xfffe
	s_or_b32 exec_lo, exec_lo, s1
	s_wait_loadcnt 0x0
	s_wait_storecnt 0x0
	s_barrier_signal -1
	s_barrier_wait -1
	global_inv scope:SCOPE_SE
	scratch_load_b128 v[1:4], off, s33
	s_mov_b32 s1, exec_lo
	s_wait_loadcnt 0x0
	ds_store_b128 v5, v[1:4]
	s_wait_dscnt 0x0
	s_barrier_signal -1
	s_barrier_wait -1
	global_inv scope:SCOPE_SE
	v_cmpx_gt_u32_e32 2, v0
	s_cbranch_execz .LBB24_23
; %bb.20:
	scratch_load_b128 v[1:4], v64, off
	ds_load_b128 v[6:9], v5
	s_wait_loadcnt_dscnt 0x0
	v_mul_f64_e32 v[10:11], v[8:9], v[3:4]
	v_mul_f64_e32 v[3:4], v[6:7], v[3:4]
	s_delay_alu instid0(VALU_DEP_2) | instskip(NEXT) | instid1(VALU_DEP_2)
	v_fma_f64 v[6:7], v[6:7], v[1:2], -v[10:11]
	v_fma_f64 v[3:4], v[8:9], v[1:2], v[3:4]
	s_delay_alu instid0(VALU_DEP_2) | instskip(NEXT) | instid1(VALU_DEP_2)
	v_add_f64_e32 v[1:2], 0, v[6:7]
	v_add_f64_e32 v[3:4], 0, v[3:4]
	s_and_saveexec_b32 s34, s0
	s_cbranch_execz .LBB24_22
; %bb.21:
	scratch_load_b128 v[6:9], off, off offset:32
	v_mov_b32_e32 v10, 0
	ds_load_b128 v[65:68], v10 offset:416
	s_wait_loadcnt_dscnt 0x0
	v_mul_f64_e32 v[10:11], v[65:66], v[8:9]
	v_mul_f64_e32 v[8:9], v[67:68], v[8:9]
	s_delay_alu instid0(VALU_DEP_2) | instskip(NEXT) | instid1(VALU_DEP_2)
	v_fma_f64 v[10:11], v[67:68], v[6:7], v[10:11]
	v_fma_f64 v[6:7], v[65:66], v[6:7], -v[8:9]
	s_delay_alu instid0(VALU_DEP_2) | instskip(NEXT) | instid1(VALU_DEP_2)
	v_add_f64_e32 v[3:4], v[3:4], v[10:11]
	v_add_f64_e32 v[1:2], v[1:2], v[6:7]
.LBB24_22:
	s_or_b32 exec_lo, exec_lo, s34
	v_mov_b32_e32 v6, 0
	ds_load_b128 v[6:9], v6 offset:32
	s_wait_dscnt 0x0
	v_mul_f64_e32 v[10:11], v[3:4], v[8:9]
	v_mul_f64_e32 v[8:9], v[1:2], v[8:9]
	s_delay_alu instid0(VALU_DEP_2) | instskip(NEXT) | instid1(VALU_DEP_2)
	v_fma_f64 v[1:2], v[1:2], v[6:7], -v[10:11]
	v_fma_f64 v[3:4], v[3:4], v[6:7], v[8:9]
	scratch_store_b128 off, v[1:4], off offset:48
.LBB24_23:
	s_wait_alu 0xfffe
	s_or_b32 exec_lo, exec_lo, s1
	s_wait_loadcnt 0x0
	s_wait_storecnt 0x0
	s_barrier_signal -1
	s_barrier_wait -1
	global_inv scope:SCOPE_SE
	scratch_load_b128 v[1:4], off, s26
	v_add_nc_u32_e32 v6, -1, v0
	s_mov_b32 s0, exec_lo
	s_wait_loadcnt 0x0
	ds_store_b128 v5, v[1:4]
	s_wait_dscnt 0x0
	s_barrier_signal -1
	s_barrier_wait -1
	global_inv scope:SCOPE_SE
	v_cmpx_gt_u32_e32 3, v0
	s_cbranch_execz .LBB24_27
; %bb.24:
	v_dual_mov_b32 v1, 0 :: v_dual_add_nc_u32 v8, 0x190, v63
	v_mov_b32_e32 v3, 0
	v_dual_mov_b32 v2, 0 :: v_dual_add_nc_u32 v7, -1, v0
	v_mov_b32_e32 v4, 0
	v_or_b32_e32 v9, 8, v64
	s_mov_b32 s1, 0
.LBB24_25:                              ; =>This Inner Loop Header: Depth=1
	scratch_load_b128 v[65:68], v9, off offset:-8
	ds_load_b128 v[69:72], v8
	v_add_nc_u32_e32 v7, 1, v7
	v_add_nc_u32_e32 v8, 16, v8
	v_add_nc_u32_e32 v9, 16, v9
	s_delay_alu instid0(VALU_DEP_3)
	v_cmp_lt_u32_e32 vcc_lo, 1, v7
	s_wait_alu 0xfffe
	s_or_b32 s1, vcc_lo, s1
	s_wait_loadcnt_dscnt 0x0
	v_mul_f64_e32 v[10:11], v[71:72], v[67:68]
	v_mul_f64_e32 v[67:68], v[69:70], v[67:68]
	s_delay_alu instid0(VALU_DEP_2) | instskip(NEXT) | instid1(VALU_DEP_2)
	v_fma_f64 v[10:11], v[69:70], v[65:66], -v[10:11]
	v_fma_f64 v[65:66], v[71:72], v[65:66], v[67:68]
	s_delay_alu instid0(VALU_DEP_2) | instskip(NEXT) | instid1(VALU_DEP_2)
	v_add_f64_e32 v[3:4], v[3:4], v[10:11]
	v_add_f64_e32 v[1:2], v[1:2], v[65:66]
	s_wait_alu 0xfffe
	s_and_not1_b32 exec_lo, exec_lo, s1
	s_cbranch_execnz .LBB24_25
; %bb.26:
	s_or_b32 exec_lo, exec_lo, s1
	v_mov_b32_e32 v7, 0
	ds_load_b128 v[7:10], v7 offset:48
	s_wait_dscnt 0x0
	v_mul_f64_e32 v[11:12], v[1:2], v[9:10]
	v_mul_f64_e32 v[65:66], v[3:4], v[9:10]
	s_delay_alu instid0(VALU_DEP_2) | instskip(NEXT) | instid1(VALU_DEP_2)
	v_fma_f64 v[9:10], v[3:4], v[7:8], -v[11:12]
	v_fma_f64 v[11:12], v[1:2], v[7:8], v[65:66]
	scratch_store_b128 off, v[9:12], off offset:64
.LBB24_27:
	s_wait_alu 0xfffe
	s_or_b32 exec_lo, exec_lo, s0
	s_wait_loadcnt 0x0
	s_wait_storecnt 0x0
	s_barrier_signal -1
	s_barrier_wait -1
	global_inv scope:SCOPE_SE
	scratch_load_b128 v[1:4], off, s27
	s_mov_b32 s0, exec_lo
	s_wait_loadcnt 0x0
	ds_store_b128 v5, v[1:4]
	s_wait_dscnt 0x0
	s_barrier_signal -1
	s_barrier_wait -1
	global_inv scope:SCOPE_SE
	v_cmpx_gt_u32_e32 4, v0
	s_cbranch_execz .LBB24_31
; %bb.28:
	v_dual_mov_b32 v1, 0 :: v_dual_add_nc_u32 v8, 0x190, v63
	v_mov_b32_e32 v3, 0
	v_dual_mov_b32 v2, 0 :: v_dual_add_nc_u32 v7, -1, v0
	v_mov_b32_e32 v4, 0
	v_or_b32_e32 v9, 8, v64
	s_mov_b32 s1, 0
.LBB24_29:                              ; =>This Inner Loop Header: Depth=1
	scratch_load_b128 v[65:68], v9, off offset:-8
	ds_load_b128 v[69:72], v8
	v_add_nc_u32_e32 v7, 1, v7
	v_add_nc_u32_e32 v8, 16, v8
	v_add_nc_u32_e32 v9, 16, v9
	s_delay_alu instid0(VALU_DEP_3)
	v_cmp_lt_u32_e32 vcc_lo, 2, v7
	s_wait_alu 0xfffe
	s_or_b32 s1, vcc_lo, s1
	s_wait_loadcnt_dscnt 0x0
	v_mul_f64_e32 v[10:11], v[71:72], v[67:68]
	v_mul_f64_e32 v[67:68], v[69:70], v[67:68]
	s_delay_alu instid0(VALU_DEP_2) | instskip(NEXT) | instid1(VALU_DEP_2)
	v_fma_f64 v[10:11], v[69:70], v[65:66], -v[10:11]
	v_fma_f64 v[65:66], v[71:72], v[65:66], v[67:68]
	s_delay_alu instid0(VALU_DEP_2) | instskip(NEXT) | instid1(VALU_DEP_2)
	v_add_f64_e32 v[3:4], v[3:4], v[10:11]
	v_add_f64_e32 v[1:2], v[1:2], v[65:66]
	s_wait_alu 0xfffe
	s_and_not1_b32 exec_lo, exec_lo, s1
	s_cbranch_execnz .LBB24_29
; %bb.30:
	s_or_b32 exec_lo, exec_lo, s1
	v_mov_b32_e32 v7, 0
	ds_load_b128 v[7:10], v7 offset:64
	s_wait_dscnt 0x0
	v_mul_f64_e32 v[11:12], v[1:2], v[9:10]
	v_mul_f64_e32 v[65:66], v[3:4], v[9:10]
	s_delay_alu instid0(VALU_DEP_2) | instskip(NEXT) | instid1(VALU_DEP_2)
	v_fma_f64 v[9:10], v[3:4], v[7:8], -v[11:12]
	v_fma_f64 v[11:12], v[1:2], v[7:8], v[65:66]
	scratch_store_b128 off, v[9:12], off offset:80
.LBB24_31:
	s_wait_alu 0xfffe
	s_or_b32 exec_lo, exec_lo, s0
	s_wait_loadcnt 0x0
	s_wait_storecnt 0x0
	s_barrier_signal -1
	s_barrier_wait -1
	global_inv scope:SCOPE_SE
	scratch_load_b128 v[1:4], off, s21
	;; [unrolled: 58-line block ×19, first 2 shown]
	s_mov_b32 s0, exec_lo
	s_wait_loadcnt 0x0
	ds_store_b128 v5, v[1:4]
	s_wait_dscnt 0x0
	s_barrier_signal -1
	s_barrier_wait -1
	global_inv scope:SCOPE_SE
	v_cmpx_gt_u32_e32 22, v0
	s_cbranch_execz .LBB24_103
; %bb.100:
	v_dual_mov_b32 v1, 0 :: v_dual_add_nc_u32 v8, 0x190, v63
	v_mov_b32_e32 v3, 0
	v_dual_mov_b32 v2, 0 :: v_dual_add_nc_u32 v7, -1, v0
	v_mov_b32_e32 v4, 0
	v_or_b32_e32 v9, 8, v64
	s_mov_b32 s1, 0
.LBB24_101:                             ; =>This Inner Loop Header: Depth=1
	scratch_load_b128 v[65:68], v9, off offset:-8
	ds_load_b128 v[69:72], v8
	v_add_nc_u32_e32 v7, 1, v7
	v_add_nc_u32_e32 v8, 16, v8
	;; [unrolled: 1-line block ×3, first 2 shown]
	s_delay_alu instid0(VALU_DEP_3)
	v_cmp_lt_u32_e32 vcc_lo, 20, v7
	s_wait_alu 0xfffe
	s_or_b32 s1, vcc_lo, s1
	s_wait_loadcnt_dscnt 0x0
	v_mul_f64_e32 v[10:11], v[71:72], v[67:68]
	v_mul_f64_e32 v[67:68], v[69:70], v[67:68]
	s_delay_alu instid0(VALU_DEP_2) | instskip(NEXT) | instid1(VALU_DEP_2)
	v_fma_f64 v[10:11], v[69:70], v[65:66], -v[10:11]
	v_fma_f64 v[65:66], v[71:72], v[65:66], v[67:68]
	s_delay_alu instid0(VALU_DEP_2) | instskip(NEXT) | instid1(VALU_DEP_2)
	v_add_f64_e32 v[3:4], v[3:4], v[10:11]
	v_add_f64_e32 v[1:2], v[1:2], v[65:66]
	s_wait_alu 0xfffe
	s_and_not1_b32 exec_lo, exec_lo, s1
	s_cbranch_execnz .LBB24_101
; %bb.102:
	s_or_b32 exec_lo, exec_lo, s1
	v_mov_b32_e32 v7, 0
	ds_load_b128 v[7:10], v7 offset:352
	s_wait_dscnt 0x0
	v_mul_f64_e32 v[11:12], v[1:2], v[9:10]
	v_mul_f64_e32 v[65:66], v[3:4], v[9:10]
	s_delay_alu instid0(VALU_DEP_2) | instskip(NEXT) | instid1(VALU_DEP_2)
	v_fma_f64 v[9:10], v[3:4], v[7:8], -v[11:12]
	v_fma_f64 v[11:12], v[1:2], v[7:8], v[65:66]
	scratch_store_b128 off, v[9:12], off offset:368
.LBB24_103:
	s_wait_alu 0xfffe
	s_or_b32 exec_lo, exec_lo, s0
	s_wait_loadcnt 0x0
	s_wait_storecnt 0x0
	s_barrier_signal -1
	s_barrier_wait -1
	global_inv scope:SCOPE_SE
	scratch_load_b128 v[1:4], off, s10
	s_mov_b32 s0, exec_lo
	s_wait_loadcnt 0x0
	ds_store_b128 v5, v[1:4]
	s_wait_dscnt 0x0
	s_barrier_signal -1
	s_barrier_wait -1
	global_inv scope:SCOPE_SE
	v_cmpx_gt_u32_e32 23, v0
	s_cbranch_execz .LBB24_107
; %bb.104:
	v_dual_mov_b32 v1, 0 :: v_dual_add_nc_u32 v8, 0x190, v63
	v_mov_b32_e32 v3, 0
	v_dual_mov_b32 v2, 0 :: v_dual_add_nc_u32 v7, -1, v0
	v_mov_b32_e32 v4, 0
	v_or_b32_e32 v9, 8, v64
	s_mov_b32 s1, 0
.LBB24_105:                             ; =>This Inner Loop Header: Depth=1
	scratch_load_b128 v[65:68], v9, off offset:-8
	ds_load_b128 v[69:72], v8
	v_add_nc_u32_e32 v7, 1, v7
	v_add_nc_u32_e32 v8, 16, v8
	;; [unrolled: 1-line block ×3, first 2 shown]
	s_delay_alu instid0(VALU_DEP_3)
	v_cmp_lt_u32_e32 vcc_lo, 21, v7
	s_wait_alu 0xfffe
	s_or_b32 s1, vcc_lo, s1
	s_wait_loadcnt_dscnt 0x0
	v_mul_f64_e32 v[10:11], v[71:72], v[67:68]
	v_mul_f64_e32 v[67:68], v[69:70], v[67:68]
	s_delay_alu instid0(VALU_DEP_2) | instskip(NEXT) | instid1(VALU_DEP_2)
	v_fma_f64 v[10:11], v[69:70], v[65:66], -v[10:11]
	v_fma_f64 v[65:66], v[71:72], v[65:66], v[67:68]
	s_delay_alu instid0(VALU_DEP_2) | instskip(NEXT) | instid1(VALU_DEP_2)
	v_add_f64_e32 v[3:4], v[3:4], v[10:11]
	v_add_f64_e32 v[1:2], v[1:2], v[65:66]
	s_wait_alu 0xfffe
	s_and_not1_b32 exec_lo, exec_lo, s1
	s_cbranch_execnz .LBB24_105
; %bb.106:
	s_or_b32 exec_lo, exec_lo, s1
	v_mov_b32_e32 v7, 0
	ds_load_b128 v[7:10], v7 offset:368
	s_wait_dscnt 0x0
	v_mul_f64_e32 v[11:12], v[1:2], v[9:10]
	v_mul_f64_e32 v[65:66], v[3:4], v[9:10]
	s_delay_alu instid0(VALU_DEP_2) | instskip(NEXT) | instid1(VALU_DEP_2)
	v_fma_f64 v[9:10], v[3:4], v[7:8], -v[11:12]
	v_fma_f64 v[11:12], v[1:2], v[7:8], v[65:66]
	scratch_store_b128 off, v[9:12], off offset:384
.LBB24_107:
	s_wait_alu 0xfffe
	s_or_b32 exec_lo, exec_lo, s0
	s_wait_loadcnt 0x0
	s_wait_storecnt 0x0
	s_barrier_signal -1
	s_barrier_wait -1
	global_inv scope:SCOPE_SE
	scratch_load_b128 v[1:4], off, s15
	s_mov_b32 s0, exec_lo
	s_wait_loadcnt 0x0
	ds_store_b128 v5, v[1:4]
	s_wait_dscnt 0x0
	s_barrier_signal -1
	s_barrier_wait -1
	global_inv scope:SCOPE_SE
	v_cmpx_ne_u32_e32 24, v0
	s_cbranch_execz .LBB24_111
; %bb.108:
	v_mov_b32_e32 v1, 0
	v_dual_mov_b32 v2, 0 :: v_dual_mov_b32 v3, 0
	v_mov_b32_e32 v4, 0
	v_or_b32_e32 v7, 8, v64
	s_mov_b32 s1, 0
.LBB24_109:                             ; =>This Inner Loop Header: Depth=1
	scratch_load_b128 v[8:11], v7, off offset:-8
	ds_load_b128 v[63:66], v5
	v_add_nc_u32_e32 v6, 1, v6
	v_add_nc_u32_e32 v5, 16, v5
	;; [unrolled: 1-line block ×3, first 2 shown]
	s_delay_alu instid0(VALU_DEP_3)
	v_cmp_lt_u32_e32 vcc_lo, 22, v6
	s_wait_alu 0xfffe
	s_or_b32 s1, vcc_lo, s1
	s_wait_loadcnt_dscnt 0x0
	v_mul_f64_e32 v[67:68], v[65:66], v[10:11]
	v_mul_f64_e32 v[10:11], v[63:64], v[10:11]
	s_delay_alu instid0(VALU_DEP_2) | instskip(NEXT) | instid1(VALU_DEP_2)
	v_fma_f64 v[63:64], v[63:64], v[8:9], -v[67:68]
	v_fma_f64 v[8:9], v[65:66], v[8:9], v[10:11]
	s_delay_alu instid0(VALU_DEP_2) | instskip(NEXT) | instid1(VALU_DEP_2)
	v_add_f64_e32 v[3:4], v[3:4], v[63:64]
	v_add_f64_e32 v[1:2], v[1:2], v[8:9]
	s_wait_alu 0xfffe
	s_and_not1_b32 exec_lo, exec_lo, s1
	s_cbranch_execnz .LBB24_109
; %bb.110:
	s_or_b32 exec_lo, exec_lo, s1
	v_mov_b32_e32 v5, 0
	ds_load_b128 v[5:8], v5 offset:384
	s_wait_dscnt 0x0
	v_mul_f64_e32 v[9:10], v[1:2], v[7:8]
	v_mul_f64_e32 v[7:8], v[3:4], v[7:8]
	s_delay_alu instid0(VALU_DEP_2) | instskip(NEXT) | instid1(VALU_DEP_2)
	v_fma_f64 v[3:4], v[3:4], v[5:6], -v[9:10]
	v_fma_f64 v[5:6], v[1:2], v[5:6], v[7:8]
	scratch_store_b128 off, v[3:6], off offset:400
.LBB24_111:
	s_wait_alu 0xfffe
	s_or_b32 exec_lo, exec_lo, s0
	s_mov_b32 s1, -1
	s_wait_loadcnt 0x0
	s_wait_storecnt 0x0
	s_barrier_signal -1
	s_barrier_wait -1
	global_inv scope:SCOPE_SE
.LBB24_112:
	s_wait_alu 0xfffe
	s_and_b32 vcc_lo, exec_lo, s1
	s_wait_alu 0xfffe
	s_cbranch_vccz .LBB24_114
; %bb.113:
	v_mov_b32_e32 v1, 0
	s_lshl_b64 s[0:1], s[16:17], 2
	s_wait_alu 0xfffe
	s_add_nc_u64 s[0:1], s[6:7], s[0:1]
	global_load_b32 v1, v1, s[0:1]
	s_wait_loadcnt 0x0
	v_cmp_ne_u32_e32 vcc_lo, 0, v1
	s_cbranch_vccz .LBB24_115
.LBB24_114:
	s_nop 0
	s_sendmsg sendmsg(MSG_DEALLOC_VGPRS)
	s_endpgm
.LBB24_115:
	v_lshl_add_u32 v5, v0, 4, 0x190
	s_mov_b32 s0, exec_lo
	v_cmpx_eq_u32_e32 24, v0
	s_cbranch_execz .LBB24_117
; %bb.116:
	scratch_load_b128 v[1:4], off, s10
	v_mov_b32_e32 v6, 0
	s_delay_alu instid0(VALU_DEP_1)
	v_dual_mov_b32 v7, v6 :: v_dual_mov_b32 v8, v6
	v_mov_b32_e32 v9, v6
	scratch_store_b128 off, v[6:9], off offset:384
	s_wait_loadcnt 0x0
	ds_store_b128 v5, v[1:4]
.LBB24_117:
	s_wait_alu 0xfffe
	s_or_b32 exec_lo, exec_lo, s0
	s_wait_storecnt_dscnt 0x0
	s_barrier_signal -1
	s_barrier_wait -1
	global_inv scope:SCOPE_SE
	s_clause 0x1
	scratch_load_b128 v[6:9], off, off offset:400
	scratch_load_b128 v[63:66], off, off offset:384
	v_mov_b32_e32 v1, 0
	s_mov_b32 s0, exec_lo
	ds_load_b128 v[67:70], v1 offset:784
	s_wait_loadcnt_dscnt 0x100
	v_mul_f64_e32 v[2:3], v[69:70], v[8:9]
	v_mul_f64_e32 v[8:9], v[67:68], v[8:9]
	s_delay_alu instid0(VALU_DEP_2) | instskip(NEXT) | instid1(VALU_DEP_2)
	v_fma_f64 v[2:3], v[67:68], v[6:7], -v[2:3]
	v_fma_f64 v[6:7], v[69:70], v[6:7], v[8:9]
	s_delay_alu instid0(VALU_DEP_2) | instskip(NEXT) | instid1(VALU_DEP_2)
	v_add_f64_e32 v[2:3], 0, v[2:3]
	v_add_f64_e32 v[8:9], 0, v[6:7]
	s_wait_loadcnt 0x0
	s_delay_alu instid0(VALU_DEP_2) | instskip(NEXT) | instid1(VALU_DEP_2)
	v_add_f64_e64 v[6:7], v[63:64], -v[2:3]
	v_add_f64_e64 v[8:9], v[65:66], -v[8:9]
	scratch_store_b128 off, v[6:9], off offset:384
	v_cmpx_lt_u32_e32 22, v0
	s_cbranch_execz .LBB24_119
; %bb.118:
	scratch_load_b128 v[6:9], off, s13
	v_dual_mov_b32 v2, v1 :: v_dual_mov_b32 v3, v1
	v_mov_b32_e32 v4, v1
	scratch_store_b128 off, v[1:4], off offset:368
	s_wait_loadcnt 0x0
	ds_store_b128 v5, v[6:9]
.LBB24_119:
	s_wait_alu 0xfffe
	s_or_b32 exec_lo, exec_lo, s0
	s_wait_storecnt_dscnt 0x0
	s_barrier_signal -1
	s_barrier_wait -1
	global_inv scope:SCOPE_SE
	s_clause 0x2
	scratch_load_b128 v[6:9], off, off offset:384
	scratch_load_b128 v[63:66], off, off offset:400
	;; [unrolled: 1-line block ×3, first 2 shown]
	ds_load_b128 v[71:74], v1 offset:768
	ds_load_b128 v[1:4], v1 offset:784
	s_mov_b32 s0, exec_lo
	s_wait_loadcnt_dscnt 0x201
	v_mul_f64_e32 v[10:11], v[73:74], v[8:9]
	v_mul_f64_e32 v[8:9], v[71:72], v[8:9]
	s_wait_loadcnt_dscnt 0x100
	v_mul_f64_e32 v[75:76], v[1:2], v[65:66]
	v_mul_f64_e32 v[65:66], v[3:4], v[65:66]
	s_delay_alu instid0(VALU_DEP_4) | instskip(NEXT) | instid1(VALU_DEP_4)
	v_fma_f64 v[10:11], v[71:72], v[6:7], -v[10:11]
	v_fma_f64 v[6:7], v[73:74], v[6:7], v[8:9]
	s_delay_alu instid0(VALU_DEP_4) | instskip(NEXT) | instid1(VALU_DEP_4)
	v_fma_f64 v[3:4], v[3:4], v[63:64], v[75:76]
	v_fma_f64 v[1:2], v[1:2], v[63:64], -v[65:66]
	s_delay_alu instid0(VALU_DEP_4) | instskip(NEXT) | instid1(VALU_DEP_4)
	v_add_f64_e32 v[8:9], 0, v[10:11]
	v_add_f64_e32 v[6:7], 0, v[6:7]
	s_delay_alu instid0(VALU_DEP_2) | instskip(NEXT) | instid1(VALU_DEP_2)
	v_add_f64_e32 v[1:2], v[8:9], v[1:2]
	v_add_f64_e32 v[3:4], v[6:7], v[3:4]
	s_wait_loadcnt 0x0
	s_delay_alu instid0(VALU_DEP_2) | instskip(NEXT) | instid1(VALU_DEP_2)
	v_add_f64_e64 v[1:2], v[67:68], -v[1:2]
	v_add_f64_e64 v[3:4], v[69:70], -v[3:4]
	scratch_store_b128 off, v[1:4], off offset:368
	v_cmpx_lt_u32_e32 21, v0
	s_cbranch_execz .LBB24_121
; %bb.120:
	scratch_load_b128 v[1:4], off, s8
	v_mov_b32_e32 v6, 0
	s_delay_alu instid0(VALU_DEP_1)
	v_dual_mov_b32 v7, v6 :: v_dual_mov_b32 v8, v6
	v_mov_b32_e32 v9, v6
	scratch_store_b128 off, v[6:9], off offset:352
	s_wait_loadcnt 0x0
	ds_store_b128 v5, v[1:4]
.LBB24_121:
	s_wait_alu 0xfffe
	s_or_b32 exec_lo, exec_lo, s0
	s_wait_storecnt_dscnt 0x0
	s_barrier_signal -1
	s_barrier_wait -1
	global_inv scope:SCOPE_SE
	s_clause 0x3
	scratch_load_b128 v[6:9], off, off offset:368
	scratch_load_b128 v[63:66], off, off offset:384
	;; [unrolled: 1-line block ×4, first 2 shown]
	v_mov_b32_e32 v1, 0
	ds_load_b128 v[75:78], v1 offset:752
	ds_load_b128 v[79:82], v1 offset:768
	s_mov_b32 s0, exec_lo
	s_wait_loadcnt_dscnt 0x301
	v_mul_f64_e32 v[2:3], v[77:78], v[8:9]
	v_mul_f64_e32 v[8:9], v[75:76], v[8:9]
	s_wait_loadcnt_dscnt 0x200
	v_mul_f64_e32 v[10:11], v[79:80], v[65:66]
	v_mul_f64_e32 v[65:66], v[81:82], v[65:66]
	s_delay_alu instid0(VALU_DEP_4) | instskip(NEXT) | instid1(VALU_DEP_4)
	v_fma_f64 v[2:3], v[75:76], v[6:7], -v[2:3]
	v_fma_f64 v[75:76], v[77:78], v[6:7], v[8:9]
	ds_load_b128 v[6:9], v1 offset:784
	v_fma_f64 v[10:11], v[81:82], v[63:64], v[10:11]
	v_fma_f64 v[63:64], v[79:80], v[63:64], -v[65:66]
	s_wait_loadcnt_dscnt 0x100
	v_mul_f64_e32 v[77:78], v[6:7], v[69:70]
	v_mul_f64_e32 v[69:70], v[8:9], v[69:70]
	v_add_f64_e32 v[2:3], 0, v[2:3]
	v_add_f64_e32 v[65:66], 0, v[75:76]
	s_delay_alu instid0(VALU_DEP_4) | instskip(NEXT) | instid1(VALU_DEP_4)
	v_fma_f64 v[8:9], v[8:9], v[67:68], v[77:78]
	v_fma_f64 v[6:7], v[6:7], v[67:68], -v[69:70]
	s_delay_alu instid0(VALU_DEP_4) | instskip(NEXT) | instid1(VALU_DEP_4)
	v_add_f64_e32 v[2:3], v[2:3], v[63:64]
	v_add_f64_e32 v[10:11], v[65:66], v[10:11]
	s_delay_alu instid0(VALU_DEP_2) | instskip(NEXT) | instid1(VALU_DEP_2)
	v_add_f64_e32 v[2:3], v[2:3], v[6:7]
	v_add_f64_e32 v[8:9], v[10:11], v[8:9]
	s_wait_loadcnt 0x0
	s_delay_alu instid0(VALU_DEP_2) | instskip(NEXT) | instid1(VALU_DEP_2)
	v_add_f64_e64 v[6:7], v[71:72], -v[2:3]
	v_add_f64_e64 v[8:9], v[73:74], -v[8:9]
	scratch_store_b128 off, v[6:9], off offset:352
	v_cmpx_lt_u32_e32 20, v0
	s_cbranch_execz .LBB24_123
; %bb.122:
	scratch_load_b128 v[6:9], off, s11
	v_dual_mov_b32 v2, v1 :: v_dual_mov_b32 v3, v1
	v_mov_b32_e32 v4, v1
	scratch_store_b128 off, v[1:4], off offset:336
	s_wait_loadcnt 0x0
	ds_store_b128 v5, v[6:9]
.LBB24_123:
	s_wait_alu 0xfffe
	s_or_b32 exec_lo, exec_lo, s0
	s_wait_storecnt_dscnt 0x0
	s_barrier_signal -1
	s_barrier_wait -1
	global_inv scope:SCOPE_SE
	s_clause 0x4
	scratch_load_b128 v[6:9], off, off offset:352
	scratch_load_b128 v[63:66], off, off offset:368
	;; [unrolled: 1-line block ×5, first 2 shown]
	ds_load_b128 v[79:82], v1 offset:736
	ds_load_b128 v[83:86], v1 offset:752
	s_mov_b32 s0, exec_lo
	s_wait_loadcnt_dscnt 0x401
	v_mul_f64_e32 v[2:3], v[81:82], v[8:9]
	v_mul_f64_e32 v[8:9], v[79:80], v[8:9]
	s_wait_loadcnt_dscnt 0x300
	v_mul_f64_e32 v[10:11], v[83:84], v[65:66]
	v_mul_f64_e32 v[65:66], v[85:86], v[65:66]
	s_delay_alu instid0(VALU_DEP_4) | instskip(NEXT) | instid1(VALU_DEP_4)
	v_fma_f64 v[79:80], v[79:80], v[6:7], -v[2:3]
	v_fma_f64 v[81:82], v[81:82], v[6:7], v[8:9]
	ds_load_b128 v[6:9], v1 offset:768
	ds_load_b128 v[1:4], v1 offset:784
	v_fma_f64 v[10:11], v[85:86], v[63:64], v[10:11]
	v_fma_f64 v[63:64], v[83:84], v[63:64], -v[65:66]
	s_wait_loadcnt_dscnt 0x201
	v_mul_f64_e32 v[87:88], v[6:7], v[69:70]
	v_mul_f64_e32 v[69:70], v[8:9], v[69:70]
	v_add_f64_e32 v[65:66], 0, v[79:80]
	v_add_f64_e32 v[79:80], 0, v[81:82]
	s_wait_loadcnt_dscnt 0x100
	v_mul_f64_e32 v[81:82], v[1:2], v[73:74]
	v_mul_f64_e32 v[73:74], v[3:4], v[73:74]
	v_fma_f64 v[8:9], v[8:9], v[67:68], v[87:88]
	v_fma_f64 v[6:7], v[6:7], v[67:68], -v[69:70]
	v_add_f64_e32 v[63:64], v[65:66], v[63:64]
	v_add_f64_e32 v[10:11], v[79:80], v[10:11]
	v_fma_f64 v[3:4], v[3:4], v[71:72], v[81:82]
	v_fma_f64 v[1:2], v[1:2], v[71:72], -v[73:74]
	s_delay_alu instid0(VALU_DEP_4) | instskip(NEXT) | instid1(VALU_DEP_4)
	v_add_f64_e32 v[6:7], v[63:64], v[6:7]
	v_add_f64_e32 v[8:9], v[10:11], v[8:9]
	s_delay_alu instid0(VALU_DEP_2) | instskip(NEXT) | instid1(VALU_DEP_2)
	v_add_f64_e32 v[1:2], v[6:7], v[1:2]
	v_add_f64_e32 v[3:4], v[8:9], v[3:4]
	s_wait_loadcnt 0x0
	s_delay_alu instid0(VALU_DEP_2) | instskip(NEXT) | instid1(VALU_DEP_2)
	v_add_f64_e64 v[1:2], v[75:76], -v[1:2]
	v_add_f64_e64 v[3:4], v[77:78], -v[3:4]
	scratch_store_b128 off, v[1:4], off offset:336
	v_cmpx_lt_u32_e32 19, v0
	s_cbranch_execz .LBB24_125
; %bb.124:
	scratch_load_b128 v[1:4], off, s5
	v_mov_b32_e32 v6, 0
	s_delay_alu instid0(VALU_DEP_1)
	v_dual_mov_b32 v7, v6 :: v_dual_mov_b32 v8, v6
	v_mov_b32_e32 v9, v6
	scratch_store_b128 off, v[6:9], off offset:320
	s_wait_loadcnt 0x0
	ds_store_b128 v5, v[1:4]
.LBB24_125:
	s_wait_alu 0xfffe
	s_or_b32 exec_lo, exec_lo, s0
	s_wait_storecnt_dscnt 0x0
	s_barrier_signal -1
	s_barrier_wait -1
	global_inv scope:SCOPE_SE
	s_clause 0x5
	scratch_load_b128 v[6:9], off, off offset:336
	scratch_load_b128 v[63:66], off, off offset:352
	scratch_load_b128 v[67:70], off, off offset:368
	scratch_load_b128 v[71:74], off, off offset:384
	scratch_load_b128 v[75:78], off, off offset:400
	scratch_load_b128 v[79:82], off, off offset:320
	v_mov_b32_e32 v1, 0
	ds_load_b128 v[83:86], v1 offset:720
	ds_load_b128 v[87:90], v1 offset:736
	s_mov_b32 s0, exec_lo
	s_wait_loadcnt_dscnt 0x501
	v_mul_f64_e32 v[2:3], v[85:86], v[8:9]
	v_mul_f64_e32 v[8:9], v[83:84], v[8:9]
	s_wait_loadcnt_dscnt 0x400
	v_mul_f64_e32 v[10:11], v[87:88], v[65:66]
	v_mul_f64_e32 v[65:66], v[89:90], v[65:66]
	s_delay_alu instid0(VALU_DEP_4) | instskip(NEXT) | instid1(VALU_DEP_4)
	v_fma_f64 v[2:3], v[83:84], v[6:7], -v[2:3]
	v_fma_f64 v[91:92], v[85:86], v[6:7], v[8:9]
	ds_load_b128 v[6:9], v1 offset:752
	ds_load_b128 v[83:86], v1 offset:768
	v_fma_f64 v[10:11], v[89:90], v[63:64], v[10:11]
	v_fma_f64 v[63:64], v[87:88], v[63:64], -v[65:66]
	s_wait_loadcnt_dscnt 0x301
	v_mul_f64_e32 v[93:94], v[6:7], v[69:70]
	v_mul_f64_e32 v[69:70], v[8:9], v[69:70]
	s_wait_loadcnt_dscnt 0x200
	v_mul_f64_e32 v[87:88], v[83:84], v[73:74]
	v_mul_f64_e32 v[73:74], v[85:86], v[73:74]
	v_add_f64_e32 v[2:3], 0, v[2:3]
	v_add_f64_e32 v[65:66], 0, v[91:92]
	v_fma_f64 v[89:90], v[8:9], v[67:68], v[93:94]
	v_fma_f64 v[67:68], v[6:7], v[67:68], -v[69:70]
	ds_load_b128 v[6:9], v1 offset:784
	v_fma_f64 v[69:70], v[85:86], v[71:72], v[87:88]
	v_fma_f64 v[71:72], v[83:84], v[71:72], -v[73:74]
	v_add_f64_e32 v[2:3], v[2:3], v[63:64]
	v_add_f64_e32 v[10:11], v[65:66], v[10:11]
	s_wait_loadcnt_dscnt 0x100
	v_mul_f64_e32 v[63:64], v[6:7], v[77:78]
	v_mul_f64_e32 v[65:66], v[8:9], v[77:78]
	s_delay_alu instid0(VALU_DEP_4) | instskip(NEXT) | instid1(VALU_DEP_4)
	v_add_f64_e32 v[2:3], v[2:3], v[67:68]
	v_add_f64_e32 v[10:11], v[10:11], v[89:90]
	s_delay_alu instid0(VALU_DEP_4) | instskip(NEXT) | instid1(VALU_DEP_4)
	v_fma_f64 v[8:9], v[8:9], v[75:76], v[63:64]
	v_fma_f64 v[6:7], v[6:7], v[75:76], -v[65:66]
	s_delay_alu instid0(VALU_DEP_4) | instskip(NEXT) | instid1(VALU_DEP_4)
	v_add_f64_e32 v[2:3], v[2:3], v[71:72]
	v_add_f64_e32 v[10:11], v[10:11], v[69:70]
	s_delay_alu instid0(VALU_DEP_2) | instskip(NEXT) | instid1(VALU_DEP_2)
	v_add_f64_e32 v[2:3], v[2:3], v[6:7]
	v_add_f64_e32 v[8:9], v[10:11], v[8:9]
	s_wait_loadcnt 0x0
	s_delay_alu instid0(VALU_DEP_2) | instskip(NEXT) | instid1(VALU_DEP_2)
	v_add_f64_e64 v[6:7], v[79:80], -v[2:3]
	v_add_f64_e64 v[8:9], v[81:82], -v[8:9]
	scratch_store_b128 off, v[6:9], off offset:320
	v_cmpx_lt_u32_e32 18, v0
	s_cbranch_execz .LBB24_127
; %bb.126:
	scratch_load_b128 v[6:9], off, s9
	v_dual_mov_b32 v2, v1 :: v_dual_mov_b32 v3, v1
	v_mov_b32_e32 v4, v1
	scratch_store_b128 off, v[1:4], off offset:304
	s_wait_loadcnt 0x0
	ds_store_b128 v5, v[6:9]
.LBB24_127:
	s_wait_alu 0xfffe
	s_or_b32 exec_lo, exec_lo, s0
	s_wait_storecnt_dscnt 0x0
	s_barrier_signal -1
	s_barrier_wait -1
	global_inv scope:SCOPE_SE
	s_clause 0x5
	scratch_load_b128 v[6:9], off, off offset:320
	scratch_load_b128 v[63:66], off, off offset:336
	;; [unrolled: 1-line block ×6, first 2 shown]
	ds_load_b128 v[83:86], v1 offset:704
	ds_load_b128 v[91:94], v1 offset:720
	scratch_load_b128 v[87:90], off, off offset:304
	s_mov_b32 s0, exec_lo
	s_wait_loadcnt_dscnt 0x601
	v_mul_f64_e32 v[2:3], v[85:86], v[8:9]
	v_mul_f64_e32 v[8:9], v[83:84], v[8:9]
	s_wait_loadcnt_dscnt 0x500
	v_mul_f64_e32 v[10:11], v[91:92], v[65:66]
	v_mul_f64_e32 v[65:66], v[93:94], v[65:66]
	s_delay_alu instid0(VALU_DEP_4) | instskip(NEXT) | instid1(VALU_DEP_4)
	v_fma_f64 v[2:3], v[83:84], v[6:7], -v[2:3]
	v_fma_f64 v[95:96], v[85:86], v[6:7], v[8:9]
	ds_load_b128 v[6:9], v1 offset:736
	ds_load_b128 v[83:86], v1 offset:752
	v_fma_f64 v[10:11], v[93:94], v[63:64], v[10:11]
	v_fma_f64 v[63:64], v[91:92], v[63:64], -v[65:66]
	s_wait_loadcnt_dscnt 0x401
	v_mul_f64_e32 v[97:98], v[6:7], v[69:70]
	v_mul_f64_e32 v[69:70], v[8:9], v[69:70]
	s_wait_loadcnt_dscnt 0x300
	v_mul_f64_e32 v[91:92], v[83:84], v[73:74]
	v_mul_f64_e32 v[73:74], v[85:86], v[73:74]
	v_add_f64_e32 v[2:3], 0, v[2:3]
	v_add_f64_e32 v[65:66], 0, v[95:96]
	v_fma_f64 v[93:94], v[8:9], v[67:68], v[97:98]
	v_fma_f64 v[67:68], v[6:7], v[67:68], -v[69:70]
	s_delay_alu instid0(VALU_DEP_4) | instskip(NEXT) | instid1(VALU_DEP_4)
	v_add_f64_e32 v[63:64], v[2:3], v[63:64]
	v_add_f64_e32 v[10:11], v[65:66], v[10:11]
	ds_load_b128 v[6:9], v1 offset:768
	ds_load_b128 v[1:4], v1 offset:784
	s_wait_loadcnt_dscnt 0x201
	v_mul_f64_e32 v[65:66], v[6:7], v[77:78]
	v_mul_f64_e32 v[69:70], v[8:9], v[77:78]
	v_fma_f64 v[77:78], v[85:86], v[71:72], v[91:92]
	v_fma_f64 v[71:72], v[83:84], v[71:72], -v[73:74]
	s_wait_loadcnt_dscnt 0x100
	v_mul_f64_e32 v[73:74], v[3:4], v[81:82]
	v_add_f64_e32 v[63:64], v[63:64], v[67:68]
	v_add_f64_e32 v[10:11], v[10:11], v[93:94]
	v_mul_f64_e32 v[67:68], v[1:2], v[81:82]
	v_fma_f64 v[8:9], v[8:9], v[75:76], v[65:66]
	v_fma_f64 v[6:7], v[6:7], v[75:76], -v[69:70]
	v_fma_f64 v[1:2], v[1:2], v[79:80], -v[73:74]
	v_add_f64_e32 v[63:64], v[63:64], v[71:72]
	v_add_f64_e32 v[10:11], v[10:11], v[77:78]
	v_fma_f64 v[3:4], v[3:4], v[79:80], v[67:68]
	s_delay_alu instid0(VALU_DEP_3) | instskip(NEXT) | instid1(VALU_DEP_3)
	v_add_f64_e32 v[6:7], v[63:64], v[6:7]
	v_add_f64_e32 v[8:9], v[10:11], v[8:9]
	s_delay_alu instid0(VALU_DEP_2) | instskip(NEXT) | instid1(VALU_DEP_2)
	v_add_f64_e32 v[1:2], v[6:7], v[1:2]
	v_add_f64_e32 v[3:4], v[8:9], v[3:4]
	s_wait_loadcnt 0x0
	s_delay_alu instid0(VALU_DEP_2) | instskip(NEXT) | instid1(VALU_DEP_2)
	v_add_f64_e64 v[1:2], v[87:88], -v[1:2]
	v_add_f64_e64 v[3:4], v[89:90], -v[3:4]
	scratch_store_b128 off, v[1:4], off offset:304
	v_cmpx_lt_u32_e32 17, v0
	s_cbranch_execz .LBB24_129
; %bb.128:
	scratch_load_b128 v[1:4], off, s4
	v_mov_b32_e32 v6, 0
	s_delay_alu instid0(VALU_DEP_1)
	v_dual_mov_b32 v7, v6 :: v_dual_mov_b32 v8, v6
	v_mov_b32_e32 v9, v6
	scratch_store_b128 off, v[6:9], off offset:288
	s_wait_loadcnt 0x0
	ds_store_b128 v5, v[1:4]
.LBB24_129:
	s_wait_alu 0xfffe
	s_or_b32 exec_lo, exec_lo, s0
	s_wait_storecnt_dscnt 0x0
	s_barrier_signal -1
	s_barrier_wait -1
	global_inv scope:SCOPE_SE
	s_clause 0x6
	scratch_load_b128 v[6:9], off, off offset:304
	scratch_load_b128 v[63:66], off, off offset:320
	;; [unrolled: 1-line block ×7, first 2 shown]
	v_mov_b32_e32 v1, 0
	scratch_load_b128 v[91:94], off, off offset:288
	s_mov_b32 s0, exec_lo
	ds_load_b128 v[87:90], v1 offset:688
	ds_load_b128 v[95:98], v1 offset:704
	s_wait_loadcnt_dscnt 0x701
	v_mul_f64_e32 v[2:3], v[89:90], v[8:9]
	v_mul_f64_e32 v[8:9], v[87:88], v[8:9]
	s_wait_loadcnt_dscnt 0x600
	v_mul_f64_e32 v[10:11], v[95:96], v[65:66]
	v_mul_f64_e32 v[65:66], v[97:98], v[65:66]
	s_delay_alu instid0(VALU_DEP_4) | instskip(NEXT) | instid1(VALU_DEP_4)
	v_fma_f64 v[2:3], v[87:88], v[6:7], -v[2:3]
	v_fma_f64 v[99:100], v[89:90], v[6:7], v[8:9]
	ds_load_b128 v[6:9], v1 offset:720
	ds_load_b128 v[87:90], v1 offset:736
	v_fma_f64 v[10:11], v[97:98], v[63:64], v[10:11]
	v_fma_f64 v[63:64], v[95:96], v[63:64], -v[65:66]
	s_wait_loadcnt_dscnt 0x501
	v_mul_f64_e32 v[101:102], v[6:7], v[69:70]
	v_mul_f64_e32 v[69:70], v[8:9], v[69:70]
	s_wait_loadcnt_dscnt 0x400
	v_mul_f64_e32 v[95:96], v[87:88], v[73:74]
	v_mul_f64_e32 v[73:74], v[89:90], v[73:74]
	v_add_f64_e32 v[2:3], 0, v[2:3]
	v_add_f64_e32 v[65:66], 0, v[99:100]
	v_fma_f64 v[97:98], v[8:9], v[67:68], v[101:102]
	v_fma_f64 v[67:68], v[6:7], v[67:68], -v[69:70]
	v_fma_f64 v[89:90], v[89:90], v[71:72], v[95:96]
	v_fma_f64 v[71:72], v[87:88], v[71:72], -v[73:74]
	v_add_f64_e32 v[2:3], v[2:3], v[63:64]
	v_add_f64_e32 v[10:11], v[65:66], v[10:11]
	ds_load_b128 v[6:9], v1 offset:752
	ds_load_b128 v[63:66], v1 offset:768
	s_wait_loadcnt_dscnt 0x301
	v_mul_f64_e32 v[69:70], v[6:7], v[77:78]
	v_mul_f64_e32 v[77:78], v[8:9], v[77:78]
	s_wait_loadcnt_dscnt 0x200
	v_mul_f64_e32 v[73:74], v[65:66], v[81:82]
	v_add_f64_e32 v[2:3], v[2:3], v[67:68]
	v_add_f64_e32 v[10:11], v[10:11], v[97:98]
	v_mul_f64_e32 v[67:68], v[63:64], v[81:82]
	v_fma_f64 v[69:70], v[8:9], v[75:76], v[69:70]
	v_fma_f64 v[75:76], v[6:7], v[75:76], -v[77:78]
	ds_load_b128 v[6:9], v1 offset:784
	v_fma_f64 v[63:64], v[63:64], v[79:80], -v[73:74]
	v_add_f64_e32 v[2:3], v[2:3], v[71:72]
	v_add_f64_e32 v[10:11], v[10:11], v[89:90]
	v_fma_f64 v[65:66], v[65:66], v[79:80], v[67:68]
	s_wait_loadcnt_dscnt 0x100
	v_mul_f64_e32 v[71:72], v[6:7], v[85:86]
	v_mul_f64_e32 v[77:78], v[8:9], v[85:86]
	v_add_f64_e32 v[2:3], v[2:3], v[75:76]
	v_add_f64_e32 v[10:11], v[10:11], v[69:70]
	s_delay_alu instid0(VALU_DEP_4) | instskip(NEXT) | instid1(VALU_DEP_4)
	v_fma_f64 v[8:9], v[8:9], v[83:84], v[71:72]
	v_fma_f64 v[6:7], v[6:7], v[83:84], -v[77:78]
	s_delay_alu instid0(VALU_DEP_4) | instskip(NEXT) | instid1(VALU_DEP_4)
	v_add_f64_e32 v[2:3], v[2:3], v[63:64]
	v_add_f64_e32 v[10:11], v[10:11], v[65:66]
	s_delay_alu instid0(VALU_DEP_2) | instskip(NEXT) | instid1(VALU_DEP_2)
	v_add_f64_e32 v[2:3], v[2:3], v[6:7]
	v_add_f64_e32 v[8:9], v[10:11], v[8:9]
	s_wait_loadcnt 0x0
	s_delay_alu instid0(VALU_DEP_2) | instskip(NEXT) | instid1(VALU_DEP_2)
	v_add_f64_e64 v[6:7], v[91:92], -v[2:3]
	v_add_f64_e64 v[8:9], v[93:94], -v[8:9]
	scratch_store_b128 off, v[6:9], off offset:288
	v_cmpx_lt_u32_e32 16, v0
	s_cbranch_execz .LBB24_131
; %bb.130:
	scratch_load_b128 v[6:9], off, s12
	v_dual_mov_b32 v2, v1 :: v_dual_mov_b32 v3, v1
	v_mov_b32_e32 v4, v1
	scratch_store_b128 off, v[1:4], off offset:272
	s_wait_loadcnt 0x0
	ds_store_b128 v5, v[6:9]
.LBB24_131:
	s_wait_alu 0xfffe
	s_or_b32 exec_lo, exec_lo, s0
	s_wait_storecnt_dscnt 0x0
	s_barrier_signal -1
	s_barrier_wait -1
	global_inv scope:SCOPE_SE
	s_clause 0x7
	scratch_load_b128 v[6:9], off, off offset:288
	scratch_load_b128 v[63:66], off, off offset:304
	;; [unrolled: 1-line block ×8, first 2 shown]
	ds_load_b128 v[91:94], v1 offset:672
	ds_load_b128 v[95:98], v1 offset:688
	scratch_load_b128 v[99:102], off, off offset:272
	s_mov_b32 s0, exec_lo
	s_wait_loadcnt_dscnt 0x801
	v_mul_f64_e32 v[2:3], v[93:94], v[8:9]
	v_mul_f64_e32 v[8:9], v[91:92], v[8:9]
	s_wait_loadcnt_dscnt 0x700
	v_mul_f64_e32 v[10:11], v[95:96], v[65:66]
	v_mul_f64_e32 v[65:66], v[97:98], v[65:66]
	s_delay_alu instid0(VALU_DEP_4) | instskip(NEXT) | instid1(VALU_DEP_4)
	v_fma_f64 v[2:3], v[91:92], v[6:7], -v[2:3]
	v_fma_f64 v[103:104], v[93:94], v[6:7], v[8:9]
	ds_load_b128 v[6:9], v1 offset:704
	ds_load_b128 v[91:94], v1 offset:720
	v_fma_f64 v[10:11], v[97:98], v[63:64], v[10:11]
	v_fma_f64 v[63:64], v[95:96], v[63:64], -v[65:66]
	s_wait_loadcnt_dscnt 0x601
	v_mul_f64_e32 v[105:106], v[6:7], v[69:70]
	v_mul_f64_e32 v[69:70], v[8:9], v[69:70]
	s_wait_loadcnt_dscnt 0x500
	v_mul_f64_e32 v[95:96], v[91:92], v[73:74]
	v_mul_f64_e32 v[73:74], v[93:94], v[73:74]
	v_add_f64_e32 v[2:3], 0, v[2:3]
	v_add_f64_e32 v[65:66], 0, v[103:104]
	v_fma_f64 v[97:98], v[8:9], v[67:68], v[105:106]
	v_fma_f64 v[67:68], v[6:7], v[67:68], -v[69:70]
	v_fma_f64 v[93:94], v[93:94], v[71:72], v[95:96]
	v_fma_f64 v[71:72], v[91:92], v[71:72], -v[73:74]
	v_add_f64_e32 v[2:3], v[2:3], v[63:64]
	v_add_f64_e32 v[10:11], v[65:66], v[10:11]
	ds_load_b128 v[6:9], v1 offset:736
	ds_load_b128 v[63:66], v1 offset:752
	s_wait_loadcnt_dscnt 0x401
	v_mul_f64_e32 v[69:70], v[6:7], v[77:78]
	v_mul_f64_e32 v[77:78], v[8:9], v[77:78]
	s_wait_loadcnt_dscnt 0x300
	v_mul_f64_e32 v[73:74], v[65:66], v[81:82]
	v_add_f64_e32 v[2:3], v[2:3], v[67:68]
	v_add_f64_e32 v[10:11], v[10:11], v[97:98]
	v_mul_f64_e32 v[67:68], v[63:64], v[81:82]
	v_fma_f64 v[69:70], v[8:9], v[75:76], v[69:70]
	v_fma_f64 v[75:76], v[6:7], v[75:76], -v[77:78]
	v_fma_f64 v[63:64], v[63:64], v[79:80], -v[73:74]
	v_add_f64_e32 v[71:72], v[2:3], v[71:72]
	v_add_f64_e32 v[10:11], v[10:11], v[93:94]
	ds_load_b128 v[6:9], v1 offset:768
	ds_load_b128 v[1:4], v1 offset:784
	v_fma_f64 v[65:66], v[65:66], v[79:80], v[67:68]
	s_wait_loadcnt_dscnt 0x201
	v_mul_f64_e32 v[77:78], v[6:7], v[85:86]
	v_mul_f64_e32 v[81:82], v[8:9], v[85:86]
	v_add_f64_e32 v[67:68], v[71:72], v[75:76]
	v_add_f64_e32 v[10:11], v[10:11], v[69:70]
	s_wait_loadcnt_dscnt 0x100
	v_mul_f64_e32 v[69:70], v[1:2], v[89:90]
	v_mul_f64_e32 v[71:72], v[3:4], v[89:90]
	v_fma_f64 v[8:9], v[8:9], v[83:84], v[77:78]
	v_fma_f64 v[6:7], v[6:7], v[83:84], -v[81:82]
	v_add_f64_e32 v[63:64], v[67:68], v[63:64]
	v_add_f64_e32 v[10:11], v[10:11], v[65:66]
	v_fma_f64 v[3:4], v[3:4], v[87:88], v[69:70]
	v_fma_f64 v[1:2], v[1:2], v[87:88], -v[71:72]
	s_delay_alu instid0(VALU_DEP_4) | instskip(NEXT) | instid1(VALU_DEP_4)
	v_add_f64_e32 v[6:7], v[63:64], v[6:7]
	v_add_f64_e32 v[8:9], v[10:11], v[8:9]
	s_delay_alu instid0(VALU_DEP_2) | instskip(NEXT) | instid1(VALU_DEP_2)
	v_add_f64_e32 v[1:2], v[6:7], v[1:2]
	v_add_f64_e32 v[3:4], v[8:9], v[3:4]
	s_wait_loadcnt 0x0
	s_delay_alu instid0(VALU_DEP_2) | instskip(NEXT) | instid1(VALU_DEP_2)
	v_add_f64_e64 v[1:2], v[99:100], -v[1:2]
	v_add_f64_e64 v[3:4], v[101:102], -v[3:4]
	scratch_store_b128 off, v[1:4], off offset:272
	v_cmpx_lt_u32_e32 15, v0
	s_cbranch_execz .LBB24_133
; %bb.132:
	scratch_load_b128 v[1:4], off, s14
	v_mov_b32_e32 v6, 0
	s_delay_alu instid0(VALU_DEP_1)
	v_dual_mov_b32 v7, v6 :: v_dual_mov_b32 v8, v6
	v_mov_b32_e32 v9, v6
	scratch_store_b128 off, v[6:9], off offset:256
	s_wait_loadcnt 0x0
	ds_store_b128 v5, v[1:4]
.LBB24_133:
	s_wait_alu 0xfffe
	s_or_b32 exec_lo, exec_lo, s0
	s_wait_storecnt_dscnt 0x0
	s_barrier_signal -1
	s_barrier_wait -1
	global_inv scope:SCOPE_SE
	s_clause 0x7
	scratch_load_b128 v[6:9], off, off offset:272
	scratch_load_b128 v[63:66], off, off offset:288
	;; [unrolled: 1-line block ×8, first 2 shown]
	v_mov_b32_e32 v1, 0
	s_mov_b32 s0, exec_lo
	ds_load_b128 v[91:94], v1 offset:656
	s_clause 0x1
	scratch_load_b128 v[95:98], off, off offset:400
	scratch_load_b128 v[99:102], off, off offset:256
	ds_load_b128 v[103:106], v1 offset:672
	s_wait_loadcnt_dscnt 0x901
	v_mul_f64_e32 v[2:3], v[93:94], v[8:9]
	v_mul_f64_e32 v[8:9], v[91:92], v[8:9]
	s_wait_loadcnt_dscnt 0x800
	v_mul_f64_e32 v[10:11], v[103:104], v[65:66]
	v_mul_f64_e32 v[65:66], v[105:106], v[65:66]
	s_delay_alu instid0(VALU_DEP_4) | instskip(NEXT) | instid1(VALU_DEP_4)
	v_fma_f64 v[2:3], v[91:92], v[6:7], -v[2:3]
	v_fma_f64 v[107:108], v[93:94], v[6:7], v[8:9]
	ds_load_b128 v[6:9], v1 offset:688
	ds_load_b128 v[91:94], v1 offset:704
	v_fma_f64 v[10:11], v[105:106], v[63:64], v[10:11]
	v_fma_f64 v[63:64], v[103:104], v[63:64], -v[65:66]
	s_wait_loadcnt_dscnt 0x701
	v_mul_f64_e32 v[109:110], v[6:7], v[69:70]
	v_mul_f64_e32 v[69:70], v[8:9], v[69:70]
	s_wait_loadcnt_dscnt 0x600
	v_mul_f64_e32 v[103:104], v[91:92], v[73:74]
	v_mul_f64_e32 v[73:74], v[93:94], v[73:74]
	v_add_f64_e32 v[2:3], 0, v[2:3]
	v_add_f64_e32 v[65:66], 0, v[107:108]
	v_fma_f64 v[105:106], v[8:9], v[67:68], v[109:110]
	v_fma_f64 v[67:68], v[6:7], v[67:68], -v[69:70]
	v_fma_f64 v[93:94], v[93:94], v[71:72], v[103:104]
	v_fma_f64 v[71:72], v[91:92], v[71:72], -v[73:74]
	v_add_f64_e32 v[2:3], v[2:3], v[63:64]
	v_add_f64_e32 v[10:11], v[65:66], v[10:11]
	ds_load_b128 v[6:9], v1 offset:720
	ds_load_b128 v[63:66], v1 offset:736
	s_wait_loadcnt_dscnt 0x501
	v_mul_f64_e32 v[69:70], v[6:7], v[77:78]
	v_mul_f64_e32 v[77:78], v[8:9], v[77:78]
	s_wait_loadcnt_dscnt 0x400
	v_mul_f64_e32 v[73:74], v[63:64], v[81:82]
	v_mul_f64_e32 v[81:82], v[65:66], v[81:82]
	v_add_f64_e32 v[2:3], v[2:3], v[67:68]
	v_add_f64_e32 v[10:11], v[10:11], v[105:106]
	v_fma_f64 v[91:92], v[8:9], v[75:76], v[69:70]
	v_fma_f64 v[75:76], v[6:7], v[75:76], -v[77:78]
	ds_load_b128 v[6:9], v1 offset:752
	ds_load_b128 v[67:70], v1 offset:768
	v_fma_f64 v[65:66], v[65:66], v[79:80], v[73:74]
	v_fma_f64 v[63:64], v[63:64], v[79:80], -v[81:82]
	v_add_f64_e32 v[2:3], v[2:3], v[71:72]
	v_add_f64_e32 v[10:11], v[10:11], v[93:94]
	s_wait_loadcnt_dscnt 0x301
	v_mul_f64_e32 v[71:72], v[6:7], v[85:86]
	v_mul_f64_e32 v[77:78], v[8:9], v[85:86]
	s_wait_loadcnt_dscnt 0x200
	v_mul_f64_e32 v[73:74], v[67:68], v[89:90]
	v_add_f64_e32 v[2:3], v[2:3], v[75:76]
	v_add_f64_e32 v[10:11], v[10:11], v[91:92]
	v_mul_f64_e32 v[75:76], v[69:70], v[89:90]
	v_fma_f64 v[71:72], v[8:9], v[83:84], v[71:72]
	v_fma_f64 v[77:78], v[6:7], v[83:84], -v[77:78]
	ds_load_b128 v[6:9], v1 offset:784
	v_fma_f64 v[69:70], v[69:70], v[87:88], v[73:74]
	v_add_f64_e32 v[2:3], v[2:3], v[63:64]
	v_add_f64_e32 v[10:11], v[10:11], v[65:66]
	s_wait_loadcnt_dscnt 0x100
	v_mul_f64_e32 v[63:64], v[6:7], v[97:98]
	v_mul_f64_e32 v[65:66], v[8:9], v[97:98]
	v_fma_f64 v[67:68], v[67:68], v[87:88], -v[75:76]
	v_add_f64_e32 v[2:3], v[2:3], v[77:78]
	v_add_f64_e32 v[10:11], v[10:11], v[71:72]
	v_fma_f64 v[8:9], v[8:9], v[95:96], v[63:64]
	v_fma_f64 v[6:7], v[6:7], v[95:96], -v[65:66]
	s_delay_alu instid0(VALU_DEP_4) | instskip(NEXT) | instid1(VALU_DEP_4)
	v_add_f64_e32 v[2:3], v[2:3], v[67:68]
	v_add_f64_e32 v[10:11], v[10:11], v[69:70]
	s_delay_alu instid0(VALU_DEP_2) | instskip(NEXT) | instid1(VALU_DEP_2)
	v_add_f64_e32 v[2:3], v[2:3], v[6:7]
	v_add_f64_e32 v[8:9], v[10:11], v[8:9]
	s_wait_loadcnt 0x0
	s_delay_alu instid0(VALU_DEP_2) | instskip(NEXT) | instid1(VALU_DEP_2)
	v_add_f64_e64 v[6:7], v[99:100], -v[2:3]
	v_add_f64_e64 v[8:9], v[101:102], -v[8:9]
	scratch_store_b128 off, v[6:9], off offset:256
	v_cmpx_lt_u32_e32 14, v0
	s_cbranch_execz .LBB24_135
; %bb.134:
	scratch_load_b128 v[6:9], off, s19
	v_dual_mov_b32 v2, v1 :: v_dual_mov_b32 v3, v1
	v_mov_b32_e32 v4, v1
	scratch_store_b128 off, v[1:4], off offset:240
	s_wait_loadcnt 0x0
	ds_store_b128 v5, v[6:9]
.LBB24_135:
	s_wait_alu 0xfffe
	s_or_b32 exec_lo, exec_lo, s0
	s_wait_storecnt_dscnt 0x0
	s_barrier_signal -1
	s_barrier_wait -1
	global_inv scope:SCOPE_SE
	s_clause 0x8
	scratch_load_b128 v[6:9], off, off offset:256
	scratch_load_b128 v[63:66], off, off offset:272
	;; [unrolled: 1-line block ×9, first 2 shown]
	ds_load_b128 v[95:98], v1 offset:640
	ds_load_b128 v[99:102], v1 offset:656
	scratch_load_b128 v[103:106], off, off offset:240
	s_mov_b32 s0, exec_lo
	s_wait_loadcnt_dscnt 0x901
	v_mul_f64_e32 v[2:3], v[97:98], v[8:9]
	v_mul_f64_e32 v[107:108], v[95:96], v[8:9]
	scratch_load_b128 v[8:11], off, off offset:400
	s_wait_loadcnt_dscnt 0x900
	v_mul_f64_e32 v[111:112], v[99:100], v[65:66]
	v_mul_f64_e32 v[65:66], v[101:102], v[65:66]
	v_fma_f64 v[2:3], v[95:96], v[6:7], -v[2:3]
	v_fma_f64 v[6:7], v[97:98], v[6:7], v[107:108]
	ds_load_b128 v[95:98], v1 offset:672
	ds_load_b128 v[107:110], v1 offset:688
	v_fma_f64 v[101:102], v[101:102], v[63:64], v[111:112]
	v_fma_f64 v[63:64], v[99:100], v[63:64], -v[65:66]
	s_wait_loadcnt_dscnt 0x801
	v_mul_f64_e32 v[113:114], v[95:96], v[69:70]
	v_mul_f64_e32 v[69:70], v[97:98], v[69:70]
	s_wait_loadcnt_dscnt 0x700
	v_mul_f64_e32 v[99:100], v[107:108], v[73:74]
	v_mul_f64_e32 v[73:74], v[109:110], v[73:74]
	v_add_f64_e32 v[2:3], 0, v[2:3]
	v_add_f64_e32 v[6:7], 0, v[6:7]
	v_fma_f64 v[97:98], v[97:98], v[67:68], v[113:114]
	v_fma_f64 v[95:96], v[95:96], v[67:68], -v[69:70]
	v_fma_f64 v[99:100], v[109:110], v[71:72], v[99:100]
	v_fma_f64 v[71:72], v[107:108], v[71:72], -v[73:74]
	v_add_f64_e32 v[2:3], v[2:3], v[63:64]
	v_add_f64_e32 v[6:7], v[6:7], v[101:102]
	ds_load_b128 v[63:66], v1 offset:704
	ds_load_b128 v[67:70], v1 offset:720
	s_wait_loadcnt_dscnt 0x601
	v_mul_f64_e32 v[101:102], v[63:64], v[77:78]
	v_mul_f64_e32 v[77:78], v[65:66], v[77:78]
	v_add_f64_e32 v[2:3], v[2:3], v[95:96]
	v_add_f64_e32 v[6:7], v[6:7], v[97:98]
	s_wait_loadcnt_dscnt 0x500
	v_mul_f64_e32 v[95:96], v[67:68], v[81:82]
	v_mul_f64_e32 v[81:82], v[69:70], v[81:82]
	v_fma_f64 v[97:98], v[65:66], v[75:76], v[101:102]
	v_fma_f64 v[75:76], v[63:64], v[75:76], -v[77:78]
	v_add_f64_e32 v[2:3], v[2:3], v[71:72]
	v_add_f64_e32 v[6:7], v[6:7], v[99:100]
	ds_load_b128 v[63:66], v1 offset:736
	ds_load_b128 v[71:74], v1 offset:752
	v_fma_f64 v[69:70], v[69:70], v[79:80], v[95:96]
	v_fma_f64 v[67:68], v[67:68], v[79:80], -v[81:82]
	s_wait_loadcnt_dscnt 0x401
	v_mul_f64_e32 v[77:78], v[63:64], v[85:86]
	v_mul_f64_e32 v[85:86], v[65:66], v[85:86]
	s_wait_loadcnt_dscnt 0x300
	v_mul_f64_e32 v[79:80], v[73:74], v[89:90]
	v_add_f64_e32 v[2:3], v[2:3], v[75:76]
	v_add_f64_e32 v[6:7], v[6:7], v[97:98]
	v_mul_f64_e32 v[75:76], v[71:72], v[89:90]
	v_fma_f64 v[77:78], v[65:66], v[83:84], v[77:78]
	v_fma_f64 v[81:82], v[63:64], v[83:84], -v[85:86]
	v_fma_f64 v[71:72], v[71:72], v[87:88], -v[79:80]
	v_add_f64_e32 v[67:68], v[2:3], v[67:68]
	v_add_f64_e32 v[6:7], v[6:7], v[69:70]
	ds_load_b128 v[63:66], v1 offset:768
	ds_load_b128 v[1:4], v1 offset:784
	v_fma_f64 v[73:74], v[73:74], v[87:88], v[75:76]
	s_wait_loadcnt_dscnt 0x201
	v_mul_f64_e32 v[69:70], v[63:64], v[93:94]
	v_mul_f64_e32 v[83:84], v[65:66], v[93:94]
	v_add_f64_e32 v[67:68], v[67:68], v[81:82]
	v_add_f64_e32 v[6:7], v[6:7], v[77:78]
	s_wait_loadcnt_dscnt 0x0
	v_mul_f64_e32 v[75:76], v[1:2], v[10:11]
	v_mul_f64_e32 v[10:11], v[3:4], v[10:11]
	v_fma_f64 v[65:66], v[65:66], v[91:92], v[69:70]
	v_fma_f64 v[63:64], v[63:64], v[91:92], -v[83:84]
	v_add_f64_e32 v[67:68], v[67:68], v[71:72]
	v_add_f64_e32 v[6:7], v[6:7], v[73:74]
	v_fma_f64 v[3:4], v[3:4], v[8:9], v[75:76]
	v_fma_f64 v[1:2], v[1:2], v[8:9], -v[10:11]
	s_delay_alu instid0(VALU_DEP_4) | instskip(NEXT) | instid1(VALU_DEP_4)
	v_add_f64_e32 v[8:9], v[67:68], v[63:64]
	v_add_f64_e32 v[6:7], v[6:7], v[65:66]
	s_delay_alu instid0(VALU_DEP_2) | instskip(NEXT) | instid1(VALU_DEP_2)
	v_add_f64_e32 v[1:2], v[8:9], v[1:2]
	v_add_f64_e32 v[3:4], v[6:7], v[3:4]
	s_delay_alu instid0(VALU_DEP_2) | instskip(NEXT) | instid1(VALU_DEP_2)
	v_add_f64_e64 v[1:2], v[103:104], -v[1:2]
	v_add_f64_e64 v[3:4], v[105:106], -v[3:4]
	scratch_store_b128 off, v[1:4], off offset:240
	v_cmpx_lt_u32_e32 13, v0
	s_cbranch_execz .LBB24_137
; %bb.136:
	scratch_load_b128 v[1:4], off, s25
	v_mov_b32_e32 v6, 0
	s_delay_alu instid0(VALU_DEP_1)
	v_dual_mov_b32 v7, v6 :: v_dual_mov_b32 v8, v6
	v_mov_b32_e32 v9, v6
	scratch_store_b128 off, v[6:9], off offset:224
	s_wait_loadcnt 0x0
	ds_store_b128 v5, v[1:4]
.LBB24_137:
	s_wait_alu 0xfffe
	s_or_b32 exec_lo, exec_lo, s0
	s_wait_storecnt_dscnt 0x0
	s_barrier_signal -1
	s_barrier_wait -1
	global_inv scope:SCOPE_SE
	s_clause 0x7
	scratch_load_b128 v[6:9], off, off offset:240
	scratch_load_b128 v[63:66], off, off offset:256
	;; [unrolled: 1-line block ×8, first 2 shown]
	v_mov_b32_e32 v1, 0
	s_mov_b32 s0, exec_lo
	ds_load_b128 v[91:94], v1 offset:624
	s_clause 0x1
	scratch_load_b128 v[95:98], off, off offset:368
	scratch_load_b128 v[99:102], off, off offset:224
	ds_load_b128 v[103:106], v1 offset:640
	ds_load_b128 v[111:114], v1 offset:672
	s_wait_loadcnt_dscnt 0x902
	v_mul_f64_e32 v[2:3], v[93:94], v[8:9]
	v_mul_f64_e32 v[107:108], v[91:92], v[8:9]
	scratch_load_b128 v[8:11], off, off offset:384
	v_fma_f64 v[2:3], v[91:92], v[6:7], -v[2:3]
	v_fma_f64 v[6:7], v[93:94], v[6:7], v[107:108]
	ds_load_b128 v[91:94], v1 offset:656
	s_wait_loadcnt_dscnt 0x902
	v_mul_f64_e32 v[115:116], v[103:104], v[65:66]
	v_mul_f64_e32 v[65:66], v[105:106], v[65:66]
	scratch_load_b128 v[107:110], off, off offset:400
	s_wait_loadcnt_dscnt 0x900
	v_mul_f64_e32 v[117:118], v[91:92], v[69:70]
	v_mul_f64_e32 v[69:70], v[93:94], v[69:70]
	v_add_f64_e32 v[2:3], 0, v[2:3]
	v_add_f64_e32 v[6:7], 0, v[6:7]
	v_fma_f64 v[105:106], v[105:106], v[63:64], v[115:116]
	v_fma_f64 v[63:64], v[103:104], v[63:64], -v[65:66]
	s_wait_loadcnt 0x8
	v_mul_f64_e32 v[103:104], v[111:112], v[73:74]
	v_mul_f64_e32 v[73:74], v[113:114], v[73:74]
	v_fma_f64 v[93:94], v[93:94], v[67:68], v[117:118]
	v_fma_f64 v[91:92], v[91:92], v[67:68], -v[69:70]
	v_add_f64_e32 v[6:7], v[6:7], v[105:106]
	v_add_f64_e32 v[2:3], v[2:3], v[63:64]
	ds_load_b128 v[63:66], v1 offset:688
	ds_load_b128 v[67:70], v1 offset:704
	v_fma_f64 v[103:104], v[113:114], v[71:72], v[103:104]
	v_fma_f64 v[71:72], v[111:112], v[71:72], -v[73:74]
	s_wait_loadcnt_dscnt 0x701
	v_mul_f64_e32 v[105:106], v[63:64], v[77:78]
	v_mul_f64_e32 v[77:78], v[65:66], v[77:78]
	v_add_f64_e32 v[6:7], v[6:7], v[93:94]
	v_add_f64_e32 v[2:3], v[2:3], v[91:92]
	s_wait_loadcnt_dscnt 0x600
	v_mul_f64_e32 v[91:92], v[67:68], v[81:82]
	v_mul_f64_e32 v[81:82], v[69:70], v[81:82]
	v_fma_f64 v[93:94], v[65:66], v[75:76], v[105:106]
	v_fma_f64 v[75:76], v[63:64], v[75:76], -v[77:78]
	v_add_f64_e32 v[6:7], v[6:7], v[103:104]
	v_add_f64_e32 v[2:3], v[2:3], v[71:72]
	ds_load_b128 v[63:66], v1 offset:720
	ds_load_b128 v[71:74], v1 offset:736
	v_fma_f64 v[69:70], v[69:70], v[79:80], v[91:92]
	v_fma_f64 v[67:68], v[67:68], v[79:80], -v[81:82]
	s_wait_loadcnt_dscnt 0x501
	v_mul_f64_e32 v[77:78], v[63:64], v[85:86]
	v_mul_f64_e32 v[85:86], v[65:66], v[85:86]
	s_wait_loadcnt_dscnt 0x400
	v_mul_f64_e32 v[79:80], v[73:74], v[89:90]
	v_add_f64_e32 v[6:7], v[6:7], v[93:94]
	v_add_f64_e32 v[2:3], v[2:3], v[75:76]
	v_mul_f64_e32 v[75:76], v[71:72], v[89:90]
	v_fma_f64 v[77:78], v[65:66], v[83:84], v[77:78]
	v_fma_f64 v[81:82], v[63:64], v[83:84], -v[85:86]
	v_fma_f64 v[71:72], v[71:72], v[87:88], -v[79:80]
	v_add_f64_e32 v[6:7], v[6:7], v[69:70]
	v_add_f64_e32 v[2:3], v[2:3], v[67:68]
	ds_load_b128 v[63:66], v1 offset:752
	ds_load_b128 v[67:70], v1 offset:768
	v_fma_f64 v[73:74], v[73:74], v[87:88], v[75:76]
	s_wait_loadcnt_dscnt 0x301
	v_mul_f64_e32 v[83:84], v[63:64], v[97:98]
	v_mul_f64_e32 v[85:86], v[65:66], v[97:98]
	v_add_f64_e32 v[6:7], v[6:7], v[77:78]
	v_add_f64_e32 v[2:3], v[2:3], v[81:82]
	s_wait_loadcnt_dscnt 0x100
	v_mul_f64_e32 v[75:76], v[67:68], v[10:11]
	v_mul_f64_e32 v[10:11], v[69:70], v[10:11]
	v_fma_f64 v[77:78], v[65:66], v[95:96], v[83:84]
	v_fma_f64 v[79:80], v[63:64], v[95:96], -v[85:86]
	ds_load_b128 v[63:66], v1 offset:784
	v_add_f64_e32 v[6:7], v[6:7], v[73:74]
	v_add_f64_e32 v[2:3], v[2:3], v[71:72]
	v_fma_f64 v[69:70], v[69:70], v[8:9], v[75:76]
	v_fma_f64 v[8:9], v[67:68], v[8:9], -v[10:11]
	s_wait_loadcnt_dscnt 0x0
	v_mul_f64_e32 v[71:72], v[63:64], v[109:110]
	v_mul_f64_e32 v[73:74], v[65:66], v[109:110]
	v_add_f64_e32 v[6:7], v[6:7], v[77:78]
	v_add_f64_e32 v[2:3], v[2:3], v[79:80]
	s_delay_alu instid0(VALU_DEP_4) | instskip(NEXT) | instid1(VALU_DEP_4)
	v_fma_f64 v[10:11], v[65:66], v[107:108], v[71:72]
	v_fma_f64 v[63:64], v[63:64], v[107:108], -v[73:74]
	s_delay_alu instid0(VALU_DEP_4) | instskip(NEXT) | instid1(VALU_DEP_4)
	v_add_f64_e32 v[6:7], v[6:7], v[69:70]
	v_add_f64_e32 v[2:3], v[2:3], v[8:9]
	s_delay_alu instid0(VALU_DEP_2) | instskip(NEXT) | instid1(VALU_DEP_2)
	v_add_f64_e32 v[8:9], v[6:7], v[10:11]
	v_add_f64_e32 v[2:3], v[2:3], v[63:64]
	s_delay_alu instid0(VALU_DEP_2) | instskip(NEXT) | instid1(VALU_DEP_2)
	v_add_f64_e64 v[8:9], v[101:102], -v[8:9]
	v_add_f64_e64 v[6:7], v[99:100], -v[2:3]
	scratch_store_b128 off, v[6:9], off offset:224
	v_cmpx_lt_u32_e32 12, v0
	s_cbranch_execz .LBB24_139
; %bb.138:
	scratch_load_b128 v[6:9], off, s31
	v_dual_mov_b32 v2, v1 :: v_dual_mov_b32 v3, v1
	v_mov_b32_e32 v4, v1
	scratch_store_b128 off, v[1:4], off offset:208
	s_wait_loadcnt 0x0
	ds_store_b128 v5, v[6:9]
.LBB24_139:
	s_wait_alu 0xfffe
	s_or_b32 exec_lo, exec_lo, s0
	s_wait_storecnt_dscnt 0x0
	s_barrier_signal -1
	s_barrier_wait -1
	global_inv scope:SCOPE_SE
	s_clause 0x8
	scratch_load_b128 v[6:9], off, off offset:224
	scratch_load_b128 v[63:66], off, off offset:240
	;; [unrolled: 1-line block ×9, first 2 shown]
	ds_load_b128 v[95:98], v1 offset:608
	ds_load_b128 v[99:102], v1 offset:624
	scratch_load_b128 v[103:106], off, off offset:208
	s_mov_b32 s0, exec_lo
	ds_load_b128 v[111:114], v1 offset:656
	s_wait_loadcnt_dscnt 0x902
	v_mul_f64_e32 v[2:3], v[97:98], v[8:9]
	v_mul_f64_e32 v[107:108], v[95:96], v[8:9]
	scratch_load_b128 v[8:11], off, off offset:368
	s_wait_loadcnt_dscnt 0x901
	v_mul_f64_e32 v[115:116], v[99:100], v[65:66]
	v_mul_f64_e32 v[65:66], v[101:102], v[65:66]
	v_fma_f64 v[2:3], v[95:96], v[6:7], -v[2:3]
	v_fma_f64 v[6:7], v[97:98], v[6:7], v[107:108]
	ds_load_b128 v[95:98], v1 offset:640
	scratch_load_b128 v[107:110], off, off offset:384
	v_fma_f64 v[101:102], v[101:102], v[63:64], v[115:116]
	v_fma_f64 v[99:100], v[99:100], v[63:64], -v[65:66]
	scratch_load_b128 v[63:66], off, off offset:400
	s_wait_loadcnt_dscnt 0x901
	v_mul_f64_e32 v[115:116], v[111:112], v[73:74]
	v_mul_f64_e32 v[73:74], v[113:114], v[73:74]
	s_wait_dscnt 0x0
	v_mul_f64_e32 v[117:118], v[95:96], v[69:70]
	v_mul_f64_e32 v[69:70], v[97:98], v[69:70]
	v_add_f64_e32 v[2:3], 0, v[2:3]
	v_add_f64_e32 v[6:7], 0, v[6:7]
	s_delay_alu instid0(VALU_DEP_4) | instskip(NEXT) | instid1(VALU_DEP_4)
	v_fma_f64 v[117:118], v[97:98], v[67:68], v[117:118]
	v_fma_f64 v[119:120], v[95:96], v[67:68], -v[69:70]
	ds_load_b128 v[67:70], v1 offset:672
	ds_load_b128 v[95:98], v1 offset:688
	v_add_f64_e32 v[2:3], v[2:3], v[99:100]
	v_add_f64_e32 v[6:7], v[6:7], v[101:102]
	v_fma_f64 v[101:102], v[113:114], v[71:72], v[115:116]
	v_fma_f64 v[71:72], v[111:112], v[71:72], -v[73:74]
	s_wait_loadcnt_dscnt 0x801
	v_mul_f64_e32 v[99:100], v[67:68], v[77:78]
	v_mul_f64_e32 v[77:78], v[69:70], v[77:78]
	s_wait_loadcnt_dscnt 0x700
	v_mul_f64_e32 v[111:112], v[95:96], v[81:82]
	v_mul_f64_e32 v[81:82], v[97:98], v[81:82]
	v_add_f64_e32 v[2:3], v[2:3], v[119:120]
	v_add_f64_e32 v[6:7], v[6:7], v[117:118]
	v_fma_f64 v[99:100], v[69:70], v[75:76], v[99:100]
	v_fma_f64 v[75:76], v[67:68], v[75:76], -v[77:78]
	v_fma_f64 v[97:98], v[97:98], v[79:80], v[111:112]
	v_fma_f64 v[79:80], v[95:96], v[79:80], -v[81:82]
	v_add_f64_e32 v[2:3], v[2:3], v[71:72]
	v_add_f64_e32 v[6:7], v[6:7], v[101:102]
	ds_load_b128 v[67:70], v1 offset:704
	ds_load_b128 v[71:74], v1 offset:720
	s_wait_loadcnt_dscnt 0x601
	v_mul_f64_e32 v[77:78], v[67:68], v[85:86]
	v_mul_f64_e32 v[85:86], v[69:70], v[85:86]
	s_wait_loadcnt_dscnt 0x500
	v_mul_f64_e32 v[81:82], v[71:72], v[89:90]
	v_mul_f64_e32 v[89:90], v[73:74], v[89:90]
	v_add_f64_e32 v[2:3], v[2:3], v[75:76]
	v_add_f64_e32 v[6:7], v[6:7], v[99:100]
	v_fma_f64 v[95:96], v[69:70], v[83:84], v[77:78]
	v_fma_f64 v[83:84], v[67:68], v[83:84], -v[85:86]
	ds_load_b128 v[67:70], v1 offset:736
	ds_load_b128 v[75:78], v1 offset:752
	v_fma_f64 v[73:74], v[73:74], v[87:88], v[81:82]
	v_fma_f64 v[71:72], v[71:72], v[87:88], -v[89:90]
	v_add_f64_e32 v[2:3], v[2:3], v[79:80]
	v_add_f64_e32 v[6:7], v[6:7], v[97:98]
	s_wait_loadcnt_dscnt 0x401
	v_mul_f64_e32 v[79:80], v[67:68], v[93:94]
	v_mul_f64_e32 v[85:86], v[69:70], v[93:94]
	s_delay_alu instid0(VALU_DEP_4) | instskip(NEXT) | instid1(VALU_DEP_4)
	v_add_f64_e32 v[2:3], v[2:3], v[83:84]
	v_add_f64_e32 v[6:7], v[6:7], v[95:96]
	s_delay_alu instid0(VALU_DEP_4) | instskip(NEXT) | instid1(VALU_DEP_4)
	v_fma_f64 v[79:80], v[69:70], v[91:92], v[79:80]
	v_fma_f64 v[83:84], v[67:68], v[91:92], -v[85:86]
	s_wait_loadcnt_dscnt 0x200
	v_mul_f64_e32 v[81:82], v[75:76], v[10:11]
	v_mul_f64_e32 v[10:11], v[77:78], v[10:11]
	v_add_f64_e32 v[71:72], v[2:3], v[71:72]
	v_add_f64_e32 v[6:7], v[6:7], v[73:74]
	ds_load_b128 v[67:70], v1 offset:768
	ds_load_b128 v[1:4], v1 offset:784
	v_fma_f64 v[77:78], v[77:78], v[8:9], v[81:82]
	v_fma_f64 v[8:9], v[75:76], v[8:9], -v[10:11]
	s_wait_loadcnt_dscnt 0x101
	v_mul_f64_e32 v[73:74], v[67:68], v[109:110]
	v_mul_f64_e32 v[85:86], v[69:70], v[109:110]
	v_add_f64_e32 v[10:11], v[71:72], v[83:84]
	v_add_f64_e32 v[6:7], v[6:7], v[79:80]
	s_wait_loadcnt_dscnt 0x0
	v_mul_f64_e32 v[71:72], v[1:2], v[65:66]
	v_mul_f64_e32 v[65:66], v[3:4], v[65:66]
	v_fma_f64 v[69:70], v[69:70], v[107:108], v[73:74]
	v_fma_f64 v[67:68], v[67:68], v[107:108], -v[85:86]
	v_add_f64_e32 v[8:9], v[10:11], v[8:9]
	v_add_f64_e32 v[6:7], v[6:7], v[77:78]
	v_fma_f64 v[3:4], v[3:4], v[63:64], v[71:72]
	v_fma_f64 v[1:2], v[1:2], v[63:64], -v[65:66]
	s_delay_alu instid0(VALU_DEP_4) | instskip(NEXT) | instid1(VALU_DEP_4)
	v_add_f64_e32 v[8:9], v[8:9], v[67:68]
	v_add_f64_e32 v[6:7], v[6:7], v[69:70]
	s_delay_alu instid0(VALU_DEP_2) | instskip(NEXT) | instid1(VALU_DEP_2)
	v_add_f64_e32 v[1:2], v[8:9], v[1:2]
	v_add_f64_e32 v[3:4], v[6:7], v[3:4]
	s_delay_alu instid0(VALU_DEP_2) | instskip(NEXT) | instid1(VALU_DEP_2)
	v_add_f64_e64 v[1:2], v[103:104], -v[1:2]
	v_add_f64_e64 v[3:4], v[105:106], -v[3:4]
	scratch_store_b128 off, v[1:4], off offset:208
	v_cmpx_lt_u32_e32 11, v0
	s_cbranch_execz .LBB24_141
; %bb.140:
	scratch_load_b128 v[1:4], off, s24
	v_mov_b32_e32 v6, 0
	s_delay_alu instid0(VALU_DEP_1)
	v_dual_mov_b32 v7, v6 :: v_dual_mov_b32 v8, v6
	v_mov_b32_e32 v9, v6
	scratch_store_b128 off, v[6:9], off offset:192
	s_wait_loadcnt 0x0
	ds_store_b128 v5, v[1:4]
.LBB24_141:
	s_wait_alu 0xfffe
	s_or_b32 exec_lo, exec_lo, s0
	s_wait_storecnt_dscnt 0x0
	s_barrier_signal -1
	s_barrier_wait -1
	global_inv scope:SCOPE_SE
	s_clause 0x7
	scratch_load_b128 v[6:9], off, off offset:208
	scratch_load_b128 v[63:66], off, off offset:224
	;; [unrolled: 1-line block ×8, first 2 shown]
	v_mov_b32_e32 v1, 0
	s_clause 0x1
	scratch_load_b128 v[95:98], off, off offset:336
	scratch_load_b128 v[99:102], off, off offset:352
	s_mov_b32 s0, exec_lo
	ds_load_b128 v[91:94], v1 offset:592
	s_wait_loadcnt_dscnt 0x900
	v_mul_f64_e32 v[2:3], v[93:94], v[8:9]
	v_mul_f64_e32 v[103:104], v[91:92], v[8:9]
	ds_load_b128 v[8:11], v1 offset:608
	v_fma_f64 v[2:3], v[91:92], v[6:7], -v[2:3]
	v_fma_f64 v[6:7], v[93:94], v[6:7], v[103:104]
	ds_load_b128 v[91:94], v1 offset:624
	s_wait_loadcnt_dscnt 0x801
	v_mul_f64_e32 v[107:108], v[8:9], v[65:66]
	v_mul_f64_e32 v[65:66], v[10:11], v[65:66]
	scratch_load_b128 v[103:106], off, off offset:368
	s_wait_loadcnt_dscnt 0x800
	v_mul_f64_e32 v[109:110], v[91:92], v[69:70]
	v_mul_f64_e32 v[69:70], v[93:94], v[69:70]
	v_add_f64_e32 v[2:3], 0, v[2:3]
	v_add_f64_e32 v[111:112], 0, v[6:7]
	v_fma_f64 v[10:11], v[10:11], v[63:64], v[107:108]
	v_fma_f64 v[107:108], v[8:9], v[63:64], -v[65:66]
	ds_load_b128 v[6:9], v1 offset:640
	scratch_load_b128 v[63:66], off, off offset:384
	v_fma_f64 v[109:110], v[93:94], v[67:68], v[109:110]
	v_fma_f64 v[115:116], v[91:92], v[67:68], -v[69:70]
	ds_load_b128 v[67:70], v1 offset:656
	s_wait_loadcnt_dscnt 0x801
	v_mul_f64_e32 v[113:114], v[6:7], v[73:74]
	v_mul_f64_e32 v[73:74], v[8:9], v[73:74]
	scratch_load_b128 v[91:94], off, off offset:400
	v_add_f64_e32 v[10:11], v[111:112], v[10:11]
	v_add_f64_e32 v[2:3], v[2:3], v[107:108]
	s_wait_loadcnt_dscnt 0x800
	v_mul_f64_e32 v[107:108], v[67:68], v[77:78]
	v_mul_f64_e32 v[77:78], v[69:70], v[77:78]
	v_fma_f64 v[111:112], v[8:9], v[71:72], v[113:114]
	v_fma_f64 v[71:72], v[6:7], v[71:72], -v[73:74]
	ds_load_b128 v[6:9], v1 offset:672
	v_add_f64_e32 v[10:11], v[10:11], v[109:110]
	v_add_f64_e32 v[2:3], v[2:3], v[115:116]
	v_fma_f64 v[107:108], v[69:70], v[75:76], v[107:108]
	v_fma_f64 v[75:76], v[67:68], v[75:76], -v[77:78]
	ds_load_b128 v[67:70], v1 offset:688
	s_wait_loadcnt_dscnt 0x701
	v_mul_f64_e32 v[73:74], v[6:7], v[81:82]
	v_mul_f64_e32 v[81:82], v[8:9], v[81:82]
	s_wait_loadcnt_dscnt 0x600
	v_mul_f64_e32 v[77:78], v[67:68], v[85:86]
	v_mul_f64_e32 v[85:86], v[69:70], v[85:86]
	v_add_f64_e32 v[10:11], v[10:11], v[111:112]
	v_add_f64_e32 v[2:3], v[2:3], v[71:72]
	v_fma_f64 v[109:110], v[8:9], v[79:80], v[73:74]
	v_fma_f64 v[79:80], v[6:7], v[79:80], -v[81:82]
	ds_load_b128 v[6:9], v1 offset:704
	scratch_load_b128 v[71:74], off, off offset:192
	v_fma_f64 v[77:78], v[69:70], v[83:84], v[77:78]
	v_fma_f64 v[83:84], v[67:68], v[83:84], -v[85:86]
	ds_load_b128 v[67:70], v1 offset:720
	s_wait_loadcnt_dscnt 0x601
	v_mul_f64_e32 v[81:82], v[8:9], v[89:90]
	v_add_f64_e32 v[10:11], v[10:11], v[107:108]
	v_add_f64_e32 v[2:3], v[2:3], v[75:76]
	v_mul_f64_e32 v[75:76], v[6:7], v[89:90]
	s_wait_loadcnt_dscnt 0x500
	v_mul_f64_e32 v[85:86], v[69:70], v[97:98]
	v_fma_f64 v[81:82], v[6:7], v[87:88], -v[81:82]
	v_add_f64_e32 v[10:11], v[10:11], v[109:110]
	v_add_f64_e32 v[2:3], v[2:3], v[79:80]
	v_mul_f64_e32 v[79:80], v[67:68], v[97:98]
	v_fma_f64 v[75:76], v[8:9], v[87:88], v[75:76]
	ds_load_b128 v[6:9], v1 offset:736
	v_fma_f64 v[85:86], v[67:68], v[95:96], -v[85:86]
	v_add_f64_e32 v[10:11], v[10:11], v[77:78]
	v_add_f64_e32 v[2:3], v[2:3], v[83:84]
	v_fma_f64 v[79:80], v[69:70], v[95:96], v[79:80]
	ds_load_b128 v[67:70], v1 offset:752
	s_wait_loadcnt_dscnt 0x401
	v_mul_f64_e32 v[77:78], v[6:7], v[101:102]
	v_mul_f64_e32 v[83:84], v[8:9], v[101:102]
	v_add_f64_e32 v[10:11], v[10:11], v[75:76]
	v_add_f64_e32 v[2:3], v[2:3], v[81:82]
	s_delay_alu instid0(VALU_DEP_4) | instskip(NEXT) | instid1(VALU_DEP_4)
	v_fma_f64 v[77:78], v[8:9], v[99:100], v[77:78]
	v_fma_f64 v[83:84], v[6:7], v[99:100], -v[83:84]
	ds_load_b128 v[6:9], v1 offset:768
	s_wait_loadcnt_dscnt 0x301
	v_mul_f64_e32 v[75:76], v[67:68], v[105:106]
	v_mul_f64_e32 v[81:82], v[69:70], v[105:106]
	v_add_f64_e32 v[10:11], v[10:11], v[79:80]
	v_add_f64_e32 v[2:3], v[2:3], v[85:86]
	s_delay_alu instid0(VALU_DEP_4)
	v_fma_f64 v[69:70], v[69:70], v[103:104], v[75:76]
	s_wait_loadcnt_dscnt 0x200
	v_mul_f64_e32 v[79:80], v[6:7], v[65:66]
	v_mul_f64_e32 v[85:86], v[8:9], v[65:66]
	v_fma_f64 v[75:76], v[67:68], v[103:104], -v[81:82]
	ds_load_b128 v[65:68], v1 offset:784
	v_add_f64_e32 v[10:11], v[10:11], v[77:78]
	v_add_f64_e32 v[2:3], v[2:3], v[83:84]
	s_wait_loadcnt_dscnt 0x100
	v_mul_f64_e32 v[77:78], v[65:66], v[93:94]
	v_mul_f64_e32 v[81:82], v[67:68], v[93:94]
	v_fma_f64 v[8:9], v[8:9], v[63:64], v[79:80]
	v_fma_f64 v[6:7], v[6:7], v[63:64], -v[85:86]
	v_add_f64_e32 v[10:11], v[10:11], v[69:70]
	v_add_f64_e32 v[2:3], v[2:3], v[75:76]
	v_fma_f64 v[63:64], v[67:68], v[91:92], v[77:78]
	v_fma_f64 v[65:66], v[65:66], v[91:92], -v[81:82]
	s_delay_alu instid0(VALU_DEP_3) | instskip(SKIP_1) | instid1(VALU_DEP_2)
	v_add_f64_e32 v[2:3], v[2:3], v[6:7]
	v_add_f64_e32 v[6:7], v[10:11], v[8:9]
	;; [unrolled: 1-line block ×3, first 2 shown]
	s_delay_alu instid0(VALU_DEP_2) | instskip(SKIP_1) | instid1(VALU_DEP_2)
	v_add_f64_e32 v[8:9], v[6:7], v[63:64]
	s_wait_loadcnt 0x0
	v_add_f64_e64 v[6:7], v[71:72], -v[2:3]
	s_delay_alu instid0(VALU_DEP_2)
	v_add_f64_e64 v[8:9], v[73:74], -v[8:9]
	scratch_store_b128 off, v[6:9], off offset:192
	v_cmpx_lt_u32_e32 10, v0
	s_cbranch_execz .LBB24_143
; %bb.142:
	scratch_load_b128 v[6:9], off, s30
	v_dual_mov_b32 v2, v1 :: v_dual_mov_b32 v3, v1
	v_mov_b32_e32 v4, v1
	scratch_store_b128 off, v[1:4], off offset:176
	s_wait_loadcnt 0x0
	ds_store_b128 v5, v[6:9]
.LBB24_143:
	s_wait_alu 0xfffe
	s_or_b32 exec_lo, exec_lo, s0
	s_wait_storecnt_dscnt 0x0
	s_barrier_signal -1
	s_barrier_wait -1
	global_inv scope:SCOPE_SE
	s_clause 0x7
	scratch_load_b128 v[6:9], off, off offset:192
	scratch_load_b128 v[63:66], off, off offset:208
	;; [unrolled: 1-line block ×8, first 2 shown]
	ds_load_b128 v[91:94], v1 offset:576
	s_clause 0x1
	scratch_load_b128 v[95:98], off, off offset:320
	scratch_load_b128 v[99:102], off, off offset:336
	s_mov_b32 s0, exec_lo
	s_wait_loadcnt_dscnt 0x900
	v_mul_f64_e32 v[2:3], v[93:94], v[8:9]
	v_mul_f64_e32 v[103:104], v[91:92], v[8:9]
	ds_load_b128 v[8:11], v1 offset:592
	v_fma_f64 v[2:3], v[91:92], v[6:7], -v[2:3]
	v_fma_f64 v[6:7], v[93:94], v[6:7], v[103:104]
	ds_load_b128 v[91:94], v1 offset:608
	s_wait_loadcnt_dscnt 0x801
	v_mul_f64_e32 v[107:108], v[8:9], v[65:66]
	v_mul_f64_e32 v[65:66], v[10:11], v[65:66]
	scratch_load_b128 v[103:106], off, off offset:352
	s_wait_loadcnt_dscnt 0x800
	v_mul_f64_e32 v[109:110], v[91:92], v[69:70]
	v_mul_f64_e32 v[69:70], v[93:94], v[69:70]
	v_add_f64_e32 v[2:3], 0, v[2:3]
	v_add_f64_e32 v[111:112], 0, v[6:7]
	v_fma_f64 v[10:11], v[10:11], v[63:64], v[107:108]
	v_fma_f64 v[107:108], v[8:9], v[63:64], -v[65:66]
	ds_load_b128 v[6:9], v1 offset:624
	scratch_load_b128 v[63:66], off, off offset:368
	v_fma_f64 v[109:110], v[93:94], v[67:68], v[109:110]
	v_fma_f64 v[115:116], v[91:92], v[67:68], -v[69:70]
	ds_load_b128 v[67:70], v1 offset:640
	s_wait_loadcnt_dscnt 0x801
	v_mul_f64_e32 v[113:114], v[6:7], v[73:74]
	v_mul_f64_e32 v[73:74], v[8:9], v[73:74]
	scratch_load_b128 v[91:94], off, off offset:384
	v_add_f64_e32 v[10:11], v[111:112], v[10:11]
	v_add_f64_e32 v[2:3], v[2:3], v[107:108]
	s_wait_loadcnt_dscnt 0x800
	v_mul_f64_e32 v[107:108], v[67:68], v[77:78]
	v_mul_f64_e32 v[77:78], v[69:70], v[77:78]
	v_fma_f64 v[111:112], v[8:9], v[71:72], v[113:114]
	v_fma_f64 v[113:114], v[6:7], v[71:72], -v[73:74]
	ds_load_b128 v[6:9], v1 offset:656
	scratch_load_b128 v[71:74], off, off offset:400
	v_add_f64_e32 v[10:11], v[10:11], v[109:110]
	v_add_f64_e32 v[2:3], v[2:3], v[115:116]
	v_fma_f64 v[107:108], v[69:70], v[75:76], v[107:108]
	v_fma_f64 v[75:76], v[67:68], v[75:76], -v[77:78]
	ds_load_b128 v[67:70], v1 offset:672
	s_wait_loadcnt_dscnt 0x801
	v_mul_f64_e32 v[109:110], v[6:7], v[81:82]
	v_mul_f64_e32 v[81:82], v[8:9], v[81:82]
	s_wait_loadcnt_dscnt 0x700
	v_mul_f64_e32 v[77:78], v[67:68], v[85:86]
	v_mul_f64_e32 v[85:86], v[69:70], v[85:86]
	v_add_f64_e32 v[10:11], v[10:11], v[111:112]
	v_add_f64_e32 v[2:3], v[2:3], v[113:114]
	v_fma_f64 v[109:110], v[8:9], v[79:80], v[109:110]
	v_fma_f64 v[79:80], v[6:7], v[79:80], -v[81:82]
	ds_load_b128 v[6:9], v1 offset:688
	v_add_f64_e32 v[10:11], v[10:11], v[107:108]
	v_add_f64_e32 v[2:3], v[2:3], v[75:76]
	v_fma_f64 v[107:108], v[69:70], v[83:84], v[77:78]
	v_fma_f64 v[83:84], v[67:68], v[83:84], -v[85:86]
	ds_load_b128 v[67:70], v1 offset:704
	s_wait_loadcnt_dscnt 0x601
	v_mul_f64_e32 v[81:82], v[6:7], v[89:90]
	v_mul_f64_e32 v[89:90], v[8:9], v[89:90]
	scratch_load_b128 v[75:78], off, off offset:176
	s_wait_loadcnt_dscnt 0x600
	v_mul_f64_e32 v[85:86], v[69:70], v[97:98]
	v_add_f64_e32 v[10:11], v[10:11], v[109:110]
	v_add_f64_e32 v[2:3], v[2:3], v[79:80]
	v_mul_f64_e32 v[79:80], v[67:68], v[97:98]
	v_fma_f64 v[81:82], v[8:9], v[87:88], v[81:82]
	v_fma_f64 v[87:88], v[6:7], v[87:88], -v[89:90]
	ds_load_b128 v[6:9], v1 offset:720
	v_fma_f64 v[85:86], v[67:68], v[95:96], -v[85:86]
	v_add_f64_e32 v[10:11], v[10:11], v[107:108]
	v_add_f64_e32 v[2:3], v[2:3], v[83:84]
	v_fma_f64 v[79:80], v[69:70], v[95:96], v[79:80]
	ds_load_b128 v[67:70], v1 offset:736
	s_wait_loadcnt_dscnt 0x501
	v_mul_f64_e32 v[83:84], v[6:7], v[101:102]
	v_mul_f64_e32 v[89:90], v[8:9], v[101:102]
	v_add_f64_e32 v[10:11], v[10:11], v[81:82]
	v_add_f64_e32 v[2:3], v[2:3], v[87:88]
	s_delay_alu instid0(VALU_DEP_4) | instskip(NEXT) | instid1(VALU_DEP_4)
	v_fma_f64 v[83:84], v[8:9], v[99:100], v[83:84]
	v_fma_f64 v[89:90], v[6:7], v[99:100], -v[89:90]
	ds_load_b128 v[6:9], v1 offset:752
	s_wait_loadcnt_dscnt 0x401
	v_mul_f64_e32 v[81:82], v[67:68], v[105:106]
	v_mul_f64_e32 v[87:88], v[69:70], v[105:106]
	v_add_f64_e32 v[10:11], v[10:11], v[79:80]
	v_add_f64_e32 v[2:3], v[2:3], v[85:86]
	s_delay_alu instid0(VALU_DEP_4)
	v_fma_f64 v[69:70], v[69:70], v[103:104], v[81:82]
	s_wait_loadcnt_dscnt 0x300
	v_mul_f64_e32 v[79:80], v[6:7], v[65:66]
	v_mul_f64_e32 v[85:86], v[8:9], v[65:66]
	v_fma_f64 v[81:82], v[67:68], v[103:104], -v[87:88]
	ds_load_b128 v[65:68], v1 offset:768
	v_add_f64_e32 v[10:11], v[10:11], v[83:84]
	v_add_f64_e32 v[2:3], v[2:3], v[89:90]
	s_wait_loadcnt_dscnt 0x200
	v_mul_f64_e32 v[83:84], v[65:66], v[93:94]
	v_mul_f64_e32 v[87:88], v[67:68], v[93:94]
	v_fma_f64 v[8:9], v[8:9], v[63:64], v[79:80]
	v_fma_f64 v[6:7], v[6:7], v[63:64], -v[85:86]
	v_add_f64_e32 v[10:11], v[10:11], v[69:70]
	v_add_f64_e32 v[63:64], v[2:3], v[81:82]
	ds_load_b128 v[1:4], v1 offset:784
	v_fma_f64 v[67:68], v[67:68], v[91:92], v[83:84]
	v_fma_f64 v[65:66], v[65:66], v[91:92], -v[87:88]
	s_wait_loadcnt_dscnt 0x100
	v_mul_f64_e32 v[69:70], v[1:2], v[73:74]
	v_mul_f64_e32 v[73:74], v[3:4], v[73:74]
	v_add_f64_e32 v[8:9], v[10:11], v[8:9]
	v_add_f64_e32 v[6:7], v[63:64], v[6:7]
	s_delay_alu instid0(VALU_DEP_4) | instskip(NEXT) | instid1(VALU_DEP_4)
	v_fma_f64 v[3:4], v[3:4], v[71:72], v[69:70]
	v_fma_f64 v[1:2], v[1:2], v[71:72], -v[73:74]
	s_delay_alu instid0(VALU_DEP_4) | instskip(NEXT) | instid1(VALU_DEP_4)
	v_add_f64_e32 v[8:9], v[8:9], v[67:68]
	v_add_f64_e32 v[6:7], v[6:7], v[65:66]
	s_delay_alu instid0(VALU_DEP_2) | instskip(NEXT) | instid1(VALU_DEP_2)
	v_add_f64_e32 v[3:4], v[8:9], v[3:4]
	v_add_f64_e32 v[1:2], v[6:7], v[1:2]
	s_wait_loadcnt 0x0
	s_delay_alu instid0(VALU_DEP_2) | instskip(NEXT) | instid1(VALU_DEP_2)
	v_add_f64_e64 v[3:4], v[77:78], -v[3:4]
	v_add_f64_e64 v[1:2], v[75:76], -v[1:2]
	scratch_store_b128 off, v[1:4], off offset:176
	v_cmpx_lt_u32_e32 9, v0
	s_cbranch_execz .LBB24_145
; %bb.144:
	scratch_load_b128 v[1:4], off, s23
	v_mov_b32_e32 v6, 0
	s_delay_alu instid0(VALU_DEP_1)
	v_dual_mov_b32 v7, v6 :: v_dual_mov_b32 v8, v6
	v_mov_b32_e32 v9, v6
	scratch_store_b128 off, v[6:9], off offset:160
	s_wait_loadcnt 0x0
	ds_store_b128 v5, v[1:4]
.LBB24_145:
	s_wait_alu 0xfffe
	s_or_b32 exec_lo, exec_lo, s0
	s_wait_storecnt_dscnt 0x0
	s_barrier_signal -1
	s_barrier_wait -1
	global_inv scope:SCOPE_SE
	s_clause 0x7
	scratch_load_b128 v[6:9], off, off offset:176
	scratch_load_b128 v[63:66], off, off offset:192
	;; [unrolled: 1-line block ×8, first 2 shown]
	v_mov_b32_e32 v1, 0
	s_clause 0x1
	scratch_load_b128 v[95:98], off, off offset:304
	scratch_load_b128 v[99:102], off, off offset:320
	s_mov_b32 s0, exec_lo
	ds_load_b128 v[91:94], v1 offset:560
	s_wait_loadcnt_dscnt 0x900
	v_mul_f64_e32 v[2:3], v[93:94], v[8:9]
	v_mul_f64_e32 v[103:104], v[91:92], v[8:9]
	ds_load_b128 v[8:11], v1 offset:576
	v_fma_f64 v[2:3], v[91:92], v[6:7], -v[2:3]
	v_fma_f64 v[6:7], v[93:94], v[6:7], v[103:104]
	ds_load_b128 v[91:94], v1 offset:592
	s_wait_loadcnt_dscnt 0x801
	v_mul_f64_e32 v[107:108], v[8:9], v[65:66]
	v_mul_f64_e32 v[65:66], v[10:11], v[65:66]
	scratch_load_b128 v[103:106], off, off offset:336
	s_wait_loadcnt_dscnt 0x800
	v_mul_f64_e32 v[109:110], v[91:92], v[69:70]
	v_mul_f64_e32 v[69:70], v[93:94], v[69:70]
	v_add_f64_e32 v[2:3], 0, v[2:3]
	v_add_f64_e32 v[111:112], 0, v[6:7]
	v_fma_f64 v[10:11], v[10:11], v[63:64], v[107:108]
	v_fma_f64 v[107:108], v[8:9], v[63:64], -v[65:66]
	ds_load_b128 v[6:9], v1 offset:608
	scratch_load_b128 v[63:66], off, off offset:352
	v_fma_f64 v[109:110], v[93:94], v[67:68], v[109:110]
	v_fma_f64 v[115:116], v[91:92], v[67:68], -v[69:70]
	ds_load_b128 v[67:70], v1 offset:624
	s_wait_loadcnt_dscnt 0x801
	v_mul_f64_e32 v[113:114], v[6:7], v[73:74]
	v_mul_f64_e32 v[73:74], v[8:9], v[73:74]
	scratch_load_b128 v[91:94], off, off offset:368
	v_add_f64_e32 v[10:11], v[111:112], v[10:11]
	v_add_f64_e32 v[2:3], v[2:3], v[107:108]
	s_wait_loadcnt_dscnt 0x800
	v_mul_f64_e32 v[107:108], v[67:68], v[77:78]
	v_mul_f64_e32 v[77:78], v[69:70], v[77:78]
	v_fma_f64 v[111:112], v[8:9], v[71:72], v[113:114]
	v_fma_f64 v[113:114], v[6:7], v[71:72], -v[73:74]
	ds_load_b128 v[6:9], v1 offset:640
	scratch_load_b128 v[71:74], off, off offset:384
	v_add_f64_e32 v[10:11], v[10:11], v[109:110]
	v_add_f64_e32 v[2:3], v[2:3], v[115:116]
	v_fma_f64 v[107:108], v[69:70], v[75:76], v[107:108]
	v_fma_f64 v[115:116], v[67:68], v[75:76], -v[77:78]
	ds_load_b128 v[67:70], v1 offset:656
	s_wait_loadcnt_dscnt 0x801
	v_mul_f64_e32 v[109:110], v[6:7], v[81:82]
	v_mul_f64_e32 v[81:82], v[8:9], v[81:82]
	scratch_load_b128 v[75:78], off, off offset:400
	v_add_f64_e32 v[10:11], v[10:11], v[111:112]
	v_add_f64_e32 v[2:3], v[2:3], v[113:114]
	s_wait_loadcnt_dscnt 0x800
	v_mul_f64_e32 v[111:112], v[67:68], v[85:86]
	v_mul_f64_e32 v[85:86], v[69:70], v[85:86]
	v_fma_f64 v[109:110], v[8:9], v[79:80], v[109:110]
	v_fma_f64 v[79:80], v[6:7], v[79:80], -v[81:82]
	ds_load_b128 v[6:9], v1 offset:672
	v_add_f64_e32 v[10:11], v[10:11], v[107:108]
	v_add_f64_e32 v[2:3], v[2:3], v[115:116]
	v_fma_f64 v[107:108], v[69:70], v[83:84], v[111:112]
	v_fma_f64 v[83:84], v[67:68], v[83:84], -v[85:86]
	ds_load_b128 v[67:70], v1 offset:688
	s_wait_loadcnt_dscnt 0x701
	v_mul_f64_e32 v[81:82], v[6:7], v[89:90]
	v_mul_f64_e32 v[89:90], v[8:9], v[89:90]
	v_add_f64_e32 v[10:11], v[10:11], v[109:110]
	v_add_f64_e32 v[2:3], v[2:3], v[79:80]
	s_delay_alu instid0(VALU_DEP_4) | instskip(NEXT) | instid1(VALU_DEP_4)
	v_fma_f64 v[109:110], v[8:9], v[87:88], v[81:82]
	v_fma_f64 v[87:88], v[6:7], v[87:88], -v[89:90]
	scratch_load_b128 v[79:82], off, off offset:160
	s_wait_loadcnt_dscnt 0x700
	v_mul_f64_e32 v[85:86], v[67:68], v[97:98]
	v_mul_f64_e32 v[97:98], v[69:70], v[97:98]
	ds_load_b128 v[6:9], v1 offset:704
	v_add_f64_e32 v[10:11], v[10:11], v[107:108]
	v_add_f64_e32 v[2:3], v[2:3], v[83:84]
	v_fma_f64 v[85:86], v[69:70], v[95:96], v[85:86]
	v_fma_f64 v[95:96], v[67:68], v[95:96], -v[97:98]
	ds_load_b128 v[67:70], v1 offset:720
	s_wait_loadcnt_dscnt 0x601
	v_mul_f64_e32 v[83:84], v[6:7], v[101:102]
	v_mul_f64_e32 v[89:90], v[8:9], v[101:102]
	v_add_f64_e32 v[10:11], v[10:11], v[109:110]
	v_add_f64_e32 v[2:3], v[2:3], v[87:88]
	s_delay_alu instid0(VALU_DEP_4) | instskip(NEXT) | instid1(VALU_DEP_4)
	v_fma_f64 v[83:84], v[8:9], v[99:100], v[83:84]
	v_fma_f64 v[89:90], v[6:7], v[99:100], -v[89:90]
	ds_load_b128 v[6:9], v1 offset:736
	s_wait_loadcnt_dscnt 0x501
	v_mul_f64_e32 v[87:88], v[67:68], v[105:106]
	v_mul_f64_e32 v[97:98], v[69:70], v[105:106]
	v_add_f64_e32 v[10:11], v[10:11], v[85:86]
	v_add_f64_e32 v[2:3], v[2:3], v[95:96]
	s_delay_alu instid0(VALU_DEP_4)
	v_fma_f64 v[69:70], v[69:70], v[103:104], v[87:88]
	s_wait_loadcnt_dscnt 0x400
	v_mul_f64_e32 v[85:86], v[6:7], v[65:66]
	v_mul_f64_e32 v[95:96], v[8:9], v[65:66]
	v_fma_f64 v[87:88], v[67:68], v[103:104], -v[97:98]
	ds_load_b128 v[65:68], v1 offset:752
	v_add_f64_e32 v[10:11], v[10:11], v[83:84]
	v_add_f64_e32 v[2:3], v[2:3], v[89:90]
	v_fma_f64 v[85:86], v[8:9], v[63:64], v[85:86]
	v_fma_f64 v[63:64], v[6:7], v[63:64], -v[95:96]
	ds_load_b128 v[6:9], v1 offset:768
	s_wait_loadcnt_dscnt 0x301
	v_mul_f64_e32 v[83:84], v[65:66], v[93:94]
	v_mul_f64_e32 v[89:90], v[67:68], v[93:94]
	v_add_f64_e32 v[10:11], v[10:11], v[69:70]
	v_add_f64_e32 v[2:3], v[2:3], v[87:88]
	s_wait_loadcnt_dscnt 0x200
	v_mul_f64_e32 v[69:70], v[6:7], v[73:74]
	v_mul_f64_e32 v[73:74], v[8:9], v[73:74]
	v_fma_f64 v[67:68], v[67:68], v[91:92], v[83:84]
	v_fma_f64 v[83:84], v[65:66], v[91:92], -v[89:90]
	v_add_f64_e32 v[10:11], v[10:11], v[85:86]
	v_add_f64_e32 v[2:3], v[2:3], v[63:64]
	ds_load_b128 v[63:66], v1 offset:784
	v_fma_f64 v[8:9], v[8:9], v[71:72], v[69:70]
	v_fma_f64 v[6:7], v[6:7], v[71:72], -v[73:74]
	s_wait_loadcnt_dscnt 0x100
	v_mul_f64_e32 v[85:86], v[63:64], v[77:78]
	v_mul_f64_e32 v[77:78], v[65:66], v[77:78]
	v_add_f64_e32 v[10:11], v[10:11], v[67:68]
	v_add_f64_e32 v[2:3], v[2:3], v[83:84]
	s_delay_alu instid0(VALU_DEP_4) | instskip(NEXT) | instid1(VALU_DEP_4)
	v_fma_f64 v[65:66], v[65:66], v[75:76], v[85:86]
	v_fma_f64 v[63:64], v[63:64], v[75:76], -v[77:78]
	s_delay_alu instid0(VALU_DEP_3) | instskip(SKIP_1) | instid1(VALU_DEP_2)
	v_add_f64_e32 v[2:3], v[2:3], v[6:7]
	v_add_f64_e32 v[6:7], v[10:11], v[8:9]
	;; [unrolled: 1-line block ×3, first 2 shown]
	s_delay_alu instid0(VALU_DEP_2) | instskip(SKIP_1) | instid1(VALU_DEP_2)
	v_add_f64_e32 v[8:9], v[6:7], v[65:66]
	s_wait_loadcnt 0x0
	v_add_f64_e64 v[6:7], v[79:80], -v[2:3]
	s_delay_alu instid0(VALU_DEP_2)
	v_add_f64_e64 v[8:9], v[81:82], -v[8:9]
	scratch_store_b128 off, v[6:9], off offset:160
	v_cmpx_lt_u32_e32 8, v0
	s_cbranch_execz .LBB24_147
; %bb.146:
	scratch_load_b128 v[6:9], off, s29
	v_dual_mov_b32 v2, v1 :: v_dual_mov_b32 v3, v1
	v_mov_b32_e32 v4, v1
	scratch_store_b128 off, v[1:4], off offset:144
	s_wait_loadcnt 0x0
	ds_store_b128 v5, v[6:9]
.LBB24_147:
	s_wait_alu 0xfffe
	s_or_b32 exec_lo, exec_lo, s0
	s_wait_storecnt_dscnt 0x0
	s_barrier_signal -1
	s_barrier_wait -1
	global_inv scope:SCOPE_SE
	s_clause 0x7
	scratch_load_b128 v[6:9], off, off offset:160
	scratch_load_b128 v[63:66], off, off offset:176
	scratch_load_b128 v[67:70], off, off offset:192
	scratch_load_b128 v[71:74], off, off offset:208
	scratch_load_b128 v[75:78], off, off offset:224
	scratch_load_b128 v[79:82], off, off offset:240
	scratch_load_b128 v[83:86], off, off offset:256
	scratch_load_b128 v[87:90], off, off offset:272
	ds_load_b128 v[91:94], v1 offset:544
	s_clause 0x1
	scratch_load_b128 v[95:98], off, off offset:288
	scratch_load_b128 v[99:102], off, off offset:304
	s_mov_b32 s0, exec_lo
	s_wait_loadcnt_dscnt 0x900
	v_mul_f64_e32 v[2:3], v[93:94], v[8:9]
	v_mul_f64_e32 v[103:104], v[91:92], v[8:9]
	ds_load_b128 v[8:11], v1 offset:560
	v_fma_f64 v[2:3], v[91:92], v[6:7], -v[2:3]
	v_fma_f64 v[6:7], v[93:94], v[6:7], v[103:104]
	ds_load_b128 v[91:94], v1 offset:576
	s_wait_loadcnt_dscnt 0x801
	v_mul_f64_e32 v[107:108], v[8:9], v[65:66]
	v_mul_f64_e32 v[65:66], v[10:11], v[65:66]
	scratch_load_b128 v[103:106], off, off offset:320
	s_wait_loadcnt_dscnt 0x800
	v_mul_f64_e32 v[109:110], v[91:92], v[69:70]
	v_mul_f64_e32 v[69:70], v[93:94], v[69:70]
	v_add_f64_e32 v[2:3], 0, v[2:3]
	v_add_f64_e32 v[111:112], 0, v[6:7]
	v_fma_f64 v[10:11], v[10:11], v[63:64], v[107:108]
	v_fma_f64 v[107:108], v[8:9], v[63:64], -v[65:66]
	ds_load_b128 v[6:9], v1 offset:592
	scratch_load_b128 v[63:66], off, off offset:336
	v_fma_f64 v[109:110], v[93:94], v[67:68], v[109:110]
	v_fma_f64 v[115:116], v[91:92], v[67:68], -v[69:70]
	ds_load_b128 v[67:70], v1 offset:608
	s_wait_loadcnt_dscnt 0x801
	v_mul_f64_e32 v[113:114], v[6:7], v[73:74]
	v_mul_f64_e32 v[73:74], v[8:9], v[73:74]
	scratch_load_b128 v[91:94], off, off offset:352
	v_add_f64_e32 v[10:11], v[111:112], v[10:11]
	v_add_f64_e32 v[2:3], v[2:3], v[107:108]
	s_wait_loadcnt_dscnt 0x800
	v_mul_f64_e32 v[107:108], v[67:68], v[77:78]
	v_mul_f64_e32 v[77:78], v[69:70], v[77:78]
	v_fma_f64 v[111:112], v[8:9], v[71:72], v[113:114]
	v_fma_f64 v[113:114], v[6:7], v[71:72], -v[73:74]
	ds_load_b128 v[6:9], v1 offset:624
	scratch_load_b128 v[71:74], off, off offset:368
	v_add_f64_e32 v[10:11], v[10:11], v[109:110]
	v_add_f64_e32 v[2:3], v[2:3], v[115:116]
	v_fma_f64 v[107:108], v[69:70], v[75:76], v[107:108]
	v_fma_f64 v[115:116], v[67:68], v[75:76], -v[77:78]
	ds_load_b128 v[67:70], v1 offset:640
	s_wait_loadcnt_dscnt 0x801
	v_mul_f64_e32 v[109:110], v[6:7], v[81:82]
	v_mul_f64_e32 v[81:82], v[8:9], v[81:82]
	scratch_load_b128 v[75:78], off, off offset:384
	v_add_f64_e32 v[10:11], v[10:11], v[111:112]
	v_add_f64_e32 v[2:3], v[2:3], v[113:114]
	s_wait_loadcnt_dscnt 0x800
	v_mul_f64_e32 v[111:112], v[67:68], v[85:86]
	v_mul_f64_e32 v[85:86], v[69:70], v[85:86]
	v_fma_f64 v[109:110], v[8:9], v[79:80], v[109:110]
	v_fma_f64 v[113:114], v[6:7], v[79:80], -v[81:82]
	ds_load_b128 v[6:9], v1 offset:656
	scratch_load_b128 v[79:82], off, off offset:400
	v_add_f64_e32 v[10:11], v[10:11], v[107:108]
	v_add_f64_e32 v[2:3], v[2:3], v[115:116]
	v_fma_f64 v[111:112], v[69:70], v[83:84], v[111:112]
	v_fma_f64 v[83:84], v[67:68], v[83:84], -v[85:86]
	ds_load_b128 v[67:70], v1 offset:672
	s_wait_loadcnt_dscnt 0x801
	v_mul_f64_e32 v[107:108], v[6:7], v[89:90]
	v_mul_f64_e32 v[89:90], v[8:9], v[89:90]
	s_wait_loadcnt_dscnt 0x700
	v_mul_f64_e32 v[85:86], v[67:68], v[97:98]
	v_mul_f64_e32 v[97:98], v[69:70], v[97:98]
	v_add_f64_e32 v[10:11], v[10:11], v[109:110]
	v_add_f64_e32 v[2:3], v[2:3], v[113:114]
	v_fma_f64 v[107:108], v[8:9], v[87:88], v[107:108]
	v_fma_f64 v[87:88], v[6:7], v[87:88], -v[89:90]
	ds_load_b128 v[6:9], v1 offset:688
	v_fma_f64 v[109:110], v[69:70], v[95:96], v[85:86]
	v_fma_f64 v[95:96], v[67:68], v[95:96], -v[97:98]
	ds_load_b128 v[67:70], v1 offset:704
	v_add_f64_e32 v[10:11], v[10:11], v[111:112]
	v_add_f64_e32 v[2:3], v[2:3], v[83:84]
	scratch_load_b128 v[83:86], off, off offset:144
	s_wait_loadcnt_dscnt 0x701
	v_mul_f64_e32 v[89:90], v[6:7], v[101:102]
	v_mul_f64_e32 v[101:102], v[8:9], v[101:102]
	v_add_f64_e32 v[10:11], v[10:11], v[107:108]
	v_add_f64_e32 v[2:3], v[2:3], v[87:88]
	s_delay_alu instid0(VALU_DEP_4) | instskip(NEXT) | instid1(VALU_DEP_4)
	v_fma_f64 v[89:90], v[8:9], v[99:100], v[89:90]
	v_fma_f64 v[99:100], v[6:7], v[99:100], -v[101:102]
	ds_load_b128 v[6:9], v1 offset:720
	s_wait_loadcnt_dscnt 0x601
	v_mul_f64_e32 v[87:88], v[67:68], v[105:106]
	v_mul_f64_e32 v[97:98], v[69:70], v[105:106]
	v_add_f64_e32 v[10:11], v[10:11], v[109:110]
	v_add_f64_e32 v[2:3], v[2:3], v[95:96]
	s_delay_alu instid0(VALU_DEP_4)
	v_fma_f64 v[69:70], v[69:70], v[103:104], v[87:88]
	s_wait_loadcnt_dscnt 0x500
	v_mul_f64_e32 v[95:96], v[6:7], v[65:66]
	v_mul_f64_e32 v[101:102], v[8:9], v[65:66]
	v_fma_f64 v[87:88], v[67:68], v[103:104], -v[97:98]
	ds_load_b128 v[65:68], v1 offset:736
	v_add_f64_e32 v[10:11], v[10:11], v[89:90]
	v_add_f64_e32 v[2:3], v[2:3], v[99:100]
	v_fma_f64 v[95:96], v[8:9], v[63:64], v[95:96]
	v_fma_f64 v[63:64], v[6:7], v[63:64], -v[101:102]
	ds_load_b128 v[6:9], v1 offset:752
	s_wait_loadcnt_dscnt 0x401
	v_mul_f64_e32 v[89:90], v[65:66], v[93:94]
	v_mul_f64_e32 v[93:94], v[67:68], v[93:94]
	v_add_f64_e32 v[10:11], v[10:11], v[69:70]
	v_add_f64_e32 v[2:3], v[2:3], v[87:88]
	s_wait_loadcnt_dscnt 0x300
	v_mul_f64_e32 v[69:70], v[6:7], v[73:74]
	v_mul_f64_e32 v[73:74], v[8:9], v[73:74]
	v_fma_f64 v[67:68], v[67:68], v[91:92], v[89:90]
	v_fma_f64 v[87:88], v[65:66], v[91:92], -v[93:94]
	v_add_f64_e32 v[10:11], v[10:11], v[95:96]
	v_add_f64_e32 v[2:3], v[2:3], v[63:64]
	ds_load_b128 v[63:66], v1 offset:768
	v_fma_f64 v[8:9], v[8:9], v[71:72], v[69:70]
	v_fma_f64 v[6:7], v[6:7], v[71:72], -v[73:74]
	s_wait_loadcnt_dscnt 0x200
	v_mul_f64_e32 v[89:90], v[63:64], v[77:78]
	v_mul_f64_e32 v[77:78], v[65:66], v[77:78]
	v_add_f64_e32 v[10:11], v[10:11], v[67:68]
	v_add_f64_e32 v[69:70], v[2:3], v[87:88]
	ds_load_b128 v[1:4], v1 offset:784
	s_wait_loadcnt_dscnt 0x100
	v_mul_f64_e32 v[67:68], v[1:2], v[81:82]
	v_mul_f64_e32 v[71:72], v[3:4], v[81:82]
	v_fma_f64 v[65:66], v[65:66], v[75:76], v[89:90]
	v_fma_f64 v[63:64], v[63:64], v[75:76], -v[77:78]
	v_add_f64_e32 v[8:9], v[10:11], v[8:9]
	v_add_f64_e32 v[6:7], v[69:70], v[6:7]
	v_fma_f64 v[3:4], v[3:4], v[79:80], v[67:68]
	v_fma_f64 v[1:2], v[1:2], v[79:80], -v[71:72]
	s_delay_alu instid0(VALU_DEP_4) | instskip(NEXT) | instid1(VALU_DEP_4)
	v_add_f64_e32 v[8:9], v[8:9], v[65:66]
	v_add_f64_e32 v[6:7], v[6:7], v[63:64]
	s_delay_alu instid0(VALU_DEP_2) | instskip(NEXT) | instid1(VALU_DEP_2)
	v_add_f64_e32 v[3:4], v[8:9], v[3:4]
	v_add_f64_e32 v[1:2], v[6:7], v[1:2]
	s_wait_loadcnt 0x0
	s_delay_alu instid0(VALU_DEP_2) | instskip(NEXT) | instid1(VALU_DEP_2)
	v_add_f64_e64 v[3:4], v[85:86], -v[3:4]
	v_add_f64_e64 v[1:2], v[83:84], -v[1:2]
	scratch_store_b128 off, v[1:4], off offset:144
	v_cmpx_lt_u32_e32 7, v0
	s_cbranch_execz .LBB24_149
; %bb.148:
	scratch_load_b128 v[1:4], off, s22
	v_mov_b32_e32 v6, 0
	s_delay_alu instid0(VALU_DEP_1)
	v_dual_mov_b32 v7, v6 :: v_dual_mov_b32 v8, v6
	v_mov_b32_e32 v9, v6
	scratch_store_b128 off, v[6:9], off offset:128
	s_wait_loadcnt 0x0
	ds_store_b128 v5, v[1:4]
.LBB24_149:
	s_wait_alu 0xfffe
	s_or_b32 exec_lo, exec_lo, s0
	s_wait_storecnt_dscnt 0x0
	s_barrier_signal -1
	s_barrier_wait -1
	global_inv scope:SCOPE_SE
	s_clause 0x7
	scratch_load_b128 v[6:9], off, off offset:144
	scratch_load_b128 v[63:66], off, off offset:160
	;; [unrolled: 1-line block ×8, first 2 shown]
	v_mov_b32_e32 v1, 0
	s_clause 0x1
	scratch_load_b128 v[99:102], off, off offset:288
	scratch_load_b128 v[95:98], off, off offset:272
	s_mov_b32 s0, exec_lo
	ds_load_b128 v[91:94], v1 offset:528
	s_wait_loadcnt_dscnt 0x900
	v_mul_f64_e32 v[2:3], v[93:94], v[8:9]
	v_mul_f64_e32 v[103:104], v[91:92], v[8:9]
	ds_load_b128 v[8:11], v1 offset:544
	v_fma_f64 v[2:3], v[91:92], v[6:7], -v[2:3]
	v_fma_f64 v[6:7], v[93:94], v[6:7], v[103:104]
	ds_load_b128 v[91:94], v1 offset:560
	s_wait_loadcnt_dscnt 0x801
	v_mul_f64_e32 v[107:108], v[8:9], v[65:66]
	v_mul_f64_e32 v[65:66], v[10:11], v[65:66]
	scratch_load_b128 v[103:106], off, off offset:304
	s_wait_loadcnt_dscnt 0x800
	v_mul_f64_e32 v[109:110], v[91:92], v[69:70]
	v_mul_f64_e32 v[69:70], v[93:94], v[69:70]
	v_add_f64_e32 v[2:3], 0, v[2:3]
	v_add_f64_e32 v[111:112], 0, v[6:7]
	v_fma_f64 v[10:11], v[10:11], v[63:64], v[107:108]
	v_fma_f64 v[107:108], v[8:9], v[63:64], -v[65:66]
	ds_load_b128 v[6:9], v1 offset:576
	scratch_load_b128 v[63:66], off, off offset:320
	v_fma_f64 v[109:110], v[93:94], v[67:68], v[109:110]
	v_fma_f64 v[115:116], v[91:92], v[67:68], -v[69:70]
	ds_load_b128 v[67:70], v1 offset:592
	s_wait_loadcnt_dscnt 0x801
	v_mul_f64_e32 v[113:114], v[6:7], v[73:74]
	v_mul_f64_e32 v[73:74], v[8:9], v[73:74]
	scratch_load_b128 v[91:94], off, off offset:336
	v_add_f64_e32 v[10:11], v[111:112], v[10:11]
	v_add_f64_e32 v[2:3], v[2:3], v[107:108]
	s_wait_loadcnt_dscnt 0x800
	v_mul_f64_e32 v[107:108], v[67:68], v[77:78]
	v_mul_f64_e32 v[77:78], v[69:70], v[77:78]
	v_fma_f64 v[111:112], v[8:9], v[71:72], v[113:114]
	v_fma_f64 v[113:114], v[6:7], v[71:72], -v[73:74]
	ds_load_b128 v[6:9], v1 offset:608
	scratch_load_b128 v[71:74], off, off offset:352
	v_add_f64_e32 v[10:11], v[10:11], v[109:110]
	v_add_f64_e32 v[2:3], v[2:3], v[115:116]
	v_fma_f64 v[107:108], v[69:70], v[75:76], v[107:108]
	v_fma_f64 v[115:116], v[67:68], v[75:76], -v[77:78]
	ds_load_b128 v[67:70], v1 offset:624
	s_wait_loadcnt_dscnt 0x801
	v_mul_f64_e32 v[109:110], v[6:7], v[81:82]
	v_mul_f64_e32 v[81:82], v[8:9], v[81:82]
	scratch_load_b128 v[75:78], off, off offset:368
	v_add_f64_e32 v[10:11], v[10:11], v[111:112]
	v_add_f64_e32 v[2:3], v[2:3], v[113:114]
	s_wait_loadcnt_dscnt 0x800
	v_mul_f64_e32 v[111:112], v[67:68], v[85:86]
	v_mul_f64_e32 v[85:86], v[69:70], v[85:86]
	v_fma_f64 v[109:110], v[8:9], v[79:80], v[109:110]
	v_fma_f64 v[113:114], v[6:7], v[79:80], -v[81:82]
	ds_load_b128 v[6:9], v1 offset:640
	scratch_load_b128 v[79:82], off, off offset:384
	v_add_f64_e32 v[10:11], v[10:11], v[107:108]
	v_add_f64_e32 v[2:3], v[2:3], v[115:116]
	v_fma_f64 v[111:112], v[69:70], v[83:84], v[111:112]
	v_fma_f64 v[115:116], v[67:68], v[83:84], -v[85:86]
	ds_load_b128 v[67:70], v1 offset:656
	s_wait_loadcnt_dscnt 0x801
	v_mul_f64_e32 v[107:108], v[6:7], v[89:90]
	v_mul_f64_e32 v[89:90], v[8:9], v[89:90]
	scratch_load_b128 v[83:86], off, off offset:400
	v_add_f64_e32 v[10:11], v[10:11], v[109:110]
	v_add_f64_e32 v[2:3], v[2:3], v[113:114]
	v_fma_f64 v[107:108], v[8:9], v[87:88], v[107:108]
	v_fma_f64 v[87:88], v[6:7], v[87:88], -v[89:90]
	ds_load_b128 v[6:9], v1 offset:672
	s_wait_loadcnt_dscnt 0x800
	v_mul_f64_e32 v[89:90], v[6:7], v[101:102]
	v_mul_f64_e32 v[101:102], v[8:9], v[101:102]
	v_add_f64_e32 v[10:11], v[10:11], v[111:112]
	v_add_f64_e32 v[2:3], v[2:3], v[115:116]
	s_delay_alu instid0(VALU_DEP_2) | instskip(NEXT) | instid1(VALU_DEP_2)
	v_add_f64_e32 v[10:11], v[10:11], v[107:108]
	v_add_f64_e32 v[2:3], v[2:3], v[87:88]
	v_fma_f64 v[107:108], v[8:9], v[99:100], v[89:90]
	scratch_load_b128 v[87:90], off, off offset:128
	s_wait_loadcnt 0x8
	v_mul_f64_e32 v[109:110], v[67:68], v[97:98]
	v_mul_f64_e32 v[97:98], v[69:70], v[97:98]
	v_fma_f64 v[99:100], v[6:7], v[99:100], -v[101:102]
	ds_load_b128 v[6:9], v1 offset:704
	v_fma_f64 v[109:110], v[69:70], v[95:96], v[109:110]
	v_fma_f64 v[95:96], v[67:68], v[95:96], -v[97:98]
	ds_load_b128 v[67:70], v1 offset:688
	s_wait_loadcnt_dscnt 0x601
	v_mul_f64_e32 v[101:102], v[8:9], v[65:66]
	s_wait_dscnt 0x0
	v_mul_f64_e32 v[97:98], v[67:68], v[105:106]
	v_mul_f64_e32 v[105:106], v[69:70], v[105:106]
	v_add_f64_e32 v[10:11], v[10:11], v[109:110]
	v_add_f64_e32 v[2:3], v[2:3], v[95:96]
	v_mul_f64_e32 v[95:96], v[6:7], v[65:66]
	v_fma_f64 v[69:70], v[69:70], v[103:104], v[97:98]
	v_fma_f64 v[97:98], v[67:68], v[103:104], -v[105:106]
	ds_load_b128 v[65:68], v1 offset:720
	v_add_f64_e32 v[10:11], v[10:11], v[107:108]
	v_add_f64_e32 v[2:3], v[2:3], v[99:100]
	v_fma_f64 v[95:96], v[8:9], v[63:64], v[95:96]
	v_fma_f64 v[63:64], v[6:7], v[63:64], -v[101:102]
	ds_load_b128 v[6:9], v1 offset:736
	s_wait_loadcnt_dscnt 0x501
	v_mul_f64_e32 v[99:100], v[65:66], v[93:94]
	v_mul_f64_e32 v[93:94], v[67:68], v[93:94]
	v_add_f64_e32 v[10:11], v[10:11], v[69:70]
	v_add_f64_e32 v[2:3], v[2:3], v[97:98]
	s_wait_loadcnt_dscnt 0x400
	v_mul_f64_e32 v[69:70], v[6:7], v[73:74]
	v_mul_f64_e32 v[73:74], v[8:9], v[73:74]
	v_fma_f64 v[67:68], v[67:68], v[91:92], v[99:100]
	v_fma_f64 v[91:92], v[65:66], v[91:92], -v[93:94]
	v_add_f64_e32 v[10:11], v[10:11], v[95:96]
	v_add_f64_e32 v[2:3], v[2:3], v[63:64]
	ds_load_b128 v[63:66], v1 offset:752
	v_fma_f64 v[69:70], v[8:9], v[71:72], v[69:70]
	v_fma_f64 v[71:72], v[6:7], v[71:72], -v[73:74]
	ds_load_b128 v[6:9], v1 offset:768
	s_wait_loadcnt_dscnt 0x301
	v_mul_f64_e32 v[93:94], v[63:64], v[77:78]
	v_mul_f64_e32 v[77:78], v[65:66], v[77:78]
	s_wait_loadcnt_dscnt 0x200
	v_mul_f64_e32 v[73:74], v[8:9], v[81:82]
	v_add_f64_e32 v[10:11], v[10:11], v[67:68]
	v_add_f64_e32 v[2:3], v[2:3], v[91:92]
	v_mul_f64_e32 v[67:68], v[6:7], v[81:82]
	v_fma_f64 v[81:82], v[65:66], v[75:76], v[93:94]
	v_fma_f64 v[75:76], v[63:64], v[75:76], -v[77:78]
	ds_load_b128 v[63:66], v1 offset:784
	v_fma_f64 v[6:7], v[6:7], v[79:80], -v[73:74]
	v_add_f64_e32 v[10:11], v[10:11], v[69:70]
	v_add_f64_e32 v[2:3], v[2:3], v[71:72]
	v_fma_f64 v[8:9], v[8:9], v[79:80], v[67:68]
	s_wait_loadcnt_dscnt 0x100
	v_mul_f64_e32 v[69:70], v[63:64], v[85:86]
	v_mul_f64_e32 v[71:72], v[65:66], v[85:86]
	v_add_f64_e32 v[10:11], v[10:11], v[81:82]
	v_add_f64_e32 v[2:3], v[2:3], v[75:76]
	s_delay_alu instid0(VALU_DEP_4) | instskip(NEXT) | instid1(VALU_DEP_4)
	v_fma_f64 v[65:66], v[65:66], v[83:84], v[69:70]
	v_fma_f64 v[63:64], v[63:64], v[83:84], -v[71:72]
	s_delay_alu instid0(VALU_DEP_3) | instskip(SKIP_1) | instid1(VALU_DEP_2)
	v_add_f64_e32 v[2:3], v[2:3], v[6:7]
	v_add_f64_e32 v[6:7], v[10:11], v[8:9]
	;; [unrolled: 1-line block ×3, first 2 shown]
	s_delay_alu instid0(VALU_DEP_2) | instskip(SKIP_1) | instid1(VALU_DEP_2)
	v_add_f64_e32 v[8:9], v[6:7], v[65:66]
	s_wait_loadcnt 0x0
	v_add_f64_e64 v[6:7], v[87:88], -v[2:3]
	s_delay_alu instid0(VALU_DEP_2)
	v_add_f64_e64 v[8:9], v[89:90], -v[8:9]
	scratch_store_b128 off, v[6:9], off offset:128
	v_cmpx_lt_u32_e32 6, v0
	s_cbranch_execz .LBB24_151
; %bb.150:
	scratch_load_b128 v[6:9], off, s28
	v_dual_mov_b32 v2, v1 :: v_dual_mov_b32 v3, v1
	v_mov_b32_e32 v4, v1
	scratch_store_b128 off, v[1:4], off offset:112
	s_wait_loadcnt 0x0
	ds_store_b128 v5, v[6:9]
.LBB24_151:
	s_wait_alu 0xfffe
	s_or_b32 exec_lo, exec_lo, s0
	s_wait_storecnt_dscnt 0x0
	s_barrier_signal -1
	s_barrier_wait -1
	global_inv scope:SCOPE_SE
	s_clause 0x7
	scratch_load_b128 v[6:9], off, off offset:128
	scratch_load_b128 v[63:66], off, off offset:144
	;; [unrolled: 1-line block ×8, first 2 shown]
	ds_load_b128 v[91:94], v1 offset:512
	s_clause 0x1
	scratch_load_b128 v[95:98], off, off offset:256
	scratch_load_b128 v[99:102], off, off offset:272
	s_mov_b32 s0, exec_lo
	s_wait_loadcnt_dscnt 0x900
	v_mul_f64_e32 v[2:3], v[93:94], v[8:9]
	v_mul_f64_e32 v[103:104], v[91:92], v[8:9]
	ds_load_b128 v[8:11], v1 offset:528
	v_fma_f64 v[2:3], v[91:92], v[6:7], -v[2:3]
	v_fma_f64 v[6:7], v[93:94], v[6:7], v[103:104]
	scratch_load_b128 v[103:106], off, off offset:288
	ds_load_b128 v[91:94], v1 offset:544
	s_wait_loadcnt_dscnt 0x901
	v_mul_f64_e32 v[107:108], v[8:9], v[65:66]
	v_mul_f64_e32 v[65:66], v[10:11], v[65:66]
	s_wait_loadcnt_dscnt 0x800
	v_mul_f64_e32 v[109:110], v[91:92], v[69:70]
	v_mul_f64_e32 v[69:70], v[93:94], v[69:70]
	v_add_f64_e32 v[2:3], 0, v[2:3]
	v_add_f64_e32 v[111:112], 0, v[6:7]
	v_fma_f64 v[10:11], v[10:11], v[63:64], v[107:108]
	v_fma_f64 v[107:108], v[8:9], v[63:64], -v[65:66]
	ds_load_b128 v[6:9], v1 offset:560
	scratch_load_b128 v[63:66], off, off offset:304
	v_fma_f64 v[109:110], v[93:94], v[67:68], v[109:110]
	v_fma_f64 v[115:116], v[91:92], v[67:68], -v[69:70]
	ds_load_b128 v[67:70], v1 offset:576
	s_wait_loadcnt_dscnt 0x801
	v_mul_f64_e32 v[113:114], v[6:7], v[73:74]
	v_mul_f64_e32 v[73:74], v[8:9], v[73:74]
	scratch_load_b128 v[91:94], off, off offset:320
	v_add_f64_e32 v[10:11], v[111:112], v[10:11]
	v_add_f64_e32 v[2:3], v[2:3], v[107:108]
	s_wait_loadcnt_dscnt 0x800
	v_mul_f64_e32 v[107:108], v[67:68], v[77:78]
	v_mul_f64_e32 v[77:78], v[69:70], v[77:78]
	v_fma_f64 v[111:112], v[8:9], v[71:72], v[113:114]
	v_fma_f64 v[113:114], v[6:7], v[71:72], -v[73:74]
	ds_load_b128 v[6:9], v1 offset:592
	scratch_load_b128 v[71:74], off, off offset:336
	v_add_f64_e32 v[10:11], v[10:11], v[109:110]
	v_add_f64_e32 v[2:3], v[2:3], v[115:116]
	v_fma_f64 v[107:108], v[69:70], v[75:76], v[107:108]
	v_fma_f64 v[115:116], v[67:68], v[75:76], -v[77:78]
	ds_load_b128 v[67:70], v1 offset:608
	s_wait_loadcnt_dscnt 0x801
	v_mul_f64_e32 v[109:110], v[6:7], v[81:82]
	v_mul_f64_e32 v[81:82], v[8:9], v[81:82]
	scratch_load_b128 v[75:78], off, off offset:352
	v_add_f64_e32 v[10:11], v[10:11], v[111:112]
	v_add_f64_e32 v[2:3], v[2:3], v[113:114]
	s_wait_loadcnt_dscnt 0x800
	v_mul_f64_e32 v[111:112], v[67:68], v[85:86]
	v_mul_f64_e32 v[85:86], v[69:70], v[85:86]
	v_fma_f64 v[109:110], v[8:9], v[79:80], v[109:110]
	v_fma_f64 v[113:114], v[6:7], v[79:80], -v[81:82]
	ds_load_b128 v[6:9], v1 offset:624
	scratch_load_b128 v[79:82], off, off offset:368
	v_add_f64_e32 v[10:11], v[10:11], v[107:108]
	v_add_f64_e32 v[2:3], v[2:3], v[115:116]
	;; [unrolled: 18-line block ×3, first 2 shown]
	v_fma_f64 v[109:110], v[69:70], v[95:96], v[109:110]
	v_fma_f64 v[95:96], v[67:68], v[95:96], -v[97:98]
	ds_load_b128 v[67:70], v1 offset:672
	v_add_f64_e32 v[10:11], v[10:11], v[107:108]
	v_add_f64_e32 v[2:3], v[2:3], v[113:114]
	s_wait_loadcnt_dscnt 0x700
	v_mul_f64_e32 v[97:98], v[67:68], v[105:106]
	v_mul_f64_e32 v[105:106], v[69:70], v[105:106]
	s_delay_alu instid0(VALU_DEP_4) | instskip(NEXT) | instid1(VALU_DEP_4)
	v_add_f64_e32 v[10:11], v[10:11], v[109:110]
	v_add_f64_e32 v[2:3], v[2:3], v[95:96]
	s_delay_alu instid0(VALU_DEP_4) | instskip(SKIP_4) | instid1(VALU_DEP_3)
	v_fma_f64 v[69:70], v[69:70], v[103:104], v[97:98]
	scratch_load_b128 v[95:98], off, off offset:112
	v_mul_f64_e32 v[111:112], v[6:7], v[101:102]
	v_mul_f64_e32 v[101:102], v[8:9], v[101:102]
	v_fma_f64 v[103:104], v[67:68], v[103:104], -v[105:106]
	v_fma_f64 v[107:108], v[8:9], v[99:100], v[111:112]
	s_delay_alu instid0(VALU_DEP_3)
	v_fma_f64 v[99:100], v[6:7], v[99:100], -v[101:102]
	ds_load_b128 v[6:9], v1 offset:688
	s_wait_loadcnt_dscnt 0x700
	v_mul_f64_e32 v[101:102], v[6:7], v[65:66]
	v_mul_f64_e32 v[109:110], v[8:9], v[65:66]
	ds_load_b128 v[65:68], v1 offset:704
	v_add_f64_e32 v[10:11], v[10:11], v[107:108]
	v_add_f64_e32 v[2:3], v[2:3], v[99:100]
	v_fma_f64 v[101:102], v[8:9], v[63:64], v[101:102]
	v_fma_f64 v[63:64], v[6:7], v[63:64], -v[109:110]
	ds_load_b128 v[6:9], v1 offset:720
	s_wait_loadcnt_dscnt 0x601
	v_mul_f64_e32 v[99:100], v[65:66], v[93:94]
	v_mul_f64_e32 v[93:94], v[67:68], v[93:94]
	v_add_f64_e32 v[10:11], v[10:11], v[69:70]
	v_add_f64_e32 v[2:3], v[2:3], v[103:104]
	s_wait_loadcnt_dscnt 0x500
	v_mul_f64_e32 v[69:70], v[6:7], v[73:74]
	v_mul_f64_e32 v[73:74], v[8:9], v[73:74]
	v_fma_f64 v[67:68], v[67:68], v[91:92], v[99:100]
	v_fma_f64 v[91:92], v[65:66], v[91:92], -v[93:94]
	v_add_f64_e32 v[10:11], v[10:11], v[101:102]
	v_add_f64_e32 v[2:3], v[2:3], v[63:64]
	ds_load_b128 v[63:66], v1 offset:736
	v_fma_f64 v[69:70], v[8:9], v[71:72], v[69:70]
	v_fma_f64 v[71:72], v[6:7], v[71:72], -v[73:74]
	ds_load_b128 v[6:9], v1 offset:752
	s_wait_loadcnt_dscnt 0x401
	v_mul_f64_e32 v[93:94], v[63:64], v[77:78]
	v_mul_f64_e32 v[77:78], v[65:66], v[77:78]
	s_wait_loadcnt_dscnt 0x300
	v_mul_f64_e32 v[73:74], v[8:9], v[81:82]
	v_add_f64_e32 v[10:11], v[10:11], v[67:68]
	v_add_f64_e32 v[2:3], v[2:3], v[91:92]
	v_mul_f64_e32 v[67:68], v[6:7], v[81:82]
	v_fma_f64 v[81:82], v[65:66], v[75:76], v[93:94]
	v_fma_f64 v[75:76], v[63:64], v[75:76], -v[77:78]
	ds_load_b128 v[63:66], v1 offset:768
	v_fma_f64 v[6:7], v[6:7], v[79:80], -v[73:74]
	v_add_f64_e32 v[10:11], v[10:11], v[69:70]
	v_add_f64_e32 v[2:3], v[2:3], v[71:72]
	v_fma_f64 v[8:9], v[8:9], v[79:80], v[67:68]
	s_wait_loadcnt_dscnt 0x200
	v_mul_f64_e32 v[69:70], v[63:64], v[85:86]
	v_mul_f64_e32 v[71:72], v[65:66], v[85:86]
	v_add_f64_e32 v[10:11], v[10:11], v[81:82]
	v_add_f64_e32 v[67:68], v[2:3], v[75:76]
	ds_load_b128 v[1:4], v1 offset:784
	v_fma_f64 v[65:66], v[65:66], v[83:84], v[69:70]
	v_fma_f64 v[63:64], v[63:64], v[83:84], -v[71:72]
	s_wait_loadcnt_dscnt 0x100
	v_mul_f64_e32 v[73:74], v[1:2], v[89:90]
	v_mul_f64_e32 v[75:76], v[3:4], v[89:90]
	v_add_f64_e32 v[8:9], v[10:11], v[8:9]
	v_add_f64_e32 v[6:7], v[67:68], v[6:7]
	s_delay_alu instid0(VALU_DEP_4) | instskip(NEXT) | instid1(VALU_DEP_4)
	v_fma_f64 v[3:4], v[3:4], v[87:88], v[73:74]
	v_fma_f64 v[1:2], v[1:2], v[87:88], -v[75:76]
	s_delay_alu instid0(VALU_DEP_4) | instskip(NEXT) | instid1(VALU_DEP_4)
	v_add_f64_e32 v[8:9], v[8:9], v[65:66]
	v_add_f64_e32 v[6:7], v[6:7], v[63:64]
	s_delay_alu instid0(VALU_DEP_2) | instskip(NEXT) | instid1(VALU_DEP_2)
	v_add_f64_e32 v[3:4], v[8:9], v[3:4]
	v_add_f64_e32 v[1:2], v[6:7], v[1:2]
	s_wait_loadcnt 0x0
	s_delay_alu instid0(VALU_DEP_2) | instskip(NEXT) | instid1(VALU_DEP_2)
	v_add_f64_e64 v[3:4], v[97:98], -v[3:4]
	v_add_f64_e64 v[1:2], v[95:96], -v[1:2]
	scratch_store_b128 off, v[1:4], off offset:112
	v_cmpx_lt_u32_e32 5, v0
	s_cbranch_execz .LBB24_153
; %bb.152:
	scratch_load_b128 v[1:4], off, s21
	v_mov_b32_e32 v6, 0
	s_delay_alu instid0(VALU_DEP_1)
	v_dual_mov_b32 v7, v6 :: v_dual_mov_b32 v8, v6
	v_mov_b32_e32 v9, v6
	scratch_store_b128 off, v[6:9], off offset:96
	s_wait_loadcnt 0x0
	ds_store_b128 v5, v[1:4]
.LBB24_153:
	s_wait_alu 0xfffe
	s_or_b32 exec_lo, exec_lo, s0
	s_wait_storecnt_dscnt 0x0
	s_barrier_signal -1
	s_barrier_wait -1
	global_inv scope:SCOPE_SE
	s_clause 0x7
	scratch_load_b128 v[6:9], off, off offset:112
	scratch_load_b128 v[63:66], off, off offset:128
	;; [unrolled: 1-line block ×8, first 2 shown]
	v_mov_b32_e32 v1, 0
	s_clause 0x1
	scratch_load_b128 v[95:98], off, off offset:240
	scratch_load_b128 v[99:102], off, off offset:256
	s_mov_b32 s0, exec_lo
	ds_load_b128 v[91:94], v1 offset:496
	s_wait_loadcnt_dscnt 0x900
	v_mul_f64_e32 v[2:3], v[93:94], v[8:9]
	v_mul_f64_e32 v[103:104], v[91:92], v[8:9]
	ds_load_b128 v[8:11], v1 offset:512
	v_fma_f64 v[2:3], v[91:92], v[6:7], -v[2:3]
	v_fma_f64 v[6:7], v[93:94], v[6:7], v[103:104]
	ds_load_b128 v[91:94], v1 offset:528
	s_wait_loadcnt_dscnt 0x801
	v_mul_f64_e32 v[107:108], v[8:9], v[65:66]
	v_mul_f64_e32 v[65:66], v[10:11], v[65:66]
	scratch_load_b128 v[103:106], off, off offset:272
	s_wait_loadcnt_dscnt 0x800
	v_mul_f64_e32 v[109:110], v[91:92], v[69:70]
	v_mul_f64_e32 v[69:70], v[93:94], v[69:70]
	v_add_f64_e32 v[2:3], 0, v[2:3]
	v_add_f64_e32 v[111:112], 0, v[6:7]
	v_fma_f64 v[10:11], v[10:11], v[63:64], v[107:108]
	v_fma_f64 v[107:108], v[8:9], v[63:64], -v[65:66]
	ds_load_b128 v[6:9], v1 offset:544
	scratch_load_b128 v[63:66], off, off offset:288
	v_fma_f64 v[109:110], v[93:94], v[67:68], v[109:110]
	v_fma_f64 v[115:116], v[91:92], v[67:68], -v[69:70]
	ds_load_b128 v[67:70], v1 offset:560
	s_wait_loadcnt_dscnt 0x801
	v_mul_f64_e32 v[113:114], v[6:7], v[73:74]
	v_mul_f64_e32 v[73:74], v[8:9], v[73:74]
	scratch_load_b128 v[91:94], off, off offset:304
	v_add_f64_e32 v[10:11], v[111:112], v[10:11]
	v_add_f64_e32 v[2:3], v[2:3], v[107:108]
	s_wait_loadcnt_dscnt 0x800
	v_mul_f64_e32 v[107:108], v[67:68], v[77:78]
	v_mul_f64_e32 v[77:78], v[69:70], v[77:78]
	v_fma_f64 v[111:112], v[8:9], v[71:72], v[113:114]
	v_fma_f64 v[113:114], v[6:7], v[71:72], -v[73:74]
	ds_load_b128 v[6:9], v1 offset:576
	scratch_load_b128 v[71:74], off, off offset:320
	v_add_f64_e32 v[10:11], v[10:11], v[109:110]
	v_add_f64_e32 v[2:3], v[2:3], v[115:116]
	v_fma_f64 v[107:108], v[69:70], v[75:76], v[107:108]
	v_fma_f64 v[115:116], v[67:68], v[75:76], -v[77:78]
	ds_load_b128 v[67:70], v1 offset:592
	s_wait_loadcnt_dscnt 0x801
	v_mul_f64_e32 v[109:110], v[6:7], v[81:82]
	v_mul_f64_e32 v[81:82], v[8:9], v[81:82]
	scratch_load_b128 v[75:78], off, off offset:336
	v_add_f64_e32 v[10:11], v[10:11], v[111:112]
	v_add_f64_e32 v[2:3], v[2:3], v[113:114]
	s_wait_loadcnt_dscnt 0x800
	v_mul_f64_e32 v[111:112], v[67:68], v[85:86]
	v_mul_f64_e32 v[85:86], v[69:70], v[85:86]
	v_fma_f64 v[109:110], v[8:9], v[79:80], v[109:110]
	v_fma_f64 v[113:114], v[6:7], v[79:80], -v[81:82]
	ds_load_b128 v[6:9], v1 offset:608
	scratch_load_b128 v[79:82], off, off offset:352
	v_add_f64_e32 v[10:11], v[10:11], v[107:108]
	v_add_f64_e32 v[2:3], v[2:3], v[115:116]
	;; [unrolled: 18-line block ×3, first 2 shown]
	v_fma_f64 v[109:110], v[69:70], v[95:96], v[109:110]
	v_fma_f64 v[115:116], v[67:68], v[95:96], -v[97:98]
	ds_load_b128 v[67:70], v1 offset:656
	s_wait_loadcnt_dscnt 0x801
	v_mul_f64_e32 v[111:112], v[6:7], v[101:102]
	v_mul_f64_e32 v[101:102], v[8:9], v[101:102]
	scratch_load_b128 v[95:98], off, off offset:400
	v_add_f64_e32 v[10:11], v[10:11], v[107:108]
	v_add_f64_e32 v[2:3], v[2:3], v[113:114]
	v_fma_f64 v[111:112], v[8:9], v[99:100], v[111:112]
	v_fma_f64 v[99:100], v[6:7], v[99:100], -v[101:102]
	ds_load_b128 v[6:9], v1 offset:672
	s_wait_loadcnt_dscnt 0x801
	v_mul_f64_e32 v[107:108], v[67:68], v[105:106]
	v_mul_f64_e32 v[105:106], v[69:70], v[105:106]
	v_add_f64_e32 v[10:11], v[10:11], v[109:110]
	v_add_f64_e32 v[2:3], v[2:3], v[115:116]
	s_delay_alu instid0(VALU_DEP_4)
	v_fma_f64 v[69:70], v[69:70], v[103:104], v[107:108]
	s_wait_loadcnt_dscnt 0x700
	v_mul_f64_e32 v[101:102], v[6:7], v[65:66]
	v_mul_f64_e32 v[109:110], v[8:9], v[65:66]
	v_fma_f64 v[103:104], v[67:68], v[103:104], -v[105:106]
	ds_load_b128 v[65:68], v1 offset:688
	v_add_f64_e32 v[10:11], v[10:11], v[111:112]
	v_add_f64_e32 v[2:3], v[2:3], v[99:100]
	v_fma_f64 v[107:108], v[8:9], v[63:64], v[101:102]
	v_fma_f64 v[63:64], v[6:7], v[63:64], -v[109:110]
	ds_load_b128 v[6:9], v1 offset:704
	scratch_load_b128 v[99:102], off, off offset:96
	s_wait_loadcnt_dscnt 0x701
	v_mul_f64_e32 v[105:106], v[65:66], v[93:94]
	v_mul_f64_e32 v[93:94], v[67:68], v[93:94]
	v_add_f64_e32 v[10:11], v[10:11], v[69:70]
	v_add_f64_e32 v[2:3], v[2:3], v[103:104]
	s_wait_loadcnt_dscnt 0x600
	v_mul_f64_e32 v[69:70], v[6:7], v[73:74]
	v_mul_f64_e32 v[73:74], v[8:9], v[73:74]
	v_fma_f64 v[67:68], v[67:68], v[91:92], v[105:106]
	v_fma_f64 v[91:92], v[65:66], v[91:92], -v[93:94]
	v_add_f64_e32 v[10:11], v[10:11], v[107:108]
	v_add_f64_e32 v[2:3], v[2:3], v[63:64]
	ds_load_b128 v[63:66], v1 offset:720
	v_fma_f64 v[69:70], v[8:9], v[71:72], v[69:70]
	v_fma_f64 v[71:72], v[6:7], v[71:72], -v[73:74]
	ds_load_b128 v[6:9], v1 offset:736
	s_wait_loadcnt_dscnt 0x501
	v_mul_f64_e32 v[93:94], v[63:64], v[77:78]
	v_mul_f64_e32 v[77:78], v[65:66], v[77:78]
	s_wait_loadcnt_dscnt 0x400
	v_mul_f64_e32 v[73:74], v[8:9], v[81:82]
	v_add_f64_e32 v[10:11], v[10:11], v[67:68]
	v_add_f64_e32 v[2:3], v[2:3], v[91:92]
	v_mul_f64_e32 v[67:68], v[6:7], v[81:82]
	v_fma_f64 v[81:82], v[65:66], v[75:76], v[93:94]
	v_fma_f64 v[75:76], v[63:64], v[75:76], -v[77:78]
	ds_load_b128 v[63:66], v1 offset:752
	v_fma_f64 v[73:74], v[6:7], v[79:80], -v[73:74]
	v_add_f64_e32 v[10:11], v[10:11], v[69:70]
	v_add_f64_e32 v[2:3], v[2:3], v[71:72]
	v_fma_f64 v[67:68], v[8:9], v[79:80], v[67:68]
	ds_load_b128 v[6:9], v1 offset:768
	s_wait_loadcnt_dscnt 0x301
	v_mul_f64_e32 v[69:70], v[63:64], v[85:86]
	v_mul_f64_e32 v[71:72], v[65:66], v[85:86]
	s_wait_loadcnt_dscnt 0x200
	v_mul_f64_e32 v[77:78], v[8:9], v[89:90]
	v_add_f64_e32 v[10:11], v[10:11], v[81:82]
	v_add_f64_e32 v[2:3], v[2:3], v[75:76]
	v_mul_f64_e32 v[75:76], v[6:7], v[89:90]
	v_fma_f64 v[69:70], v[65:66], v[83:84], v[69:70]
	v_fma_f64 v[71:72], v[63:64], v[83:84], -v[71:72]
	ds_load_b128 v[63:66], v1 offset:784
	v_fma_f64 v[6:7], v[6:7], v[87:88], -v[77:78]
	v_add_f64_e32 v[10:11], v[10:11], v[67:68]
	v_add_f64_e32 v[2:3], v[2:3], v[73:74]
	s_wait_loadcnt_dscnt 0x100
	v_mul_f64_e32 v[67:68], v[63:64], v[97:98]
	v_mul_f64_e32 v[73:74], v[65:66], v[97:98]
	v_fma_f64 v[8:9], v[8:9], v[87:88], v[75:76]
	v_add_f64_e32 v[10:11], v[10:11], v[69:70]
	v_add_f64_e32 v[2:3], v[2:3], v[71:72]
	v_fma_f64 v[65:66], v[65:66], v[95:96], v[67:68]
	v_fma_f64 v[63:64], v[63:64], v[95:96], -v[73:74]
	s_delay_alu instid0(VALU_DEP_3) | instskip(SKIP_1) | instid1(VALU_DEP_2)
	v_add_f64_e32 v[2:3], v[2:3], v[6:7]
	v_add_f64_e32 v[6:7], v[10:11], v[8:9]
	;; [unrolled: 1-line block ×3, first 2 shown]
	s_delay_alu instid0(VALU_DEP_2) | instskip(SKIP_1) | instid1(VALU_DEP_2)
	v_add_f64_e32 v[8:9], v[6:7], v[65:66]
	s_wait_loadcnt 0x0
	v_add_f64_e64 v[6:7], v[99:100], -v[2:3]
	s_delay_alu instid0(VALU_DEP_2)
	v_add_f64_e64 v[8:9], v[101:102], -v[8:9]
	scratch_store_b128 off, v[6:9], off offset:96
	v_cmpx_lt_u32_e32 4, v0
	s_cbranch_execz .LBB24_155
; %bb.154:
	scratch_load_b128 v[6:9], off, s27
	v_dual_mov_b32 v2, v1 :: v_dual_mov_b32 v3, v1
	v_mov_b32_e32 v4, v1
	scratch_store_b128 off, v[1:4], off offset:80
	s_wait_loadcnt 0x0
	ds_store_b128 v5, v[6:9]
.LBB24_155:
	s_wait_alu 0xfffe
	s_or_b32 exec_lo, exec_lo, s0
	s_wait_storecnt_dscnt 0x0
	s_barrier_signal -1
	s_barrier_wait -1
	global_inv scope:SCOPE_SE
	s_clause 0x7
	scratch_load_b128 v[6:9], off, off offset:96
	scratch_load_b128 v[63:66], off, off offset:112
	;; [unrolled: 1-line block ×8, first 2 shown]
	ds_load_b128 v[91:94], v1 offset:480
	s_clause 0x1
	scratch_load_b128 v[95:98], off, off offset:224
	scratch_load_b128 v[99:102], off, off offset:240
	s_mov_b32 s0, exec_lo
	s_wait_loadcnt_dscnt 0x900
	v_mul_f64_e32 v[2:3], v[93:94], v[8:9]
	v_mul_f64_e32 v[103:104], v[91:92], v[8:9]
	ds_load_b128 v[8:11], v1 offset:496
	v_fma_f64 v[2:3], v[91:92], v[6:7], -v[2:3]
	v_fma_f64 v[6:7], v[93:94], v[6:7], v[103:104]
	ds_load_b128 v[91:94], v1 offset:512
	s_wait_loadcnt_dscnt 0x801
	v_mul_f64_e32 v[107:108], v[8:9], v[65:66]
	v_mul_f64_e32 v[65:66], v[10:11], v[65:66]
	scratch_load_b128 v[103:106], off, off offset:256
	s_wait_loadcnt_dscnt 0x800
	v_mul_f64_e32 v[109:110], v[91:92], v[69:70]
	v_mul_f64_e32 v[69:70], v[93:94], v[69:70]
	v_add_f64_e32 v[2:3], 0, v[2:3]
	v_add_f64_e32 v[111:112], 0, v[6:7]
	v_fma_f64 v[10:11], v[10:11], v[63:64], v[107:108]
	v_fma_f64 v[107:108], v[8:9], v[63:64], -v[65:66]
	ds_load_b128 v[6:9], v1 offset:528
	scratch_load_b128 v[63:66], off, off offset:272
	v_fma_f64 v[109:110], v[93:94], v[67:68], v[109:110]
	v_fma_f64 v[115:116], v[91:92], v[67:68], -v[69:70]
	ds_load_b128 v[67:70], v1 offset:544
	s_wait_loadcnt_dscnt 0x801
	v_mul_f64_e32 v[113:114], v[6:7], v[73:74]
	v_mul_f64_e32 v[73:74], v[8:9], v[73:74]
	scratch_load_b128 v[91:94], off, off offset:288
	v_add_f64_e32 v[10:11], v[111:112], v[10:11]
	v_add_f64_e32 v[2:3], v[2:3], v[107:108]
	s_wait_loadcnt_dscnt 0x800
	v_mul_f64_e32 v[107:108], v[67:68], v[77:78]
	v_mul_f64_e32 v[77:78], v[69:70], v[77:78]
	v_fma_f64 v[111:112], v[8:9], v[71:72], v[113:114]
	v_fma_f64 v[113:114], v[6:7], v[71:72], -v[73:74]
	ds_load_b128 v[6:9], v1 offset:560
	scratch_load_b128 v[71:74], off, off offset:304
	v_add_f64_e32 v[10:11], v[10:11], v[109:110]
	v_add_f64_e32 v[2:3], v[2:3], v[115:116]
	v_fma_f64 v[107:108], v[69:70], v[75:76], v[107:108]
	v_fma_f64 v[115:116], v[67:68], v[75:76], -v[77:78]
	ds_load_b128 v[67:70], v1 offset:576
	s_wait_loadcnt_dscnt 0x801
	v_mul_f64_e32 v[109:110], v[6:7], v[81:82]
	v_mul_f64_e32 v[81:82], v[8:9], v[81:82]
	scratch_load_b128 v[75:78], off, off offset:320
	v_add_f64_e32 v[10:11], v[10:11], v[111:112]
	v_add_f64_e32 v[2:3], v[2:3], v[113:114]
	s_wait_loadcnt_dscnt 0x800
	v_mul_f64_e32 v[111:112], v[67:68], v[85:86]
	v_mul_f64_e32 v[85:86], v[69:70], v[85:86]
	v_fma_f64 v[109:110], v[8:9], v[79:80], v[109:110]
	v_fma_f64 v[113:114], v[6:7], v[79:80], -v[81:82]
	ds_load_b128 v[6:9], v1 offset:592
	scratch_load_b128 v[79:82], off, off offset:336
	v_add_f64_e32 v[10:11], v[10:11], v[107:108]
	v_add_f64_e32 v[2:3], v[2:3], v[115:116]
	;; [unrolled: 18-line block ×3, first 2 shown]
	v_fma_f64 v[109:110], v[69:70], v[95:96], v[109:110]
	v_fma_f64 v[115:116], v[67:68], v[95:96], -v[97:98]
	ds_load_b128 v[67:70], v1 offset:640
	s_wait_loadcnt_dscnt 0x801
	v_mul_f64_e32 v[111:112], v[6:7], v[101:102]
	v_mul_f64_e32 v[101:102], v[8:9], v[101:102]
	scratch_load_b128 v[95:98], off, off offset:384
	v_add_f64_e32 v[10:11], v[10:11], v[107:108]
	v_add_f64_e32 v[2:3], v[2:3], v[113:114]
	v_fma_f64 v[111:112], v[8:9], v[99:100], v[111:112]
	v_fma_f64 v[113:114], v[6:7], v[99:100], -v[101:102]
	ds_load_b128 v[6:9], v1 offset:656
	scratch_load_b128 v[99:102], off, off offset:400
	s_wait_loadcnt_dscnt 0x901
	v_mul_f64_e32 v[107:108], v[67:68], v[105:106]
	v_mul_f64_e32 v[105:106], v[69:70], v[105:106]
	v_add_f64_e32 v[10:11], v[10:11], v[109:110]
	v_add_f64_e32 v[2:3], v[2:3], v[115:116]
	s_delay_alu instid0(VALU_DEP_4)
	v_fma_f64 v[69:70], v[69:70], v[103:104], v[107:108]
	s_wait_loadcnt_dscnt 0x800
	v_mul_f64_e32 v[109:110], v[6:7], v[65:66]
	v_mul_f64_e32 v[115:116], v[8:9], v[65:66]
	v_fma_f64 v[103:104], v[67:68], v[103:104], -v[105:106]
	ds_load_b128 v[65:68], v1 offset:672
	v_add_f64_e32 v[10:11], v[10:11], v[111:112]
	v_add_f64_e32 v[2:3], v[2:3], v[113:114]
	v_fma_f64 v[107:108], v[8:9], v[63:64], v[109:110]
	v_fma_f64 v[63:64], v[6:7], v[63:64], -v[115:116]
	ds_load_b128 v[6:9], v1 offset:688
	s_wait_loadcnt_dscnt 0x701
	v_mul_f64_e32 v[105:106], v[65:66], v[93:94]
	v_mul_f64_e32 v[93:94], v[67:68], v[93:94]
	v_add_f64_e32 v[10:11], v[10:11], v[69:70]
	v_add_f64_e32 v[2:3], v[2:3], v[103:104]
	s_delay_alu instid0(VALU_DEP_4) | instskip(NEXT) | instid1(VALU_DEP_4)
	v_fma_f64 v[105:106], v[67:68], v[91:92], v[105:106]
	v_fma_f64 v[91:92], v[65:66], v[91:92], -v[93:94]
	scratch_load_b128 v[67:70], off, off offset:80
	s_wait_loadcnt_dscnt 0x700
	v_mul_f64_e32 v[103:104], v[6:7], v[73:74]
	v_mul_f64_e32 v[73:74], v[8:9], v[73:74]
	v_add_f64_e32 v[10:11], v[10:11], v[107:108]
	v_add_f64_e32 v[2:3], v[2:3], v[63:64]
	ds_load_b128 v[63:66], v1 offset:704
	v_fma_f64 v[103:104], v[8:9], v[71:72], v[103:104]
	v_fma_f64 v[71:72], v[6:7], v[71:72], -v[73:74]
	ds_load_b128 v[6:9], v1 offset:720
	s_wait_loadcnt_dscnt 0x601
	v_mul_f64_e32 v[93:94], v[63:64], v[77:78]
	v_mul_f64_e32 v[77:78], v[65:66], v[77:78]
	v_add_f64_e32 v[10:11], v[10:11], v[105:106]
	v_add_f64_e32 v[2:3], v[2:3], v[91:92]
	s_wait_loadcnt_dscnt 0x500
	v_mul_f64_e32 v[73:74], v[6:7], v[81:82]
	v_mul_f64_e32 v[81:82], v[8:9], v[81:82]
	v_fma_f64 v[91:92], v[65:66], v[75:76], v[93:94]
	v_fma_f64 v[75:76], v[63:64], v[75:76], -v[77:78]
	ds_load_b128 v[63:66], v1 offset:736
	v_add_f64_e32 v[10:11], v[10:11], v[103:104]
	v_add_f64_e32 v[2:3], v[2:3], v[71:72]
	v_fma_f64 v[73:74], v[8:9], v[79:80], v[73:74]
	v_fma_f64 v[79:80], v[6:7], v[79:80], -v[81:82]
	ds_load_b128 v[6:9], v1 offset:752
	s_wait_loadcnt_dscnt 0x401
	v_mul_f64_e32 v[71:72], v[63:64], v[85:86]
	v_mul_f64_e32 v[77:78], v[65:66], v[85:86]
	s_wait_loadcnt_dscnt 0x300
	v_mul_f64_e32 v[81:82], v[8:9], v[89:90]
	v_add_f64_e32 v[10:11], v[10:11], v[91:92]
	v_add_f64_e32 v[2:3], v[2:3], v[75:76]
	v_mul_f64_e32 v[75:76], v[6:7], v[89:90]
	v_fma_f64 v[71:72], v[65:66], v[83:84], v[71:72]
	v_fma_f64 v[77:78], v[63:64], v[83:84], -v[77:78]
	ds_load_b128 v[63:66], v1 offset:768
	v_fma_f64 v[6:7], v[6:7], v[87:88], -v[81:82]
	v_add_f64_e32 v[10:11], v[10:11], v[73:74]
	v_add_f64_e32 v[2:3], v[2:3], v[79:80]
	s_wait_loadcnt_dscnt 0x200
	v_mul_f64_e32 v[73:74], v[63:64], v[97:98]
	v_mul_f64_e32 v[79:80], v[65:66], v[97:98]
	v_fma_f64 v[8:9], v[8:9], v[87:88], v[75:76]
	v_add_f64_e32 v[10:11], v[10:11], v[71:72]
	v_add_f64_e32 v[75:76], v[2:3], v[77:78]
	ds_load_b128 v[1:4], v1 offset:784
	v_fma_f64 v[65:66], v[65:66], v[95:96], v[73:74]
	v_fma_f64 v[63:64], v[63:64], v[95:96], -v[79:80]
	s_wait_loadcnt_dscnt 0x100
	v_mul_f64_e32 v[71:72], v[1:2], v[101:102]
	v_mul_f64_e32 v[77:78], v[3:4], v[101:102]
	v_add_f64_e32 v[8:9], v[10:11], v[8:9]
	v_add_f64_e32 v[6:7], v[75:76], v[6:7]
	s_delay_alu instid0(VALU_DEP_4) | instskip(NEXT) | instid1(VALU_DEP_4)
	v_fma_f64 v[3:4], v[3:4], v[99:100], v[71:72]
	v_fma_f64 v[1:2], v[1:2], v[99:100], -v[77:78]
	s_delay_alu instid0(VALU_DEP_4) | instskip(NEXT) | instid1(VALU_DEP_4)
	v_add_f64_e32 v[8:9], v[8:9], v[65:66]
	v_add_f64_e32 v[6:7], v[6:7], v[63:64]
	s_delay_alu instid0(VALU_DEP_2) | instskip(NEXT) | instid1(VALU_DEP_2)
	v_add_f64_e32 v[3:4], v[8:9], v[3:4]
	v_add_f64_e32 v[1:2], v[6:7], v[1:2]
	s_wait_loadcnt 0x0
	s_delay_alu instid0(VALU_DEP_2) | instskip(NEXT) | instid1(VALU_DEP_2)
	v_add_f64_e64 v[3:4], v[69:70], -v[3:4]
	v_add_f64_e64 v[1:2], v[67:68], -v[1:2]
	scratch_store_b128 off, v[1:4], off offset:80
	v_cmpx_lt_u32_e32 3, v0
	s_cbranch_execz .LBB24_157
; %bb.156:
	scratch_load_b128 v[1:4], off, s26
	v_mov_b32_e32 v6, 0
	s_delay_alu instid0(VALU_DEP_1)
	v_dual_mov_b32 v7, v6 :: v_dual_mov_b32 v8, v6
	v_mov_b32_e32 v9, v6
	scratch_store_b128 off, v[6:9], off offset:64
	s_wait_loadcnt 0x0
	ds_store_b128 v5, v[1:4]
.LBB24_157:
	s_wait_alu 0xfffe
	s_or_b32 exec_lo, exec_lo, s0
	s_wait_storecnt_dscnt 0x0
	s_barrier_signal -1
	s_barrier_wait -1
	global_inv scope:SCOPE_SE
	s_clause 0x7
	scratch_load_b128 v[6:9], off, off offset:80
	scratch_load_b128 v[63:66], off, off offset:96
	;; [unrolled: 1-line block ×8, first 2 shown]
	v_mov_b32_e32 v1, 0
	s_clause 0x1
	scratch_load_b128 v[95:98], off, off offset:208
	scratch_load_b128 v[99:102], off, off offset:224
	s_mov_b32 s0, exec_lo
	ds_load_b128 v[91:94], v1 offset:464
	s_wait_loadcnt_dscnt 0x900
	v_mul_f64_e32 v[2:3], v[93:94], v[8:9]
	v_mul_f64_e32 v[103:104], v[91:92], v[8:9]
	ds_load_b128 v[8:11], v1 offset:480
	v_fma_f64 v[2:3], v[91:92], v[6:7], -v[2:3]
	v_fma_f64 v[6:7], v[93:94], v[6:7], v[103:104]
	ds_load_b128 v[91:94], v1 offset:496
	s_wait_loadcnt_dscnt 0x801
	v_mul_f64_e32 v[107:108], v[8:9], v[65:66]
	v_mul_f64_e32 v[65:66], v[10:11], v[65:66]
	scratch_load_b128 v[103:106], off, off offset:240
	s_wait_loadcnt_dscnt 0x800
	v_mul_f64_e32 v[109:110], v[91:92], v[69:70]
	v_mul_f64_e32 v[69:70], v[93:94], v[69:70]
	v_add_f64_e32 v[2:3], 0, v[2:3]
	v_add_f64_e32 v[111:112], 0, v[6:7]
	v_fma_f64 v[10:11], v[10:11], v[63:64], v[107:108]
	v_fma_f64 v[107:108], v[8:9], v[63:64], -v[65:66]
	ds_load_b128 v[6:9], v1 offset:512
	scratch_load_b128 v[63:66], off, off offset:256
	v_fma_f64 v[109:110], v[93:94], v[67:68], v[109:110]
	v_fma_f64 v[115:116], v[91:92], v[67:68], -v[69:70]
	ds_load_b128 v[67:70], v1 offset:528
	s_wait_loadcnt_dscnt 0x801
	v_mul_f64_e32 v[113:114], v[6:7], v[73:74]
	v_mul_f64_e32 v[73:74], v[8:9], v[73:74]
	scratch_load_b128 v[91:94], off, off offset:272
	v_add_f64_e32 v[10:11], v[111:112], v[10:11]
	v_add_f64_e32 v[2:3], v[2:3], v[107:108]
	s_wait_loadcnt_dscnt 0x800
	v_mul_f64_e32 v[107:108], v[67:68], v[77:78]
	v_mul_f64_e32 v[77:78], v[69:70], v[77:78]
	v_fma_f64 v[111:112], v[8:9], v[71:72], v[113:114]
	v_fma_f64 v[113:114], v[6:7], v[71:72], -v[73:74]
	ds_load_b128 v[6:9], v1 offset:544
	scratch_load_b128 v[71:74], off, off offset:288
	v_add_f64_e32 v[10:11], v[10:11], v[109:110]
	v_add_f64_e32 v[2:3], v[2:3], v[115:116]
	v_fma_f64 v[107:108], v[69:70], v[75:76], v[107:108]
	v_fma_f64 v[115:116], v[67:68], v[75:76], -v[77:78]
	ds_load_b128 v[67:70], v1 offset:560
	s_wait_loadcnt_dscnt 0x801
	v_mul_f64_e32 v[109:110], v[6:7], v[81:82]
	v_mul_f64_e32 v[81:82], v[8:9], v[81:82]
	scratch_load_b128 v[75:78], off, off offset:304
	v_add_f64_e32 v[10:11], v[10:11], v[111:112]
	v_add_f64_e32 v[2:3], v[2:3], v[113:114]
	s_wait_loadcnt_dscnt 0x800
	v_mul_f64_e32 v[111:112], v[67:68], v[85:86]
	v_mul_f64_e32 v[85:86], v[69:70], v[85:86]
	v_fma_f64 v[109:110], v[8:9], v[79:80], v[109:110]
	v_fma_f64 v[113:114], v[6:7], v[79:80], -v[81:82]
	ds_load_b128 v[6:9], v1 offset:576
	scratch_load_b128 v[79:82], off, off offset:320
	v_add_f64_e32 v[10:11], v[10:11], v[107:108]
	v_add_f64_e32 v[2:3], v[2:3], v[115:116]
	;; [unrolled: 18-line block ×3, first 2 shown]
	v_fma_f64 v[109:110], v[69:70], v[95:96], v[109:110]
	v_fma_f64 v[115:116], v[67:68], v[95:96], -v[97:98]
	ds_load_b128 v[67:70], v1 offset:624
	s_wait_loadcnt_dscnt 0x801
	v_mul_f64_e32 v[111:112], v[6:7], v[101:102]
	v_mul_f64_e32 v[101:102], v[8:9], v[101:102]
	scratch_load_b128 v[95:98], off, off offset:368
	v_add_f64_e32 v[10:11], v[10:11], v[107:108]
	v_add_f64_e32 v[2:3], v[2:3], v[113:114]
	v_fma_f64 v[111:112], v[8:9], v[99:100], v[111:112]
	v_fma_f64 v[113:114], v[6:7], v[99:100], -v[101:102]
	ds_load_b128 v[6:9], v1 offset:640
	scratch_load_b128 v[99:102], off, off offset:384
	s_wait_loadcnt_dscnt 0x901
	v_mul_f64_e32 v[107:108], v[67:68], v[105:106]
	v_mul_f64_e32 v[105:106], v[69:70], v[105:106]
	v_add_f64_e32 v[10:11], v[10:11], v[109:110]
	v_add_f64_e32 v[2:3], v[2:3], v[115:116]
	s_delay_alu instid0(VALU_DEP_4)
	v_fma_f64 v[69:70], v[69:70], v[103:104], v[107:108]
	s_wait_loadcnt_dscnt 0x800
	v_mul_f64_e32 v[109:110], v[6:7], v[65:66]
	v_mul_f64_e32 v[115:116], v[8:9], v[65:66]
	v_fma_f64 v[107:108], v[67:68], v[103:104], -v[105:106]
	ds_load_b128 v[65:68], v1 offset:656
	scratch_load_b128 v[103:106], off, off offset:400
	v_add_f64_e32 v[10:11], v[10:11], v[111:112]
	v_add_f64_e32 v[2:3], v[2:3], v[113:114]
	v_fma_f64 v[109:110], v[8:9], v[63:64], v[109:110]
	v_fma_f64 v[63:64], v[6:7], v[63:64], -v[115:116]
	ds_load_b128 v[6:9], v1 offset:672
	s_wait_loadcnt_dscnt 0x801
	v_mul_f64_e32 v[111:112], v[65:66], v[93:94]
	v_mul_f64_e32 v[93:94], v[67:68], v[93:94]
	v_add_f64_e32 v[10:11], v[10:11], v[69:70]
	v_add_f64_e32 v[2:3], v[2:3], v[107:108]
	s_wait_loadcnt_dscnt 0x700
	v_mul_f64_e32 v[69:70], v[6:7], v[73:74]
	v_mul_f64_e32 v[73:74], v[8:9], v[73:74]
	v_fma_f64 v[67:68], v[67:68], v[91:92], v[111:112]
	v_fma_f64 v[91:92], v[65:66], v[91:92], -v[93:94]
	v_add_f64_e32 v[10:11], v[10:11], v[109:110]
	v_add_f64_e32 v[2:3], v[2:3], v[63:64]
	ds_load_b128 v[63:66], v1 offset:688
	v_fma_f64 v[107:108], v[8:9], v[71:72], v[69:70]
	v_fma_f64 v[71:72], v[6:7], v[71:72], -v[73:74]
	ds_load_b128 v[6:9], v1 offset:704
	s_wait_loadcnt_dscnt 0x500
	v_mul_f64_e32 v[73:74], v[6:7], v[81:82]
	v_mul_f64_e32 v[81:82], v[8:9], v[81:82]
	v_add_f64_e32 v[10:11], v[10:11], v[67:68]
	v_add_f64_e32 v[2:3], v[2:3], v[91:92]
	scratch_load_b128 v[67:70], off, off offset:64
	v_mul_f64_e32 v[93:94], v[63:64], v[77:78]
	v_mul_f64_e32 v[77:78], v[65:66], v[77:78]
	v_fma_f64 v[73:74], v[8:9], v[79:80], v[73:74]
	v_fma_f64 v[79:80], v[6:7], v[79:80], -v[81:82]
	ds_load_b128 v[6:9], v1 offset:736
	v_add_f64_e32 v[10:11], v[10:11], v[107:108]
	v_add_f64_e32 v[2:3], v[2:3], v[71:72]
	v_fma_f64 v[91:92], v[65:66], v[75:76], v[93:94]
	v_fma_f64 v[75:76], v[63:64], v[75:76], -v[77:78]
	ds_load_b128 v[63:66], v1 offset:720
	s_wait_loadcnt_dscnt 0x401
	v_mul_f64_e32 v[81:82], v[8:9], v[89:90]
	s_wait_dscnt 0x0
	v_mul_f64_e32 v[71:72], v[63:64], v[85:86]
	v_mul_f64_e32 v[77:78], v[65:66], v[85:86]
	v_add_f64_e32 v[10:11], v[10:11], v[91:92]
	v_add_f64_e32 v[2:3], v[2:3], v[75:76]
	v_mul_f64_e32 v[75:76], v[6:7], v[89:90]
	v_fma_f64 v[81:82], v[6:7], v[87:88], -v[81:82]
	v_fma_f64 v[71:72], v[65:66], v[83:84], v[71:72]
	v_fma_f64 v[77:78], v[63:64], v[83:84], -v[77:78]
	ds_load_b128 v[63:66], v1 offset:752
	v_add_f64_e32 v[10:11], v[10:11], v[73:74]
	v_add_f64_e32 v[2:3], v[2:3], v[79:80]
	v_fma_f64 v[75:76], v[8:9], v[87:88], v[75:76]
	ds_load_b128 v[6:9], v1 offset:768
	s_wait_loadcnt_dscnt 0x301
	v_mul_f64_e32 v[73:74], v[63:64], v[97:98]
	v_mul_f64_e32 v[79:80], v[65:66], v[97:98]
	v_add_f64_e32 v[10:11], v[10:11], v[71:72]
	v_add_f64_e32 v[2:3], v[2:3], v[77:78]
	s_wait_loadcnt_dscnt 0x200
	v_mul_f64_e32 v[71:72], v[6:7], v[101:102]
	v_mul_f64_e32 v[77:78], v[8:9], v[101:102]
	v_fma_f64 v[73:74], v[65:66], v[95:96], v[73:74]
	v_fma_f64 v[79:80], v[63:64], v[95:96], -v[79:80]
	ds_load_b128 v[63:66], v1 offset:784
	v_add_f64_e32 v[10:11], v[10:11], v[75:76]
	v_add_f64_e32 v[2:3], v[2:3], v[81:82]
	s_wait_loadcnt_dscnt 0x100
	v_mul_f64_e32 v[75:76], v[63:64], v[105:106]
	v_mul_f64_e32 v[81:82], v[65:66], v[105:106]
	v_fma_f64 v[8:9], v[8:9], v[99:100], v[71:72]
	v_fma_f64 v[6:7], v[6:7], v[99:100], -v[77:78]
	v_add_f64_e32 v[10:11], v[10:11], v[73:74]
	v_add_f64_e32 v[2:3], v[2:3], v[79:80]
	v_fma_f64 v[65:66], v[65:66], v[103:104], v[75:76]
	v_fma_f64 v[63:64], v[63:64], v[103:104], -v[81:82]
	s_delay_alu instid0(VALU_DEP_3) | instskip(SKIP_1) | instid1(VALU_DEP_2)
	v_add_f64_e32 v[2:3], v[2:3], v[6:7]
	v_add_f64_e32 v[6:7], v[10:11], v[8:9]
	;; [unrolled: 1-line block ×3, first 2 shown]
	s_delay_alu instid0(VALU_DEP_2) | instskip(SKIP_1) | instid1(VALU_DEP_2)
	v_add_f64_e32 v[8:9], v[6:7], v[65:66]
	s_wait_loadcnt 0x0
	v_add_f64_e64 v[6:7], v[67:68], -v[2:3]
	s_delay_alu instid0(VALU_DEP_2)
	v_add_f64_e64 v[8:9], v[69:70], -v[8:9]
	scratch_store_b128 off, v[6:9], off offset:64
	v_cmpx_lt_u32_e32 2, v0
	s_cbranch_execz .LBB24_159
; %bb.158:
	scratch_load_b128 v[6:9], off, s33
	v_dual_mov_b32 v2, v1 :: v_dual_mov_b32 v3, v1
	v_mov_b32_e32 v4, v1
	scratch_store_b128 off, v[1:4], off offset:48
	s_wait_loadcnt 0x0
	ds_store_b128 v5, v[6:9]
.LBB24_159:
	s_wait_alu 0xfffe
	s_or_b32 exec_lo, exec_lo, s0
	s_wait_storecnt_dscnt 0x0
	s_barrier_signal -1
	s_barrier_wait -1
	global_inv scope:SCOPE_SE
	s_clause 0x7
	scratch_load_b128 v[6:9], off, off offset:64
	scratch_load_b128 v[63:66], off, off offset:80
	;; [unrolled: 1-line block ×8, first 2 shown]
	ds_load_b128 v[91:94], v1 offset:448
	s_clause 0x1
	scratch_load_b128 v[95:98], off, off offset:192
	scratch_load_b128 v[99:102], off, off offset:208
	s_mov_b32 s0, exec_lo
	s_wait_loadcnt_dscnt 0x900
	v_mul_f64_e32 v[2:3], v[93:94], v[8:9]
	v_mul_f64_e32 v[103:104], v[91:92], v[8:9]
	ds_load_b128 v[8:11], v1 offset:464
	v_fma_f64 v[2:3], v[91:92], v[6:7], -v[2:3]
	v_fma_f64 v[6:7], v[93:94], v[6:7], v[103:104]
	ds_load_b128 v[91:94], v1 offset:480
	s_wait_loadcnt_dscnt 0x801
	v_mul_f64_e32 v[107:108], v[8:9], v[65:66]
	v_mul_f64_e32 v[65:66], v[10:11], v[65:66]
	scratch_load_b128 v[103:106], off, off offset:224
	s_wait_loadcnt_dscnt 0x800
	v_mul_f64_e32 v[109:110], v[91:92], v[69:70]
	v_mul_f64_e32 v[69:70], v[93:94], v[69:70]
	v_add_f64_e32 v[2:3], 0, v[2:3]
	v_add_f64_e32 v[111:112], 0, v[6:7]
	v_fma_f64 v[10:11], v[10:11], v[63:64], v[107:108]
	v_fma_f64 v[107:108], v[8:9], v[63:64], -v[65:66]
	ds_load_b128 v[6:9], v1 offset:496
	scratch_load_b128 v[63:66], off, off offset:240
	v_fma_f64 v[109:110], v[93:94], v[67:68], v[109:110]
	v_fma_f64 v[115:116], v[91:92], v[67:68], -v[69:70]
	ds_load_b128 v[67:70], v1 offset:512
	s_wait_loadcnt_dscnt 0x801
	v_mul_f64_e32 v[113:114], v[6:7], v[73:74]
	v_mul_f64_e32 v[73:74], v[8:9], v[73:74]
	scratch_load_b128 v[91:94], off, off offset:256
	v_add_f64_e32 v[10:11], v[111:112], v[10:11]
	v_add_f64_e32 v[2:3], v[2:3], v[107:108]
	s_wait_loadcnt_dscnt 0x800
	v_mul_f64_e32 v[107:108], v[67:68], v[77:78]
	v_mul_f64_e32 v[77:78], v[69:70], v[77:78]
	v_fma_f64 v[111:112], v[8:9], v[71:72], v[113:114]
	v_fma_f64 v[113:114], v[6:7], v[71:72], -v[73:74]
	ds_load_b128 v[6:9], v1 offset:528
	scratch_load_b128 v[71:74], off, off offset:272
	v_add_f64_e32 v[10:11], v[10:11], v[109:110]
	v_add_f64_e32 v[2:3], v[2:3], v[115:116]
	v_fma_f64 v[107:108], v[69:70], v[75:76], v[107:108]
	v_fma_f64 v[115:116], v[67:68], v[75:76], -v[77:78]
	ds_load_b128 v[67:70], v1 offset:544
	s_wait_loadcnt_dscnt 0x801
	v_mul_f64_e32 v[109:110], v[6:7], v[81:82]
	v_mul_f64_e32 v[81:82], v[8:9], v[81:82]
	scratch_load_b128 v[75:78], off, off offset:288
	v_add_f64_e32 v[10:11], v[10:11], v[111:112]
	v_add_f64_e32 v[2:3], v[2:3], v[113:114]
	s_wait_loadcnt_dscnt 0x800
	v_mul_f64_e32 v[111:112], v[67:68], v[85:86]
	v_mul_f64_e32 v[85:86], v[69:70], v[85:86]
	v_fma_f64 v[109:110], v[8:9], v[79:80], v[109:110]
	v_fma_f64 v[113:114], v[6:7], v[79:80], -v[81:82]
	ds_load_b128 v[6:9], v1 offset:560
	scratch_load_b128 v[79:82], off, off offset:304
	v_add_f64_e32 v[10:11], v[10:11], v[107:108]
	v_add_f64_e32 v[2:3], v[2:3], v[115:116]
	;; [unrolled: 18-line block ×3, first 2 shown]
	v_fma_f64 v[109:110], v[69:70], v[95:96], v[109:110]
	v_fma_f64 v[115:116], v[67:68], v[95:96], -v[97:98]
	ds_load_b128 v[67:70], v1 offset:608
	s_wait_loadcnt_dscnt 0x801
	v_mul_f64_e32 v[111:112], v[6:7], v[101:102]
	v_mul_f64_e32 v[101:102], v[8:9], v[101:102]
	scratch_load_b128 v[95:98], off, off offset:352
	v_add_f64_e32 v[10:11], v[10:11], v[107:108]
	v_add_f64_e32 v[2:3], v[2:3], v[113:114]
	v_fma_f64 v[111:112], v[8:9], v[99:100], v[111:112]
	v_fma_f64 v[113:114], v[6:7], v[99:100], -v[101:102]
	ds_load_b128 v[6:9], v1 offset:624
	scratch_load_b128 v[99:102], off, off offset:368
	s_wait_loadcnt_dscnt 0x901
	v_mul_f64_e32 v[107:108], v[67:68], v[105:106]
	v_mul_f64_e32 v[105:106], v[69:70], v[105:106]
	v_add_f64_e32 v[10:11], v[10:11], v[109:110]
	v_add_f64_e32 v[2:3], v[2:3], v[115:116]
	s_delay_alu instid0(VALU_DEP_4)
	v_fma_f64 v[69:70], v[69:70], v[103:104], v[107:108]
	s_wait_loadcnt_dscnt 0x800
	v_mul_f64_e32 v[109:110], v[6:7], v[65:66]
	v_mul_f64_e32 v[115:116], v[8:9], v[65:66]
	v_fma_f64 v[107:108], v[67:68], v[103:104], -v[105:106]
	ds_load_b128 v[65:68], v1 offset:640
	scratch_load_b128 v[103:106], off, off offset:384
	v_add_f64_e32 v[10:11], v[10:11], v[111:112]
	v_add_f64_e32 v[2:3], v[2:3], v[113:114]
	v_fma_f64 v[113:114], v[8:9], v[63:64], v[109:110]
	v_fma_f64 v[63:64], v[6:7], v[63:64], -v[115:116]
	ds_load_b128 v[6:9], v1 offset:656
	s_wait_loadcnt_dscnt 0x801
	v_mul_f64_e32 v[111:112], v[65:66], v[93:94]
	v_mul_f64_e32 v[93:94], v[67:68], v[93:94]
	v_add_f64_e32 v[10:11], v[10:11], v[69:70]
	v_add_f64_e32 v[2:3], v[2:3], v[107:108]
	scratch_load_b128 v[107:110], off, off offset:400
	s_wait_loadcnt_dscnt 0x800
	v_mul_f64_e32 v[69:70], v[6:7], v[73:74]
	v_mul_f64_e32 v[73:74], v[8:9], v[73:74]
	v_fma_f64 v[67:68], v[67:68], v[91:92], v[111:112]
	v_fma_f64 v[91:92], v[65:66], v[91:92], -v[93:94]
	v_add_f64_e32 v[10:11], v[10:11], v[113:114]
	v_add_f64_e32 v[2:3], v[2:3], v[63:64]
	ds_load_b128 v[63:66], v1 offset:672
	v_fma_f64 v[69:70], v[8:9], v[71:72], v[69:70]
	v_fma_f64 v[71:72], v[6:7], v[71:72], -v[73:74]
	ds_load_b128 v[6:9], v1 offset:688
	s_wait_loadcnt_dscnt 0x600
	v_mul_f64_e32 v[73:74], v[6:7], v[81:82]
	v_mul_f64_e32 v[81:82], v[8:9], v[81:82]
	v_add_f64_e32 v[10:11], v[10:11], v[67:68]
	v_add_f64_e32 v[2:3], v[2:3], v[91:92]
	s_delay_alu instid0(VALU_DEP_4) | instskip(NEXT) | instid1(VALU_DEP_4)
	v_fma_f64 v[73:74], v[8:9], v[79:80], v[73:74]
	v_fma_f64 v[79:80], v[6:7], v[79:80], -v[81:82]
	ds_load_b128 v[6:9], v1 offset:720
	v_add_f64_e32 v[10:11], v[10:11], v[69:70]
	scratch_load_b128 v[67:70], off, off offset:48
	v_mul_f64_e32 v[93:94], v[63:64], v[77:78]
	v_mul_f64_e32 v[77:78], v[65:66], v[77:78]
	v_add_f64_e32 v[2:3], v[2:3], v[71:72]
	s_wait_loadcnt_dscnt 0x500
	v_mul_f64_e32 v[81:82], v[8:9], v[89:90]
	s_delay_alu instid0(VALU_DEP_4) | instskip(NEXT) | instid1(VALU_DEP_4)
	v_fma_f64 v[91:92], v[65:66], v[75:76], v[93:94]
	v_fma_f64 v[75:76], v[63:64], v[75:76], -v[77:78]
	ds_load_b128 v[63:66], v1 offset:704
	s_wait_dscnt 0x0
	v_mul_f64_e32 v[71:72], v[63:64], v[85:86]
	v_mul_f64_e32 v[77:78], v[65:66], v[85:86]
	v_fma_f64 v[81:82], v[6:7], v[87:88], -v[81:82]
	v_add_f64_e32 v[10:11], v[10:11], v[91:92]
	v_add_f64_e32 v[2:3], v[2:3], v[75:76]
	v_mul_f64_e32 v[75:76], v[6:7], v[89:90]
	v_fma_f64 v[71:72], v[65:66], v[83:84], v[71:72]
	v_fma_f64 v[77:78], v[63:64], v[83:84], -v[77:78]
	ds_load_b128 v[63:66], v1 offset:736
	v_add_f64_e32 v[10:11], v[10:11], v[73:74]
	v_add_f64_e32 v[2:3], v[2:3], v[79:80]
	v_fma_f64 v[75:76], v[8:9], v[87:88], v[75:76]
	ds_load_b128 v[6:9], v1 offset:752
	s_wait_loadcnt_dscnt 0x401
	v_mul_f64_e32 v[73:74], v[63:64], v[97:98]
	v_mul_f64_e32 v[79:80], v[65:66], v[97:98]
	v_add_f64_e32 v[10:11], v[10:11], v[71:72]
	v_add_f64_e32 v[2:3], v[2:3], v[77:78]
	s_wait_loadcnt_dscnt 0x300
	v_mul_f64_e32 v[71:72], v[6:7], v[101:102]
	v_mul_f64_e32 v[77:78], v[8:9], v[101:102]
	v_fma_f64 v[73:74], v[65:66], v[95:96], v[73:74]
	v_fma_f64 v[79:80], v[63:64], v[95:96], -v[79:80]
	ds_load_b128 v[63:66], v1 offset:768
	v_add_f64_e32 v[10:11], v[10:11], v[75:76]
	v_add_f64_e32 v[2:3], v[2:3], v[81:82]
	s_wait_loadcnt_dscnt 0x200
	v_mul_f64_e32 v[75:76], v[63:64], v[105:106]
	v_mul_f64_e32 v[81:82], v[65:66], v[105:106]
	v_fma_f64 v[8:9], v[8:9], v[99:100], v[71:72]
	v_fma_f64 v[6:7], v[6:7], v[99:100], -v[77:78]
	v_add_f64_e32 v[10:11], v[10:11], v[73:74]
	v_add_f64_e32 v[71:72], v[2:3], v[79:80]
	ds_load_b128 v[1:4], v1 offset:784
	v_fma_f64 v[65:66], v[65:66], v[103:104], v[75:76]
	v_fma_f64 v[63:64], v[63:64], v[103:104], -v[81:82]
	s_wait_loadcnt_dscnt 0x100
	v_mul_f64_e32 v[73:74], v[1:2], v[109:110]
	v_mul_f64_e32 v[77:78], v[3:4], v[109:110]
	v_add_f64_e32 v[8:9], v[10:11], v[8:9]
	v_add_f64_e32 v[6:7], v[71:72], v[6:7]
	s_delay_alu instid0(VALU_DEP_4) | instskip(NEXT) | instid1(VALU_DEP_4)
	v_fma_f64 v[3:4], v[3:4], v[107:108], v[73:74]
	v_fma_f64 v[1:2], v[1:2], v[107:108], -v[77:78]
	s_delay_alu instid0(VALU_DEP_4) | instskip(NEXT) | instid1(VALU_DEP_4)
	v_add_f64_e32 v[8:9], v[8:9], v[65:66]
	v_add_f64_e32 v[6:7], v[6:7], v[63:64]
	s_delay_alu instid0(VALU_DEP_2) | instskip(NEXT) | instid1(VALU_DEP_2)
	v_add_f64_e32 v[3:4], v[8:9], v[3:4]
	v_add_f64_e32 v[1:2], v[6:7], v[1:2]
	s_wait_loadcnt 0x0
	s_delay_alu instid0(VALU_DEP_2) | instskip(NEXT) | instid1(VALU_DEP_2)
	v_add_f64_e64 v[3:4], v[69:70], -v[3:4]
	v_add_f64_e64 v[1:2], v[67:68], -v[1:2]
	scratch_store_b128 off, v[1:4], off offset:48
	v_cmpx_lt_u32_e32 1, v0
	s_cbranch_execz .LBB24_161
; %bb.160:
	scratch_load_b128 v[1:4], off, s20
	v_mov_b32_e32 v6, 0
	s_delay_alu instid0(VALU_DEP_1)
	v_dual_mov_b32 v7, v6 :: v_dual_mov_b32 v8, v6
	v_mov_b32_e32 v9, v6
	scratch_store_b128 off, v[6:9], off offset:32
	s_wait_loadcnt 0x0
	ds_store_b128 v5, v[1:4]
.LBB24_161:
	s_wait_alu 0xfffe
	s_or_b32 exec_lo, exec_lo, s0
	s_wait_storecnt_dscnt 0x0
	s_barrier_signal -1
	s_barrier_wait -1
	global_inv scope:SCOPE_SE
	s_clause 0x7
	scratch_load_b128 v[6:9], off, off offset:48
	scratch_load_b128 v[63:66], off, off offset:64
	;; [unrolled: 1-line block ×8, first 2 shown]
	v_mov_b32_e32 v1, 0
	s_clause 0x1
	scratch_load_b128 v[95:98], off, off offset:176
	scratch_load_b128 v[99:102], off, off offset:192
	s_mov_b32 s0, exec_lo
	ds_load_b128 v[91:94], v1 offset:432
	s_wait_loadcnt_dscnt 0x900
	v_mul_f64_e32 v[2:3], v[93:94], v[8:9]
	v_mul_f64_e32 v[103:104], v[91:92], v[8:9]
	ds_load_b128 v[8:11], v1 offset:448
	v_fma_f64 v[2:3], v[91:92], v[6:7], -v[2:3]
	v_fma_f64 v[6:7], v[93:94], v[6:7], v[103:104]
	ds_load_b128 v[91:94], v1 offset:464
	s_wait_loadcnt_dscnt 0x801
	v_mul_f64_e32 v[107:108], v[8:9], v[65:66]
	v_mul_f64_e32 v[65:66], v[10:11], v[65:66]
	scratch_load_b128 v[103:106], off, off offset:208
	s_wait_loadcnt_dscnt 0x800
	v_mul_f64_e32 v[109:110], v[91:92], v[69:70]
	v_mul_f64_e32 v[69:70], v[93:94], v[69:70]
	v_add_f64_e32 v[2:3], 0, v[2:3]
	v_add_f64_e32 v[111:112], 0, v[6:7]
	v_fma_f64 v[10:11], v[10:11], v[63:64], v[107:108]
	v_fma_f64 v[107:108], v[8:9], v[63:64], -v[65:66]
	ds_load_b128 v[6:9], v1 offset:480
	scratch_load_b128 v[63:66], off, off offset:224
	v_fma_f64 v[109:110], v[93:94], v[67:68], v[109:110]
	v_fma_f64 v[115:116], v[91:92], v[67:68], -v[69:70]
	ds_load_b128 v[67:70], v1 offset:496
	s_wait_loadcnt_dscnt 0x801
	v_mul_f64_e32 v[113:114], v[6:7], v[73:74]
	v_mul_f64_e32 v[73:74], v[8:9], v[73:74]
	scratch_load_b128 v[91:94], off, off offset:240
	v_add_f64_e32 v[10:11], v[111:112], v[10:11]
	v_add_f64_e32 v[2:3], v[2:3], v[107:108]
	s_wait_loadcnt_dscnt 0x800
	v_mul_f64_e32 v[107:108], v[67:68], v[77:78]
	v_mul_f64_e32 v[77:78], v[69:70], v[77:78]
	v_fma_f64 v[111:112], v[8:9], v[71:72], v[113:114]
	v_fma_f64 v[113:114], v[6:7], v[71:72], -v[73:74]
	ds_load_b128 v[6:9], v1 offset:512
	scratch_load_b128 v[71:74], off, off offset:256
	v_add_f64_e32 v[10:11], v[10:11], v[109:110]
	v_add_f64_e32 v[2:3], v[2:3], v[115:116]
	v_fma_f64 v[107:108], v[69:70], v[75:76], v[107:108]
	v_fma_f64 v[115:116], v[67:68], v[75:76], -v[77:78]
	ds_load_b128 v[67:70], v1 offset:528
	s_wait_loadcnt_dscnt 0x801
	v_mul_f64_e32 v[109:110], v[6:7], v[81:82]
	v_mul_f64_e32 v[81:82], v[8:9], v[81:82]
	scratch_load_b128 v[75:78], off, off offset:272
	v_add_f64_e32 v[10:11], v[10:11], v[111:112]
	v_add_f64_e32 v[2:3], v[2:3], v[113:114]
	s_wait_loadcnt_dscnt 0x800
	v_mul_f64_e32 v[111:112], v[67:68], v[85:86]
	v_mul_f64_e32 v[85:86], v[69:70], v[85:86]
	v_fma_f64 v[109:110], v[8:9], v[79:80], v[109:110]
	v_fma_f64 v[113:114], v[6:7], v[79:80], -v[81:82]
	ds_load_b128 v[6:9], v1 offset:544
	scratch_load_b128 v[79:82], off, off offset:288
	v_add_f64_e32 v[10:11], v[10:11], v[107:108]
	v_add_f64_e32 v[2:3], v[2:3], v[115:116]
	;; [unrolled: 18-line block ×3, first 2 shown]
	v_fma_f64 v[109:110], v[69:70], v[95:96], v[109:110]
	v_fma_f64 v[115:116], v[67:68], v[95:96], -v[97:98]
	ds_load_b128 v[67:70], v1 offset:592
	s_wait_loadcnt_dscnt 0x801
	v_mul_f64_e32 v[111:112], v[6:7], v[101:102]
	v_mul_f64_e32 v[101:102], v[8:9], v[101:102]
	scratch_load_b128 v[95:98], off, off offset:336
	v_add_f64_e32 v[10:11], v[10:11], v[107:108]
	v_add_f64_e32 v[2:3], v[2:3], v[113:114]
	v_fma_f64 v[111:112], v[8:9], v[99:100], v[111:112]
	v_fma_f64 v[113:114], v[6:7], v[99:100], -v[101:102]
	ds_load_b128 v[6:9], v1 offset:608
	scratch_load_b128 v[99:102], off, off offset:352
	s_wait_loadcnt_dscnt 0x901
	v_mul_f64_e32 v[107:108], v[67:68], v[105:106]
	v_mul_f64_e32 v[105:106], v[69:70], v[105:106]
	v_add_f64_e32 v[10:11], v[10:11], v[109:110]
	v_add_f64_e32 v[2:3], v[2:3], v[115:116]
	s_delay_alu instid0(VALU_DEP_4)
	v_fma_f64 v[69:70], v[69:70], v[103:104], v[107:108]
	s_wait_loadcnt_dscnt 0x800
	v_mul_f64_e32 v[109:110], v[6:7], v[65:66]
	v_mul_f64_e32 v[115:116], v[8:9], v[65:66]
	v_fma_f64 v[107:108], v[67:68], v[103:104], -v[105:106]
	ds_load_b128 v[65:68], v1 offset:624
	scratch_load_b128 v[103:106], off, off offset:368
	v_add_f64_e32 v[10:11], v[10:11], v[111:112]
	v_add_f64_e32 v[2:3], v[2:3], v[113:114]
	v_fma_f64 v[113:114], v[8:9], v[63:64], v[109:110]
	v_fma_f64 v[63:64], v[6:7], v[63:64], -v[115:116]
	ds_load_b128 v[6:9], v1 offset:640
	s_wait_loadcnt_dscnt 0x801
	v_mul_f64_e32 v[111:112], v[65:66], v[93:94]
	v_mul_f64_e32 v[93:94], v[67:68], v[93:94]
	v_add_f64_e32 v[10:11], v[10:11], v[69:70]
	v_add_f64_e32 v[2:3], v[2:3], v[107:108]
	scratch_load_b128 v[107:110], off, off offset:384
	s_wait_loadcnt_dscnt 0x800
	v_mul_f64_e32 v[115:116], v[6:7], v[73:74]
	v_mul_f64_e32 v[73:74], v[8:9], v[73:74]
	v_fma_f64 v[111:112], v[67:68], v[91:92], v[111:112]
	v_fma_f64 v[91:92], v[65:66], v[91:92], -v[93:94]
	scratch_load_b128 v[67:70], off, off offset:400
	v_add_f64_e32 v[10:11], v[10:11], v[113:114]
	v_add_f64_e32 v[2:3], v[2:3], v[63:64]
	ds_load_b128 v[63:66], v1 offset:656
	v_fma_f64 v[113:114], v[8:9], v[71:72], v[115:116]
	v_fma_f64 v[71:72], v[6:7], v[71:72], -v[73:74]
	ds_load_b128 v[6:9], v1 offset:672
	s_wait_loadcnt_dscnt 0x801
	v_mul_f64_e32 v[93:94], v[63:64], v[77:78]
	v_mul_f64_e32 v[77:78], v[65:66], v[77:78]
	s_wait_loadcnt_dscnt 0x700
	v_mul_f64_e32 v[73:74], v[6:7], v[81:82]
	v_mul_f64_e32 v[81:82], v[8:9], v[81:82]
	v_add_f64_e32 v[10:11], v[10:11], v[111:112]
	v_add_f64_e32 v[2:3], v[2:3], v[91:92]
	v_fma_f64 v[91:92], v[65:66], v[75:76], v[93:94]
	v_fma_f64 v[75:76], v[63:64], v[75:76], -v[77:78]
	ds_load_b128 v[63:66], v1 offset:688
	v_fma_f64 v[93:94], v[8:9], v[79:80], v[73:74]
	v_fma_f64 v[79:80], v[6:7], v[79:80], -v[81:82]
	ds_load_b128 v[6:9], v1 offset:704
	v_add_f64_e32 v[10:11], v[10:11], v[113:114]
	v_add_f64_e32 v[2:3], v[2:3], v[71:72]
	scratch_load_b128 v[71:74], off, off offset:32
	s_wait_loadcnt_dscnt 0x701
	v_mul_f64_e32 v[77:78], v[63:64], v[85:86]
	v_mul_f64_e32 v[85:86], v[65:66], v[85:86]
	s_wait_loadcnt_dscnt 0x600
	v_mul_f64_e32 v[81:82], v[8:9], v[89:90]
	v_add_f64_e32 v[10:11], v[10:11], v[91:92]
	v_add_f64_e32 v[2:3], v[2:3], v[75:76]
	v_mul_f64_e32 v[75:76], v[6:7], v[89:90]
	v_fma_f64 v[77:78], v[65:66], v[83:84], v[77:78]
	v_fma_f64 v[83:84], v[63:64], v[83:84], -v[85:86]
	ds_load_b128 v[63:66], v1 offset:720
	v_fma_f64 v[81:82], v[6:7], v[87:88], -v[81:82]
	v_add_f64_e32 v[10:11], v[10:11], v[93:94]
	v_add_f64_e32 v[2:3], v[2:3], v[79:80]
	v_fma_f64 v[75:76], v[8:9], v[87:88], v[75:76]
	ds_load_b128 v[6:9], v1 offset:736
	s_wait_loadcnt_dscnt 0x501
	v_mul_f64_e32 v[79:80], v[63:64], v[97:98]
	v_mul_f64_e32 v[85:86], v[65:66], v[97:98]
	v_add_f64_e32 v[10:11], v[10:11], v[77:78]
	v_add_f64_e32 v[2:3], v[2:3], v[83:84]
	s_wait_loadcnt_dscnt 0x400
	v_mul_f64_e32 v[77:78], v[6:7], v[101:102]
	v_mul_f64_e32 v[83:84], v[8:9], v[101:102]
	v_fma_f64 v[79:80], v[65:66], v[95:96], v[79:80]
	v_fma_f64 v[85:86], v[63:64], v[95:96], -v[85:86]
	ds_load_b128 v[63:66], v1 offset:752
	v_add_f64_e32 v[10:11], v[10:11], v[75:76]
	v_add_f64_e32 v[2:3], v[2:3], v[81:82]
	v_fma_f64 v[77:78], v[8:9], v[99:100], v[77:78]
	v_fma_f64 v[83:84], v[6:7], v[99:100], -v[83:84]
	ds_load_b128 v[6:9], v1 offset:768
	s_wait_loadcnt_dscnt 0x301
	v_mul_f64_e32 v[75:76], v[63:64], v[105:106]
	v_mul_f64_e32 v[81:82], v[65:66], v[105:106]
	v_add_f64_e32 v[10:11], v[10:11], v[79:80]
	v_add_f64_e32 v[2:3], v[2:3], v[85:86]
	s_delay_alu instid0(VALU_DEP_4) | instskip(NEXT) | instid1(VALU_DEP_4)
	v_fma_f64 v[75:76], v[65:66], v[103:104], v[75:76]
	v_fma_f64 v[81:82], v[63:64], v[103:104], -v[81:82]
	ds_load_b128 v[63:66], v1 offset:784
	s_wait_loadcnt_dscnt 0x201
	v_mul_f64_e32 v[79:80], v[6:7], v[109:110]
	v_mul_f64_e32 v[85:86], v[8:9], v[109:110]
	v_add_f64_e32 v[10:11], v[10:11], v[77:78]
	v_add_f64_e32 v[2:3], v[2:3], v[83:84]
	s_wait_loadcnt_dscnt 0x100
	v_mul_f64_e32 v[77:78], v[63:64], v[69:70]
	v_mul_f64_e32 v[69:70], v[65:66], v[69:70]
	v_fma_f64 v[8:9], v[8:9], v[107:108], v[79:80]
	v_fma_f64 v[6:7], v[6:7], v[107:108], -v[85:86]
	v_add_f64_e32 v[10:11], v[10:11], v[75:76]
	v_add_f64_e32 v[2:3], v[2:3], v[81:82]
	v_fma_f64 v[65:66], v[65:66], v[67:68], v[77:78]
	v_fma_f64 v[63:64], v[63:64], v[67:68], -v[69:70]
	s_delay_alu instid0(VALU_DEP_3) | instskip(SKIP_1) | instid1(VALU_DEP_2)
	v_add_f64_e32 v[2:3], v[2:3], v[6:7]
	v_add_f64_e32 v[6:7], v[10:11], v[8:9]
	;; [unrolled: 1-line block ×3, first 2 shown]
	s_delay_alu instid0(VALU_DEP_2) | instskip(SKIP_1) | instid1(VALU_DEP_2)
	v_add_f64_e32 v[8:9], v[6:7], v[65:66]
	s_wait_loadcnt 0x0
	v_add_f64_e64 v[6:7], v[71:72], -v[2:3]
	s_delay_alu instid0(VALU_DEP_2)
	v_add_f64_e64 v[8:9], v[73:74], -v[8:9]
	scratch_store_b128 off, v[6:9], off offset:32
	v_cmpx_ne_u32_e32 0, v0
	s_cbranch_execz .LBB24_163
; %bb.162:
	scratch_load_b128 v[6:9], off, off offset:16
	v_dual_mov_b32 v2, v1 :: v_dual_mov_b32 v3, v1
	v_mov_b32_e32 v4, v1
	scratch_store_b128 off, v[1:4], off offset:16
	s_wait_loadcnt 0x0
	ds_store_b128 v5, v[6:9]
.LBB24_163:
	s_wait_alu 0xfffe
	s_or_b32 exec_lo, exec_lo, s0
	s_wait_storecnt_dscnt 0x0
	s_barrier_signal -1
	s_barrier_wait -1
	global_inv scope:SCOPE_SE
	s_clause 0x7
	scratch_load_b128 v[2:5], off, off offset:32
	scratch_load_b128 v[6:9], off, off offset:48
	;; [unrolled: 1-line block ×8, first 2 shown]
	ds_load_b128 v[87:90], v1 offset:416
	ds_load_b128 v[95:98], v1 offset:432
	s_clause 0x1
	scratch_load_b128 v[91:94], off, off offset:160
	scratch_load_b128 v[99:102], off, off offset:176
	s_and_b32 vcc_lo, exec_lo, s18
	s_wait_loadcnt_dscnt 0x901
	v_mul_f64_e32 v[10:11], v[89:90], v[4:5]
	v_mul_f64_e32 v[4:5], v[87:88], v[4:5]
	s_wait_loadcnt_dscnt 0x800
	v_mul_f64_e32 v[103:104], v[95:96], v[8:9]
	v_mul_f64_e32 v[105:106], v[97:98], v[8:9]
	s_delay_alu instid0(VALU_DEP_4) | instskip(NEXT) | instid1(VALU_DEP_4)
	v_fma_f64 v[87:88], v[87:88], v[2:3], -v[10:11]
	v_fma_f64 v[89:90], v[89:90], v[2:3], v[4:5]
	ds_load_b128 v[2:5], v1 offset:448
	scratch_load_b128 v[8:11], off, off offset:192
	v_fma_f64 v[103:104], v[97:98], v[6:7], v[103:104]
	v_fma_f64 v[6:7], v[95:96], v[6:7], -v[105:106]
	scratch_load_b128 v[95:98], off, off offset:208
	v_add_f64_e32 v[105:106], 0, v[87:88]
	v_add_f64_e32 v[109:110], 0, v[89:90]
	ds_load_b128 v[87:90], v1 offset:464
	s_wait_loadcnt_dscnt 0x901
	v_mul_f64_e32 v[107:108], v[2:3], v[65:66]
	v_mul_f64_e32 v[65:66], v[4:5], v[65:66]
	s_wait_loadcnt_dscnt 0x800
	v_mul_f64_e32 v[111:112], v[87:88], v[69:70]
	v_mul_f64_e32 v[69:70], v[89:90], v[69:70]
	v_add_f64_e32 v[6:7], v[105:106], v[6:7]
	v_add_f64_e32 v[103:104], v[109:110], v[103:104]
	v_fma_f64 v[107:108], v[4:5], v[63:64], v[107:108]
	v_fma_f64 v[113:114], v[2:3], v[63:64], -v[65:66]
	ds_load_b128 v[2:5], v1 offset:480
	scratch_load_b128 v[63:66], off, off offset:224
	v_fma_f64 v[109:110], v[89:90], v[67:68], v[111:112]
	v_fma_f64 v[111:112], v[87:88], v[67:68], -v[69:70]
	ds_load_b128 v[67:70], v1 offset:496
	s_wait_loadcnt_dscnt 0x801
	v_mul_f64_e32 v[105:106], v[2:3], v[73:74]
	v_mul_f64_e32 v[73:74], v[4:5], v[73:74]
	scratch_load_b128 v[87:90], off, off offset:240
	v_add_f64_e32 v[103:104], v[103:104], v[107:108]
	v_add_f64_e32 v[6:7], v[6:7], v[113:114]
	s_wait_loadcnt_dscnt 0x800
	v_mul_f64_e32 v[107:108], v[67:68], v[77:78]
	v_mul_f64_e32 v[77:78], v[69:70], v[77:78]
	v_fma_f64 v[105:106], v[4:5], v[71:72], v[105:106]
	v_fma_f64 v[113:114], v[2:3], v[71:72], -v[73:74]
	ds_load_b128 v[2:5], v1 offset:512
	scratch_load_b128 v[71:74], off, off offset:256
	v_add_f64_e32 v[103:104], v[103:104], v[109:110]
	v_add_f64_e32 v[6:7], v[6:7], v[111:112]
	v_fma_f64 v[107:108], v[69:70], v[75:76], v[107:108]
	v_fma_f64 v[111:112], v[67:68], v[75:76], -v[77:78]
	ds_load_b128 v[67:70], v1 offset:528
	s_wait_loadcnt_dscnt 0x801
	v_mul_f64_e32 v[109:110], v[2:3], v[81:82]
	v_mul_f64_e32 v[81:82], v[4:5], v[81:82]
	scratch_load_b128 v[75:78], off, off offset:272
	v_add_f64_e32 v[103:104], v[103:104], v[105:106]
	v_add_f64_e32 v[6:7], v[6:7], v[113:114]
	s_wait_loadcnt_dscnt 0x800
	v_mul_f64_e32 v[105:106], v[67:68], v[85:86]
	v_mul_f64_e32 v[85:86], v[69:70], v[85:86]
	v_fma_f64 v[109:110], v[4:5], v[79:80], v[109:110]
	v_fma_f64 v[113:114], v[2:3], v[79:80], -v[81:82]
	ds_load_b128 v[2:5], v1 offset:544
	scratch_load_b128 v[79:82], off, off offset:288
	v_add_f64_e32 v[103:104], v[103:104], v[107:108]
	v_add_f64_e32 v[6:7], v[6:7], v[111:112]
	;; [unrolled: 18-line block ×3, first 2 shown]
	v_fma_f64 v[109:110], v[69:70], v[99:100], v[109:110]
	v_fma_f64 v[111:112], v[67:68], v[99:100], -v[101:102]
	ds_load_b128 v[67:70], v1 offset:592
	scratch_load_b128 v[99:102], off, off offset:336
	s_wait_loadcnt_dscnt 0x901
	v_mul_f64_e32 v[105:106], v[2:3], v[10:11]
	v_mul_f64_e32 v[10:11], v[4:5], v[10:11]
	v_add_f64_e32 v[103:104], v[103:104], v[107:108]
	v_add_f64_e32 v[6:7], v[6:7], v[113:114]
	s_wait_loadcnt_dscnt 0x800
	v_mul_f64_e32 v[107:108], v[67:68], v[97:98]
	v_mul_f64_e32 v[97:98], v[69:70], v[97:98]
	v_fma_f64 v[105:106], v[4:5], v[8:9], v[105:106]
	v_fma_f64 v[10:11], v[2:3], v[8:9], -v[10:11]
	ds_load_b128 v[2:5], v1 offset:608
	v_add_f64_e32 v[103:104], v[103:104], v[109:110]
	v_add_f64_e32 v[111:112], v[6:7], v[111:112]
	v_fma_f64 v[69:70], v[69:70], v[95:96], v[107:108]
	v_fma_f64 v[107:108], v[67:68], v[95:96], -v[97:98]
	s_clause 0x1
	scratch_load_b128 v[6:9], off, off offset:352
	scratch_load_b128 v[95:98], off, off offset:368
	s_wait_loadcnt_dscnt 0x900
	v_mul_f64_e32 v[109:110], v[2:3], v[65:66]
	v_mul_f64_e32 v[113:114], v[4:5], v[65:66]
	ds_load_b128 v[65:68], v1 offset:624
	v_add_f64_e32 v[103:104], v[103:104], v[105:106]
	v_add_f64_e32 v[10:11], v[111:112], v[10:11]
	v_fma_f64 v[109:110], v[4:5], v[63:64], v[109:110]
	v_fma_f64 v[63:64], v[2:3], v[63:64], -v[113:114]
	ds_load_b128 v[2:5], v1 offset:640
	s_wait_loadcnt_dscnt 0x801
	v_mul_f64_e32 v[111:112], v[65:66], v[89:90]
	v_mul_f64_e32 v[89:90], v[67:68], v[89:90]
	v_add_f64_e32 v[69:70], v[103:104], v[69:70]
	v_add_f64_e32 v[10:11], v[10:11], v[107:108]
	scratch_load_b128 v[103:106], off, off offset:384
	s_wait_loadcnt_dscnt 0x800
	v_mul_f64_e32 v[107:108], v[2:3], v[73:74]
	v_mul_f64_e32 v[73:74], v[4:5], v[73:74]
	v_fma_f64 v[111:112], v[67:68], v[87:88], v[111:112]
	v_fma_f64 v[87:88], v[65:66], v[87:88], -v[89:90]
	v_add_f64_e32 v[89:90], v[69:70], v[109:110]
	v_add_f64_e32 v[10:11], v[10:11], v[63:64]
	ds_load_b128 v[63:66], v1 offset:656
	v_fma_f64 v[107:108], v[4:5], v[71:72], v[107:108]
	v_fma_f64 v[71:72], v[2:3], v[71:72], -v[73:74]
	ds_load_b128 v[2:5], v1 offset:672
	scratch_load_b128 v[67:70], off, off offset:400
	s_wait_loadcnt_dscnt 0x801
	v_mul_f64_e32 v[109:110], v[63:64], v[77:78]
	v_mul_f64_e32 v[77:78], v[65:66], v[77:78]
	v_add_f64_e32 v[73:74], v[89:90], v[111:112]
	v_add_f64_e32 v[10:11], v[10:11], v[87:88]
	s_delay_alu instid0(VALU_DEP_4) | instskip(NEXT) | instid1(VALU_DEP_4)
	v_fma_f64 v[89:90], v[65:66], v[75:76], v[109:110]
	v_fma_f64 v[75:76], v[63:64], v[75:76], -v[77:78]
	ds_load_b128 v[63:66], v1 offset:688
	v_add_f64_e32 v[10:11], v[10:11], v[71:72]
	v_add_f64_e32 v[71:72], v[73:74], v[107:108]
	s_delay_alu instid0(VALU_DEP_2) | instskip(NEXT) | instid1(VALU_DEP_2)
	v_add_f64_e32 v[10:11], v[10:11], v[75:76]
	v_add_f64_e32 v[75:76], v[71:72], v[89:90]
	scratch_load_b128 v[71:74], off, off offset:16
	s_wait_loadcnt_dscnt 0x801
	v_mul_f64_e32 v[87:88], v[2:3], v[81:82]
	v_mul_f64_e32 v[81:82], v[4:5], v[81:82]
	s_delay_alu instid0(VALU_DEP_2) | instskip(NEXT) | instid1(VALU_DEP_2)
	v_fma_f64 v[87:88], v[4:5], v[79:80], v[87:88]
	v_fma_f64 v[79:80], v[2:3], v[79:80], -v[81:82]
	ds_load_b128 v[2:5], v1 offset:704
	s_wait_loadcnt_dscnt 0x701
	v_mul_f64_e32 v[77:78], v[63:64], v[85:86]
	v_mul_f64_e32 v[85:86], v[65:66], v[85:86]
	s_wait_loadcnt_dscnt 0x600
	v_mul_f64_e32 v[81:82], v[2:3], v[93:94]
	v_mul_f64_e32 v[89:90], v[4:5], v[93:94]
	v_add_f64_e32 v[75:76], v[75:76], v[87:88]
	v_add_f64_e32 v[10:11], v[10:11], v[79:80]
	v_fma_f64 v[77:78], v[65:66], v[83:84], v[77:78]
	v_fma_f64 v[83:84], v[63:64], v[83:84], -v[85:86]
	ds_load_b128 v[63:66], v1 offset:720
	v_fma_f64 v[81:82], v[4:5], v[91:92], v[81:82]
	v_fma_f64 v[87:88], v[2:3], v[91:92], -v[89:90]
	ds_load_b128 v[2:5], v1 offset:736
	s_wait_loadcnt_dscnt 0x501
	v_mul_f64_e32 v[79:80], v[63:64], v[101:102]
	v_mul_f64_e32 v[85:86], v[65:66], v[101:102]
	v_add_f64_e32 v[75:76], v[75:76], v[77:78]
	v_add_f64_e32 v[10:11], v[10:11], v[83:84]
	s_wait_loadcnt_dscnt 0x400
	v_mul_f64_e32 v[77:78], v[2:3], v[8:9]
	v_mul_f64_e32 v[83:84], v[4:5], v[8:9]
	v_fma_f64 v[65:66], v[65:66], v[99:100], v[79:80]
	v_fma_f64 v[63:64], v[63:64], v[99:100], -v[85:86]
	v_add_f64_e32 v[75:76], v[75:76], v[81:82]
	v_add_f64_e32 v[79:80], v[10:11], v[87:88]
	ds_load_b128 v[8:11], v1 offset:752
	v_fma_f64 v[77:78], v[4:5], v[6:7], v[77:78]
	v_fma_f64 v[6:7], v[2:3], v[6:7], -v[83:84]
	ds_load_b128 v[2:5], v1 offset:768
	s_wait_loadcnt_dscnt 0x301
	v_mul_f64_e32 v[81:82], v[8:9], v[97:98]
	v_mul_f64_e32 v[85:86], v[10:11], v[97:98]
	v_add_f64_e32 v[65:66], v[75:76], v[65:66]
	v_add_f64_e32 v[63:64], v[79:80], v[63:64]
	s_wait_loadcnt_dscnt 0x200
	v_mul_f64_e32 v[75:76], v[2:3], v[105:106]
	v_mul_f64_e32 v[79:80], v[4:5], v[105:106]
	v_fma_f64 v[10:11], v[10:11], v[95:96], v[81:82]
	v_fma_f64 v[81:82], v[8:9], v[95:96], -v[85:86]
	v_add_f64_e32 v[65:66], v[65:66], v[77:78]
	v_add_f64_e32 v[63:64], v[63:64], v[6:7]
	ds_load_b128 v[6:9], v1 offset:784
	v_fma_f64 v[4:5], v[4:5], v[103:104], v[75:76]
	v_fma_f64 v[2:3], v[2:3], v[103:104], -v[79:80]
	s_wait_loadcnt_dscnt 0x100
	v_mul_f64_e32 v[0:1], v[6:7], v[69:70]
	v_mul_f64_e32 v[69:70], v[8:9], v[69:70]
	v_add_f64_e32 v[10:11], v[65:66], v[10:11]
	v_add_f64_e32 v[63:64], v[63:64], v[81:82]
	s_delay_alu instid0(VALU_DEP_4) | instskip(NEXT) | instid1(VALU_DEP_4)
	v_fma_f64 v[0:1], v[8:9], v[67:68], v[0:1]
	v_fma_f64 v[6:7], v[6:7], v[67:68], -v[69:70]
	s_delay_alu instid0(VALU_DEP_4) | instskip(NEXT) | instid1(VALU_DEP_4)
	v_add_f64_e32 v[4:5], v[10:11], v[4:5]
	v_add_f64_e32 v[2:3], v[63:64], v[2:3]
	s_delay_alu instid0(VALU_DEP_2) | instskip(NEXT) | instid1(VALU_DEP_2)
	v_add_f64_e32 v[4:5], v[4:5], v[0:1]
	v_add_f64_e32 v[2:3], v[2:3], v[6:7]
	s_wait_loadcnt 0x0
	s_delay_alu instid0(VALU_DEP_1) | instskip(NEXT) | instid1(VALU_DEP_3)
	v_add_f64_e64 v[0:1], v[71:72], -v[2:3]
	v_add_f64_e64 v[2:3], v[73:74], -v[4:5]
	scratch_store_b128 off, v[0:3], off offset:16
	s_wait_alu 0xfffe
	s_cbranch_vccz .LBB24_212
; %bb.164:
	v_mov_b32_e32 v0, 0
	global_load_b32 v1, v0, s[2:3] offset:92
	s_wait_loadcnt 0x0
	v_cmp_ne_u32_e32 vcc_lo, 24, v1
	s_cbranch_vccz .LBB24_166
; %bb.165:
	v_lshlrev_b32_e32 v1, 4, v1
	s_delay_alu instid0(VALU_DEP_1)
	v_add_nc_u32_e32 v9, 16, v1
	s_clause 0x1
	scratch_load_b128 v[1:4], v9, off offset:-16
	scratch_load_b128 v[5:8], off, s10
	s_wait_loadcnt 0x1
	scratch_store_b128 off, v[1:4], s10
	s_wait_loadcnt 0x0
	scratch_store_b128 v9, v[5:8], off offset:-16
.LBB24_166:
	global_load_b32 v0, v0, s[2:3] offset:88
	s_wait_loadcnt 0x0
	v_cmp_eq_u32_e32 vcc_lo, 23, v0
	s_cbranch_vccnz .LBB24_168
; %bb.167:
	v_lshlrev_b32_e32 v0, 4, v0
	s_delay_alu instid0(VALU_DEP_1)
	v_add_nc_u32_e32 v8, 16, v0
	s_clause 0x1
	scratch_load_b128 v[0:3], v8, off offset:-16
	scratch_load_b128 v[4:7], off, s13
	s_wait_loadcnt 0x1
	scratch_store_b128 off, v[0:3], s13
	s_wait_loadcnt 0x0
	scratch_store_b128 v8, v[4:7], off offset:-16
.LBB24_168:
	v_mov_b32_e32 v0, 0
	global_load_b32 v1, v0, s[2:3] offset:84
	s_wait_loadcnt 0x0
	v_cmp_eq_u32_e32 vcc_lo, 22, v1
	s_cbranch_vccnz .LBB24_170
; %bb.169:
	v_lshlrev_b32_e32 v1, 4, v1
	s_delay_alu instid0(VALU_DEP_1)
	v_add_nc_u32_e32 v9, 16, v1
	s_clause 0x1
	scratch_load_b128 v[1:4], v9, off offset:-16
	scratch_load_b128 v[5:8], off, s8
	s_wait_loadcnt 0x1
	scratch_store_b128 off, v[1:4], s8
	s_wait_loadcnt 0x0
	scratch_store_b128 v9, v[5:8], off offset:-16
.LBB24_170:
	global_load_b32 v0, v0, s[2:3] offset:80
	s_wait_loadcnt 0x0
	v_cmp_eq_u32_e32 vcc_lo, 21, v0
	s_cbranch_vccnz .LBB24_172
; %bb.171:
	v_lshlrev_b32_e32 v0, 4, v0
	s_delay_alu instid0(VALU_DEP_1)
	v_add_nc_u32_e32 v8, 16, v0
	s_clause 0x1
	scratch_load_b128 v[0:3], v8, off offset:-16
	scratch_load_b128 v[4:7], off, s11
	s_wait_loadcnt 0x1
	scratch_store_b128 off, v[0:3], s11
	s_wait_loadcnt 0x0
	scratch_store_b128 v8, v[4:7], off offset:-16
.LBB24_172:
	v_mov_b32_e32 v0, 0
	global_load_b32 v1, v0, s[2:3] offset:76
	s_wait_loadcnt 0x0
	v_cmp_eq_u32_e32 vcc_lo, 20, v1
	s_cbranch_vccnz .LBB24_174
; %bb.173:
	v_lshlrev_b32_e32 v1, 4, v1
	s_delay_alu instid0(VALU_DEP_1)
	v_add_nc_u32_e32 v9, 16, v1
	s_clause 0x1
	scratch_load_b128 v[1:4], v9, off offset:-16
	scratch_load_b128 v[5:8], off, s5
	s_wait_loadcnt 0x1
	scratch_store_b128 off, v[1:4], s5
	s_wait_loadcnt 0x0
	scratch_store_b128 v9, v[5:8], off offset:-16
.LBB24_174:
	;; [unrolled: 33-line block ×11, first 2 shown]
	global_load_b32 v0, v0, s[2:3]
	s_wait_loadcnt 0x0
	v_cmp_eq_u32_e32 vcc_lo, 1, v0
	s_cbranch_vccnz .LBB24_212
; %bb.211:
	v_lshlrev_b32_e32 v0, 4, v0
	s_delay_alu instid0(VALU_DEP_1)
	v_add_nc_u32_e32 v8, 16, v0
	scratch_load_b128 v[0:3], v8, off offset:-16
	scratch_load_b128 v[4:7], off, off offset:16
	s_wait_loadcnt 0x1
	scratch_store_b128 off, v[0:3], off offset:16
	s_wait_loadcnt 0x0
	scratch_store_b128 v8, v[4:7], off offset:-16
.LBB24_212:
	scratch_load_b128 v[0:3], off, off offset:16
	s_clause 0xd
	scratch_load_b128 v[4:7], off, s20
	scratch_load_b128 v[8:11], off, s33
	;; [unrolled: 1-line block ×14, first 2 shown]
	s_wait_loadcnt 0xe
	global_store_b128 v[13:14], v[0:3], off
	s_clause 0x1
	scratch_load_b128 v[0:3], off, s14
	scratch_load_b128 v[111:114], off, s12
	s_wait_loadcnt 0xf
	global_store_b128 v[15:16], v[4:7], off
	s_clause 0x1
	scratch_load_b128 v[4:7], off, s4
	scratch_load_b128 v[12:15], off, s9
	;; [unrolled: 5-line block ×3, first 2 shown]
	s_wait_loadcnt 0x11
	global_store_b128 v[19:20], v[63:66], off
	s_wait_loadcnt 0x10
	global_store_b128 v[21:22], v[67:70], off
	s_clause 0x1
	scratch_load_b128 v[16:19], off, s8
	scratch_load_b128 v[63:66], off, s13
	s_wait_loadcnt 0x11
	global_store_b128 v[23:24], v[71:74], off
	s_clause 0x1
	scratch_load_b128 v[20:23], off, s10
	scratch_load_b128 v[67:70], off, s15
	s_wait_loadcnt 0x12
	global_store_b128 v[25:26], v[75:78], off
	s_wait_loadcnt 0x11
	global_store_b128 v[27:28], v[79:82], off
	;; [unrolled: 2-line block ×19, first 2 shown]
	s_nop 0
	s_sendmsg sendmsg(MSG_DEALLOC_VGPRS)
	s_endpgm
	.section	.rodata,"a",@progbits
	.p2align	6, 0x0
	.amdhsa_kernel _ZN9rocsolver6v33100L18getri_kernel_smallILi25E19rocblas_complex_numIdEPS3_EEvT1_iilPiilS6_bb
		.amdhsa_group_segment_fixed_size 808
		.amdhsa_private_segment_fixed_size 432
		.amdhsa_kernarg_size 60
		.amdhsa_user_sgpr_count 2
		.amdhsa_user_sgpr_dispatch_ptr 0
		.amdhsa_user_sgpr_queue_ptr 0
		.amdhsa_user_sgpr_kernarg_segment_ptr 1
		.amdhsa_user_sgpr_dispatch_id 0
		.amdhsa_user_sgpr_private_segment_size 0
		.amdhsa_wavefront_size32 1
		.amdhsa_uses_dynamic_stack 0
		.amdhsa_enable_private_segment 1
		.amdhsa_system_sgpr_workgroup_id_x 1
		.amdhsa_system_sgpr_workgroup_id_y 0
		.amdhsa_system_sgpr_workgroup_id_z 0
		.amdhsa_system_sgpr_workgroup_info 0
		.amdhsa_system_vgpr_workitem_id 0
		.amdhsa_next_free_vgpr 121
		.amdhsa_next_free_sgpr 37
		.amdhsa_reserve_vcc 1
		.amdhsa_float_round_mode_32 0
		.amdhsa_float_round_mode_16_64 0
		.amdhsa_float_denorm_mode_32 3
		.amdhsa_float_denorm_mode_16_64 3
		.amdhsa_fp16_overflow 0
		.amdhsa_workgroup_processor_mode 1
		.amdhsa_memory_ordered 1
		.amdhsa_forward_progress 1
		.amdhsa_inst_pref_size 255
		.amdhsa_round_robin_scheduling 0
		.amdhsa_exception_fp_ieee_invalid_op 0
		.amdhsa_exception_fp_denorm_src 0
		.amdhsa_exception_fp_ieee_div_zero 0
		.amdhsa_exception_fp_ieee_overflow 0
		.amdhsa_exception_fp_ieee_underflow 0
		.amdhsa_exception_fp_ieee_inexact 0
		.amdhsa_exception_int_div_zero 0
	.end_amdhsa_kernel
	.section	.text._ZN9rocsolver6v33100L18getri_kernel_smallILi25E19rocblas_complex_numIdEPS3_EEvT1_iilPiilS6_bb,"axG",@progbits,_ZN9rocsolver6v33100L18getri_kernel_smallILi25E19rocblas_complex_numIdEPS3_EEvT1_iilPiilS6_bb,comdat
.Lfunc_end24:
	.size	_ZN9rocsolver6v33100L18getri_kernel_smallILi25E19rocblas_complex_numIdEPS3_EEvT1_iilPiilS6_bb, .Lfunc_end24-_ZN9rocsolver6v33100L18getri_kernel_smallILi25E19rocblas_complex_numIdEPS3_EEvT1_iilPiilS6_bb
                                        ; -- End function
	.set _ZN9rocsolver6v33100L18getri_kernel_smallILi25E19rocblas_complex_numIdEPS3_EEvT1_iilPiilS6_bb.num_vgpr, 121
	.set _ZN9rocsolver6v33100L18getri_kernel_smallILi25E19rocblas_complex_numIdEPS3_EEvT1_iilPiilS6_bb.num_agpr, 0
	.set _ZN9rocsolver6v33100L18getri_kernel_smallILi25E19rocblas_complex_numIdEPS3_EEvT1_iilPiilS6_bb.numbered_sgpr, 37
	.set _ZN9rocsolver6v33100L18getri_kernel_smallILi25E19rocblas_complex_numIdEPS3_EEvT1_iilPiilS6_bb.num_named_barrier, 0
	.set _ZN9rocsolver6v33100L18getri_kernel_smallILi25E19rocblas_complex_numIdEPS3_EEvT1_iilPiilS6_bb.private_seg_size, 432
	.set _ZN9rocsolver6v33100L18getri_kernel_smallILi25E19rocblas_complex_numIdEPS3_EEvT1_iilPiilS6_bb.uses_vcc, 1
	.set _ZN9rocsolver6v33100L18getri_kernel_smallILi25E19rocblas_complex_numIdEPS3_EEvT1_iilPiilS6_bb.uses_flat_scratch, 1
	.set _ZN9rocsolver6v33100L18getri_kernel_smallILi25E19rocblas_complex_numIdEPS3_EEvT1_iilPiilS6_bb.has_dyn_sized_stack, 0
	.set _ZN9rocsolver6v33100L18getri_kernel_smallILi25E19rocblas_complex_numIdEPS3_EEvT1_iilPiilS6_bb.has_recursion, 0
	.set _ZN9rocsolver6v33100L18getri_kernel_smallILi25E19rocblas_complex_numIdEPS3_EEvT1_iilPiilS6_bb.has_indirect_call, 0
	.section	.AMDGPU.csdata,"",@progbits
; Kernel info:
; codeLenInByte = 33892
; TotalNumSgprs: 39
; NumVgprs: 121
; ScratchSize: 432
; MemoryBound: 0
; FloatMode: 240
; IeeeMode: 1
; LDSByteSize: 808 bytes/workgroup (compile time only)
; SGPRBlocks: 0
; VGPRBlocks: 15
; NumSGPRsForWavesPerEU: 39
; NumVGPRsForWavesPerEU: 121
; Occupancy: 10
; WaveLimiterHint : 1
; COMPUTE_PGM_RSRC2:SCRATCH_EN: 1
; COMPUTE_PGM_RSRC2:USER_SGPR: 2
; COMPUTE_PGM_RSRC2:TRAP_HANDLER: 0
; COMPUTE_PGM_RSRC2:TGID_X_EN: 1
; COMPUTE_PGM_RSRC2:TGID_Y_EN: 0
; COMPUTE_PGM_RSRC2:TGID_Z_EN: 0
; COMPUTE_PGM_RSRC2:TIDIG_COMP_CNT: 0
	.section	.text._ZN9rocsolver6v33100L18getri_kernel_smallILi26E19rocblas_complex_numIdEPS3_EEvT1_iilPiilS6_bb,"axG",@progbits,_ZN9rocsolver6v33100L18getri_kernel_smallILi26E19rocblas_complex_numIdEPS3_EEvT1_iilPiilS6_bb,comdat
	.globl	_ZN9rocsolver6v33100L18getri_kernel_smallILi26E19rocblas_complex_numIdEPS3_EEvT1_iilPiilS6_bb ; -- Begin function _ZN9rocsolver6v33100L18getri_kernel_smallILi26E19rocblas_complex_numIdEPS3_EEvT1_iilPiilS6_bb
	.p2align	8
	.type	_ZN9rocsolver6v33100L18getri_kernel_smallILi26E19rocblas_complex_numIdEPS3_EEvT1_iilPiilS6_bb,@function
_ZN9rocsolver6v33100L18getri_kernel_smallILi26E19rocblas_complex_numIdEPS3_EEvT1_iilPiilS6_bb: ; @_ZN9rocsolver6v33100L18getri_kernel_smallILi26E19rocblas_complex_numIdEPS3_EEvT1_iilPiilS6_bb
; %bb.0:
	s_mov_b32 s2, exec_lo
	v_cmpx_gt_u32_e32 26, v0
	s_cbranch_execz .LBB25_118
; %bb.1:
	s_clause 0x2
	s_load_b32 s2, s[0:1], 0x38
	s_load_b128 s[12:15], s[0:1], 0x10
	s_load_b128 s[4:7], s[0:1], 0x28
	s_mov_b32 s16, ttmp9
	s_wait_kmcnt 0x0
	s_bitcmp1_b32 s2, 8
	s_cselect_b32 s18, -1, 0
	s_bfe_u32 s2, s2, 0x10008
	s_ashr_i32 s17, ttmp9, 31
	s_cmp_eq_u32 s2, 0
                                        ; implicit-def: $sgpr2_sgpr3
	s_cbranch_scc1 .LBB25_3
; %bb.2:
	s_load_b32 s2, s[0:1], 0x20
	s_mul_u64 s[4:5], s[4:5], s[16:17]
	s_delay_alu instid0(SALU_CYCLE_1) | instskip(NEXT) | instid1(SALU_CYCLE_1)
	s_lshl_b64 s[4:5], s[4:5], 2
	s_add_nc_u64 s[4:5], s[14:15], s[4:5]
	s_wait_kmcnt 0x0
	s_ashr_i32 s3, s2, 31
	s_delay_alu instid0(SALU_CYCLE_1) | instskip(NEXT) | instid1(SALU_CYCLE_1)
	s_lshl_b64 s[2:3], s[2:3], 2
	s_add_nc_u64 s[2:3], s[4:5], s[2:3]
.LBB25_3:
	s_clause 0x1
	s_load_b128 s[8:11], s[0:1], 0x0
	s_load_b32 s35, s[0:1], 0x38
	s_mul_u64 s[0:1], s[12:13], s[16:17]
	v_lshlrev_b32_e32 v65, 4, v0
	s_lshl_b64 s[0:1], s[0:1], 4
	s_mov_b32 s24, 32
	s_mov_b32 s23, 48
	;; [unrolled: 1-line block ×3, first 2 shown]
	s_movk_i32 s21, 0x50
	s_wait_kmcnt 0x0
	v_add3_u32 v5, s11, s11, v0
	s_ashr_i32 s5, s10, 31
	s_mov_b32 s4, s10
	s_add_nc_u64 s[0:1], s[8:9], s[0:1]
	s_lshl_b64 s[4:5], s[4:5], 4
	v_add_nc_u32_e32 v7, s11, v5
	v_ashrrev_i32_e32 v6, 31, v5
	s_add_nc_u64 s[0:1], s[0:1], s[4:5]
	s_ashr_i32 s9, s11, 31
	v_add_co_u32 v13, s4, s0, v65
	v_add_nc_u32_e32 v9, s11, v7
	v_ashrrev_i32_e32 v8, 31, v7
	s_mov_b32 s8, s11
	v_lshlrev_b64_e32 v[5:6], 4, v[5:6]
	v_add_co_ci_u32_e64 v14, null, s1, 0, s4
	v_add_nc_u32_e32 v23, s11, v9
	v_ashrrev_i32_e32 v10, 31, v9
	s_lshl_b64 s[8:9], s[8:9], 4
	v_lshlrev_b64_e32 v[7:8], 4, v[7:8]
	v_add_co_u32 v15, vcc_lo, v13, s8
	v_add_nc_u32_e32 v25, s11, v23
	v_lshlrev_b64_e32 v[21:22], 4, v[9:10]
	v_add_co_ci_u32_e64 v16, null, s9, v14, vcc_lo
	v_add_co_u32 v17, vcc_lo, s0, v5
	s_delay_alu instid0(VALU_DEP_4) | instskip(SKIP_3) | instid1(VALU_DEP_3)
	v_add_nc_u32_e32 v27, s11, v25
	s_wait_alu 0xfffd
	v_add_co_ci_u32_e64 v18, null, s1, v6, vcc_lo
	v_add_co_u32 v19, vcc_lo, s0, v7
	v_add_nc_u32_e32 v29, s11, v27
	s_wait_alu 0xfffd
	v_add_co_ci_u32_e64 v20, null, s1, v8, vcc_lo
	v_add_co_u32 v21, vcc_lo, s0, v21
	s_wait_alu 0xfffd
	v_add_co_ci_u32_e64 v22, null, s1, v22, vcc_lo
	v_ashrrev_i32_e32 v24, 31, v23
	v_add_nc_u32_e32 v31, s11, v29
	global_load_b128 v[1:4], v65, s[0:1]
	v_ashrrev_i32_e32 v26, 31, v25
	s_clause 0x3
	global_load_b128 v[5:8], v[15:16], off
	global_load_b128 v[9:12], v[17:18], off
	;; [unrolled: 1-line block ×4, first 2 shown]
	v_ashrrev_i32_e32 v28, 31, v27
	v_lshlrev_b64_e32 v[23:24], 4, v[23:24]
	v_add_nc_u32_e32 v35, s11, v31
	v_ashrrev_i32_e32 v30, 31, v29
	v_lshlrev_b64_e32 v[25:26], 4, v[25:26]
	v_ashrrev_i32_e32 v32, 31, v31
	v_lshlrev_b64_e32 v[27:28], 4, v[27:28]
	v_ashrrev_i32_e32 v36, 31, v35
	v_add_co_u32 v23, vcc_lo, s0, v23
	v_lshlrev_b64_e32 v[29:30], 4, v[29:30]
	s_wait_alu 0xfffd
	v_add_co_ci_u32_e64 v24, null, s1, v24, vcc_lo
	v_add_co_u32 v25, vcc_lo, s0, v25
	v_lshlrev_b64_e32 v[31:32], 4, v[31:32]
	s_wait_alu 0xfffd
	v_add_co_ci_u32_e64 v26, null, s1, v26, vcc_lo
	;; [unrolled: 4-line block ×3, first 2 shown]
	v_add_co_u32 v29, vcc_lo, s0, v29
	s_wait_alu 0xfffd
	v_add_co_ci_u32_e64 v30, null, s1, v30, vcc_lo
	v_add_co_u32 v31, vcc_lo, s0, v31
	s_wait_alu 0xfffd
	v_add_co_ci_u32_e64 v32, null, s1, v32, vcc_lo
	;; [unrolled: 3-line block ×3, first 2 shown]
	s_clause 0x5
	global_load_b128 v[66:69], v[23:24], off
	global_load_b128 v[70:73], v[25:26], off
	global_load_b128 v[74:77], v[27:28], off
	global_load_b128 v[78:81], v[29:30], off
	global_load_b128 v[82:85], v[31:32], off
	global_load_b128 v[86:89], v[33:34], off
	v_add_nc_u32_e32 v35, s11, v35
	s_movk_i32 s4, 0x70
	s_movk_i32 s5, 0x80
	s_wait_alu 0xfffe
	s_add_co_i32 s28, s4, 16
	s_add_co_i32 s29, s5, 16
	v_add_nc_u32_e32 v37, s11, v35
	v_ashrrev_i32_e32 v36, 31, v35
	s_delay_alu instid0(VALU_DEP_2) | instskip(SKIP_1) | instid1(VALU_DEP_3)
	v_add_nc_u32_e32 v39, s11, v37
	v_ashrrev_i32_e32 v38, 31, v37
	v_lshlrev_b64_e32 v[35:36], 4, v[35:36]
	s_delay_alu instid0(VALU_DEP_3) | instskip(SKIP_1) | instid1(VALU_DEP_4)
	v_add_nc_u32_e32 v41, s11, v39
	v_ashrrev_i32_e32 v40, 31, v39
	v_lshlrev_b64_e32 v[37:38], 4, v[37:38]
	s_delay_alu instid0(VALU_DEP_4) | instskip(NEXT) | instid1(VALU_DEP_4)
	v_add_co_u32 v35, vcc_lo, s0, v35
	v_add_nc_u32_e32 v43, s11, v41
	v_ashrrev_i32_e32 v42, 31, v41
	v_lshlrev_b64_e32 v[39:40], 4, v[39:40]
	s_wait_alu 0xfffd
	v_add_co_ci_u32_e64 v36, null, s1, v36, vcc_lo
	v_add_nc_u32_e32 v45, s11, v43
	v_ashrrev_i32_e32 v44, 31, v43
	v_lshlrev_b64_e32 v[41:42], 4, v[41:42]
	v_add_co_u32 v37, vcc_lo, s0, v37
	s_delay_alu instid0(VALU_DEP_4)
	v_add_nc_u32_e32 v47, s11, v45
	v_ashrrev_i32_e32 v46, 31, v45
	v_lshlrev_b64_e32 v[43:44], 4, v[43:44]
	s_wait_alu 0xfffd
	v_add_co_ci_u32_e64 v38, null, s1, v38, vcc_lo
	v_add_nc_u32_e32 v49, s11, v47
	v_ashrrev_i32_e32 v48, 31, v47
	v_add_co_u32 v39, vcc_lo, s0, v39
	v_lshlrev_b64_e32 v[45:46], 4, v[45:46]
	s_delay_alu instid0(VALU_DEP_4)
	v_add_nc_u32_e32 v51, s11, v49
	v_ashrrev_i32_e32 v50, 31, v49
	s_wait_alu 0xfffd
	v_add_co_ci_u32_e64 v40, null, s1, v40, vcc_lo
	v_add_co_u32 v41, vcc_lo, s0, v41
	v_add_nc_u32_e32 v53, s11, v51
	v_lshlrev_b64_e32 v[47:48], 4, v[47:48]
	s_wait_alu 0xfffd
	v_add_co_ci_u32_e64 v42, null, s1, v42, vcc_lo
	v_add_co_u32 v43, vcc_lo, s0, v43
	v_add_nc_u32_e32 v55, s11, v53
	v_lshlrev_b64_e32 v[49:50], 4, v[49:50]
	s_wait_alu 0xfffd
	v_add_co_ci_u32_e64 v44, null, s1, v44, vcc_lo
	v_add_co_u32 v45, vcc_lo, s0, v45
	v_add_nc_u32_e32 v114, s11, v55
	s_wait_alu 0xfffd
	v_add_co_ci_u32_e64 v46, null, s1, v46, vcc_lo
	v_add_co_u32 v47, vcc_lo, s0, v47
	s_delay_alu instid0(VALU_DEP_3)
	v_add_nc_u32_e32 v118, s11, v114
	v_ashrrev_i32_e32 v52, 31, v51
	s_wait_alu 0xfffd
	v_add_co_ci_u32_e64 v48, null, s1, v48, vcc_lo
	v_add_co_u32 v49, vcc_lo, s0, v49
	v_ashrrev_i32_e32 v54, 31, v53
	v_add_nc_u32_e32 v122, s11, v118
	s_wait_alu 0xfffd
	v_add_co_ci_u32_e64 v50, null, s1, v50, vcc_lo
	v_ashrrev_i32_e32 v56, 31, v55
	v_lshlrev_b64_e32 v[51:52], 4, v[51:52]
	s_clause 0x5
	global_load_b128 v[90:93], v[35:36], off
	global_load_b128 v[94:97], v[37:38], off
	;; [unrolled: 1-line block ×6, first 2 shown]
	v_ashrrev_i32_e32 v115, 31, v114
	v_lshlrev_b64_e32 v[53:54], 4, v[53:54]
	v_ashrrev_i32_e32 v119, 31, v118
	v_lshlrev_b64_e32 v[55:56], 4, v[55:56]
	v_ashrrev_i32_e32 v123, 31, v122
	v_add_co_u32 v51, vcc_lo, s0, v51
	v_lshlrev_b64_e32 v[120:121], 4, v[114:115]
	s_wait_alu 0xfffd
	v_add_co_ci_u32_e64 v52, null, s1, v52, vcc_lo
	v_add_co_u32 v53, vcc_lo, s0, v53
	s_wait_alu 0xfffd
	v_add_co_ci_u32_e64 v54, null, s1, v54, vcc_lo
	v_add_co_u32 v55, vcc_lo, s0, v55
	s_wait_alu 0xfffd
	v_add_co_ci_u32_e64 v56, null, s1, v56, vcc_lo
	s_wait_loadcnt 0x10
	scratch_store_b128 off, v[1:4], off offset:16
	s_wait_loadcnt 0xf
	scratch_store_b128 off, v[5:8], off offset:32
	s_clause 0x1
	global_load_b128 v[1:4], v[47:48], off
	global_load_b128 v[5:8], v[49:50], off
	s_wait_loadcnt 0x10
	scratch_store_b128 off, v[9:12], off offset:48
	s_wait_loadcnt 0xf
	scratch_store_b128 off, v[57:60], off offset:64
	;; [unrolled: 2-line block ×3, first 2 shown]
	v_add_nc_u32_e32 v61, s11, v122
	v_lshlrev_b64_e32 v[59:60], 4, v[118:119]
	v_lshlrev_b64_e32 v[63:64], 4, v[122:123]
	v_add_co_u32 v57, vcc_lo, s0, v120
	s_delay_alu instid0(VALU_DEP_4) | instskip(SKIP_3) | instid1(VALU_DEP_3)
	v_ashrrev_i32_e32 v62, 31, v61
	s_wait_alu 0xfffd
	v_add_co_ci_u32_e64 v58, null, s1, v121, vcc_lo
	v_add_co_u32 v59, vcc_lo, s0, v59
	v_lshlrev_b64_e32 v[118:119], 4, v[61:62]
	s_wait_alu 0xfffd
	v_add_co_ci_u32_e64 v60, null, s1, v60, vcc_lo
	v_add_co_u32 v61, vcc_lo, s0, v63
	s_wait_alu 0xfffd
	v_add_co_ci_u32_e64 v62, null, s1, v64, vcc_lo
	v_add_co_u32 v63, vcc_lo, s0, v118
	s_wait_alu 0xfffd
	v_add_co_ci_u32_e64 v64, null, s1, v119, vcc_lo
	s_clause 0x1
	global_load_b128 v[9:12], v[51:52], off
	global_load_b128 v[114:117], v[53:54], off
	s_movk_i32 s0, 0x50
	s_movk_i32 s1, 0x60
	s_wait_alu 0xfffe
	s_add_co_i32 s34, s0, 16
	s_movk_i32 s0, 0x90
	s_add_co_i32 s33, s1, 16
	s_wait_alu 0xfffe
	s_add_co_i32 s25, s0, 16
	s_movk_i32 s0, 0xa0
	s_movk_i32 s1, 0xb0
	s_wait_alu 0xfffe
	s_add_co_i32 s30, s0, 16
	s_add_co_i32 s26, s1, 16
	s_movk_i32 s0, 0xc0
	s_movk_i32 s1, 0xd0
	s_wait_loadcnt 0xf
	scratch_store_b128 off, v[66:69], off offset:96
	s_wait_loadcnt 0xe
	scratch_store_b128 off, v[70:73], off offset:112
	;; [unrolled: 2-line block ×3, first 2 shown]
	s_clause 0x1
	global_load_b128 v[66:69], v[55:56], off
	global_load_b128 v[70:73], v[57:58], off
	s_wait_loadcnt 0xe
	scratch_store_b128 off, v[78:81], off offset:144
	s_wait_loadcnt 0xd
	scratch_store_b128 off, v[82:85], off offset:160
	s_clause 0x2
	global_load_b128 v[74:77], v[59:60], off
	global_load_b128 v[78:81], v[61:62], off
	;; [unrolled: 1-line block ×3, first 2 shown]
	s_wait_alu 0xfffe
	s_add_co_i32 s31, s0, 16
	s_add_co_i32 s27, s1, 16
	s_movk_i32 s0, 0xe0
	s_movk_i32 s1, 0xf0
	s_wait_alu 0xfffe
	s_add_co_i32 s19, s0, 16
	s_add_co_i32 s4, s1, 16
	s_movk_i32 s0, 0x100
	s_movk_i32 s1, 0x110
	;; [unrolled: 5-line block ×6, first 2 shown]
	s_wait_alu 0xfffe
	s_add_co_i32 s15, s0, 16
	s_add_co_i32 s20, s1, 16
	s_mov_b32 s1, -1
	s_bitcmp0_b32 s35, 0
	s_wait_loadcnt 0xf
	scratch_store_b128 off, v[86:89], off offset:176
	s_wait_loadcnt 0xe
	scratch_store_b128 off, v[90:93], off offset:192
	s_wait_loadcnt 0xd
	scratch_store_b128 off, v[94:97], off offset:208
	s_wait_loadcnt 0xc
	scratch_store_b128 off, v[98:101], off offset:224
	s_wait_loadcnt 0xb
	scratch_store_b128 off, v[102:105], off offset:240
	s_wait_loadcnt 0xa
	scratch_store_b128 off, v[106:109], off offset:256
	s_wait_loadcnt 0x9
	scratch_store_b128 off, v[110:113], off offset:272
	s_wait_loadcnt 0x8
	scratch_store_b128 off, v[1:4], off offset:288
	s_wait_loadcnt 0x7
	scratch_store_b128 off, v[5:8], off offset:304
	s_wait_loadcnt 0x6
	scratch_store_b128 off, v[9:12], off offset:320
	s_wait_loadcnt 0x5
	scratch_store_b128 off, v[114:117], off offset:336
	s_wait_loadcnt 0x4
	scratch_store_b128 off, v[66:69], off offset:352
	s_wait_loadcnt 0x3
	scratch_store_b128 off, v[70:73], off offset:368
	s_wait_loadcnt 0x2
	scratch_store_b128 off, v[74:77], off offset:384
	s_wait_loadcnt 0x1
	scratch_store_b128 off, v[78:81], off offset:400
	s_wait_loadcnt 0x0
	scratch_store_b128 off, v[82:85], off offset:416
	s_cbranch_scc1 .LBB25_116
; %bb.4:
	v_cmp_eq_u32_e64 s0, 0, v0
	s_and_saveexec_b32 s1, s0
; %bb.5:
	v_mov_b32_e32 v1, 0
	ds_store_b32 v1, v1 offset:832
; %bb.6:
	s_wait_alu 0xfffe
	s_or_b32 exec_lo, exec_lo, s1
	s_wait_storecnt_dscnt 0x0
	s_barrier_signal -1
	s_barrier_wait -1
	global_inv scope:SCOPE_SE
	scratch_load_b128 v[1:4], v65, off offset:16
	s_wait_loadcnt 0x0
	v_cmp_eq_f64_e32 vcc_lo, 0, v[1:2]
	v_cmp_eq_f64_e64 s1, 0, v[3:4]
	s_and_b32 s1, vcc_lo, s1
	s_wait_alu 0xfffe
	s_and_saveexec_b32 s35, s1
	s_cbranch_execz .LBB25_10
; %bb.7:
	v_mov_b32_e32 v1, 0
	s_mov_b32 s36, 0
	ds_load_b32 v2, v1 offset:832
	s_wait_dscnt 0x0
	v_readfirstlane_b32 s1, v2
	v_add_nc_u32_e32 v2, 1, v0
	s_cmp_eq_u32 s1, 0
	s_delay_alu instid0(VALU_DEP_1) | instskip(SKIP_1) | instid1(SALU_CYCLE_1)
	v_cmp_gt_i32_e32 vcc_lo, s1, v2
	s_cselect_b32 s37, -1, 0
	s_or_b32 s37, s37, vcc_lo
	s_delay_alu instid0(SALU_CYCLE_1)
	s_and_b32 exec_lo, exec_lo, s37
	s_cbranch_execz .LBB25_10
; %bb.8:
	v_mov_b32_e32 v3, s1
.LBB25_9:                               ; =>This Inner Loop Header: Depth=1
	ds_cmpstore_rtn_b32 v3, v1, v2, v3 offset:832
	s_wait_dscnt 0x0
	v_cmp_ne_u32_e32 vcc_lo, 0, v3
	v_cmp_le_i32_e64 s1, v3, v2
	s_and_b32 s1, vcc_lo, s1
	s_wait_alu 0xfffe
	s_and_b32 s1, exec_lo, s1
	s_wait_alu 0xfffe
	s_or_b32 s36, s1, s36
	s_delay_alu instid0(SALU_CYCLE_1)
	s_and_not1_b32 exec_lo, exec_lo, s36
	s_cbranch_execnz .LBB25_9
.LBB25_10:
	s_or_b32 exec_lo, exec_lo, s35
	v_mov_b32_e32 v1, 0
	s_barrier_signal -1
	s_barrier_wait -1
	global_inv scope:SCOPE_SE
	ds_load_b32 v2, v1 offset:832
	s_and_saveexec_b32 s1, s0
	s_cbranch_execz .LBB25_12
; %bb.11:
	s_lshl_b64 s[36:37], s[16:17], 2
	s_delay_alu instid0(SALU_CYCLE_1)
	s_add_nc_u64 s[36:37], s[6:7], s[36:37]
	s_wait_dscnt 0x0
	global_store_b32 v1, v2, s[36:37]
.LBB25_12:
	s_wait_alu 0xfffe
	s_or_b32 exec_lo, exec_lo, s1
	s_wait_dscnt 0x0
	v_cmp_ne_u32_e32 vcc_lo, 0, v2
	s_mov_b32 s1, 0
	s_cbranch_vccnz .LBB25_116
; %bb.13:
	v_add_nc_u32_e32 v66, 16, v65
                                        ; implicit-def: $vgpr1_vgpr2
                                        ; implicit-def: $vgpr9_vgpr10
	scratch_load_b128 v[5:8], v66, off
	s_wait_loadcnt 0x0
	v_cmp_ngt_f64_e64 s1, |v[5:6]|, |v[7:8]|
	s_wait_alu 0xfffe
	s_and_saveexec_b32 s35, s1
	s_delay_alu instid0(SALU_CYCLE_1)
	s_xor_b32 s1, exec_lo, s35
	s_cbranch_execz .LBB25_15
; %bb.14:
	v_div_scale_f64 v[1:2], null, v[7:8], v[7:8], v[5:6]
	v_div_scale_f64 v[11:12], vcc_lo, v[5:6], v[7:8], v[5:6]
	s_delay_alu instid0(VALU_DEP_2) | instskip(NEXT) | instid1(TRANS32_DEP_1)
	v_rcp_f64_e32 v[3:4], v[1:2]
	v_fma_f64 v[9:10], -v[1:2], v[3:4], 1.0
	s_delay_alu instid0(VALU_DEP_1) | instskip(NEXT) | instid1(VALU_DEP_1)
	v_fma_f64 v[3:4], v[3:4], v[9:10], v[3:4]
	v_fma_f64 v[9:10], -v[1:2], v[3:4], 1.0
	s_delay_alu instid0(VALU_DEP_1) | instskip(NEXT) | instid1(VALU_DEP_1)
	v_fma_f64 v[3:4], v[3:4], v[9:10], v[3:4]
	v_mul_f64_e32 v[9:10], v[11:12], v[3:4]
	s_delay_alu instid0(VALU_DEP_1) | instskip(SKIP_1) | instid1(VALU_DEP_1)
	v_fma_f64 v[1:2], -v[1:2], v[9:10], v[11:12]
	s_wait_alu 0xfffd
	v_div_fmas_f64 v[1:2], v[1:2], v[3:4], v[9:10]
	s_delay_alu instid0(VALU_DEP_1) | instskip(NEXT) | instid1(VALU_DEP_1)
	v_div_fixup_f64 v[1:2], v[1:2], v[7:8], v[5:6]
	v_fma_f64 v[3:4], v[5:6], v[1:2], v[7:8]
	s_delay_alu instid0(VALU_DEP_1) | instskip(SKIP_1) | instid1(VALU_DEP_2)
	v_div_scale_f64 v[5:6], null, v[3:4], v[3:4], 1.0
	v_div_scale_f64 v[11:12], vcc_lo, 1.0, v[3:4], 1.0
	v_rcp_f64_e32 v[7:8], v[5:6]
	s_delay_alu instid0(TRANS32_DEP_1) | instskip(NEXT) | instid1(VALU_DEP_1)
	v_fma_f64 v[9:10], -v[5:6], v[7:8], 1.0
	v_fma_f64 v[7:8], v[7:8], v[9:10], v[7:8]
	s_delay_alu instid0(VALU_DEP_1) | instskip(NEXT) | instid1(VALU_DEP_1)
	v_fma_f64 v[9:10], -v[5:6], v[7:8], 1.0
	v_fma_f64 v[7:8], v[7:8], v[9:10], v[7:8]
	s_delay_alu instid0(VALU_DEP_1) | instskip(NEXT) | instid1(VALU_DEP_1)
	v_mul_f64_e32 v[9:10], v[11:12], v[7:8]
	v_fma_f64 v[5:6], -v[5:6], v[9:10], v[11:12]
	s_wait_alu 0xfffd
	s_delay_alu instid0(VALU_DEP_1) | instskip(NEXT) | instid1(VALU_DEP_1)
	v_div_fmas_f64 v[5:6], v[5:6], v[7:8], v[9:10]
	v_div_fixup_f64 v[3:4], v[5:6], v[3:4], 1.0
                                        ; implicit-def: $vgpr5_vgpr6
	s_delay_alu instid0(VALU_DEP_1) | instskip(SKIP_1) | instid1(VALU_DEP_2)
	v_mul_f64_e32 v[1:2], v[1:2], v[3:4]
	v_xor_b32_e32 v4, 0x80000000, v4
	v_xor_b32_e32 v10, 0x80000000, v2
	s_delay_alu instid0(VALU_DEP_3)
	v_mov_b32_e32 v9, v1
.LBB25_15:
	s_wait_alu 0xfffe
	s_and_not1_saveexec_b32 s1, s1
	s_cbranch_execz .LBB25_17
; %bb.16:
	v_div_scale_f64 v[1:2], null, v[5:6], v[5:6], v[7:8]
	v_div_scale_f64 v[11:12], vcc_lo, v[7:8], v[5:6], v[7:8]
	s_delay_alu instid0(VALU_DEP_2) | instskip(NEXT) | instid1(TRANS32_DEP_1)
	v_rcp_f64_e32 v[3:4], v[1:2]
	v_fma_f64 v[9:10], -v[1:2], v[3:4], 1.0
	s_delay_alu instid0(VALU_DEP_1) | instskip(NEXT) | instid1(VALU_DEP_1)
	v_fma_f64 v[3:4], v[3:4], v[9:10], v[3:4]
	v_fma_f64 v[9:10], -v[1:2], v[3:4], 1.0
	s_delay_alu instid0(VALU_DEP_1) | instskip(NEXT) | instid1(VALU_DEP_1)
	v_fma_f64 v[3:4], v[3:4], v[9:10], v[3:4]
	v_mul_f64_e32 v[9:10], v[11:12], v[3:4]
	s_delay_alu instid0(VALU_DEP_1) | instskip(SKIP_1) | instid1(VALU_DEP_1)
	v_fma_f64 v[1:2], -v[1:2], v[9:10], v[11:12]
	s_wait_alu 0xfffd
	v_div_fmas_f64 v[1:2], v[1:2], v[3:4], v[9:10]
	s_delay_alu instid0(VALU_DEP_1) | instskip(NEXT) | instid1(VALU_DEP_1)
	v_div_fixup_f64 v[3:4], v[1:2], v[5:6], v[7:8]
	v_fma_f64 v[1:2], v[7:8], v[3:4], v[5:6]
	s_delay_alu instid0(VALU_DEP_1) | instskip(NEXT) | instid1(VALU_DEP_1)
	v_div_scale_f64 v[5:6], null, v[1:2], v[1:2], 1.0
	v_rcp_f64_e32 v[7:8], v[5:6]
	s_delay_alu instid0(TRANS32_DEP_1) | instskip(NEXT) | instid1(VALU_DEP_1)
	v_fma_f64 v[9:10], -v[5:6], v[7:8], 1.0
	v_fma_f64 v[7:8], v[7:8], v[9:10], v[7:8]
	s_delay_alu instid0(VALU_DEP_1) | instskip(NEXT) | instid1(VALU_DEP_1)
	v_fma_f64 v[9:10], -v[5:6], v[7:8], 1.0
	v_fma_f64 v[7:8], v[7:8], v[9:10], v[7:8]
	v_div_scale_f64 v[9:10], vcc_lo, 1.0, v[1:2], 1.0
	s_delay_alu instid0(VALU_DEP_1) | instskip(NEXT) | instid1(VALU_DEP_1)
	v_mul_f64_e32 v[11:12], v[9:10], v[7:8]
	v_fma_f64 v[5:6], -v[5:6], v[11:12], v[9:10]
	s_wait_alu 0xfffd
	s_delay_alu instid0(VALU_DEP_1) | instskip(NEXT) | instid1(VALU_DEP_1)
	v_div_fmas_f64 v[5:6], v[5:6], v[7:8], v[11:12]
	v_div_fixup_f64 v[1:2], v[5:6], v[1:2], 1.0
	s_delay_alu instid0(VALU_DEP_1)
	v_mul_f64_e64 v[3:4], v[3:4], -v[1:2]
	v_xor_b32_e32 v10, 0x80000000, v2
	v_mov_b32_e32 v9, v1
.LBB25_17:
	s_wait_alu 0xfffe
	s_or_b32 exec_lo, exec_lo, s1
	scratch_store_b128 v66, v[1:4], off
	scratch_load_b128 v[67:70], off, s24
	v_xor_b32_e32 v12, 0x80000000, v4
	v_mov_b32_e32 v11, v3
	v_add_nc_u32_e32 v5, 0x1a0, v65
	ds_store_b128 v65, v[9:12]
	s_wait_loadcnt 0x0
	ds_store_b128 v65, v[67:70] offset:416
	s_wait_storecnt_dscnt 0x0
	s_barrier_signal -1
	s_barrier_wait -1
	global_inv scope:SCOPE_SE
	s_and_saveexec_b32 s1, s0
	s_cbranch_execz .LBB25_19
; %bb.18:
	scratch_load_b128 v[1:4], v66, off
	ds_load_b128 v[6:9], v5
	v_mov_b32_e32 v10, 0
	ds_load_b128 v[67:70], v10 offset:16
	s_wait_loadcnt_dscnt 0x1
	v_mul_f64_e32 v[10:11], v[6:7], v[3:4]
	v_mul_f64_e32 v[3:4], v[8:9], v[3:4]
	s_delay_alu instid0(VALU_DEP_2) | instskip(NEXT) | instid1(VALU_DEP_2)
	v_fma_f64 v[8:9], v[8:9], v[1:2], v[10:11]
	v_fma_f64 v[1:2], v[6:7], v[1:2], -v[3:4]
	s_delay_alu instid0(VALU_DEP_2) | instskip(NEXT) | instid1(VALU_DEP_2)
	v_add_f64_e32 v[3:4], 0, v[8:9]
	v_add_f64_e32 v[1:2], 0, v[1:2]
	s_wait_dscnt 0x0
	s_delay_alu instid0(VALU_DEP_2) | instskip(NEXT) | instid1(VALU_DEP_2)
	v_mul_f64_e32 v[6:7], v[3:4], v[69:70]
	v_mul_f64_e32 v[8:9], v[1:2], v[69:70]
	s_delay_alu instid0(VALU_DEP_2) | instskip(NEXT) | instid1(VALU_DEP_2)
	v_fma_f64 v[1:2], v[1:2], v[67:68], -v[6:7]
	v_fma_f64 v[3:4], v[3:4], v[67:68], v[8:9]
	scratch_store_b128 off, v[1:4], off offset:32
.LBB25_19:
	s_wait_alu 0xfffe
	s_or_b32 exec_lo, exec_lo, s1
	s_wait_loadcnt 0x0
	s_wait_storecnt 0x0
	s_barrier_signal -1
	s_barrier_wait -1
	global_inv scope:SCOPE_SE
	scratch_load_b128 v[1:4], off, s23
	s_mov_b32 s1, exec_lo
	s_wait_loadcnt 0x0
	ds_store_b128 v5, v[1:4]
	s_wait_dscnt 0x0
	s_barrier_signal -1
	s_barrier_wait -1
	global_inv scope:SCOPE_SE
	v_cmpx_gt_u32_e32 2, v0
	s_cbranch_execz .LBB25_23
; %bb.20:
	scratch_load_b128 v[1:4], v66, off
	ds_load_b128 v[6:9], v5
	s_wait_loadcnt_dscnt 0x0
	v_mul_f64_e32 v[10:11], v[8:9], v[3:4]
	v_mul_f64_e32 v[3:4], v[6:7], v[3:4]
	s_delay_alu instid0(VALU_DEP_2) | instskip(NEXT) | instid1(VALU_DEP_2)
	v_fma_f64 v[6:7], v[6:7], v[1:2], -v[10:11]
	v_fma_f64 v[3:4], v[8:9], v[1:2], v[3:4]
	s_delay_alu instid0(VALU_DEP_2) | instskip(NEXT) | instid1(VALU_DEP_2)
	v_add_f64_e32 v[1:2], 0, v[6:7]
	v_add_f64_e32 v[3:4], 0, v[3:4]
	s_and_saveexec_b32 s35, s0
	s_cbranch_execz .LBB25_22
; %bb.21:
	scratch_load_b128 v[6:9], off, off offset:32
	v_mov_b32_e32 v10, 0
	ds_load_b128 v[67:70], v10 offset:432
	s_wait_loadcnt_dscnt 0x0
	v_mul_f64_e32 v[10:11], v[67:68], v[8:9]
	v_mul_f64_e32 v[8:9], v[69:70], v[8:9]
	s_delay_alu instid0(VALU_DEP_2) | instskip(NEXT) | instid1(VALU_DEP_2)
	v_fma_f64 v[10:11], v[69:70], v[6:7], v[10:11]
	v_fma_f64 v[6:7], v[67:68], v[6:7], -v[8:9]
	s_delay_alu instid0(VALU_DEP_2) | instskip(NEXT) | instid1(VALU_DEP_2)
	v_add_f64_e32 v[3:4], v[3:4], v[10:11]
	v_add_f64_e32 v[1:2], v[1:2], v[6:7]
.LBB25_22:
	s_or_b32 exec_lo, exec_lo, s35
	v_mov_b32_e32 v6, 0
	ds_load_b128 v[6:9], v6 offset:32
	s_wait_dscnt 0x0
	v_mul_f64_e32 v[10:11], v[3:4], v[8:9]
	v_mul_f64_e32 v[8:9], v[1:2], v[8:9]
	s_delay_alu instid0(VALU_DEP_2) | instskip(NEXT) | instid1(VALU_DEP_2)
	v_fma_f64 v[1:2], v[1:2], v[6:7], -v[10:11]
	v_fma_f64 v[3:4], v[3:4], v[6:7], v[8:9]
	scratch_store_b128 off, v[1:4], off offset:48
.LBB25_23:
	s_wait_alu 0xfffe
	s_or_b32 exec_lo, exec_lo, s1
	s_wait_loadcnt 0x0
	s_wait_storecnt 0x0
	s_barrier_signal -1
	s_barrier_wait -1
	global_inv scope:SCOPE_SE
	scratch_load_b128 v[1:4], off, s22
	v_add_nc_u32_e32 v6, -1, v0
	s_mov_b32 s0, exec_lo
	s_wait_loadcnt 0x0
	ds_store_b128 v5, v[1:4]
	s_wait_dscnt 0x0
	s_barrier_signal -1
	s_barrier_wait -1
	global_inv scope:SCOPE_SE
	v_cmpx_gt_u32_e32 3, v0
	s_cbranch_execz .LBB25_27
; %bb.24:
	v_dual_mov_b32 v1, 0 :: v_dual_add_nc_u32 v8, 0x1a0, v65
	v_mov_b32_e32 v3, 0
	v_dual_mov_b32 v2, 0 :: v_dual_add_nc_u32 v7, -1, v0
	v_mov_b32_e32 v4, 0
	v_or_b32_e32 v9, 8, v66
	s_mov_b32 s1, 0
.LBB25_25:                              ; =>This Inner Loop Header: Depth=1
	scratch_load_b128 v[67:70], v9, off offset:-8
	ds_load_b128 v[71:74], v8
	v_add_nc_u32_e32 v7, 1, v7
	v_add_nc_u32_e32 v8, 16, v8
	v_add_nc_u32_e32 v9, 16, v9
	s_delay_alu instid0(VALU_DEP_3)
	v_cmp_lt_u32_e32 vcc_lo, 1, v7
	s_wait_alu 0xfffe
	s_or_b32 s1, vcc_lo, s1
	s_wait_loadcnt_dscnt 0x0
	v_mul_f64_e32 v[10:11], v[73:74], v[69:70]
	v_mul_f64_e32 v[69:70], v[71:72], v[69:70]
	s_delay_alu instid0(VALU_DEP_2) | instskip(NEXT) | instid1(VALU_DEP_2)
	v_fma_f64 v[10:11], v[71:72], v[67:68], -v[10:11]
	v_fma_f64 v[67:68], v[73:74], v[67:68], v[69:70]
	s_delay_alu instid0(VALU_DEP_2) | instskip(NEXT) | instid1(VALU_DEP_2)
	v_add_f64_e32 v[3:4], v[3:4], v[10:11]
	v_add_f64_e32 v[1:2], v[1:2], v[67:68]
	s_wait_alu 0xfffe
	s_and_not1_b32 exec_lo, exec_lo, s1
	s_cbranch_execnz .LBB25_25
; %bb.26:
	s_or_b32 exec_lo, exec_lo, s1
	v_mov_b32_e32 v7, 0
	ds_load_b128 v[7:10], v7 offset:48
	s_wait_dscnt 0x0
	v_mul_f64_e32 v[11:12], v[1:2], v[9:10]
	v_mul_f64_e32 v[67:68], v[3:4], v[9:10]
	s_delay_alu instid0(VALU_DEP_2) | instskip(NEXT) | instid1(VALU_DEP_2)
	v_fma_f64 v[9:10], v[3:4], v[7:8], -v[11:12]
	v_fma_f64 v[11:12], v[1:2], v[7:8], v[67:68]
	scratch_store_b128 off, v[9:12], off offset:64
.LBB25_27:
	s_wait_alu 0xfffe
	s_or_b32 exec_lo, exec_lo, s0
	s_wait_loadcnt 0x0
	s_wait_storecnt 0x0
	s_barrier_signal -1
	s_barrier_wait -1
	global_inv scope:SCOPE_SE
	scratch_load_b128 v[1:4], off, s21
	s_mov_b32 s0, exec_lo
	s_wait_loadcnt 0x0
	ds_store_b128 v5, v[1:4]
	s_wait_dscnt 0x0
	s_barrier_signal -1
	s_barrier_wait -1
	global_inv scope:SCOPE_SE
	v_cmpx_gt_u32_e32 4, v0
	s_cbranch_execz .LBB25_31
; %bb.28:
	v_dual_mov_b32 v1, 0 :: v_dual_add_nc_u32 v8, 0x1a0, v65
	v_mov_b32_e32 v3, 0
	v_dual_mov_b32 v2, 0 :: v_dual_add_nc_u32 v7, -1, v0
	v_mov_b32_e32 v4, 0
	v_or_b32_e32 v9, 8, v66
	s_mov_b32 s1, 0
.LBB25_29:                              ; =>This Inner Loop Header: Depth=1
	scratch_load_b128 v[67:70], v9, off offset:-8
	ds_load_b128 v[71:74], v8
	v_add_nc_u32_e32 v7, 1, v7
	v_add_nc_u32_e32 v8, 16, v8
	v_add_nc_u32_e32 v9, 16, v9
	s_delay_alu instid0(VALU_DEP_3)
	v_cmp_lt_u32_e32 vcc_lo, 2, v7
	s_wait_alu 0xfffe
	s_or_b32 s1, vcc_lo, s1
	s_wait_loadcnt_dscnt 0x0
	v_mul_f64_e32 v[10:11], v[73:74], v[69:70]
	v_mul_f64_e32 v[69:70], v[71:72], v[69:70]
	s_delay_alu instid0(VALU_DEP_2) | instskip(NEXT) | instid1(VALU_DEP_2)
	v_fma_f64 v[10:11], v[71:72], v[67:68], -v[10:11]
	v_fma_f64 v[67:68], v[73:74], v[67:68], v[69:70]
	s_delay_alu instid0(VALU_DEP_2) | instskip(NEXT) | instid1(VALU_DEP_2)
	v_add_f64_e32 v[3:4], v[3:4], v[10:11]
	v_add_f64_e32 v[1:2], v[1:2], v[67:68]
	s_wait_alu 0xfffe
	s_and_not1_b32 exec_lo, exec_lo, s1
	s_cbranch_execnz .LBB25_29
; %bb.30:
	s_or_b32 exec_lo, exec_lo, s1
	v_mov_b32_e32 v7, 0
	ds_load_b128 v[7:10], v7 offset:64
	s_wait_dscnt 0x0
	v_mul_f64_e32 v[11:12], v[1:2], v[9:10]
	v_mul_f64_e32 v[67:68], v[3:4], v[9:10]
	s_delay_alu instid0(VALU_DEP_2) | instskip(NEXT) | instid1(VALU_DEP_2)
	v_fma_f64 v[9:10], v[3:4], v[7:8], -v[11:12]
	v_fma_f64 v[11:12], v[1:2], v[7:8], v[67:68]
	scratch_store_b128 off, v[9:12], off offset:80
.LBB25_31:
	s_wait_alu 0xfffe
	s_or_b32 exec_lo, exec_lo, s0
	s_wait_loadcnt 0x0
	s_wait_storecnt 0x0
	s_barrier_signal -1
	s_barrier_wait -1
	global_inv scope:SCOPE_SE
	scratch_load_b128 v[1:4], off, s34
	;; [unrolled: 58-line block ×19, first 2 shown]
	s_mov_b32 s0, exec_lo
	s_wait_loadcnt 0x0
	ds_store_b128 v5, v[1:4]
	s_wait_dscnt 0x0
	s_barrier_signal -1
	s_barrier_wait -1
	global_inv scope:SCOPE_SE
	v_cmpx_gt_u32_e32 22, v0
	s_cbranch_execz .LBB25_103
; %bb.100:
	v_dual_mov_b32 v1, 0 :: v_dual_add_nc_u32 v8, 0x1a0, v65
	v_mov_b32_e32 v3, 0
	v_dual_mov_b32 v2, 0 :: v_dual_add_nc_u32 v7, -1, v0
	v_mov_b32_e32 v4, 0
	v_or_b32_e32 v9, 8, v66
	s_mov_b32 s1, 0
.LBB25_101:                             ; =>This Inner Loop Header: Depth=1
	scratch_load_b128 v[67:70], v9, off offset:-8
	ds_load_b128 v[71:74], v8
	v_add_nc_u32_e32 v7, 1, v7
	v_add_nc_u32_e32 v8, 16, v8
	v_add_nc_u32_e32 v9, 16, v9
	s_delay_alu instid0(VALU_DEP_3)
	v_cmp_lt_u32_e32 vcc_lo, 20, v7
	s_wait_alu 0xfffe
	s_or_b32 s1, vcc_lo, s1
	s_wait_loadcnt_dscnt 0x0
	v_mul_f64_e32 v[10:11], v[73:74], v[69:70]
	v_mul_f64_e32 v[69:70], v[71:72], v[69:70]
	s_delay_alu instid0(VALU_DEP_2) | instskip(NEXT) | instid1(VALU_DEP_2)
	v_fma_f64 v[10:11], v[71:72], v[67:68], -v[10:11]
	v_fma_f64 v[67:68], v[73:74], v[67:68], v[69:70]
	s_delay_alu instid0(VALU_DEP_2) | instskip(NEXT) | instid1(VALU_DEP_2)
	v_add_f64_e32 v[3:4], v[3:4], v[10:11]
	v_add_f64_e32 v[1:2], v[1:2], v[67:68]
	s_wait_alu 0xfffe
	s_and_not1_b32 exec_lo, exec_lo, s1
	s_cbranch_execnz .LBB25_101
; %bb.102:
	s_or_b32 exec_lo, exec_lo, s1
	v_mov_b32_e32 v7, 0
	ds_load_b128 v[7:10], v7 offset:352
	s_wait_dscnt 0x0
	v_mul_f64_e32 v[11:12], v[1:2], v[9:10]
	v_mul_f64_e32 v[67:68], v[3:4], v[9:10]
	s_delay_alu instid0(VALU_DEP_2) | instskip(NEXT) | instid1(VALU_DEP_2)
	v_fma_f64 v[9:10], v[3:4], v[7:8], -v[11:12]
	v_fma_f64 v[11:12], v[1:2], v[7:8], v[67:68]
	scratch_store_b128 off, v[9:12], off offset:368
.LBB25_103:
	s_wait_alu 0xfffe
	s_or_b32 exec_lo, exec_lo, s0
	s_wait_loadcnt 0x0
	s_wait_storecnt 0x0
	s_barrier_signal -1
	s_barrier_wait -1
	global_inv scope:SCOPE_SE
	scratch_load_b128 v[1:4], off, s13
	s_mov_b32 s0, exec_lo
	s_wait_loadcnt 0x0
	ds_store_b128 v5, v[1:4]
	s_wait_dscnt 0x0
	s_barrier_signal -1
	s_barrier_wait -1
	global_inv scope:SCOPE_SE
	v_cmpx_gt_u32_e32 23, v0
	s_cbranch_execz .LBB25_107
; %bb.104:
	v_dual_mov_b32 v1, 0 :: v_dual_add_nc_u32 v8, 0x1a0, v65
	v_mov_b32_e32 v3, 0
	v_dual_mov_b32 v2, 0 :: v_dual_add_nc_u32 v7, -1, v0
	v_mov_b32_e32 v4, 0
	v_or_b32_e32 v9, 8, v66
	s_mov_b32 s1, 0
.LBB25_105:                             ; =>This Inner Loop Header: Depth=1
	scratch_load_b128 v[67:70], v9, off offset:-8
	ds_load_b128 v[71:74], v8
	v_add_nc_u32_e32 v7, 1, v7
	v_add_nc_u32_e32 v8, 16, v8
	v_add_nc_u32_e32 v9, 16, v9
	s_delay_alu instid0(VALU_DEP_3)
	v_cmp_lt_u32_e32 vcc_lo, 21, v7
	s_wait_alu 0xfffe
	s_or_b32 s1, vcc_lo, s1
	s_wait_loadcnt_dscnt 0x0
	v_mul_f64_e32 v[10:11], v[73:74], v[69:70]
	v_mul_f64_e32 v[69:70], v[71:72], v[69:70]
	s_delay_alu instid0(VALU_DEP_2) | instskip(NEXT) | instid1(VALU_DEP_2)
	v_fma_f64 v[10:11], v[71:72], v[67:68], -v[10:11]
	v_fma_f64 v[67:68], v[73:74], v[67:68], v[69:70]
	s_delay_alu instid0(VALU_DEP_2) | instskip(NEXT) | instid1(VALU_DEP_2)
	v_add_f64_e32 v[3:4], v[3:4], v[10:11]
	v_add_f64_e32 v[1:2], v[1:2], v[67:68]
	s_wait_alu 0xfffe
	s_and_not1_b32 exec_lo, exec_lo, s1
	s_cbranch_execnz .LBB25_105
; %bb.106:
	s_or_b32 exec_lo, exec_lo, s1
	v_mov_b32_e32 v7, 0
	ds_load_b128 v[7:10], v7 offset:368
	s_wait_dscnt 0x0
	v_mul_f64_e32 v[11:12], v[1:2], v[9:10]
	v_mul_f64_e32 v[67:68], v[3:4], v[9:10]
	s_delay_alu instid0(VALU_DEP_2) | instskip(NEXT) | instid1(VALU_DEP_2)
	v_fma_f64 v[9:10], v[3:4], v[7:8], -v[11:12]
	v_fma_f64 v[11:12], v[1:2], v[7:8], v[67:68]
	scratch_store_b128 off, v[9:12], off offset:384
.LBB25_107:
	s_wait_alu 0xfffe
	s_or_b32 exec_lo, exec_lo, s0
	s_wait_loadcnt 0x0
	s_wait_storecnt 0x0
	s_barrier_signal -1
	s_barrier_wait -1
	global_inv scope:SCOPE_SE
	scratch_load_b128 v[1:4], off, s15
	;; [unrolled: 58-line block ×3, first 2 shown]
	s_mov_b32 s0, exec_lo
	s_wait_loadcnt 0x0
	ds_store_b128 v5, v[1:4]
	s_wait_dscnt 0x0
	s_barrier_signal -1
	s_barrier_wait -1
	global_inv scope:SCOPE_SE
	v_cmpx_ne_u32_e32 25, v0
	s_cbranch_execz .LBB25_115
; %bb.112:
	v_mov_b32_e32 v1, 0
	v_dual_mov_b32 v2, 0 :: v_dual_mov_b32 v3, 0
	v_mov_b32_e32 v4, 0
	v_or_b32_e32 v7, 8, v66
	s_mov_b32 s1, 0
.LBB25_113:                             ; =>This Inner Loop Header: Depth=1
	scratch_load_b128 v[8:11], v7, off offset:-8
	ds_load_b128 v[65:68], v5
	v_add_nc_u32_e32 v6, 1, v6
	v_add_nc_u32_e32 v5, 16, v5
	v_add_nc_u32_e32 v7, 16, v7
	s_delay_alu instid0(VALU_DEP_3)
	v_cmp_lt_u32_e32 vcc_lo, 23, v6
	s_wait_alu 0xfffe
	s_or_b32 s1, vcc_lo, s1
	s_wait_loadcnt_dscnt 0x0
	v_mul_f64_e32 v[69:70], v[67:68], v[10:11]
	v_mul_f64_e32 v[10:11], v[65:66], v[10:11]
	s_delay_alu instid0(VALU_DEP_2) | instskip(NEXT) | instid1(VALU_DEP_2)
	v_fma_f64 v[65:66], v[65:66], v[8:9], -v[69:70]
	v_fma_f64 v[8:9], v[67:68], v[8:9], v[10:11]
	s_delay_alu instid0(VALU_DEP_2) | instskip(NEXT) | instid1(VALU_DEP_2)
	v_add_f64_e32 v[3:4], v[3:4], v[65:66]
	v_add_f64_e32 v[1:2], v[1:2], v[8:9]
	s_wait_alu 0xfffe
	s_and_not1_b32 exec_lo, exec_lo, s1
	s_cbranch_execnz .LBB25_113
; %bb.114:
	s_or_b32 exec_lo, exec_lo, s1
	v_mov_b32_e32 v5, 0
	ds_load_b128 v[5:8], v5 offset:400
	s_wait_dscnt 0x0
	v_mul_f64_e32 v[9:10], v[1:2], v[7:8]
	v_mul_f64_e32 v[7:8], v[3:4], v[7:8]
	s_delay_alu instid0(VALU_DEP_2) | instskip(NEXT) | instid1(VALU_DEP_2)
	v_fma_f64 v[3:4], v[3:4], v[5:6], -v[9:10]
	v_fma_f64 v[5:6], v[1:2], v[5:6], v[7:8]
	scratch_store_b128 off, v[3:6], off offset:416
.LBB25_115:
	s_wait_alu 0xfffe
	s_or_b32 exec_lo, exec_lo, s0
	s_mov_b32 s1, -1
	s_wait_loadcnt 0x0
	s_wait_storecnt 0x0
	s_barrier_signal -1
	s_barrier_wait -1
	global_inv scope:SCOPE_SE
.LBB25_116:
	s_wait_alu 0xfffe
	s_and_b32 vcc_lo, exec_lo, s1
	s_wait_alu 0xfffe
	s_cbranch_vccz .LBB25_118
; %bb.117:
	v_mov_b32_e32 v1, 0
	s_lshl_b64 s[0:1], s[16:17], 2
	s_wait_alu 0xfffe
	s_add_nc_u64 s[0:1], s[6:7], s[0:1]
	global_load_b32 v1, v1, s[0:1]
	s_wait_loadcnt 0x0
	v_cmp_ne_u32_e32 vcc_lo, 0, v1
	s_cbranch_vccz .LBB25_119
.LBB25_118:
	s_nop 0
	s_sendmsg sendmsg(MSG_DEALLOC_VGPRS)
	s_endpgm
.LBB25_119:
	v_lshl_add_u32 v5, v0, 4, 0x1a0
	s_mov_b32 s0, exec_lo
	v_cmpx_eq_u32_e32 25, v0
	s_cbranch_execz .LBB25_121
; %bb.120:
	scratch_load_b128 v[1:4], off, s15
	v_mov_b32_e32 v6, 0
	s_delay_alu instid0(VALU_DEP_1)
	v_dual_mov_b32 v7, v6 :: v_dual_mov_b32 v8, v6
	v_mov_b32_e32 v9, v6
	scratch_store_b128 off, v[6:9], off offset:400
	s_wait_loadcnt 0x0
	ds_store_b128 v5, v[1:4]
.LBB25_121:
	s_wait_alu 0xfffe
	s_or_b32 exec_lo, exec_lo, s0
	s_wait_storecnt_dscnt 0x0
	s_barrier_signal -1
	s_barrier_wait -1
	global_inv scope:SCOPE_SE
	s_clause 0x1
	scratch_load_b128 v[6:9], off, off offset:416
	scratch_load_b128 v[65:68], off, off offset:400
	v_mov_b32_e32 v1, 0
	s_mov_b32 s0, exec_lo
	ds_load_b128 v[69:72], v1 offset:816
	s_wait_loadcnt_dscnt 0x100
	v_mul_f64_e32 v[2:3], v[71:72], v[8:9]
	v_mul_f64_e32 v[8:9], v[69:70], v[8:9]
	s_delay_alu instid0(VALU_DEP_2) | instskip(NEXT) | instid1(VALU_DEP_2)
	v_fma_f64 v[2:3], v[69:70], v[6:7], -v[2:3]
	v_fma_f64 v[6:7], v[71:72], v[6:7], v[8:9]
	s_delay_alu instid0(VALU_DEP_2) | instskip(NEXT) | instid1(VALU_DEP_2)
	v_add_f64_e32 v[2:3], 0, v[2:3]
	v_add_f64_e32 v[8:9], 0, v[6:7]
	s_wait_loadcnt 0x0
	s_delay_alu instid0(VALU_DEP_2) | instskip(NEXT) | instid1(VALU_DEP_2)
	v_add_f64_e64 v[6:7], v[65:66], -v[2:3]
	v_add_f64_e64 v[8:9], v[67:68], -v[8:9]
	scratch_store_b128 off, v[6:9], off offset:400
	v_cmpx_lt_u32_e32 23, v0
	s_cbranch_execz .LBB25_123
; %bb.122:
	scratch_load_b128 v[6:9], off, s13
	v_dual_mov_b32 v2, v1 :: v_dual_mov_b32 v3, v1
	v_mov_b32_e32 v4, v1
	scratch_store_b128 off, v[1:4], off offset:384
	s_wait_loadcnt 0x0
	ds_store_b128 v5, v[6:9]
.LBB25_123:
	s_wait_alu 0xfffe
	s_or_b32 exec_lo, exec_lo, s0
	s_wait_storecnt_dscnt 0x0
	s_barrier_signal -1
	s_barrier_wait -1
	global_inv scope:SCOPE_SE
	s_clause 0x2
	scratch_load_b128 v[6:9], off, off offset:400
	scratch_load_b128 v[65:68], off, off offset:416
	;; [unrolled: 1-line block ×3, first 2 shown]
	ds_load_b128 v[73:76], v1 offset:800
	ds_load_b128 v[1:4], v1 offset:816
	s_mov_b32 s0, exec_lo
	s_wait_loadcnt_dscnt 0x201
	v_mul_f64_e32 v[10:11], v[75:76], v[8:9]
	v_mul_f64_e32 v[8:9], v[73:74], v[8:9]
	s_wait_loadcnt_dscnt 0x100
	v_mul_f64_e32 v[77:78], v[1:2], v[67:68]
	v_mul_f64_e32 v[67:68], v[3:4], v[67:68]
	s_delay_alu instid0(VALU_DEP_4) | instskip(NEXT) | instid1(VALU_DEP_4)
	v_fma_f64 v[10:11], v[73:74], v[6:7], -v[10:11]
	v_fma_f64 v[6:7], v[75:76], v[6:7], v[8:9]
	s_delay_alu instid0(VALU_DEP_4) | instskip(NEXT) | instid1(VALU_DEP_4)
	v_fma_f64 v[3:4], v[3:4], v[65:66], v[77:78]
	v_fma_f64 v[1:2], v[1:2], v[65:66], -v[67:68]
	s_delay_alu instid0(VALU_DEP_4) | instskip(NEXT) | instid1(VALU_DEP_4)
	v_add_f64_e32 v[8:9], 0, v[10:11]
	v_add_f64_e32 v[6:7], 0, v[6:7]
	s_delay_alu instid0(VALU_DEP_2) | instskip(NEXT) | instid1(VALU_DEP_2)
	v_add_f64_e32 v[1:2], v[8:9], v[1:2]
	v_add_f64_e32 v[3:4], v[6:7], v[3:4]
	s_wait_loadcnt 0x0
	s_delay_alu instid0(VALU_DEP_2) | instskip(NEXT) | instid1(VALU_DEP_2)
	v_add_f64_e64 v[1:2], v[69:70], -v[1:2]
	v_add_f64_e64 v[3:4], v[71:72], -v[3:4]
	scratch_store_b128 off, v[1:4], off offset:384
	v_cmpx_lt_u32_e32 22, v0
	s_cbranch_execz .LBB25_125
; %bb.124:
	scratch_load_b128 v[1:4], off, s14
	v_mov_b32_e32 v6, 0
	s_delay_alu instid0(VALU_DEP_1)
	v_dual_mov_b32 v7, v6 :: v_dual_mov_b32 v8, v6
	v_mov_b32_e32 v9, v6
	scratch_store_b128 off, v[6:9], off offset:368
	s_wait_loadcnt 0x0
	ds_store_b128 v5, v[1:4]
.LBB25_125:
	s_wait_alu 0xfffe
	s_or_b32 exec_lo, exec_lo, s0
	s_wait_storecnt_dscnt 0x0
	s_barrier_signal -1
	s_barrier_wait -1
	global_inv scope:SCOPE_SE
	s_clause 0x3
	scratch_load_b128 v[6:9], off, off offset:384
	scratch_load_b128 v[65:68], off, off offset:400
	;; [unrolled: 1-line block ×4, first 2 shown]
	v_mov_b32_e32 v1, 0
	ds_load_b128 v[77:80], v1 offset:784
	ds_load_b128 v[81:84], v1 offset:800
	s_mov_b32 s0, exec_lo
	s_wait_loadcnt_dscnt 0x301
	v_mul_f64_e32 v[2:3], v[79:80], v[8:9]
	v_mul_f64_e32 v[8:9], v[77:78], v[8:9]
	s_wait_loadcnt_dscnt 0x200
	v_mul_f64_e32 v[10:11], v[81:82], v[67:68]
	v_mul_f64_e32 v[67:68], v[83:84], v[67:68]
	s_delay_alu instid0(VALU_DEP_4) | instskip(NEXT) | instid1(VALU_DEP_4)
	v_fma_f64 v[2:3], v[77:78], v[6:7], -v[2:3]
	v_fma_f64 v[77:78], v[79:80], v[6:7], v[8:9]
	ds_load_b128 v[6:9], v1 offset:816
	v_fma_f64 v[10:11], v[83:84], v[65:66], v[10:11]
	v_fma_f64 v[65:66], v[81:82], v[65:66], -v[67:68]
	s_wait_loadcnt_dscnt 0x100
	v_mul_f64_e32 v[79:80], v[6:7], v[71:72]
	v_mul_f64_e32 v[71:72], v[8:9], v[71:72]
	v_add_f64_e32 v[2:3], 0, v[2:3]
	v_add_f64_e32 v[67:68], 0, v[77:78]
	s_delay_alu instid0(VALU_DEP_4) | instskip(NEXT) | instid1(VALU_DEP_4)
	v_fma_f64 v[8:9], v[8:9], v[69:70], v[79:80]
	v_fma_f64 v[6:7], v[6:7], v[69:70], -v[71:72]
	s_delay_alu instid0(VALU_DEP_4) | instskip(NEXT) | instid1(VALU_DEP_4)
	v_add_f64_e32 v[2:3], v[2:3], v[65:66]
	v_add_f64_e32 v[10:11], v[67:68], v[10:11]
	s_delay_alu instid0(VALU_DEP_2) | instskip(NEXT) | instid1(VALU_DEP_2)
	v_add_f64_e32 v[2:3], v[2:3], v[6:7]
	v_add_f64_e32 v[8:9], v[10:11], v[8:9]
	s_wait_loadcnt 0x0
	s_delay_alu instid0(VALU_DEP_2) | instskip(NEXT) | instid1(VALU_DEP_2)
	v_add_f64_e64 v[6:7], v[73:74], -v[2:3]
	v_add_f64_e64 v[8:9], v[75:76], -v[8:9]
	scratch_store_b128 off, v[6:9], off offset:368
	v_cmpx_lt_u32_e32 21, v0
	s_cbranch_execz .LBB25_127
; %bb.126:
	scratch_load_b128 v[6:9], off, s11
	v_dual_mov_b32 v2, v1 :: v_dual_mov_b32 v3, v1
	v_mov_b32_e32 v4, v1
	scratch_store_b128 off, v[1:4], off offset:352
	s_wait_loadcnt 0x0
	ds_store_b128 v5, v[6:9]
.LBB25_127:
	s_wait_alu 0xfffe
	s_or_b32 exec_lo, exec_lo, s0
	s_wait_storecnt_dscnt 0x0
	s_barrier_signal -1
	s_barrier_wait -1
	global_inv scope:SCOPE_SE
	s_clause 0x4
	scratch_load_b128 v[6:9], off, off offset:368
	scratch_load_b128 v[65:68], off, off offset:384
	;; [unrolled: 1-line block ×5, first 2 shown]
	ds_load_b128 v[81:84], v1 offset:768
	ds_load_b128 v[85:88], v1 offset:784
	s_mov_b32 s0, exec_lo
	s_wait_loadcnt_dscnt 0x401
	v_mul_f64_e32 v[2:3], v[83:84], v[8:9]
	v_mul_f64_e32 v[8:9], v[81:82], v[8:9]
	s_wait_loadcnt_dscnt 0x300
	v_mul_f64_e32 v[10:11], v[85:86], v[67:68]
	v_mul_f64_e32 v[67:68], v[87:88], v[67:68]
	s_delay_alu instid0(VALU_DEP_4) | instskip(NEXT) | instid1(VALU_DEP_4)
	v_fma_f64 v[81:82], v[81:82], v[6:7], -v[2:3]
	v_fma_f64 v[83:84], v[83:84], v[6:7], v[8:9]
	ds_load_b128 v[6:9], v1 offset:800
	ds_load_b128 v[1:4], v1 offset:816
	v_fma_f64 v[10:11], v[87:88], v[65:66], v[10:11]
	v_fma_f64 v[65:66], v[85:86], v[65:66], -v[67:68]
	s_wait_loadcnt_dscnt 0x201
	v_mul_f64_e32 v[89:90], v[6:7], v[71:72]
	v_mul_f64_e32 v[71:72], v[8:9], v[71:72]
	v_add_f64_e32 v[67:68], 0, v[81:82]
	v_add_f64_e32 v[81:82], 0, v[83:84]
	s_wait_loadcnt_dscnt 0x100
	v_mul_f64_e32 v[83:84], v[1:2], v[75:76]
	v_mul_f64_e32 v[75:76], v[3:4], v[75:76]
	v_fma_f64 v[8:9], v[8:9], v[69:70], v[89:90]
	v_fma_f64 v[6:7], v[6:7], v[69:70], -v[71:72]
	v_add_f64_e32 v[65:66], v[67:68], v[65:66]
	v_add_f64_e32 v[10:11], v[81:82], v[10:11]
	v_fma_f64 v[3:4], v[3:4], v[73:74], v[83:84]
	v_fma_f64 v[1:2], v[1:2], v[73:74], -v[75:76]
	s_delay_alu instid0(VALU_DEP_4) | instskip(NEXT) | instid1(VALU_DEP_4)
	v_add_f64_e32 v[6:7], v[65:66], v[6:7]
	v_add_f64_e32 v[8:9], v[10:11], v[8:9]
	s_delay_alu instid0(VALU_DEP_2) | instskip(NEXT) | instid1(VALU_DEP_2)
	v_add_f64_e32 v[1:2], v[6:7], v[1:2]
	v_add_f64_e32 v[3:4], v[8:9], v[3:4]
	s_wait_loadcnt 0x0
	s_delay_alu instid0(VALU_DEP_2) | instskip(NEXT) | instid1(VALU_DEP_2)
	v_add_f64_e64 v[1:2], v[77:78], -v[1:2]
	v_add_f64_e64 v[3:4], v[79:80], -v[3:4]
	scratch_store_b128 off, v[1:4], off offset:352
	v_cmpx_lt_u32_e32 20, v0
	s_cbranch_execz .LBB25_129
; %bb.128:
	scratch_load_b128 v[1:4], off, s12
	v_mov_b32_e32 v6, 0
	s_delay_alu instid0(VALU_DEP_1)
	v_dual_mov_b32 v7, v6 :: v_dual_mov_b32 v8, v6
	v_mov_b32_e32 v9, v6
	scratch_store_b128 off, v[6:9], off offset:336
	s_wait_loadcnt 0x0
	ds_store_b128 v5, v[1:4]
.LBB25_129:
	s_wait_alu 0xfffe
	s_or_b32 exec_lo, exec_lo, s0
	s_wait_storecnt_dscnt 0x0
	s_barrier_signal -1
	s_barrier_wait -1
	global_inv scope:SCOPE_SE
	s_clause 0x5
	scratch_load_b128 v[6:9], off, off offset:352
	scratch_load_b128 v[65:68], off, off offset:368
	;; [unrolled: 1-line block ×6, first 2 shown]
	v_mov_b32_e32 v1, 0
	ds_load_b128 v[85:88], v1 offset:752
	ds_load_b128 v[89:92], v1 offset:768
	s_mov_b32 s0, exec_lo
	s_wait_loadcnt_dscnt 0x501
	v_mul_f64_e32 v[2:3], v[87:88], v[8:9]
	v_mul_f64_e32 v[8:9], v[85:86], v[8:9]
	s_wait_loadcnt_dscnt 0x400
	v_mul_f64_e32 v[10:11], v[89:90], v[67:68]
	v_mul_f64_e32 v[67:68], v[91:92], v[67:68]
	s_delay_alu instid0(VALU_DEP_4) | instskip(NEXT) | instid1(VALU_DEP_4)
	v_fma_f64 v[2:3], v[85:86], v[6:7], -v[2:3]
	v_fma_f64 v[93:94], v[87:88], v[6:7], v[8:9]
	ds_load_b128 v[6:9], v1 offset:784
	ds_load_b128 v[85:88], v1 offset:800
	v_fma_f64 v[10:11], v[91:92], v[65:66], v[10:11]
	v_fma_f64 v[65:66], v[89:90], v[65:66], -v[67:68]
	s_wait_loadcnt_dscnt 0x301
	v_mul_f64_e32 v[95:96], v[6:7], v[71:72]
	v_mul_f64_e32 v[71:72], v[8:9], v[71:72]
	s_wait_loadcnt_dscnt 0x200
	v_mul_f64_e32 v[89:90], v[85:86], v[75:76]
	v_mul_f64_e32 v[75:76], v[87:88], v[75:76]
	v_add_f64_e32 v[2:3], 0, v[2:3]
	v_add_f64_e32 v[67:68], 0, v[93:94]
	v_fma_f64 v[91:92], v[8:9], v[69:70], v[95:96]
	v_fma_f64 v[69:70], v[6:7], v[69:70], -v[71:72]
	ds_load_b128 v[6:9], v1 offset:816
	v_fma_f64 v[71:72], v[87:88], v[73:74], v[89:90]
	v_fma_f64 v[73:74], v[85:86], v[73:74], -v[75:76]
	v_add_f64_e32 v[2:3], v[2:3], v[65:66]
	v_add_f64_e32 v[10:11], v[67:68], v[10:11]
	s_wait_loadcnt_dscnt 0x100
	v_mul_f64_e32 v[65:66], v[6:7], v[79:80]
	v_mul_f64_e32 v[67:68], v[8:9], v[79:80]
	s_delay_alu instid0(VALU_DEP_4) | instskip(NEXT) | instid1(VALU_DEP_4)
	v_add_f64_e32 v[2:3], v[2:3], v[69:70]
	v_add_f64_e32 v[10:11], v[10:11], v[91:92]
	s_delay_alu instid0(VALU_DEP_4) | instskip(NEXT) | instid1(VALU_DEP_4)
	v_fma_f64 v[8:9], v[8:9], v[77:78], v[65:66]
	v_fma_f64 v[6:7], v[6:7], v[77:78], -v[67:68]
	s_delay_alu instid0(VALU_DEP_4) | instskip(NEXT) | instid1(VALU_DEP_4)
	v_add_f64_e32 v[2:3], v[2:3], v[73:74]
	v_add_f64_e32 v[10:11], v[10:11], v[71:72]
	s_delay_alu instid0(VALU_DEP_2) | instskip(NEXT) | instid1(VALU_DEP_2)
	v_add_f64_e32 v[2:3], v[2:3], v[6:7]
	v_add_f64_e32 v[8:9], v[10:11], v[8:9]
	s_wait_loadcnt 0x0
	s_delay_alu instid0(VALU_DEP_2) | instskip(NEXT) | instid1(VALU_DEP_2)
	v_add_f64_e64 v[6:7], v[81:82], -v[2:3]
	v_add_f64_e64 v[8:9], v[83:84], -v[8:9]
	scratch_store_b128 off, v[6:9], off offset:336
	v_cmpx_lt_u32_e32 19, v0
	s_cbranch_execz .LBB25_131
; %bb.130:
	scratch_load_b128 v[6:9], off, s9
	v_dual_mov_b32 v2, v1 :: v_dual_mov_b32 v3, v1
	v_mov_b32_e32 v4, v1
	scratch_store_b128 off, v[1:4], off offset:320
	s_wait_loadcnt 0x0
	ds_store_b128 v5, v[6:9]
.LBB25_131:
	s_wait_alu 0xfffe
	s_or_b32 exec_lo, exec_lo, s0
	s_wait_storecnt_dscnt 0x0
	s_barrier_signal -1
	s_barrier_wait -1
	global_inv scope:SCOPE_SE
	s_clause 0x5
	scratch_load_b128 v[6:9], off, off offset:336
	scratch_load_b128 v[65:68], off, off offset:352
	scratch_load_b128 v[69:72], off, off offset:368
	scratch_load_b128 v[73:76], off, off offset:384
	scratch_load_b128 v[77:80], off, off offset:400
	scratch_load_b128 v[81:84], off, off offset:416
	ds_load_b128 v[85:88], v1 offset:736
	ds_load_b128 v[93:96], v1 offset:752
	scratch_load_b128 v[89:92], off, off offset:320
	s_mov_b32 s0, exec_lo
	s_wait_loadcnt_dscnt 0x601
	v_mul_f64_e32 v[2:3], v[87:88], v[8:9]
	v_mul_f64_e32 v[8:9], v[85:86], v[8:9]
	s_wait_loadcnt_dscnt 0x500
	v_mul_f64_e32 v[10:11], v[93:94], v[67:68]
	v_mul_f64_e32 v[67:68], v[95:96], v[67:68]
	s_delay_alu instid0(VALU_DEP_4) | instskip(NEXT) | instid1(VALU_DEP_4)
	v_fma_f64 v[2:3], v[85:86], v[6:7], -v[2:3]
	v_fma_f64 v[97:98], v[87:88], v[6:7], v[8:9]
	ds_load_b128 v[6:9], v1 offset:768
	ds_load_b128 v[85:88], v1 offset:784
	v_fma_f64 v[10:11], v[95:96], v[65:66], v[10:11]
	v_fma_f64 v[65:66], v[93:94], v[65:66], -v[67:68]
	s_wait_loadcnt_dscnt 0x401
	v_mul_f64_e32 v[99:100], v[6:7], v[71:72]
	v_mul_f64_e32 v[71:72], v[8:9], v[71:72]
	s_wait_loadcnt_dscnt 0x300
	v_mul_f64_e32 v[93:94], v[85:86], v[75:76]
	v_mul_f64_e32 v[75:76], v[87:88], v[75:76]
	v_add_f64_e32 v[2:3], 0, v[2:3]
	v_add_f64_e32 v[67:68], 0, v[97:98]
	v_fma_f64 v[95:96], v[8:9], v[69:70], v[99:100]
	v_fma_f64 v[69:70], v[6:7], v[69:70], -v[71:72]
	s_delay_alu instid0(VALU_DEP_4) | instskip(NEXT) | instid1(VALU_DEP_4)
	v_add_f64_e32 v[65:66], v[2:3], v[65:66]
	v_add_f64_e32 v[10:11], v[67:68], v[10:11]
	ds_load_b128 v[6:9], v1 offset:800
	ds_load_b128 v[1:4], v1 offset:816
	s_wait_loadcnt_dscnt 0x201
	v_mul_f64_e32 v[67:68], v[6:7], v[79:80]
	v_mul_f64_e32 v[71:72], v[8:9], v[79:80]
	v_fma_f64 v[79:80], v[87:88], v[73:74], v[93:94]
	v_fma_f64 v[73:74], v[85:86], v[73:74], -v[75:76]
	s_wait_loadcnt_dscnt 0x100
	v_mul_f64_e32 v[75:76], v[3:4], v[83:84]
	v_add_f64_e32 v[65:66], v[65:66], v[69:70]
	v_add_f64_e32 v[10:11], v[10:11], v[95:96]
	v_mul_f64_e32 v[69:70], v[1:2], v[83:84]
	v_fma_f64 v[8:9], v[8:9], v[77:78], v[67:68]
	v_fma_f64 v[6:7], v[6:7], v[77:78], -v[71:72]
	v_fma_f64 v[1:2], v[1:2], v[81:82], -v[75:76]
	v_add_f64_e32 v[65:66], v[65:66], v[73:74]
	v_add_f64_e32 v[10:11], v[10:11], v[79:80]
	v_fma_f64 v[3:4], v[3:4], v[81:82], v[69:70]
	s_delay_alu instid0(VALU_DEP_3) | instskip(NEXT) | instid1(VALU_DEP_3)
	v_add_f64_e32 v[6:7], v[65:66], v[6:7]
	v_add_f64_e32 v[8:9], v[10:11], v[8:9]
	s_delay_alu instid0(VALU_DEP_2) | instskip(NEXT) | instid1(VALU_DEP_2)
	v_add_f64_e32 v[1:2], v[6:7], v[1:2]
	v_add_f64_e32 v[3:4], v[8:9], v[3:4]
	s_wait_loadcnt 0x0
	s_delay_alu instid0(VALU_DEP_2) | instskip(NEXT) | instid1(VALU_DEP_2)
	v_add_f64_e64 v[1:2], v[89:90], -v[1:2]
	v_add_f64_e64 v[3:4], v[91:92], -v[3:4]
	scratch_store_b128 off, v[1:4], off offset:320
	v_cmpx_lt_u32_e32 18, v0
	s_cbranch_execz .LBB25_133
; %bb.132:
	scratch_load_b128 v[1:4], off, s10
	v_mov_b32_e32 v6, 0
	s_delay_alu instid0(VALU_DEP_1)
	v_dual_mov_b32 v7, v6 :: v_dual_mov_b32 v8, v6
	v_mov_b32_e32 v9, v6
	scratch_store_b128 off, v[6:9], off offset:304
	s_wait_loadcnt 0x0
	ds_store_b128 v5, v[1:4]
.LBB25_133:
	s_wait_alu 0xfffe
	s_or_b32 exec_lo, exec_lo, s0
	s_wait_storecnt_dscnt 0x0
	s_barrier_signal -1
	s_barrier_wait -1
	global_inv scope:SCOPE_SE
	s_clause 0x6
	scratch_load_b128 v[6:9], off, off offset:320
	scratch_load_b128 v[65:68], off, off offset:336
	;; [unrolled: 1-line block ×7, first 2 shown]
	v_mov_b32_e32 v1, 0
	scratch_load_b128 v[93:96], off, off offset:304
	s_mov_b32 s0, exec_lo
	ds_load_b128 v[89:92], v1 offset:720
	ds_load_b128 v[97:100], v1 offset:736
	s_wait_loadcnt_dscnt 0x701
	v_mul_f64_e32 v[2:3], v[91:92], v[8:9]
	v_mul_f64_e32 v[8:9], v[89:90], v[8:9]
	s_wait_loadcnt_dscnt 0x600
	v_mul_f64_e32 v[10:11], v[97:98], v[67:68]
	v_mul_f64_e32 v[67:68], v[99:100], v[67:68]
	s_delay_alu instid0(VALU_DEP_4) | instskip(NEXT) | instid1(VALU_DEP_4)
	v_fma_f64 v[2:3], v[89:90], v[6:7], -v[2:3]
	v_fma_f64 v[101:102], v[91:92], v[6:7], v[8:9]
	ds_load_b128 v[6:9], v1 offset:752
	ds_load_b128 v[89:92], v1 offset:768
	v_fma_f64 v[10:11], v[99:100], v[65:66], v[10:11]
	v_fma_f64 v[65:66], v[97:98], v[65:66], -v[67:68]
	s_wait_loadcnt_dscnt 0x501
	v_mul_f64_e32 v[103:104], v[6:7], v[71:72]
	v_mul_f64_e32 v[71:72], v[8:9], v[71:72]
	s_wait_loadcnt_dscnt 0x400
	v_mul_f64_e32 v[97:98], v[89:90], v[75:76]
	v_mul_f64_e32 v[75:76], v[91:92], v[75:76]
	v_add_f64_e32 v[2:3], 0, v[2:3]
	v_add_f64_e32 v[67:68], 0, v[101:102]
	v_fma_f64 v[99:100], v[8:9], v[69:70], v[103:104]
	v_fma_f64 v[69:70], v[6:7], v[69:70], -v[71:72]
	v_fma_f64 v[91:92], v[91:92], v[73:74], v[97:98]
	v_fma_f64 v[73:74], v[89:90], v[73:74], -v[75:76]
	v_add_f64_e32 v[2:3], v[2:3], v[65:66]
	v_add_f64_e32 v[10:11], v[67:68], v[10:11]
	ds_load_b128 v[6:9], v1 offset:784
	ds_load_b128 v[65:68], v1 offset:800
	s_wait_loadcnt_dscnt 0x301
	v_mul_f64_e32 v[71:72], v[6:7], v[79:80]
	v_mul_f64_e32 v[79:80], v[8:9], v[79:80]
	s_wait_loadcnt_dscnt 0x200
	v_mul_f64_e32 v[75:76], v[67:68], v[83:84]
	v_add_f64_e32 v[2:3], v[2:3], v[69:70]
	v_add_f64_e32 v[10:11], v[10:11], v[99:100]
	v_mul_f64_e32 v[69:70], v[65:66], v[83:84]
	v_fma_f64 v[71:72], v[8:9], v[77:78], v[71:72]
	v_fma_f64 v[77:78], v[6:7], v[77:78], -v[79:80]
	ds_load_b128 v[6:9], v1 offset:816
	v_fma_f64 v[65:66], v[65:66], v[81:82], -v[75:76]
	v_add_f64_e32 v[2:3], v[2:3], v[73:74]
	v_add_f64_e32 v[10:11], v[10:11], v[91:92]
	v_fma_f64 v[67:68], v[67:68], v[81:82], v[69:70]
	s_wait_loadcnt_dscnt 0x100
	v_mul_f64_e32 v[73:74], v[6:7], v[87:88]
	v_mul_f64_e32 v[79:80], v[8:9], v[87:88]
	v_add_f64_e32 v[2:3], v[2:3], v[77:78]
	v_add_f64_e32 v[10:11], v[10:11], v[71:72]
	s_delay_alu instid0(VALU_DEP_4) | instskip(NEXT) | instid1(VALU_DEP_4)
	v_fma_f64 v[8:9], v[8:9], v[85:86], v[73:74]
	v_fma_f64 v[6:7], v[6:7], v[85:86], -v[79:80]
	s_delay_alu instid0(VALU_DEP_4) | instskip(NEXT) | instid1(VALU_DEP_4)
	v_add_f64_e32 v[2:3], v[2:3], v[65:66]
	v_add_f64_e32 v[10:11], v[10:11], v[67:68]
	s_delay_alu instid0(VALU_DEP_2) | instskip(NEXT) | instid1(VALU_DEP_2)
	v_add_f64_e32 v[2:3], v[2:3], v[6:7]
	v_add_f64_e32 v[8:9], v[10:11], v[8:9]
	s_wait_loadcnt 0x0
	s_delay_alu instid0(VALU_DEP_2) | instskip(NEXT) | instid1(VALU_DEP_2)
	v_add_f64_e64 v[6:7], v[93:94], -v[2:3]
	v_add_f64_e64 v[8:9], v[95:96], -v[8:9]
	scratch_store_b128 off, v[6:9], off offset:304
	v_cmpx_lt_u32_e32 17, v0
	s_cbranch_execz .LBB25_135
; %bb.134:
	scratch_load_b128 v[6:9], off, s5
	v_dual_mov_b32 v2, v1 :: v_dual_mov_b32 v3, v1
	v_mov_b32_e32 v4, v1
	scratch_store_b128 off, v[1:4], off offset:288
	s_wait_loadcnt 0x0
	ds_store_b128 v5, v[6:9]
.LBB25_135:
	s_wait_alu 0xfffe
	s_or_b32 exec_lo, exec_lo, s0
	s_wait_storecnt_dscnt 0x0
	s_barrier_signal -1
	s_barrier_wait -1
	global_inv scope:SCOPE_SE
	s_clause 0x7
	scratch_load_b128 v[6:9], off, off offset:304
	scratch_load_b128 v[65:68], off, off offset:320
	;; [unrolled: 1-line block ×8, first 2 shown]
	ds_load_b128 v[93:96], v1 offset:704
	ds_load_b128 v[97:100], v1 offset:720
	scratch_load_b128 v[101:104], off, off offset:288
	s_mov_b32 s0, exec_lo
	s_wait_loadcnt_dscnt 0x801
	v_mul_f64_e32 v[2:3], v[95:96], v[8:9]
	v_mul_f64_e32 v[8:9], v[93:94], v[8:9]
	s_wait_loadcnt_dscnt 0x700
	v_mul_f64_e32 v[10:11], v[97:98], v[67:68]
	v_mul_f64_e32 v[67:68], v[99:100], v[67:68]
	s_delay_alu instid0(VALU_DEP_4) | instskip(NEXT) | instid1(VALU_DEP_4)
	v_fma_f64 v[2:3], v[93:94], v[6:7], -v[2:3]
	v_fma_f64 v[105:106], v[95:96], v[6:7], v[8:9]
	ds_load_b128 v[6:9], v1 offset:736
	ds_load_b128 v[93:96], v1 offset:752
	v_fma_f64 v[10:11], v[99:100], v[65:66], v[10:11]
	v_fma_f64 v[65:66], v[97:98], v[65:66], -v[67:68]
	s_wait_loadcnt_dscnt 0x601
	v_mul_f64_e32 v[107:108], v[6:7], v[71:72]
	v_mul_f64_e32 v[71:72], v[8:9], v[71:72]
	s_wait_loadcnt_dscnt 0x500
	v_mul_f64_e32 v[97:98], v[93:94], v[75:76]
	v_mul_f64_e32 v[75:76], v[95:96], v[75:76]
	v_add_f64_e32 v[2:3], 0, v[2:3]
	v_add_f64_e32 v[67:68], 0, v[105:106]
	v_fma_f64 v[99:100], v[8:9], v[69:70], v[107:108]
	v_fma_f64 v[69:70], v[6:7], v[69:70], -v[71:72]
	v_fma_f64 v[95:96], v[95:96], v[73:74], v[97:98]
	v_fma_f64 v[73:74], v[93:94], v[73:74], -v[75:76]
	v_add_f64_e32 v[2:3], v[2:3], v[65:66]
	v_add_f64_e32 v[10:11], v[67:68], v[10:11]
	ds_load_b128 v[6:9], v1 offset:768
	ds_load_b128 v[65:68], v1 offset:784
	s_wait_loadcnt_dscnt 0x401
	v_mul_f64_e32 v[71:72], v[6:7], v[79:80]
	v_mul_f64_e32 v[79:80], v[8:9], v[79:80]
	s_wait_loadcnt_dscnt 0x300
	v_mul_f64_e32 v[75:76], v[67:68], v[83:84]
	v_add_f64_e32 v[2:3], v[2:3], v[69:70]
	v_add_f64_e32 v[10:11], v[10:11], v[99:100]
	v_mul_f64_e32 v[69:70], v[65:66], v[83:84]
	v_fma_f64 v[71:72], v[8:9], v[77:78], v[71:72]
	v_fma_f64 v[77:78], v[6:7], v[77:78], -v[79:80]
	v_fma_f64 v[65:66], v[65:66], v[81:82], -v[75:76]
	v_add_f64_e32 v[73:74], v[2:3], v[73:74]
	v_add_f64_e32 v[10:11], v[10:11], v[95:96]
	ds_load_b128 v[6:9], v1 offset:800
	ds_load_b128 v[1:4], v1 offset:816
	v_fma_f64 v[67:68], v[67:68], v[81:82], v[69:70]
	s_wait_loadcnt_dscnt 0x201
	v_mul_f64_e32 v[79:80], v[6:7], v[87:88]
	v_mul_f64_e32 v[83:84], v[8:9], v[87:88]
	v_add_f64_e32 v[69:70], v[73:74], v[77:78]
	v_add_f64_e32 v[10:11], v[10:11], v[71:72]
	s_wait_loadcnt_dscnt 0x100
	v_mul_f64_e32 v[71:72], v[1:2], v[91:92]
	v_mul_f64_e32 v[73:74], v[3:4], v[91:92]
	v_fma_f64 v[8:9], v[8:9], v[85:86], v[79:80]
	v_fma_f64 v[6:7], v[6:7], v[85:86], -v[83:84]
	v_add_f64_e32 v[65:66], v[69:70], v[65:66]
	v_add_f64_e32 v[10:11], v[10:11], v[67:68]
	v_fma_f64 v[3:4], v[3:4], v[89:90], v[71:72]
	v_fma_f64 v[1:2], v[1:2], v[89:90], -v[73:74]
	s_delay_alu instid0(VALU_DEP_4) | instskip(NEXT) | instid1(VALU_DEP_4)
	v_add_f64_e32 v[6:7], v[65:66], v[6:7]
	v_add_f64_e32 v[8:9], v[10:11], v[8:9]
	s_delay_alu instid0(VALU_DEP_2) | instskip(NEXT) | instid1(VALU_DEP_2)
	v_add_f64_e32 v[1:2], v[6:7], v[1:2]
	v_add_f64_e32 v[3:4], v[8:9], v[3:4]
	s_wait_loadcnt 0x0
	s_delay_alu instid0(VALU_DEP_2) | instskip(NEXT) | instid1(VALU_DEP_2)
	v_add_f64_e64 v[1:2], v[101:102], -v[1:2]
	v_add_f64_e64 v[3:4], v[103:104], -v[3:4]
	scratch_store_b128 off, v[1:4], off offset:288
	v_cmpx_lt_u32_e32 16, v0
	s_cbranch_execz .LBB25_137
; %bb.136:
	scratch_load_b128 v[1:4], off, s8
	v_mov_b32_e32 v6, 0
	s_delay_alu instid0(VALU_DEP_1)
	v_dual_mov_b32 v7, v6 :: v_dual_mov_b32 v8, v6
	v_mov_b32_e32 v9, v6
	scratch_store_b128 off, v[6:9], off offset:272
	s_wait_loadcnt 0x0
	ds_store_b128 v5, v[1:4]
.LBB25_137:
	s_wait_alu 0xfffe
	s_or_b32 exec_lo, exec_lo, s0
	s_wait_storecnt_dscnt 0x0
	s_barrier_signal -1
	s_barrier_wait -1
	global_inv scope:SCOPE_SE
	s_clause 0x7
	scratch_load_b128 v[6:9], off, off offset:288
	scratch_load_b128 v[65:68], off, off offset:304
	;; [unrolled: 1-line block ×8, first 2 shown]
	v_mov_b32_e32 v1, 0
	s_mov_b32 s0, exec_lo
	ds_load_b128 v[93:96], v1 offset:688
	s_clause 0x1
	scratch_load_b128 v[97:100], off, off offset:416
	scratch_load_b128 v[101:104], off, off offset:272
	ds_load_b128 v[105:108], v1 offset:704
	s_wait_loadcnt_dscnt 0x901
	v_mul_f64_e32 v[2:3], v[95:96], v[8:9]
	v_mul_f64_e32 v[8:9], v[93:94], v[8:9]
	s_wait_loadcnt_dscnt 0x800
	v_mul_f64_e32 v[10:11], v[105:106], v[67:68]
	v_mul_f64_e32 v[67:68], v[107:108], v[67:68]
	s_delay_alu instid0(VALU_DEP_4) | instskip(NEXT) | instid1(VALU_DEP_4)
	v_fma_f64 v[2:3], v[93:94], v[6:7], -v[2:3]
	v_fma_f64 v[109:110], v[95:96], v[6:7], v[8:9]
	ds_load_b128 v[6:9], v1 offset:720
	ds_load_b128 v[93:96], v1 offset:736
	v_fma_f64 v[10:11], v[107:108], v[65:66], v[10:11]
	v_fma_f64 v[65:66], v[105:106], v[65:66], -v[67:68]
	s_wait_loadcnt_dscnt 0x701
	v_mul_f64_e32 v[111:112], v[6:7], v[71:72]
	v_mul_f64_e32 v[71:72], v[8:9], v[71:72]
	s_wait_loadcnt_dscnt 0x600
	v_mul_f64_e32 v[105:106], v[93:94], v[75:76]
	v_mul_f64_e32 v[75:76], v[95:96], v[75:76]
	v_add_f64_e32 v[2:3], 0, v[2:3]
	v_add_f64_e32 v[67:68], 0, v[109:110]
	v_fma_f64 v[107:108], v[8:9], v[69:70], v[111:112]
	v_fma_f64 v[69:70], v[6:7], v[69:70], -v[71:72]
	v_fma_f64 v[95:96], v[95:96], v[73:74], v[105:106]
	v_fma_f64 v[73:74], v[93:94], v[73:74], -v[75:76]
	v_add_f64_e32 v[2:3], v[2:3], v[65:66]
	v_add_f64_e32 v[10:11], v[67:68], v[10:11]
	ds_load_b128 v[6:9], v1 offset:752
	ds_load_b128 v[65:68], v1 offset:768
	s_wait_loadcnt_dscnt 0x501
	v_mul_f64_e32 v[71:72], v[6:7], v[79:80]
	v_mul_f64_e32 v[79:80], v[8:9], v[79:80]
	s_wait_loadcnt_dscnt 0x400
	v_mul_f64_e32 v[75:76], v[65:66], v[83:84]
	v_mul_f64_e32 v[83:84], v[67:68], v[83:84]
	v_add_f64_e32 v[2:3], v[2:3], v[69:70]
	v_add_f64_e32 v[10:11], v[10:11], v[107:108]
	v_fma_f64 v[93:94], v[8:9], v[77:78], v[71:72]
	v_fma_f64 v[77:78], v[6:7], v[77:78], -v[79:80]
	ds_load_b128 v[6:9], v1 offset:784
	ds_load_b128 v[69:72], v1 offset:800
	v_fma_f64 v[67:68], v[67:68], v[81:82], v[75:76]
	v_fma_f64 v[65:66], v[65:66], v[81:82], -v[83:84]
	v_add_f64_e32 v[2:3], v[2:3], v[73:74]
	v_add_f64_e32 v[10:11], v[10:11], v[95:96]
	s_wait_loadcnt_dscnt 0x301
	v_mul_f64_e32 v[73:74], v[6:7], v[87:88]
	v_mul_f64_e32 v[79:80], v[8:9], v[87:88]
	s_wait_loadcnt_dscnt 0x200
	v_mul_f64_e32 v[75:76], v[69:70], v[91:92]
	v_add_f64_e32 v[2:3], v[2:3], v[77:78]
	v_add_f64_e32 v[10:11], v[10:11], v[93:94]
	v_mul_f64_e32 v[77:78], v[71:72], v[91:92]
	v_fma_f64 v[73:74], v[8:9], v[85:86], v[73:74]
	v_fma_f64 v[79:80], v[6:7], v[85:86], -v[79:80]
	ds_load_b128 v[6:9], v1 offset:816
	v_fma_f64 v[71:72], v[71:72], v[89:90], v[75:76]
	v_add_f64_e32 v[2:3], v[2:3], v[65:66]
	v_add_f64_e32 v[10:11], v[10:11], v[67:68]
	s_wait_loadcnt_dscnt 0x100
	v_mul_f64_e32 v[65:66], v[6:7], v[99:100]
	v_mul_f64_e32 v[67:68], v[8:9], v[99:100]
	v_fma_f64 v[69:70], v[69:70], v[89:90], -v[77:78]
	v_add_f64_e32 v[2:3], v[2:3], v[79:80]
	v_add_f64_e32 v[10:11], v[10:11], v[73:74]
	v_fma_f64 v[8:9], v[8:9], v[97:98], v[65:66]
	v_fma_f64 v[6:7], v[6:7], v[97:98], -v[67:68]
	s_delay_alu instid0(VALU_DEP_4) | instskip(NEXT) | instid1(VALU_DEP_4)
	v_add_f64_e32 v[2:3], v[2:3], v[69:70]
	v_add_f64_e32 v[10:11], v[10:11], v[71:72]
	s_delay_alu instid0(VALU_DEP_2) | instskip(NEXT) | instid1(VALU_DEP_2)
	v_add_f64_e32 v[2:3], v[2:3], v[6:7]
	v_add_f64_e32 v[8:9], v[10:11], v[8:9]
	s_wait_loadcnt 0x0
	s_delay_alu instid0(VALU_DEP_2) | instskip(NEXT) | instid1(VALU_DEP_2)
	v_add_f64_e64 v[6:7], v[101:102], -v[2:3]
	v_add_f64_e64 v[8:9], v[103:104], -v[8:9]
	scratch_store_b128 off, v[6:9], off offset:272
	v_cmpx_lt_u32_e32 15, v0
	s_cbranch_execz .LBB25_139
; %bb.138:
	scratch_load_b128 v[6:9], off, s4
	v_dual_mov_b32 v2, v1 :: v_dual_mov_b32 v3, v1
	v_mov_b32_e32 v4, v1
	scratch_store_b128 off, v[1:4], off offset:256
	s_wait_loadcnt 0x0
	ds_store_b128 v5, v[6:9]
.LBB25_139:
	s_wait_alu 0xfffe
	s_or_b32 exec_lo, exec_lo, s0
	s_wait_storecnt_dscnt 0x0
	s_barrier_signal -1
	s_barrier_wait -1
	global_inv scope:SCOPE_SE
	s_clause 0x8
	scratch_load_b128 v[6:9], off, off offset:272
	scratch_load_b128 v[65:68], off, off offset:288
	;; [unrolled: 1-line block ×9, first 2 shown]
	ds_load_b128 v[97:100], v1 offset:672
	ds_load_b128 v[101:104], v1 offset:688
	scratch_load_b128 v[105:108], off, off offset:256
	s_mov_b32 s0, exec_lo
	s_wait_loadcnt_dscnt 0x901
	v_mul_f64_e32 v[2:3], v[99:100], v[8:9]
	v_mul_f64_e32 v[109:110], v[97:98], v[8:9]
	scratch_load_b128 v[8:11], off, off offset:416
	s_wait_loadcnt_dscnt 0x900
	v_mul_f64_e32 v[113:114], v[101:102], v[67:68]
	v_mul_f64_e32 v[67:68], v[103:104], v[67:68]
	v_fma_f64 v[2:3], v[97:98], v[6:7], -v[2:3]
	v_fma_f64 v[6:7], v[99:100], v[6:7], v[109:110]
	ds_load_b128 v[97:100], v1 offset:704
	ds_load_b128 v[109:112], v1 offset:720
	v_fma_f64 v[103:104], v[103:104], v[65:66], v[113:114]
	v_fma_f64 v[65:66], v[101:102], v[65:66], -v[67:68]
	s_wait_loadcnt_dscnt 0x801
	v_mul_f64_e32 v[115:116], v[97:98], v[71:72]
	v_mul_f64_e32 v[71:72], v[99:100], v[71:72]
	s_wait_loadcnt_dscnt 0x700
	v_mul_f64_e32 v[101:102], v[109:110], v[75:76]
	v_mul_f64_e32 v[75:76], v[111:112], v[75:76]
	v_add_f64_e32 v[2:3], 0, v[2:3]
	v_add_f64_e32 v[6:7], 0, v[6:7]
	v_fma_f64 v[99:100], v[99:100], v[69:70], v[115:116]
	v_fma_f64 v[97:98], v[97:98], v[69:70], -v[71:72]
	v_fma_f64 v[101:102], v[111:112], v[73:74], v[101:102]
	v_fma_f64 v[73:74], v[109:110], v[73:74], -v[75:76]
	v_add_f64_e32 v[2:3], v[2:3], v[65:66]
	v_add_f64_e32 v[6:7], v[6:7], v[103:104]
	ds_load_b128 v[65:68], v1 offset:736
	ds_load_b128 v[69:72], v1 offset:752
	s_wait_loadcnt_dscnt 0x601
	v_mul_f64_e32 v[103:104], v[65:66], v[79:80]
	v_mul_f64_e32 v[79:80], v[67:68], v[79:80]
	v_add_f64_e32 v[2:3], v[2:3], v[97:98]
	v_add_f64_e32 v[6:7], v[6:7], v[99:100]
	s_wait_loadcnt_dscnt 0x500
	v_mul_f64_e32 v[97:98], v[69:70], v[83:84]
	v_mul_f64_e32 v[83:84], v[71:72], v[83:84]
	v_fma_f64 v[99:100], v[67:68], v[77:78], v[103:104]
	v_fma_f64 v[77:78], v[65:66], v[77:78], -v[79:80]
	v_add_f64_e32 v[2:3], v[2:3], v[73:74]
	v_add_f64_e32 v[6:7], v[6:7], v[101:102]
	ds_load_b128 v[65:68], v1 offset:768
	ds_load_b128 v[73:76], v1 offset:784
	v_fma_f64 v[71:72], v[71:72], v[81:82], v[97:98]
	v_fma_f64 v[69:70], v[69:70], v[81:82], -v[83:84]
	s_wait_loadcnt_dscnt 0x401
	v_mul_f64_e32 v[79:80], v[65:66], v[87:88]
	v_mul_f64_e32 v[87:88], v[67:68], v[87:88]
	s_wait_loadcnt_dscnt 0x300
	v_mul_f64_e32 v[81:82], v[75:76], v[91:92]
	v_add_f64_e32 v[2:3], v[2:3], v[77:78]
	v_add_f64_e32 v[6:7], v[6:7], v[99:100]
	v_mul_f64_e32 v[77:78], v[73:74], v[91:92]
	v_fma_f64 v[79:80], v[67:68], v[85:86], v[79:80]
	v_fma_f64 v[83:84], v[65:66], v[85:86], -v[87:88]
	v_fma_f64 v[73:74], v[73:74], v[89:90], -v[81:82]
	v_add_f64_e32 v[69:70], v[2:3], v[69:70]
	v_add_f64_e32 v[6:7], v[6:7], v[71:72]
	ds_load_b128 v[65:68], v1 offset:800
	ds_load_b128 v[1:4], v1 offset:816
	v_fma_f64 v[75:76], v[75:76], v[89:90], v[77:78]
	s_wait_loadcnt_dscnt 0x201
	v_mul_f64_e32 v[71:72], v[65:66], v[95:96]
	v_mul_f64_e32 v[85:86], v[67:68], v[95:96]
	v_add_f64_e32 v[69:70], v[69:70], v[83:84]
	v_add_f64_e32 v[6:7], v[6:7], v[79:80]
	s_wait_loadcnt_dscnt 0x0
	v_mul_f64_e32 v[77:78], v[1:2], v[10:11]
	v_mul_f64_e32 v[10:11], v[3:4], v[10:11]
	v_fma_f64 v[67:68], v[67:68], v[93:94], v[71:72]
	v_fma_f64 v[65:66], v[65:66], v[93:94], -v[85:86]
	v_add_f64_e32 v[69:70], v[69:70], v[73:74]
	v_add_f64_e32 v[6:7], v[6:7], v[75:76]
	v_fma_f64 v[3:4], v[3:4], v[8:9], v[77:78]
	v_fma_f64 v[1:2], v[1:2], v[8:9], -v[10:11]
	s_delay_alu instid0(VALU_DEP_4) | instskip(NEXT) | instid1(VALU_DEP_4)
	v_add_f64_e32 v[8:9], v[69:70], v[65:66]
	v_add_f64_e32 v[6:7], v[6:7], v[67:68]
	s_delay_alu instid0(VALU_DEP_2) | instskip(NEXT) | instid1(VALU_DEP_2)
	v_add_f64_e32 v[1:2], v[8:9], v[1:2]
	v_add_f64_e32 v[3:4], v[6:7], v[3:4]
	s_delay_alu instid0(VALU_DEP_2) | instskip(NEXT) | instid1(VALU_DEP_2)
	v_add_f64_e64 v[1:2], v[105:106], -v[1:2]
	v_add_f64_e64 v[3:4], v[107:108], -v[3:4]
	scratch_store_b128 off, v[1:4], off offset:256
	v_cmpx_lt_u32_e32 14, v0
	s_cbranch_execz .LBB25_141
; %bb.140:
	scratch_load_b128 v[1:4], off, s19
	v_mov_b32_e32 v6, 0
	s_delay_alu instid0(VALU_DEP_1)
	v_dual_mov_b32 v7, v6 :: v_dual_mov_b32 v8, v6
	v_mov_b32_e32 v9, v6
	scratch_store_b128 off, v[6:9], off offset:240
	s_wait_loadcnt 0x0
	ds_store_b128 v5, v[1:4]
.LBB25_141:
	s_wait_alu 0xfffe
	s_or_b32 exec_lo, exec_lo, s0
	s_wait_storecnt_dscnt 0x0
	s_barrier_signal -1
	s_barrier_wait -1
	global_inv scope:SCOPE_SE
	s_clause 0x7
	scratch_load_b128 v[6:9], off, off offset:256
	scratch_load_b128 v[65:68], off, off offset:272
	;; [unrolled: 1-line block ×8, first 2 shown]
	v_mov_b32_e32 v1, 0
	s_clause 0x1
	scratch_load_b128 v[97:100], off, off offset:384
	scratch_load_b128 v[101:104], off, off offset:400
	s_mov_b32 s0, exec_lo
	ds_load_b128 v[93:96], v1 offset:656
	s_wait_loadcnt_dscnt 0x900
	v_mul_f64_e32 v[2:3], v[95:96], v[8:9]
	v_mul_f64_e32 v[105:106], v[93:94], v[8:9]
	ds_load_b128 v[8:11], v1 offset:672
	v_fma_f64 v[2:3], v[93:94], v[6:7], -v[2:3]
	v_fma_f64 v[6:7], v[95:96], v[6:7], v[105:106]
	ds_load_b128 v[93:96], v1 offset:688
	s_wait_loadcnt_dscnt 0x801
	v_mul_f64_e32 v[109:110], v[8:9], v[67:68]
	v_mul_f64_e32 v[67:68], v[10:11], v[67:68]
	scratch_load_b128 v[105:108], off, off offset:416
	s_wait_loadcnt_dscnt 0x800
	v_mul_f64_e32 v[111:112], v[93:94], v[71:72]
	v_mul_f64_e32 v[71:72], v[95:96], v[71:72]
	v_add_f64_e32 v[2:3], 0, v[2:3]
	v_fma_f64 v[10:11], v[10:11], v[65:66], v[109:110]
	v_fma_f64 v[65:66], v[8:9], v[65:66], -v[67:68]
	v_add_f64_e32 v[67:68], 0, v[6:7]
	ds_load_b128 v[6:9], v1 offset:704
	v_fma_f64 v[95:96], v[95:96], v[69:70], v[111:112]
	v_fma_f64 v[69:70], v[93:94], v[69:70], -v[71:72]
	v_add_f64_e32 v[2:3], v[2:3], v[65:66]
	v_add_f64_e32 v[10:11], v[67:68], v[10:11]
	ds_load_b128 v[65:68], v1 offset:720
	s_wait_loadcnt_dscnt 0x701
	v_mul_f64_e32 v[109:110], v[6:7], v[75:76]
	v_mul_f64_e32 v[75:76], v[8:9], v[75:76]
	s_wait_loadcnt_dscnt 0x600
	v_mul_f64_e32 v[93:94], v[65:66], v[79:80]
	v_mul_f64_e32 v[79:80], v[67:68], v[79:80]
	v_add_f64_e32 v[2:3], v[2:3], v[69:70]
	v_add_f64_e32 v[10:11], v[10:11], v[95:96]
	scratch_load_b128 v[69:72], off, off offset:240
	v_fma_f64 v[109:110], v[8:9], v[73:74], v[109:110]
	v_fma_f64 v[73:74], v[6:7], v[73:74], -v[75:76]
	ds_load_b128 v[6:9], v1 offset:736
	v_fma_f64 v[93:94], v[67:68], v[77:78], v[93:94]
	v_fma_f64 v[77:78], v[65:66], v[77:78], -v[79:80]
	ds_load_b128 v[65:68], v1 offset:752
	s_wait_loadcnt_dscnt 0x601
	v_mul_f64_e32 v[75:76], v[6:7], v[83:84]
	v_mul_f64_e32 v[83:84], v[8:9], v[83:84]
	v_add_f64_e32 v[10:11], v[10:11], v[109:110]
	v_add_f64_e32 v[2:3], v[2:3], v[73:74]
	s_wait_loadcnt_dscnt 0x500
	v_mul_f64_e32 v[73:74], v[65:66], v[87:88]
	v_mul_f64_e32 v[79:80], v[67:68], v[87:88]
	v_fma_f64 v[75:76], v[8:9], v[81:82], v[75:76]
	v_fma_f64 v[81:82], v[6:7], v[81:82], -v[83:84]
	ds_load_b128 v[6:9], v1 offset:768
	v_add_f64_e32 v[10:11], v[10:11], v[93:94]
	v_add_f64_e32 v[2:3], v[2:3], v[77:78]
	v_fma_f64 v[73:74], v[67:68], v[85:86], v[73:74]
	v_fma_f64 v[79:80], v[65:66], v[85:86], -v[79:80]
	ds_load_b128 v[65:68], v1 offset:784
	s_wait_loadcnt_dscnt 0x401
	v_mul_f64_e32 v[77:78], v[6:7], v[91:92]
	v_mul_f64_e32 v[83:84], v[8:9], v[91:92]
	v_add_f64_e32 v[10:11], v[10:11], v[75:76]
	v_add_f64_e32 v[2:3], v[2:3], v[81:82]
	s_wait_loadcnt_dscnt 0x300
	v_mul_f64_e32 v[75:76], v[65:66], v[99:100]
	v_mul_f64_e32 v[81:82], v[67:68], v[99:100]
	v_fma_f64 v[77:78], v[8:9], v[89:90], v[77:78]
	v_fma_f64 v[83:84], v[6:7], v[89:90], -v[83:84]
	ds_load_b128 v[6:9], v1 offset:800
	v_add_f64_e32 v[10:11], v[10:11], v[73:74]
	v_add_f64_e32 v[2:3], v[2:3], v[79:80]
	v_fma_f64 v[75:76], v[67:68], v[97:98], v[75:76]
	v_fma_f64 v[81:82], v[65:66], v[97:98], -v[81:82]
	ds_load_b128 v[65:68], v1 offset:816
	s_wait_loadcnt_dscnt 0x201
	v_mul_f64_e32 v[73:74], v[6:7], v[103:104]
	v_mul_f64_e32 v[79:80], v[8:9], v[103:104]
	v_add_f64_e32 v[10:11], v[10:11], v[77:78]
	v_add_f64_e32 v[2:3], v[2:3], v[83:84]
	s_delay_alu instid0(VALU_DEP_4) | instskip(NEXT) | instid1(VALU_DEP_4)
	v_fma_f64 v[8:9], v[8:9], v[101:102], v[73:74]
	v_fma_f64 v[6:7], v[6:7], v[101:102], -v[79:80]
	s_wait_loadcnt_dscnt 0x100
	v_mul_f64_e32 v[77:78], v[65:66], v[107:108]
	v_mul_f64_e32 v[83:84], v[67:68], v[107:108]
	v_add_f64_e32 v[10:11], v[10:11], v[75:76]
	v_add_f64_e32 v[2:3], v[2:3], v[81:82]
	s_delay_alu instid0(VALU_DEP_4) | instskip(NEXT) | instid1(VALU_DEP_4)
	v_fma_f64 v[67:68], v[67:68], v[105:106], v[77:78]
	v_fma_f64 v[65:66], v[65:66], v[105:106], -v[83:84]
	s_delay_alu instid0(VALU_DEP_3) | instskip(SKIP_1) | instid1(VALU_DEP_2)
	v_add_f64_e32 v[2:3], v[2:3], v[6:7]
	v_add_f64_e32 v[6:7], v[10:11], v[8:9]
	;; [unrolled: 1-line block ×3, first 2 shown]
	s_delay_alu instid0(VALU_DEP_2) | instskip(SKIP_1) | instid1(VALU_DEP_2)
	v_add_f64_e32 v[8:9], v[6:7], v[67:68]
	s_wait_loadcnt 0x0
	v_add_f64_e64 v[6:7], v[69:70], -v[2:3]
	s_delay_alu instid0(VALU_DEP_2)
	v_add_f64_e64 v[8:9], v[71:72], -v[8:9]
	scratch_store_b128 off, v[6:9], off offset:240
	v_cmpx_lt_u32_e32 13, v0
	s_cbranch_execz .LBB25_143
; %bb.142:
	scratch_load_b128 v[6:9], off, s27
	v_dual_mov_b32 v2, v1 :: v_dual_mov_b32 v3, v1
	v_mov_b32_e32 v4, v1
	scratch_store_b128 off, v[1:4], off offset:224
	s_wait_loadcnt 0x0
	ds_store_b128 v5, v[6:9]
.LBB25_143:
	s_wait_alu 0xfffe
	s_or_b32 exec_lo, exec_lo, s0
	s_wait_storecnt_dscnt 0x0
	s_barrier_signal -1
	s_barrier_wait -1
	global_inv scope:SCOPE_SE
	s_clause 0x7
	scratch_load_b128 v[6:9], off, off offset:240
	scratch_load_b128 v[65:68], off, off offset:256
	;; [unrolled: 1-line block ×8, first 2 shown]
	ds_load_b128 v[93:96], v1 offset:640
	s_clause 0x1
	scratch_load_b128 v[97:100], off, off offset:368
	scratch_load_b128 v[101:104], off, off offset:384
	s_mov_b32 s0, exec_lo
	s_wait_loadcnt_dscnt 0x900
	v_mul_f64_e32 v[2:3], v[95:96], v[8:9]
	v_mul_f64_e32 v[105:106], v[93:94], v[8:9]
	ds_load_b128 v[8:11], v1 offset:656
	v_fma_f64 v[2:3], v[93:94], v[6:7], -v[2:3]
	v_fma_f64 v[6:7], v[95:96], v[6:7], v[105:106]
	ds_load_b128 v[93:96], v1 offset:672
	s_wait_loadcnt_dscnt 0x801
	v_mul_f64_e32 v[109:110], v[8:9], v[67:68]
	v_mul_f64_e32 v[67:68], v[10:11], v[67:68]
	scratch_load_b128 v[105:108], off, off offset:400
	s_wait_loadcnt_dscnt 0x800
	v_mul_f64_e32 v[111:112], v[93:94], v[71:72]
	v_mul_f64_e32 v[71:72], v[95:96], v[71:72]
	v_add_f64_e32 v[2:3], 0, v[2:3]
	v_add_f64_e32 v[113:114], 0, v[6:7]
	v_fma_f64 v[10:11], v[10:11], v[65:66], v[109:110]
	v_fma_f64 v[109:110], v[8:9], v[65:66], -v[67:68]
	ds_load_b128 v[6:9], v1 offset:688
	scratch_load_b128 v[65:68], off, off offset:416
	v_fma_f64 v[95:96], v[95:96], v[69:70], v[111:112]
	v_fma_f64 v[93:94], v[93:94], v[69:70], -v[71:72]
	ds_load_b128 v[69:72], v1 offset:704
	s_wait_loadcnt_dscnt 0x801
	v_mul_f64_e32 v[115:116], v[6:7], v[75:76]
	v_mul_f64_e32 v[75:76], v[8:9], v[75:76]
	v_add_f64_e32 v[10:11], v[113:114], v[10:11]
	v_add_f64_e32 v[2:3], v[2:3], v[109:110]
	s_wait_loadcnt_dscnt 0x700
	v_mul_f64_e32 v[109:110], v[69:70], v[79:80]
	v_mul_f64_e32 v[79:80], v[71:72], v[79:80]
	v_fma_f64 v[111:112], v[8:9], v[73:74], v[115:116]
	v_fma_f64 v[73:74], v[6:7], v[73:74], -v[75:76]
	ds_load_b128 v[6:9], v1 offset:720
	v_add_f64_e32 v[10:11], v[10:11], v[95:96]
	v_add_f64_e32 v[2:3], v[2:3], v[93:94]
	v_fma_f64 v[95:96], v[71:72], v[77:78], v[109:110]
	v_fma_f64 v[77:78], v[69:70], v[77:78], -v[79:80]
	ds_load_b128 v[69:72], v1 offset:736
	s_wait_loadcnt_dscnt 0x601
	v_mul_f64_e32 v[93:94], v[6:7], v[83:84]
	v_mul_f64_e32 v[83:84], v[8:9], v[83:84]
	s_wait_loadcnt_dscnt 0x500
	v_mul_f64_e32 v[79:80], v[69:70], v[87:88]
	v_mul_f64_e32 v[87:88], v[71:72], v[87:88]
	v_add_f64_e32 v[10:11], v[10:11], v[111:112]
	v_add_f64_e32 v[2:3], v[2:3], v[73:74]
	scratch_load_b128 v[73:76], off, off offset:224
	v_fma_f64 v[93:94], v[8:9], v[81:82], v[93:94]
	v_fma_f64 v[81:82], v[6:7], v[81:82], -v[83:84]
	ds_load_b128 v[6:9], v1 offset:752
	v_fma_f64 v[79:80], v[71:72], v[85:86], v[79:80]
	v_fma_f64 v[85:86], v[69:70], v[85:86], -v[87:88]
	ds_load_b128 v[69:72], v1 offset:768
	s_wait_loadcnt_dscnt 0x501
	v_mul_f64_e32 v[83:84], v[8:9], v[91:92]
	v_add_f64_e32 v[10:11], v[10:11], v[95:96]
	v_add_f64_e32 v[2:3], v[2:3], v[77:78]
	v_mul_f64_e32 v[77:78], v[6:7], v[91:92]
	s_wait_loadcnt_dscnt 0x400
	v_mul_f64_e32 v[87:88], v[71:72], v[99:100]
	v_fma_f64 v[83:84], v[6:7], v[89:90], -v[83:84]
	v_add_f64_e32 v[10:11], v[10:11], v[93:94]
	v_add_f64_e32 v[2:3], v[2:3], v[81:82]
	v_mul_f64_e32 v[81:82], v[69:70], v[99:100]
	v_fma_f64 v[77:78], v[8:9], v[89:90], v[77:78]
	ds_load_b128 v[6:9], v1 offset:784
	v_fma_f64 v[87:88], v[69:70], v[97:98], -v[87:88]
	v_add_f64_e32 v[10:11], v[10:11], v[79:80]
	v_add_f64_e32 v[2:3], v[2:3], v[85:86]
	v_fma_f64 v[81:82], v[71:72], v[97:98], v[81:82]
	ds_load_b128 v[69:72], v1 offset:800
	s_wait_loadcnt_dscnt 0x301
	v_mul_f64_e32 v[79:80], v[6:7], v[103:104]
	v_mul_f64_e32 v[85:86], v[8:9], v[103:104]
	v_add_f64_e32 v[10:11], v[10:11], v[77:78]
	v_add_f64_e32 v[2:3], v[2:3], v[83:84]
	s_delay_alu instid0(VALU_DEP_4) | instskip(NEXT) | instid1(VALU_DEP_4)
	v_fma_f64 v[8:9], v[8:9], v[101:102], v[79:80]
	v_fma_f64 v[6:7], v[6:7], v[101:102], -v[85:86]
	s_wait_loadcnt_dscnt 0x200
	v_mul_f64_e32 v[77:78], v[69:70], v[107:108]
	v_mul_f64_e32 v[83:84], v[71:72], v[107:108]
	v_add_f64_e32 v[10:11], v[10:11], v[81:82]
	v_add_f64_e32 v[79:80], v[2:3], v[87:88]
	ds_load_b128 v[1:4], v1 offset:816
	v_fma_f64 v[71:72], v[71:72], v[105:106], v[77:78]
	v_fma_f64 v[69:70], v[69:70], v[105:106], -v[83:84]
	s_wait_loadcnt_dscnt 0x100
	v_mul_f64_e32 v[81:82], v[1:2], v[67:68]
	v_mul_f64_e32 v[67:68], v[3:4], v[67:68]
	v_add_f64_e32 v[8:9], v[10:11], v[8:9]
	v_add_f64_e32 v[6:7], v[79:80], v[6:7]
	s_delay_alu instid0(VALU_DEP_4) | instskip(NEXT) | instid1(VALU_DEP_4)
	v_fma_f64 v[3:4], v[3:4], v[65:66], v[81:82]
	v_fma_f64 v[1:2], v[1:2], v[65:66], -v[67:68]
	s_delay_alu instid0(VALU_DEP_4) | instskip(NEXT) | instid1(VALU_DEP_4)
	v_add_f64_e32 v[8:9], v[8:9], v[71:72]
	v_add_f64_e32 v[6:7], v[6:7], v[69:70]
	s_delay_alu instid0(VALU_DEP_2) | instskip(NEXT) | instid1(VALU_DEP_2)
	v_add_f64_e32 v[3:4], v[8:9], v[3:4]
	v_add_f64_e32 v[1:2], v[6:7], v[1:2]
	s_wait_loadcnt 0x0
	s_delay_alu instid0(VALU_DEP_2) | instskip(NEXT) | instid1(VALU_DEP_2)
	v_add_f64_e64 v[3:4], v[75:76], -v[3:4]
	v_add_f64_e64 v[1:2], v[73:74], -v[1:2]
	scratch_store_b128 off, v[1:4], off offset:224
	v_cmpx_lt_u32_e32 12, v0
	s_cbranch_execz .LBB25_145
; %bb.144:
	scratch_load_b128 v[1:4], off, s31
	v_mov_b32_e32 v6, 0
	s_delay_alu instid0(VALU_DEP_1)
	v_dual_mov_b32 v7, v6 :: v_dual_mov_b32 v8, v6
	v_mov_b32_e32 v9, v6
	scratch_store_b128 off, v[6:9], off offset:208
	s_wait_loadcnt 0x0
	ds_store_b128 v5, v[1:4]
.LBB25_145:
	s_wait_alu 0xfffe
	s_or_b32 exec_lo, exec_lo, s0
	s_wait_storecnt_dscnt 0x0
	s_barrier_signal -1
	s_barrier_wait -1
	global_inv scope:SCOPE_SE
	s_clause 0x7
	scratch_load_b128 v[6:9], off, off offset:224
	scratch_load_b128 v[65:68], off, off offset:240
	;; [unrolled: 1-line block ×8, first 2 shown]
	v_mov_b32_e32 v1, 0
	s_clause 0x1
	scratch_load_b128 v[97:100], off, off offset:352
	scratch_load_b128 v[101:104], off, off offset:368
	s_mov_b32 s0, exec_lo
	ds_load_b128 v[93:96], v1 offset:624
	s_wait_loadcnt_dscnt 0x900
	v_mul_f64_e32 v[2:3], v[95:96], v[8:9]
	v_mul_f64_e32 v[105:106], v[93:94], v[8:9]
	ds_load_b128 v[8:11], v1 offset:640
	v_fma_f64 v[2:3], v[93:94], v[6:7], -v[2:3]
	v_fma_f64 v[6:7], v[95:96], v[6:7], v[105:106]
	ds_load_b128 v[93:96], v1 offset:656
	s_wait_loadcnt_dscnt 0x801
	v_mul_f64_e32 v[109:110], v[8:9], v[67:68]
	v_mul_f64_e32 v[67:68], v[10:11], v[67:68]
	scratch_load_b128 v[105:108], off, off offset:384
	s_wait_loadcnt_dscnt 0x800
	v_mul_f64_e32 v[111:112], v[93:94], v[71:72]
	v_mul_f64_e32 v[71:72], v[95:96], v[71:72]
	v_add_f64_e32 v[2:3], 0, v[2:3]
	v_add_f64_e32 v[113:114], 0, v[6:7]
	v_fma_f64 v[10:11], v[10:11], v[65:66], v[109:110]
	v_fma_f64 v[109:110], v[8:9], v[65:66], -v[67:68]
	ds_load_b128 v[6:9], v1 offset:672
	scratch_load_b128 v[65:68], off, off offset:400
	v_fma_f64 v[111:112], v[95:96], v[69:70], v[111:112]
	v_fma_f64 v[117:118], v[93:94], v[69:70], -v[71:72]
	ds_load_b128 v[69:72], v1 offset:688
	s_wait_loadcnt_dscnt 0x801
	v_mul_f64_e32 v[115:116], v[6:7], v[75:76]
	v_mul_f64_e32 v[75:76], v[8:9], v[75:76]
	scratch_load_b128 v[93:96], off, off offset:416
	v_add_f64_e32 v[10:11], v[113:114], v[10:11]
	v_add_f64_e32 v[2:3], v[2:3], v[109:110]
	s_wait_loadcnt_dscnt 0x800
	v_mul_f64_e32 v[109:110], v[69:70], v[79:80]
	v_mul_f64_e32 v[79:80], v[71:72], v[79:80]
	v_fma_f64 v[113:114], v[8:9], v[73:74], v[115:116]
	v_fma_f64 v[73:74], v[6:7], v[73:74], -v[75:76]
	ds_load_b128 v[6:9], v1 offset:704
	v_add_f64_e32 v[10:11], v[10:11], v[111:112]
	v_add_f64_e32 v[2:3], v[2:3], v[117:118]
	v_fma_f64 v[109:110], v[71:72], v[77:78], v[109:110]
	v_fma_f64 v[77:78], v[69:70], v[77:78], -v[79:80]
	ds_load_b128 v[69:72], v1 offset:720
	s_wait_loadcnt_dscnt 0x701
	v_mul_f64_e32 v[75:76], v[6:7], v[83:84]
	v_mul_f64_e32 v[83:84], v[8:9], v[83:84]
	s_wait_loadcnt_dscnt 0x600
	v_mul_f64_e32 v[79:80], v[69:70], v[87:88]
	v_mul_f64_e32 v[87:88], v[71:72], v[87:88]
	v_add_f64_e32 v[10:11], v[10:11], v[113:114]
	v_add_f64_e32 v[2:3], v[2:3], v[73:74]
	v_fma_f64 v[111:112], v[8:9], v[81:82], v[75:76]
	v_fma_f64 v[81:82], v[6:7], v[81:82], -v[83:84]
	ds_load_b128 v[6:9], v1 offset:736
	scratch_load_b128 v[73:76], off, off offset:208
	v_fma_f64 v[79:80], v[71:72], v[85:86], v[79:80]
	v_fma_f64 v[85:86], v[69:70], v[85:86], -v[87:88]
	ds_load_b128 v[69:72], v1 offset:752
	s_wait_loadcnt_dscnt 0x601
	v_mul_f64_e32 v[83:84], v[8:9], v[91:92]
	v_add_f64_e32 v[10:11], v[10:11], v[109:110]
	v_add_f64_e32 v[2:3], v[2:3], v[77:78]
	v_mul_f64_e32 v[77:78], v[6:7], v[91:92]
	s_wait_loadcnt_dscnt 0x500
	v_mul_f64_e32 v[87:88], v[71:72], v[99:100]
	v_fma_f64 v[83:84], v[6:7], v[89:90], -v[83:84]
	v_add_f64_e32 v[10:11], v[10:11], v[111:112]
	v_add_f64_e32 v[2:3], v[2:3], v[81:82]
	v_mul_f64_e32 v[81:82], v[69:70], v[99:100]
	v_fma_f64 v[77:78], v[8:9], v[89:90], v[77:78]
	ds_load_b128 v[6:9], v1 offset:768
	v_fma_f64 v[87:88], v[69:70], v[97:98], -v[87:88]
	v_add_f64_e32 v[10:11], v[10:11], v[79:80]
	v_add_f64_e32 v[2:3], v[2:3], v[85:86]
	v_fma_f64 v[81:82], v[71:72], v[97:98], v[81:82]
	ds_load_b128 v[69:72], v1 offset:784
	s_wait_loadcnt_dscnt 0x401
	v_mul_f64_e32 v[79:80], v[6:7], v[103:104]
	v_mul_f64_e32 v[85:86], v[8:9], v[103:104]
	v_add_f64_e32 v[10:11], v[10:11], v[77:78]
	v_add_f64_e32 v[2:3], v[2:3], v[83:84]
	s_delay_alu instid0(VALU_DEP_4) | instskip(NEXT) | instid1(VALU_DEP_4)
	v_fma_f64 v[79:80], v[8:9], v[101:102], v[79:80]
	v_fma_f64 v[85:86], v[6:7], v[101:102], -v[85:86]
	ds_load_b128 v[6:9], v1 offset:800
	s_wait_loadcnt_dscnt 0x301
	v_mul_f64_e32 v[77:78], v[69:70], v[107:108]
	v_mul_f64_e32 v[83:84], v[71:72], v[107:108]
	v_add_f64_e32 v[10:11], v[10:11], v[81:82]
	v_add_f64_e32 v[2:3], v[2:3], v[87:88]
	s_delay_alu instid0(VALU_DEP_4)
	v_fma_f64 v[71:72], v[71:72], v[105:106], v[77:78]
	s_wait_loadcnt_dscnt 0x200
	v_mul_f64_e32 v[81:82], v[6:7], v[67:68]
	v_mul_f64_e32 v[87:88], v[8:9], v[67:68]
	v_fma_f64 v[77:78], v[69:70], v[105:106], -v[83:84]
	ds_load_b128 v[67:70], v1 offset:816
	v_add_f64_e32 v[10:11], v[10:11], v[79:80]
	v_add_f64_e32 v[2:3], v[2:3], v[85:86]
	s_wait_loadcnt_dscnt 0x100
	v_mul_f64_e32 v[79:80], v[67:68], v[95:96]
	v_mul_f64_e32 v[83:84], v[69:70], v[95:96]
	v_fma_f64 v[8:9], v[8:9], v[65:66], v[81:82]
	v_fma_f64 v[6:7], v[6:7], v[65:66], -v[87:88]
	v_add_f64_e32 v[10:11], v[10:11], v[71:72]
	v_add_f64_e32 v[2:3], v[2:3], v[77:78]
	v_fma_f64 v[65:66], v[69:70], v[93:94], v[79:80]
	v_fma_f64 v[67:68], v[67:68], v[93:94], -v[83:84]
	s_delay_alu instid0(VALU_DEP_3) | instskip(SKIP_1) | instid1(VALU_DEP_2)
	v_add_f64_e32 v[2:3], v[2:3], v[6:7]
	v_add_f64_e32 v[6:7], v[10:11], v[8:9]
	v_add_f64_e32 v[2:3], v[2:3], v[67:68]
	s_delay_alu instid0(VALU_DEP_2) | instskip(SKIP_1) | instid1(VALU_DEP_2)
	v_add_f64_e32 v[8:9], v[6:7], v[65:66]
	s_wait_loadcnt 0x0
	v_add_f64_e64 v[6:7], v[73:74], -v[2:3]
	s_delay_alu instid0(VALU_DEP_2)
	v_add_f64_e64 v[8:9], v[75:76], -v[8:9]
	scratch_store_b128 off, v[6:9], off offset:208
	v_cmpx_lt_u32_e32 11, v0
	s_cbranch_execz .LBB25_147
; %bb.146:
	scratch_load_b128 v[6:9], off, s26
	v_dual_mov_b32 v2, v1 :: v_dual_mov_b32 v3, v1
	v_mov_b32_e32 v4, v1
	scratch_store_b128 off, v[1:4], off offset:192
	s_wait_loadcnt 0x0
	ds_store_b128 v5, v[6:9]
.LBB25_147:
	s_wait_alu 0xfffe
	s_or_b32 exec_lo, exec_lo, s0
	s_wait_storecnt_dscnt 0x0
	s_barrier_signal -1
	s_barrier_wait -1
	global_inv scope:SCOPE_SE
	s_clause 0x7
	scratch_load_b128 v[6:9], off, off offset:208
	scratch_load_b128 v[65:68], off, off offset:224
	;; [unrolled: 1-line block ×8, first 2 shown]
	ds_load_b128 v[93:96], v1 offset:608
	s_clause 0x1
	scratch_load_b128 v[97:100], off, off offset:336
	scratch_load_b128 v[101:104], off, off offset:352
	s_mov_b32 s0, exec_lo
	s_wait_loadcnt_dscnt 0x900
	v_mul_f64_e32 v[2:3], v[95:96], v[8:9]
	v_mul_f64_e32 v[105:106], v[93:94], v[8:9]
	ds_load_b128 v[8:11], v1 offset:624
	v_fma_f64 v[2:3], v[93:94], v[6:7], -v[2:3]
	v_fma_f64 v[6:7], v[95:96], v[6:7], v[105:106]
	ds_load_b128 v[93:96], v1 offset:640
	s_wait_loadcnt_dscnt 0x801
	v_mul_f64_e32 v[109:110], v[8:9], v[67:68]
	v_mul_f64_e32 v[67:68], v[10:11], v[67:68]
	scratch_load_b128 v[105:108], off, off offset:368
	s_wait_loadcnt_dscnt 0x800
	v_mul_f64_e32 v[111:112], v[93:94], v[71:72]
	v_mul_f64_e32 v[71:72], v[95:96], v[71:72]
	v_add_f64_e32 v[2:3], 0, v[2:3]
	v_add_f64_e32 v[113:114], 0, v[6:7]
	v_fma_f64 v[10:11], v[10:11], v[65:66], v[109:110]
	v_fma_f64 v[109:110], v[8:9], v[65:66], -v[67:68]
	ds_load_b128 v[6:9], v1 offset:656
	scratch_load_b128 v[65:68], off, off offset:384
	v_fma_f64 v[111:112], v[95:96], v[69:70], v[111:112]
	v_fma_f64 v[117:118], v[93:94], v[69:70], -v[71:72]
	ds_load_b128 v[69:72], v1 offset:672
	s_wait_loadcnt_dscnt 0x801
	v_mul_f64_e32 v[115:116], v[6:7], v[75:76]
	v_mul_f64_e32 v[75:76], v[8:9], v[75:76]
	scratch_load_b128 v[93:96], off, off offset:400
	v_add_f64_e32 v[10:11], v[113:114], v[10:11]
	v_add_f64_e32 v[2:3], v[2:3], v[109:110]
	s_wait_loadcnt_dscnt 0x800
	v_mul_f64_e32 v[109:110], v[69:70], v[79:80]
	v_mul_f64_e32 v[79:80], v[71:72], v[79:80]
	v_fma_f64 v[113:114], v[8:9], v[73:74], v[115:116]
	v_fma_f64 v[115:116], v[6:7], v[73:74], -v[75:76]
	ds_load_b128 v[6:9], v1 offset:688
	scratch_load_b128 v[73:76], off, off offset:416
	v_add_f64_e32 v[10:11], v[10:11], v[111:112]
	v_add_f64_e32 v[2:3], v[2:3], v[117:118]
	v_fma_f64 v[109:110], v[71:72], v[77:78], v[109:110]
	v_fma_f64 v[77:78], v[69:70], v[77:78], -v[79:80]
	ds_load_b128 v[69:72], v1 offset:704
	s_wait_loadcnt_dscnt 0x801
	v_mul_f64_e32 v[111:112], v[6:7], v[83:84]
	v_mul_f64_e32 v[83:84], v[8:9], v[83:84]
	s_wait_loadcnt_dscnt 0x700
	v_mul_f64_e32 v[79:80], v[69:70], v[87:88]
	v_mul_f64_e32 v[87:88], v[71:72], v[87:88]
	v_add_f64_e32 v[10:11], v[10:11], v[113:114]
	v_add_f64_e32 v[2:3], v[2:3], v[115:116]
	v_fma_f64 v[111:112], v[8:9], v[81:82], v[111:112]
	v_fma_f64 v[81:82], v[6:7], v[81:82], -v[83:84]
	ds_load_b128 v[6:9], v1 offset:720
	v_add_f64_e32 v[10:11], v[10:11], v[109:110]
	v_add_f64_e32 v[2:3], v[2:3], v[77:78]
	v_fma_f64 v[109:110], v[71:72], v[85:86], v[79:80]
	v_fma_f64 v[85:86], v[69:70], v[85:86], -v[87:88]
	ds_load_b128 v[69:72], v1 offset:736
	s_wait_loadcnt_dscnt 0x601
	v_mul_f64_e32 v[83:84], v[6:7], v[91:92]
	v_mul_f64_e32 v[91:92], v[8:9], v[91:92]
	scratch_load_b128 v[77:80], off, off offset:192
	s_wait_loadcnt_dscnt 0x600
	v_mul_f64_e32 v[87:88], v[71:72], v[99:100]
	v_add_f64_e32 v[10:11], v[10:11], v[111:112]
	v_add_f64_e32 v[2:3], v[2:3], v[81:82]
	v_mul_f64_e32 v[81:82], v[69:70], v[99:100]
	v_fma_f64 v[83:84], v[8:9], v[89:90], v[83:84]
	v_fma_f64 v[89:90], v[6:7], v[89:90], -v[91:92]
	ds_load_b128 v[6:9], v1 offset:752
	v_fma_f64 v[87:88], v[69:70], v[97:98], -v[87:88]
	v_add_f64_e32 v[10:11], v[10:11], v[109:110]
	v_add_f64_e32 v[2:3], v[2:3], v[85:86]
	v_fma_f64 v[81:82], v[71:72], v[97:98], v[81:82]
	ds_load_b128 v[69:72], v1 offset:768
	s_wait_loadcnt_dscnt 0x501
	v_mul_f64_e32 v[85:86], v[6:7], v[103:104]
	v_mul_f64_e32 v[91:92], v[8:9], v[103:104]
	v_add_f64_e32 v[10:11], v[10:11], v[83:84]
	v_add_f64_e32 v[2:3], v[2:3], v[89:90]
	s_delay_alu instid0(VALU_DEP_4) | instskip(NEXT) | instid1(VALU_DEP_4)
	v_fma_f64 v[85:86], v[8:9], v[101:102], v[85:86]
	v_fma_f64 v[91:92], v[6:7], v[101:102], -v[91:92]
	ds_load_b128 v[6:9], v1 offset:784
	s_wait_loadcnt_dscnt 0x401
	v_mul_f64_e32 v[83:84], v[69:70], v[107:108]
	v_mul_f64_e32 v[89:90], v[71:72], v[107:108]
	v_add_f64_e32 v[10:11], v[10:11], v[81:82]
	v_add_f64_e32 v[2:3], v[2:3], v[87:88]
	s_delay_alu instid0(VALU_DEP_4)
	v_fma_f64 v[71:72], v[71:72], v[105:106], v[83:84]
	s_wait_loadcnt_dscnt 0x300
	v_mul_f64_e32 v[81:82], v[6:7], v[67:68]
	v_mul_f64_e32 v[87:88], v[8:9], v[67:68]
	v_fma_f64 v[83:84], v[69:70], v[105:106], -v[89:90]
	ds_load_b128 v[67:70], v1 offset:800
	v_add_f64_e32 v[10:11], v[10:11], v[85:86]
	v_add_f64_e32 v[2:3], v[2:3], v[91:92]
	s_wait_loadcnt_dscnt 0x200
	v_mul_f64_e32 v[85:86], v[67:68], v[95:96]
	v_mul_f64_e32 v[89:90], v[69:70], v[95:96]
	v_fma_f64 v[8:9], v[8:9], v[65:66], v[81:82]
	v_fma_f64 v[6:7], v[6:7], v[65:66], -v[87:88]
	v_add_f64_e32 v[10:11], v[10:11], v[71:72]
	v_add_f64_e32 v[65:66], v[2:3], v[83:84]
	ds_load_b128 v[1:4], v1 offset:816
	v_fma_f64 v[69:70], v[69:70], v[93:94], v[85:86]
	v_fma_f64 v[67:68], v[67:68], v[93:94], -v[89:90]
	s_wait_loadcnt_dscnt 0x100
	v_mul_f64_e32 v[71:72], v[1:2], v[75:76]
	v_mul_f64_e32 v[75:76], v[3:4], v[75:76]
	v_add_f64_e32 v[8:9], v[10:11], v[8:9]
	v_add_f64_e32 v[6:7], v[65:66], v[6:7]
	s_delay_alu instid0(VALU_DEP_4) | instskip(NEXT) | instid1(VALU_DEP_4)
	v_fma_f64 v[3:4], v[3:4], v[73:74], v[71:72]
	v_fma_f64 v[1:2], v[1:2], v[73:74], -v[75:76]
	s_delay_alu instid0(VALU_DEP_4) | instskip(NEXT) | instid1(VALU_DEP_4)
	v_add_f64_e32 v[8:9], v[8:9], v[69:70]
	v_add_f64_e32 v[6:7], v[6:7], v[67:68]
	s_delay_alu instid0(VALU_DEP_2) | instskip(NEXT) | instid1(VALU_DEP_2)
	v_add_f64_e32 v[3:4], v[8:9], v[3:4]
	v_add_f64_e32 v[1:2], v[6:7], v[1:2]
	s_wait_loadcnt 0x0
	s_delay_alu instid0(VALU_DEP_2) | instskip(NEXT) | instid1(VALU_DEP_2)
	v_add_f64_e64 v[3:4], v[79:80], -v[3:4]
	v_add_f64_e64 v[1:2], v[77:78], -v[1:2]
	scratch_store_b128 off, v[1:4], off offset:192
	v_cmpx_lt_u32_e32 10, v0
	s_cbranch_execz .LBB25_149
; %bb.148:
	scratch_load_b128 v[1:4], off, s30
	v_mov_b32_e32 v6, 0
	s_delay_alu instid0(VALU_DEP_1)
	v_dual_mov_b32 v7, v6 :: v_dual_mov_b32 v8, v6
	v_mov_b32_e32 v9, v6
	scratch_store_b128 off, v[6:9], off offset:176
	s_wait_loadcnt 0x0
	ds_store_b128 v5, v[1:4]
.LBB25_149:
	s_wait_alu 0xfffe
	s_or_b32 exec_lo, exec_lo, s0
	s_wait_storecnt_dscnt 0x0
	s_barrier_signal -1
	s_barrier_wait -1
	global_inv scope:SCOPE_SE
	s_clause 0x7
	scratch_load_b128 v[6:9], off, off offset:192
	scratch_load_b128 v[65:68], off, off offset:208
	;; [unrolled: 1-line block ×8, first 2 shown]
	v_mov_b32_e32 v1, 0
	s_clause 0x1
	scratch_load_b128 v[97:100], off, off offset:320
	scratch_load_b128 v[101:104], off, off offset:336
	s_mov_b32 s0, exec_lo
	ds_load_b128 v[93:96], v1 offset:592
	s_wait_loadcnt_dscnt 0x900
	v_mul_f64_e32 v[2:3], v[95:96], v[8:9]
	v_mul_f64_e32 v[105:106], v[93:94], v[8:9]
	ds_load_b128 v[8:11], v1 offset:608
	v_fma_f64 v[2:3], v[93:94], v[6:7], -v[2:3]
	v_fma_f64 v[6:7], v[95:96], v[6:7], v[105:106]
	ds_load_b128 v[93:96], v1 offset:624
	s_wait_loadcnt_dscnt 0x801
	v_mul_f64_e32 v[109:110], v[8:9], v[67:68]
	v_mul_f64_e32 v[67:68], v[10:11], v[67:68]
	scratch_load_b128 v[105:108], off, off offset:352
	s_wait_loadcnt_dscnt 0x800
	v_mul_f64_e32 v[111:112], v[93:94], v[71:72]
	v_mul_f64_e32 v[71:72], v[95:96], v[71:72]
	v_add_f64_e32 v[2:3], 0, v[2:3]
	v_add_f64_e32 v[113:114], 0, v[6:7]
	v_fma_f64 v[10:11], v[10:11], v[65:66], v[109:110]
	v_fma_f64 v[109:110], v[8:9], v[65:66], -v[67:68]
	ds_load_b128 v[6:9], v1 offset:640
	scratch_load_b128 v[65:68], off, off offset:368
	v_fma_f64 v[111:112], v[95:96], v[69:70], v[111:112]
	v_fma_f64 v[117:118], v[93:94], v[69:70], -v[71:72]
	ds_load_b128 v[69:72], v1 offset:656
	s_wait_loadcnt_dscnt 0x801
	v_mul_f64_e32 v[115:116], v[6:7], v[75:76]
	v_mul_f64_e32 v[75:76], v[8:9], v[75:76]
	scratch_load_b128 v[93:96], off, off offset:384
	v_add_f64_e32 v[10:11], v[113:114], v[10:11]
	v_add_f64_e32 v[2:3], v[2:3], v[109:110]
	s_wait_loadcnt_dscnt 0x800
	v_mul_f64_e32 v[109:110], v[69:70], v[79:80]
	v_mul_f64_e32 v[79:80], v[71:72], v[79:80]
	v_fma_f64 v[113:114], v[8:9], v[73:74], v[115:116]
	v_fma_f64 v[115:116], v[6:7], v[73:74], -v[75:76]
	ds_load_b128 v[6:9], v1 offset:672
	scratch_load_b128 v[73:76], off, off offset:400
	v_add_f64_e32 v[10:11], v[10:11], v[111:112]
	v_add_f64_e32 v[2:3], v[2:3], v[117:118]
	v_fma_f64 v[109:110], v[71:72], v[77:78], v[109:110]
	v_fma_f64 v[117:118], v[69:70], v[77:78], -v[79:80]
	ds_load_b128 v[69:72], v1 offset:688
	s_wait_loadcnt_dscnt 0x801
	v_mul_f64_e32 v[111:112], v[6:7], v[83:84]
	v_mul_f64_e32 v[83:84], v[8:9], v[83:84]
	scratch_load_b128 v[77:80], off, off offset:416
	v_add_f64_e32 v[10:11], v[10:11], v[113:114]
	v_add_f64_e32 v[2:3], v[2:3], v[115:116]
	s_wait_loadcnt_dscnt 0x800
	v_mul_f64_e32 v[113:114], v[69:70], v[87:88]
	v_mul_f64_e32 v[87:88], v[71:72], v[87:88]
	v_fma_f64 v[111:112], v[8:9], v[81:82], v[111:112]
	v_fma_f64 v[81:82], v[6:7], v[81:82], -v[83:84]
	ds_load_b128 v[6:9], v1 offset:704
	v_add_f64_e32 v[10:11], v[10:11], v[109:110]
	v_add_f64_e32 v[2:3], v[2:3], v[117:118]
	v_fma_f64 v[109:110], v[71:72], v[85:86], v[113:114]
	v_fma_f64 v[85:86], v[69:70], v[85:86], -v[87:88]
	ds_load_b128 v[69:72], v1 offset:720
	s_wait_loadcnt_dscnt 0x701
	v_mul_f64_e32 v[83:84], v[6:7], v[91:92]
	v_mul_f64_e32 v[91:92], v[8:9], v[91:92]
	v_add_f64_e32 v[10:11], v[10:11], v[111:112]
	v_add_f64_e32 v[2:3], v[2:3], v[81:82]
	s_delay_alu instid0(VALU_DEP_4) | instskip(NEXT) | instid1(VALU_DEP_4)
	v_fma_f64 v[111:112], v[8:9], v[89:90], v[83:84]
	v_fma_f64 v[89:90], v[6:7], v[89:90], -v[91:92]
	scratch_load_b128 v[81:84], off, off offset:176
	s_wait_loadcnt_dscnt 0x700
	v_mul_f64_e32 v[87:88], v[69:70], v[99:100]
	v_mul_f64_e32 v[99:100], v[71:72], v[99:100]
	ds_load_b128 v[6:9], v1 offset:736
	v_add_f64_e32 v[10:11], v[10:11], v[109:110]
	v_add_f64_e32 v[2:3], v[2:3], v[85:86]
	v_fma_f64 v[87:88], v[71:72], v[97:98], v[87:88]
	v_fma_f64 v[97:98], v[69:70], v[97:98], -v[99:100]
	ds_load_b128 v[69:72], v1 offset:752
	s_wait_loadcnt_dscnt 0x601
	v_mul_f64_e32 v[85:86], v[6:7], v[103:104]
	v_mul_f64_e32 v[91:92], v[8:9], v[103:104]
	v_add_f64_e32 v[10:11], v[10:11], v[111:112]
	v_add_f64_e32 v[2:3], v[2:3], v[89:90]
	s_delay_alu instid0(VALU_DEP_4) | instskip(NEXT) | instid1(VALU_DEP_4)
	v_fma_f64 v[85:86], v[8:9], v[101:102], v[85:86]
	v_fma_f64 v[91:92], v[6:7], v[101:102], -v[91:92]
	ds_load_b128 v[6:9], v1 offset:768
	s_wait_loadcnt_dscnt 0x501
	v_mul_f64_e32 v[89:90], v[69:70], v[107:108]
	v_mul_f64_e32 v[99:100], v[71:72], v[107:108]
	v_add_f64_e32 v[10:11], v[10:11], v[87:88]
	v_add_f64_e32 v[2:3], v[2:3], v[97:98]
	s_delay_alu instid0(VALU_DEP_4)
	v_fma_f64 v[71:72], v[71:72], v[105:106], v[89:90]
	s_wait_loadcnt_dscnt 0x400
	v_mul_f64_e32 v[87:88], v[6:7], v[67:68]
	v_mul_f64_e32 v[97:98], v[8:9], v[67:68]
	v_fma_f64 v[89:90], v[69:70], v[105:106], -v[99:100]
	ds_load_b128 v[67:70], v1 offset:784
	v_add_f64_e32 v[10:11], v[10:11], v[85:86]
	v_add_f64_e32 v[2:3], v[2:3], v[91:92]
	v_fma_f64 v[87:88], v[8:9], v[65:66], v[87:88]
	v_fma_f64 v[65:66], v[6:7], v[65:66], -v[97:98]
	ds_load_b128 v[6:9], v1 offset:800
	s_wait_loadcnt_dscnt 0x301
	v_mul_f64_e32 v[85:86], v[67:68], v[95:96]
	v_mul_f64_e32 v[91:92], v[69:70], v[95:96]
	v_add_f64_e32 v[10:11], v[10:11], v[71:72]
	v_add_f64_e32 v[2:3], v[2:3], v[89:90]
	s_wait_loadcnt_dscnt 0x200
	v_mul_f64_e32 v[71:72], v[6:7], v[75:76]
	v_mul_f64_e32 v[75:76], v[8:9], v[75:76]
	v_fma_f64 v[69:70], v[69:70], v[93:94], v[85:86]
	v_fma_f64 v[85:86], v[67:68], v[93:94], -v[91:92]
	v_add_f64_e32 v[10:11], v[10:11], v[87:88]
	v_add_f64_e32 v[2:3], v[2:3], v[65:66]
	ds_load_b128 v[65:68], v1 offset:816
	v_fma_f64 v[8:9], v[8:9], v[73:74], v[71:72]
	v_fma_f64 v[6:7], v[6:7], v[73:74], -v[75:76]
	s_wait_loadcnt_dscnt 0x100
	v_mul_f64_e32 v[87:88], v[65:66], v[79:80]
	v_mul_f64_e32 v[79:80], v[67:68], v[79:80]
	v_add_f64_e32 v[10:11], v[10:11], v[69:70]
	v_add_f64_e32 v[2:3], v[2:3], v[85:86]
	s_delay_alu instid0(VALU_DEP_4) | instskip(NEXT) | instid1(VALU_DEP_4)
	v_fma_f64 v[67:68], v[67:68], v[77:78], v[87:88]
	v_fma_f64 v[65:66], v[65:66], v[77:78], -v[79:80]
	s_delay_alu instid0(VALU_DEP_3) | instskip(SKIP_1) | instid1(VALU_DEP_2)
	v_add_f64_e32 v[2:3], v[2:3], v[6:7]
	v_add_f64_e32 v[6:7], v[10:11], v[8:9]
	;; [unrolled: 1-line block ×3, first 2 shown]
	s_delay_alu instid0(VALU_DEP_2) | instskip(SKIP_1) | instid1(VALU_DEP_2)
	v_add_f64_e32 v[8:9], v[6:7], v[67:68]
	s_wait_loadcnt 0x0
	v_add_f64_e64 v[6:7], v[81:82], -v[2:3]
	s_delay_alu instid0(VALU_DEP_2)
	v_add_f64_e64 v[8:9], v[83:84], -v[8:9]
	scratch_store_b128 off, v[6:9], off offset:176
	v_cmpx_lt_u32_e32 9, v0
	s_cbranch_execz .LBB25_151
; %bb.150:
	scratch_load_b128 v[6:9], off, s25
	v_dual_mov_b32 v2, v1 :: v_dual_mov_b32 v3, v1
	v_mov_b32_e32 v4, v1
	scratch_store_b128 off, v[1:4], off offset:160
	s_wait_loadcnt 0x0
	ds_store_b128 v5, v[6:9]
.LBB25_151:
	s_wait_alu 0xfffe
	s_or_b32 exec_lo, exec_lo, s0
	s_wait_storecnt_dscnt 0x0
	s_barrier_signal -1
	s_barrier_wait -1
	global_inv scope:SCOPE_SE
	s_clause 0x7
	scratch_load_b128 v[6:9], off, off offset:176
	scratch_load_b128 v[65:68], off, off offset:192
	;; [unrolled: 1-line block ×8, first 2 shown]
	ds_load_b128 v[93:96], v1 offset:576
	s_clause 0x1
	scratch_load_b128 v[97:100], off, off offset:304
	scratch_load_b128 v[101:104], off, off offset:320
	s_mov_b32 s0, exec_lo
	s_wait_loadcnt_dscnt 0x900
	v_mul_f64_e32 v[2:3], v[95:96], v[8:9]
	v_mul_f64_e32 v[105:106], v[93:94], v[8:9]
	ds_load_b128 v[8:11], v1 offset:592
	v_fma_f64 v[2:3], v[93:94], v[6:7], -v[2:3]
	v_fma_f64 v[6:7], v[95:96], v[6:7], v[105:106]
	ds_load_b128 v[93:96], v1 offset:608
	s_wait_loadcnt_dscnt 0x801
	v_mul_f64_e32 v[109:110], v[8:9], v[67:68]
	v_mul_f64_e32 v[67:68], v[10:11], v[67:68]
	scratch_load_b128 v[105:108], off, off offset:336
	s_wait_loadcnt_dscnt 0x800
	v_mul_f64_e32 v[111:112], v[93:94], v[71:72]
	v_mul_f64_e32 v[71:72], v[95:96], v[71:72]
	v_add_f64_e32 v[2:3], 0, v[2:3]
	v_add_f64_e32 v[113:114], 0, v[6:7]
	v_fma_f64 v[10:11], v[10:11], v[65:66], v[109:110]
	v_fma_f64 v[109:110], v[8:9], v[65:66], -v[67:68]
	ds_load_b128 v[6:9], v1 offset:624
	scratch_load_b128 v[65:68], off, off offset:352
	v_fma_f64 v[111:112], v[95:96], v[69:70], v[111:112]
	v_fma_f64 v[117:118], v[93:94], v[69:70], -v[71:72]
	ds_load_b128 v[69:72], v1 offset:640
	s_wait_loadcnt_dscnt 0x801
	v_mul_f64_e32 v[115:116], v[6:7], v[75:76]
	v_mul_f64_e32 v[75:76], v[8:9], v[75:76]
	scratch_load_b128 v[93:96], off, off offset:368
	v_add_f64_e32 v[10:11], v[113:114], v[10:11]
	v_add_f64_e32 v[2:3], v[2:3], v[109:110]
	s_wait_loadcnt_dscnt 0x800
	v_mul_f64_e32 v[109:110], v[69:70], v[79:80]
	v_mul_f64_e32 v[79:80], v[71:72], v[79:80]
	v_fma_f64 v[113:114], v[8:9], v[73:74], v[115:116]
	v_fma_f64 v[115:116], v[6:7], v[73:74], -v[75:76]
	ds_load_b128 v[6:9], v1 offset:656
	scratch_load_b128 v[73:76], off, off offset:384
	v_add_f64_e32 v[10:11], v[10:11], v[111:112]
	v_add_f64_e32 v[2:3], v[2:3], v[117:118]
	v_fma_f64 v[109:110], v[71:72], v[77:78], v[109:110]
	v_fma_f64 v[117:118], v[69:70], v[77:78], -v[79:80]
	ds_load_b128 v[69:72], v1 offset:672
	s_wait_loadcnt_dscnt 0x801
	v_mul_f64_e32 v[111:112], v[6:7], v[83:84]
	v_mul_f64_e32 v[83:84], v[8:9], v[83:84]
	scratch_load_b128 v[77:80], off, off offset:400
	v_add_f64_e32 v[10:11], v[10:11], v[113:114]
	v_add_f64_e32 v[2:3], v[2:3], v[115:116]
	s_wait_loadcnt_dscnt 0x800
	v_mul_f64_e32 v[113:114], v[69:70], v[87:88]
	v_mul_f64_e32 v[87:88], v[71:72], v[87:88]
	v_fma_f64 v[111:112], v[8:9], v[81:82], v[111:112]
	v_fma_f64 v[115:116], v[6:7], v[81:82], -v[83:84]
	ds_load_b128 v[6:9], v1 offset:688
	scratch_load_b128 v[81:84], off, off offset:416
	v_add_f64_e32 v[10:11], v[10:11], v[109:110]
	v_add_f64_e32 v[2:3], v[2:3], v[117:118]
	v_fma_f64 v[113:114], v[71:72], v[85:86], v[113:114]
	v_fma_f64 v[85:86], v[69:70], v[85:86], -v[87:88]
	ds_load_b128 v[69:72], v1 offset:704
	s_wait_loadcnt_dscnt 0x801
	v_mul_f64_e32 v[109:110], v[6:7], v[91:92]
	v_mul_f64_e32 v[91:92], v[8:9], v[91:92]
	s_wait_loadcnt_dscnt 0x700
	v_mul_f64_e32 v[87:88], v[69:70], v[99:100]
	v_mul_f64_e32 v[99:100], v[71:72], v[99:100]
	v_add_f64_e32 v[10:11], v[10:11], v[111:112]
	v_add_f64_e32 v[2:3], v[2:3], v[115:116]
	v_fma_f64 v[109:110], v[8:9], v[89:90], v[109:110]
	v_fma_f64 v[89:90], v[6:7], v[89:90], -v[91:92]
	ds_load_b128 v[6:9], v1 offset:720
	v_fma_f64 v[111:112], v[71:72], v[97:98], v[87:88]
	v_fma_f64 v[97:98], v[69:70], v[97:98], -v[99:100]
	ds_load_b128 v[69:72], v1 offset:736
	v_add_f64_e32 v[10:11], v[10:11], v[113:114]
	v_add_f64_e32 v[2:3], v[2:3], v[85:86]
	scratch_load_b128 v[85:88], off, off offset:160
	s_wait_loadcnt_dscnt 0x701
	v_mul_f64_e32 v[91:92], v[6:7], v[103:104]
	v_mul_f64_e32 v[103:104], v[8:9], v[103:104]
	v_add_f64_e32 v[10:11], v[10:11], v[109:110]
	v_add_f64_e32 v[2:3], v[2:3], v[89:90]
	s_delay_alu instid0(VALU_DEP_4) | instskip(NEXT) | instid1(VALU_DEP_4)
	v_fma_f64 v[91:92], v[8:9], v[101:102], v[91:92]
	v_fma_f64 v[101:102], v[6:7], v[101:102], -v[103:104]
	ds_load_b128 v[6:9], v1 offset:752
	s_wait_loadcnt_dscnt 0x601
	v_mul_f64_e32 v[89:90], v[69:70], v[107:108]
	v_mul_f64_e32 v[99:100], v[71:72], v[107:108]
	v_add_f64_e32 v[10:11], v[10:11], v[111:112]
	v_add_f64_e32 v[2:3], v[2:3], v[97:98]
	s_delay_alu instid0(VALU_DEP_4)
	v_fma_f64 v[71:72], v[71:72], v[105:106], v[89:90]
	s_wait_loadcnt_dscnt 0x500
	v_mul_f64_e32 v[97:98], v[6:7], v[67:68]
	v_mul_f64_e32 v[103:104], v[8:9], v[67:68]
	v_fma_f64 v[89:90], v[69:70], v[105:106], -v[99:100]
	ds_load_b128 v[67:70], v1 offset:768
	v_add_f64_e32 v[10:11], v[10:11], v[91:92]
	v_add_f64_e32 v[2:3], v[2:3], v[101:102]
	v_fma_f64 v[97:98], v[8:9], v[65:66], v[97:98]
	v_fma_f64 v[65:66], v[6:7], v[65:66], -v[103:104]
	ds_load_b128 v[6:9], v1 offset:784
	s_wait_loadcnt_dscnt 0x401
	v_mul_f64_e32 v[91:92], v[67:68], v[95:96]
	v_mul_f64_e32 v[95:96], v[69:70], v[95:96]
	v_add_f64_e32 v[10:11], v[10:11], v[71:72]
	v_add_f64_e32 v[2:3], v[2:3], v[89:90]
	s_wait_loadcnt_dscnt 0x300
	v_mul_f64_e32 v[71:72], v[6:7], v[75:76]
	v_mul_f64_e32 v[75:76], v[8:9], v[75:76]
	v_fma_f64 v[69:70], v[69:70], v[93:94], v[91:92]
	v_fma_f64 v[89:90], v[67:68], v[93:94], -v[95:96]
	v_add_f64_e32 v[10:11], v[10:11], v[97:98]
	v_add_f64_e32 v[2:3], v[2:3], v[65:66]
	ds_load_b128 v[65:68], v1 offset:800
	v_fma_f64 v[8:9], v[8:9], v[73:74], v[71:72]
	v_fma_f64 v[6:7], v[6:7], v[73:74], -v[75:76]
	s_wait_loadcnt_dscnt 0x200
	v_mul_f64_e32 v[91:92], v[65:66], v[79:80]
	v_mul_f64_e32 v[79:80], v[67:68], v[79:80]
	v_add_f64_e32 v[10:11], v[10:11], v[69:70]
	v_add_f64_e32 v[71:72], v[2:3], v[89:90]
	ds_load_b128 v[1:4], v1 offset:816
	s_wait_loadcnt_dscnt 0x100
	v_mul_f64_e32 v[69:70], v[1:2], v[83:84]
	v_mul_f64_e32 v[73:74], v[3:4], v[83:84]
	v_fma_f64 v[67:68], v[67:68], v[77:78], v[91:92]
	v_fma_f64 v[65:66], v[65:66], v[77:78], -v[79:80]
	v_add_f64_e32 v[8:9], v[10:11], v[8:9]
	v_add_f64_e32 v[6:7], v[71:72], v[6:7]
	v_fma_f64 v[3:4], v[3:4], v[81:82], v[69:70]
	v_fma_f64 v[1:2], v[1:2], v[81:82], -v[73:74]
	s_delay_alu instid0(VALU_DEP_4) | instskip(NEXT) | instid1(VALU_DEP_4)
	v_add_f64_e32 v[8:9], v[8:9], v[67:68]
	v_add_f64_e32 v[6:7], v[6:7], v[65:66]
	s_delay_alu instid0(VALU_DEP_2) | instskip(NEXT) | instid1(VALU_DEP_2)
	v_add_f64_e32 v[3:4], v[8:9], v[3:4]
	v_add_f64_e32 v[1:2], v[6:7], v[1:2]
	s_wait_loadcnt 0x0
	s_delay_alu instid0(VALU_DEP_2) | instskip(NEXT) | instid1(VALU_DEP_2)
	v_add_f64_e64 v[3:4], v[87:88], -v[3:4]
	v_add_f64_e64 v[1:2], v[85:86], -v[1:2]
	scratch_store_b128 off, v[1:4], off offset:160
	v_cmpx_lt_u32_e32 8, v0
	s_cbranch_execz .LBB25_153
; %bb.152:
	scratch_load_b128 v[1:4], off, s29
	v_mov_b32_e32 v6, 0
	s_delay_alu instid0(VALU_DEP_1)
	v_dual_mov_b32 v7, v6 :: v_dual_mov_b32 v8, v6
	v_mov_b32_e32 v9, v6
	scratch_store_b128 off, v[6:9], off offset:144
	s_wait_loadcnt 0x0
	ds_store_b128 v5, v[1:4]
.LBB25_153:
	s_wait_alu 0xfffe
	s_or_b32 exec_lo, exec_lo, s0
	s_wait_storecnt_dscnt 0x0
	s_barrier_signal -1
	s_barrier_wait -1
	global_inv scope:SCOPE_SE
	s_clause 0x7
	scratch_load_b128 v[6:9], off, off offset:160
	scratch_load_b128 v[65:68], off, off offset:176
	scratch_load_b128 v[69:72], off, off offset:192
	scratch_load_b128 v[73:76], off, off offset:208
	scratch_load_b128 v[77:80], off, off offset:224
	scratch_load_b128 v[81:84], off, off offset:240
	scratch_load_b128 v[85:88], off, off offset:256
	scratch_load_b128 v[89:92], off, off offset:272
	v_mov_b32_e32 v1, 0
	s_clause 0x1
	scratch_load_b128 v[101:104], off, off offset:304
	scratch_load_b128 v[97:100], off, off offset:288
	s_mov_b32 s0, exec_lo
	ds_load_b128 v[93:96], v1 offset:560
	s_wait_loadcnt_dscnt 0x900
	v_mul_f64_e32 v[2:3], v[95:96], v[8:9]
	v_mul_f64_e32 v[105:106], v[93:94], v[8:9]
	ds_load_b128 v[8:11], v1 offset:576
	v_fma_f64 v[2:3], v[93:94], v[6:7], -v[2:3]
	v_fma_f64 v[6:7], v[95:96], v[6:7], v[105:106]
	ds_load_b128 v[93:96], v1 offset:592
	s_wait_loadcnt_dscnt 0x801
	v_mul_f64_e32 v[109:110], v[8:9], v[67:68]
	v_mul_f64_e32 v[67:68], v[10:11], v[67:68]
	scratch_load_b128 v[105:108], off, off offset:320
	s_wait_loadcnt_dscnt 0x800
	v_mul_f64_e32 v[111:112], v[93:94], v[71:72]
	v_mul_f64_e32 v[71:72], v[95:96], v[71:72]
	v_add_f64_e32 v[2:3], 0, v[2:3]
	v_add_f64_e32 v[113:114], 0, v[6:7]
	v_fma_f64 v[10:11], v[10:11], v[65:66], v[109:110]
	v_fma_f64 v[109:110], v[8:9], v[65:66], -v[67:68]
	ds_load_b128 v[6:9], v1 offset:608
	scratch_load_b128 v[65:68], off, off offset:336
	v_fma_f64 v[111:112], v[95:96], v[69:70], v[111:112]
	v_fma_f64 v[117:118], v[93:94], v[69:70], -v[71:72]
	ds_load_b128 v[69:72], v1 offset:624
	s_wait_loadcnt_dscnt 0x801
	v_mul_f64_e32 v[115:116], v[6:7], v[75:76]
	v_mul_f64_e32 v[75:76], v[8:9], v[75:76]
	scratch_load_b128 v[93:96], off, off offset:352
	v_add_f64_e32 v[10:11], v[113:114], v[10:11]
	v_add_f64_e32 v[2:3], v[2:3], v[109:110]
	s_wait_loadcnt_dscnt 0x800
	v_mul_f64_e32 v[109:110], v[69:70], v[79:80]
	v_mul_f64_e32 v[79:80], v[71:72], v[79:80]
	v_fma_f64 v[113:114], v[8:9], v[73:74], v[115:116]
	v_fma_f64 v[115:116], v[6:7], v[73:74], -v[75:76]
	ds_load_b128 v[6:9], v1 offset:640
	scratch_load_b128 v[73:76], off, off offset:368
	v_add_f64_e32 v[10:11], v[10:11], v[111:112]
	v_add_f64_e32 v[2:3], v[2:3], v[117:118]
	v_fma_f64 v[109:110], v[71:72], v[77:78], v[109:110]
	v_fma_f64 v[117:118], v[69:70], v[77:78], -v[79:80]
	ds_load_b128 v[69:72], v1 offset:656
	s_wait_loadcnt_dscnt 0x801
	v_mul_f64_e32 v[111:112], v[6:7], v[83:84]
	v_mul_f64_e32 v[83:84], v[8:9], v[83:84]
	scratch_load_b128 v[77:80], off, off offset:384
	v_add_f64_e32 v[10:11], v[10:11], v[113:114]
	v_add_f64_e32 v[2:3], v[2:3], v[115:116]
	s_wait_loadcnt_dscnt 0x800
	v_mul_f64_e32 v[113:114], v[69:70], v[87:88]
	v_mul_f64_e32 v[87:88], v[71:72], v[87:88]
	v_fma_f64 v[111:112], v[8:9], v[81:82], v[111:112]
	v_fma_f64 v[115:116], v[6:7], v[81:82], -v[83:84]
	ds_load_b128 v[6:9], v1 offset:672
	scratch_load_b128 v[81:84], off, off offset:400
	v_add_f64_e32 v[10:11], v[10:11], v[109:110]
	v_add_f64_e32 v[2:3], v[2:3], v[117:118]
	v_fma_f64 v[113:114], v[71:72], v[85:86], v[113:114]
	v_fma_f64 v[117:118], v[69:70], v[85:86], -v[87:88]
	ds_load_b128 v[69:72], v1 offset:688
	s_wait_loadcnt_dscnt 0x801
	v_mul_f64_e32 v[109:110], v[6:7], v[91:92]
	v_mul_f64_e32 v[91:92], v[8:9], v[91:92]
	scratch_load_b128 v[85:88], off, off offset:416
	v_add_f64_e32 v[10:11], v[10:11], v[111:112]
	v_add_f64_e32 v[2:3], v[2:3], v[115:116]
	v_fma_f64 v[109:110], v[8:9], v[89:90], v[109:110]
	v_fma_f64 v[89:90], v[6:7], v[89:90], -v[91:92]
	ds_load_b128 v[6:9], v1 offset:704
	s_wait_loadcnt_dscnt 0x800
	v_mul_f64_e32 v[91:92], v[6:7], v[103:104]
	v_mul_f64_e32 v[103:104], v[8:9], v[103:104]
	v_add_f64_e32 v[10:11], v[10:11], v[113:114]
	v_add_f64_e32 v[2:3], v[2:3], v[117:118]
	s_delay_alu instid0(VALU_DEP_2) | instskip(NEXT) | instid1(VALU_DEP_2)
	v_add_f64_e32 v[10:11], v[10:11], v[109:110]
	v_add_f64_e32 v[2:3], v[2:3], v[89:90]
	v_fma_f64 v[109:110], v[8:9], v[101:102], v[91:92]
	scratch_load_b128 v[89:92], off, off offset:144
	s_wait_loadcnt 0x8
	v_mul_f64_e32 v[111:112], v[69:70], v[99:100]
	v_mul_f64_e32 v[99:100], v[71:72], v[99:100]
	v_fma_f64 v[101:102], v[6:7], v[101:102], -v[103:104]
	ds_load_b128 v[6:9], v1 offset:736
	v_fma_f64 v[111:112], v[71:72], v[97:98], v[111:112]
	v_fma_f64 v[97:98], v[69:70], v[97:98], -v[99:100]
	ds_load_b128 v[69:72], v1 offset:720
	s_wait_loadcnt_dscnt 0x601
	v_mul_f64_e32 v[103:104], v[8:9], v[67:68]
	s_wait_dscnt 0x0
	v_mul_f64_e32 v[99:100], v[69:70], v[107:108]
	v_mul_f64_e32 v[107:108], v[71:72], v[107:108]
	v_add_f64_e32 v[10:11], v[10:11], v[111:112]
	v_add_f64_e32 v[2:3], v[2:3], v[97:98]
	v_mul_f64_e32 v[97:98], v[6:7], v[67:68]
	v_fma_f64 v[71:72], v[71:72], v[105:106], v[99:100]
	v_fma_f64 v[99:100], v[69:70], v[105:106], -v[107:108]
	ds_load_b128 v[67:70], v1 offset:752
	v_add_f64_e32 v[10:11], v[10:11], v[109:110]
	v_add_f64_e32 v[2:3], v[2:3], v[101:102]
	v_fma_f64 v[97:98], v[8:9], v[65:66], v[97:98]
	v_fma_f64 v[65:66], v[6:7], v[65:66], -v[103:104]
	ds_load_b128 v[6:9], v1 offset:768
	s_wait_loadcnt_dscnt 0x501
	v_mul_f64_e32 v[101:102], v[67:68], v[95:96]
	v_mul_f64_e32 v[95:96], v[69:70], v[95:96]
	v_add_f64_e32 v[10:11], v[10:11], v[71:72]
	v_add_f64_e32 v[2:3], v[2:3], v[99:100]
	s_wait_loadcnt_dscnt 0x400
	v_mul_f64_e32 v[71:72], v[6:7], v[75:76]
	v_mul_f64_e32 v[75:76], v[8:9], v[75:76]
	v_fma_f64 v[69:70], v[69:70], v[93:94], v[101:102]
	v_fma_f64 v[93:94], v[67:68], v[93:94], -v[95:96]
	v_add_f64_e32 v[10:11], v[10:11], v[97:98]
	v_add_f64_e32 v[2:3], v[2:3], v[65:66]
	ds_load_b128 v[65:68], v1 offset:784
	v_fma_f64 v[71:72], v[8:9], v[73:74], v[71:72]
	v_fma_f64 v[73:74], v[6:7], v[73:74], -v[75:76]
	ds_load_b128 v[6:9], v1 offset:800
	s_wait_loadcnt_dscnt 0x301
	v_mul_f64_e32 v[95:96], v[65:66], v[79:80]
	v_mul_f64_e32 v[79:80], v[67:68], v[79:80]
	s_wait_loadcnt_dscnt 0x200
	v_mul_f64_e32 v[75:76], v[8:9], v[83:84]
	v_add_f64_e32 v[10:11], v[10:11], v[69:70]
	v_add_f64_e32 v[2:3], v[2:3], v[93:94]
	v_mul_f64_e32 v[69:70], v[6:7], v[83:84]
	v_fma_f64 v[83:84], v[67:68], v[77:78], v[95:96]
	v_fma_f64 v[77:78], v[65:66], v[77:78], -v[79:80]
	ds_load_b128 v[65:68], v1 offset:816
	v_fma_f64 v[6:7], v[6:7], v[81:82], -v[75:76]
	v_add_f64_e32 v[10:11], v[10:11], v[71:72]
	v_add_f64_e32 v[2:3], v[2:3], v[73:74]
	v_fma_f64 v[8:9], v[8:9], v[81:82], v[69:70]
	s_wait_loadcnt_dscnt 0x100
	v_mul_f64_e32 v[71:72], v[65:66], v[87:88]
	v_mul_f64_e32 v[73:74], v[67:68], v[87:88]
	v_add_f64_e32 v[10:11], v[10:11], v[83:84]
	v_add_f64_e32 v[2:3], v[2:3], v[77:78]
	s_delay_alu instid0(VALU_DEP_4) | instskip(NEXT) | instid1(VALU_DEP_4)
	v_fma_f64 v[67:68], v[67:68], v[85:86], v[71:72]
	v_fma_f64 v[65:66], v[65:66], v[85:86], -v[73:74]
	s_delay_alu instid0(VALU_DEP_3) | instskip(SKIP_1) | instid1(VALU_DEP_2)
	v_add_f64_e32 v[2:3], v[2:3], v[6:7]
	v_add_f64_e32 v[6:7], v[10:11], v[8:9]
	;; [unrolled: 1-line block ×3, first 2 shown]
	s_delay_alu instid0(VALU_DEP_2) | instskip(SKIP_1) | instid1(VALU_DEP_2)
	v_add_f64_e32 v[8:9], v[6:7], v[67:68]
	s_wait_loadcnt 0x0
	v_add_f64_e64 v[6:7], v[89:90], -v[2:3]
	s_delay_alu instid0(VALU_DEP_2)
	v_add_f64_e64 v[8:9], v[91:92], -v[8:9]
	scratch_store_b128 off, v[6:9], off offset:144
	v_cmpx_lt_u32_e32 7, v0
	s_cbranch_execz .LBB25_155
; %bb.154:
	scratch_load_b128 v[6:9], off, s28
	v_dual_mov_b32 v2, v1 :: v_dual_mov_b32 v3, v1
	v_mov_b32_e32 v4, v1
	scratch_store_b128 off, v[1:4], off offset:128
	s_wait_loadcnt 0x0
	ds_store_b128 v5, v[6:9]
.LBB25_155:
	s_wait_alu 0xfffe
	s_or_b32 exec_lo, exec_lo, s0
	s_wait_storecnt_dscnt 0x0
	s_barrier_signal -1
	s_barrier_wait -1
	global_inv scope:SCOPE_SE
	s_clause 0x7
	scratch_load_b128 v[6:9], off, off offset:144
	scratch_load_b128 v[65:68], off, off offset:160
	;; [unrolled: 1-line block ×8, first 2 shown]
	ds_load_b128 v[93:96], v1 offset:544
	s_clause 0x1
	scratch_load_b128 v[97:100], off, off offset:272
	scratch_load_b128 v[101:104], off, off offset:288
	s_mov_b32 s0, exec_lo
	s_wait_loadcnt_dscnt 0x900
	v_mul_f64_e32 v[2:3], v[95:96], v[8:9]
	v_mul_f64_e32 v[105:106], v[93:94], v[8:9]
	ds_load_b128 v[8:11], v1 offset:560
	v_fma_f64 v[2:3], v[93:94], v[6:7], -v[2:3]
	v_fma_f64 v[6:7], v[95:96], v[6:7], v[105:106]
	scratch_load_b128 v[105:108], off, off offset:304
	ds_load_b128 v[93:96], v1 offset:576
	s_wait_loadcnt_dscnt 0x901
	v_mul_f64_e32 v[109:110], v[8:9], v[67:68]
	v_mul_f64_e32 v[67:68], v[10:11], v[67:68]
	s_wait_loadcnt_dscnt 0x800
	v_mul_f64_e32 v[111:112], v[93:94], v[71:72]
	v_mul_f64_e32 v[71:72], v[95:96], v[71:72]
	v_add_f64_e32 v[2:3], 0, v[2:3]
	v_add_f64_e32 v[113:114], 0, v[6:7]
	v_fma_f64 v[10:11], v[10:11], v[65:66], v[109:110]
	v_fma_f64 v[109:110], v[8:9], v[65:66], -v[67:68]
	ds_load_b128 v[6:9], v1 offset:592
	scratch_load_b128 v[65:68], off, off offset:320
	v_fma_f64 v[111:112], v[95:96], v[69:70], v[111:112]
	v_fma_f64 v[117:118], v[93:94], v[69:70], -v[71:72]
	ds_load_b128 v[69:72], v1 offset:608
	s_wait_loadcnt_dscnt 0x801
	v_mul_f64_e32 v[115:116], v[6:7], v[75:76]
	v_mul_f64_e32 v[75:76], v[8:9], v[75:76]
	scratch_load_b128 v[93:96], off, off offset:336
	v_add_f64_e32 v[10:11], v[113:114], v[10:11]
	v_add_f64_e32 v[2:3], v[2:3], v[109:110]
	s_wait_loadcnt_dscnt 0x800
	v_mul_f64_e32 v[109:110], v[69:70], v[79:80]
	v_mul_f64_e32 v[79:80], v[71:72], v[79:80]
	v_fma_f64 v[113:114], v[8:9], v[73:74], v[115:116]
	v_fma_f64 v[115:116], v[6:7], v[73:74], -v[75:76]
	ds_load_b128 v[6:9], v1 offset:624
	scratch_load_b128 v[73:76], off, off offset:352
	v_add_f64_e32 v[10:11], v[10:11], v[111:112]
	v_add_f64_e32 v[2:3], v[2:3], v[117:118]
	v_fma_f64 v[109:110], v[71:72], v[77:78], v[109:110]
	v_fma_f64 v[117:118], v[69:70], v[77:78], -v[79:80]
	ds_load_b128 v[69:72], v1 offset:640
	s_wait_loadcnt_dscnt 0x801
	v_mul_f64_e32 v[111:112], v[6:7], v[83:84]
	v_mul_f64_e32 v[83:84], v[8:9], v[83:84]
	scratch_load_b128 v[77:80], off, off offset:368
	v_add_f64_e32 v[10:11], v[10:11], v[113:114]
	v_add_f64_e32 v[2:3], v[2:3], v[115:116]
	s_wait_loadcnt_dscnt 0x800
	v_mul_f64_e32 v[113:114], v[69:70], v[87:88]
	v_mul_f64_e32 v[87:88], v[71:72], v[87:88]
	v_fma_f64 v[111:112], v[8:9], v[81:82], v[111:112]
	v_fma_f64 v[115:116], v[6:7], v[81:82], -v[83:84]
	ds_load_b128 v[6:9], v1 offset:656
	scratch_load_b128 v[81:84], off, off offset:384
	v_add_f64_e32 v[10:11], v[10:11], v[109:110]
	v_add_f64_e32 v[2:3], v[2:3], v[117:118]
	;; [unrolled: 18-line block ×3, first 2 shown]
	v_fma_f64 v[111:112], v[71:72], v[97:98], v[111:112]
	v_fma_f64 v[97:98], v[69:70], v[97:98], -v[99:100]
	ds_load_b128 v[69:72], v1 offset:704
	v_add_f64_e32 v[10:11], v[10:11], v[109:110]
	v_add_f64_e32 v[2:3], v[2:3], v[115:116]
	s_wait_loadcnt_dscnt 0x700
	v_mul_f64_e32 v[99:100], v[69:70], v[107:108]
	v_mul_f64_e32 v[107:108], v[71:72], v[107:108]
	s_delay_alu instid0(VALU_DEP_4) | instskip(NEXT) | instid1(VALU_DEP_4)
	v_add_f64_e32 v[10:11], v[10:11], v[111:112]
	v_add_f64_e32 v[2:3], v[2:3], v[97:98]
	s_delay_alu instid0(VALU_DEP_4) | instskip(SKIP_4) | instid1(VALU_DEP_3)
	v_fma_f64 v[71:72], v[71:72], v[105:106], v[99:100]
	scratch_load_b128 v[97:100], off, off offset:128
	v_mul_f64_e32 v[113:114], v[6:7], v[103:104]
	v_mul_f64_e32 v[103:104], v[8:9], v[103:104]
	v_fma_f64 v[105:106], v[69:70], v[105:106], -v[107:108]
	v_fma_f64 v[109:110], v[8:9], v[101:102], v[113:114]
	s_delay_alu instid0(VALU_DEP_3)
	v_fma_f64 v[101:102], v[6:7], v[101:102], -v[103:104]
	ds_load_b128 v[6:9], v1 offset:720
	s_wait_loadcnt_dscnt 0x700
	v_mul_f64_e32 v[103:104], v[6:7], v[67:68]
	v_mul_f64_e32 v[111:112], v[8:9], v[67:68]
	ds_load_b128 v[67:70], v1 offset:736
	v_add_f64_e32 v[10:11], v[10:11], v[109:110]
	v_add_f64_e32 v[2:3], v[2:3], v[101:102]
	v_fma_f64 v[103:104], v[8:9], v[65:66], v[103:104]
	v_fma_f64 v[65:66], v[6:7], v[65:66], -v[111:112]
	ds_load_b128 v[6:9], v1 offset:752
	s_wait_loadcnt_dscnt 0x601
	v_mul_f64_e32 v[101:102], v[67:68], v[95:96]
	v_mul_f64_e32 v[95:96], v[69:70], v[95:96]
	v_add_f64_e32 v[10:11], v[10:11], v[71:72]
	v_add_f64_e32 v[2:3], v[2:3], v[105:106]
	s_wait_loadcnt_dscnt 0x500
	v_mul_f64_e32 v[71:72], v[6:7], v[75:76]
	v_mul_f64_e32 v[75:76], v[8:9], v[75:76]
	v_fma_f64 v[69:70], v[69:70], v[93:94], v[101:102]
	v_fma_f64 v[93:94], v[67:68], v[93:94], -v[95:96]
	v_add_f64_e32 v[10:11], v[10:11], v[103:104]
	v_add_f64_e32 v[2:3], v[2:3], v[65:66]
	ds_load_b128 v[65:68], v1 offset:768
	v_fma_f64 v[71:72], v[8:9], v[73:74], v[71:72]
	v_fma_f64 v[73:74], v[6:7], v[73:74], -v[75:76]
	ds_load_b128 v[6:9], v1 offset:784
	s_wait_loadcnt_dscnt 0x401
	v_mul_f64_e32 v[95:96], v[65:66], v[79:80]
	v_mul_f64_e32 v[79:80], v[67:68], v[79:80]
	s_wait_loadcnt_dscnt 0x300
	v_mul_f64_e32 v[75:76], v[8:9], v[83:84]
	v_add_f64_e32 v[10:11], v[10:11], v[69:70]
	v_add_f64_e32 v[2:3], v[2:3], v[93:94]
	v_mul_f64_e32 v[69:70], v[6:7], v[83:84]
	v_fma_f64 v[83:84], v[67:68], v[77:78], v[95:96]
	v_fma_f64 v[77:78], v[65:66], v[77:78], -v[79:80]
	ds_load_b128 v[65:68], v1 offset:800
	v_fma_f64 v[6:7], v[6:7], v[81:82], -v[75:76]
	v_add_f64_e32 v[10:11], v[10:11], v[71:72]
	v_add_f64_e32 v[2:3], v[2:3], v[73:74]
	v_fma_f64 v[8:9], v[8:9], v[81:82], v[69:70]
	s_wait_loadcnt_dscnt 0x200
	v_mul_f64_e32 v[71:72], v[65:66], v[87:88]
	v_mul_f64_e32 v[73:74], v[67:68], v[87:88]
	v_add_f64_e32 v[10:11], v[10:11], v[83:84]
	v_add_f64_e32 v[69:70], v[2:3], v[77:78]
	ds_load_b128 v[1:4], v1 offset:816
	v_fma_f64 v[67:68], v[67:68], v[85:86], v[71:72]
	v_fma_f64 v[65:66], v[65:66], v[85:86], -v[73:74]
	s_wait_loadcnt_dscnt 0x100
	v_mul_f64_e32 v[75:76], v[1:2], v[91:92]
	v_mul_f64_e32 v[77:78], v[3:4], v[91:92]
	v_add_f64_e32 v[8:9], v[10:11], v[8:9]
	v_add_f64_e32 v[6:7], v[69:70], v[6:7]
	s_delay_alu instid0(VALU_DEP_4) | instskip(NEXT) | instid1(VALU_DEP_4)
	v_fma_f64 v[3:4], v[3:4], v[89:90], v[75:76]
	v_fma_f64 v[1:2], v[1:2], v[89:90], -v[77:78]
	s_delay_alu instid0(VALU_DEP_4) | instskip(NEXT) | instid1(VALU_DEP_4)
	v_add_f64_e32 v[8:9], v[8:9], v[67:68]
	v_add_f64_e32 v[6:7], v[6:7], v[65:66]
	s_delay_alu instid0(VALU_DEP_2) | instskip(NEXT) | instid1(VALU_DEP_2)
	v_add_f64_e32 v[3:4], v[8:9], v[3:4]
	v_add_f64_e32 v[1:2], v[6:7], v[1:2]
	s_wait_loadcnt 0x0
	s_delay_alu instid0(VALU_DEP_2) | instskip(NEXT) | instid1(VALU_DEP_2)
	v_add_f64_e64 v[3:4], v[99:100], -v[3:4]
	v_add_f64_e64 v[1:2], v[97:98], -v[1:2]
	scratch_store_b128 off, v[1:4], off offset:128
	v_cmpx_lt_u32_e32 6, v0
	s_cbranch_execz .LBB25_157
; %bb.156:
	scratch_load_b128 v[1:4], off, s33
	v_mov_b32_e32 v6, 0
	s_delay_alu instid0(VALU_DEP_1)
	v_dual_mov_b32 v7, v6 :: v_dual_mov_b32 v8, v6
	v_mov_b32_e32 v9, v6
	scratch_store_b128 off, v[6:9], off offset:112
	s_wait_loadcnt 0x0
	ds_store_b128 v5, v[1:4]
.LBB25_157:
	s_wait_alu 0xfffe
	s_or_b32 exec_lo, exec_lo, s0
	s_wait_storecnt_dscnt 0x0
	s_barrier_signal -1
	s_barrier_wait -1
	global_inv scope:SCOPE_SE
	s_clause 0x7
	scratch_load_b128 v[6:9], off, off offset:128
	scratch_load_b128 v[65:68], off, off offset:144
	;; [unrolled: 1-line block ×8, first 2 shown]
	v_mov_b32_e32 v1, 0
	s_clause 0x1
	scratch_load_b128 v[97:100], off, off offset:256
	scratch_load_b128 v[101:104], off, off offset:272
	s_mov_b32 s0, exec_lo
	ds_load_b128 v[93:96], v1 offset:528
	s_wait_loadcnt_dscnt 0x900
	v_mul_f64_e32 v[2:3], v[95:96], v[8:9]
	v_mul_f64_e32 v[105:106], v[93:94], v[8:9]
	ds_load_b128 v[8:11], v1 offset:544
	v_fma_f64 v[2:3], v[93:94], v[6:7], -v[2:3]
	v_fma_f64 v[6:7], v[95:96], v[6:7], v[105:106]
	ds_load_b128 v[93:96], v1 offset:560
	s_wait_loadcnt_dscnt 0x801
	v_mul_f64_e32 v[109:110], v[8:9], v[67:68]
	v_mul_f64_e32 v[67:68], v[10:11], v[67:68]
	scratch_load_b128 v[105:108], off, off offset:288
	s_wait_loadcnt_dscnt 0x800
	v_mul_f64_e32 v[111:112], v[93:94], v[71:72]
	v_mul_f64_e32 v[71:72], v[95:96], v[71:72]
	v_add_f64_e32 v[2:3], 0, v[2:3]
	v_add_f64_e32 v[113:114], 0, v[6:7]
	v_fma_f64 v[10:11], v[10:11], v[65:66], v[109:110]
	v_fma_f64 v[109:110], v[8:9], v[65:66], -v[67:68]
	ds_load_b128 v[6:9], v1 offset:576
	scratch_load_b128 v[65:68], off, off offset:304
	v_fma_f64 v[111:112], v[95:96], v[69:70], v[111:112]
	v_fma_f64 v[117:118], v[93:94], v[69:70], -v[71:72]
	ds_load_b128 v[69:72], v1 offset:592
	s_wait_loadcnt_dscnt 0x801
	v_mul_f64_e32 v[115:116], v[6:7], v[75:76]
	v_mul_f64_e32 v[75:76], v[8:9], v[75:76]
	scratch_load_b128 v[93:96], off, off offset:320
	v_add_f64_e32 v[10:11], v[113:114], v[10:11]
	v_add_f64_e32 v[2:3], v[2:3], v[109:110]
	s_wait_loadcnt_dscnt 0x800
	v_mul_f64_e32 v[109:110], v[69:70], v[79:80]
	v_mul_f64_e32 v[79:80], v[71:72], v[79:80]
	v_fma_f64 v[113:114], v[8:9], v[73:74], v[115:116]
	v_fma_f64 v[115:116], v[6:7], v[73:74], -v[75:76]
	ds_load_b128 v[6:9], v1 offset:608
	scratch_load_b128 v[73:76], off, off offset:336
	v_add_f64_e32 v[10:11], v[10:11], v[111:112]
	v_add_f64_e32 v[2:3], v[2:3], v[117:118]
	v_fma_f64 v[109:110], v[71:72], v[77:78], v[109:110]
	v_fma_f64 v[117:118], v[69:70], v[77:78], -v[79:80]
	ds_load_b128 v[69:72], v1 offset:624
	s_wait_loadcnt_dscnt 0x801
	v_mul_f64_e32 v[111:112], v[6:7], v[83:84]
	v_mul_f64_e32 v[83:84], v[8:9], v[83:84]
	scratch_load_b128 v[77:80], off, off offset:352
	v_add_f64_e32 v[10:11], v[10:11], v[113:114]
	v_add_f64_e32 v[2:3], v[2:3], v[115:116]
	s_wait_loadcnt_dscnt 0x800
	v_mul_f64_e32 v[113:114], v[69:70], v[87:88]
	v_mul_f64_e32 v[87:88], v[71:72], v[87:88]
	v_fma_f64 v[111:112], v[8:9], v[81:82], v[111:112]
	v_fma_f64 v[115:116], v[6:7], v[81:82], -v[83:84]
	ds_load_b128 v[6:9], v1 offset:640
	scratch_load_b128 v[81:84], off, off offset:368
	v_add_f64_e32 v[10:11], v[10:11], v[109:110]
	v_add_f64_e32 v[2:3], v[2:3], v[117:118]
	;; [unrolled: 18-line block ×3, first 2 shown]
	v_fma_f64 v[111:112], v[71:72], v[97:98], v[111:112]
	v_fma_f64 v[117:118], v[69:70], v[97:98], -v[99:100]
	ds_load_b128 v[69:72], v1 offset:688
	s_wait_loadcnt_dscnt 0x801
	v_mul_f64_e32 v[113:114], v[6:7], v[103:104]
	v_mul_f64_e32 v[103:104], v[8:9], v[103:104]
	scratch_load_b128 v[97:100], off, off offset:416
	v_add_f64_e32 v[10:11], v[10:11], v[109:110]
	v_add_f64_e32 v[2:3], v[2:3], v[115:116]
	v_fma_f64 v[113:114], v[8:9], v[101:102], v[113:114]
	v_fma_f64 v[101:102], v[6:7], v[101:102], -v[103:104]
	ds_load_b128 v[6:9], v1 offset:704
	s_wait_loadcnt_dscnt 0x801
	v_mul_f64_e32 v[109:110], v[69:70], v[107:108]
	v_mul_f64_e32 v[107:108], v[71:72], v[107:108]
	v_add_f64_e32 v[10:11], v[10:11], v[111:112]
	v_add_f64_e32 v[2:3], v[2:3], v[117:118]
	s_delay_alu instid0(VALU_DEP_4)
	v_fma_f64 v[71:72], v[71:72], v[105:106], v[109:110]
	s_wait_loadcnt_dscnt 0x700
	v_mul_f64_e32 v[103:104], v[6:7], v[67:68]
	v_mul_f64_e32 v[111:112], v[8:9], v[67:68]
	v_fma_f64 v[105:106], v[69:70], v[105:106], -v[107:108]
	ds_load_b128 v[67:70], v1 offset:720
	v_add_f64_e32 v[10:11], v[10:11], v[113:114]
	v_add_f64_e32 v[2:3], v[2:3], v[101:102]
	v_fma_f64 v[109:110], v[8:9], v[65:66], v[103:104]
	v_fma_f64 v[65:66], v[6:7], v[65:66], -v[111:112]
	ds_load_b128 v[6:9], v1 offset:736
	scratch_load_b128 v[101:104], off, off offset:112
	s_wait_loadcnt_dscnt 0x701
	v_mul_f64_e32 v[107:108], v[67:68], v[95:96]
	v_mul_f64_e32 v[95:96], v[69:70], v[95:96]
	v_add_f64_e32 v[10:11], v[10:11], v[71:72]
	v_add_f64_e32 v[2:3], v[2:3], v[105:106]
	s_wait_loadcnt_dscnt 0x600
	v_mul_f64_e32 v[71:72], v[6:7], v[75:76]
	v_mul_f64_e32 v[75:76], v[8:9], v[75:76]
	v_fma_f64 v[69:70], v[69:70], v[93:94], v[107:108]
	v_fma_f64 v[93:94], v[67:68], v[93:94], -v[95:96]
	v_add_f64_e32 v[10:11], v[10:11], v[109:110]
	v_add_f64_e32 v[2:3], v[2:3], v[65:66]
	ds_load_b128 v[65:68], v1 offset:752
	v_fma_f64 v[71:72], v[8:9], v[73:74], v[71:72]
	v_fma_f64 v[73:74], v[6:7], v[73:74], -v[75:76]
	ds_load_b128 v[6:9], v1 offset:768
	s_wait_loadcnt_dscnt 0x501
	v_mul_f64_e32 v[95:96], v[65:66], v[79:80]
	v_mul_f64_e32 v[79:80], v[67:68], v[79:80]
	s_wait_loadcnt_dscnt 0x400
	v_mul_f64_e32 v[75:76], v[8:9], v[83:84]
	v_add_f64_e32 v[10:11], v[10:11], v[69:70]
	v_add_f64_e32 v[2:3], v[2:3], v[93:94]
	v_mul_f64_e32 v[69:70], v[6:7], v[83:84]
	v_fma_f64 v[83:84], v[67:68], v[77:78], v[95:96]
	v_fma_f64 v[77:78], v[65:66], v[77:78], -v[79:80]
	ds_load_b128 v[65:68], v1 offset:784
	v_fma_f64 v[75:76], v[6:7], v[81:82], -v[75:76]
	v_add_f64_e32 v[10:11], v[10:11], v[71:72]
	v_add_f64_e32 v[2:3], v[2:3], v[73:74]
	v_fma_f64 v[69:70], v[8:9], v[81:82], v[69:70]
	ds_load_b128 v[6:9], v1 offset:800
	s_wait_loadcnt_dscnt 0x301
	v_mul_f64_e32 v[71:72], v[65:66], v[87:88]
	v_mul_f64_e32 v[73:74], v[67:68], v[87:88]
	s_wait_loadcnt_dscnt 0x200
	v_mul_f64_e32 v[79:80], v[8:9], v[91:92]
	v_add_f64_e32 v[10:11], v[10:11], v[83:84]
	v_add_f64_e32 v[2:3], v[2:3], v[77:78]
	v_mul_f64_e32 v[77:78], v[6:7], v[91:92]
	v_fma_f64 v[71:72], v[67:68], v[85:86], v[71:72]
	v_fma_f64 v[73:74], v[65:66], v[85:86], -v[73:74]
	ds_load_b128 v[65:68], v1 offset:816
	v_fma_f64 v[6:7], v[6:7], v[89:90], -v[79:80]
	v_add_f64_e32 v[10:11], v[10:11], v[69:70]
	v_add_f64_e32 v[2:3], v[2:3], v[75:76]
	s_wait_loadcnt_dscnt 0x100
	v_mul_f64_e32 v[69:70], v[65:66], v[99:100]
	v_mul_f64_e32 v[75:76], v[67:68], v[99:100]
	v_fma_f64 v[8:9], v[8:9], v[89:90], v[77:78]
	v_add_f64_e32 v[10:11], v[10:11], v[71:72]
	v_add_f64_e32 v[2:3], v[2:3], v[73:74]
	v_fma_f64 v[67:68], v[67:68], v[97:98], v[69:70]
	v_fma_f64 v[65:66], v[65:66], v[97:98], -v[75:76]
	s_delay_alu instid0(VALU_DEP_3) | instskip(SKIP_1) | instid1(VALU_DEP_2)
	v_add_f64_e32 v[2:3], v[2:3], v[6:7]
	v_add_f64_e32 v[6:7], v[10:11], v[8:9]
	;; [unrolled: 1-line block ×3, first 2 shown]
	s_delay_alu instid0(VALU_DEP_2) | instskip(SKIP_1) | instid1(VALU_DEP_2)
	v_add_f64_e32 v[8:9], v[6:7], v[67:68]
	s_wait_loadcnt 0x0
	v_add_f64_e64 v[6:7], v[101:102], -v[2:3]
	s_delay_alu instid0(VALU_DEP_2)
	v_add_f64_e64 v[8:9], v[103:104], -v[8:9]
	scratch_store_b128 off, v[6:9], off offset:112
	v_cmpx_lt_u32_e32 5, v0
	s_cbranch_execz .LBB25_159
; %bb.158:
	scratch_load_b128 v[6:9], off, s34
	v_dual_mov_b32 v2, v1 :: v_dual_mov_b32 v3, v1
	v_mov_b32_e32 v4, v1
	scratch_store_b128 off, v[1:4], off offset:96
	s_wait_loadcnt 0x0
	ds_store_b128 v5, v[6:9]
.LBB25_159:
	s_wait_alu 0xfffe
	s_or_b32 exec_lo, exec_lo, s0
	s_wait_storecnt_dscnt 0x0
	s_barrier_signal -1
	s_barrier_wait -1
	global_inv scope:SCOPE_SE
	s_clause 0x7
	scratch_load_b128 v[6:9], off, off offset:112
	scratch_load_b128 v[65:68], off, off offset:128
	;; [unrolled: 1-line block ×8, first 2 shown]
	ds_load_b128 v[93:96], v1 offset:512
	s_clause 0x1
	scratch_load_b128 v[97:100], off, off offset:240
	scratch_load_b128 v[101:104], off, off offset:256
	s_mov_b32 s0, exec_lo
	s_wait_loadcnt_dscnt 0x900
	v_mul_f64_e32 v[2:3], v[95:96], v[8:9]
	v_mul_f64_e32 v[105:106], v[93:94], v[8:9]
	ds_load_b128 v[8:11], v1 offset:528
	v_fma_f64 v[2:3], v[93:94], v[6:7], -v[2:3]
	v_fma_f64 v[6:7], v[95:96], v[6:7], v[105:106]
	ds_load_b128 v[93:96], v1 offset:544
	s_wait_loadcnt_dscnt 0x801
	v_mul_f64_e32 v[109:110], v[8:9], v[67:68]
	v_mul_f64_e32 v[67:68], v[10:11], v[67:68]
	scratch_load_b128 v[105:108], off, off offset:272
	s_wait_loadcnt_dscnt 0x800
	v_mul_f64_e32 v[111:112], v[93:94], v[71:72]
	v_mul_f64_e32 v[71:72], v[95:96], v[71:72]
	v_add_f64_e32 v[2:3], 0, v[2:3]
	v_add_f64_e32 v[113:114], 0, v[6:7]
	v_fma_f64 v[10:11], v[10:11], v[65:66], v[109:110]
	v_fma_f64 v[109:110], v[8:9], v[65:66], -v[67:68]
	ds_load_b128 v[6:9], v1 offset:560
	scratch_load_b128 v[65:68], off, off offset:288
	v_fma_f64 v[111:112], v[95:96], v[69:70], v[111:112]
	v_fma_f64 v[117:118], v[93:94], v[69:70], -v[71:72]
	ds_load_b128 v[69:72], v1 offset:576
	s_wait_loadcnt_dscnt 0x801
	v_mul_f64_e32 v[115:116], v[6:7], v[75:76]
	v_mul_f64_e32 v[75:76], v[8:9], v[75:76]
	scratch_load_b128 v[93:96], off, off offset:304
	v_add_f64_e32 v[10:11], v[113:114], v[10:11]
	v_add_f64_e32 v[2:3], v[2:3], v[109:110]
	s_wait_loadcnt_dscnt 0x800
	v_mul_f64_e32 v[109:110], v[69:70], v[79:80]
	v_mul_f64_e32 v[79:80], v[71:72], v[79:80]
	v_fma_f64 v[113:114], v[8:9], v[73:74], v[115:116]
	v_fma_f64 v[115:116], v[6:7], v[73:74], -v[75:76]
	ds_load_b128 v[6:9], v1 offset:592
	scratch_load_b128 v[73:76], off, off offset:320
	v_add_f64_e32 v[10:11], v[10:11], v[111:112]
	v_add_f64_e32 v[2:3], v[2:3], v[117:118]
	v_fma_f64 v[109:110], v[71:72], v[77:78], v[109:110]
	v_fma_f64 v[117:118], v[69:70], v[77:78], -v[79:80]
	ds_load_b128 v[69:72], v1 offset:608
	s_wait_loadcnt_dscnt 0x801
	v_mul_f64_e32 v[111:112], v[6:7], v[83:84]
	v_mul_f64_e32 v[83:84], v[8:9], v[83:84]
	scratch_load_b128 v[77:80], off, off offset:336
	v_add_f64_e32 v[10:11], v[10:11], v[113:114]
	v_add_f64_e32 v[2:3], v[2:3], v[115:116]
	s_wait_loadcnt_dscnt 0x800
	v_mul_f64_e32 v[113:114], v[69:70], v[87:88]
	v_mul_f64_e32 v[87:88], v[71:72], v[87:88]
	v_fma_f64 v[111:112], v[8:9], v[81:82], v[111:112]
	v_fma_f64 v[115:116], v[6:7], v[81:82], -v[83:84]
	ds_load_b128 v[6:9], v1 offset:624
	scratch_load_b128 v[81:84], off, off offset:352
	v_add_f64_e32 v[10:11], v[10:11], v[109:110]
	v_add_f64_e32 v[2:3], v[2:3], v[117:118]
	;; [unrolled: 18-line block ×3, first 2 shown]
	v_fma_f64 v[111:112], v[71:72], v[97:98], v[111:112]
	v_fma_f64 v[117:118], v[69:70], v[97:98], -v[99:100]
	ds_load_b128 v[69:72], v1 offset:672
	s_wait_loadcnt_dscnt 0x801
	v_mul_f64_e32 v[113:114], v[6:7], v[103:104]
	v_mul_f64_e32 v[103:104], v[8:9], v[103:104]
	scratch_load_b128 v[97:100], off, off offset:400
	v_add_f64_e32 v[10:11], v[10:11], v[109:110]
	v_add_f64_e32 v[2:3], v[2:3], v[115:116]
	v_fma_f64 v[113:114], v[8:9], v[101:102], v[113:114]
	v_fma_f64 v[115:116], v[6:7], v[101:102], -v[103:104]
	ds_load_b128 v[6:9], v1 offset:688
	scratch_load_b128 v[101:104], off, off offset:416
	s_wait_loadcnt_dscnt 0x901
	v_mul_f64_e32 v[109:110], v[69:70], v[107:108]
	v_mul_f64_e32 v[107:108], v[71:72], v[107:108]
	v_add_f64_e32 v[10:11], v[10:11], v[111:112]
	v_add_f64_e32 v[2:3], v[2:3], v[117:118]
	s_delay_alu instid0(VALU_DEP_4)
	v_fma_f64 v[71:72], v[71:72], v[105:106], v[109:110]
	s_wait_loadcnt_dscnt 0x800
	v_mul_f64_e32 v[111:112], v[6:7], v[67:68]
	v_mul_f64_e32 v[117:118], v[8:9], v[67:68]
	v_fma_f64 v[105:106], v[69:70], v[105:106], -v[107:108]
	ds_load_b128 v[67:70], v1 offset:704
	v_add_f64_e32 v[10:11], v[10:11], v[113:114]
	v_add_f64_e32 v[2:3], v[2:3], v[115:116]
	v_fma_f64 v[109:110], v[8:9], v[65:66], v[111:112]
	v_fma_f64 v[65:66], v[6:7], v[65:66], -v[117:118]
	ds_load_b128 v[6:9], v1 offset:720
	s_wait_loadcnt_dscnt 0x701
	v_mul_f64_e32 v[107:108], v[67:68], v[95:96]
	v_mul_f64_e32 v[95:96], v[69:70], v[95:96]
	v_add_f64_e32 v[10:11], v[10:11], v[71:72]
	v_add_f64_e32 v[2:3], v[2:3], v[105:106]
	s_delay_alu instid0(VALU_DEP_4) | instskip(NEXT) | instid1(VALU_DEP_4)
	v_fma_f64 v[107:108], v[69:70], v[93:94], v[107:108]
	v_fma_f64 v[93:94], v[67:68], v[93:94], -v[95:96]
	scratch_load_b128 v[69:72], off, off offset:96
	s_wait_loadcnt_dscnt 0x700
	v_mul_f64_e32 v[105:106], v[6:7], v[75:76]
	v_mul_f64_e32 v[75:76], v[8:9], v[75:76]
	v_add_f64_e32 v[10:11], v[10:11], v[109:110]
	v_add_f64_e32 v[2:3], v[2:3], v[65:66]
	ds_load_b128 v[65:68], v1 offset:736
	v_fma_f64 v[105:106], v[8:9], v[73:74], v[105:106]
	v_fma_f64 v[73:74], v[6:7], v[73:74], -v[75:76]
	ds_load_b128 v[6:9], v1 offset:752
	s_wait_loadcnt_dscnt 0x601
	v_mul_f64_e32 v[95:96], v[65:66], v[79:80]
	v_mul_f64_e32 v[79:80], v[67:68], v[79:80]
	v_add_f64_e32 v[10:11], v[10:11], v[107:108]
	v_add_f64_e32 v[2:3], v[2:3], v[93:94]
	s_wait_loadcnt_dscnt 0x500
	v_mul_f64_e32 v[75:76], v[6:7], v[83:84]
	v_mul_f64_e32 v[83:84], v[8:9], v[83:84]
	v_fma_f64 v[93:94], v[67:68], v[77:78], v[95:96]
	v_fma_f64 v[77:78], v[65:66], v[77:78], -v[79:80]
	ds_load_b128 v[65:68], v1 offset:768
	v_add_f64_e32 v[10:11], v[10:11], v[105:106]
	v_add_f64_e32 v[2:3], v[2:3], v[73:74]
	v_fma_f64 v[75:76], v[8:9], v[81:82], v[75:76]
	v_fma_f64 v[81:82], v[6:7], v[81:82], -v[83:84]
	ds_load_b128 v[6:9], v1 offset:784
	s_wait_loadcnt_dscnt 0x401
	v_mul_f64_e32 v[73:74], v[65:66], v[87:88]
	v_mul_f64_e32 v[79:80], v[67:68], v[87:88]
	s_wait_loadcnt_dscnt 0x300
	v_mul_f64_e32 v[83:84], v[8:9], v[91:92]
	v_add_f64_e32 v[10:11], v[10:11], v[93:94]
	v_add_f64_e32 v[2:3], v[2:3], v[77:78]
	v_mul_f64_e32 v[77:78], v[6:7], v[91:92]
	v_fma_f64 v[73:74], v[67:68], v[85:86], v[73:74]
	v_fma_f64 v[79:80], v[65:66], v[85:86], -v[79:80]
	ds_load_b128 v[65:68], v1 offset:800
	v_fma_f64 v[6:7], v[6:7], v[89:90], -v[83:84]
	v_add_f64_e32 v[10:11], v[10:11], v[75:76]
	v_add_f64_e32 v[2:3], v[2:3], v[81:82]
	s_wait_loadcnt_dscnt 0x200
	v_mul_f64_e32 v[75:76], v[65:66], v[99:100]
	v_mul_f64_e32 v[81:82], v[67:68], v[99:100]
	v_fma_f64 v[8:9], v[8:9], v[89:90], v[77:78]
	v_add_f64_e32 v[10:11], v[10:11], v[73:74]
	v_add_f64_e32 v[77:78], v[2:3], v[79:80]
	ds_load_b128 v[1:4], v1 offset:816
	v_fma_f64 v[67:68], v[67:68], v[97:98], v[75:76]
	v_fma_f64 v[65:66], v[65:66], v[97:98], -v[81:82]
	s_wait_loadcnt_dscnt 0x100
	v_mul_f64_e32 v[73:74], v[1:2], v[103:104]
	v_mul_f64_e32 v[79:80], v[3:4], v[103:104]
	v_add_f64_e32 v[8:9], v[10:11], v[8:9]
	v_add_f64_e32 v[6:7], v[77:78], v[6:7]
	s_delay_alu instid0(VALU_DEP_4) | instskip(NEXT) | instid1(VALU_DEP_4)
	v_fma_f64 v[3:4], v[3:4], v[101:102], v[73:74]
	v_fma_f64 v[1:2], v[1:2], v[101:102], -v[79:80]
	s_delay_alu instid0(VALU_DEP_4) | instskip(NEXT) | instid1(VALU_DEP_4)
	v_add_f64_e32 v[8:9], v[8:9], v[67:68]
	v_add_f64_e32 v[6:7], v[6:7], v[65:66]
	s_delay_alu instid0(VALU_DEP_2) | instskip(NEXT) | instid1(VALU_DEP_2)
	v_add_f64_e32 v[3:4], v[8:9], v[3:4]
	v_add_f64_e32 v[1:2], v[6:7], v[1:2]
	s_wait_loadcnt 0x0
	s_delay_alu instid0(VALU_DEP_2) | instskip(NEXT) | instid1(VALU_DEP_2)
	v_add_f64_e64 v[3:4], v[71:72], -v[3:4]
	v_add_f64_e64 v[1:2], v[69:70], -v[1:2]
	scratch_store_b128 off, v[1:4], off offset:96
	v_cmpx_lt_u32_e32 4, v0
	s_cbranch_execz .LBB25_161
; %bb.160:
	scratch_load_b128 v[1:4], off, s21
	v_mov_b32_e32 v6, 0
	s_delay_alu instid0(VALU_DEP_1)
	v_dual_mov_b32 v7, v6 :: v_dual_mov_b32 v8, v6
	v_mov_b32_e32 v9, v6
	scratch_store_b128 off, v[6:9], off offset:80
	s_wait_loadcnt 0x0
	ds_store_b128 v5, v[1:4]
.LBB25_161:
	s_wait_alu 0xfffe
	s_or_b32 exec_lo, exec_lo, s0
	s_wait_storecnt_dscnt 0x0
	s_barrier_signal -1
	s_barrier_wait -1
	global_inv scope:SCOPE_SE
	s_clause 0x7
	scratch_load_b128 v[6:9], off, off offset:96
	scratch_load_b128 v[65:68], off, off offset:112
	;; [unrolled: 1-line block ×8, first 2 shown]
	v_mov_b32_e32 v1, 0
	s_clause 0x1
	scratch_load_b128 v[97:100], off, off offset:224
	scratch_load_b128 v[101:104], off, off offset:240
	s_mov_b32 s0, exec_lo
	ds_load_b128 v[93:96], v1 offset:496
	s_wait_loadcnt_dscnt 0x900
	v_mul_f64_e32 v[2:3], v[95:96], v[8:9]
	v_mul_f64_e32 v[105:106], v[93:94], v[8:9]
	ds_load_b128 v[8:11], v1 offset:512
	v_fma_f64 v[2:3], v[93:94], v[6:7], -v[2:3]
	v_fma_f64 v[6:7], v[95:96], v[6:7], v[105:106]
	ds_load_b128 v[93:96], v1 offset:528
	s_wait_loadcnt_dscnt 0x801
	v_mul_f64_e32 v[109:110], v[8:9], v[67:68]
	v_mul_f64_e32 v[67:68], v[10:11], v[67:68]
	scratch_load_b128 v[105:108], off, off offset:256
	s_wait_loadcnt_dscnt 0x800
	v_mul_f64_e32 v[111:112], v[93:94], v[71:72]
	v_mul_f64_e32 v[71:72], v[95:96], v[71:72]
	v_add_f64_e32 v[2:3], 0, v[2:3]
	v_add_f64_e32 v[113:114], 0, v[6:7]
	v_fma_f64 v[10:11], v[10:11], v[65:66], v[109:110]
	v_fma_f64 v[109:110], v[8:9], v[65:66], -v[67:68]
	ds_load_b128 v[6:9], v1 offset:544
	scratch_load_b128 v[65:68], off, off offset:272
	v_fma_f64 v[111:112], v[95:96], v[69:70], v[111:112]
	v_fma_f64 v[117:118], v[93:94], v[69:70], -v[71:72]
	ds_load_b128 v[69:72], v1 offset:560
	s_wait_loadcnt_dscnt 0x801
	v_mul_f64_e32 v[115:116], v[6:7], v[75:76]
	v_mul_f64_e32 v[75:76], v[8:9], v[75:76]
	scratch_load_b128 v[93:96], off, off offset:288
	v_add_f64_e32 v[10:11], v[113:114], v[10:11]
	v_add_f64_e32 v[2:3], v[2:3], v[109:110]
	s_wait_loadcnt_dscnt 0x800
	v_mul_f64_e32 v[109:110], v[69:70], v[79:80]
	v_mul_f64_e32 v[79:80], v[71:72], v[79:80]
	v_fma_f64 v[113:114], v[8:9], v[73:74], v[115:116]
	v_fma_f64 v[115:116], v[6:7], v[73:74], -v[75:76]
	ds_load_b128 v[6:9], v1 offset:576
	scratch_load_b128 v[73:76], off, off offset:304
	v_add_f64_e32 v[10:11], v[10:11], v[111:112]
	v_add_f64_e32 v[2:3], v[2:3], v[117:118]
	v_fma_f64 v[109:110], v[71:72], v[77:78], v[109:110]
	v_fma_f64 v[117:118], v[69:70], v[77:78], -v[79:80]
	ds_load_b128 v[69:72], v1 offset:592
	s_wait_loadcnt_dscnt 0x801
	v_mul_f64_e32 v[111:112], v[6:7], v[83:84]
	v_mul_f64_e32 v[83:84], v[8:9], v[83:84]
	scratch_load_b128 v[77:80], off, off offset:320
	v_add_f64_e32 v[10:11], v[10:11], v[113:114]
	v_add_f64_e32 v[2:3], v[2:3], v[115:116]
	s_wait_loadcnt_dscnt 0x800
	v_mul_f64_e32 v[113:114], v[69:70], v[87:88]
	v_mul_f64_e32 v[87:88], v[71:72], v[87:88]
	v_fma_f64 v[111:112], v[8:9], v[81:82], v[111:112]
	v_fma_f64 v[115:116], v[6:7], v[81:82], -v[83:84]
	ds_load_b128 v[6:9], v1 offset:608
	scratch_load_b128 v[81:84], off, off offset:336
	v_add_f64_e32 v[10:11], v[10:11], v[109:110]
	v_add_f64_e32 v[2:3], v[2:3], v[117:118]
	;; [unrolled: 18-line block ×3, first 2 shown]
	v_fma_f64 v[111:112], v[71:72], v[97:98], v[111:112]
	v_fma_f64 v[117:118], v[69:70], v[97:98], -v[99:100]
	ds_load_b128 v[69:72], v1 offset:656
	s_wait_loadcnt_dscnt 0x801
	v_mul_f64_e32 v[113:114], v[6:7], v[103:104]
	v_mul_f64_e32 v[103:104], v[8:9], v[103:104]
	scratch_load_b128 v[97:100], off, off offset:384
	v_add_f64_e32 v[10:11], v[10:11], v[109:110]
	v_add_f64_e32 v[2:3], v[2:3], v[115:116]
	v_fma_f64 v[113:114], v[8:9], v[101:102], v[113:114]
	v_fma_f64 v[115:116], v[6:7], v[101:102], -v[103:104]
	ds_load_b128 v[6:9], v1 offset:672
	scratch_load_b128 v[101:104], off, off offset:400
	s_wait_loadcnt_dscnt 0x901
	v_mul_f64_e32 v[109:110], v[69:70], v[107:108]
	v_mul_f64_e32 v[107:108], v[71:72], v[107:108]
	v_add_f64_e32 v[10:11], v[10:11], v[111:112]
	v_add_f64_e32 v[2:3], v[2:3], v[117:118]
	s_delay_alu instid0(VALU_DEP_4)
	v_fma_f64 v[71:72], v[71:72], v[105:106], v[109:110]
	s_wait_loadcnt_dscnt 0x800
	v_mul_f64_e32 v[111:112], v[6:7], v[67:68]
	v_mul_f64_e32 v[117:118], v[8:9], v[67:68]
	v_fma_f64 v[109:110], v[69:70], v[105:106], -v[107:108]
	ds_load_b128 v[67:70], v1 offset:688
	scratch_load_b128 v[105:108], off, off offset:416
	v_add_f64_e32 v[10:11], v[10:11], v[113:114]
	v_add_f64_e32 v[2:3], v[2:3], v[115:116]
	v_fma_f64 v[111:112], v[8:9], v[65:66], v[111:112]
	v_fma_f64 v[65:66], v[6:7], v[65:66], -v[117:118]
	ds_load_b128 v[6:9], v1 offset:704
	s_wait_loadcnt_dscnt 0x801
	v_mul_f64_e32 v[113:114], v[67:68], v[95:96]
	v_mul_f64_e32 v[95:96], v[69:70], v[95:96]
	v_add_f64_e32 v[10:11], v[10:11], v[71:72]
	v_add_f64_e32 v[2:3], v[2:3], v[109:110]
	s_wait_loadcnt_dscnt 0x700
	v_mul_f64_e32 v[71:72], v[6:7], v[75:76]
	v_mul_f64_e32 v[75:76], v[8:9], v[75:76]
	v_fma_f64 v[69:70], v[69:70], v[93:94], v[113:114]
	v_fma_f64 v[93:94], v[67:68], v[93:94], -v[95:96]
	v_add_f64_e32 v[10:11], v[10:11], v[111:112]
	v_add_f64_e32 v[2:3], v[2:3], v[65:66]
	ds_load_b128 v[65:68], v1 offset:720
	v_fma_f64 v[109:110], v[8:9], v[73:74], v[71:72]
	v_fma_f64 v[73:74], v[6:7], v[73:74], -v[75:76]
	ds_load_b128 v[6:9], v1 offset:736
	s_wait_loadcnt_dscnt 0x500
	v_mul_f64_e32 v[75:76], v[6:7], v[83:84]
	v_mul_f64_e32 v[83:84], v[8:9], v[83:84]
	v_add_f64_e32 v[10:11], v[10:11], v[69:70]
	v_add_f64_e32 v[2:3], v[2:3], v[93:94]
	scratch_load_b128 v[69:72], off, off offset:80
	v_mul_f64_e32 v[95:96], v[65:66], v[79:80]
	v_mul_f64_e32 v[79:80], v[67:68], v[79:80]
	v_fma_f64 v[75:76], v[8:9], v[81:82], v[75:76]
	v_fma_f64 v[81:82], v[6:7], v[81:82], -v[83:84]
	ds_load_b128 v[6:9], v1 offset:768
	v_add_f64_e32 v[10:11], v[10:11], v[109:110]
	v_add_f64_e32 v[2:3], v[2:3], v[73:74]
	v_fma_f64 v[93:94], v[67:68], v[77:78], v[95:96]
	v_fma_f64 v[77:78], v[65:66], v[77:78], -v[79:80]
	ds_load_b128 v[65:68], v1 offset:752
	s_wait_loadcnt_dscnt 0x401
	v_mul_f64_e32 v[83:84], v[8:9], v[91:92]
	s_wait_dscnt 0x0
	v_mul_f64_e32 v[73:74], v[65:66], v[87:88]
	v_mul_f64_e32 v[79:80], v[67:68], v[87:88]
	v_add_f64_e32 v[10:11], v[10:11], v[93:94]
	v_add_f64_e32 v[2:3], v[2:3], v[77:78]
	v_mul_f64_e32 v[77:78], v[6:7], v[91:92]
	v_fma_f64 v[83:84], v[6:7], v[89:90], -v[83:84]
	v_fma_f64 v[73:74], v[67:68], v[85:86], v[73:74]
	v_fma_f64 v[79:80], v[65:66], v[85:86], -v[79:80]
	ds_load_b128 v[65:68], v1 offset:784
	v_add_f64_e32 v[10:11], v[10:11], v[75:76]
	v_add_f64_e32 v[2:3], v[2:3], v[81:82]
	v_fma_f64 v[77:78], v[8:9], v[89:90], v[77:78]
	ds_load_b128 v[6:9], v1 offset:800
	s_wait_loadcnt_dscnt 0x301
	v_mul_f64_e32 v[75:76], v[65:66], v[99:100]
	v_mul_f64_e32 v[81:82], v[67:68], v[99:100]
	v_add_f64_e32 v[10:11], v[10:11], v[73:74]
	v_add_f64_e32 v[2:3], v[2:3], v[79:80]
	s_wait_loadcnt_dscnt 0x200
	v_mul_f64_e32 v[73:74], v[6:7], v[103:104]
	v_mul_f64_e32 v[79:80], v[8:9], v[103:104]
	v_fma_f64 v[75:76], v[67:68], v[97:98], v[75:76]
	v_fma_f64 v[81:82], v[65:66], v[97:98], -v[81:82]
	ds_load_b128 v[65:68], v1 offset:816
	v_add_f64_e32 v[10:11], v[10:11], v[77:78]
	v_add_f64_e32 v[2:3], v[2:3], v[83:84]
	s_wait_loadcnt_dscnt 0x100
	v_mul_f64_e32 v[77:78], v[65:66], v[107:108]
	v_mul_f64_e32 v[83:84], v[67:68], v[107:108]
	v_fma_f64 v[8:9], v[8:9], v[101:102], v[73:74]
	v_fma_f64 v[6:7], v[6:7], v[101:102], -v[79:80]
	v_add_f64_e32 v[10:11], v[10:11], v[75:76]
	v_add_f64_e32 v[2:3], v[2:3], v[81:82]
	v_fma_f64 v[67:68], v[67:68], v[105:106], v[77:78]
	v_fma_f64 v[65:66], v[65:66], v[105:106], -v[83:84]
	s_delay_alu instid0(VALU_DEP_3) | instskip(SKIP_1) | instid1(VALU_DEP_2)
	v_add_f64_e32 v[2:3], v[2:3], v[6:7]
	v_add_f64_e32 v[6:7], v[10:11], v[8:9]
	;; [unrolled: 1-line block ×3, first 2 shown]
	s_delay_alu instid0(VALU_DEP_2) | instskip(SKIP_1) | instid1(VALU_DEP_2)
	v_add_f64_e32 v[8:9], v[6:7], v[67:68]
	s_wait_loadcnt 0x0
	v_add_f64_e64 v[6:7], v[69:70], -v[2:3]
	s_delay_alu instid0(VALU_DEP_2)
	v_add_f64_e64 v[8:9], v[71:72], -v[8:9]
	scratch_store_b128 off, v[6:9], off offset:80
	v_cmpx_lt_u32_e32 3, v0
	s_cbranch_execz .LBB25_163
; %bb.162:
	scratch_load_b128 v[6:9], off, s22
	v_dual_mov_b32 v2, v1 :: v_dual_mov_b32 v3, v1
	v_mov_b32_e32 v4, v1
	scratch_store_b128 off, v[1:4], off offset:64
	s_wait_loadcnt 0x0
	ds_store_b128 v5, v[6:9]
.LBB25_163:
	s_wait_alu 0xfffe
	s_or_b32 exec_lo, exec_lo, s0
	s_wait_storecnt_dscnt 0x0
	s_barrier_signal -1
	s_barrier_wait -1
	global_inv scope:SCOPE_SE
	s_clause 0x7
	scratch_load_b128 v[6:9], off, off offset:80
	scratch_load_b128 v[65:68], off, off offset:96
	;; [unrolled: 1-line block ×8, first 2 shown]
	ds_load_b128 v[93:96], v1 offset:480
	s_clause 0x1
	scratch_load_b128 v[97:100], off, off offset:208
	scratch_load_b128 v[101:104], off, off offset:224
	s_mov_b32 s0, exec_lo
	s_wait_loadcnt_dscnt 0x900
	v_mul_f64_e32 v[2:3], v[95:96], v[8:9]
	v_mul_f64_e32 v[105:106], v[93:94], v[8:9]
	ds_load_b128 v[8:11], v1 offset:496
	v_fma_f64 v[2:3], v[93:94], v[6:7], -v[2:3]
	v_fma_f64 v[6:7], v[95:96], v[6:7], v[105:106]
	ds_load_b128 v[93:96], v1 offset:512
	s_wait_loadcnt_dscnt 0x801
	v_mul_f64_e32 v[109:110], v[8:9], v[67:68]
	v_mul_f64_e32 v[67:68], v[10:11], v[67:68]
	scratch_load_b128 v[105:108], off, off offset:240
	s_wait_loadcnt_dscnt 0x800
	v_mul_f64_e32 v[111:112], v[93:94], v[71:72]
	v_mul_f64_e32 v[71:72], v[95:96], v[71:72]
	v_add_f64_e32 v[2:3], 0, v[2:3]
	v_add_f64_e32 v[113:114], 0, v[6:7]
	v_fma_f64 v[10:11], v[10:11], v[65:66], v[109:110]
	v_fma_f64 v[109:110], v[8:9], v[65:66], -v[67:68]
	ds_load_b128 v[6:9], v1 offset:528
	scratch_load_b128 v[65:68], off, off offset:256
	v_fma_f64 v[111:112], v[95:96], v[69:70], v[111:112]
	v_fma_f64 v[117:118], v[93:94], v[69:70], -v[71:72]
	ds_load_b128 v[69:72], v1 offset:544
	s_wait_loadcnt_dscnt 0x801
	v_mul_f64_e32 v[115:116], v[6:7], v[75:76]
	v_mul_f64_e32 v[75:76], v[8:9], v[75:76]
	scratch_load_b128 v[93:96], off, off offset:272
	v_add_f64_e32 v[10:11], v[113:114], v[10:11]
	v_add_f64_e32 v[2:3], v[2:3], v[109:110]
	s_wait_loadcnt_dscnt 0x800
	v_mul_f64_e32 v[109:110], v[69:70], v[79:80]
	v_mul_f64_e32 v[79:80], v[71:72], v[79:80]
	v_fma_f64 v[113:114], v[8:9], v[73:74], v[115:116]
	v_fma_f64 v[115:116], v[6:7], v[73:74], -v[75:76]
	ds_load_b128 v[6:9], v1 offset:560
	scratch_load_b128 v[73:76], off, off offset:288
	v_add_f64_e32 v[10:11], v[10:11], v[111:112]
	v_add_f64_e32 v[2:3], v[2:3], v[117:118]
	v_fma_f64 v[109:110], v[71:72], v[77:78], v[109:110]
	v_fma_f64 v[117:118], v[69:70], v[77:78], -v[79:80]
	ds_load_b128 v[69:72], v1 offset:576
	s_wait_loadcnt_dscnt 0x801
	v_mul_f64_e32 v[111:112], v[6:7], v[83:84]
	v_mul_f64_e32 v[83:84], v[8:9], v[83:84]
	scratch_load_b128 v[77:80], off, off offset:304
	v_add_f64_e32 v[10:11], v[10:11], v[113:114]
	v_add_f64_e32 v[2:3], v[2:3], v[115:116]
	s_wait_loadcnt_dscnt 0x800
	v_mul_f64_e32 v[113:114], v[69:70], v[87:88]
	v_mul_f64_e32 v[87:88], v[71:72], v[87:88]
	v_fma_f64 v[111:112], v[8:9], v[81:82], v[111:112]
	v_fma_f64 v[115:116], v[6:7], v[81:82], -v[83:84]
	ds_load_b128 v[6:9], v1 offset:592
	scratch_load_b128 v[81:84], off, off offset:320
	v_add_f64_e32 v[10:11], v[10:11], v[109:110]
	v_add_f64_e32 v[2:3], v[2:3], v[117:118]
	;; [unrolled: 18-line block ×3, first 2 shown]
	v_fma_f64 v[111:112], v[71:72], v[97:98], v[111:112]
	v_fma_f64 v[117:118], v[69:70], v[97:98], -v[99:100]
	ds_load_b128 v[69:72], v1 offset:640
	s_wait_loadcnt_dscnt 0x801
	v_mul_f64_e32 v[113:114], v[6:7], v[103:104]
	v_mul_f64_e32 v[103:104], v[8:9], v[103:104]
	scratch_load_b128 v[97:100], off, off offset:368
	v_add_f64_e32 v[10:11], v[10:11], v[109:110]
	v_add_f64_e32 v[2:3], v[2:3], v[115:116]
	v_fma_f64 v[113:114], v[8:9], v[101:102], v[113:114]
	v_fma_f64 v[115:116], v[6:7], v[101:102], -v[103:104]
	ds_load_b128 v[6:9], v1 offset:656
	scratch_load_b128 v[101:104], off, off offset:384
	s_wait_loadcnt_dscnt 0x901
	v_mul_f64_e32 v[109:110], v[69:70], v[107:108]
	v_mul_f64_e32 v[107:108], v[71:72], v[107:108]
	v_add_f64_e32 v[10:11], v[10:11], v[111:112]
	v_add_f64_e32 v[2:3], v[2:3], v[117:118]
	s_delay_alu instid0(VALU_DEP_4)
	v_fma_f64 v[71:72], v[71:72], v[105:106], v[109:110]
	s_wait_loadcnt_dscnt 0x800
	v_mul_f64_e32 v[111:112], v[6:7], v[67:68]
	v_mul_f64_e32 v[117:118], v[8:9], v[67:68]
	v_fma_f64 v[109:110], v[69:70], v[105:106], -v[107:108]
	ds_load_b128 v[67:70], v1 offset:672
	scratch_load_b128 v[105:108], off, off offset:400
	v_add_f64_e32 v[10:11], v[10:11], v[113:114]
	v_add_f64_e32 v[2:3], v[2:3], v[115:116]
	v_fma_f64 v[115:116], v[8:9], v[65:66], v[111:112]
	v_fma_f64 v[65:66], v[6:7], v[65:66], -v[117:118]
	ds_load_b128 v[6:9], v1 offset:688
	s_wait_loadcnt_dscnt 0x801
	v_mul_f64_e32 v[113:114], v[67:68], v[95:96]
	v_mul_f64_e32 v[95:96], v[69:70], v[95:96]
	v_add_f64_e32 v[10:11], v[10:11], v[71:72]
	v_add_f64_e32 v[2:3], v[2:3], v[109:110]
	scratch_load_b128 v[109:112], off, off offset:416
	s_wait_loadcnt_dscnt 0x800
	v_mul_f64_e32 v[71:72], v[6:7], v[75:76]
	v_mul_f64_e32 v[75:76], v[8:9], v[75:76]
	v_fma_f64 v[69:70], v[69:70], v[93:94], v[113:114]
	v_fma_f64 v[93:94], v[67:68], v[93:94], -v[95:96]
	v_add_f64_e32 v[10:11], v[10:11], v[115:116]
	v_add_f64_e32 v[2:3], v[2:3], v[65:66]
	ds_load_b128 v[65:68], v1 offset:704
	v_fma_f64 v[71:72], v[8:9], v[73:74], v[71:72]
	v_fma_f64 v[73:74], v[6:7], v[73:74], -v[75:76]
	ds_load_b128 v[6:9], v1 offset:720
	s_wait_loadcnt_dscnt 0x600
	v_mul_f64_e32 v[75:76], v[6:7], v[83:84]
	v_mul_f64_e32 v[83:84], v[8:9], v[83:84]
	v_add_f64_e32 v[10:11], v[10:11], v[69:70]
	v_add_f64_e32 v[2:3], v[2:3], v[93:94]
	s_delay_alu instid0(VALU_DEP_4) | instskip(NEXT) | instid1(VALU_DEP_4)
	v_fma_f64 v[75:76], v[8:9], v[81:82], v[75:76]
	v_fma_f64 v[81:82], v[6:7], v[81:82], -v[83:84]
	ds_load_b128 v[6:9], v1 offset:752
	v_add_f64_e32 v[10:11], v[10:11], v[71:72]
	scratch_load_b128 v[69:72], off, off offset:64
	v_mul_f64_e32 v[95:96], v[65:66], v[79:80]
	v_mul_f64_e32 v[79:80], v[67:68], v[79:80]
	v_add_f64_e32 v[2:3], v[2:3], v[73:74]
	s_wait_loadcnt_dscnt 0x500
	v_mul_f64_e32 v[83:84], v[8:9], v[91:92]
	s_delay_alu instid0(VALU_DEP_4) | instskip(NEXT) | instid1(VALU_DEP_4)
	v_fma_f64 v[93:94], v[67:68], v[77:78], v[95:96]
	v_fma_f64 v[77:78], v[65:66], v[77:78], -v[79:80]
	ds_load_b128 v[65:68], v1 offset:736
	s_wait_dscnt 0x0
	v_mul_f64_e32 v[73:74], v[65:66], v[87:88]
	v_mul_f64_e32 v[79:80], v[67:68], v[87:88]
	v_fma_f64 v[83:84], v[6:7], v[89:90], -v[83:84]
	v_add_f64_e32 v[10:11], v[10:11], v[93:94]
	v_add_f64_e32 v[2:3], v[2:3], v[77:78]
	v_mul_f64_e32 v[77:78], v[6:7], v[91:92]
	v_fma_f64 v[73:74], v[67:68], v[85:86], v[73:74]
	v_fma_f64 v[79:80], v[65:66], v[85:86], -v[79:80]
	ds_load_b128 v[65:68], v1 offset:768
	v_add_f64_e32 v[10:11], v[10:11], v[75:76]
	v_add_f64_e32 v[2:3], v[2:3], v[81:82]
	v_fma_f64 v[77:78], v[8:9], v[89:90], v[77:78]
	ds_load_b128 v[6:9], v1 offset:784
	s_wait_loadcnt_dscnt 0x401
	v_mul_f64_e32 v[75:76], v[65:66], v[99:100]
	v_mul_f64_e32 v[81:82], v[67:68], v[99:100]
	v_add_f64_e32 v[10:11], v[10:11], v[73:74]
	v_add_f64_e32 v[2:3], v[2:3], v[79:80]
	s_wait_loadcnt_dscnt 0x300
	v_mul_f64_e32 v[73:74], v[6:7], v[103:104]
	v_mul_f64_e32 v[79:80], v[8:9], v[103:104]
	v_fma_f64 v[75:76], v[67:68], v[97:98], v[75:76]
	v_fma_f64 v[81:82], v[65:66], v[97:98], -v[81:82]
	ds_load_b128 v[65:68], v1 offset:800
	v_add_f64_e32 v[10:11], v[10:11], v[77:78]
	v_add_f64_e32 v[2:3], v[2:3], v[83:84]
	s_wait_loadcnt_dscnt 0x200
	v_mul_f64_e32 v[77:78], v[65:66], v[107:108]
	v_mul_f64_e32 v[83:84], v[67:68], v[107:108]
	v_fma_f64 v[8:9], v[8:9], v[101:102], v[73:74]
	v_fma_f64 v[6:7], v[6:7], v[101:102], -v[79:80]
	v_add_f64_e32 v[10:11], v[10:11], v[75:76]
	v_add_f64_e32 v[73:74], v[2:3], v[81:82]
	ds_load_b128 v[1:4], v1 offset:816
	v_fma_f64 v[67:68], v[67:68], v[105:106], v[77:78]
	v_fma_f64 v[65:66], v[65:66], v[105:106], -v[83:84]
	s_wait_loadcnt_dscnt 0x100
	v_mul_f64_e32 v[75:76], v[1:2], v[111:112]
	v_mul_f64_e32 v[79:80], v[3:4], v[111:112]
	v_add_f64_e32 v[8:9], v[10:11], v[8:9]
	v_add_f64_e32 v[6:7], v[73:74], v[6:7]
	s_delay_alu instid0(VALU_DEP_4) | instskip(NEXT) | instid1(VALU_DEP_4)
	v_fma_f64 v[3:4], v[3:4], v[109:110], v[75:76]
	v_fma_f64 v[1:2], v[1:2], v[109:110], -v[79:80]
	s_delay_alu instid0(VALU_DEP_4) | instskip(NEXT) | instid1(VALU_DEP_4)
	v_add_f64_e32 v[8:9], v[8:9], v[67:68]
	v_add_f64_e32 v[6:7], v[6:7], v[65:66]
	s_delay_alu instid0(VALU_DEP_2) | instskip(NEXT) | instid1(VALU_DEP_2)
	v_add_f64_e32 v[3:4], v[8:9], v[3:4]
	v_add_f64_e32 v[1:2], v[6:7], v[1:2]
	s_wait_loadcnt 0x0
	s_delay_alu instid0(VALU_DEP_2) | instskip(NEXT) | instid1(VALU_DEP_2)
	v_add_f64_e64 v[3:4], v[71:72], -v[3:4]
	v_add_f64_e64 v[1:2], v[69:70], -v[1:2]
	scratch_store_b128 off, v[1:4], off offset:64
	v_cmpx_lt_u32_e32 2, v0
	s_cbranch_execz .LBB25_165
; %bb.164:
	scratch_load_b128 v[1:4], off, s23
	v_mov_b32_e32 v6, 0
	s_delay_alu instid0(VALU_DEP_1)
	v_dual_mov_b32 v7, v6 :: v_dual_mov_b32 v8, v6
	v_mov_b32_e32 v9, v6
	scratch_store_b128 off, v[6:9], off offset:48
	s_wait_loadcnt 0x0
	ds_store_b128 v5, v[1:4]
.LBB25_165:
	s_wait_alu 0xfffe
	s_or_b32 exec_lo, exec_lo, s0
	s_wait_storecnt_dscnt 0x0
	s_barrier_signal -1
	s_barrier_wait -1
	global_inv scope:SCOPE_SE
	s_clause 0x7
	scratch_load_b128 v[6:9], off, off offset:64
	scratch_load_b128 v[65:68], off, off offset:80
	;; [unrolled: 1-line block ×8, first 2 shown]
	v_mov_b32_e32 v1, 0
	s_clause 0x1
	scratch_load_b128 v[97:100], off, off offset:192
	scratch_load_b128 v[101:104], off, off offset:208
	s_mov_b32 s0, exec_lo
	ds_load_b128 v[93:96], v1 offset:464
	s_wait_loadcnt_dscnt 0x900
	v_mul_f64_e32 v[2:3], v[95:96], v[8:9]
	v_mul_f64_e32 v[105:106], v[93:94], v[8:9]
	ds_load_b128 v[8:11], v1 offset:480
	v_fma_f64 v[2:3], v[93:94], v[6:7], -v[2:3]
	v_fma_f64 v[6:7], v[95:96], v[6:7], v[105:106]
	ds_load_b128 v[93:96], v1 offset:496
	s_wait_loadcnt_dscnt 0x801
	v_mul_f64_e32 v[109:110], v[8:9], v[67:68]
	v_mul_f64_e32 v[67:68], v[10:11], v[67:68]
	scratch_load_b128 v[105:108], off, off offset:224
	s_wait_loadcnt_dscnt 0x800
	v_mul_f64_e32 v[111:112], v[93:94], v[71:72]
	v_mul_f64_e32 v[71:72], v[95:96], v[71:72]
	v_add_f64_e32 v[2:3], 0, v[2:3]
	v_add_f64_e32 v[113:114], 0, v[6:7]
	v_fma_f64 v[10:11], v[10:11], v[65:66], v[109:110]
	v_fma_f64 v[109:110], v[8:9], v[65:66], -v[67:68]
	ds_load_b128 v[6:9], v1 offset:512
	scratch_load_b128 v[65:68], off, off offset:240
	v_fma_f64 v[111:112], v[95:96], v[69:70], v[111:112]
	v_fma_f64 v[117:118], v[93:94], v[69:70], -v[71:72]
	ds_load_b128 v[69:72], v1 offset:528
	s_wait_loadcnt_dscnt 0x801
	v_mul_f64_e32 v[115:116], v[6:7], v[75:76]
	v_mul_f64_e32 v[75:76], v[8:9], v[75:76]
	scratch_load_b128 v[93:96], off, off offset:256
	v_add_f64_e32 v[10:11], v[113:114], v[10:11]
	v_add_f64_e32 v[2:3], v[2:3], v[109:110]
	s_wait_loadcnt_dscnt 0x800
	v_mul_f64_e32 v[109:110], v[69:70], v[79:80]
	v_mul_f64_e32 v[79:80], v[71:72], v[79:80]
	v_fma_f64 v[113:114], v[8:9], v[73:74], v[115:116]
	v_fma_f64 v[115:116], v[6:7], v[73:74], -v[75:76]
	ds_load_b128 v[6:9], v1 offset:544
	scratch_load_b128 v[73:76], off, off offset:272
	v_add_f64_e32 v[10:11], v[10:11], v[111:112]
	v_add_f64_e32 v[2:3], v[2:3], v[117:118]
	v_fma_f64 v[109:110], v[71:72], v[77:78], v[109:110]
	v_fma_f64 v[117:118], v[69:70], v[77:78], -v[79:80]
	ds_load_b128 v[69:72], v1 offset:560
	s_wait_loadcnt_dscnt 0x801
	v_mul_f64_e32 v[111:112], v[6:7], v[83:84]
	v_mul_f64_e32 v[83:84], v[8:9], v[83:84]
	scratch_load_b128 v[77:80], off, off offset:288
	v_add_f64_e32 v[10:11], v[10:11], v[113:114]
	v_add_f64_e32 v[2:3], v[2:3], v[115:116]
	s_wait_loadcnt_dscnt 0x800
	v_mul_f64_e32 v[113:114], v[69:70], v[87:88]
	v_mul_f64_e32 v[87:88], v[71:72], v[87:88]
	v_fma_f64 v[111:112], v[8:9], v[81:82], v[111:112]
	v_fma_f64 v[115:116], v[6:7], v[81:82], -v[83:84]
	ds_load_b128 v[6:9], v1 offset:576
	scratch_load_b128 v[81:84], off, off offset:304
	v_add_f64_e32 v[10:11], v[10:11], v[109:110]
	v_add_f64_e32 v[2:3], v[2:3], v[117:118]
	;; [unrolled: 18-line block ×3, first 2 shown]
	v_fma_f64 v[111:112], v[71:72], v[97:98], v[111:112]
	v_fma_f64 v[117:118], v[69:70], v[97:98], -v[99:100]
	ds_load_b128 v[69:72], v1 offset:624
	s_wait_loadcnt_dscnt 0x801
	v_mul_f64_e32 v[113:114], v[6:7], v[103:104]
	v_mul_f64_e32 v[103:104], v[8:9], v[103:104]
	scratch_load_b128 v[97:100], off, off offset:352
	v_add_f64_e32 v[10:11], v[10:11], v[109:110]
	v_add_f64_e32 v[2:3], v[2:3], v[115:116]
	v_fma_f64 v[113:114], v[8:9], v[101:102], v[113:114]
	v_fma_f64 v[115:116], v[6:7], v[101:102], -v[103:104]
	ds_load_b128 v[6:9], v1 offset:640
	scratch_load_b128 v[101:104], off, off offset:368
	s_wait_loadcnt_dscnt 0x901
	v_mul_f64_e32 v[109:110], v[69:70], v[107:108]
	v_mul_f64_e32 v[107:108], v[71:72], v[107:108]
	v_add_f64_e32 v[10:11], v[10:11], v[111:112]
	v_add_f64_e32 v[2:3], v[2:3], v[117:118]
	s_delay_alu instid0(VALU_DEP_4)
	v_fma_f64 v[71:72], v[71:72], v[105:106], v[109:110]
	s_wait_loadcnt_dscnt 0x800
	v_mul_f64_e32 v[111:112], v[6:7], v[67:68]
	v_mul_f64_e32 v[117:118], v[8:9], v[67:68]
	v_fma_f64 v[109:110], v[69:70], v[105:106], -v[107:108]
	ds_load_b128 v[67:70], v1 offset:656
	scratch_load_b128 v[105:108], off, off offset:384
	v_add_f64_e32 v[10:11], v[10:11], v[113:114]
	v_add_f64_e32 v[2:3], v[2:3], v[115:116]
	v_fma_f64 v[115:116], v[8:9], v[65:66], v[111:112]
	v_fma_f64 v[65:66], v[6:7], v[65:66], -v[117:118]
	ds_load_b128 v[6:9], v1 offset:672
	s_wait_loadcnt_dscnt 0x801
	v_mul_f64_e32 v[113:114], v[67:68], v[95:96]
	v_mul_f64_e32 v[95:96], v[69:70], v[95:96]
	v_add_f64_e32 v[10:11], v[10:11], v[71:72]
	v_add_f64_e32 v[2:3], v[2:3], v[109:110]
	scratch_load_b128 v[109:112], off, off offset:400
	s_wait_loadcnt_dscnt 0x800
	v_mul_f64_e32 v[117:118], v[6:7], v[75:76]
	v_mul_f64_e32 v[75:76], v[8:9], v[75:76]
	v_fma_f64 v[113:114], v[69:70], v[93:94], v[113:114]
	v_fma_f64 v[93:94], v[67:68], v[93:94], -v[95:96]
	scratch_load_b128 v[69:72], off, off offset:416
	v_add_f64_e32 v[10:11], v[10:11], v[115:116]
	v_add_f64_e32 v[2:3], v[2:3], v[65:66]
	ds_load_b128 v[65:68], v1 offset:688
	v_fma_f64 v[115:116], v[8:9], v[73:74], v[117:118]
	v_fma_f64 v[73:74], v[6:7], v[73:74], -v[75:76]
	ds_load_b128 v[6:9], v1 offset:704
	s_wait_loadcnt_dscnt 0x801
	v_mul_f64_e32 v[95:96], v[65:66], v[79:80]
	v_mul_f64_e32 v[79:80], v[67:68], v[79:80]
	s_wait_loadcnt_dscnt 0x700
	v_mul_f64_e32 v[75:76], v[6:7], v[83:84]
	v_mul_f64_e32 v[83:84], v[8:9], v[83:84]
	v_add_f64_e32 v[10:11], v[10:11], v[113:114]
	v_add_f64_e32 v[2:3], v[2:3], v[93:94]
	v_fma_f64 v[93:94], v[67:68], v[77:78], v[95:96]
	v_fma_f64 v[77:78], v[65:66], v[77:78], -v[79:80]
	ds_load_b128 v[65:68], v1 offset:720
	v_fma_f64 v[95:96], v[8:9], v[81:82], v[75:76]
	v_fma_f64 v[81:82], v[6:7], v[81:82], -v[83:84]
	ds_load_b128 v[6:9], v1 offset:736
	v_add_f64_e32 v[10:11], v[10:11], v[115:116]
	v_add_f64_e32 v[2:3], v[2:3], v[73:74]
	scratch_load_b128 v[73:76], off, off offset:48
	s_wait_loadcnt_dscnt 0x701
	v_mul_f64_e32 v[79:80], v[65:66], v[87:88]
	v_mul_f64_e32 v[87:88], v[67:68], v[87:88]
	s_wait_loadcnt_dscnt 0x600
	v_mul_f64_e32 v[83:84], v[8:9], v[91:92]
	v_add_f64_e32 v[10:11], v[10:11], v[93:94]
	v_add_f64_e32 v[2:3], v[2:3], v[77:78]
	v_mul_f64_e32 v[77:78], v[6:7], v[91:92]
	v_fma_f64 v[79:80], v[67:68], v[85:86], v[79:80]
	v_fma_f64 v[85:86], v[65:66], v[85:86], -v[87:88]
	ds_load_b128 v[65:68], v1 offset:752
	v_fma_f64 v[83:84], v[6:7], v[89:90], -v[83:84]
	v_add_f64_e32 v[10:11], v[10:11], v[95:96]
	v_add_f64_e32 v[2:3], v[2:3], v[81:82]
	v_fma_f64 v[77:78], v[8:9], v[89:90], v[77:78]
	ds_load_b128 v[6:9], v1 offset:768
	s_wait_loadcnt_dscnt 0x501
	v_mul_f64_e32 v[81:82], v[65:66], v[99:100]
	v_mul_f64_e32 v[87:88], v[67:68], v[99:100]
	v_add_f64_e32 v[10:11], v[10:11], v[79:80]
	v_add_f64_e32 v[2:3], v[2:3], v[85:86]
	s_wait_loadcnt_dscnt 0x400
	v_mul_f64_e32 v[79:80], v[6:7], v[103:104]
	v_mul_f64_e32 v[85:86], v[8:9], v[103:104]
	v_fma_f64 v[81:82], v[67:68], v[97:98], v[81:82]
	v_fma_f64 v[87:88], v[65:66], v[97:98], -v[87:88]
	ds_load_b128 v[65:68], v1 offset:784
	v_add_f64_e32 v[10:11], v[10:11], v[77:78]
	v_add_f64_e32 v[2:3], v[2:3], v[83:84]
	v_fma_f64 v[79:80], v[8:9], v[101:102], v[79:80]
	v_fma_f64 v[85:86], v[6:7], v[101:102], -v[85:86]
	ds_load_b128 v[6:9], v1 offset:800
	s_wait_loadcnt_dscnt 0x301
	v_mul_f64_e32 v[77:78], v[65:66], v[107:108]
	v_mul_f64_e32 v[83:84], v[67:68], v[107:108]
	v_add_f64_e32 v[10:11], v[10:11], v[81:82]
	v_add_f64_e32 v[2:3], v[2:3], v[87:88]
	s_delay_alu instid0(VALU_DEP_4) | instskip(NEXT) | instid1(VALU_DEP_4)
	v_fma_f64 v[77:78], v[67:68], v[105:106], v[77:78]
	v_fma_f64 v[83:84], v[65:66], v[105:106], -v[83:84]
	ds_load_b128 v[65:68], v1 offset:816
	s_wait_loadcnt_dscnt 0x201
	v_mul_f64_e32 v[81:82], v[6:7], v[111:112]
	v_mul_f64_e32 v[87:88], v[8:9], v[111:112]
	v_add_f64_e32 v[10:11], v[10:11], v[79:80]
	v_add_f64_e32 v[2:3], v[2:3], v[85:86]
	s_wait_loadcnt_dscnt 0x100
	v_mul_f64_e32 v[79:80], v[65:66], v[71:72]
	v_mul_f64_e32 v[71:72], v[67:68], v[71:72]
	v_fma_f64 v[8:9], v[8:9], v[109:110], v[81:82]
	v_fma_f64 v[6:7], v[6:7], v[109:110], -v[87:88]
	v_add_f64_e32 v[10:11], v[10:11], v[77:78]
	v_add_f64_e32 v[2:3], v[2:3], v[83:84]
	v_fma_f64 v[67:68], v[67:68], v[69:70], v[79:80]
	v_fma_f64 v[65:66], v[65:66], v[69:70], -v[71:72]
	s_delay_alu instid0(VALU_DEP_3) | instskip(SKIP_1) | instid1(VALU_DEP_2)
	v_add_f64_e32 v[2:3], v[2:3], v[6:7]
	v_add_f64_e32 v[6:7], v[10:11], v[8:9]
	;; [unrolled: 1-line block ×3, first 2 shown]
	s_delay_alu instid0(VALU_DEP_2) | instskip(SKIP_1) | instid1(VALU_DEP_2)
	v_add_f64_e32 v[8:9], v[6:7], v[67:68]
	s_wait_loadcnt 0x0
	v_add_f64_e64 v[6:7], v[73:74], -v[2:3]
	s_delay_alu instid0(VALU_DEP_2)
	v_add_f64_e64 v[8:9], v[75:76], -v[8:9]
	scratch_store_b128 off, v[6:9], off offset:48
	v_cmpx_lt_u32_e32 1, v0
	s_cbranch_execz .LBB25_167
; %bb.166:
	scratch_load_b128 v[6:9], off, s24
	v_dual_mov_b32 v2, v1 :: v_dual_mov_b32 v3, v1
	v_mov_b32_e32 v4, v1
	scratch_store_b128 off, v[1:4], off offset:32
	s_wait_loadcnt 0x0
	ds_store_b128 v5, v[6:9]
.LBB25_167:
	s_wait_alu 0xfffe
	s_or_b32 exec_lo, exec_lo, s0
	s_wait_storecnt_dscnt 0x0
	s_barrier_signal -1
	s_barrier_wait -1
	global_inv scope:SCOPE_SE
	s_clause 0x7
	scratch_load_b128 v[6:9], off, off offset:48
	scratch_load_b128 v[65:68], off, off offset:64
	scratch_load_b128 v[69:72], off, off offset:80
	scratch_load_b128 v[73:76], off, off offset:96
	scratch_load_b128 v[77:80], off, off offset:112
	scratch_load_b128 v[81:84], off, off offset:128
	scratch_load_b128 v[85:88], off, off offset:144
	scratch_load_b128 v[89:92], off, off offset:160
	ds_load_b128 v[93:96], v1 offset:448
	s_clause 0x1
	scratch_load_b128 v[97:100], off, off offset:176
	scratch_load_b128 v[101:104], off, off offset:192
	s_mov_b32 s0, exec_lo
	s_wait_loadcnt_dscnt 0x900
	v_mul_f64_e32 v[2:3], v[95:96], v[8:9]
	v_mul_f64_e32 v[105:106], v[93:94], v[8:9]
	ds_load_b128 v[8:11], v1 offset:464
	v_fma_f64 v[2:3], v[93:94], v[6:7], -v[2:3]
	v_fma_f64 v[6:7], v[95:96], v[6:7], v[105:106]
	ds_load_b128 v[93:96], v1 offset:480
	s_wait_loadcnt_dscnt 0x801
	v_mul_f64_e32 v[109:110], v[8:9], v[67:68]
	v_mul_f64_e32 v[67:68], v[10:11], v[67:68]
	scratch_load_b128 v[105:108], off, off offset:208
	s_wait_loadcnt_dscnt 0x800
	v_mul_f64_e32 v[111:112], v[93:94], v[71:72]
	v_mul_f64_e32 v[71:72], v[95:96], v[71:72]
	v_add_f64_e32 v[2:3], 0, v[2:3]
	v_add_f64_e32 v[113:114], 0, v[6:7]
	v_fma_f64 v[10:11], v[10:11], v[65:66], v[109:110]
	v_fma_f64 v[109:110], v[8:9], v[65:66], -v[67:68]
	ds_load_b128 v[6:9], v1 offset:496
	scratch_load_b128 v[65:68], off, off offset:224
	v_fma_f64 v[111:112], v[95:96], v[69:70], v[111:112]
	v_fma_f64 v[117:118], v[93:94], v[69:70], -v[71:72]
	ds_load_b128 v[69:72], v1 offset:512
	s_wait_loadcnt_dscnt 0x801
	v_mul_f64_e32 v[115:116], v[6:7], v[75:76]
	v_mul_f64_e32 v[75:76], v[8:9], v[75:76]
	scratch_load_b128 v[93:96], off, off offset:240
	v_add_f64_e32 v[10:11], v[113:114], v[10:11]
	v_add_f64_e32 v[2:3], v[2:3], v[109:110]
	s_wait_loadcnt_dscnt 0x800
	v_mul_f64_e32 v[109:110], v[69:70], v[79:80]
	v_mul_f64_e32 v[79:80], v[71:72], v[79:80]
	v_fma_f64 v[113:114], v[8:9], v[73:74], v[115:116]
	v_fma_f64 v[115:116], v[6:7], v[73:74], -v[75:76]
	scratch_load_b128 v[73:76], off, off offset:256
	ds_load_b128 v[6:9], v1 offset:528
	v_add_f64_e32 v[10:11], v[10:11], v[111:112]
	v_add_f64_e32 v[2:3], v[2:3], v[117:118]
	v_fma_f64 v[109:110], v[71:72], v[77:78], v[109:110]
	v_fma_f64 v[117:118], v[69:70], v[77:78], -v[79:80]
	ds_load_b128 v[69:72], v1 offset:544
	scratch_load_b128 v[77:80], off, off offset:272
	s_wait_loadcnt_dscnt 0x901
	v_mul_f64_e32 v[111:112], v[6:7], v[83:84]
	v_mul_f64_e32 v[83:84], v[8:9], v[83:84]
	v_add_f64_e32 v[10:11], v[10:11], v[113:114]
	v_add_f64_e32 v[2:3], v[2:3], v[115:116]
	s_wait_loadcnt_dscnt 0x800
	v_mul_f64_e32 v[113:114], v[69:70], v[87:88]
	v_mul_f64_e32 v[87:88], v[71:72], v[87:88]
	v_fma_f64 v[111:112], v[8:9], v[81:82], v[111:112]
	v_fma_f64 v[115:116], v[6:7], v[81:82], -v[83:84]
	ds_load_b128 v[6:9], v1 offset:560
	scratch_load_b128 v[81:84], off, off offset:288
	v_add_f64_e32 v[10:11], v[10:11], v[109:110]
	v_add_f64_e32 v[2:3], v[2:3], v[117:118]
	v_fma_f64 v[113:114], v[71:72], v[85:86], v[113:114]
	v_fma_f64 v[117:118], v[69:70], v[85:86], -v[87:88]
	scratch_load_b128 v[85:88], off, off offset:304
	ds_load_b128 v[69:72], v1 offset:576
	s_wait_loadcnt_dscnt 0x901
	v_mul_f64_e32 v[109:110], v[6:7], v[91:92]
	v_mul_f64_e32 v[91:92], v[8:9], v[91:92]
	v_add_f64_e32 v[10:11], v[10:11], v[111:112]
	v_add_f64_e32 v[2:3], v[2:3], v[115:116]
	s_wait_loadcnt_dscnt 0x800
	v_mul_f64_e32 v[111:112], v[69:70], v[99:100]
	v_mul_f64_e32 v[99:100], v[71:72], v[99:100]
	v_fma_f64 v[109:110], v[8:9], v[89:90], v[109:110]
	v_fma_f64 v[115:116], v[6:7], v[89:90], -v[91:92]
	ds_load_b128 v[6:9], v1 offset:592
	scratch_load_b128 v[89:92], off, off offset:320
	v_add_f64_e32 v[10:11], v[10:11], v[113:114]
	v_add_f64_e32 v[2:3], v[2:3], v[117:118]
	v_fma_f64 v[111:112], v[71:72], v[97:98], v[111:112]
	v_fma_f64 v[117:118], v[69:70], v[97:98], -v[99:100]
	ds_load_b128 v[69:72], v1 offset:608
	s_wait_loadcnt_dscnt 0x801
	v_mul_f64_e32 v[113:114], v[6:7], v[103:104]
	v_mul_f64_e32 v[103:104], v[8:9], v[103:104]
	scratch_load_b128 v[97:100], off, off offset:336
	v_add_f64_e32 v[10:11], v[10:11], v[109:110]
	v_add_f64_e32 v[2:3], v[2:3], v[115:116]
	v_fma_f64 v[113:114], v[8:9], v[101:102], v[113:114]
	v_fma_f64 v[115:116], v[6:7], v[101:102], -v[103:104]
	ds_load_b128 v[6:9], v1 offset:624
	scratch_load_b128 v[101:104], off, off offset:352
	s_wait_loadcnt_dscnt 0x901
	v_mul_f64_e32 v[109:110], v[69:70], v[107:108]
	v_mul_f64_e32 v[107:108], v[71:72], v[107:108]
	v_add_f64_e32 v[10:11], v[10:11], v[111:112]
	v_add_f64_e32 v[2:3], v[2:3], v[117:118]
	s_delay_alu instid0(VALU_DEP_4)
	v_fma_f64 v[71:72], v[71:72], v[105:106], v[109:110]
	s_wait_loadcnt_dscnt 0x800
	v_mul_f64_e32 v[111:112], v[6:7], v[67:68]
	v_mul_f64_e32 v[117:118], v[8:9], v[67:68]
	v_fma_f64 v[109:110], v[69:70], v[105:106], -v[107:108]
	ds_load_b128 v[67:70], v1 offset:640
	scratch_load_b128 v[105:108], off, off offset:368
	v_add_f64_e32 v[10:11], v[10:11], v[113:114]
	v_add_f64_e32 v[2:3], v[2:3], v[115:116]
	v_fma_f64 v[115:116], v[8:9], v[65:66], v[111:112]
	v_fma_f64 v[65:66], v[6:7], v[65:66], -v[117:118]
	ds_load_b128 v[6:9], v1 offset:656
	s_wait_loadcnt_dscnt 0x801
	v_mul_f64_e32 v[113:114], v[67:68], v[95:96]
	v_mul_f64_e32 v[95:96], v[69:70], v[95:96]
	v_add_f64_e32 v[10:11], v[10:11], v[71:72]
	v_add_f64_e32 v[2:3], v[2:3], v[109:110]
	scratch_load_b128 v[109:112], off, off offset:384
	s_wait_loadcnt_dscnt 0x800
	v_mul_f64_e32 v[117:118], v[6:7], v[75:76]
	v_mul_f64_e32 v[75:76], v[8:9], v[75:76]
	v_fma_f64 v[113:114], v[69:70], v[93:94], v[113:114]
	v_fma_f64 v[93:94], v[67:68], v[93:94], -v[95:96]
	scratch_load_b128 v[69:72], off, off offset:400
	v_add_f64_e32 v[10:11], v[10:11], v[115:116]
	v_add_f64_e32 v[2:3], v[2:3], v[65:66]
	ds_load_b128 v[65:68], v1 offset:672
	v_fma_f64 v[115:116], v[8:9], v[73:74], v[117:118]
	v_fma_f64 v[117:118], v[6:7], v[73:74], -v[75:76]
	ds_load_b128 v[6:9], v1 offset:688
	scratch_load_b128 v[73:76], off, off offset:416
	s_wait_loadcnt_dscnt 0x901
	v_mul_f64_e32 v[95:96], v[65:66], v[79:80]
	v_mul_f64_e32 v[79:80], v[67:68], v[79:80]
	v_add_f64_e32 v[10:11], v[10:11], v[113:114]
	v_add_f64_e32 v[2:3], v[2:3], v[93:94]
	s_delay_alu instid0(VALU_DEP_4) | instskip(NEXT) | instid1(VALU_DEP_4)
	v_fma_f64 v[95:96], v[67:68], v[77:78], v[95:96]
	v_fma_f64 v[77:78], v[65:66], v[77:78], -v[79:80]
	ds_load_b128 v[65:68], v1 offset:704
	v_add_f64_e32 v[10:11], v[10:11], v[115:116]
	v_add_f64_e32 v[2:3], v[2:3], v[117:118]
	s_wait_loadcnt_dscnt 0x700
	v_mul_f64_e32 v[79:80], v[65:66], v[87:88]
	v_mul_f64_e32 v[87:88], v[67:68], v[87:88]
	s_delay_alu instid0(VALU_DEP_4) | instskip(NEXT) | instid1(VALU_DEP_4)
	v_add_f64_e32 v[10:11], v[10:11], v[95:96]
	v_add_f64_e32 v[2:3], v[2:3], v[77:78]
	s_delay_alu instid0(VALU_DEP_4)
	v_fma_f64 v[95:96], v[67:68], v[85:86], v[79:80]
	scratch_load_b128 v[77:80], off, off offset:32
	v_mul_f64_e32 v[93:94], v[6:7], v[83:84]
	v_mul_f64_e32 v[83:84], v[8:9], v[83:84]
	v_fma_f64 v[85:86], v[65:66], v[85:86], -v[87:88]
	ds_load_b128 v[65:68], v1 offset:736
	s_wait_loadcnt_dscnt 0x600
	v_mul_f64_e32 v[87:88], v[67:68], v[99:100]
	v_fma_f64 v[93:94], v[8:9], v[81:82], v[93:94]
	v_fma_f64 v[81:82], v[6:7], v[81:82], -v[83:84]
	ds_load_b128 v[6:9], v1 offset:720
	s_wait_dscnt 0x0
	v_mul_f64_e32 v[83:84], v[6:7], v[91:92]
	v_mul_f64_e32 v[91:92], v[8:9], v[91:92]
	v_fma_f64 v[87:88], v[65:66], v[97:98], -v[87:88]
	v_add_f64_e32 v[10:11], v[10:11], v[93:94]
	v_add_f64_e32 v[2:3], v[2:3], v[81:82]
	v_mul_f64_e32 v[81:82], v[65:66], v[99:100]
	v_fma_f64 v[83:84], v[8:9], v[89:90], v[83:84]
	v_fma_f64 v[89:90], v[6:7], v[89:90], -v[91:92]
	ds_load_b128 v[6:9], v1 offset:752
	v_add_f64_e32 v[10:11], v[10:11], v[95:96]
	v_add_f64_e32 v[2:3], v[2:3], v[85:86]
	v_fma_f64 v[81:82], v[67:68], v[97:98], v[81:82]
	ds_load_b128 v[65:68], v1 offset:768
	s_wait_loadcnt_dscnt 0x501
	v_mul_f64_e32 v[85:86], v[6:7], v[103:104]
	v_mul_f64_e32 v[91:92], v[8:9], v[103:104]
	v_add_f64_e32 v[10:11], v[10:11], v[83:84]
	v_add_f64_e32 v[2:3], v[2:3], v[89:90]
	s_wait_loadcnt_dscnt 0x400
	v_mul_f64_e32 v[83:84], v[65:66], v[107:108]
	v_mul_f64_e32 v[89:90], v[67:68], v[107:108]
	v_fma_f64 v[85:86], v[8:9], v[101:102], v[85:86]
	v_fma_f64 v[91:92], v[6:7], v[101:102], -v[91:92]
	ds_load_b128 v[6:9], v1 offset:784
	v_add_f64_e32 v[10:11], v[10:11], v[81:82]
	v_add_f64_e32 v[2:3], v[2:3], v[87:88]
	v_fma_f64 v[83:84], v[67:68], v[105:106], v[83:84]
	v_fma_f64 v[89:90], v[65:66], v[105:106], -v[89:90]
	ds_load_b128 v[65:68], v1 offset:800
	s_wait_loadcnt_dscnt 0x301
	v_mul_f64_e32 v[81:82], v[6:7], v[111:112]
	v_mul_f64_e32 v[87:88], v[8:9], v[111:112]
	v_add_f64_e32 v[10:11], v[10:11], v[85:86]
	v_add_f64_e32 v[2:3], v[2:3], v[91:92]
	s_wait_loadcnt_dscnt 0x200
	v_mul_f64_e32 v[85:86], v[65:66], v[71:72]
	v_mul_f64_e32 v[71:72], v[67:68], v[71:72]
	v_fma_f64 v[8:9], v[8:9], v[109:110], v[81:82]
	v_fma_f64 v[6:7], v[6:7], v[109:110], -v[87:88]
	v_add_f64_e32 v[10:11], v[10:11], v[83:84]
	v_add_f64_e32 v[81:82], v[2:3], v[89:90]
	ds_load_b128 v[1:4], v1 offset:816
	v_fma_f64 v[67:68], v[67:68], v[69:70], v[85:86]
	v_fma_f64 v[65:66], v[65:66], v[69:70], -v[71:72]
	s_wait_loadcnt_dscnt 0x100
	v_mul_f64_e32 v[83:84], v[1:2], v[75:76]
	v_mul_f64_e32 v[75:76], v[3:4], v[75:76]
	v_add_f64_e32 v[8:9], v[10:11], v[8:9]
	v_add_f64_e32 v[6:7], v[81:82], v[6:7]
	s_delay_alu instid0(VALU_DEP_4) | instskip(NEXT) | instid1(VALU_DEP_4)
	v_fma_f64 v[3:4], v[3:4], v[73:74], v[83:84]
	v_fma_f64 v[1:2], v[1:2], v[73:74], -v[75:76]
	s_delay_alu instid0(VALU_DEP_4) | instskip(NEXT) | instid1(VALU_DEP_4)
	v_add_f64_e32 v[8:9], v[8:9], v[67:68]
	v_add_f64_e32 v[6:7], v[6:7], v[65:66]
	s_delay_alu instid0(VALU_DEP_2) | instskip(NEXT) | instid1(VALU_DEP_2)
	v_add_f64_e32 v[3:4], v[8:9], v[3:4]
	v_add_f64_e32 v[1:2], v[6:7], v[1:2]
	s_wait_loadcnt 0x0
	s_delay_alu instid0(VALU_DEP_2) | instskip(NEXT) | instid1(VALU_DEP_2)
	v_add_f64_e64 v[3:4], v[79:80], -v[3:4]
	v_add_f64_e64 v[1:2], v[77:78], -v[1:2]
	scratch_store_b128 off, v[1:4], off offset:32
	v_cmpx_ne_u32_e32 0, v0
	s_cbranch_execz .LBB25_169
; %bb.168:
	scratch_load_b128 v[0:3], off, off offset:16
	v_mov_b32_e32 v6, 0
	s_delay_alu instid0(VALU_DEP_1)
	v_dual_mov_b32 v7, v6 :: v_dual_mov_b32 v8, v6
	v_mov_b32_e32 v9, v6
	scratch_store_b128 off, v[6:9], off offset:16
	s_wait_loadcnt 0x0
	ds_store_b128 v5, v[0:3]
.LBB25_169:
	s_wait_alu 0xfffe
	s_or_b32 exec_lo, exec_lo, s0
	s_wait_storecnt_dscnt 0x0
	s_barrier_signal -1
	s_barrier_wait -1
	global_inv scope:SCOPE_SE
	s_clause 0x7
	scratch_load_b128 v[1:4], off, off offset:32
	scratch_load_b128 v[5:8], off, off offset:48
	;; [unrolled: 1-line block ×8, first 2 shown]
	v_mov_b32_e32 v0, 0
	s_clause 0x1
	scratch_load_b128 v[89:92], off, off offset:160
	scratch_load_b128 v[97:100], off, off offset:176
	s_and_b32 vcc_lo, exec_lo, s18
	ds_load_b128 v[85:88], v0 offset:432
	ds_load_b128 v[93:96], v0 offset:448
	s_wait_loadcnt_dscnt 0x901
	v_mul_f64_e32 v[101:102], v[87:88], v[3:4]
	v_mul_f64_e32 v[3:4], v[85:86], v[3:4]
	s_wait_loadcnt_dscnt 0x800
	v_mul_f64_e32 v[103:104], v[93:94], v[7:8]
	v_mul_f64_e32 v[7:8], v[95:96], v[7:8]
	s_delay_alu instid0(VALU_DEP_4) | instskip(NEXT) | instid1(VALU_DEP_4)
	v_fma_f64 v[101:102], v[85:86], v[1:2], -v[101:102]
	v_fma_f64 v[105:106], v[87:88], v[1:2], v[3:4]
	ds_load_b128 v[1:4], v0 offset:464
	scratch_load_b128 v[85:88], off, off offset:192
	v_fma_f64 v[103:104], v[95:96], v[5:6], v[103:104]
	v_fma_f64 v[109:110], v[93:94], v[5:6], -v[7:8]
	ds_load_b128 v[5:8], v0 offset:480
	scratch_load_b128 v[93:96], off, off offset:208
	s_wait_loadcnt_dscnt 0x901
	v_mul_f64_e32 v[107:108], v[1:2], v[11:12]
	v_mul_f64_e32 v[11:12], v[3:4], v[11:12]
	s_wait_loadcnt_dscnt 0x800
	v_mul_f64_e32 v[111:112], v[5:6], v[67:68]
	v_mul_f64_e32 v[67:68], v[7:8], v[67:68]
	v_add_f64_e32 v[101:102], 0, v[101:102]
	v_add_f64_e32 v[105:106], 0, v[105:106]
	v_fma_f64 v[107:108], v[3:4], v[9:10], v[107:108]
	v_fma_f64 v[113:114], v[1:2], v[9:10], -v[11:12]
	ds_load_b128 v[1:4], v0 offset:496
	scratch_load_b128 v[9:12], off, off offset:224
	v_add_f64_e32 v[101:102], v[101:102], v[109:110]
	v_add_f64_e32 v[103:104], v[105:106], v[103:104]
	v_fma_f64 v[109:110], v[7:8], v[65:66], v[111:112]
	v_fma_f64 v[111:112], v[5:6], v[65:66], -v[67:68]
	ds_load_b128 v[5:8], v0 offset:512
	scratch_load_b128 v[65:68], off, off offset:240
	s_wait_loadcnt_dscnt 0x901
	v_mul_f64_e32 v[105:106], v[1:2], v[71:72]
	v_mul_f64_e32 v[71:72], v[3:4], v[71:72]
	v_add_f64_e32 v[101:102], v[101:102], v[113:114]
	v_add_f64_e32 v[103:104], v[103:104], v[107:108]
	s_wait_loadcnt_dscnt 0x800
	v_mul_f64_e32 v[107:108], v[5:6], v[75:76]
	v_mul_f64_e32 v[75:76], v[7:8], v[75:76]
	v_fma_f64 v[105:106], v[3:4], v[69:70], v[105:106]
	v_fma_f64 v[113:114], v[1:2], v[69:70], -v[71:72]
	ds_load_b128 v[1:4], v0 offset:528
	scratch_load_b128 v[69:72], off, off offset:256
	v_add_f64_e32 v[101:102], v[101:102], v[111:112]
	v_add_f64_e32 v[103:104], v[103:104], v[109:110]
	v_fma_f64 v[107:108], v[7:8], v[73:74], v[107:108]
	v_fma_f64 v[111:112], v[5:6], v[73:74], -v[75:76]
	ds_load_b128 v[5:8], v0 offset:544
	s_wait_loadcnt_dscnt 0x801
	v_mul_f64_e32 v[109:110], v[1:2], v[79:80]
	v_mul_f64_e32 v[79:80], v[3:4], v[79:80]
	scratch_load_b128 v[73:76], off, off offset:272
	v_add_f64_e32 v[101:102], v[101:102], v[113:114]
	v_add_f64_e32 v[103:104], v[103:104], v[105:106]
	s_wait_loadcnt_dscnt 0x800
	v_mul_f64_e32 v[105:106], v[5:6], v[83:84]
	v_mul_f64_e32 v[83:84], v[7:8], v[83:84]
	v_fma_f64 v[109:110], v[3:4], v[77:78], v[109:110]
	v_fma_f64 v[113:114], v[1:2], v[77:78], -v[79:80]
	ds_load_b128 v[1:4], v0 offset:560
	scratch_load_b128 v[77:80], off, off offset:288
	v_add_f64_e32 v[101:102], v[101:102], v[111:112]
	v_add_f64_e32 v[103:104], v[103:104], v[107:108]
	v_fma_f64 v[105:106], v[7:8], v[81:82], v[105:106]
	v_fma_f64 v[111:112], v[5:6], v[81:82], -v[83:84]
	ds_load_b128 v[5:8], v0 offset:576
	s_wait_loadcnt_dscnt 0x801
	v_mul_f64_e32 v[107:108], v[1:2], v[91:92]
	v_mul_f64_e32 v[91:92], v[3:4], v[91:92]
	scratch_load_b128 v[81:84], off, off offset:304
	v_add_f64_e32 v[101:102], v[101:102], v[113:114]
	v_add_f64_e32 v[103:104], v[103:104], v[109:110]
	s_wait_loadcnt_dscnt 0x800
	v_mul_f64_e32 v[109:110], v[5:6], v[99:100]
	v_mul_f64_e32 v[99:100], v[7:8], v[99:100]
	v_fma_f64 v[107:108], v[3:4], v[89:90], v[107:108]
	v_fma_f64 v[113:114], v[1:2], v[89:90], -v[91:92]
	ds_load_b128 v[1:4], v0 offset:592
	scratch_load_b128 v[89:92], off, off offset:320
	v_add_f64_e32 v[101:102], v[101:102], v[111:112]
	v_add_f64_e32 v[103:104], v[103:104], v[105:106]
	v_fma_f64 v[109:110], v[7:8], v[97:98], v[109:110]
	v_fma_f64 v[111:112], v[5:6], v[97:98], -v[99:100]
	ds_load_b128 v[5:8], v0 offset:608
	scratch_load_b128 v[97:100], off, off offset:336
	s_wait_loadcnt_dscnt 0x901
	v_mul_f64_e32 v[105:106], v[1:2], v[87:88]
	v_mul_f64_e32 v[87:88], v[3:4], v[87:88]
	v_add_f64_e32 v[101:102], v[101:102], v[113:114]
	v_add_f64_e32 v[103:104], v[103:104], v[107:108]
	s_wait_loadcnt_dscnt 0x800
	v_mul_f64_e32 v[107:108], v[5:6], v[95:96]
	v_mul_f64_e32 v[95:96], v[7:8], v[95:96]
	v_fma_f64 v[105:106], v[3:4], v[85:86], v[105:106]
	v_fma_f64 v[113:114], v[1:2], v[85:86], -v[87:88]
	ds_load_b128 v[1:4], v0 offset:624
	scratch_load_b128 v[85:88], off, off offset:352
	v_add_f64_e32 v[101:102], v[101:102], v[111:112]
	v_add_f64_e32 v[103:104], v[103:104], v[109:110]
	v_fma_f64 v[107:108], v[7:8], v[93:94], v[107:108]
	v_fma_f64 v[111:112], v[5:6], v[93:94], -v[95:96]
	ds_load_b128 v[5:8], v0 offset:640
	s_wait_loadcnt_dscnt 0x801
	v_mul_f64_e32 v[109:110], v[1:2], v[11:12]
	v_mul_f64_e32 v[11:12], v[3:4], v[11:12]
	scratch_load_b128 v[93:96], off, off offset:368
	v_add_f64_e32 v[101:102], v[101:102], v[113:114]
	v_add_f64_e32 v[103:104], v[103:104], v[105:106]
	s_wait_loadcnt_dscnt 0x800
	v_mul_f64_e32 v[105:106], v[5:6], v[67:68]
	v_mul_f64_e32 v[67:68], v[7:8], v[67:68]
	v_fma_f64 v[109:110], v[3:4], v[9:10], v[109:110]
	v_fma_f64 v[113:114], v[1:2], v[9:10], -v[11:12]
	ds_load_b128 v[1:4], v0 offset:656
	scratch_load_b128 v[9:12], off, off offset:384
	v_add_f64_e32 v[101:102], v[101:102], v[111:112]
	v_add_f64_e32 v[103:104], v[103:104], v[107:108]
	v_fma_f64 v[105:106], v[7:8], v[65:66], v[105:106]
	v_fma_f64 v[111:112], v[5:6], v[65:66], -v[67:68]
	ds_load_b128 v[5:8], v0 offset:672
	s_wait_loadcnt_dscnt 0x801
	v_mul_f64_e32 v[107:108], v[1:2], v[71:72]
	v_mul_f64_e32 v[71:72], v[3:4], v[71:72]
	scratch_load_b128 v[65:68], off, off offset:400
	v_add_f64_e32 v[101:102], v[101:102], v[113:114]
	v_add_f64_e32 v[103:104], v[103:104], v[109:110]
	s_wait_loadcnt_dscnt 0x800
	v_mul_f64_e32 v[109:110], v[5:6], v[75:76]
	v_mul_f64_e32 v[75:76], v[7:8], v[75:76]
	v_fma_f64 v[107:108], v[3:4], v[69:70], v[107:108]
	v_fma_f64 v[113:114], v[1:2], v[69:70], -v[71:72]
	ds_load_b128 v[1:4], v0 offset:688
	scratch_load_b128 v[69:72], off, off offset:416
	v_add_f64_e32 v[101:102], v[101:102], v[111:112]
	v_add_f64_e32 v[103:104], v[103:104], v[105:106]
	v_fma_f64 v[109:110], v[7:8], v[73:74], v[109:110]
	v_fma_f64 v[73:74], v[5:6], v[73:74], -v[75:76]
	ds_load_b128 v[5:8], v0 offset:704
	s_wait_loadcnt_dscnt 0x801
	v_mul_f64_e32 v[105:106], v[1:2], v[79:80]
	v_mul_f64_e32 v[79:80], v[3:4], v[79:80]
	v_add_f64_e32 v[75:76], v[101:102], v[113:114]
	v_add_f64_e32 v[101:102], v[103:104], v[107:108]
	s_wait_loadcnt_dscnt 0x700
	v_mul_f64_e32 v[103:104], v[5:6], v[83:84]
	v_mul_f64_e32 v[83:84], v[7:8], v[83:84]
	v_fma_f64 v[105:106], v[3:4], v[77:78], v[105:106]
	v_fma_f64 v[77:78], v[1:2], v[77:78], -v[79:80]
	ds_load_b128 v[1:4], v0 offset:720
	v_add_f64_e32 v[73:74], v[75:76], v[73:74]
	v_add_f64_e32 v[75:76], v[101:102], v[109:110]
	v_fma_f64 v[101:102], v[7:8], v[81:82], v[103:104]
	v_fma_f64 v[81:82], v[5:6], v[81:82], -v[83:84]
	ds_load_b128 v[5:8], v0 offset:736
	s_wait_loadcnt_dscnt 0x500
	v_mul_f64_e32 v[103:104], v[5:6], v[99:100]
	v_mul_f64_e32 v[99:100], v[7:8], v[99:100]
	v_add_f64_e32 v[77:78], v[73:74], v[77:78]
	v_add_f64_e32 v[83:84], v[75:76], v[105:106]
	scratch_load_b128 v[73:76], off, off offset:16
	v_mul_f64_e32 v[79:80], v[1:2], v[91:92]
	v_mul_f64_e32 v[91:92], v[3:4], v[91:92]
	v_add_f64_e32 v[77:78], v[77:78], v[81:82]
	v_add_f64_e32 v[81:82], v[83:84], v[101:102]
	s_delay_alu instid0(VALU_DEP_4) | instskip(NEXT) | instid1(VALU_DEP_4)
	v_fma_f64 v[79:80], v[3:4], v[89:90], v[79:80]
	v_fma_f64 v[89:90], v[1:2], v[89:90], -v[91:92]
	ds_load_b128 v[1:4], v0 offset:752
	v_fma_f64 v[91:92], v[7:8], v[97:98], v[103:104]
	v_fma_f64 v[97:98], v[5:6], v[97:98], -v[99:100]
	ds_load_b128 v[5:8], v0 offset:768
	s_wait_loadcnt_dscnt 0x501
	v_mul_f64_e32 v[83:84], v[1:2], v[87:88]
	v_mul_f64_e32 v[87:88], v[3:4], v[87:88]
	v_add_f64_e32 v[79:80], v[81:82], v[79:80]
	v_add_f64_e32 v[77:78], v[77:78], v[89:90]
	s_wait_loadcnt_dscnt 0x400
	v_mul_f64_e32 v[81:82], v[5:6], v[95:96]
	v_mul_f64_e32 v[89:90], v[7:8], v[95:96]
	v_fma_f64 v[83:84], v[3:4], v[85:86], v[83:84]
	v_fma_f64 v[85:86], v[1:2], v[85:86], -v[87:88]
	ds_load_b128 v[1:4], v0 offset:784
	v_add_f64_e32 v[79:80], v[79:80], v[91:92]
	v_add_f64_e32 v[77:78], v[77:78], v[97:98]
	v_fma_f64 v[81:82], v[7:8], v[93:94], v[81:82]
	v_fma_f64 v[89:90], v[5:6], v[93:94], -v[89:90]
	ds_load_b128 v[5:8], v0 offset:800
	s_wait_loadcnt_dscnt 0x301
	v_mul_f64_e32 v[87:88], v[1:2], v[11:12]
	v_mul_f64_e32 v[11:12], v[3:4], v[11:12]
	v_add_f64_e32 v[79:80], v[79:80], v[83:84]
	v_add_f64_e32 v[77:78], v[77:78], v[85:86]
	s_wait_loadcnt_dscnt 0x200
	v_mul_f64_e32 v[83:84], v[5:6], v[67:68]
	v_mul_f64_e32 v[67:68], v[7:8], v[67:68]
	v_fma_f64 v[85:86], v[3:4], v[9:10], v[87:88]
	v_fma_f64 v[9:10], v[1:2], v[9:10], -v[11:12]
	ds_load_b128 v[1:4], v0 offset:816
	v_add_f64_e32 v[11:12], v[77:78], v[89:90]
	v_add_f64_e32 v[77:78], v[79:80], v[81:82]
	s_wait_loadcnt_dscnt 0x100
	v_mul_f64_e32 v[79:80], v[1:2], v[71:72]
	v_mul_f64_e32 v[71:72], v[3:4], v[71:72]
	v_fma_f64 v[7:8], v[7:8], v[65:66], v[83:84]
	v_fma_f64 v[5:6], v[5:6], v[65:66], -v[67:68]
	v_add_f64_e32 v[9:10], v[11:12], v[9:10]
	v_add_f64_e32 v[11:12], v[77:78], v[85:86]
	v_fma_f64 v[3:4], v[3:4], v[69:70], v[79:80]
	v_fma_f64 v[1:2], v[1:2], v[69:70], -v[71:72]
	s_delay_alu instid0(VALU_DEP_4) | instskip(NEXT) | instid1(VALU_DEP_4)
	v_add_f64_e32 v[5:6], v[9:10], v[5:6]
	v_add_f64_e32 v[7:8], v[11:12], v[7:8]
	s_delay_alu instid0(VALU_DEP_2) | instskip(NEXT) | instid1(VALU_DEP_2)
	v_add_f64_e32 v[1:2], v[5:6], v[1:2]
	v_add_f64_e32 v[3:4], v[7:8], v[3:4]
	s_wait_loadcnt 0x0
	s_delay_alu instid0(VALU_DEP_2) | instskip(NEXT) | instid1(VALU_DEP_2)
	v_add_f64_e64 v[1:2], v[73:74], -v[1:2]
	v_add_f64_e64 v[3:4], v[75:76], -v[3:4]
	scratch_store_b128 off, v[1:4], off offset:16
	s_wait_alu 0xfffe
	s_cbranch_vccz .LBB25_220
; %bb.170:
	global_load_b32 v0, v0, s[2:3] offset:96
	s_wait_loadcnt 0x0
	v_cmp_ne_u32_e32 vcc_lo, 25, v0
	s_cbranch_vccz .LBB25_172
; %bb.171:
	v_lshlrev_b32_e32 v0, 4, v0
	s_delay_alu instid0(VALU_DEP_1)
	v_add_nc_u32_e32 v8, 16, v0
	s_clause 0x1
	scratch_load_b128 v[0:3], v8, off offset:-16
	scratch_load_b128 v[4:7], off, s15
	s_wait_loadcnt 0x1
	scratch_store_b128 off, v[0:3], s15
	s_wait_loadcnt 0x0
	scratch_store_b128 v8, v[4:7], off offset:-16
.LBB25_172:
	v_mov_b32_e32 v0, 0
	global_load_b32 v1, v0, s[2:3] offset:92
	s_wait_loadcnt 0x0
	v_cmp_eq_u32_e32 vcc_lo, 24, v1
	s_cbranch_vccnz .LBB25_174
; %bb.173:
	v_lshlrev_b32_e32 v1, 4, v1
	s_delay_alu instid0(VALU_DEP_1)
	v_add_nc_u32_e32 v9, 16, v1
	s_clause 0x1
	scratch_load_b128 v[1:4], v9, off offset:-16
	scratch_load_b128 v[5:8], off, s13
	s_wait_loadcnt 0x1
	scratch_store_b128 off, v[1:4], s13
	s_wait_loadcnt 0x0
	scratch_store_b128 v9, v[5:8], off offset:-16
.LBB25_174:
	global_load_b32 v0, v0, s[2:3] offset:88
	s_wait_loadcnt 0x0
	v_cmp_eq_u32_e32 vcc_lo, 23, v0
	s_cbranch_vccnz .LBB25_176
; %bb.175:
	v_lshlrev_b32_e32 v0, 4, v0
	s_delay_alu instid0(VALU_DEP_1)
	v_add_nc_u32_e32 v8, 16, v0
	s_clause 0x1
	scratch_load_b128 v[0:3], v8, off offset:-16
	scratch_load_b128 v[4:7], off, s14
	s_wait_loadcnt 0x1
	scratch_store_b128 off, v[0:3], s14
	s_wait_loadcnt 0x0
	scratch_store_b128 v8, v[4:7], off offset:-16
.LBB25_176:
	v_mov_b32_e32 v0, 0
	global_load_b32 v1, v0, s[2:3] offset:84
	s_wait_loadcnt 0x0
	v_cmp_eq_u32_e32 vcc_lo, 22, v1
	s_cbranch_vccnz .LBB25_178
; %bb.177:
	v_lshlrev_b32_e32 v1, 4, v1
	s_delay_alu instid0(VALU_DEP_1)
	v_add_nc_u32_e32 v9, 16, v1
	s_clause 0x1
	scratch_load_b128 v[1:4], v9, off offset:-16
	scratch_load_b128 v[5:8], off, s11
	s_wait_loadcnt 0x1
	scratch_store_b128 off, v[1:4], s11
	s_wait_loadcnt 0x0
	scratch_store_b128 v9, v[5:8], off offset:-16
.LBB25_178:
	global_load_b32 v0, v0, s[2:3] offset:80
	s_wait_loadcnt 0x0
	v_cmp_eq_u32_e32 vcc_lo, 21, v0
	s_cbranch_vccnz .LBB25_180
; %bb.179:
	v_lshlrev_b32_e32 v0, 4, v0
	s_delay_alu instid0(VALU_DEP_1)
	v_add_nc_u32_e32 v8, 16, v0
	s_clause 0x1
	scratch_load_b128 v[0:3], v8, off offset:-16
	scratch_load_b128 v[4:7], off, s12
	s_wait_loadcnt 0x1
	scratch_store_b128 off, v[0:3], s12
	s_wait_loadcnt 0x0
	scratch_store_b128 v8, v[4:7], off offset:-16
.LBB25_180:
	;; [unrolled: 33-line block ×11, first 2 shown]
	v_mov_b32_e32 v0, 0
	global_load_b32 v1, v0, s[2:3] offset:4
	s_wait_loadcnt 0x0
	v_cmp_eq_u32_e32 vcc_lo, 2, v1
	s_cbranch_vccnz .LBB25_218
; %bb.217:
	v_lshlrev_b32_e32 v1, 4, v1
	s_delay_alu instid0(VALU_DEP_1)
	v_add_nc_u32_e32 v9, 16, v1
	s_clause 0x1
	scratch_load_b128 v[1:4], v9, off offset:-16
	scratch_load_b128 v[5:8], off, s24
	s_wait_loadcnt 0x1
	scratch_store_b128 off, v[1:4], s24
	s_wait_loadcnt 0x0
	scratch_store_b128 v9, v[5:8], off offset:-16
.LBB25_218:
	global_load_b32 v0, v0, s[2:3]
	s_wait_loadcnt 0x0
	v_cmp_eq_u32_e32 vcc_lo, 1, v0
	s_cbranch_vccnz .LBB25_220
; %bb.219:
	v_lshlrev_b32_e32 v0, 4, v0
	s_delay_alu instid0(VALU_DEP_1)
	v_add_nc_u32_e32 v8, 16, v0
	scratch_load_b128 v[0:3], v8, off offset:-16
	scratch_load_b128 v[4:7], off, off offset:16
	s_wait_loadcnt 0x1
	scratch_store_b128 off, v[0:3], off offset:16
	s_wait_loadcnt 0x0
	scratch_store_b128 v8, v[4:7], off offset:-16
.LBB25_220:
	scratch_load_b128 v[0:3], off, off offset:16
	s_clause 0xe
	scratch_load_b128 v[4:7], off, s24
	scratch_load_b128 v[8:11], off, s23
	;; [unrolled: 1-line block ×15, first 2 shown]
	s_wait_loadcnt 0xf
	global_store_b128 v[13:14], v[0:3], off
	s_wait_loadcnt 0xe
	global_store_b128 v[15:16], v[4:7], off
	s_clause 0x1
	scratch_load_b128 v[0:3], off, s4
	scratch_load_b128 v[4:7], off, s8
	s_wait_loadcnt 0xf
	global_store_b128 v[17:18], v[8:11], off
	s_clause 0x1
	scratch_load_b128 v[8:11], off, s5
	scratch_load_b128 v[12:15], off, s10
	;; [unrolled: 5-line block ×3, first 2 shown]
	s_wait_loadcnt 0x11
	global_store_b128 v[21:22], v[69:72], off
	s_wait_loadcnt 0x10
	global_store_b128 v[23:24], v[73:76], off
	s_clause 0x1
	scratch_load_b128 v[20:23], off, s11
	scratch_load_b128 v[69:72], off, s14
	s_wait_loadcnt 0x11
	global_store_b128 v[25:26], v[77:80], off
	s_clause 0x1
	scratch_load_b128 v[73:76], off, s13
	scratch_load_b128 v[77:80], off, s15
	s_wait_loadcnt 0x12
	global_store_b128 v[27:28], v[81:84], off
	s_wait_loadcnt 0x11
	global_store_b128 v[29:30], v[85:88], off
	;; [unrolled: 2-line block ×17, first 2 shown]
	s_wait_loadcnt 0x0
	s_clause 0x1
	global_store_b128 v[61:62], v[77:80], off
	global_store_b128 v[63:64], v[113:116], off
	s_nop 0
	s_sendmsg sendmsg(MSG_DEALLOC_VGPRS)
	s_endpgm
	.section	.rodata,"a",@progbits
	.p2align	6, 0x0
	.amdhsa_kernel _ZN9rocsolver6v33100L18getri_kernel_smallILi26E19rocblas_complex_numIdEPS3_EEvT1_iilPiilS6_bb
		.amdhsa_group_segment_fixed_size 840
		.amdhsa_private_segment_fixed_size 448
		.amdhsa_kernarg_size 60
		.amdhsa_user_sgpr_count 2
		.amdhsa_user_sgpr_dispatch_ptr 0
		.amdhsa_user_sgpr_queue_ptr 0
		.amdhsa_user_sgpr_kernarg_segment_ptr 1
		.amdhsa_user_sgpr_dispatch_id 0
		.amdhsa_user_sgpr_private_segment_size 0
		.amdhsa_wavefront_size32 1
		.amdhsa_uses_dynamic_stack 0
		.amdhsa_enable_private_segment 1
		.amdhsa_system_sgpr_workgroup_id_x 1
		.amdhsa_system_sgpr_workgroup_id_y 0
		.amdhsa_system_sgpr_workgroup_id_z 0
		.amdhsa_system_sgpr_workgroup_info 0
		.amdhsa_system_vgpr_workitem_id 0
		.amdhsa_next_free_vgpr 124
		.amdhsa_next_free_sgpr 38
		.amdhsa_reserve_vcc 1
		.amdhsa_float_round_mode_32 0
		.amdhsa_float_round_mode_16_64 0
		.amdhsa_float_denorm_mode_32 3
		.amdhsa_float_denorm_mode_16_64 3
		.amdhsa_fp16_overflow 0
		.amdhsa_workgroup_processor_mode 1
		.amdhsa_memory_ordered 1
		.amdhsa_forward_progress 1
		.amdhsa_inst_pref_size 255
		.amdhsa_round_robin_scheduling 0
		.amdhsa_exception_fp_ieee_invalid_op 0
		.amdhsa_exception_fp_denorm_src 0
		.amdhsa_exception_fp_ieee_div_zero 0
		.amdhsa_exception_fp_ieee_overflow 0
		.amdhsa_exception_fp_ieee_underflow 0
		.amdhsa_exception_fp_ieee_inexact 0
		.amdhsa_exception_int_div_zero 0
	.end_amdhsa_kernel
	.section	.text._ZN9rocsolver6v33100L18getri_kernel_smallILi26E19rocblas_complex_numIdEPS3_EEvT1_iilPiilS6_bb,"axG",@progbits,_ZN9rocsolver6v33100L18getri_kernel_smallILi26E19rocblas_complex_numIdEPS3_EEvT1_iilPiilS6_bb,comdat
.Lfunc_end25:
	.size	_ZN9rocsolver6v33100L18getri_kernel_smallILi26E19rocblas_complex_numIdEPS3_EEvT1_iilPiilS6_bb, .Lfunc_end25-_ZN9rocsolver6v33100L18getri_kernel_smallILi26E19rocblas_complex_numIdEPS3_EEvT1_iilPiilS6_bb
                                        ; -- End function
	.set _ZN9rocsolver6v33100L18getri_kernel_smallILi26E19rocblas_complex_numIdEPS3_EEvT1_iilPiilS6_bb.num_vgpr, 124
	.set _ZN9rocsolver6v33100L18getri_kernel_smallILi26E19rocblas_complex_numIdEPS3_EEvT1_iilPiilS6_bb.num_agpr, 0
	.set _ZN9rocsolver6v33100L18getri_kernel_smallILi26E19rocblas_complex_numIdEPS3_EEvT1_iilPiilS6_bb.numbered_sgpr, 38
	.set _ZN9rocsolver6v33100L18getri_kernel_smallILi26E19rocblas_complex_numIdEPS3_EEvT1_iilPiilS6_bb.num_named_barrier, 0
	.set _ZN9rocsolver6v33100L18getri_kernel_smallILi26E19rocblas_complex_numIdEPS3_EEvT1_iilPiilS6_bb.private_seg_size, 448
	.set _ZN9rocsolver6v33100L18getri_kernel_smallILi26E19rocblas_complex_numIdEPS3_EEvT1_iilPiilS6_bb.uses_vcc, 1
	.set _ZN9rocsolver6v33100L18getri_kernel_smallILi26E19rocblas_complex_numIdEPS3_EEvT1_iilPiilS6_bb.uses_flat_scratch, 1
	.set _ZN9rocsolver6v33100L18getri_kernel_smallILi26E19rocblas_complex_numIdEPS3_EEvT1_iilPiilS6_bb.has_dyn_sized_stack, 0
	.set _ZN9rocsolver6v33100L18getri_kernel_smallILi26E19rocblas_complex_numIdEPS3_EEvT1_iilPiilS6_bb.has_recursion, 0
	.set _ZN9rocsolver6v33100L18getri_kernel_smallILi26E19rocblas_complex_numIdEPS3_EEvT1_iilPiilS6_bb.has_indirect_call, 0
	.section	.AMDGPU.csdata,"",@progbits
; Kernel info:
; codeLenInByte = 35956
; TotalNumSgprs: 40
; NumVgprs: 124
; ScratchSize: 448
; MemoryBound: 0
; FloatMode: 240
; IeeeMode: 1
; LDSByteSize: 840 bytes/workgroup (compile time only)
; SGPRBlocks: 0
; VGPRBlocks: 15
; NumSGPRsForWavesPerEU: 40
; NumVGPRsForWavesPerEU: 124
; Occupancy: 10
; WaveLimiterHint : 1
; COMPUTE_PGM_RSRC2:SCRATCH_EN: 1
; COMPUTE_PGM_RSRC2:USER_SGPR: 2
; COMPUTE_PGM_RSRC2:TRAP_HANDLER: 0
; COMPUTE_PGM_RSRC2:TGID_X_EN: 1
; COMPUTE_PGM_RSRC2:TGID_Y_EN: 0
; COMPUTE_PGM_RSRC2:TGID_Z_EN: 0
; COMPUTE_PGM_RSRC2:TIDIG_COMP_CNT: 0
	.section	.text._ZN9rocsolver6v33100L18getri_kernel_smallILi27E19rocblas_complex_numIdEPS3_EEvT1_iilPiilS6_bb,"axG",@progbits,_ZN9rocsolver6v33100L18getri_kernel_smallILi27E19rocblas_complex_numIdEPS3_EEvT1_iilPiilS6_bb,comdat
	.globl	_ZN9rocsolver6v33100L18getri_kernel_smallILi27E19rocblas_complex_numIdEPS3_EEvT1_iilPiilS6_bb ; -- Begin function _ZN9rocsolver6v33100L18getri_kernel_smallILi27E19rocblas_complex_numIdEPS3_EEvT1_iilPiilS6_bb
	.p2align	8
	.type	_ZN9rocsolver6v33100L18getri_kernel_smallILi27E19rocblas_complex_numIdEPS3_EEvT1_iilPiilS6_bb,@function
_ZN9rocsolver6v33100L18getri_kernel_smallILi27E19rocblas_complex_numIdEPS3_EEvT1_iilPiilS6_bb: ; @_ZN9rocsolver6v33100L18getri_kernel_smallILi27E19rocblas_complex_numIdEPS3_EEvT1_iilPiilS6_bb
; %bb.0:
	s_mov_b32 s2, exec_lo
	v_cmpx_gt_u32_e32 27, v0
	s_cbranch_execz .LBB26_122
; %bb.1:
	s_clause 0x2
	s_load_b32 s2, s[0:1], 0x38
	s_load_b128 s[12:15], s[0:1], 0x10
	s_load_b128 s[4:7], s[0:1], 0x28
	s_mov_b32 s16, ttmp9
	s_wait_kmcnt 0x0
	s_bitcmp1_b32 s2, 8
	s_cselect_b32 s18, -1, 0
	s_bfe_u32 s2, s2, 0x10008
	s_ashr_i32 s17, ttmp9, 31
	s_cmp_eq_u32 s2, 0
                                        ; implicit-def: $sgpr2_sgpr3
	s_cbranch_scc1 .LBB26_3
; %bb.2:
	s_load_b32 s2, s[0:1], 0x20
	s_mul_u64 s[4:5], s[4:5], s[16:17]
	s_delay_alu instid0(SALU_CYCLE_1) | instskip(NEXT) | instid1(SALU_CYCLE_1)
	s_lshl_b64 s[4:5], s[4:5], 2
	s_add_nc_u64 s[4:5], s[14:15], s[4:5]
	s_wait_kmcnt 0x0
	s_ashr_i32 s3, s2, 31
	s_delay_alu instid0(SALU_CYCLE_1) | instskip(NEXT) | instid1(SALU_CYCLE_1)
	s_lshl_b64 s[2:3], s[2:3], 2
	s_add_nc_u64 s[2:3], s[4:5], s[2:3]
.LBB26_3:
	s_clause 0x1
	s_load_b128 s[8:11], s[0:1], 0x0
	s_load_b32 s36, s[0:1], 0x38
	s_mul_u64 s[0:1], s[12:13], s[16:17]
	v_lshlrev_b32_e32 v67, 4, v0
	s_lshl_b64 s[0:1], s[0:1], 4
	s_mov_b32 s28, 32
	s_mov_b32 s26, 48
	;; [unrolled: 1-line block ×3, first 2 shown]
	s_movk_i32 s23, 0x50
	s_wait_kmcnt 0x0
	v_add3_u32 v5, s11, s11, v0
	s_ashr_i32 s5, s10, 31
	s_mov_b32 s4, s10
	s_add_nc_u64 s[0:1], s[8:9], s[0:1]
	s_lshl_b64 s[4:5], s[4:5], 4
	v_add_nc_u32_e32 v7, s11, v5
	v_ashrrev_i32_e32 v6, 31, v5
	s_add_nc_u64 s[0:1], s[0:1], s[4:5]
	s_ashr_i32 s9, s11, 31
	v_add_co_u32 v13, s4, s0, v67
	v_add_nc_u32_e32 v9, s11, v7
	v_ashrrev_i32_e32 v8, 31, v7
	s_mov_b32 s8, s11
	v_lshlrev_b64_e32 v[5:6], 4, v[5:6]
	v_add_co_ci_u32_e64 v14, null, s1, 0, s4
	v_ashrrev_i32_e32 v10, 31, v9
	v_add_nc_u32_e32 v23, s11, v9
	s_lshl_b64 s[8:9], s[8:9], 4
	v_lshlrev_b64_e32 v[19:20], 4, v[7:8]
	v_add_co_u32 v15, vcc_lo, v13, s8
	v_lshlrev_b64_e32 v[25:26], 4, v[9:10]
	v_add_nc_u32_e32 v27, s11, v23
	v_add_co_ci_u32_e64 v16, null, s9, v14, vcc_lo
	v_add_co_u32 v17, vcc_lo, s0, v5
	s_wait_alu 0xfffd
	v_add_co_ci_u32_e64 v18, null, s1, v6, vcc_lo
	v_add_co_u32 v21, vcc_lo, s0, v19
	s_wait_alu 0xfffd
	v_add_co_ci_u32_e64 v22, null, s1, v20, vcc_lo
	v_add_co_u32 v19, vcc_lo, s0, v25
	v_add_nc_u32_e32 v25, s11, v27
	v_ashrrev_i32_e32 v24, 31, v23
	v_ashrrev_i32_e32 v28, 31, v27
	s_wait_alu 0xfffd
	v_add_co_ci_u32_e64 v20, null, s1, v26, vcc_lo
	v_add_nc_u32_e32 v31, s11, v25
	v_ashrrev_i32_e32 v26, 31, v25
	v_lshlrev_b64_e32 v[23:24], 4, v[23:24]
	v_lshlrev_b64_e32 v[27:28], 4, v[27:28]
	global_load_b128 v[1:4], v67, s[0:1]
	v_add_nc_u32_e32 v33, s11, v31
	v_lshlrev_b64_e32 v[29:30], 4, v[25:26]
	v_ashrrev_i32_e32 v32, 31, v31
	v_add_co_u32 v23, vcc_lo, s0, v23
	s_delay_alu instid0(VALU_DEP_4) | instskip(SKIP_3) | instid1(VALU_DEP_3)
	v_add_nc_u32_e32 v35, s11, v33
	s_wait_alu 0xfffd
	v_add_co_ci_u32_e64 v24, null, s1, v24, vcc_lo
	v_add_co_u32 v25, vcc_lo, s0, v27
	v_add_nc_u32_e32 v37, s11, v35
	v_ashrrev_i32_e32 v34, 31, v33
	s_wait_alu 0xfffd
	v_add_co_ci_u32_e64 v26, null, s1, v28, vcc_lo
	v_add_co_u32 v27, vcc_lo, s0, v29
	v_ashrrev_i32_e32 v36, 31, v35
	s_wait_alu 0xfffd
	v_add_co_ci_u32_e64 v28, null, s1, v30, vcc_lo
	v_lshlrev_b64_e32 v[29:30], 4, v[31:32]
	v_ashrrev_i32_e32 v38, 31, v37
	v_lshlrev_b64_e32 v[31:32], 4, v[33:34]
	v_lshlrev_b64_e32 v[33:34], 4, v[35:36]
	s_clause 0x3
	global_load_b128 v[5:8], v[15:16], off
	global_load_b128 v[9:12], v[17:18], off
	;; [unrolled: 1-line block ×4, first 2 shown]
	v_add_co_u32 v29, vcc_lo, s0, v29
	v_lshlrev_b64_e32 v[35:36], 4, v[37:38]
	s_wait_alu 0xfffd
	v_add_co_ci_u32_e64 v30, null, s1, v30, vcc_lo
	v_add_co_u32 v31, vcc_lo, s0, v31
	s_wait_alu 0xfffd
	v_add_co_ci_u32_e64 v32, null, s1, v32, vcc_lo
	v_add_co_u32 v33, vcc_lo, s0, v33
	;; [unrolled: 3-line block ×3, first 2 shown]
	s_wait_alu 0xfffd
	v_add_co_ci_u32_e64 v36, null, s1, v36, vcc_lo
	s_clause 0x6
	global_load_b128 v[76:79], v[23:24], off
	global_load_b128 v[80:83], v[25:26], off
	;; [unrolled: 1-line block ×7, first 2 shown]
	v_add_nc_u32_e32 v37, s11, v37
	s_movk_i32 s4, 0x70
	s_movk_i32 s5, 0x80
	s_wait_alu 0xfffe
	s_add_co_i32 s27, s4, 16
	s_movk_i32 s8, 0x90
	v_add_nc_u32_e32 v39, s11, v37
	v_ashrrev_i32_e32 v38, 31, v37
	s_add_co_i32 s25, s5, 16
	s_wait_alu 0xfffe
	s_add_co_i32 s31, s8, 16
	v_add_nc_u32_e32 v41, s11, v39
	v_ashrrev_i32_e32 v40, 31, v39
	v_lshlrev_b64_e32 v[37:38], 4, v[37:38]
	s_delay_alu instid0(VALU_DEP_3) | instskip(SKIP_1) | instid1(VALU_DEP_4)
	v_add_nc_u32_e32 v43, s11, v41
	v_ashrrev_i32_e32 v42, 31, v41
	v_lshlrev_b64_e32 v[39:40], 4, v[39:40]
	s_delay_alu instid0(VALU_DEP_4) | instskip(NEXT) | instid1(VALU_DEP_4)
	v_add_co_u32 v37, vcc_lo, s0, v37
	v_add_nc_u32_e32 v45, s11, v43
	v_ashrrev_i32_e32 v44, 31, v43
	v_lshlrev_b64_e32 v[41:42], 4, v[41:42]
	s_wait_alu 0xfffd
	v_add_co_ci_u32_e64 v38, null, s1, v38, vcc_lo
	v_add_nc_u32_e32 v47, s11, v45
	v_ashrrev_i32_e32 v46, 31, v45
	v_lshlrev_b64_e32 v[43:44], 4, v[43:44]
	v_add_co_u32 v39, vcc_lo, s0, v39
	s_delay_alu instid0(VALU_DEP_4)
	v_add_nc_u32_e32 v49, s11, v47
	v_ashrrev_i32_e32 v48, 31, v47
	v_lshlrev_b64_e32 v[45:46], 4, v[45:46]
	s_wait_alu 0xfffd
	v_add_co_ci_u32_e64 v40, null, s1, v40, vcc_lo
	v_add_nc_u32_e32 v51, s11, v49
	v_ashrrev_i32_e32 v50, 31, v49
	v_add_co_u32 v41, vcc_lo, s0, v41
	v_lshlrev_b64_e32 v[47:48], 4, v[47:48]
	s_delay_alu instid0(VALU_DEP_4)
	v_add_nc_u32_e32 v53, s11, v51
	v_ashrrev_i32_e32 v52, 31, v51
	s_wait_alu 0xfffd
	v_add_co_ci_u32_e64 v42, null, s1, v42, vcc_lo
	v_add_co_u32 v43, vcc_lo, s0, v43
	v_add_nc_u32_e32 v55, s11, v53
	v_ashrrev_i32_e32 v54, 31, v53
	v_lshlrev_b64_e32 v[49:50], 4, v[49:50]
	s_wait_alu 0xfffd
	v_add_co_ci_u32_e64 v44, null, s1, v44, vcc_lo
	v_add_nc_u32_e32 v57, s11, v55
	v_ashrrev_i32_e32 v56, 31, v55
	v_add_co_u32 v45, vcc_lo, s0, v45
	v_lshlrev_b64_e32 v[51:52], 4, v[51:52]
	s_delay_alu instid0(VALU_DEP_4)
	v_add_nc_u32_e32 v59, s11, v57
	v_ashrrev_i32_e32 v58, 31, v57
	s_wait_alu 0xfffd
	v_add_co_ci_u32_e64 v46, null, s1, v46, vcc_lo
	v_add_co_u32 v47, vcc_lo, s0, v47
	v_add_nc_u32_e32 v61, s11, v59
	v_lshlrev_b64_e32 v[53:54], 4, v[53:54]
	v_ashrrev_i32_e32 v60, 31, v59
	s_wait_alu 0xfffd
	v_add_co_ci_u32_e64 v48, null, s1, v48, vcc_lo
	v_add_nc_u32_e32 v63, s11, v61
	v_add_co_u32 v49, vcc_lo, s0, v49
	v_lshlrev_b64_e32 v[55:56], 4, v[55:56]
	v_ashrrev_i32_e32 v62, 31, v61
	s_delay_alu instid0(VALU_DEP_4)
	v_add_nc_u32_e32 v65, s11, v63
	s_wait_alu 0xfffd
	v_add_co_ci_u32_e64 v50, null, s1, v50, vcc_lo
	v_add_co_u32 v51, vcc_lo, s0, v51
	v_lshlrev_b64_e32 v[57:58], 4, v[57:58]
	v_ashrrev_i32_e32 v64, 31, v63
	s_wait_alu 0xfffd
	v_add_co_ci_u32_e64 v52, null, s1, v52, vcc_lo
	v_add_co_u32 v53, vcc_lo, s0, v53
	v_lshlrev_b64_e32 v[59:60], 4, v[59:60]
	v_ashrrev_i32_e32 v66, 31, v65
	s_wait_alu 0xfffd
	v_add_co_ci_u32_e64 v54, null, s1, v54, vcc_lo
	v_add_co_u32 v55, vcc_lo, s0, v55
	v_lshlrev_b64_e32 v[61:62], 4, v[61:62]
	s_wait_alu 0xfffd
	v_add_co_ci_u32_e64 v56, null, s1, v56, vcc_lo
	v_add_co_u32 v57, vcc_lo, s0, v57
	v_lshlrev_b64_e32 v[63:64], 4, v[63:64]
	;; [unrolled: 4-line block ×3, first 2 shown]
	s_wait_alu 0xfffd
	v_add_co_ci_u32_e64 v60, null, s1, v60, vcc_lo
	v_add_co_u32 v61, vcc_lo, s0, v61
	s_wait_alu 0xfffd
	v_add_co_ci_u32_e64 v62, null, s1, v62, vcc_lo
	v_add_co_u32 v63, vcc_lo, s0, v63
	;; [unrolled: 3-line block ×3, first 2 shown]
	s_wait_alu 0xfffd
	v_add_co_ci_u32_e64 v66, null, s1, v66, vcc_lo
	s_clause 0x2
	global_load_b128 v[104:107], v[37:38], off
	global_load_b128 v[108:111], v[39:40], off
	;; [unrolled: 1-line block ×3, first 2 shown]
	s_movk_i32 s0, 0x50
	s_movk_i32 s1, 0x60
	s_wait_alu 0xfffe
	s_add_co_i32 s30, s0, 16
	s_movk_i32 s0, 0xa0
	s_add_co_i32 s29, s1, 16
	s_movk_i32 s1, 0xb0
	s_wait_alu 0xfffe
	s_add_co_i32 s34, s0, 16
	s_movk_i32 s0, 0xc0
	s_add_co_i32 s33, s1, 16
	;; [unrolled: 5-line block ×9, first 2 shown]
	s_wait_alu 0xfffe
	s_add_co_i32 s14, s0, 16
	s_bitcmp0_b32 s36, 0
	s_mov_b32 s1, -1
	s_wait_loadcnt 0xe
	scratch_store_b128 off, v[1:4], off offset:16
	s_wait_loadcnt 0xd
	scratch_store_b128 off, v[5:8], off offset:32
	s_clause 0x1
	global_load_b128 v[1:4], v[43:44], off
	global_load_b128 v[5:8], v[45:46], off
	s_wait_loadcnt 0xe
	scratch_store_b128 off, v[9:12], off offset:48
	s_wait_loadcnt 0xd
	scratch_store_b128 off, v[68:71], off offset:64
	s_clause 0x1
	global_load_b128 v[9:12], v[47:48], off
	global_load_b128 v[68:71], v[49:50], off
	s_wait_loadcnt 0xe
	scratch_store_b128 off, v[72:75], off offset:80
	global_load_b128 v[72:75], v[51:52], off
	s_wait_loadcnt 0xe
	scratch_store_b128 off, v[76:79], off offset:96
	;; [unrolled: 3-line block ×3, first 2 shown]
	s_wait_loadcnt 0xd
	scratch_store_b128 off, v[84:87], off offset:128
	s_clause 0x1
	global_load_b128 v[80:83], v[55:56], off
	global_load_b128 v[84:87], v[57:58], off
	s_wait_loadcnt 0xe
	scratch_store_b128 off, v[88:91], off offset:144
	s_wait_loadcnt 0xd
	scratch_store_b128 off, v[92:95], off offset:160
	s_clause 0x1
	global_load_b128 v[88:91], v[59:60], off
	global_load_b128 v[92:95], v[61:62], off
	s_wait_loadcnt 0xe
	scratch_store_b128 off, v[96:99], off offset:176
	;; [unrolled: 7-line block ×3, first 2 shown]
	s_wait_loadcnt 0xd
	scratch_store_b128 off, v[108:111], off offset:224
	s_wait_loadcnt 0xc
	scratch_store_b128 off, v[112:115], off offset:240
	;; [unrolled: 2-line block ×14, first 2 shown]
	s_cbranch_scc1 .LBB26_120
; %bb.4:
	v_cmp_eq_u32_e64 s0, 0, v0
	s_and_saveexec_b32 s1, s0
; %bb.5:
	v_mov_b32_e32 v1, 0
	ds_store_b32 v1, v1 offset:864
; %bb.6:
	s_wait_alu 0xfffe
	s_or_b32 exec_lo, exec_lo, s1
	s_wait_storecnt_dscnt 0x0
	s_barrier_signal -1
	s_barrier_wait -1
	global_inv scope:SCOPE_SE
	scratch_load_b128 v[1:4], v67, off offset:16
	s_wait_loadcnt 0x0
	v_cmp_eq_f64_e32 vcc_lo, 0, v[1:2]
	v_cmp_eq_f64_e64 s1, 0, v[3:4]
	s_and_b32 s1, vcc_lo, s1
	s_wait_alu 0xfffe
	s_and_saveexec_b32 s36, s1
	s_cbranch_execz .LBB26_10
; %bb.7:
	v_mov_b32_e32 v1, 0
	s_mov_b32 s37, 0
	ds_load_b32 v2, v1 offset:864
	s_wait_dscnt 0x0
	v_readfirstlane_b32 s1, v2
	v_add_nc_u32_e32 v2, 1, v0
	s_cmp_eq_u32 s1, 0
	s_delay_alu instid0(VALU_DEP_1) | instskip(SKIP_1) | instid1(SALU_CYCLE_1)
	v_cmp_gt_i32_e32 vcc_lo, s1, v2
	s_cselect_b32 s38, -1, 0
	s_or_b32 s38, s38, vcc_lo
	s_delay_alu instid0(SALU_CYCLE_1)
	s_and_b32 exec_lo, exec_lo, s38
	s_cbranch_execz .LBB26_10
; %bb.8:
	v_mov_b32_e32 v3, s1
.LBB26_9:                               ; =>This Inner Loop Header: Depth=1
	ds_cmpstore_rtn_b32 v3, v1, v2, v3 offset:864
	s_wait_dscnt 0x0
	v_cmp_ne_u32_e32 vcc_lo, 0, v3
	v_cmp_le_i32_e64 s1, v3, v2
	s_and_b32 s1, vcc_lo, s1
	s_wait_alu 0xfffe
	s_and_b32 s1, exec_lo, s1
	s_wait_alu 0xfffe
	s_or_b32 s37, s1, s37
	s_delay_alu instid0(SALU_CYCLE_1)
	s_and_not1_b32 exec_lo, exec_lo, s37
	s_cbranch_execnz .LBB26_9
.LBB26_10:
	s_or_b32 exec_lo, exec_lo, s36
	v_mov_b32_e32 v1, 0
	s_barrier_signal -1
	s_barrier_wait -1
	global_inv scope:SCOPE_SE
	ds_load_b32 v2, v1 offset:864
	s_and_saveexec_b32 s1, s0
	s_cbranch_execz .LBB26_12
; %bb.11:
	s_lshl_b64 s[36:37], s[16:17], 2
	s_delay_alu instid0(SALU_CYCLE_1)
	s_add_nc_u64 s[36:37], s[6:7], s[36:37]
	s_wait_dscnt 0x0
	global_store_b32 v1, v2, s[36:37]
.LBB26_12:
	s_wait_alu 0xfffe
	s_or_b32 exec_lo, exec_lo, s1
	s_wait_dscnt 0x0
	v_cmp_ne_u32_e32 vcc_lo, 0, v2
	s_mov_b32 s1, 0
	s_cbranch_vccnz .LBB26_120
; %bb.13:
	v_add_nc_u32_e32 v68, 16, v67
                                        ; implicit-def: $vgpr1_vgpr2
                                        ; implicit-def: $vgpr9_vgpr10
	scratch_load_b128 v[5:8], v68, off
	s_wait_loadcnt 0x0
	v_cmp_ngt_f64_e64 s1, |v[5:6]|, |v[7:8]|
	s_wait_alu 0xfffe
	s_and_saveexec_b32 s36, s1
	s_delay_alu instid0(SALU_CYCLE_1)
	s_xor_b32 s1, exec_lo, s36
	s_cbranch_execz .LBB26_15
; %bb.14:
	v_div_scale_f64 v[1:2], null, v[7:8], v[7:8], v[5:6]
	v_div_scale_f64 v[11:12], vcc_lo, v[5:6], v[7:8], v[5:6]
	s_delay_alu instid0(VALU_DEP_2) | instskip(NEXT) | instid1(TRANS32_DEP_1)
	v_rcp_f64_e32 v[3:4], v[1:2]
	v_fma_f64 v[9:10], -v[1:2], v[3:4], 1.0
	s_delay_alu instid0(VALU_DEP_1) | instskip(NEXT) | instid1(VALU_DEP_1)
	v_fma_f64 v[3:4], v[3:4], v[9:10], v[3:4]
	v_fma_f64 v[9:10], -v[1:2], v[3:4], 1.0
	s_delay_alu instid0(VALU_DEP_1) | instskip(NEXT) | instid1(VALU_DEP_1)
	v_fma_f64 v[3:4], v[3:4], v[9:10], v[3:4]
	v_mul_f64_e32 v[9:10], v[11:12], v[3:4]
	s_delay_alu instid0(VALU_DEP_1) | instskip(SKIP_1) | instid1(VALU_DEP_1)
	v_fma_f64 v[1:2], -v[1:2], v[9:10], v[11:12]
	s_wait_alu 0xfffd
	v_div_fmas_f64 v[1:2], v[1:2], v[3:4], v[9:10]
	s_delay_alu instid0(VALU_DEP_1) | instskip(NEXT) | instid1(VALU_DEP_1)
	v_div_fixup_f64 v[1:2], v[1:2], v[7:8], v[5:6]
	v_fma_f64 v[3:4], v[5:6], v[1:2], v[7:8]
	s_delay_alu instid0(VALU_DEP_1) | instskip(SKIP_1) | instid1(VALU_DEP_2)
	v_div_scale_f64 v[5:6], null, v[3:4], v[3:4], 1.0
	v_div_scale_f64 v[11:12], vcc_lo, 1.0, v[3:4], 1.0
	v_rcp_f64_e32 v[7:8], v[5:6]
	s_delay_alu instid0(TRANS32_DEP_1) | instskip(NEXT) | instid1(VALU_DEP_1)
	v_fma_f64 v[9:10], -v[5:6], v[7:8], 1.0
	v_fma_f64 v[7:8], v[7:8], v[9:10], v[7:8]
	s_delay_alu instid0(VALU_DEP_1) | instskip(NEXT) | instid1(VALU_DEP_1)
	v_fma_f64 v[9:10], -v[5:6], v[7:8], 1.0
	v_fma_f64 v[7:8], v[7:8], v[9:10], v[7:8]
	s_delay_alu instid0(VALU_DEP_1) | instskip(NEXT) | instid1(VALU_DEP_1)
	v_mul_f64_e32 v[9:10], v[11:12], v[7:8]
	v_fma_f64 v[5:6], -v[5:6], v[9:10], v[11:12]
	s_wait_alu 0xfffd
	s_delay_alu instid0(VALU_DEP_1) | instskip(NEXT) | instid1(VALU_DEP_1)
	v_div_fmas_f64 v[5:6], v[5:6], v[7:8], v[9:10]
	v_div_fixup_f64 v[3:4], v[5:6], v[3:4], 1.0
                                        ; implicit-def: $vgpr5_vgpr6
	s_delay_alu instid0(VALU_DEP_1) | instskip(SKIP_1) | instid1(VALU_DEP_2)
	v_mul_f64_e32 v[1:2], v[1:2], v[3:4]
	v_xor_b32_e32 v4, 0x80000000, v4
	v_xor_b32_e32 v10, 0x80000000, v2
	s_delay_alu instid0(VALU_DEP_3)
	v_mov_b32_e32 v9, v1
.LBB26_15:
	s_wait_alu 0xfffe
	s_and_not1_saveexec_b32 s1, s1
	s_cbranch_execz .LBB26_17
; %bb.16:
	v_div_scale_f64 v[1:2], null, v[5:6], v[5:6], v[7:8]
	v_div_scale_f64 v[11:12], vcc_lo, v[7:8], v[5:6], v[7:8]
	s_delay_alu instid0(VALU_DEP_2) | instskip(NEXT) | instid1(TRANS32_DEP_1)
	v_rcp_f64_e32 v[3:4], v[1:2]
	v_fma_f64 v[9:10], -v[1:2], v[3:4], 1.0
	s_delay_alu instid0(VALU_DEP_1) | instskip(NEXT) | instid1(VALU_DEP_1)
	v_fma_f64 v[3:4], v[3:4], v[9:10], v[3:4]
	v_fma_f64 v[9:10], -v[1:2], v[3:4], 1.0
	s_delay_alu instid0(VALU_DEP_1) | instskip(NEXT) | instid1(VALU_DEP_1)
	v_fma_f64 v[3:4], v[3:4], v[9:10], v[3:4]
	v_mul_f64_e32 v[9:10], v[11:12], v[3:4]
	s_delay_alu instid0(VALU_DEP_1) | instskip(SKIP_1) | instid1(VALU_DEP_1)
	v_fma_f64 v[1:2], -v[1:2], v[9:10], v[11:12]
	s_wait_alu 0xfffd
	v_div_fmas_f64 v[1:2], v[1:2], v[3:4], v[9:10]
	s_delay_alu instid0(VALU_DEP_1) | instskip(NEXT) | instid1(VALU_DEP_1)
	v_div_fixup_f64 v[3:4], v[1:2], v[5:6], v[7:8]
	v_fma_f64 v[1:2], v[7:8], v[3:4], v[5:6]
	s_delay_alu instid0(VALU_DEP_1) | instskip(NEXT) | instid1(VALU_DEP_1)
	v_div_scale_f64 v[5:6], null, v[1:2], v[1:2], 1.0
	v_rcp_f64_e32 v[7:8], v[5:6]
	s_delay_alu instid0(TRANS32_DEP_1) | instskip(NEXT) | instid1(VALU_DEP_1)
	v_fma_f64 v[9:10], -v[5:6], v[7:8], 1.0
	v_fma_f64 v[7:8], v[7:8], v[9:10], v[7:8]
	s_delay_alu instid0(VALU_DEP_1) | instskip(NEXT) | instid1(VALU_DEP_1)
	v_fma_f64 v[9:10], -v[5:6], v[7:8], 1.0
	v_fma_f64 v[7:8], v[7:8], v[9:10], v[7:8]
	v_div_scale_f64 v[9:10], vcc_lo, 1.0, v[1:2], 1.0
	s_delay_alu instid0(VALU_DEP_1) | instskip(NEXT) | instid1(VALU_DEP_1)
	v_mul_f64_e32 v[11:12], v[9:10], v[7:8]
	v_fma_f64 v[5:6], -v[5:6], v[11:12], v[9:10]
	s_wait_alu 0xfffd
	s_delay_alu instid0(VALU_DEP_1) | instskip(NEXT) | instid1(VALU_DEP_1)
	v_div_fmas_f64 v[5:6], v[5:6], v[7:8], v[11:12]
	v_div_fixup_f64 v[1:2], v[5:6], v[1:2], 1.0
	s_delay_alu instid0(VALU_DEP_1)
	v_mul_f64_e64 v[3:4], v[3:4], -v[1:2]
	v_xor_b32_e32 v10, 0x80000000, v2
	v_mov_b32_e32 v9, v1
.LBB26_17:
	s_wait_alu 0xfffe
	s_or_b32 exec_lo, exec_lo, s1
	scratch_store_b128 v68, v[1:4], off
	scratch_load_b128 v[69:72], off, s28
	v_xor_b32_e32 v12, 0x80000000, v4
	v_mov_b32_e32 v11, v3
	v_add_nc_u32_e32 v5, 0x1b0, v67
	ds_store_b128 v67, v[9:12]
	s_wait_loadcnt 0x0
	ds_store_b128 v67, v[69:72] offset:432
	s_wait_storecnt_dscnt 0x0
	s_barrier_signal -1
	s_barrier_wait -1
	global_inv scope:SCOPE_SE
	s_and_saveexec_b32 s1, s0
	s_cbranch_execz .LBB26_19
; %bb.18:
	scratch_load_b128 v[1:4], v68, off
	ds_load_b128 v[6:9], v5
	v_mov_b32_e32 v10, 0
	ds_load_b128 v[69:72], v10 offset:16
	s_wait_loadcnt_dscnt 0x1
	v_mul_f64_e32 v[10:11], v[6:7], v[3:4]
	v_mul_f64_e32 v[3:4], v[8:9], v[3:4]
	s_delay_alu instid0(VALU_DEP_2) | instskip(NEXT) | instid1(VALU_DEP_2)
	v_fma_f64 v[8:9], v[8:9], v[1:2], v[10:11]
	v_fma_f64 v[1:2], v[6:7], v[1:2], -v[3:4]
	s_delay_alu instid0(VALU_DEP_2) | instskip(NEXT) | instid1(VALU_DEP_2)
	v_add_f64_e32 v[3:4], 0, v[8:9]
	v_add_f64_e32 v[1:2], 0, v[1:2]
	s_wait_dscnt 0x0
	s_delay_alu instid0(VALU_DEP_2) | instskip(NEXT) | instid1(VALU_DEP_2)
	v_mul_f64_e32 v[6:7], v[3:4], v[71:72]
	v_mul_f64_e32 v[8:9], v[1:2], v[71:72]
	s_delay_alu instid0(VALU_DEP_2) | instskip(NEXT) | instid1(VALU_DEP_2)
	v_fma_f64 v[1:2], v[1:2], v[69:70], -v[6:7]
	v_fma_f64 v[3:4], v[3:4], v[69:70], v[8:9]
	scratch_store_b128 off, v[1:4], off offset:32
.LBB26_19:
	s_wait_alu 0xfffe
	s_or_b32 exec_lo, exec_lo, s1
	s_wait_loadcnt 0x0
	s_wait_storecnt 0x0
	s_barrier_signal -1
	s_barrier_wait -1
	global_inv scope:SCOPE_SE
	scratch_load_b128 v[1:4], off, s26
	s_mov_b32 s1, exec_lo
	s_wait_loadcnt 0x0
	ds_store_b128 v5, v[1:4]
	s_wait_dscnt 0x0
	s_barrier_signal -1
	s_barrier_wait -1
	global_inv scope:SCOPE_SE
	v_cmpx_gt_u32_e32 2, v0
	s_cbranch_execz .LBB26_23
; %bb.20:
	scratch_load_b128 v[1:4], v68, off
	ds_load_b128 v[6:9], v5
	s_wait_loadcnt_dscnt 0x0
	v_mul_f64_e32 v[10:11], v[8:9], v[3:4]
	v_mul_f64_e32 v[3:4], v[6:7], v[3:4]
	s_delay_alu instid0(VALU_DEP_2) | instskip(NEXT) | instid1(VALU_DEP_2)
	v_fma_f64 v[6:7], v[6:7], v[1:2], -v[10:11]
	v_fma_f64 v[3:4], v[8:9], v[1:2], v[3:4]
	s_delay_alu instid0(VALU_DEP_2) | instskip(NEXT) | instid1(VALU_DEP_2)
	v_add_f64_e32 v[1:2], 0, v[6:7]
	v_add_f64_e32 v[3:4], 0, v[3:4]
	s_and_saveexec_b32 s36, s0
	s_cbranch_execz .LBB26_22
; %bb.21:
	scratch_load_b128 v[6:9], off, off offset:32
	v_mov_b32_e32 v10, 0
	ds_load_b128 v[69:72], v10 offset:448
	s_wait_loadcnt_dscnt 0x0
	v_mul_f64_e32 v[10:11], v[69:70], v[8:9]
	v_mul_f64_e32 v[8:9], v[71:72], v[8:9]
	s_delay_alu instid0(VALU_DEP_2) | instskip(NEXT) | instid1(VALU_DEP_2)
	v_fma_f64 v[10:11], v[71:72], v[6:7], v[10:11]
	v_fma_f64 v[6:7], v[69:70], v[6:7], -v[8:9]
	s_delay_alu instid0(VALU_DEP_2) | instskip(NEXT) | instid1(VALU_DEP_2)
	v_add_f64_e32 v[3:4], v[3:4], v[10:11]
	v_add_f64_e32 v[1:2], v[1:2], v[6:7]
.LBB26_22:
	s_or_b32 exec_lo, exec_lo, s36
	v_mov_b32_e32 v6, 0
	ds_load_b128 v[6:9], v6 offset:32
	s_wait_dscnt 0x0
	v_mul_f64_e32 v[10:11], v[3:4], v[8:9]
	v_mul_f64_e32 v[8:9], v[1:2], v[8:9]
	s_delay_alu instid0(VALU_DEP_2) | instskip(NEXT) | instid1(VALU_DEP_2)
	v_fma_f64 v[1:2], v[1:2], v[6:7], -v[10:11]
	v_fma_f64 v[3:4], v[3:4], v[6:7], v[8:9]
	scratch_store_b128 off, v[1:4], off offset:48
.LBB26_23:
	s_wait_alu 0xfffe
	s_or_b32 exec_lo, exec_lo, s1
	s_wait_loadcnt 0x0
	s_wait_storecnt 0x0
	s_barrier_signal -1
	s_barrier_wait -1
	global_inv scope:SCOPE_SE
	scratch_load_b128 v[1:4], off, s24
	v_add_nc_u32_e32 v6, -1, v0
	s_mov_b32 s0, exec_lo
	s_wait_loadcnt 0x0
	ds_store_b128 v5, v[1:4]
	s_wait_dscnt 0x0
	s_barrier_signal -1
	s_barrier_wait -1
	global_inv scope:SCOPE_SE
	v_cmpx_gt_u32_e32 3, v0
	s_cbranch_execz .LBB26_27
; %bb.24:
	v_dual_mov_b32 v1, 0 :: v_dual_add_nc_u32 v8, 0x1b0, v67
	v_mov_b32_e32 v3, 0
	v_dual_mov_b32 v2, 0 :: v_dual_add_nc_u32 v7, -1, v0
	v_mov_b32_e32 v4, 0
	v_or_b32_e32 v9, 8, v68
	s_mov_b32 s1, 0
.LBB26_25:                              ; =>This Inner Loop Header: Depth=1
	scratch_load_b128 v[69:72], v9, off offset:-8
	ds_load_b128 v[73:76], v8
	v_add_nc_u32_e32 v7, 1, v7
	v_add_nc_u32_e32 v8, 16, v8
	v_add_nc_u32_e32 v9, 16, v9
	s_delay_alu instid0(VALU_DEP_3)
	v_cmp_lt_u32_e32 vcc_lo, 1, v7
	s_wait_alu 0xfffe
	s_or_b32 s1, vcc_lo, s1
	s_wait_loadcnt_dscnt 0x0
	v_mul_f64_e32 v[10:11], v[75:76], v[71:72]
	v_mul_f64_e32 v[71:72], v[73:74], v[71:72]
	s_delay_alu instid0(VALU_DEP_2) | instskip(NEXT) | instid1(VALU_DEP_2)
	v_fma_f64 v[10:11], v[73:74], v[69:70], -v[10:11]
	v_fma_f64 v[69:70], v[75:76], v[69:70], v[71:72]
	s_delay_alu instid0(VALU_DEP_2) | instskip(NEXT) | instid1(VALU_DEP_2)
	v_add_f64_e32 v[3:4], v[3:4], v[10:11]
	v_add_f64_e32 v[1:2], v[1:2], v[69:70]
	s_wait_alu 0xfffe
	s_and_not1_b32 exec_lo, exec_lo, s1
	s_cbranch_execnz .LBB26_25
; %bb.26:
	s_or_b32 exec_lo, exec_lo, s1
	v_mov_b32_e32 v7, 0
	ds_load_b128 v[7:10], v7 offset:48
	s_wait_dscnt 0x0
	v_mul_f64_e32 v[11:12], v[1:2], v[9:10]
	v_mul_f64_e32 v[69:70], v[3:4], v[9:10]
	s_delay_alu instid0(VALU_DEP_2) | instskip(NEXT) | instid1(VALU_DEP_2)
	v_fma_f64 v[9:10], v[3:4], v[7:8], -v[11:12]
	v_fma_f64 v[11:12], v[1:2], v[7:8], v[69:70]
	scratch_store_b128 off, v[9:12], off offset:64
.LBB26_27:
	s_wait_alu 0xfffe
	s_or_b32 exec_lo, exec_lo, s0
	s_wait_loadcnt 0x0
	s_wait_storecnt 0x0
	s_barrier_signal -1
	s_barrier_wait -1
	global_inv scope:SCOPE_SE
	scratch_load_b128 v[1:4], off, s23
	s_mov_b32 s0, exec_lo
	s_wait_loadcnt 0x0
	ds_store_b128 v5, v[1:4]
	s_wait_dscnt 0x0
	s_barrier_signal -1
	s_barrier_wait -1
	global_inv scope:SCOPE_SE
	v_cmpx_gt_u32_e32 4, v0
	s_cbranch_execz .LBB26_31
; %bb.28:
	v_dual_mov_b32 v1, 0 :: v_dual_add_nc_u32 v8, 0x1b0, v67
	v_mov_b32_e32 v3, 0
	v_dual_mov_b32 v2, 0 :: v_dual_add_nc_u32 v7, -1, v0
	v_mov_b32_e32 v4, 0
	v_or_b32_e32 v9, 8, v68
	s_mov_b32 s1, 0
.LBB26_29:                              ; =>This Inner Loop Header: Depth=1
	scratch_load_b128 v[69:72], v9, off offset:-8
	ds_load_b128 v[73:76], v8
	v_add_nc_u32_e32 v7, 1, v7
	v_add_nc_u32_e32 v8, 16, v8
	v_add_nc_u32_e32 v9, 16, v9
	s_delay_alu instid0(VALU_DEP_3)
	v_cmp_lt_u32_e32 vcc_lo, 2, v7
	s_wait_alu 0xfffe
	s_or_b32 s1, vcc_lo, s1
	s_wait_loadcnt_dscnt 0x0
	v_mul_f64_e32 v[10:11], v[75:76], v[71:72]
	v_mul_f64_e32 v[71:72], v[73:74], v[71:72]
	s_delay_alu instid0(VALU_DEP_2) | instskip(NEXT) | instid1(VALU_DEP_2)
	v_fma_f64 v[10:11], v[73:74], v[69:70], -v[10:11]
	v_fma_f64 v[69:70], v[75:76], v[69:70], v[71:72]
	s_delay_alu instid0(VALU_DEP_2) | instskip(NEXT) | instid1(VALU_DEP_2)
	v_add_f64_e32 v[3:4], v[3:4], v[10:11]
	v_add_f64_e32 v[1:2], v[1:2], v[69:70]
	s_wait_alu 0xfffe
	s_and_not1_b32 exec_lo, exec_lo, s1
	s_cbranch_execnz .LBB26_29
; %bb.30:
	s_or_b32 exec_lo, exec_lo, s1
	v_mov_b32_e32 v7, 0
	ds_load_b128 v[7:10], v7 offset:64
	s_wait_dscnt 0x0
	v_mul_f64_e32 v[11:12], v[1:2], v[9:10]
	v_mul_f64_e32 v[69:70], v[3:4], v[9:10]
	s_delay_alu instid0(VALU_DEP_2) | instskip(NEXT) | instid1(VALU_DEP_2)
	v_fma_f64 v[9:10], v[3:4], v[7:8], -v[11:12]
	v_fma_f64 v[11:12], v[1:2], v[7:8], v[69:70]
	scratch_store_b128 off, v[9:12], off offset:80
.LBB26_31:
	s_wait_alu 0xfffe
	s_or_b32 exec_lo, exec_lo, s0
	s_wait_loadcnt 0x0
	s_wait_storecnt 0x0
	s_barrier_signal -1
	s_barrier_wait -1
	global_inv scope:SCOPE_SE
	scratch_load_b128 v[1:4], off, s30
	;; [unrolled: 58-line block ×19, first 2 shown]
	s_mov_b32 s0, exec_lo
	s_wait_loadcnt 0x0
	ds_store_b128 v5, v[1:4]
	s_wait_dscnt 0x0
	s_barrier_signal -1
	s_barrier_wait -1
	global_inv scope:SCOPE_SE
	v_cmpx_gt_u32_e32 22, v0
	s_cbranch_execz .LBB26_103
; %bb.100:
	v_dual_mov_b32 v1, 0 :: v_dual_add_nc_u32 v8, 0x1b0, v67
	v_mov_b32_e32 v3, 0
	v_dual_mov_b32 v2, 0 :: v_dual_add_nc_u32 v7, -1, v0
	v_mov_b32_e32 v4, 0
	v_or_b32_e32 v9, 8, v68
	s_mov_b32 s1, 0
.LBB26_101:                             ; =>This Inner Loop Header: Depth=1
	scratch_load_b128 v[69:72], v9, off offset:-8
	ds_load_b128 v[73:76], v8
	v_add_nc_u32_e32 v7, 1, v7
	v_add_nc_u32_e32 v8, 16, v8
	v_add_nc_u32_e32 v9, 16, v9
	s_delay_alu instid0(VALU_DEP_3)
	v_cmp_lt_u32_e32 vcc_lo, 20, v7
	s_wait_alu 0xfffe
	s_or_b32 s1, vcc_lo, s1
	s_wait_loadcnt_dscnt 0x0
	v_mul_f64_e32 v[10:11], v[75:76], v[71:72]
	v_mul_f64_e32 v[71:72], v[73:74], v[71:72]
	s_delay_alu instid0(VALU_DEP_2) | instskip(NEXT) | instid1(VALU_DEP_2)
	v_fma_f64 v[10:11], v[73:74], v[69:70], -v[10:11]
	v_fma_f64 v[69:70], v[75:76], v[69:70], v[71:72]
	s_delay_alu instid0(VALU_DEP_2) | instskip(NEXT) | instid1(VALU_DEP_2)
	v_add_f64_e32 v[3:4], v[3:4], v[10:11]
	v_add_f64_e32 v[1:2], v[1:2], v[69:70]
	s_wait_alu 0xfffe
	s_and_not1_b32 exec_lo, exec_lo, s1
	s_cbranch_execnz .LBB26_101
; %bb.102:
	s_or_b32 exec_lo, exec_lo, s1
	v_mov_b32_e32 v7, 0
	ds_load_b128 v[7:10], v7 offset:352
	s_wait_dscnt 0x0
	v_mul_f64_e32 v[11:12], v[1:2], v[9:10]
	v_mul_f64_e32 v[69:70], v[3:4], v[9:10]
	s_delay_alu instid0(VALU_DEP_2) | instskip(NEXT) | instid1(VALU_DEP_2)
	v_fma_f64 v[9:10], v[3:4], v[7:8], -v[11:12]
	v_fma_f64 v[11:12], v[1:2], v[7:8], v[69:70]
	scratch_store_b128 off, v[9:12], off offset:368
.LBB26_103:
	s_wait_alu 0xfffe
	s_or_b32 exec_lo, exec_lo, s0
	s_wait_loadcnt 0x0
	s_wait_storecnt 0x0
	s_barrier_signal -1
	s_barrier_wait -1
	global_inv scope:SCOPE_SE
	scratch_load_b128 v[1:4], off, s8
	s_mov_b32 s0, exec_lo
	s_wait_loadcnt 0x0
	ds_store_b128 v5, v[1:4]
	s_wait_dscnt 0x0
	s_barrier_signal -1
	s_barrier_wait -1
	global_inv scope:SCOPE_SE
	v_cmpx_gt_u32_e32 23, v0
	s_cbranch_execz .LBB26_107
; %bb.104:
	v_dual_mov_b32 v1, 0 :: v_dual_add_nc_u32 v8, 0x1b0, v67
	v_mov_b32_e32 v3, 0
	v_dual_mov_b32 v2, 0 :: v_dual_add_nc_u32 v7, -1, v0
	v_mov_b32_e32 v4, 0
	v_or_b32_e32 v9, 8, v68
	s_mov_b32 s1, 0
.LBB26_105:                             ; =>This Inner Loop Header: Depth=1
	scratch_load_b128 v[69:72], v9, off offset:-8
	ds_load_b128 v[73:76], v8
	v_add_nc_u32_e32 v7, 1, v7
	v_add_nc_u32_e32 v8, 16, v8
	v_add_nc_u32_e32 v9, 16, v9
	s_delay_alu instid0(VALU_DEP_3)
	v_cmp_lt_u32_e32 vcc_lo, 21, v7
	s_wait_alu 0xfffe
	s_or_b32 s1, vcc_lo, s1
	s_wait_loadcnt_dscnt 0x0
	v_mul_f64_e32 v[10:11], v[75:76], v[71:72]
	v_mul_f64_e32 v[71:72], v[73:74], v[71:72]
	s_delay_alu instid0(VALU_DEP_2) | instskip(NEXT) | instid1(VALU_DEP_2)
	v_fma_f64 v[10:11], v[73:74], v[69:70], -v[10:11]
	v_fma_f64 v[69:70], v[75:76], v[69:70], v[71:72]
	s_delay_alu instid0(VALU_DEP_2) | instskip(NEXT) | instid1(VALU_DEP_2)
	v_add_f64_e32 v[3:4], v[3:4], v[10:11]
	v_add_f64_e32 v[1:2], v[1:2], v[69:70]
	s_wait_alu 0xfffe
	s_and_not1_b32 exec_lo, exec_lo, s1
	s_cbranch_execnz .LBB26_105
; %bb.106:
	s_or_b32 exec_lo, exec_lo, s1
	v_mov_b32_e32 v7, 0
	ds_load_b128 v[7:10], v7 offset:368
	s_wait_dscnt 0x0
	v_mul_f64_e32 v[11:12], v[1:2], v[9:10]
	v_mul_f64_e32 v[69:70], v[3:4], v[9:10]
	s_delay_alu instid0(VALU_DEP_2) | instskip(NEXT) | instid1(VALU_DEP_2)
	v_fma_f64 v[9:10], v[3:4], v[7:8], -v[11:12]
	v_fma_f64 v[11:12], v[1:2], v[7:8], v[69:70]
	scratch_store_b128 off, v[9:12], off offset:384
.LBB26_107:
	s_wait_alu 0xfffe
	s_or_b32 exec_lo, exec_lo, s0
	s_wait_loadcnt 0x0
	s_wait_storecnt 0x0
	s_barrier_signal -1
	s_barrier_wait -1
	global_inv scope:SCOPE_SE
	scratch_load_b128 v[1:4], off, s13
	;; [unrolled: 58-line block ×4, first 2 shown]
	s_mov_b32 s0, exec_lo
	s_wait_loadcnt 0x0
	ds_store_b128 v5, v[1:4]
	s_wait_dscnt 0x0
	s_barrier_signal -1
	s_barrier_wait -1
	global_inv scope:SCOPE_SE
	v_cmpx_ne_u32_e32 26, v0
	s_cbranch_execz .LBB26_119
; %bb.116:
	v_mov_b32_e32 v1, 0
	v_dual_mov_b32 v2, 0 :: v_dual_mov_b32 v3, 0
	v_mov_b32_e32 v4, 0
	v_or_b32_e32 v7, 8, v68
	s_mov_b32 s1, 0
.LBB26_117:                             ; =>This Inner Loop Header: Depth=1
	scratch_load_b128 v[8:11], v7, off offset:-8
	ds_load_b128 v[67:70], v5
	v_add_nc_u32_e32 v6, 1, v6
	v_add_nc_u32_e32 v5, 16, v5
	;; [unrolled: 1-line block ×3, first 2 shown]
	s_delay_alu instid0(VALU_DEP_3)
	v_cmp_lt_u32_e32 vcc_lo, 24, v6
	s_wait_alu 0xfffe
	s_or_b32 s1, vcc_lo, s1
	s_wait_loadcnt_dscnt 0x0
	v_mul_f64_e32 v[71:72], v[69:70], v[10:11]
	v_mul_f64_e32 v[10:11], v[67:68], v[10:11]
	s_delay_alu instid0(VALU_DEP_2) | instskip(NEXT) | instid1(VALU_DEP_2)
	v_fma_f64 v[67:68], v[67:68], v[8:9], -v[71:72]
	v_fma_f64 v[8:9], v[69:70], v[8:9], v[10:11]
	s_delay_alu instid0(VALU_DEP_2) | instskip(NEXT) | instid1(VALU_DEP_2)
	v_add_f64_e32 v[3:4], v[3:4], v[67:68]
	v_add_f64_e32 v[1:2], v[1:2], v[8:9]
	s_wait_alu 0xfffe
	s_and_not1_b32 exec_lo, exec_lo, s1
	s_cbranch_execnz .LBB26_117
; %bb.118:
	s_or_b32 exec_lo, exec_lo, s1
	v_mov_b32_e32 v5, 0
	ds_load_b128 v[5:8], v5 offset:416
	s_wait_dscnt 0x0
	v_mul_f64_e32 v[9:10], v[1:2], v[7:8]
	v_mul_f64_e32 v[7:8], v[3:4], v[7:8]
	s_delay_alu instid0(VALU_DEP_2) | instskip(NEXT) | instid1(VALU_DEP_2)
	v_fma_f64 v[3:4], v[3:4], v[5:6], -v[9:10]
	v_fma_f64 v[5:6], v[1:2], v[5:6], v[7:8]
	scratch_store_b128 off, v[3:6], off offset:432
.LBB26_119:
	s_wait_alu 0xfffe
	s_or_b32 exec_lo, exec_lo, s0
	s_mov_b32 s1, -1
	s_wait_loadcnt 0x0
	s_wait_storecnt 0x0
	s_barrier_signal -1
	s_barrier_wait -1
	global_inv scope:SCOPE_SE
.LBB26_120:
	s_wait_alu 0xfffe
	s_and_b32 vcc_lo, exec_lo, s1
	s_wait_alu 0xfffe
	s_cbranch_vccz .LBB26_122
; %bb.121:
	v_mov_b32_e32 v1, 0
	s_lshl_b64 s[0:1], s[16:17], 2
	s_wait_alu 0xfffe
	s_add_nc_u64 s[0:1], s[6:7], s[0:1]
	global_load_b32 v1, v1, s[0:1]
	s_wait_loadcnt 0x0
	v_cmp_ne_u32_e32 vcc_lo, 0, v1
	s_cbranch_vccz .LBB26_123
.LBB26_122:
	s_nop 0
	s_sendmsg sendmsg(MSG_DEALLOC_VGPRS)
	s_endpgm
.LBB26_123:
	v_lshl_add_u32 v5, v0, 4, 0x1b0
	s_mov_b32 s0, exec_lo
	v_cmpx_eq_u32_e32 26, v0
	s_cbranch_execz .LBB26_125
; %bb.124:
	scratch_load_b128 v[1:4], off, s10
	v_mov_b32_e32 v6, 0
	s_delay_alu instid0(VALU_DEP_1)
	v_dual_mov_b32 v7, v6 :: v_dual_mov_b32 v8, v6
	v_mov_b32_e32 v9, v6
	scratch_store_b128 off, v[6:9], off offset:416
	s_wait_loadcnt 0x0
	ds_store_b128 v5, v[1:4]
.LBB26_125:
	s_wait_alu 0xfffe
	s_or_b32 exec_lo, exec_lo, s0
	s_wait_storecnt_dscnt 0x0
	s_barrier_signal -1
	s_barrier_wait -1
	global_inv scope:SCOPE_SE
	s_clause 0x1
	scratch_load_b128 v[6:9], off, off offset:432
	scratch_load_b128 v[67:70], off, off offset:416
	v_mov_b32_e32 v1, 0
	s_mov_b32 s0, exec_lo
	ds_load_b128 v[71:74], v1 offset:848
	s_wait_loadcnt_dscnt 0x100
	v_mul_f64_e32 v[2:3], v[73:74], v[8:9]
	v_mul_f64_e32 v[8:9], v[71:72], v[8:9]
	s_delay_alu instid0(VALU_DEP_2) | instskip(NEXT) | instid1(VALU_DEP_2)
	v_fma_f64 v[2:3], v[71:72], v[6:7], -v[2:3]
	v_fma_f64 v[6:7], v[73:74], v[6:7], v[8:9]
	s_delay_alu instid0(VALU_DEP_2) | instskip(NEXT) | instid1(VALU_DEP_2)
	v_add_f64_e32 v[2:3], 0, v[2:3]
	v_add_f64_e32 v[8:9], 0, v[6:7]
	s_wait_loadcnt 0x0
	s_delay_alu instid0(VALU_DEP_2) | instskip(NEXT) | instid1(VALU_DEP_2)
	v_add_f64_e64 v[6:7], v[67:68], -v[2:3]
	v_add_f64_e64 v[8:9], v[69:70], -v[8:9]
	scratch_store_b128 off, v[6:9], off offset:416
	v_cmpx_lt_u32_e32 24, v0
	s_cbranch_execz .LBB26_127
; %bb.126:
	scratch_load_b128 v[6:9], off, s13
	v_dual_mov_b32 v2, v1 :: v_dual_mov_b32 v3, v1
	v_mov_b32_e32 v4, v1
	scratch_store_b128 off, v[1:4], off offset:400
	s_wait_loadcnt 0x0
	ds_store_b128 v5, v[6:9]
.LBB26_127:
	s_wait_alu 0xfffe
	s_or_b32 exec_lo, exec_lo, s0
	s_wait_storecnt_dscnt 0x0
	s_barrier_signal -1
	s_barrier_wait -1
	global_inv scope:SCOPE_SE
	s_clause 0x2
	scratch_load_b128 v[6:9], off, off offset:416
	scratch_load_b128 v[67:70], off, off offset:432
	;; [unrolled: 1-line block ×3, first 2 shown]
	ds_load_b128 v[75:78], v1 offset:832
	ds_load_b128 v[1:4], v1 offset:848
	s_mov_b32 s0, exec_lo
	s_wait_loadcnt_dscnt 0x201
	v_mul_f64_e32 v[10:11], v[77:78], v[8:9]
	v_mul_f64_e32 v[8:9], v[75:76], v[8:9]
	s_wait_loadcnt_dscnt 0x100
	v_mul_f64_e32 v[79:80], v[1:2], v[69:70]
	v_mul_f64_e32 v[69:70], v[3:4], v[69:70]
	s_delay_alu instid0(VALU_DEP_4) | instskip(NEXT) | instid1(VALU_DEP_4)
	v_fma_f64 v[10:11], v[75:76], v[6:7], -v[10:11]
	v_fma_f64 v[6:7], v[77:78], v[6:7], v[8:9]
	s_delay_alu instid0(VALU_DEP_4) | instskip(NEXT) | instid1(VALU_DEP_4)
	v_fma_f64 v[3:4], v[3:4], v[67:68], v[79:80]
	v_fma_f64 v[1:2], v[1:2], v[67:68], -v[69:70]
	s_delay_alu instid0(VALU_DEP_4) | instskip(NEXT) | instid1(VALU_DEP_4)
	v_add_f64_e32 v[8:9], 0, v[10:11]
	v_add_f64_e32 v[6:7], 0, v[6:7]
	s_delay_alu instid0(VALU_DEP_2) | instskip(NEXT) | instid1(VALU_DEP_2)
	v_add_f64_e32 v[1:2], v[8:9], v[1:2]
	v_add_f64_e32 v[3:4], v[6:7], v[3:4]
	s_wait_loadcnt 0x0
	s_delay_alu instid0(VALU_DEP_2) | instskip(NEXT) | instid1(VALU_DEP_2)
	v_add_f64_e64 v[1:2], v[71:72], -v[1:2]
	v_add_f64_e64 v[3:4], v[73:74], -v[3:4]
	scratch_store_b128 off, v[1:4], off offset:400
	v_cmpx_lt_u32_e32 23, v0
	s_cbranch_execz .LBB26_129
; %bb.128:
	scratch_load_b128 v[1:4], off, s8
	v_mov_b32_e32 v6, 0
	s_delay_alu instid0(VALU_DEP_1)
	v_dual_mov_b32 v7, v6 :: v_dual_mov_b32 v8, v6
	v_mov_b32_e32 v9, v6
	scratch_store_b128 off, v[6:9], off offset:384
	s_wait_loadcnt 0x0
	ds_store_b128 v5, v[1:4]
.LBB26_129:
	s_wait_alu 0xfffe
	s_or_b32 exec_lo, exec_lo, s0
	s_wait_storecnt_dscnt 0x0
	s_barrier_signal -1
	s_barrier_wait -1
	global_inv scope:SCOPE_SE
	s_clause 0x3
	scratch_load_b128 v[6:9], off, off offset:400
	scratch_load_b128 v[67:70], off, off offset:416
	;; [unrolled: 1-line block ×4, first 2 shown]
	v_mov_b32_e32 v1, 0
	ds_load_b128 v[79:82], v1 offset:816
	ds_load_b128 v[83:86], v1 offset:832
	s_mov_b32 s0, exec_lo
	s_wait_loadcnt_dscnt 0x301
	v_mul_f64_e32 v[2:3], v[81:82], v[8:9]
	v_mul_f64_e32 v[8:9], v[79:80], v[8:9]
	s_wait_loadcnt_dscnt 0x200
	v_mul_f64_e32 v[10:11], v[83:84], v[69:70]
	v_mul_f64_e32 v[69:70], v[85:86], v[69:70]
	s_delay_alu instid0(VALU_DEP_4) | instskip(NEXT) | instid1(VALU_DEP_4)
	v_fma_f64 v[2:3], v[79:80], v[6:7], -v[2:3]
	v_fma_f64 v[79:80], v[81:82], v[6:7], v[8:9]
	ds_load_b128 v[6:9], v1 offset:848
	v_fma_f64 v[10:11], v[85:86], v[67:68], v[10:11]
	v_fma_f64 v[67:68], v[83:84], v[67:68], -v[69:70]
	s_wait_loadcnt_dscnt 0x100
	v_mul_f64_e32 v[81:82], v[6:7], v[73:74]
	v_mul_f64_e32 v[73:74], v[8:9], v[73:74]
	v_add_f64_e32 v[2:3], 0, v[2:3]
	v_add_f64_e32 v[69:70], 0, v[79:80]
	s_delay_alu instid0(VALU_DEP_4) | instskip(NEXT) | instid1(VALU_DEP_4)
	v_fma_f64 v[8:9], v[8:9], v[71:72], v[81:82]
	v_fma_f64 v[6:7], v[6:7], v[71:72], -v[73:74]
	s_delay_alu instid0(VALU_DEP_4) | instskip(NEXT) | instid1(VALU_DEP_4)
	v_add_f64_e32 v[2:3], v[2:3], v[67:68]
	v_add_f64_e32 v[10:11], v[69:70], v[10:11]
	s_delay_alu instid0(VALU_DEP_2) | instskip(NEXT) | instid1(VALU_DEP_2)
	v_add_f64_e32 v[2:3], v[2:3], v[6:7]
	v_add_f64_e32 v[8:9], v[10:11], v[8:9]
	s_wait_loadcnt 0x0
	s_delay_alu instid0(VALU_DEP_2) | instskip(NEXT) | instid1(VALU_DEP_2)
	v_add_f64_e64 v[6:7], v[75:76], -v[2:3]
	v_add_f64_e64 v[8:9], v[77:78], -v[8:9]
	scratch_store_b128 off, v[6:9], off offset:384
	v_cmpx_lt_u32_e32 22, v0
	s_cbranch_execz .LBB26_131
; %bb.130:
	scratch_load_b128 v[6:9], off, s11
	v_dual_mov_b32 v2, v1 :: v_dual_mov_b32 v3, v1
	v_mov_b32_e32 v4, v1
	scratch_store_b128 off, v[1:4], off offset:368
	s_wait_loadcnt 0x0
	ds_store_b128 v5, v[6:9]
.LBB26_131:
	s_wait_alu 0xfffe
	s_or_b32 exec_lo, exec_lo, s0
	s_wait_storecnt_dscnt 0x0
	s_barrier_signal -1
	s_barrier_wait -1
	global_inv scope:SCOPE_SE
	s_clause 0x4
	scratch_load_b128 v[6:9], off, off offset:384
	scratch_load_b128 v[67:70], off, off offset:400
	;; [unrolled: 1-line block ×5, first 2 shown]
	ds_load_b128 v[83:86], v1 offset:800
	ds_load_b128 v[87:90], v1 offset:816
	s_mov_b32 s0, exec_lo
	s_wait_loadcnt_dscnt 0x401
	v_mul_f64_e32 v[2:3], v[85:86], v[8:9]
	v_mul_f64_e32 v[8:9], v[83:84], v[8:9]
	s_wait_loadcnt_dscnt 0x300
	v_mul_f64_e32 v[10:11], v[87:88], v[69:70]
	v_mul_f64_e32 v[69:70], v[89:90], v[69:70]
	s_delay_alu instid0(VALU_DEP_4) | instskip(NEXT) | instid1(VALU_DEP_4)
	v_fma_f64 v[83:84], v[83:84], v[6:7], -v[2:3]
	v_fma_f64 v[85:86], v[85:86], v[6:7], v[8:9]
	ds_load_b128 v[6:9], v1 offset:832
	ds_load_b128 v[1:4], v1 offset:848
	v_fma_f64 v[10:11], v[89:90], v[67:68], v[10:11]
	v_fma_f64 v[67:68], v[87:88], v[67:68], -v[69:70]
	s_wait_loadcnt_dscnt 0x201
	v_mul_f64_e32 v[91:92], v[6:7], v[73:74]
	v_mul_f64_e32 v[73:74], v[8:9], v[73:74]
	v_add_f64_e32 v[69:70], 0, v[83:84]
	v_add_f64_e32 v[83:84], 0, v[85:86]
	s_wait_loadcnt_dscnt 0x100
	v_mul_f64_e32 v[85:86], v[1:2], v[77:78]
	v_mul_f64_e32 v[77:78], v[3:4], v[77:78]
	v_fma_f64 v[8:9], v[8:9], v[71:72], v[91:92]
	v_fma_f64 v[6:7], v[6:7], v[71:72], -v[73:74]
	v_add_f64_e32 v[67:68], v[69:70], v[67:68]
	v_add_f64_e32 v[10:11], v[83:84], v[10:11]
	v_fma_f64 v[3:4], v[3:4], v[75:76], v[85:86]
	v_fma_f64 v[1:2], v[1:2], v[75:76], -v[77:78]
	s_delay_alu instid0(VALU_DEP_4) | instskip(NEXT) | instid1(VALU_DEP_4)
	v_add_f64_e32 v[6:7], v[67:68], v[6:7]
	v_add_f64_e32 v[8:9], v[10:11], v[8:9]
	s_delay_alu instid0(VALU_DEP_2) | instskip(NEXT) | instid1(VALU_DEP_2)
	v_add_f64_e32 v[1:2], v[6:7], v[1:2]
	v_add_f64_e32 v[3:4], v[8:9], v[3:4]
	s_wait_loadcnt 0x0
	s_delay_alu instid0(VALU_DEP_2) | instskip(NEXT) | instid1(VALU_DEP_2)
	v_add_f64_e64 v[1:2], v[79:80], -v[1:2]
	v_add_f64_e64 v[3:4], v[81:82], -v[3:4]
	scratch_store_b128 off, v[1:4], off offset:368
	v_cmpx_lt_u32_e32 21, v0
	s_cbranch_execz .LBB26_133
; %bb.132:
	scratch_load_b128 v[1:4], off, s5
	v_mov_b32_e32 v6, 0
	s_delay_alu instid0(VALU_DEP_1)
	v_dual_mov_b32 v7, v6 :: v_dual_mov_b32 v8, v6
	v_mov_b32_e32 v9, v6
	scratch_store_b128 off, v[6:9], off offset:352
	s_wait_loadcnt 0x0
	ds_store_b128 v5, v[1:4]
.LBB26_133:
	s_wait_alu 0xfffe
	s_or_b32 exec_lo, exec_lo, s0
	s_wait_storecnt_dscnt 0x0
	s_barrier_signal -1
	s_barrier_wait -1
	global_inv scope:SCOPE_SE
	s_clause 0x5
	scratch_load_b128 v[6:9], off, off offset:368
	scratch_load_b128 v[67:70], off, off offset:384
	;; [unrolled: 1-line block ×6, first 2 shown]
	v_mov_b32_e32 v1, 0
	ds_load_b128 v[87:90], v1 offset:784
	ds_load_b128 v[91:94], v1 offset:800
	s_mov_b32 s0, exec_lo
	s_wait_loadcnt_dscnt 0x501
	v_mul_f64_e32 v[2:3], v[89:90], v[8:9]
	v_mul_f64_e32 v[8:9], v[87:88], v[8:9]
	s_wait_loadcnt_dscnt 0x400
	v_mul_f64_e32 v[10:11], v[91:92], v[69:70]
	v_mul_f64_e32 v[69:70], v[93:94], v[69:70]
	s_delay_alu instid0(VALU_DEP_4) | instskip(NEXT) | instid1(VALU_DEP_4)
	v_fma_f64 v[2:3], v[87:88], v[6:7], -v[2:3]
	v_fma_f64 v[95:96], v[89:90], v[6:7], v[8:9]
	ds_load_b128 v[6:9], v1 offset:816
	ds_load_b128 v[87:90], v1 offset:832
	v_fma_f64 v[10:11], v[93:94], v[67:68], v[10:11]
	v_fma_f64 v[67:68], v[91:92], v[67:68], -v[69:70]
	s_wait_loadcnt_dscnt 0x301
	v_mul_f64_e32 v[97:98], v[6:7], v[73:74]
	v_mul_f64_e32 v[73:74], v[8:9], v[73:74]
	s_wait_loadcnt_dscnt 0x200
	v_mul_f64_e32 v[91:92], v[87:88], v[77:78]
	v_mul_f64_e32 v[77:78], v[89:90], v[77:78]
	v_add_f64_e32 v[2:3], 0, v[2:3]
	v_add_f64_e32 v[69:70], 0, v[95:96]
	v_fma_f64 v[93:94], v[8:9], v[71:72], v[97:98]
	v_fma_f64 v[71:72], v[6:7], v[71:72], -v[73:74]
	ds_load_b128 v[6:9], v1 offset:848
	v_fma_f64 v[73:74], v[89:90], v[75:76], v[91:92]
	v_fma_f64 v[75:76], v[87:88], v[75:76], -v[77:78]
	v_add_f64_e32 v[2:3], v[2:3], v[67:68]
	v_add_f64_e32 v[10:11], v[69:70], v[10:11]
	s_wait_loadcnt_dscnt 0x100
	v_mul_f64_e32 v[67:68], v[6:7], v[81:82]
	v_mul_f64_e32 v[69:70], v[8:9], v[81:82]
	s_delay_alu instid0(VALU_DEP_4) | instskip(NEXT) | instid1(VALU_DEP_4)
	v_add_f64_e32 v[2:3], v[2:3], v[71:72]
	v_add_f64_e32 v[10:11], v[10:11], v[93:94]
	s_delay_alu instid0(VALU_DEP_4) | instskip(NEXT) | instid1(VALU_DEP_4)
	v_fma_f64 v[8:9], v[8:9], v[79:80], v[67:68]
	v_fma_f64 v[6:7], v[6:7], v[79:80], -v[69:70]
	s_delay_alu instid0(VALU_DEP_4) | instskip(NEXT) | instid1(VALU_DEP_4)
	v_add_f64_e32 v[2:3], v[2:3], v[75:76]
	v_add_f64_e32 v[10:11], v[10:11], v[73:74]
	s_delay_alu instid0(VALU_DEP_2) | instskip(NEXT) | instid1(VALU_DEP_2)
	v_add_f64_e32 v[2:3], v[2:3], v[6:7]
	v_add_f64_e32 v[8:9], v[10:11], v[8:9]
	s_wait_loadcnt 0x0
	s_delay_alu instid0(VALU_DEP_2) | instskip(NEXT) | instid1(VALU_DEP_2)
	v_add_f64_e64 v[6:7], v[83:84], -v[2:3]
	v_add_f64_e64 v[8:9], v[85:86], -v[8:9]
	scratch_store_b128 off, v[6:9], off offset:352
	v_cmpx_lt_u32_e32 20, v0
	s_cbranch_execz .LBB26_135
; %bb.134:
	scratch_load_b128 v[6:9], off, s9
	v_dual_mov_b32 v2, v1 :: v_dual_mov_b32 v3, v1
	v_mov_b32_e32 v4, v1
	scratch_store_b128 off, v[1:4], off offset:336
	s_wait_loadcnt 0x0
	ds_store_b128 v5, v[6:9]
.LBB26_135:
	s_wait_alu 0xfffe
	s_or_b32 exec_lo, exec_lo, s0
	s_wait_storecnt_dscnt 0x0
	s_barrier_signal -1
	s_barrier_wait -1
	global_inv scope:SCOPE_SE
	s_clause 0x5
	scratch_load_b128 v[6:9], off, off offset:352
	scratch_load_b128 v[67:70], off, off offset:368
	;; [unrolled: 1-line block ×6, first 2 shown]
	ds_load_b128 v[87:90], v1 offset:768
	ds_load_b128 v[95:98], v1 offset:784
	scratch_load_b128 v[91:94], off, off offset:336
	s_mov_b32 s0, exec_lo
	s_wait_loadcnt_dscnt 0x601
	v_mul_f64_e32 v[2:3], v[89:90], v[8:9]
	v_mul_f64_e32 v[8:9], v[87:88], v[8:9]
	s_wait_loadcnt_dscnt 0x500
	v_mul_f64_e32 v[10:11], v[95:96], v[69:70]
	v_mul_f64_e32 v[69:70], v[97:98], v[69:70]
	s_delay_alu instid0(VALU_DEP_4) | instskip(NEXT) | instid1(VALU_DEP_4)
	v_fma_f64 v[2:3], v[87:88], v[6:7], -v[2:3]
	v_fma_f64 v[99:100], v[89:90], v[6:7], v[8:9]
	ds_load_b128 v[6:9], v1 offset:800
	ds_load_b128 v[87:90], v1 offset:816
	v_fma_f64 v[10:11], v[97:98], v[67:68], v[10:11]
	v_fma_f64 v[67:68], v[95:96], v[67:68], -v[69:70]
	s_wait_loadcnt_dscnt 0x401
	v_mul_f64_e32 v[101:102], v[6:7], v[73:74]
	v_mul_f64_e32 v[73:74], v[8:9], v[73:74]
	s_wait_loadcnt_dscnt 0x300
	v_mul_f64_e32 v[95:96], v[87:88], v[77:78]
	v_mul_f64_e32 v[77:78], v[89:90], v[77:78]
	v_add_f64_e32 v[2:3], 0, v[2:3]
	v_add_f64_e32 v[69:70], 0, v[99:100]
	v_fma_f64 v[97:98], v[8:9], v[71:72], v[101:102]
	v_fma_f64 v[71:72], v[6:7], v[71:72], -v[73:74]
	s_delay_alu instid0(VALU_DEP_4) | instskip(NEXT) | instid1(VALU_DEP_4)
	v_add_f64_e32 v[67:68], v[2:3], v[67:68]
	v_add_f64_e32 v[10:11], v[69:70], v[10:11]
	ds_load_b128 v[6:9], v1 offset:832
	ds_load_b128 v[1:4], v1 offset:848
	s_wait_loadcnt_dscnt 0x201
	v_mul_f64_e32 v[69:70], v[6:7], v[81:82]
	v_mul_f64_e32 v[73:74], v[8:9], v[81:82]
	v_fma_f64 v[81:82], v[89:90], v[75:76], v[95:96]
	v_fma_f64 v[75:76], v[87:88], v[75:76], -v[77:78]
	s_wait_loadcnt_dscnt 0x100
	v_mul_f64_e32 v[77:78], v[3:4], v[85:86]
	v_add_f64_e32 v[67:68], v[67:68], v[71:72]
	v_add_f64_e32 v[10:11], v[10:11], v[97:98]
	v_mul_f64_e32 v[71:72], v[1:2], v[85:86]
	v_fma_f64 v[8:9], v[8:9], v[79:80], v[69:70]
	v_fma_f64 v[6:7], v[6:7], v[79:80], -v[73:74]
	v_fma_f64 v[1:2], v[1:2], v[83:84], -v[77:78]
	v_add_f64_e32 v[67:68], v[67:68], v[75:76]
	v_add_f64_e32 v[10:11], v[10:11], v[81:82]
	v_fma_f64 v[3:4], v[3:4], v[83:84], v[71:72]
	s_delay_alu instid0(VALU_DEP_3) | instskip(NEXT) | instid1(VALU_DEP_3)
	v_add_f64_e32 v[6:7], v[67:68], v[6:7]
	v_add_f64_e32 v[8:9], v[10:11], v[8:9]
	s_delay_alu instid0(VALU_DEP_2) | instskip(NEXT) | instid1(VALU_DEP_2)
	v_add_f64_e32 v[1:2], v[6:7], v[1:2]
	v_add_f64_e32 v[3:4], v[8:9], v[3:4]
	s_wait_loadcnt 0x0
	s_delay_alu instid0(VALU_DEP_2) | instskip(NEXT) | instid1(VALU_DEP_2)
	v_add_f64_e64 v[1:2], v[91:92], -v[1:2]
	v_add_f64_e64 v[3:4], v[93:94], -v[3:4]
	scratch_store_b128 off, v[1:4], off offset:336
	v_cmpx_lt_u32_e32 19, v0
	s_cbranch_execz .LBB26_137
; %bb.136:
	scratch_load_b128 v[1:4], off, s4
	v_mov_b32_e32 v6, 0
	s_delay_alu instid0(VALU_DEP_1)
	v_dual_mov_b32 v7, v6 :: v_dual_mov_b32 v8, v6
	v_mov_b32_e32 v9, v6
	scratch_store_b128 off, v[6:9], off offset:320
	s_wait_loadcnt 0x0
	ds_store_b128 v5, v[1:4]
.LBB26_137:
	s_wait_alu 0xfffe
	s_or_b32 exec_lo, exec_lo, s0
	s_wait_storecnt_dscnt 0x0
	s_barrier_signal -1
	s_barrier_wait -1
	global_inv scope:SCOPE_SE
	s_clause 0x6
	scratch_load_b128 v[6:9], off, off offset:336
	scratch_load_b128 v[67:70], off, off offset:352
	;; [unrolled: 1-line block ×7, first 2 shown]
	v_mov_b32_e32 v1, 0
	scratch_load_b128 v[95:98], off, off offset:320
	s_mov_b32 s0, exec_lo
	ds_load_b128 v[91:94], v1 offset:752
	ds_load_b128 v[99:102], v1 offset:768
	s_wait_loadcnt_dscnt 0x701
	v_mul_f64_e32 v[2:3], v[93:94], v[8:9]
	v_mul_f64_e32 v[8:9], v[91:92], v[8:9]
	s_wait_loadcnt_dscnt 0x600
	v_mul_f64_e32 v[10:11], v[99:100], v[69:70]
	v_mul_f64_e32 v[69:70], v[101:102], v[69:70]
	s_delay_alu instid0(VALU_DEP_4) | instskip(NEXT) | instid1(VALU_DEP_4)
	v_fma_f64 v[2:3], v[91:92], v[6:7], -v[2:3]
	v_fma_f64 v[103:104], v[93:94], v[6:7], v[8:9]
	ds_load_b128 v[6:9], v1 offset:784
	ds_load_b128 v[91:94], v1 offset:800
	v_fma_f64 v[10:11], v[101:102], v[67:68], v[10:11]
	v_fma_f64 v[67:68], v[99:100], v[67:68], -v[69:70]
	s_wait_loadcnt_dscnt 0x501
	v_mul_f64_e32 v[105:106], v[6:7], v[73:74]
	v_mul_f64_e32 v[73:74], v[8:9], v[73:74]
	s_wait_loadcnt_dscnt 0x400
	v_mul_f64_e32 v[99:100], v[91:92], v[77:78]
	v_mul_f64_e32 v[77:78], v[93:94], v[77:78]
	v_add_f64_e32 v[2:3], 0, v[2:3]
	v_add_f64_e32 v[69:70], 0, v[103:104]
	v_fma_f64 v[101:102], v[8:9], v[71:72], v[105:106]
	v_fma_f64 v[71:72], v[6:7], v[71:72], -v[73:74]
	v_fma_f64 v[93:94], v[93:94], v[75:76], v[99:100]
	v_fma_f64 v[75:76], v[91:92], v[75:76], -v[77:78]
	v_add_f64_e32 v[2:3], v[2:3], v[67:68]
	v_add_f64_e32 v[10:11], v[69:70], v[10:11]
	ds_load_b128 v[6:9], v1 offset:816
	ds_load_b128 v[67:70], v1 offset:832
	s_wait_loadcnt_dscnt 0x301
	v_mul_f64_e32 v[73:74], v[6:7], v[81:82]
	v_mul_f64_e32 v[81:82], v[8:9], v[81:82]
	s_wait_loadcnt_dscnt 0x200
	v_mul_f64_e32 v[77:78], v[69:70], v[85:86]
	v_add_f64_e32 v[2:3], v[2:3], v[71:72]
	v_add_f64_e32 v[10:11], v[10:11], v[101:102]
	v_mul_f64_e32 v[71:72], v[67:68], v[85:86]
	v_fma_f64 v[73:74], v[8:9], v[79:80], v[73:74]
	v_fma_f64 v[79:80], v[6:7], v[79:80], -v[81:82]
	ds_load_b128 v[6:9], v1 offset:848
	v_fma_f64 v[67:68], v[67:68], v[83:84], -v[77:78]
	v_add_f64_e32 v[2:3], v[2:3], v[75:76]
	v_add_f64_e32 v[10:11], v[10:11], v[93:94]
	v_fma_f64 v[69:70], v[69:70], v[83:84], v[71:72]
	s_wait_loadcnt_dscnt 0x100
	v_mul_f64_e32 v[75:76], v[6:7], v[89:90]
	v_mul_f64_e32 v[81:82], v[8:9], v[89:90]
	v_add_f64_e32 v[2:3], v[2:3], v[79:80]
	v_add_f64_e32 v[10:11], v[10:11], v[73:74]
	s_delay_alu instid0(VALU_DEP_4) | instskip(NEXT) | instid1(VALU_DEP_4)
	v_fma_f64 v[8:9], v[8:9], v[87:88], v[75:76]
	v_fma_f64 v[6:7], v[6:7], v[87:88], -v[81:82]
	s_delay_alu instid0(VALU_DEP_4) | instskip(NEXT) | instid1(VALU_DEP_4)
	v_add_f64_e32 v[2:3], v[2:3], v[67:68]
	v_add_f64_e32 v[10:11], v[10:11], v[69:70]
	s_delay_alu instid0(VALU_DEP_2) | instskip(NEXT) | instid1(VALU_DEP_2)
	v_add_f64_e32 v[2:3], v[2:3], v[6:7]
	v_add_f64_e32 v[8:9], v[10:11], v[8:9]
	s_wait_loadcnt 0x0
	s_delay_alu instid0(VALU_DEP_2) | instskip(NEXT) | instid1(VALU_DEP_2)
	v_add_f64_e64 v[6:7], v[95:96], -v[2:3]
	v_add_f64_e64 v[8:9], v[97:98], -v[8:9]
	scratch_store_b128 off, v[6:9], off offset:320
	v_cmpx_lt_u32_e32 18, v0
	s_cbranch_execz .LBB26_139
; %bb.138:
	scratch_load_b128 v[6:9], off, s12
	v_dual_mov_b32 v2, v1 :: v_dual_mov_b32 v3, v1
	v_mov_b32_e32 v4, v1
	scratch_store_b128 off, v[1:4], off offset:304
	s_wait_loadcnt 0x0
	ds_store_b128 v5, v[6:9]
.LBB26_139:
	s_wait_alu 0xfffe
	s_or_b32 exec_lo, exec_lo, s0
	s_wait_storecnt_dscnt 0x0
	s_barrier_signal -1
	s_barrier_wait -1
	global_inv scope:SCOPE_SE
	s_clause 0x7
	scratch_load_b128 v[6:9], off, off offset:320
	scratch_load_b128 v[67:70], off, off offset:336
	;; [unrolled: 1-line block ×8, first 2 shown]
	ds_load_b128 v[95:98], v1 offset:736
	ds_load_b128 v[99:102], v1 offset:752
	scratch_load_b128 v[103:106], off, off offset:304
	s_mov_b32 s0, exec_lo
	s_wait_loadcnt_dscnt 0x801
	v_mul_f64_e32 v[2:3], v[97:98], v[8:9]
	v_mul_f64_e32 v[8:9], v[95:96], v[8:9]
	s_wait_loadcnt_dscnt 0x700
	v_mul_f64_e32 v[10:11], v[99:100], v[69:70]
	v_mul_f64_e32 v[69:70], v[101:102], v[69:70]
	s_delay_alu instid0(VALU_DEP_4) | instskip(NEXT) | instid1(VALU_DEP_4)
	v_fma_f64 v[2:3], v[95:96], v[6:7], -v[2:3]
	v_fma_f64 v[107:108], v[97:98], v[6:7], v[8:9]
	ds_load_b128 v[6:9], v1 offset:768
	ds_load_b128 v[95:98], v1 offset:784
	v_fma_f64 v[10:11], v[101:102], v[67:68], v[10:11]
	v_fma_f64 v[67:68], v[99:100], v[67:68], -v[69:70]
	s_wait_loadcnt_dscnt 0x601
	v_mul_f64_e32 v[109:110], v[6:7], v[73:74]
	v_mul_f64_e32 v[73:74], v[8:9], v[73:74]
	s_wait_loadcnt_dscnt 0x500
	v_mul_f64_e32 v[99:100], v[95:96], v[77:78]
	v_mul_f64_e32 v[77:78], v[97:98], v[77:78]
	v_add_f64_e32 v[2:3], 0, v[2:3]
	v_add_f64_e32 v[69:70], 0, v[107:108]
	v_fma_f64 v[101:102], v[8:9], v[71:72], v[109:110]
	v_fma_f64 v[71:72], v[6:7], v[71:72], -v[73:74]
	v_fma_f64 v[97:98], v[97:98], v[75:76], v[99:100]
	v_fma_f64 v[75:76], v[95:96], v[75:76], -v[77:78]
	v_add_f64_e32 v[2:3], v[2:3], v[67:68]
	v_add_f64_e32 v[10:11], v[69:70], v[10:11]
	ds_load_b128 v[6:9], v1 offset:800
	ds_load_b128 v[67:70], v1 offset:816
	s_wait_loadcnt_dscnt 0x401
	v_mul_f64_e32 v[73:74], v[6:7], v[81:82]
	v_mul_f64_e32 v[81:82], v[8:9], v[81:82]
	s_wait_loadcnt_dscnt 0x300
	v_mul_f64_e32 v[77:78], v[69:70], v[85:86]
	v_add_f64_e32 v[2:3], v[2:3], v[71:72]
	v_add_f64_e32 v[10:11], v[10:11], v[101:102]
	v_mul_f64_e32 v[71:72], v[67:68], v[85:86]
	v_fma_f64 v[73:74], v[8:9], v[79:80], v[73:74]
	v_fma_f64 v[79:80], v[6:7], v[79:80], -v[81:82]
	v_fma_f64 v[67:68], v[67:68], v[83:84], -v[77:78]
	v_add_f64_e32 v[75:76], v[2:3], v[75:76]
	v_add_f64_e32 v[10:11], v[10:11], v[97:98]
	ds_load_b128 v[6:9], v1 offset:832
	ds_load_b128 v[1:4], v1 offset:848
	v_fma_f64 v[69:70], v[69:70], v[83:84], v[71:72]
	s_wait_loadcnt_dscnt 0x201
	v_mul_f64_e32 v[81:82], v[6:7], v[89:90]
	v_mul_f64_e32 v[85:86], v[8:9], v[89:90]
	v_add_f64_e32 v[71:72], v[75:76], v[79:80]
	v_add_f64_e32 v[10:11], v[10:11], v[73:74]
	s_wait_loadcnt_dscnt 0x100
	v_mul_f64_e32 v[73:74], v[1:2], v[93:94]
	v_mul_f64_e32 v[75:76], v[3:4], v[93:94]
	v_fma_f64 v[8:9], v[8:9], v[87:88], v[81:82]
	v_fma_f64 v[6:7], v[6:7], v[87:88], -v[85:86]
	v_add_f64_e32 v[67:68], v[71:72], v[67:68]
	v_add_f64_e32 v[10:11], v[10:11], v[69:70]
	v_fma_f64 v[3:4], v[3:4], v[91:92], v[73:74]
	v_fma_f64 v[1:2], v[1:2], v[91:92], -v[75:76]
	s_delay_alu instid0(VALU_DEP_4) | instskip(NEXT) | instid1(VALU_DEP_4)
	v_add_f64_e32 v[6:7], v[67:68], v[6:7]
	v_add_f64_e32 v[8:9], v[10:11], v[8:9]
	s_delay_alu instid0(VALU_DEP_2) | instskip(NEXT) | instid1(VALU_DEP_2)
	v_add_f64_e32 v[1:2], v[6:7], v[1:2]
	v_add_f64_e32 v[3:4], v[8:9], v[3:4]
	s_wait_loadcnt 0x0
	s_delay_alu instid0(VALU_DEP_2) | instskip(NEXT) | instid1(VALU_DEP_2)
	v_add_f64_e64 v[1:2], v[103:104], -v[1:2]
	v_add_f64_e64 v[3:4], v[105:106], -v[3:4]
	scratch_store_b128 off, v[1:4], off offset:304
	v_cmpx_lt_u32_e32 17, v0
	s_cbranch_execz .LBB26_141
; %bb.140:
	scratch_load_b128 v[1:4], off, s15
	v_mov_b32_e32 v6, 0
	s_delay_alu instid0(VALU_DEP_1)
	v_dual_mov_b32 v7, v6 :: v_dual_mov_b32 v8, v6
	v_mov_b32_e32 v9, v6
	scratch_store_b128 off, v[6:9], off offset:288
	s_wait_loadcnt 0x0
	ds_store_b128 v5, v[1:4]
.LBB26_141:
	s_wait_alu 0xfffe
	s_or_b32 exec_lo, exec_lo, s0
	s_wait_storecnt_dscnt 0x0
	s_barrier_signal -1
	s_barrier_wait -1
	global_inv scope:SCOPE_SE
	s_clause 0x7
	scratch_load_b128 v[6:9], off, off offset:304
	scratch_load_b128 v[67:70], off, off offset:320
	;; [unrolled: 1-line block ×8, first 2 shown]
	v_mov_b32_e32 v1, 0
	s_mov_b32 s0, exec_lo
	ds_load_b128 v[95:98], v1 offset:720
	s_clause 0x1
	scratch_load_b128 v[99:102], off, off offset:432
	scratch_load_b128 v[103:106], off, off offset:288
	ds_load_b128 v[107:110], v1 offset:736
	s_wait_loadcnt_dscnt 0x901
	v_mul_f64_e32 v[2:3], v[97:98], v[8:9]
	v_mul_f64_e32 v[8:9], v[95:96], v[8:9]
	s_wait_loadcnt_dscnt 0x800
	v_mul_f64_e32 v[10:11], v[107:108], v[69:70]
	v_mul_f64_e32 v[69:70], v[109:110], v[69:70]
	s_delay_alu instid0(VALU_DEP_4) | instskip(NEXT) | instid1(VALU_DEP_4)
	v_fma_f64 v[2:3], v[95:96], v[6:7], -v[2:3]
	v_fma_f64 v[111:112], v[97:98], v[6:7], v[8:9]
	ds_load_b128 v[6:9], v1 offset:752
	ds_load_b128 v[95:98], v1 offset:768
	v_fma_f64 v[10:11], v[109:110], v[67:68], v[10:11]
	v_fma_f64 v[67:68], v[107:108], v[67:68], -v[69:70]
	s_wait_loadcnt_dscnt 0x701
	v_mul_f64_e32 v[113:114], v[6:7], v[73:74]
	v_mul_f64_e32 v[73:74], v[8:9], v[73:74]
	s_wait_loadcnt_dscnt 0x600
	v_mul_f64_e32 v[107:108], v[95:96], v[77:78]
	v_mul_f64_e32 v[77:78], v[97:98], v[77:78]
	v_add_f64_e32 v[2:3], 0, v[2:3]
	v_add_f64_e32 v[69:70], 0, v[111:112]
	v_fma_f64 v[109:110], v[8:9], v[71:72], v[113:114]
	v_fma_f64 v[71:72], v[6:7], v[71:72], -v[73:74]
	v_fma_f64 v[97:98], v[97:98], v[75:76], v[107:108]
	v_fma_f64 v[75:76], v[95:96], v[75:76], -v[77:78]
	v_add_f64_e32 v[2:3], v[2:3], v[67:68]
	v_add_f64_e32 v[10:11], v[69:70], v[10:11]
	ds_load_b128 v[6:9], v1 offset:784
	ds_load_b128 v[67:70], v1 offset:800
	s_wait_loadcnt_dscnt 0x501
	v_mul_f64_e32 v[73:74], v[6:7], v[81:82]
	v_mul_f64_e32 v[81:82], v[8:9], v[81:82]
	s_wait_loadcnt_dscnt 0x400
	v_mul_f64_e32 v[77:78], v[67:68], v[85:86]
	v_mul_f64_e32 v[85:86], v[69:70], v[85:86]
	v_add_f64_e32 v[2:3], v[2:3], v[71:72]
	v_add_f64_e32 v[10:11], v[10:11], v[109:110]
	v_fma_f64 v[95:96], v[8:9], v[79:80], v[73:74]
	v_fma_f64 v[79:80], v[6:7], v[79:80], -v[81:82]
	ds_load_b128 v[6:9], v1 offset:816
	ds_load_b128 v[71:74], v1 offset:832
	v_fma_f64 v[69:70], v[69:70], v[83:84], v[77:78]
	v_fma_f64 v[67:68], v[67:68], v[83:84], -v[85:86]
	v_add_f64_e32 v[2:3], v[2:3], v[75:76]
	v_add_f64_e32 v[10:11], v[10:11], v[97:98]
	s_wait_loadcnt_dscnt 0x301
	v_mul_f64_e32 v[75:76], v[6:7], v[89:90]
	v_mul_f64_e32 v[81:82], v[8:9], v[89:90]
	s_wait_loadcnt_dscnt 0x200
	v_mul_f64_e32 v[77:78], v[71:72], v[93:94]
	v_add_f64_e32 v[2:3], v[2:3], v[79:80]
	v_add_f64_e32 v[10:11], v[10:11], v[95:96]
	v_mul_f64_e32 v[79:80], v[73:74], v[93:94]
	v_fma_f64 v[75:76], v[8:9], v[87:88], v[75:76]
	v_fma_f64 v[81:82], v[6:7], v[87:88], -v[81:82]
	ds_load_b128 v[6:9], v1 offset:848
	v_fma_f64 v[73:74], v[73:74], v[91:92], v[77:78]
	v_add_f64_e32 v[2:3], v[2:3], v[67:68]
	v_add_f64_e32 v[10:11], v[10:11], v[69:70]
	s_wait_loadcnt_dscnt 0x100
	v_mul_f64_e32 v[67:68], v[6:7], v[101:102]
	v_mul_f64_e32 v[69:70], v[8:9], v[101:102]
	v_fma_f64 v[71:72], v[71:72], v[91:92], -v[79:80]
	v_add_f64_e32 v[2:3], v[2:3], v[81:82]
	v_add_f64_e32 v[10:11], v[10:11], v[75:76]
	v_fma_f64 v[8:9], v[8:9], v[99:100], v[67:68]
	v_fma_f64 v[6:7], v[6:7], v[99:100], -v[69:70]
	s_delay_alu instid0(VALU_DEP_4) | instskip(NEXT) | instid1(VALU_DEP_4)
	v_add_f64_e32 v[2:3], v[2:3], v[71:72]
	v_add_f64_e32 v[10:11], v[10:11], v[73:74]
	s_delay_alu instid0(VALU_DEP_2) | instskip(NEXT) | instid1(VALU_DEP_2)
	v_add_f64_e32 v[2:3], v[2:3], v[6:7]
	v_add_f64_e32 v[8:9], v[10:11], v[8:9]
	s_wait_loadcnt 0x0
	s_delay_alu instid0(VALU_DEP_2) | instskip(NEXT) | instid1(VALU_DEP_2)
	v_add_f64_e64 v[6:7], v[103:104], -v[2:3]
	v_add_f64_e64 v[8:9], v[105:106], -v[8:9]
	scratch_store_b128 off, v[6:9], off offset:288
	v_cmpx_lt_u32_e32 16, v0
	s_cbranch_execz .LBB26_143
; %bb.142:
	scratch_load_b128 v[6:9], off, s20
	v_dual_mov_b32 v2, v1 :: v_dual_mov_b32 v3, v1
	v_mov_b32_e32 v4, v1
	scratch_store_b128 off, v[1:4], off offset:272
	s_wait_loadcnt 0x0
	ds_store_b128 v5, v[6:9]
.LBB26_143:
	s_wait_alu 0xfffe
	s_or_b32 exec_lo, exec_lo, s0
	s_wait_storecnt_dscnt 0x0
	s_barrier_signal -1
	s_barrier_wait -1
	global_inv scope:SCOPE_SE
	s_clause 0x8
	scratch_load_b128 v[6:9], off, off offset:288
	scratch_load_b128 v[67:70], off, off offset:304
	;; [unrolled: 1-line block ×9, first 2 shown]
	ds_load_b128 v[99:102], v1 offset:704
	ds_load_b128 v[103:106], v1 offset:720
	scratch_load_b128 v[107:110], off, off offset:272
	s_mov_b32 s0, exec_lo
	s_wait_loadcnt_dscnt 0x901
	v_mul_f64_e32 v[2:3], v[101:102], v[8:9]
	v_mul_f64_e32 v[111:112], v[99:100], v[8:9]
	scratch_load_b128 v[8:11], off, off offset:432
	s_wait_loadcnt_dscnt 0x900
	v_mul_f64_e32 v[115:116], v[103:104], v[69:70]
	v_mul_f64_e32 v[69:70], v[105:106], v[69:70]
	v_fma_f64 v[2:3], v[99:100], v[6:7], -v[2:3]
	v_fma_f64 v[6:7], v[101:102], v[6:7], v[111:112]
	ds_load_b128 v[99:102], v1 offset:736
	ds_load_b128 v[111:114], v1 offset:752
	v_fma_f64 v[105:106], v[105:106], v[67:68], v[115:116]
	v_fma_f64 v[67:68], v[103:104], v[67:68], -v[69:70]
	s_wait_loadcnt_dscnt 0x801
	v_mul_f64_e32 v[117:118], v[99:100], v[73:74]
	v_mul_f64_e32 v[73:74], v[101:102], v[73:74]
	s_wait_loadcnt_dscnt 0x700
	v_mul_f64_e32 v[103:104], v[111:112], v[77:78]
	v_mul_f64_e32 v[77:78], v[113:114], v[77:78]
	v_add_f64_e32 v[2:3], 0, v[2:3]
	v_add_f64_e32 v[6:7], 0, v[6:7]
	v_fma_f64 v[101:102], v[101:102], v[71:72], v[117:118]
	v_fma_f64 v[99:100], v[99:100], v[71:72], -v[73:74]
	v_fma_f64 v[103:104], v[113:114], v[75:76], v[103:104]
	v_fma_f64 v[75:76], v[111:112], v[75:76], -v[77:78]
	v_add_f64_e32 v[2:3], v[2:3], v[67:68]
	v_add_f64_e32 v[6:7], v[6:7], v[105:106]
	ds_load_b128 v[67:70], v1 offset:768
	ds_load_b128 v[71:74], v1 offset:784
	s_wait_loadcnt_dscnt 0x601
	v_mul_f64_e32 v[105:106], v[67:68], v[81:82]
	v_mul_f64_e32 v[81:82], v[69:70], v[81:82]
	v_add_f64_e32 v[2:3], v[2:3], v[99:100]
	v_add_f64_e32 v[6:7], v[6:7], v[101:102]
	s_wait_loadcnt_dscnt 0x500
	v_mul_f64_e32 v[99:100], v[71:72], v[85:86]
	v_mul_f64_e32 v[85:86], v[73:74], v[85:86]
	v_fma_f64 v[101:102], v[69:70], v[79:80], v[105:106]
	v_fma_f64 v[79:80], v[67:68], v[79:80], -v[81:82]
	v_add_f64_e32 v[2:3], v[2:3], v[75:76]
	v_add_f64_e32 v[6:7], v[6:7], v[103:104]
	ds_load_b128 v[67:70], v1 offset:800
	ds_load_b128 v[75:78], v1 offset:816
	v_fma_f64 v[73:74], v[73:74], v[83:84], v[99:100]
	v_fma_f64 v[71:72], v[71:72], v[83:84], -v[85:86]
	s_wait_loadcnt_dscnt 0x401
	v_mul_f64_e32 v[81:82], v[67:68], v[89:90]
	v_mul_f64_e32 v[89:90], v[69:70], v[89:90]
	s_wait_loadcnt_dscnt 0x300
	v_mul_f64_e32 v[83:84], v[77:78], v[93:94]
	v_add_f64_e32 v[2:3], v[2:3], v[79:80]
	v_add_f64_e32 v[6:7], v[6:7], v[101:102]
	v_mul_f64_e32 v[79:80], v[75:76], v[93:94]
	v_fma_f64 v[81:82], v[69:70], v[87:88], v[81:82]
	v_fma_f64 v[85:86], v[67:68], v[87:88], -v[89:90]
	v_fma_f64 v[75:76], v[75:76], v[91:92], -v[83:84]
	v_add_f64_e32 v[71:72], v[2:3], v[71:72]
	v_add_f64_e32 v[6:7], v[6:7], v[73:74]
	ds_load_b128 v[67:70], v1 offset:832
	ds_load_b128 v[1:4], v1 offset:848
	v_fma_f64 v[77:78], v[77:78], v[91:92], v[79:80]
	s_wait_loadcnt_dscnt 0x201
	v_mul_f64_e32 v[73:74], v[67:68], v[97:98]
	v_mul_f64_e32 v[87:88], v[69:70], v[97:98]
	v_add_f64_e32 v[71:72], v[71:72], v[85:86]
	v_add_f64_e32 v[6:7], v[6:7], v[81:82]
	s_wait_loadcnt_dscnt 0x0
	v_mul_f64_e32 v[79:80], v[1:2], v[10:11]
	v_mul_f64_e32 v[10:11], v[3:4], v[10:11]
	v_fma_f64 v[69:70], v[69:70], v[95:96], v[73:74]
	v_fma_f64 v[67:68], v[67:68], v[95:96], -v[87:88]
	v_add_f64_e32 v[71:72], v[71:72], v[75:76]
	v_add_f64_e32 v[6:7], v[6:7], v[77:78]
	v_fma_f64 v[3:4], v[3:4], v[8:9], v[79:80]
	v_fma_f64 v[1:2], v[1:2], v[8:9], -v[10:11]
	s_delay_alu instid0(VALU_DEP_4) | instskip(NEXT) | instid1(VALU_DEP_4)
	v_add_f64_e32 v[8:9], v[71:72], v[67:68]
	v_add_f64_e32 v[6:7], v[6:7], v[69:70]
	s_delay_alu instid0(VALU_DEP_2) | instskip(NEXT) | instid1(VALU_DEP_2)
	v_add_f64_e32 v[1:2], v[8:9], v[1:2]
	v_add_f64_e32 v[3:4], v[6:7], v[3:4]
	s_delay_alu instid0(VALU_DEP_2) | instskip(NEXT) | instid1(VALU_DEP_2)
	v_add_f64_e64 v[1:2], v[107:108], -v[1:2]
	v_add_f64_e64 v[3:4], v[109:110], -v[3:4]
	scratch_store_b128 off, v[1:4], off offset:272
	v_cmpx_lt_u32_e32 15, v0
	s_cbranch_execz .LBB26_145
; %bb.144:
	scratch_load_b128 v[1:4], off, s19
	v_mov_b32_e32 v6, 0
	s_delay_alu instid0(VALU_DEP_1)
	v_dual_mov_b32 v7, v6 :: v_dual_mov_b32 v8, v6
	v_mov_b32_e32 v9, v6
	scratch_store_b128 off, v[6:9], off offset:256
	s_wait_loadcnt 0x0
	ds_store_b128 v5, v[1:4]
.LBB26_145:
	s_wait_alu 0xfffe
	s_or_b32 exec_lo, exec_lo, s0
	s_wait_storecnt_dscnt 0x0
	s_barrier_signal -1
	s_barrier_wait -1
	global_inv scope:SCOPE_SE
	s_clause 0x7
	scratch_load_b128 v[6:9], off, off offset:272
	scratch_load_b128 v[67:70], off, off offset:288
	;; [unrolled: 1-line block ×8, first 2 shown]
	v_mov_b32_e32 v1, 0
	s_clause 0x1
	scratch_load_b128 v[99:102], off, off offset:400
	scratch_load_b128 v[103:106], off, off offset:416
	s_mov_b32 s0, exec_lo
	ds_load_b128 v[95:98], v1 offset:688
	s_wait_loadcnt_dscnt 0x900
	v_mul_f64_e32 v[2:3], v[97:98], v[8:9]
	v_mul_f64_e32 v[107:108], v[95:96], v[8:9]
	ds_load_b128 v[8:11], v1 offset:704
	v_fma_f64 v[2:3], v[95:96], v[6:7], -v[2:3]
	v_fma_f64 v[6:7], v[97:98], v[6:7], v[107:108]
	ds_load_b128 v[95:98], v1 offset:720
	s_wait_loadcnt_dscnt 0x801
	v_mul_f64_e32 v[111:112], v[8:9], v[69:70]
	v_mul_f64_e32 v[69:70], v[10:11], v[69:70]
	scratch_load_b128 v[107:110], off, off offset:432
	s_wait_loadcnt_dscnt 0x800
	v_mul_f64_e32 v[113:114], v[95:96], v[73:74]
	v_mul_f64_e32 v[73:74], v[97:98], v[73:74]
	v_add_f64_e32 v[2:3], 0, v[2:3]
	v_fma_f64 v[10:11], v[10:11], v[67:68], v[111:112]
	v_fma_f64 v[67:68], v[8:9], v[67:68], -v[69:70]
	v_add_f64_e32 v[69:70], 0, v[6:7]
	ds_load_b128 v[6:9], v1 offset:736
	v_fma_f64 v[97:98], v[97:98], v[71:72], v[113:114]
	v_fma_f64 v[71:72], v[95:96], v[71:72], -v[73:74]
	v_add_f64_e32 v[2:3], v[2:3], v[67:68]
	v_add_f64_e32 v[10:11], v[69:70], v[10:11]
	ds_load_b128 v[67:70], v1 offset:752
	s_wait_loadcnt_dscnt 0x701
	v_mul_f64_e32 v[111:112], v[6:7], v[77:78]
	v_mul_f64_e32 v[77:78], v[8:9], v[77:78]
	s_wait_loadcnt_dscnt 0x600
	v_mul_f64_e32 v[95:96], v[67:68], v[81:82]
	v_mul_f64_e32 v[81:82], v[69:70], v[81:82]
	v_add_f64_e32 v[2:3], v[2:3], v[71:72]
	v_add_f64_e32 v[10:11], v[10:11], v[97:98]
	scratch_load_b128 v[71:74], off, off offset:256
	v_fma_f64 v[111:112], v[8:9], v[75:76], v[111:112]
	v_fma_f64 v[75:76], v[6:7], v[75:76], -v[77:78]
	ds_load_b128 v[6:9], v1 offset:768
	v_fma_f64 v[95:96], v[69:70], v[79:80], v[95:96]
	v_fma_f64 v[79:80], v[67:68], v[79:80], -v[81:82]
	ds_load_b128 v[67:70], v1 offset:784
	s_wait_loadcnt_dscnt 0x601
	v_mul_f64_e32 v[77:78], v[6:7], v[85:86]
	v_mul_f64_e32 v[85:86], v[8:9], v[85:86]
	v_add_f64_e32 v[10:11], v[10:11], v[111:112]
	v_add_f64_e32 v[2:3], v[2:3], v[75:76]
	s_wait_loadcnt_dscnt 0x500
	v_mul_f64_e32 v[75:76], v[67:68], v[89:90]
	v_mul_f64_e32 v[81:82], v[69:70], v[89:90]
	v_fma_f64 v[77:78], v[8:9], v[83:84], v[77:78]
	v_fma_f64 v[83:84], v[6:7], v[83:84], -v[85:86]
	ds_load_b128 v[6:9], v1 offset:800
	v_add_f64_e32 v[10:11], v[10:11], v[95:96]
	v_add_f64_e32 v[2:3], v[2:3], v[79:80]
	v_fma_f64 v[75:76], v[69:70], v[87:88], v[75:76]
	v_fma_f64 v[81:82], v[67:68], v[87:88], -v[81:82]
	ds_load_b128 v[67:70], v1 offset:816
	s_wait_loadcnt_dscnt 0x401
	v_mul_f64_e32 v[79:80], v[6:7], v[93:94]
	v_mul_f64_e32 v[85:86], v[8:9], v[93:94]
	v_add_f64_e32 v[10:11], v[10:11], v[77:78]
	v_add_f64_e32 v[2:3], v[2:3], v[83:84]
	s_wait_loadcnt_dscnt 0x300
	v_mul_f64_e32 v[77:78], v[67:68], v[101:102]
	v_mul_f64_e32 v[83:84], v[69:70], v[101:102]
	v_fma_f64 v[79:80], v[8:9], v[91:92], v[79:80]
	v_fma_f64 v[85:86], v[6:7], v[91:92], -v[85:86]
	ds_load_b128 v[6:9], v1 offset:832
	v_add_f64_e32 v[10:11], v[10:11], v[75:76]
	v_add_f64_e32 v[2:3], v[2:3], v[81:82]
	v_fma_f64 v[77:78], v[69:70], v[99:100], v[77:78]
	v_fma_f64 v[83:84], v[67:68], v[99:100], -v[83:84]
	ds_load_b128 v[67:70], v1 offset:848
	s_wait_loadcnt_dscnt 0x201
	v_mul_f64_e32 v[75:76], v[6:7], v[105:106]
	v_mul_f64_e32 v[81:82], v[8:9], v[105:106]
	v_add_f64_e32 v[10:11], v[10:11], v[79:80]
	v_add_f64_e32 v[2:3], v[2:3], v[85:86]
	s_delay_alu instid0(VALU_DEP_4) | instskip(NEXT) | instid1(VALU_DEP_4)
	v_fma_f64 v[8:9], v[8:9], v[103:104], v[75:76]
	v_fma_f64 v[6:7], v[6:7], v[103:104], -v[81:82]
	s_wait_loadcnt_dscnt 0x100
	v_mul_f64_e32 v[79:80], v[67:68], v[109:110]
	v_mul_f64_e32 v[85:86], v[69:70], v[109:110]
	v_add_f64_e32 v[10:11], v[10:11], v[77:78]
	v_add_f64_e32 v[2:3], v[2:3], v[83:84]
	s_delay_alu instid0(VALU_DEP_4) | instskip(NEXT) | instid1(VALU_DEP_4)
	v_fma_f64 v[69:70], v[69:70], v[107:108], v[79:80]
	v_fma_f64 v[67:68], v[67:68], v[107:108], -v[85:86]
	s_delay_alu instid0(VALU_DEP_3) | instskip(SKIP_1) | instid1(VALU_DEP_2)
	v_add_f64_e32 v[2:3], v[2:3], v[6:7]
	v_add_f64_e32 v[6:7], v[10:11], v[8:9]
	;; [unrolled: 1-line block ×3, first 2 shown]
	s_delay_alu instid0(VALU_DEP_2) | instskip(SKIP_1) | instid1(VALU_DEP_2)
	v_add_f64_e32 v[8:9], v[6:7], v[69:70]
	s_wait_loadcnt 0x0
	v_add_f64_e64 v[6:7], v[71:72], -v[2:3]
	s_delay_alu instid0(VALU_DEP_2)
	v_add_f64_e64 v[8:9], v[73:74], -v[8:9]
	scratch_store_b128 off, v[6:9], off offset:256
	v_cmpx_lt_u32_e32 14, v0
	s_cbranch_execz .LBB26_147
; %bb.146:
	scratch_load_b128 v[6:9], off, s22
	v_dual_mov_b32 v2, v1 :: v_dual_mov_b32 v3, v1
	v_mov_b32_e32 v4, v1
	scratch_store_b128 off, v[1:4], off offset:240
	s_wait_loadcnt 0x0
	ds_store_b128 v5, v[6:9]
.LBB26_147:
	s_wait_alu 0xfffe
	s_or_b32 exec_lo, exec_lo, s0
	s_wait_storecnt_dscnt 0x0
	s_barrier_signal -1
	s_barrier_wait -1
	global_inv scope:SCOPE_SE
	s_clause 0x7
	scratch_load_b128 v[6:9], off, off offset:256
	scratch_load_b128 v[67:70], off, off offset:272
	;; [unrolled: 1-line block ×8, first 2 shown]
	ds_load_b128 v[95:98], v1 offset:672
	s_clause 0x1
	scratch_load_b128 v[99:102], off, off offset:384
	scratch_load_b128 v[103:106], off, off offset:400
	s_mov_b32 s0, exec_lo
	s_wait_loadcnt_dscnt 0x900
	v_mul_f64_e32 v[2:3], v[97:98], v[8:9]
	v_mul_f64_e32 v[107:108], v[95:96], v[8:9]
	ds_load_b128 v[8:11], v1 offset:688
	v_fma_f64 v[2:3], v[95:96], v[6:7], -v[2:3]
	v_fma_f64 v[6:7], v[97:98], v[6:7], v[107:108]
	ds_load_b128 v[95:98], v1 offset:704
	s_wait_loadcnt_dscnt 0x801
	v_mul_f64_e32 v[111:112], v[8:9], v[69:70]
	v_mul_f64_e32 v[69:70], v[10:11], v[69:70]
	scratch_load_b128 v[107:110], off, off offset:416
	s_wait_loadcnt_dscnt 0x800
	v_mul_f64_e32 v[113:114], v[95:96], v[73:74]
	v_mul_f64_e32 v[73:74], v[97:98], v[73:74]
	v_add_f64_e32 v[2:3], 0, v[2:3]
	v_add_f64_e32 v[115:116], 0, v[6:7]
	v_fma_f64 v[10:11], v[10:11], v[67:68], v[111:112]
	v_fma_f64 v[111:112], v[8:9], v[67:68], -v[69:70]
	ds_load_b128 v[6:9], v1 offset:720
	scratch_load_b128 v[67:70], off, off offset:432
	v_fma_f64 v[97:98], v[97:98], v[71:72], v[113:114]
	v_fma_f64 v[95:96], v[95:96], v[71:72], -v[73:74]
	ds_load_b128 v[71:74], v1 offset:736
	s_wait_loadcnt_dscnt 0x801
	v_mul_f64_e32 v[117:118], v[6:7], v[77:78]
	v_mul_f64_e32 v[77:78], v[8:9], v[77:78]
	v_add_f64_e32 v[10:11], v[115:116], v[10:11]
	v_add_f64_e32 v[2:3], v[2:3], v[111:112]
	s_wait_loadcnt_dscnt 0x700
	v_mul_f64_e32 v[111:112], v[71:72], v[81:82]
	v_mul_f64_e32 v[81:82], v[73:74], v[81:82]
	v_fma_f64 v[113:114], v[8:9], v[75:76], v[117:118]
	v_fma_f64 v[75:76], v[6:7], v[75:76], -v[77:78]
	ds_load_b128 v[6:9], v1 offset:752
	v_add_f64_e32 v[10:11], v[10:11], v[97:98]
	v_add_f64_e32 v[2:3], v[2:3], v[95:96]
	v_fma_f64 v[97:98], v[73:74], v[79:80], v[111:112]
	v_fma_f64 v[79:80], v[71:72], v[79:80], -v[81:82]
	ds_load_b128 v[71:74], v1 offset:768
	s_wait_loadcnt_dscnt 0x601
	v_mul_f64_e32 v[95:96], v[6:7], v[85:86]
	v_mul_f64_e32 v[85:86], v[8:9], v[85:86]
	s_wait_loadcnt_dscnt 0x500
	v_mul_f64_e32 v[81:82], v[71:72], v[89:90]
	v_mul_f64_e32 v[89:90], v[73:74], v[89:90]
	v_add_f64_e32 v[10:11], v[10:11], v[113:114]
	v_add_f64_e32 v[2:3], v[2:3], v[75:76]
	scratch_load_b128 v[75:78], off, off offset:240
	v_fma_f64 v[95:96], v[8:9], v[83:84], v[95:96]
	v_fma_f64 v[83:84], v[6:7], v[83:84], -v[85:86]
	ds_load_b128 v[6:9], v1 offset:784
	v_fma_f64 v[81:82], v[73:74], v[87:88], v[81:82]
	v_fma_f64 v[87:88], v[71:72], v[87:88], -v[89:90]
	ds_load_b128 v[71:74], v1 offset:800
	s_wait_loadcnt_dscnt 0x501
	v_mul_f64_e32 v[85:86], v[8:9], v[93:94]
	v_add_f64_e32 v[10:11], v[10:11], v[97:98]
	v_add_f64_e32 v[2:3], v[2:3], v[79:80]
	v_mul_f64_e32 v[79:80], v[6:7], v[93:94]
	s_wait_loadcnt_dscnt 0x400
	v_mul_f64_e32 v[89:90], v[73:74], v[101:102]
	v_fma_f64 v[85:86], v[6:7], v[91:92], -v[85:86]
	v_add_f64_e32 v[10:11], v[10:11], v[95:96]
	v_add_f64_e32 v[2:3], v[2:3], v[83:84]
	v_mul_f64_e32 v[83:84], v[71:72], v[101:102]
	v_fma_f64 v[79:80], v[8:9], v[91:92], v[79:80]
	ds_load_b128 v[6:9], v1 offset:816
	v_fma_f64 v[89:90], v[71:72], v[99:100], -v[89:90]
	v_add_f64_e32 v[10:11], v[10:11], v[81:82]
	v_add_f64_e32 v[2:3], v[2:3], v[87:88]
	v_fma_f64 v[83:84], v[73:74], v[99:100], v[83:84]
	ds_load_b128 v[71:74], v1 offset:832
	s_wait_loadcnt_dscnt 0x301
	v_mul_f64_e32 v[81:82], v[6:7], v[105:106]
	v_mul_f64_e32 v[87:88], v[8:9], v[105:106]
	v_add_f64_e32 v[10:11], v[10:11], v[79:80]
	v_add_f64_e32 v[2:3], v[2:3], v[85:86]
	s_delay_alu instid0(VALU_DEP_4) | instskip(NEXT) | instid1(VALU_DEP_4)
	v_fma_f64 v[8:9], v[8:9], v[103:104], v[81:82]
	v_fma_f64 v[6:7], v[6:7], v[103:104], -v[87:88]
	s_wait_loadcnt_dscnt 0x200
	v_mul_f64_e32 v[79:80], v[71:72], v[109:110]
	v_mul_f64_e32 v[85:86], v[73:74], v[109:110]
	v_add_f64_e32 v[10:11], v[10:11], v[83:84]
	v_add_f64_e32 v[81:82], v[2:3], v[89:90]
	ds_load_b128 v[1:4], v1 offset:848
	v_fma_f64 v[73:74], v[73:74], v[107:108], v[79:80]
	v_fma_f64 v[71:72], v[71:72], v[107:108], -v[85:86]
	s_wait_loadcnt_dscnt 0x100
	v_mul_f64_e32 v[83:84], v[1:2], v[69:70]
	v_mul_f64_e32 v[69:70], v[3:4], v[69:70]
	v_add_f64_e32 v[8:9], v[10:11], v[8:9]
	v_add_f64_e32 v[6:7], v[81:82], v[6:7]
	s_delay_alu instid0(VALU_DEP_4) | instskip(NEXT) | instid1(VALU_DEP_4)
	v_fma_f64 v[3:4], v[3:4], v[67:68], v[83:84]
	v_fma_f64 v[1:2], v[1:2], v[67:68], -v[69:70]
	s_delay_alu instid0(VALU_DEP_4) | instskip(NEXT) | instid1(VALU_DEP_4)
	v_add_f64_e32 v[8:9], v[8:9], v[73:74]
	v_add_f64_e32 v[6:7], v[6:7], v[71:72]
	s_delay_alu instid0(VALU_DEP_2) | instskip(NEXT) | instid1(VALU_DEP_2)
	v_add_f64_e32 v[3:4], v[8:9], v[3:4]
	v_add_f64_e32 v[1:2], v[6:7], v[1:2]
	s_wait_loadcnt 0x0
	s_delay_alu instid0(VALU_DEP_2) | instskip(NEXT) | instid1(VALU_DEP_2)
	v_add_f64_e64 v[3:4], v[77:78], -v[3:4]
	v_add_f64_e64 v[1:2], v[75:76], -v[1:2]
	scratch_store_b128 off, v[1:4], off offset:240
	v_cmpx_lt_u32_e32 13, v0
	s_cbranch_execz .LBB26_149
; %bb.148:
	scratch_load_b128 v[1:4], off, s21
	v_mov_b32_e32 v6, 0
	s_delay_alu instid0(VALU_DEP_1)
	v_dual_mov_b32 v7, v6 :: v_dual_mov_b32 v8, v6
	v_mov_b32_e32 v9, v6
	scratch_store_b128 off, v[6:9], off offset:224
	s_wait_loadcnt 0x0
	ds_store_b128 v5, v[1:4]
.LBB26_149:
	s_wait_alu 0xfffe
	s_or_b32 exec_lo, exec_lo, s0
	s_wait_storecnt_dscnt 0x0
	s_barrier_signal -1
	s_barrier_wait -1
	global_inv scope:SCOPE_SE
	s_clause 0x7
	scratch_load_b128 v[6:9], off, off offset:240
	scratch_load_b128 v[67:70], off, off offset:256
	;; [unrolled: 1-line block ×8, first 2 shown]
	v_mov_b32_e32 v1, 0
	s_clause 0x1
	scratch_load_b128 v[99:102], off, off offset:368
	scratch_load_b128 v[103:106], off, off offset:384
	s_mov_b32 s0, exec_lo
	ds_load_b128 v[95:98], v1 offset:656
	s_wait_loadcnt_dscnt 0x900
	v_mul_f64_e32 v[2:3], v[97:98], v[8:9]
	v_mul_f64_e32 v[107:108], v[95:96], v[8:9]
	ds_load_b128 v[8:11], v1 offset:672
	v_fma_f64 v[2:3], v[95:96], v[6:7], -v[2:3]
	v_fma_f64 v[6:7], v[97:98], v[6:7], v[107:108]
	ds_load_b128 v[95:98], v1 offset:688
	s_wait_loadcnt_dscnt 0x801
	v_mul_f64_e32 v[111:112], v[8:9], v[69:70]
	v_mul_f64_e32 v[69:70], v[10:11], v[69:70]
	scratch_load_b128 v[107:110], off, off offset:400
	s_wait_loadcnt_dscnt 0x800
	v_mul_f64_e32 v[113:114], v[95:96], v[73:74]
	v_mul_f64_e32 v[73:74], v[97:98], v[73:74]
	v_add_f64_e32 v[2:3], 0, v[2:3]
	v_add_f64_e32 v[115:116], 0, v[6:7]
	v_fma_f64 v[10:11], v[10:11], v[67:68], v[111:112]
	v_fma_f64 v[111:112], v[8:9], v[67:68], -v[69:70]
	ds_load_b128 v[6:9], v1 offset:704
	scratch_load_b128 v[67:70], off, off offset:416
	v_fma_f64 v[113:114], v[97:98], v[71:72], v[113:114]
	v_fma_f64 v[119:120], v[95:96], v[71:72], -v[73:74]
	ds_load_b128 v[71:74], v1 offset:720
	s_wait_loadcnt_dscnt 0x801
	v_mul_f64_e32 v[117:118], v[6:7], v[77:78]
	v_mul_f64_e32 v[77:78], v[8:9], v[77:78]
	scratch_load_b128 v[95:98], off, off offset:432
	v_add_f64_e32 v[10:11], v[115:116], v[10:11]
	v_add_f64_e32 v[2:3], v[2:3], v[111:112]
	s_wait_loadcnt_dscnt 0x800
	v_mul_f64_e32 v[111:112], v[71:72], v[81:82]
	v_mul_f64_e32 v[81:82], v[73:74], v[81:82]
	v_fma_f64 v[115:116], v[8:9], v[75:76], v[117:118]
	v_fma_f64 v[75:76], v[6:7], v[75:76], -v[77:78]
	ds_load_b128 v[6:9], v1 offset:736
	v_add_f64_e32 v[10:11], v[10:11], v[113:114]
	v_add_f64_e32 v[2:3], v[2:3], v[119:120]
	v_fma_f64 v[111:112], v[73:74], v[79:80], v[111:112]
	v_fma_f64 v[79:80], v[71:72], v[79:80], -v[81:82]
	ds_load_b128 v[71:74], v1 offset:752
	s_wait_loadcnt_dscnt 0x701
	v_mul_f64_e32 v[77:78], v[6:7], v[85:86]
	v_mul_f64_e32 v[85:86], v[8:9], v[85:86]
	s_wait_loadcnt_dscnt 0x600
	v_mul_f64_e32 v[81:82], v[71:72], v[89:90]
	v_mul_f64_e32 v[89:90], v[73:74], v[89:90]
	v_add_f64_e32 v[10:11], v[10:11], v[115:116]
	v_add_f64_e32 v[2:3], v[2:3], v[75:76]
	v_fma_f64 v[113:114], v[8:9], v[83:84], v[77:78]
	v_fma_f64 v[83:84], v[6:7], v[83:84], -v[85:86]
	ds_load_b128 v[6:9], v1 offset:768
	scratch_load_b128 v[75:78], off, off offset:224
	v_fma_f64 v[81:82], v[73:74], v[87:88], v[81:82]
	v_fma_f64 v[87:88], v[71:72], v[87:88], -v[89:90]
	ds_load_b128 v[71:74], v1 offset:784
	s_wait_loadcnt_dscnt 0x601
	v_mul_f64_e32 v[85:86], v[8:9], v[93:94]
	v_add_f64_e32 v[10:11], v[10:11], v[111:112]
	v_add_f64_e32 v[2:3], v[2:3], v[79:80]
	v_mul_f64_e32 v[79:80], v[6:7], v[93:94]
	s_wait_loadcnt_dscnt 0x500
	v_mul_f64_e32 v[89:90], v[73:74], v[101:102]
	v_fma_f64 v[85:86], v[6:7], v[91:92], -v[85:86]
	v_add_f64_e32 v[10:11], v[10:11], v[113:114]
	v_add_f64_e32 v[2:3], v[2:3], v[83:84]
	v_mul_f64_e32 v[83:84], v[71:72], v[101:102]
	v_fma_f64 v[79:80], v[8:9], v[91:92], v[79:80]
	ds_load_b128 v[6:9], v1 offset:800
	v_fma_f64 v[89:90], v[71:72], v[99:100], -v[89:90]
	v_add_f64_e32 v[10:11], v[10:11], v[81:82]
	v_add_f64_e32 v[2:3], v[2:3], v[87:88]
	v_fma_f64 v[83:84], v[73:74], v[99:100], v[83:84]
	ds_load_b128 v[71:74], v1 offset:816
	s_wait_loadcnt_dscnt 0x401
	v_mul_f64_e32 v[81:82], v[6:7], v[105:106]
	v_mul_f64_e32 v[87:88], v[8:9], v[105:106]
	v_add_f64_e32 v[10:11], v[10:11], v[79:80]
	v_add_f64_e32 v[2:3], v[2:3], v[85:86]
	s_delay_alu instid0(VALU_DEP_4) | instskip(NEXT) | instid1(VALU_DEP_4)
	v_fma_f64 v[81:82], v[8:9], v[103:104], v[81:82]
	v_fma_f64 v[87:88], v[6:7], v[103:104], -v[87:88]
	ds_load_b128 v[6:9], v1 offset:832
	s_wait_loadcnt_dscnt 0x301
	v_mul_f64_e32 v[79:80], v[71:72], v[109:110]
	v_mul_f64_e32 v[85:86], v[73:74], v[109:110]
	v_add_f64_e32 v[10:11], v[10:11], v[83:84]
	v_add_f64_e32 v[2:3], v[2:3], v[89:90]
	s_delay_alu instid0(VALU_DEP_4)
	v_fma_f64 v[73:74], v[73:74], v[107:108], v[79:80]
	s_wait_loadcnt_dscnt 0x200
	v_mul_f64_e32 v[83:84], v[6:7], v[69:70]
	v_mul_f64_e32 v[89:90], v[8:9], v[69:70]
	v_fma_f64 v[79:80], v[71:72], v[107:108], -v[85:86]
	ds_load_b128 v[69:72], v1 offset:848
	v_add_f64_e32 v[10:11], v[10:11], v[81:82]
	v_add_f64_e32 v[2:3], v[2:3], v[87:88]
	s_wait_loadcnt_dscnt 0x100
	v_mul_f64_e32 v[81:82], v[69:70], v[97:98]
	v_mul_f64_e32 v[85:86], v[71:72], v[97:98]
	v_fma_f64 v[8:9], v[8:9], v[67:68], v[83:84]
	v_fma_f64 v[6:7], v[6:7], v[67:68], -v[89:90]
	v_add_f64_e32 v[10:11], v[10:11], v[73:74]
	v_add_f64_e32 v[2:3], v[2:3], v[79:80]
	v_fma_f64 v[67:68], v[71:72], v[95:96], v[81:82]
	v_fma_f64 v[69:70], v[69:70], v[95:96], -v[85:86]
	s_delay_alu instid0(VALU_DEP_3) | instskip(SKIP_1) | instid1(VALU_DEP_2)
	v_add_f64_e32 v[2:3], v[2:3], v[6:7]
	v_add_f64_e32 v[6:7], v[10:11], v[8:9]
	;; [unrolled: 1-line block ×3, first 2 shown]
	s_delay_alu instid0(VALU_DEP_2) | instskip(SKIP_1) | instid1(VALU_DEP_2)
	v_add_f64_e32 v[8:9], v[6:7], v[67:68]
	s_wait_loadcnt 0x0
	v_add_f64_e64 v[6:7], v[75:76], -v[2:3]
	s_delay_alu instid0(VALU_DEP_2)
	v_add_f64_e64 v[8:9], v[77:78], -v[8:9]
	scratch_store_b128 off, v[6:9], off offset:224
	v_cmpx_lt_u32_e32 12, v0
	s_cbranch_execz .LBB26_151
; %bb.150:
	scratch_load_b128 v[6:9], off, s35
	v_dual_mov_b32 v2, v1 :: v_dual_mov_b32 v3, v1
	v_mov_b32_e32 v4, v1
	scratch_store_b128 off, v[1:4], off offset:208
	s_wait_loadcnt 0x0
	ds_store_b128 v5, v[6:9]
.LBB26_151:
	s_wait_alu 0xfffe
	s_or_b32 exec_lo, exec_lo, s0
	s_wait_storecnt_dscnt 0x0
	s_barrier_signal -1
	s_barrier_wait -1
	global_inv scope:SCOPE_SE
	s_clause 0x7
	scratch_load_b128 v[6:9], off, off offset:224
	scratch_load_b128 v[67:70], off, off offset:240
	;; [unrolled: 1-line block ×8, first 2 shown]
	ds_load_b128 v[95:98], v1 offset:640
	s_clause 0x1
	scratch_load_b128 v[99:102], off, off offset:352
	scratch_load_b128 v[103:106], off, off offset:368
	s_mov_b32 s0, exec_lo
	s_wait_loadcnt_dscnt 0x900
	v_mul_f64_e32 v[2:3], v[97:98], v[8:9]
	v_mul_f64_e32 v[107:108], v[95:96], v[8:9]
	ds_load_b128 v[8:11], v1 offset:656
	v_fma_f64 v[2:3], v[95:96], v[6:7], -v[2:3]
	v_fma_f64 v[6:7], v[97:98], v[6:7], v[107:108]
	ds_load_b128 v[95:98], v1 offset:672
	s_wait_loadcnt_dscnt 0x801
	v_mul_f64_e32 v[111:112], v[8:9], v[69:70]
	v_mul_f64_e32 v[69:70], v[10:11], v[69:70]
	scratch_load_b128 v[107:110], off, off offset:384
	s_wait_loadcnt_dscnt 0x800
	v_mul_f64_e32 v[113:114], v[95:96], v[73:74]
	v_mul_f64_e32 v[73:74], v[97:98], v[73:74]
	v_add_f64_e32 v[2:3], 0, v[2:3]
	v_add_f64_e32 v[115:116], 0, v[6:7]
	v_fma_f64 v[10:11], v[10:11], v[67:68], v[111:112]
	v_fma_f64 v[111:112], v[8:9], v[67:68], -v[69:70]
	ds_load_b128 v[6:9], v1 offset:688
	scratch_load_b128 v[67:70], off, off offset:400
	v_fma_f64 v[113:114], v[97:98], v[71:72], v[113:114]
	v_fma_f64 v[119:120], v[95:96], v[71:72], -v[73:74]
	ds_load_b128 v[71:74], v1 offset:704
	s_wait_loadcnt_dscnt 0x801
	v_mul_f64_e32 v[117:118], v[6:7], v[77:78]
	v_mul_f64_e32 v[77:78], v[8:9], v[77:78]
	scratch_load_b128 v[95:98], off, off offset:416
	v_add_f64_e32 v[10:11], v[115:116], v[10:11]
	v_add_f64_e32 v[2:3], v[2:3], v[111:112]
	s_wait_loadcnt_dscnt 0x800
	v_mul_f64_e32 v[111:112], v[71:72], v[81:82]
	v_mul_f64_e32 v[81:82], v[73:74], v[81:82]
	v_fma_f64 v[115:116], v[8:9], v[75:76], v[117:118]
	v_fma_f64 v[117:118], v[6:7], v[75:76], -v[77:78]
	ds_load_b128 v[6:9], v1 offset:720
	scratch_load_b128 v[75:78], off, off offset:432
	v_add_f64_e32 v[10:11], v[10:11], v[113:114]
	v_add_f64_e32 v[2:3], v[2:3], v[119:120]
	v_fma_f64 v[111:112], v[73:74], v[79:80], v[111:112]
	v_fma_f64 v[79:80], v[71:72], v[79:80], -v[81:82]
	ds_load_b128 v[71:74], v1 offset:736
	s_wait_loadcnt_dscnt 0x801
	v_mul_f64_e32 v[113:114], v[6:7], v[85:86]
	v_mul_f64_e32 v[85:86], v[8:9], v[85:86]
	s_wait_loadcnt_dscnt 0x700
	v_mul_f64_e32 v[81:82], v[71:72], v[89:90]
	v_mul_f64_e32 v[89:90], v[73:74], v[89:90]
	v_add_f64_e32 v[10:11], v[10:11], v[115:116]
	v_add_f64_e32 v[2:3], v[2:3], v[117:118]
	v_fma_f64 v[113:114], v[8:9], v[83:84], v[113:114]
	v_fma_f64 v[83:84], v[6:7], v[83:84], -v[85:86]
	ds_load_b128 v[6:9], v1 offset:752
	v_add_f64_e32 v[10:11], v[10:11], v[111:112]
	v_add_f64_e32 v[2:3], v[2:3], v[79:80]
	v_fma_f64 v[111:112], v[73:74], v[87:88], v[81:82]
	v_fma_f64 v[87:88], v[71:72], v[87:88], -v[89:90]
	ds_load_b128 v[71:74], v1 offset:768
	s_wait_loadcnt_dscnt 0x601
	v_mul_f64_e32 v[85:86], v[6:7], v[93:94]
	v_mul_f64_e32 v[93:94], v[8:9], v[93:94]
	scratch_load_b128 v[79:82], off, off offset:208
	s_wait_loadcnt_dscnt 0x600
	v_mul_f64_e32 v[89:90], v[73:74], v[101:102]
	v_add_f64_e32 v[10:11], v[10:11], v[113:114]
	v_add_f64_e32 v[2:3], v[2:3], v[83:84]
	v_mul_f64_e32 v[83:84], v[71:72], v[101:102]
	v_fma_f64 v[85:86], v[8:9], v[91:92], v[85:86]
	v_fma_f64 v[91:92], v[6:7], v[91:92], -v[93:94]
	ds_load_b128 v[6:9], v1 offset:784
	v_fma_f64 v[89:90], v[71:72], v[99:100], -v[89:90]
	v_add_f64_e32 v[10:11], v[10:11], v[111:112]
	v_add_f64_e32 v[2:3], v[2:3], v[87:88]
	v_fma_f64 v[83:84], v[73:74], v[99:100], v[83:84]
	ds_load_b128 v[71:74], v1 offset:800
	s_wait_loadcnt_dscnt 0x501
	v_mul_f64_e32 v[87:88], v[6:7], v[105:106]
	v_mul_f64_e32 v[93:94], v[8:9], v[105:106]
	v_add_f64_e32 v[10:11], v[10:11], v[85:86]
	v_add_f64_e32 v[2:3], v[2:3], v[91:92]
	s_delay_alu instid0(VALU_DEP_4) | instskip(NEXT) | instid1(VALU_DEP_4)
	v_fma_f64 v[87:88], v[8:9], v[103:104], v[87:88]
	v_fma_f64 v[93:94], v[6:7], v[103:104], -v[93:94]
	ds_load_b128 v[6:9], v1 offset:816
	s_wait_loadcnt_dscnt 0x401
	v_mul_f64_e32 v[85:86], v[71:72], v[109:110]
	v_mul_f64_e32 v[91:92], v[73:74], v[109:110]
	v_add_f64_e32 v[10:11], v[10:11], v[83:84]
	v_add_f64_e32 v[2:3], v[2:3], v[89:90]
	s_delay_alu instid0(VALU_DEP_4)
	v_fma_f64 v[73:74], v[73:74], v[107:108], v[85:86]
	s_wait_loadcnt_dscnt 0x300
	v_mul_f64_e32 v[83:84], v[6:7], v[69:70]
	v_mul_f64_e32 v[89:90], v[8:9], v[69:70]
	v_fma_f64 v[85:86], v[71:72], v[107:108], -v[91:92]
	ds_load_b128 v[69:72], v1 offset:832
	v_add_f64_e32 v[10:11], v[10:11], v[87:88]
	v_add_f64_e32 v[2:3], v[2:3], v[93:94]
	s_wait_loadcnt_dscnt 0x200
	v_mul_f64_e32 v[87:88], v[69:70], v[97:98]
	v_mul_f64_e32 v[91:92], v[71:72], v[97:98]
	v_fma_f64 v[8:9], v[8:9], v[67:68], v[83:84]
	v_fma_f64 v[6:7], v[6:7], v[67:68], -v[89:90]
	v_add_f64_e32 v[10:11], v[10:11], v[73:74]
	v_add_f64_e32 v[67:68], v[2:3], v[85:86]
	ds_load_b128 v[1:4], v1 offset:848
	v_fma_f64 v[71:72], v[71:72], v[95:96], v[87:88]
	v_fma_f64 v[69:70], v[69:70], v[95:96], -v[91:92]
	s_wait_loadcnt_dscnt 0x100
	v_mul_f64_e32 v[73:74], v[1:2], v[77:78]
	v_mul_f64_e32 v[77:78], v[3:4], v[77:78]
	v_add_f64_e32 v[8:9], v[10:11], v[8:9]
	v_add_f64_e32 v[6:7], v[67:68], v[6:7]
	s_delay_alu instid0(VALU_DEP_4) | instskip(NEXT) | instid1(VALU_DEP_4)
	v_fma_f64 v[3:4], v[3:4], v[75:76], v[73:74]
	v_fma_f64 v[1:2], v[1:2], v[75:76], -v[77:78]
	s_delay_alu instid0(VALU_DEP_4) | instskip(NEXT) | instid1(VALU_DEP_4)
	v_add_f64_e32 v[8:9], v[8:9], v[71:72]
	v_add_f64_e32 v[6:7], v[6:7], v[69:70]
	s_delay_alu instid0(VALU_DEP_2) | instskip(NEXT) | instid1(VALU_DEP_2)
	v_add_f64_e32 v[3:4], v[8:9], v[3:4]
	v_add_f64_e32 v[1:2], v[6:7], v[1:2]
	s_wait_loadcnt 0x0
	s_delay_alu instid0(VALU_DEP_2) | instskip(NEXT) | instid1(VALU_DEP_2)
	v_add_f64_e64 v[3:4], v[81:82], -v[3:4]
	v_add_f64_e64 v[1:2], v[79:80], -v[1:2]
	scratch_store_b128 off, v[1:4], off offset:208
	v_cmpx_lt_u32_e32 11, v0
	s_cbranch_execz .LBB26_153
; %bb.152:
	scratch_load_b128 v[1:4], off, s33
	v_mov_b32_e32 v6, 0
	s_delay_alu instid0(VALU_DEP_1)
	v_dual_mov_b32 v7, v6 :: v_dual_mov_b32 v8, v6
	v_mov_b32_e32 v9, v6
	scratch_store_b128 off, v[6:9], off offset:192
	s_wait_loadcnt 0x0
	ds_store_b128 v5, v[1:4]
.LBB26_153:
	s_wait_alu 0xfffe
	s_or_b32 exec_lo, exec_lo, s0
	s_wait_storecnt_dscnt 0x0
	s_barrier_signal -1
	s_barrier_wait -1
	global_inv scope:SCOPE_SE
	s_clause 0x7
	scratch_load_b128 v[6:9], off, off offset:208
	scratch_load_b128 v[67:70], off, off offset:224
	scratch_load_b128 v[71:74], off, off offset:240
	scratch_load_b128 v[75:78], off, off offset:256
	scratch_load_b128 v[79:82], off, off offset:272
	scratch_load_b128 v[83:86], off, off offset:288
	scratch_load_b128 v[87:90], off, off offset:304
	scratch_load_b128 v[91:94], off, off offset:320
	v_mov_b32_e32 v1, 0
	s_clause 0x1
	scratch_load_b128 v[99:102], off, off offset:336
	scratch_load_b128 v[103:106], off, off offset:352
	s_mov_b32 s0, exec_lo
	ds_load_b128 v[95:98], v1 offset:624
	s_wait_loadcnt_dscnt 0x900
	v_mul_f64_e32 v[2:3], v[97:98], v[8:9]
	v_mul_f64_e32 v[107:108], v[95:96], v[8:9]
	ds_load_b128 v[8:11], v1 offset:640
	v_fma_f64 v[2:3], v[95:96], v[6:7], -v[2:3]
	v_fma_f64 v[6:7], v[97:98], v[6:7], v[107:108]
	ds_load_b128 v[95:98], v1 offset:656
	s_wait_loadcnt_dscnt 0x801
	v_mul_f64_e32 v[111:112], v[8:9], v[69:70]
	v_mul_f64_e32 v[69:70], v[10:11], v[69:70]
	scratch_load_b128 v[107:110], off, off offset:368
	s_wait_loadcnt_dscnt 0x800
	v_mul_f64_e32 v[113:114], v[95:96], v[73:74]
	v_mul_f64_e32 v[73:74], v[97:98], v[73:74]
	v_add_f64_e32 v[2:3], 0, v[2:3]
	v_add_f64_e32 v[115:116], 0, v[6:7]
	v_fma_f64 v[10:11], v[10:11], v[67:68], v[111:112]
	v_fma_f64 v[111:112], v[8:9], v[67:68], -v[69:70]
	ds_load_b128 v[6:9], v1 offset:672
	scratch_load_b128 v[67:70], off, off offset:384
	v_fma_f64 v[113:114], v[97:98], v[71:72], v[113:114]
	v_fma_f64 v[119:120], v[95:96], v[71:72], -v[73:74]
	ds_load_b128 v[71:74], v1 offset:688
	s_wait_loadcnt_dscnt 0x801
	v_mul_f64_e32 v[117:118], v[6:7], v[77:78]
	v_mul_f64_e32 v[77:78], v[8:9], v[77:78]
	scratch_load_b128 v[95:98], off, off offset:400
	v_add_f64_e32 v[10:11], v[115:116], v[10:11]
	v_add_f64_e32 v[2:3], v[2:3], v[111:112]
	s_wait_loadcnt_dscnt 0x800
	v_mul_f64_e32 v[111:112], v[71:72], v[81:82]
	v_mul_f64_e32 v[81:82], v[73:74], v[81:82]
	v_fma_f64 v[115:116], v[8:9], v[75:76], v[117:118]
	v_fma_f64 v[117:118], v[6:7], v[75:76], -v[77:78]
	ds_load_b128 v[6:9], v1 offset:704
	scratch_load_b128 v[75:78], off, off offset:416
	v_add_f64_e32 v[10:11], v[10:11], v[113:114]
	v_add_f64_e32 v[2:3], v[2:3], v[119:120]
	v_fma_f64 v[111:112], v[73:74], v[79:80], v[111:112]
	v_fma_f64 v[119:120], v[71:72], v[79:80], -v[81:82]
	ds_load_b128 v[71:74], v1 offset:720
	s_wait_loadcnt_dscnt 0x801
	v_mul_f64_e32 v[113:114], v[6:7], v[85:86]
	v_mul_f64_e32 v[85:86], v[8:9], v[85:86]
	scratch_load_b128 v[79:82], off, off offset:432
	v_add_f64_e32 v[10:11], v[10:11], v[115:116]
	v_add_f64_e32 v[2:3], v[2:3], v[117:118]
	s_wait_loadcnt_dscnt 0x800
	v_mul_f64_e32 v[115:116], v[71:72], v[89:90]
	v_mul_f64_e32 v[89:90], v[73:74], v[89:90]
	v_fma_f64 v[113:114], v[8:9], v[83:84], v[113:114]
	v_fma_f64 v[83:84], v[6:7], v[83:84], -v[85:86]
	ds_load_b128 v[6:9], v1 offset:736
	v_add_f64_e32 v[10:11], v[10:11], v[111:112]
	v_add_f64_e32 v[2:3], v[2:3], v[119:120]
	v_fma_f64 v[111:112], v[73:74], v[87:88], v[115:116]
	v_fma_f64 v[87:88], v[71:72], v[87:88], -v[89:90]
	ds_load_b128 v[71:74], v1 offset:752
	s_wait_loadcnt_dscnt 0x701
	v_mul_f64_e32 v[85:86], v[6:7], v[93:94]
	v_mul_f64_e32 v[93:94], v[8:9], v[93:94]
	v_add_f64_e32 v[10:11], v[10:11], v[113:114]
	v_add_f64_e32 v[2:3], v[2:3], v[83:84]
	s_delay_alu instid0(VALU_DEP_4) | instskip(NEXT) | instid1(VALU_DEP_4)
	v_fma_f64 v[113:114], v[8:9], v[91:92], v[85:86]
	v_fma_f64 v[91:92], v[6:7], v[91:92], -v[93:94]
	scratch_load_b128 v[83:86], off, off offset:192
	s_wait_loadcnt_dscnt 0x700
	v_mul_f64_e32 v[89:90], v[71:72], v[101:102]
	v_mul_f64_e32 v[101:102], v[73:74], v[101:102]
	ds_load_b128 v[6:9], v1 offset:768
	v_add_f64_e32 v[10:11], v[10:11], v[111:112]
	v_add_f64_e32 v[2:3], v[2:3], v[87:88]
	v_fma_f64 v[89:90], v[73:74], v[99:100], v[89:90]
	v_fma_f64 v[99:100], v[71:72], v[99:100], -v[101:102]
	ds_load_b128 v[71:74], v1 offset:784
	s_wait_loadcnt_dscnt 0x601
	v_mul_f64_e32 v[87:88], v[6:7], v[105:106]
	v_mul_f64_e32 v[93:94], v[8:9], v[105:106]
	v_add_f64_e32 v[10:11], v[10:11], v[113:114]
	v_add_f64_e32 v[2:3], v[2:3], v[91:92]
	s_delay_alu instid0(VALU_DEP_4) | instskip(NEXT) | instid1(VALU_DEP_4)
	v_fma_f64 v[87:88], v[8:9], v[103:104], v[87:88]
	v_fma_f64 v[93:94], v[6:7], v[103:104], -v[93:94]
	ds_load_b128 v[6:9], v1 offset:800
	s_wait_loadcnt_dscnt 0x501
	v_mul_f64_e32 v[91:92], v[71:72], v[109:110]
	v_mul_f64_e32 v[101:102], v[73:74], v[109:110]
	v_add_f64_e32 v[10:11], v[10:11], v[89:90]
	v_add_f64_e32 v[2:3], v[2:3], v[99:100]
	s_delay_alu instid0(VALU_DEP_4)
	v_fma_f64 v[73:74], v[73:74], v[107:108], v[91:92]
	s_wait_loadcnt_dscnt 0x400
	v_mul_f64_e32 v[89:90], v[6:7], v[69:70]
	v_mul_f64_e32 v[99:100], v[8:9], v[69:70]
	v_fma_f64 v[91:92], v[71:72], v[107:108], -v[101:102]
	ds_load_b128 v[69:72], v1 offset:816
	v_add_f64_e32 v[10:11], v[10:11], v[87:88]
	v_add_f64_e32 v[2:3], v[2:3], v[93:94]
	v_fma_f64 v[89:90], v[8:9], v[67:68], v[89:90]
	v_fma_f64 v[67:68], v[6:7], v[67:68], -v[99:100]
	ds_load_b128 v[6:9], v1 offset:832
	s_wait_loadcnt_dscnt 0x301
	v_mul_f64_e32 v[87:88], v[69:70], v[97:98]
	v_mul_f64_e32 v[93:94], v[71:72], v[97:98]
	v_add_f64_e32 v[10:11], v[10:11], v[73:74]
	v_add_f64_e32 v[2:3], v[2:3], v[91:92]
	s_wait_loadcnt_dscnt 0x200
	v_mul_f64_e32 v[73:74], v[6:7], v[77:78]
	v_mul_f64_e32 v[77:78], v[8:9], v[77:78]
	v_fma_f64 v[71:72], v[71:72], v[95:96], v[87:88]
	v_fma_f64 v[87:88], v[69:70], v[95:96], -v[93:94]
	v_add_f64_e32 v[10:11], v[10:11], v[89:90]
	v_add_f64_e32 v[2:3], v[2:3], v[67:68]
	ds_load_b128 v[67:70], v1 offset:848
	v_fma_f64 v[8:9], v[8:9], v[75:76], v[73:74]
	v_fma_f64 v[6:7], v[6:7], v[75:76], -v[77:78]
	s_wait_loadcnt_dscnt 0x100
	v_mul_f64_e32 v[89:90], v[67:68], v[81:82]
	v_mul_f64_e32 v[81:82], v[69:70], v[81:82]
	v_add_f64_e32 v[10:11], v[10:11], v[71:72]
	v_add_f64_e32 v[2:3], v[2:3], v[87:88]
	s_delay_alu instid0(VALU_DEP_4) | instskip(NEXT) | instid1(VALU_DEP_4)
	v_fma_f64 v[69:70], v[69:70], v[79:80], v[89:90]
	v_fma_f64 v[67:68], v[67:68], v[79:80], -v[81:82]
	s_delay_alu instid0(VALU_DEP_3) | instskip(SKIP_1) | instid1(VALU_DEP_2)
	v_add_f64_e32 v[2:3], v[2:3], v[6:7]
	v_add_f64_e32 v[6:7], v[10:11], v[8:9]
	;; [unrolled: 1-line block ×3, first 2 shown]
	s_delay_alu instid0(VALU_DEP_2) | instskip(SKIP_1) | instid1(VALU_DEP_2)
	v_add_f64_e32 v[8:9], v[6:7], v[69:70]
	s_wait_loadcnt 0x0
	v_add_f64_e64 v[6:7], v[83:84], -v[2:3]
	s_delay_alu instid0(VALU_DEP_2)
	v_add_f64_e64 v[8:9], v[85:86], -v[8:9]
	scratch_store_b128 off, v[6:9], off offset:192
	v_cmpx_lt_u32_e32 10, v0
	s_cbranch_execz .LBB26_155
; %bb.154:
	scratch_load_b128 v[6:9], off, s34
	v_dual_mov_b32 v2, v1 :: v_dual_mov_b32 v3, v1
	v_mov_b32_e32 v4, v1
	scratch_store_b128 off, v[1:4], off offset:176
	s_wait_loadcnt 0x0
	ds_store_b128 v5, v[6:9]
.LBB26_155:
	s_wait_alu 0xfffe
	s_or_b32 exec_lo, exec_lo, s0
	s_wait_storecnt_dscnt 0x0
	s_barrier_signal -1
	s_barrier_wait -1
	global_inv scope:SCOPE_SE
	s_clause 0x7
	scratch_load_b128 v[6:9], off, off offset:192
	scratch_load_b128 v[67:70], off, off offset:208
	;; [unrolled: 1-line block ×8, first 2 shown]
	ds_load_b128 v[95:98], v1 offset:608
	s_clause 0x1
	scratch_load_b128 v[99:102], off, off offset:320
	scratch_load_b128 v[103:106], off, off offset:336
	s_mov_b32 s0, exec_lo
	s_wait_loadcnt_dscnt 0x900
	v_mul_f64_e32 v[2:3], v[97:98], v[8:9]
	v_mul_f64_e32 v[107:108], v[95:96], v[8:9]
	ds_load_b128 v[8:11], v1 offset:624
	v_fma_f64 v[2:3], v[95:96], v[6:7], -v[2:3]
	v_fma_f64 v[6:7], v[97:98], v[6:7], v[107:108]
	ds_load_b128 v[95:98], v1 offset:640
	s_wait_loadcnt_dscnt 0x801
	v_mul_f64_e32 v[111:112], v[8:9], v[69:70]
	v_mul_f64_e32 v[69:70], v[10:11], v[69:70]
	scratch_load_b128 v[107:110], off, off offset:352
	s_wait_loadcnt_dscnt 0x800
	v_mul_f64_e32 v[113:114], v[95:96], v[73:74]
	v_mul_f64_e32 v[73:74], v[97:98], v[73:74]
	v_add_f64_e32 v[2:3], 0, v[2:3]
	v_add_f64_e32 v[115:116], 0, v[6:7]
	v_fma_f64 v[10:11], v[10:11], v[67:68], v[111:112]
	v_fma_f64 v[111:112], v[8:9], v[67:68], -v[69:70]
	ds_load_b128 v[6:9], v1 offset:656
	scratch_load_b128 v[67:70], off, off offset:368
	v_fma_f64 v[113:114], v[97:98], v[71:72], v[113:114]
	v_fma_f64 v[119:120], v[95:96], v[71:72], -v[73:74]
	ds_load_b128 v[71:74], v1 offset:672
	s_wait_loadcnt_dscnt 0x801
	v_mul_f64_e32 v[117:118], v[6:7], v[77:78]
	v_mul_f64_e32 v[77:78], v[8:9], v[77:78]
	scratch_load_b128 v[95:98], off, off offset:384
	v_add_f64_e32 v[10:11], v[115:116], v[10:11]
	v_add_f64_e32 v[2:3], v[2:3], v[111:112]
	s_wait_loadcnt_dscnt 0x800
	v_mul_f64_e32 v[111:112], v[71:72], v[81:82]
	v_mul_f64_e32 v[81:82], v[73:74], v[81:82]
	v_fma_f64 v[115:116], v[8:9], v[75:76], v[117:118]
	v_fma_f64 v[117:118], v[6:7], v[75:76], -v[77:78]
	ds_load_b128 v[6:9], v1 offset:688
	scratch_load_b128 v[75:78], off, off offset:400
	v_add_f64_e32 v[10:11], v[10:11], v[113:114]
	v_add_f64_e32 v[2:3], v[2:3], v[119:120]
	v_fma_f64 v[111:112], v[73:74], v[79:80], v[111:112]
	v_fma_f64 v[119:120], v[71:72], v[79:80], -v[81:82]
	ds_load_b128 v[71:74], v1 offset:704
	s_wait_loadcnt_dscnt 0x801
	v_mul_f64_e32 v[113:114], v[6:7], v[85:86]
	v_mul_f64_e32 v[85:86], v[8:9], v[85:86]
	scratch_load_b128 v[79:82], off, off offset:416
	v_add_f64_e32 v[10:11], v[10:11], v[115:116]
	v_add_f64_e32 v[2:3], v[2:3], v[117:118]
	s_wait_loadcnt_dscnt 0x800
	v_mul_f64_e32 v[115:116], v[71:72], v[89:90]
	v_mul_f64_e32 v[89:90], v[73:74], v[89:90]
	v_fma_f64 v[113:114], v[8:9], v[83:84], v[113:114]
	v_fma_f64 v[117:118], v[6:7], v[83:84], -v[85:86]
	ds_load_b128 v[6:9], v1 offset:720
	scratch_load_b128 v[83:86], off, off offset:432
	v_add_f64_e32 v[10:11], v[10:11], v[111:112]
	v_add_f64_e32 v[2:3], v[2:3], v[119:120]
	v_fma_f64 v[115:116], v[73:74], v[87:88], v[115:116]
	v_fma_f64 v[87:88], v[71:72], v[87:88], -v[89:90]
	ds_load_b128 v[71:74], v1 offset:736
	s_wait_loadcnt_dscnt 0x801
	v_mul_f64_e32 v[111:112], v[6:7], v[93:94]
	v_mul_f64_e32 v[93:94], v[8:9], v[93:94]
	s_wait_loadcnt_dscnt 0x700
	v_mul_f64_e32 v[89:90], v[71:72], v[101:102]
	v_mul_f64_e32 v[101:102], v[73:74], v[101:102]
	v_add_f64_e32 v[10:11], v[10:11], v[113:114]
	v_add_f64_e32 v[2:3], v[2:3], v[117:118]
	v_fma_f64 v[111:112], v[8:9], v[91:92], v[111:112]
	v_fma_f64 v[91:92], v[6:7], v[91:92], -v[93:94]
	ds_load_b128 v[6:9], v1 offset:752
	v_fma_f64 v[113:114], v[73:74], v[99:100], v[89:90]
	v_fma_f64 v[99:100], v[71:72], v[99:100], -v[101:102]
	ds_load_b128 v[71:74], v1 offset:768
	v_add_f64_e32 v[10:11], v[10:11], v[115:116]
	v_add_f64_e32 v[2:3], v[2:3], v[87:88]
	scratch_load_b128 v[87:90], off, off offset:176
	s_wait_loadcnt_dscnt 0x701
	v_mul_f64_e32 v[93:94], v[6:7], v[105:106]
	v_mul_f64_e32 v[105:106], v[8:9], v[105:106]
	v_add_f64_e32 v[10:11], v[10:11], v[111:112]
	v_add_f64_e32 v[2:3], v[2:3], v[91:92]
	s_delay_alu instid0(VALU_DEP_4) | instskip(NEXT) | instid1(VALU_DEP_4)
	v_fma_f64 v[93:94], v[8:9], v[103:104], v[93:94]
	v_fma_f64 v[103:104], v[6:7], v[103:104], -v[105:106]
	ds_load_b128 v[6:9], v1 offset:784
	s_wait_loadcnt_dscnt 0x601
	v_mul_f64_e32 v[91:92], v[71:72], v[109:110]
	v_mul_f64_e32 v[101:102], v[73:74], v[109:110]
	v_add_f64_e32 v[10:11], v[10:11], v[113:114]
	v_add_f64_e32 v[2:3], v[2:3], v[99:100]
	s_delay_alu instid0(VALU_DEP_4)
	v_fma_f64 v[73:74], v[73:74], v[107:108], v[91:92]
	s_wait_loadcnt_dscnt 0x500
	v_mul_f64_e32 v[99:100], v[6:7], v[69:70]
	v_mul_f64_e32 v[105:106], v[8:9], v[69:70]
	v_fma_f64 v[91:92], v[71:72], v[107:108], -v[101:102]
	ds_load_b128 v[69:72], v1 offset:800
	v_add_f64_e32 v[10:11], v[10:11], v[93:94]
	v_add_f64_e32 v[2:3], v[2:3], v[103:104]
	v_fma_f64 v[99:100], v[8:9], v[67:68], v[99:100]
	v_fma_f64 v[67:68], v[6:7], v[67:68], -v[105:106]
	ds_load_b128 v[6:9], v1 offset:816
	s_wait_loadcnt_dscnt 0x401
	v_mul_f64_e32 v[93:94], v[69:70], v[97:98]
	v_mul_f64_e32 v[97:98], v[71:72], v[97:98]
	v_add_f64_e32 v[10:11], v[10:11], v[73:74]
	v_add_f64_e32 v[2:3], v[2:3], v[91:92]
	s_wait_loadcnt_dscnt 0x300
	v_mul_f64_e32 v[73:74], v[6:7], v[77:78]
	v_mul_f64_e32 v[77:78], v[8:9], v[77:78]
	v_fma_f64 v[71:72], v[71:72], v[95:96], v[93:94]
	v_fma_f64 v[91:92], v[69:70], v[95:96], -v[97:98]
	v_add_f64_e32 v[10:11], v[10:11], v[99:100]
	v_add_f64_e32 v[2:3], v[2:3], v[67:68]
	ds_load_b128 v[67:70], v1 offset:832
	v_fma_f64 v[8:9], v[8:9], v[75:76], v[73:74]
	v_fma_f64 v[6:7], v[6:7], v[75:76], -v[77:78]
	s_wait_loadcnt_dscnt 0x200
	v_mul_f64_e32 v[93:94], v[67:68], v[81:82]
	v_mul_f64_e32 v[81:82], v[69:70], v[81:82]
	v_add_f64_e32 v[10:11], v[10:11], v[71:72]
	v_add_f64_e32 v[73:74], v[2:3], v[91:92]
	ds_load_b128 v[1:4], v1 offset:848
	s_wait_loadcnt_dscnt 0x100
	v_mul_f64_e32 v[71:72], v[1:2], v[85:86]
	v_mul_f64_e32 v[75:76], v[3:4], v[85:86]
	v_fma_f64 v[69:70], v[69:70], v[79:80], v[93:94]
	v_fma_f64 v[67:68], v[67:68], v[79:80], -v[81:82]
	v_add_f64_e32 v[8:9], v[10:11], v[8:9]
	v_add_f64_e32 v[6:7], v[73:74], v[6:7]
	v_fma_f64 v[3:4], v[3:4], v[83:84], v[71:72]
	v_fma_f64 v[1:2], v[1:2], v[83:84], -v[75:76]
	s_delay_alu instid0(VALU_DEP_4) | instskip(NEXT) | instid1(VALU_DEP_4)
	v_add_f64_e32 v[8:9], v[8:9], v[69:70]
	v_add_f64_e32 v[6:7], v[6:7], v[67:68]
	s_delay_alu instid0(VALU_DEP_2) | instskip(NEXT) | instid1(VALU_DEP_2)
	v_add_f64_e32 v[3:4], v[8:9], v[3:4]
	v_add_f64_e32 v[1:2], v[6:7], v[1:2]
	s_wait_loadcnt 0x0
	s_delay_alu instid0(VALU_DEP_2) | instskip(NEXT) | instid1(VALU_DEP_2)
	v_add_f64_e64 v[3:4], v[89:90], -v[3:4]
	v_add_f64_e64 v[1:2], v[87:88], -v[1:2]
	scratch_store_b128 off, v[1:4], off offset:176
	v_cmpx_lt_u32_e32 9, v0
	s_cbranch_execz .LBB26_157
; %bb.156:
	scratch_load_b128 v[1:4], off, s31
	v_mov_b32_e32 v6, 0
	s_delay_alu instid0(VALU_DEP_1)
	v_dual_mov_b32 v7, v6 :: v_dual_mov_b32 v8, v6
	v_mov_b32_e32 v9, v6
	scratch_store_b128 off, v[6:9], off offset:160
	s_wait_loadcnt 0x0
	ds_store_b128 v5, v[1:4]
.LBB26_157:
	s_wait_alu 0xfffe
	s_or_b32 exec_lo, exec_lo, s0
	s_wait_storecnt_dscnt 0x0
	s_barrier_signal -1
	s_barrier_wait -1
	global_inv scope:SCOPE_SE
	s_clause 0x7
	scratch_load_b128 v[6:9], off, off offset:176
	scratch_load_b128 v[67:70], off, off offset:192
	;; [unrolled: 1-line block ×8, first 2 shown]
	v_mov_b32_e32 v1, 0
	s_clause 0x1
	scratch_load_b128 v[103:106], off, off offset:320
	scratch_load_b128 v[99:102], off, off offset:304
	s_mov_b32 s0, exec_lo
	ds_load_b128 v[95:98], v1 offset:592
	s_wait_loadcnt_dscnt 0x900
	v_mul_f64_e32 v[2:3], v[97:98], v[8:9]
	v_mul_f64_e32 v[107:108], v[95:96], v[8:9]
	ds_load_b128 v[8:11], v1 offset:608
	v_fma_f64 v[2:3], v[95:96], v[6:7], -v[2:3]
	v_fma_f64 v[6:7], v[97:98], v[6:7], v[107:108]
	ds_load_b128 v[95:98], v1 offset:624
	s_wait_loadcnt_dscnt 0x801
	v_mul_f64_e32 v[111:112], v[8:9], v[69:70]
	v_mul_f64_e32 v[69:70], v[10:11], v[69:70]
	scratch_load_b128 v[107:110], off, off offset:336
	s_wait_loadcnt_dscnt 0x800
	v_mul_f64_e32 v[113:114], v[95:96], v[73:74]
	v_mul_f64_e32 v[73:74], v[97:98], v[73:74]
	v_add_f64_e32 v[2:3], 0, v[2:3]
	v_add_f64_e32 v[115:116], 0, v[6:7]
	v_fma_f64 v[10:11], v[10:11], v[67:68], v[111:112]
	v_fma_f64 v[111:112], v[8:9], v[67:68], -v[69:70]
	ds_load_b128 v[6:9], v1 offset:640
	scratch_load_b128 v[67:70], off, off offset:352
	v_fma_f64 v[113:114], v[97:98], v[71:72], v[113:114]
	v_fma_f64 v[119:120], v[95:96], v[71:72], -v[73:74]
	ds_load_b128 v[71:74], v1 offset:656
	s_wait_loadcnt_dscnt 0x801
	v_mul_f64_e32 v[117:118], v[6:7], v[77:78]
	v_mul_f64_e32 v[77:78], v[8:9], v[77:78]
	scratch_load_b128 v[95:98], off, off offset:368
	v_add_f64_e32 v[10:11], v[115:116], v[10:11]
	v_add_f64_e32 v[2:3], v[2:3], v[111:112]
	s_wait_loadcnt_dscnt 0x800
	v_mul_f64_e32 v[111:112], v[71:72], v[81:82]
	v_mul_f64_e32 v[81:82], v[73:74], v[81:82]
	v_fma_f64 v[115:116], v[8:9], v[75:76], v[117:118]
	v_fma_f64 v[117:118], v[6:7], v[75:76], -v[77:78]
	ds_load_b128 v[6:9], v1 offset:672
	scratch_load_b128 v[75:78], off, off offset:384
	v_add_f64_e32 v[10:11], v[10:11], v[113:114]
	v_add_f64_e32 v[2:3], v[2:3], v[119:120]
	v_fma_f64 v[111:112], v[73:74], v[79:80], v[111:112]
	v_fma_f64 v[119:120], v[71:72], v[79:80], -v[81:82]
	ds_load_b128 v[71:74], v1 offset:688
	s_wait_loadcnt_dscnt 0x801
	v_mul_f64_e32 v[113:114], v[6:7], v[85:86]
	v_mul_f64_e32 v[85:86], v[8:9], v[85:86]
	scratch_load_b128 v[79:82], off, off offset:400
	v_add_f64_e32 v[10:11], v[10:11], v[115:116]
	v_add_f64_e32 v[2:3], v[2:3], v[117:118]
	s_wait_loadcnt_dscnt 0x800
	v_mul_f64_e32 v[115:116], v[71:72], v[89:90]
	v_mul_f64_e32 v[89:90], v[73:74], v[89:90]
	v_fma_f64 v[113:114], v[8:9], v[83:84], v[113:114]
	v_fma_f64 v[117:118], v[6:7], v[83:84], -v[85:86]
	ds_load_b128 v[6:9], v1 offset:704
	scratch_load_b128 v[83:86], off, off offset:416
	v_add_f64_e32 v[10:11], v[10:11], v[111:112]
	v_add_f64_e32 v[2:3], v[2:3], v[119:120]
	v_fma_f64 v[115:116], v[73:74], v[87:88], v[115:116]
	v_fma_f64 v[119:120], v[71:72], v[87:88], -v[89:90]
	ds_load_b128 v[71:74], v1 offset:720
	s_wait_loadcnt_dscnt 0x801
	v_mul_f64_e32 v[111:112], v[6:7], v[93:94]
	v_mul_f64_e32 v[93:94], v[8:9], v[93:94]
	scratch_load_b128 v[87:90], off, off offset:432
	v_add_f64_e32 v[10:11], v[10:11], v[113:114]
	v_add_f64_e32 v[2:3], v[2:3], v[117:118]
	v_fma_f64 v[111:112], v[8:9], v[91:92], v[111:112]
	v_fma_f64 v[91:92], v[6:7], v[91:92], -v[93:94]
	ds_load_b128 v[6:9], v1 offset:736
	s_wait_loadcnt_dscnt 0x800
	v_mul_f64_e32 v[93:94], v[6:7], v[105:106]
	v_mul_f64_e32 v[105:106], v[8:9], v[105:106]
	v_add_f64_e32 v[10:11], v[10:11], v[115:116]
	v_add_f64_e32 v[2:3], v[2:3], v[119:120]
	s_delay_alu instid0(VALU_DEP_2) | instskip(NEXT) | instid1(VALU_DEP_2)
	v_add_f64_e32 v[10:11], v[10:11], v[111:112]
	v_add_f64_e32 v[2:3], v[2:3], v[91:92]
	v_fma_f64 v[111:112], v[8:9], v[103:104], v[93:94]
	scratch_load_b128 v[91:94], off, off offset:160
	s_wait_loadcnt 0x8
	v_mul_f64_e32 v[113:114], v[71:72], v[101:102]
	v_mul_f64_e32 v[101:102], v[73:74], v[101:102]
	v_fma_f64 v[103:104], v[6:7], v[103:104], -v[105:106]
	ds_load_b128 v[6:9], v1 offset:768
	v_fma_f64 v[113:114], v[73:74], v[99:100], v[113:114]
	v_fma_f64 v[99:100], v[71:72], v[99:100], -v[101:102]
	ds_load_b128 v[71:74], v1 offset:752
	s_wait_loadcnt_dscnt 0x601
	v_mul_f64_e32 v[105:106], v[8:9], v[69:70]
	s_wait_dscnt 0x0
	v_mul_f64_e32 v[101:102], v[71:72], v[109:110]
	v_mul_f64_e32 v[109:110], v[73:74], v[109:110]
	v_add_f64_e32 v[10:11], v[10:11], v[113:114]
	v_add_f64_e32 v[2:3], v[2:3], v[99:100]
	v_mul_f64_e32 v[99:100], v[6:7], v[69:70]
	v_fma_f64 v[73:74], v[73:74], v[107:108], v[101:102]
	v_fma_f64 v[101:102], v[71:72], v[107:108], -v[109:110]
	ds_load_b128 v[69:72], v1 offset:784
	v_add_f64_e32 v[10:11], v[10:11], v[111:112]
	v_add_f64_e32 v[2:3], v[2:3], v[103:104]
	v_fma_f64 v[99:100], v[8:9], v[67:68], v[99:100]
	v_fma_f64 v[67:68], v[6:7], v[67:68], -v[105:106]
	ds_load_b128 v[6:9], v1 offset:800
	s_wait_loadcnt_dscnt 0x501
	v_mul_f64_e32 v[103:104], v[69:70], v[97:98]
	v_mul_f64_e32 v[97:98], v[71:72], v[97:98]
	v_add_f64_e32 v[10:11], v[10:11], v[73:74]
	v_add_f64_e32 v[2:3], v[2:3], v[101:102]
	s_wait_loadcnt_dscnt 0x400
	v_mul_f64_e32 v[73:74], v[6:7], v[77:78]
	v_mul_f64_e32 v[77:78], v[8:9], v[77:78]
	v_fma_f64 v[71:72], v[71:72], v[95:96], v[103:104]
	v_fma_f64 v[95:96], v[69:70], v[95:96], -v[97:98]
	v_add_f64_e32 v[10:11], v[10:11], v[99:100]
	v_add_f64_e32 v[2:3], v[2:3], v[67:68]
	ds_load_b128 v[67:70], v1 offset:816
	v_fma_f64 v[73:74], v[8:9], v[75:76], v[73:74]
	v_fma_f64 v[75:76], v[6:7], v[75:76], -v[77:78]
	ds_load_b128 v[6:9], v1 offset:832
	s_wait_loadcnt_dscnt 0x301
	v_mul_f64_e32 v[97:98], v[67:68], v[81:82]
	v_mul_f64_e32 v[81:82], v[69:70], v[81:82]
	s_wait_loadcnt_dscnt 0x200
	v_mul_f64_e32 v[77:78], v[8:9], v[85:86]
	v_add_f64_e32 v[10:11], v[10:11], v[71:72]
	v_add_f64_e32 v[2:3], v[2:3], v[95:96]
	v_mul_f64_e32 v[71:72], v[6:7], v[85:86]
	v_fma_f64 v[85:86], v[69:70], v[79:80], v[97:98]
	v_fma_f64 v[79:80], v[67:68], v[79:80], -v[81:82]
	ds_load_b128 v[67:70], v1 offset:848
	v_fma_f64 v[6:7], v[6:7], v[83:84], -v[77:78]
	v_add_f64_e32 v[10:11], v[10:11], v[73:74]
	v_add_f64_e32 v[2:3], v[2:3], v[75:76]
	v_fma_f64 v[8:9], v[8:9], v[83:84], v[71:72]
	s_wait_loadcnt_dscnt 0x100
	v_mul_f64_e32 v[73:74], v[67:68], v[89:90]
	v_mul_f64_e32 v[75:76], v[69:70], v[89:90]
	v_add_f64_e32 v[10:11], v[10:11], v[85:86]
	v_add_f64_e32 v[2:3], v[2:3], v[79:80]
	s_delay_alu instid0(VALU_DEP_4) | instskip(NEXT) | instid1(VALU_DEP_4)
	v_fma_f64 v[69:70], v[69:70], v[87:88], v[73:74]
	v_fma_f64 v[67:68], v[67:68], v[87:88], -v[75:76]
	s_delay_alu instid0(VALU_DEP_3) | instskip(SKIP_1) | instid1(VALU_DEP_2)
	v_add_f64_e32 v[2:3], v[2:3], v[6:7]
	v_add_f64_e32 v[6:7], v[10:11], v[8:9]
	;; [unrolled: 1-line block ×3, first 2 shown]
	s_delay_alu instid0(VALU_DEP_2) | instskip(SKIP_1) | instid1(VALU_DEP_2)
	v_add_f64_e32 v[8:9], v[6:7], v[69:70]
	s_wait_loadcnt 0x0
	v_add_f64_e64 v[6:7], v[91:92], -v[2:3]
	s_delay_alu instid0(VALU_DEP_2)
	v_add_f64_e64 v[8:9], v[93:94], -v[8:9]
	scratch_store_b128 off, v[6:9], off offset:160
	v_cmpx_lt_u32_e32 8, v0
	s_cbranch_execz .LBB26_159
; %bb.158:
	scratch_load_b128 v[6:9], off, s25
	v_dual_mov_b32 v2, v1 :: v_dual_mov_b32 v3, v1
	v_mov_b32_e32 v4, v1
	scratch_store_b128 off, v[1:4], off offset:144
	s_wait_loadcnt 0x0
	ds_store_b128 v5, v[6:9]
.LBB26_159:
	s_wait_alu 0xfffe
	s_or_b32 exec_lo, exec_lo, s0
	s_wait_storecnt_dscnt 0x0
	s_barrier_signal -1
	s_barrier_wait -1
	global_inv scope:SCOPE_SE
	s_clause 0x7
	scratch_load_b128 v[6:9], off, off offset:160
	scratch_load_b128 v[67:70], off, off offset:176
	;; [unrolled: 1-line block ×8, first 2 shown]
	ds_load_b128 v[95:98], v1 offset:576
	s_clause 0x1
	scratch_load_b128 v[99:102], off, off offset:288
	scratch_load_b128 v[103:106], off, off offset:304
	s_mov_b32 s0, exec_lo
	s_wait_loadcnt_dscnt 0x900
	v_mul_f64_e32 v[2:3], v[97:98], v[8:9]
	v_mul_f64_e32 v[107:108], v[95:96], v[8:9]
	ds_load_b128 v[8:11], v1 offset:592
	v_fma_f64 v[2:3], v[95:96], v[6:7], -v[2:3]
	v_fma_f64 v[6:7], v[97:98], v[6:7], v[107:108]
	scratch_load_b128 v[107:110], off, off offset:320
	ds_load_b128 v[95:98], v1 offset:608
	s_wait_loadcnt_dscnt 0x901
	v_mul_f64_e32 v[111:112], v[8:9], v[69:70]
	v_mul_f64_e32 v[69:70], v[10:11], v[69:70]
	s_wait_loadcnt_dscnt 0x800
	v_mul_f64_e32 v[113:114], v[95:96], v[73:74]
	v_mul_f64_e32 v[73:74], v[97:98], v[73:74]
	v_add_f64_e32 v[2:3], 0, v[2:3]
	v_add_f64_e32 v[115:116], 0, v[6:7]
	v_fma_f64 v[10:11], v[10:11], v[67:68], v[111:112]
	v_fma_f64 v[111:112], v[8:9], v[67:68], -v[69:70]
	ds_load_b128 v[6:9], v1 offset:624
	scratch_load_b128 v[67:70], off, off offset:336
	v_fma_f64 v[113:114], v[97:98], v[71:72], v[113:114]
	v_fma_f64 v[119:120], v[95:96], v[71:72], -v[73:74]
	ds_load_b128 v[71:74], v1 offset:640
	s_wait_loadcnt_dscnt 0x801
	v_mul_f64_e32 v[117:118], v[6:7], v[77:78]
	v_mul_f64_e32 v[77:78], v[8:9], v[77:78]
	scratch_load_b128 v[95:98], off, off offset:352
	v_add_f64_e32 v[10:11], v[115:116], v[10:11]
	v_add_f64_e32 v[2:3], v[2:3], v[111:112]
	s_wait_loadcnt_dscnt 0x800
	v_mul_f64_e32 v[111:112], v[71:72], v[81:82]
	v_mul_f64_e32 v[81:82], v[73:74], v[81:82]
	v_fma_f64 v[115:116], v[8:9], v[75:76], v[117:118]
	v_fma_f64 v[117:118], v[6:7], v[75:76], -v[77:78]
	ds_load_b128 v[6:9], v1 offset:656
	scratch_load_b128 v[75:78], off, off offset:368
	v_add_f64_e32 v[10:11], v[10:11], v[113:114]
	v_add_f64_e32 v[2:3], v[2:3], v[119:120]
	v_fma_f64 v[111:112], v[73:74], v[79:80], v[111:112]
	v_fma_f64 v[119:120], v[71:72], v[79:80], -v[81:82]
	ds_load_b128 v[71:74], v1 offset:672
	s_wait_loadcnt_dscnt 0x801
	v_mul_f64_e32 v[113:114], v[6:7], v[85:86]
	v_mul_f64_e32 v[85:86], v[8:9], v[85:86]
	scratch_load_b128 v[79:82], off, off offset:384
	v_add_f64_e32 v[10:11], v[10:11], v[115:116]
	v_add_f64_e32 v[2:3], v[2:3], v[117:118]
	s_wait_loadcnt_dscnt 0x800
	v_mul_f64_e32 v[115:116], v[71:72], v[89:90]
	v_mul_f64_e32 v[89:90], v[73:74], v[89:90]
	v_fma_f64 v[113:114], v[8:9], v[83:84], v[113:114]
	v_fma_f64 v[117:118], v[6:7], v[83:84], -v[85:86]
	ds_load_b128 v[6:9], v1 offset:688
	scratch_load_b128 v[83:86], off, off offset:400
	v_add_f64_e32 v[10:11], v[10:11], v[111:112]
	v_add_f64_e32 v[2:3], v[2:3], v[119:120]
	;; [unrolled: 18-line block ×3, first 2 shown]
	v_fma_f64 v[113:114], v[73:74], v[99:100], v[113:114]
	v_fma_f64 v[99:100], v[71:72], v[99:100], -v[101:102]
	ds_load_b128 v[71:74], v1 offset:736
	v_add_f64_e32 v[10:11], v[10:11], v[111:112]
	v_add_f64_e32 v[2:3], v[2:3], v[117:118]
	s_wait_loadcnt_dscnt 0x700
	v_mul_f64_e32 v[101:102], v[71:72], v[109:110]
	v_mul_f64_e32 v[109:110], v[73:74], v[109:110]
	s_delay_alu instid0(VALU_DEP_4) | instskip(NEXT) | instid1(VALU_DEP_4)
	v_add_f64_e32 v[10:11], v[10:11], v[113:114]
	v_add_f64_e32 v[2:3], v[2:3], v[99:100]
	s_delay_alu instid0(VALU_DEP_4) | instskip(SKIP_4) | instid1(VALU_DEP_3)
	v_fma_f64 v[73:74], v[73:74], v[107:108], v[101:102]
	scratch_load_b128 v[99:102], off, off offset:144
	v_mul_f64_e32 v[115:116], v[6:7], v[105:106]
	v_mul_f64_e32 v[105:106], v[8:9], v[105:106]
	v_fma_f64 v[107:108], v[71:72], v[107:108], -v[109:110]
	v_fma_f64 v[111:112], v[8:9], v[103:104], v[115:116]
	s_delay_alu instid0(VALU_DEP_3)
	v_fma_f64 v[103:104], v[6:7], v[103:104], -v[105:106]
	ds_load_b128 v[6:9], v1 offset:752
	s_wait_loadcnt_dscnt 0x700
	v_mul_f64_e32 v[105:106], v[6:7], v[69:70]
	v_mul_f64_e32 v[113:114], v[8:9], v[69:70]
	ds_load_b128 v[69:72], v1 offset:768
	v_add_f64_e32 v[10:11], v[10:11], v[111:112]
	v_add_f64_e32 v[2:3], v[2:3], v[103:104]
	v_fma_f64 v[105:106], v[8:9], v[67:68], v[105:106]
	v_fma_f64 v[67:68], v[6:7], v[67:68], -v[113:114]
	ds_load_b128 v[6:9], v1 offset:784
	s_wait_loadcnt_dscnt 0x601
	v_mul_f64_e32 v[103:104], v[69:70], v[97:98]
	v_mul_f64_e32 v[97:98], v[71:72], v[97:98]
	v_add_f64_e32 v[10:11], v[10:11], v[73:74]
	v_add_f64_e32 v[2:3], v[2:3], v[107:108]
	s_wait_loadcnt_dscnt 0x500
	v_mul_f64_e32 v[73:74], v[6:7], v[77:78]
	v_mul_f64_e32 v[77:78], v[8:9], v[77:78]
	v_fma_f64 v[71:72], v[71:72], v[95:96], v[103:104]
	v_fma_f64 v[95:96], v[69:70], v[95:96], -v[97:98]
	v_add_f64_e32 v[10:11], v[10:11], v[105:106]
	v_add_f64_e32 v[2:3], v[2:3], v[67:68]
	ds_load_b128 v[67:70], v1 offset:800
	v_fma_f64 v[73:74], v[8:9], v[75:76], v[73:74]
	v_fma_f64 v[75:76], v[6:7], v[75:76], -v[77:78]
	ds_load_b128 v[6:9], v1 offset:816
	s_wait_loadcnt_dscnt 0x401
	v_mul_f64_e32 v[97:98], v[67:68], v[81:82]
	v_mul_f64_e32 v[81:82], v[69:70], v[81:82]
	s_wait_loadcnt_dscnt 0x300
	v_mul_f64_e32 v[77:78], v[8:9], v[85:86]
	v_add_f64_e32 v[10:11], v[10:11], v[71:72]
	v_add_f64_e32 v[2:3], v[2:3], v[95:96]
	v_mul_f64_e32 v[71:72], v[6:7], v[85:86]
	v_fma_f64 v[85:86], v[69:70], v[79:80], v[97:98]
	v_fma_f64 v[79:80], v[67:68], v[79:80], -v[81:82]
	ds_load_b128 v[67:70], v1 offset:832
	v_fma_f64 v[6:7], v[6:7], v[83:84], -v[77:78]
	v_add_f64_e32 v[10:11], v[10:11], v[73:74]
	v_add_f64_e32 v[2:3], v[2:3], v[75:76]
	v_fma_f64 v[8:9], v[8:9], v[83:84], v[71:72]
	s_wait_loadcnt_dscnt 0x200
	v_mul_f64_e32 v[73:74], v[67:68], v[89:90]
	v_mul_f64_e32 v[75:76], v[69:70], v[89:90]
	v_add_f64_e32 v[10:11], v[10:11], v[85:86]
	v_add_f64_e32 v[71:72], v[2:3], v[79:80]
	ds_load_b128 v[1:4], v1 offset:848
	v_fma_f64 v[69:70], v[69:70], v[87:88], v[73:74]
	v_fma_f64 v[67:68], v[67:68], v[87:88], -v[75:76]
	s_wait_loadcnt_dscnt 0x100
	v_mul_f64_e32 v[77:78], v[1:2], v[93:94]
	v_mul_f64_e32 v[79:80], v[3:4], v[93:94]
	v_add_f64_e32 v[8:9], v[10:11], v[8:9]
	v_add_f64_e32 v[6:7], v[71:72], v[6:7]
	s_delay_alu instid0(VALU_DEP_4) | instskip(NEXT) | instid1(VALU_DEP_4)
	v_fma_f64 v[3:4], v[3:4], v[91:92], v[77:78]
	v_fma_f64 v[1:2], v[1:2], v[91:92], -v[79:80]
	s_delay_alu instid0(VALU_DEP_4) | instskip(NEXT) | instid1(VALU_DEP_4)
	v_add_f64_e32 v[8:9], v[8:9], v[69:70]
	v_add_f64_e32 v[6:7], v[6:7], v[67:68]
	s_delay_alu instid0(VALU_DEP_2) | instskip(NEXT) | instid1(VALU_DEP_2)
	v_add_f64_e32 v[3:4], v[8:9], v[3:4]
	v_add_f64_e32 v[1:2], v[6:7], v[1:2]
	s_wait_loadcnt 0x0
	s_delay_alu instid0(VALU_DEP_2) | instskip(NEXT) | instid1(VALU_DEP_2)
	v_add_f64_e64 v[3:4], v[101:102], -v[3:4]
	v_add_f64_e64 v[1:2], v[99:100], -v[1:2]
	scratch_store_b128 off, v[1:4], off offset:144
	v_cmpx_lt_u32_e32 7, v0
	s_cbranch_execz .LBB26_161
; %bb.160:
	scratch_load_b128 v[1:4], off, s27
	v_mov_b32_e32 v6, 0
	s_delay_alu instid0(VALU_DEP_1)
	v_dual_mov_b32 v7, v6 :: v_dual_mov_b32 v8, v6
	v_mov_b32_e32 v9, v6
	scratch_store_b128 off, v[6:9], off offset:128
	s_wait_loadcnt 0x0
	ds_store_b128 v5, v[1:4]
.LBB26_161:
	s_wait_alu 0xfffe
	s_or_b32 exec_lo, exec_lo, s0
	s_wait_storecnt_dscnt 0x0
	s_barrier_signal -1
	s_barrier_wait -1
	global_inv scope:SCOPE_SE
	s_clause 0x7
	scratch_load_b128 v[6:9], off, off offset:144
	scratch_load_b128 v[67:70], off, off offset:160
	;; [unrolled: 1-line block ×8, first 2 shown]
	v_mov_b32_e32 v1, 0
	s_clause 0x1
	scratch_load_b128 v[99:102], off, off offset:272
	scratch_load_b128 v[103:106], off, off offset:288
	s_mov_b32 s0, exec_lo
	ds_load_b128 v[95:98], v1 offset:560
	s_wait_loadcnt_dscnt 0x900
	v_mul_f64_e32 v[2:3], v[97:98], v[8:9]
	v_mul_f64_e32 v[107:108], v[95:96], v[8:9]
	ds_load_b128 v[8:11], v1 offset:576
	v_fma_f64 v[2:3], v[95:96], v[6:7], -v[2:3]
	v_fma_f64 v[6:7], v[97:98], v[6:7], v[107:108]
	ds_load_b128 v[95:98], v1 offset:592
	s_wait_loadcnt_dscnt 0x801
	v_mul_f64_e32 v[111:112], v[8:9], v[69:70]
	v_mul_f64_e32 v[69:70], v[10:11], v[69:70]
	scratch_load_b128 v[107:110], off, off offset:304
	s_wait_loadcnt_dscnt 0x800
	v_mul_f64_e32 v[113:114], v[95:96], v[73:74]
	v_mul_f64_e32 v[73:74], v[97:98], v[73:74]
	v_add_f64_e32 v[2:3], 0, v[2:3]
	v_add_f64_e32 v[115:116], 0, v[6:7]
	v_fma_f64 v[10:11], v[10:11], v[67:68], v[111:112]
	v_fma_f64 v[111:112], v[8:9], v[67:68], -v[69:70]
	ds_load_b128 v[6:9], v1 offset:608
	scratch_load_b128 v[67:70], off, off offset:320
	v_fma_f64 v[113:114], v[97:98], v[71:72], v[113:114]
	v_fma_f64 v[119:120], v[95:96], v[71:72], -v[73:74]
	ds_load_b128 v[71:74], v1 offset:624
	s_wait_loadcnt_dscnt 0x801
	v_mul_f64_e32 v[117:118], v[6:7], v[77:78]
	v_mul_f64_e32 v[77:78], v[8:9], v[77:78]
	scratch_load_b128 v[95:98], off, off offset:336
	v_add_f64_e32 v[10:11], v[115:116], v[10:11]
	v_add_f64_e32 v[2:3], v[2:3], v[111:112]
	s_wait_loadcnt_dscnt 0x800
	v_mul_f64_e32 v[111:112], v[71:72], v[81:82]
	v_mul_f64_e32 v[81:82], v[73:74], v[81:82]
	v_fma_f64 v[115:116], v[8:9], v[75:76], v[117:118]
	v_fma_f64 v[117:118], v[6:7], v[75:76], -v[77:78]
	ds_load_b128 v[6:9], v1 offset:640
	scratch_load_b128 v[75:78], off, off offset:352
	v_add_f64_e32 v[10:11], v[10:11], v[113:114]
	v_add_f64_e32 v[2:3], v[2:3], v[119:120]
	v_fma_f64 v[111:112], v[73:74], v[79:80], v[111:112]
	v_fma_f64 v[119:120], v[71:72], v[79:80], -v[81:82]
	ds_load_b128 v[71:74], v1 offset:656
	s_wait_loadcnt_dscnt 0x801
	v_mul_f64_e32 v[113:114], v[6:7], v[85:86]
	v_mul_f64_e32 v[85:86], v[8:9], v[85:86]
	scratch_load_b128 v[79:82], off, off offset:368
	v_add_f64_e32 v[10:11], v[10:11], v[115:116]
	v_add_f64_e32 v[2:3], v[2:3], v[117:118]
	s_wait_loadcnt_dscnt 0x800
	v_mul_f64_e32 v[115:116], v[71:72], v[89:90]
	v_mul_f64_e32 v[89:90], v[73:74], v[89:90]
	v_fma_f64 v[113:114], v[8:9], v[83:84], v[113:114]
	v_fma_f64 v[117:118], v[6:7], v[83:84], -v[85:86]
	ds_load_b128 v[6:9], v1 offset:672
	scratch_load_b128 v[83:86], off, off offset:384
	v_add_f64_e32 v[10:11], v[10:11], v[111:112]
	v_add_f64_e32 v[2:3], v[2:3], v[119:120]
	;; [unrolled: 18-line block ×3, first 2 shown]
	v_fma_f64 v[113:114], v[73:74], v[99:100], v[113:114]
	v_fma_f64 v[119:120], v[71:72], v[99:100], -v[101:102]
	ds_load_b128 v[71:74], v1 offset:720
	s_wait_loadcnt_dscnt 0x801
	v_mul_f64_e32 v[115:116], v[6:7], v[105:106]
	v_mul_f64_e32 v[105:106], v[8:9], v[105:106]
	scratch_load_b128 v[99:102], off, off offset:432
	v_add_f64_e32 v[10:11], v[10:11], v[111:112]
	v_add_f64_e32 v[2:3], v[2:3], v[117:118]
	v_fma_f64 v[115:116], v[8:9], v[103:104], v[115:116]
	v_fma_f64 v[103:104], v[6:7], v[103:104], -v[105:106]
	ds_load_b128 v[6:9], v1 offset:736
	s_wait_loadcnt_dscnt 0x801
	v_mul_f64_e32 v[111:112], v[71:72], v[109:110]
	v_mul_f64_e32 v[109:110], v[73:74], v[109:110]
	v_add_f64_e32 v[10:11], v[10:11], v[113:114]
	v_add_f64_e32 v[2:3], v[2:3], v[119:120]
	s_delay_alu instid0(VALU_DEP_4)
	v_fma_f64 v[73:74], v[73:74], v[107:108], v[111:112]
	s_wait_loadcnt_dscnt 0x700
	v_mul_f64_e32 v[105:106], v[6:7], v[69:70]
	v_mul_f64_e32 v[113:114], v[8:9], v[69:70]
	v_fma_f64 v[107:108], v[71:72], v[107:108], -v[109:110]
	ds_load_b128 v[69:72], v1 offset:752
	v_add_f64_e32 v[10:11], v[10:11], v[115:116]
	v_add_f64_e32 v[2:3], v[2:3], v[103:104]
	v_fma_f64 v[111:112], v[8:9], v[67:68], v[105:106]
	v_fma_f64 v[67:68], v[6:7], v[67:68], -v[113:114]
	ds_load_b128 v[6:9], v1 offset:768
	scratch_load_b128 v[103:106], off, off offset:128
	s_wait_loadcnt_dscnt 0x701
	v_mul_f64_e32 v[109:110], v[69:70], v[97:98]
	v_mul_f64_e32 v[97:98], v[71:72], v[97:98]
	v_add_f64_e32 v[10:11], v[10:11], v[73:74]
	v_add_f64_e32 v[2:3], v[2:3], v[107:108]
	s_wait_loadcnt_dscnt 0x600
	v_mul_f64_e32 v[73:74], v[6:7], v[77:78]
	v_mul_f64_e32 v[77:78], v[8:9], v[77:78]
	v_fma_f64 v[71:72], v[71:72], v[95:96], v[109:110]
	v_fma_f64 v[95:96], v[69:70], v[95:96], -v[97:98]
	v_add_f64_e32 v[10:11], v[10:11], v[111:112]
	v_add_f64_e32 v[2:3], v[2:3], v[67:68]
	ds_load_b128 v[67:70], v1 offset:784
	v_fma_f64 v[73:74], v[8:9], v[75:76], v[73:74]
	v_fma_f64 v[75:76], v[6:7], v[75:76], -v[77:78]
	ds_load_b128 v[6:9], v1 offset:800
	s_wait_loadcnt_dscnt 0x501
	v_mul_f64_e32 v[97:98], v[67:68], v[81:82]
	v_mul_f64_e32 v[81:82], v[69:70], v[81:82]
	s_wait_loadcnt_dscnt 0x400
	v_mul_f64_e32 v[77:78], v[8:9], v[85:86]
	v_add_f64_e32 v[10:11], v[10:11], v[71:72]
	v_add_f64_e32 v[2:3], v[2:3], v[95:96]
	v_mul_f64_e32 v[71:72], v[6:7], v[85:86]
	v_fma_f64 v[85:86], v[69:70], v[79:80], v[97:98]
	v_fma_f64 v[79:80], v[67:68], v[79:80], -v[81:82]
	ds_load_b128 v[67:70], v1 offset:816
	v_fma_f64 v[77:78], v[6:7], v[83:84], -v[77:78]
	v_add_f64_e32 v[10:11], v[10:11], v[73:74]
	v_add_f64_e32 v[2:3], v[2:3], v[75:76]
	v_fma_f64 v[71:72], v[8:9], v[83:84], v[71:72]
	ds_load_b128 v[6:9], v1 offset:832
	s_wait_loadcnt_dscnt 0x301
	v_mul_f64_e32 v[73:74], v[67:68], v[89:90]
	v_mul_f64_e32 v[75:76], v[69:70], v[89:90]
	s_wait_loadcnt_dscnt 0x200
	v_mul_f64_e32 v[81:82], v[8:9], v[93:94]
	v_add_f64_e32 v[10:11], v[10:11], v[85:86]
	v_add_f64_e32 v[2:3], v[2:3], v[79:80]
	v_mul_f64_e32 v[79:80], v[6:7], v[93:94]
	v_fma_f64 v[73:74], v[69:70], v[87:88], v[73:74]
	v_fma_f64 v[75:76], v[67:68], v[87:88], -v[75:76]
	ds_load_b128 v[67:70], v1 offset:848
	v_fma_f64 v[6:7], v[6:7], v[91:92], -v[81:82]
	v_add_f64_e32 v[10:11], v[10:11], v[71:72]
	v_add_f64_e32 v[2:3], v[2:3], v[77:78]
	s_wait_loadcnt_dscnt 0x100
	v_mul_f64_e32 v[71:72], v[67:68], v[101:102]
	v_mul_f64_e32 v[77:78], v[69:70], v[101:102]
	v_fma_f64 v[8:9], v[8:9], v[91:92], v[79:80]
	v_add_f64_e32 v[10:11], v[10:11], v[73:74]
	v_add_f64_e32 v[2:3], v[2:3], v[75:76]
	v_fma_f64 v[69:70], v[69:70], v[99:100], v[71:72]
	v_fma_f64 v[67:68], v[67:68], v[99:100], -v[77:78]
	s_delay_alu instid0(VALU_DEP_3) | instskip(SKIP_1) | instid1(VALU_DEP_2)
	v_add_f64_e32 v[2:3], v[2:3], v[6:7]
	v_add_f64_e32 v[6:7], v[10:11], v[8:9]
	;; [unrolled: 1-line block ×3, first 2 shown]
	s_delay_alu instid0(VALU_DEP_2) | instskip(SKIP_1) | instid1(VALU_DEP_2)
	v_add_f64_e32 v[8:9], v[6:7], v[69:70]
	s_wait_loadcnt 0x0
	v_add_f64_e64 v[6:7], v[103:104], -v[2:3]
	s_delay_alu instid0(VALU_DEP_2)
	v_add_f64_e64 v[8:9], v[105:106], -v[8:9]
	scratch_store_b128 off, v[6:9], off offset:128
	v_cmpx_lt_u32_e32 6, v0
	s_cbranch_execz .LBB26_163
; %bb.162:
	scratch_load_b128 v[6:9], off, s29
	v_dual_mov_b32 v2, v1 :: v_dual_mov_b32 v3, v1
	v_mov_b32_e32 v4, v1
	scratch_store_b128 off, v[1:4], off offset:112
	s_wait_loadcnt 0x0
	ds_store_b128 v5, v[6:9]
.LBB26_163:
	s_wait_alu 0xfffe
	s_or_b32 exec_lo, exec_lo, s0
	s_wait_storecnt_dscnt 0x0
	s_barrier_signal -1
	s_barrier_wait -1
	global_inv scope:SCOPE_SE
	s_clause 0x7
	scratch_load_b128 v[6:9], off, off offset:128
	scratch_load_b128 v[67:70], off, off offset:144
	;; [unrolled: 1-line block ×8, first 2 shown]
	ds_load_b128 v[95:98], v1 offset:544
	s_clause 0x1
	scratch_load_b128 v[99:102], off, off offset:256
	scratch_load_b128 v[103:106], off, off offset:272
	s_mov_b32 s0, exec_lo
	s_wait_loadcnt_dscnt 0x900
	v_mul_f64_e32 v[2:3], v[97:98], v[8:9]
	v_mul_f64_e32 v[107:108], v[95:96], v[8:9]
	ds_load_b128 v[8:11], v1 offset:560
	v_fma_f64 v[2:3], v[95:96], v[6:7], -v[2:3]
	v_fma_f64 v[6:7], v[97:98], v[6:7], v[107:108]
	ds_load_b128 v[95:98], v1 offset:576
	s_wait_loadcnt_dscnt 0x801
	v_mul_f64_e32 v[111:112], v[8:9], v[69:70]
	v_mul_f64_e32 v[69:70], v[10:11], v[69:70]
	scratch_load_b128 v[107:110], off, off offset:288
	s_wait_loadcnt_dscnt 0x800
	v_mul_f64_e32 v[113:114], v[95:96], v[73:74]
	v_mul_f64_e32 v[73:74], v[97:98], v[73:74]
	v_add_f64_e32 v[2:3], 0, v[2:3]
	v_add_f64_e32 v[115:116], 0, v[6:7]
	v_fma_f64 v[10:11], v[10:11], v[67:68], v[111:112]
	v_fma_f64 v[111:112], v[8:9], v[67:68], -v[69:70]
	ds_load_b128 v[6:9], v1 offset:592
	scratch_load_b128 v[67:70], off, off offset:304
	v_fma_f64 v[113:114], v[97:98], v[71:72], v[113:114]
	v_fma_f64 v[119:120], v[95:96], v[71:72], -v[73:74]
	ds_load_b128 v[71:74], v1 offset:608
	s_wait_loadcnt_dscnt 0x801
	v_mul_f64_e32 v[117:118], v[6:7], v[77:78]
	v_mul_f64_e32 v[77:78], v[8:9], v[77:78]
	scratch_load_b128 v[95:98], off, off offset:320
	v_add_f64_e32 v[10:11], v[115:116], v[10:11]
	v_add_f64_e32 v[2:3], v[2:3], v[111:112]
	s_wait_loadcnt_dscnt 0x800
	v_mul_f64_e32 v[111:112], v[71:72], v[81:82]
	v_mul_f64_e32 v[81:82], v[73:74], v[81:82]
	v_fma_f64 v[115:116], v[8:9], v[75:76], v[117:118]
	v_fma_f64 v[117:118], v[6:7], v[75:76], -v[77:78]
	ds_load_b128 v[6:9], v1 offset:624
	scratch_load_b128 v[75:78], off, off offset:336
	v_add_f64_e32 v[10:11], v[10:11], v[113:114]
	v_add_f64_e32 v[2:3], v[2:3], v[119:120]
	v_fma_f64 v[111:112], v[73:74], v[79:80], v[111:112]
	v_fma_f64 v[119:120], v[71:72], v[79:80], -v[81:82]
	ds_load_b128 v[71:74], v1 offset:640
	s_wait_loadcnt_dscnt 0x801
	v_mul_f64_e32 v[113:114], v[6:7], v[85:86]
	v_mul_f64_e32 v[85:86], v[8:9], v[85:86]
	scratch_load_b128 v[79:82], off, off offset:352
	v_add_f64_e32 v[10:11], v[10:11], v[115:116]
	v_add_f64_e32 v[2:3], v[2:3], v[117:118]
	s_wait_loadcnt_dscnt 0x800
	v_mul_f64_e32 v[115:116], v[71:72], v[89:90]
	v_mul_f64_e32 v[89:90], v[73:74], v[89:90]
	v_fma_f64 v[113:114], v[8:9], v[83:84], v[113:114]
	v_fma_f64 v[117:118], v[6:7], v[83:84], -v[85:86]
	ds_load_b128 v[6:9], v1 offset:656
	scratch_load_b128 v[83:86], off, off offset:368
	v_add_f64_e32 v[10:11], v[10:11], v[111:112]
	v_add_f64_e32 v[2:3], v[2:3], v[119:120]
	;; [unrolled: 18-line block ×3, first 2 shown]
	v_fma_f64 v[113:114], v[73:74], v[99:100], v[113:114]
	v_fma_f64 v[119:120], v[71:72], v[99:100], -v[101:102]
	ds_load_b128 v[71:74], v1 offset:704
	s_wait_loadcnt_dscnt 0x801
	v_mul_f64_e32 v[115:116], v[6:7], v[105:106]
	v_mul_f64_e32 v[105:106], v[8:9], v[105:106]
	scratch_load_b128 v[99:102], off, off offset:416
	v_add_f64_e32 v[10:11], v[10:11], v[111:112]
	v_add_f64_e32 v[2:3], v[2:3], v[117:118]
	v_fma_f64 v[115:116], v[8:9], v[103:104], v[115:116]
	v_fma_f64 v[117:118], v[6:7], v[103:104], -v[105:106]
	ds_load_b128 v[6:9], v1 offset:720
	scratch_load_b128 v[103:106], off, off offset:432
	s_wait_loadcnt_dscnt 0x901
	v_mul_f64_e32 v[111:112], v[71:72], v[109:110]
	v_mul_f64_e32 v[109:110], v[73:74], v[109:110]
	v_add_f64_e32 v[10:11], v[10:11], v[113:114]
	v_add_f64_e32 v[2:3], v[2:3], v[119:120]
	s_delay_alu instid0(VALU_DEP_4)
	v_fma_f64 v[73:74], v[73:74], v[107:108], v[111:112]
	s_wait_loadcnt_dscnt 0x800
	v_mul_f64_e32 v[113:114], v[6:7], v[69:70]
	v_mul_f64_e32 v[119:120], v[8:9], v[69:70]
	v_fma_f64 v[107:108], v[71:72], v[107:108], -v[109:110]
	ds_load_b128 v[69:72], v1 offset:736
	v_add_f64_e32 v[10:11], v[10:11], v[115:116]
	v_add_f64_e32 v[2:3], v[2:3], v[117:118]
	v_fma_f64 v[111:112], v[8:9], v[67:68], v[113:114]
	v_fma_f64 v[67:68], v[6:7], v[67:68], -v[119:120]
	ds_load_b128 v[6:9], v1 offset:752
	s_wait_loadcnt_dscnt 0x701
	v_mul_f64_e32 v[109:110], v[69:70], v[97:98]
	v_mul_f64_e32 v[97:98], v[71:72], v[97:98]
	v_add_f64_e32 v[10:11], v[10:11], v[73:74]
	v_add_f64_e32 v[2:3], v[2:3], v[107:108]
	s_delay_alu instid0(VALU_DEP_4) | instskip(NEXT) | instid1(VALU_DEP_4)
	v_fma_f64 v[109:110], v[71:72], v[95:96], v[109:110]
	v_fma_f64 v[95:96], v[69:70], v[95:96], -v[97:98]
	scratch_load_b128 v[71:74], off, off offset:112
	s_wait_loadcnt_dscnt 0x700
	v_mul_f64_e32 v[107:108], v[6:7], v[77:78]
	v_mul_f64_e32 v[77:78], v[8:9], v[77:78]
	v_add_f64_e32 v[10:11], v[10:11], v[111:112]
	v_add_f64_e32 v[2:3], v[2:3], v[67:68]
	ds_load_b128 v[67:70], v1 offset:768
	v_fma_f64 v[107:108], v[8:9], v[75:76], v[107:108]
	v_fma_f64 v[75:76], v[6:7], v[75:76], -v[77:78]
	ds_load_b128 v[6:9], v1 offset:784
	s_wait_loadcnt_dscnt 0x601
	v_mul_f64_e32 v[97:98], v[67:68], v[81:82]
	v_mul_f64_e32 v[81:82], v[69:70], v[81:82]
	v_add_f64_e32 v[10:11], v[10:11], v[109:110]
	v_add_f64_e32 v[2:3], v[2:3], v[95:96]
	s_wait_loadcnt_dscnt 0x500
	v_mul_f64_e32 v[77:78], v[6:7], v[85:86]
	v_mul_f64_e32 v[85:86], v[8:9], v[85:86]
	v_fma_f64 v[95:96], v[69:70], v[79:80], v[97:98]
	v_fma_f64 v[79:80], v[67:68], v[79:80], -v[81:82]
	ds_load_b128 v[67:70], v1 offset:800
	v_add_f64_e32 v[10:11], v[10:11], v[107:108]
	v_add_f64_e32 v[2:3], v[2:3], v[75:76]
	v_fma_f64 v[77:78], v[8:9], v[83:84], v[77:78]
	v_fma_f64 v[83:84], v[6:7], v[83:84], -v[85:86]
	ds_load_b128 v[6:9], v1 offset:816
	s_wait_loadcnt_dscnt 0x401
	v_mul_f64_e32 v[75:76], v[67:68], v[89:90]
	v_mul_f64_e32 v[81:82], v[69:70], v[89:90]
	s_wait_loadcnt_dscnt 0x300
	v_mul_f64_e32 v[85:86], v[8:9], v[93:94]
	v_add_f64_e32 v[10:11], v[10:11], v[95:96]
	v_add_f64_e32 v[2:3], v[2:3], v[79:80]
	v_mul_f64_e32 v[79:80], v[6:7], v[93:94]
	v_fma_f64 v[75:76], v[69:70], v[87:88], v[75:76]
	v_fma_f64 v[81:82], v[67:68], v[87:88], -v[81:82]
	ds_load_b128 v[67:70], v1 offset:832
	v_fma_f64 v[6:7], v[6:7], v[91:92], -v[85:86]
	v_add_f64_e32 v[10:11], v[10:11], v[77:78]
	v_add_f64_e32 v[2:3], v[2:3], v[83:84]
	s_wait_loadcnt_dscnt 0x200
	v_mul_f64_e32 v[77:78], v[67:68], v[101:102]
	v_mul_f64_e32 v[83:84], v[69:70], v[101:102]
	v_fma_f64 v[8:9], v[8:9], v[91:92], v[79:80]
	v_add_f64_e32 v[10:11], v[10:11], v[75:76]
	v_add_f64_e32 v[79:80], v[2:3], v[81:82]
	ds_load_b128 v[1:4], v1 offset:848
	v_fma_f64 v[69:70], v[69:70], v[99:100], v[77:78]
	v_fma_f64 v[67:68], v[67:68], v[99:100], -v[83:84]
	s_wait_loadcnt_dscnt 0x100
	v_mul_f64_e32 v[75:76], v[1:2], v[105:106]
	v_mul_f64_e32 v[81:82], v[3:4], v[105:106]
	v_add_f64_e32 v[8:9], v[10:11], v[8:9]
	v_add_f64_e32 v[6:7], v[79:80], v[6:7]
	s_delay_alu instid0(VALU_DEP_4) | instskip(NEXT) | instid1(VALU_DEP_4)
	v_fma_f64 v[3:4], v[3:4], v[103:104], v[75:76]
	v_fma_f64 v[1:2], v[1:2], v[103:104], -v[81:82]
	s_delay_alu instid0(VALU_DEP_4) | instskip(NEXT) | instid1(VALU_DEP_4)
	v_add_f64_e32 v[8:9], v[8:9], v[69:70]
	v_add_f64_e32 v[6:7], v[6:7], v[67:68]
	s_delay_alu instid0(VALU_DEP_2) | instskip(NEXT) | instid1(VALU_DEP_2)
	v_add_f64_e32 v[3:4], v[8:9], v[3:4]
	v_add_f64_e32 v[1:2], v[6:7], v[1:2]
	s_wait_loadcnt 0x0
	s_delay_alu instid0(VALU_DEP_2) | instskip(NEXT) | instid1(VALU_DEP_2)
	v_add_f64_e64 v[3:4], v[73:74], -v[3:4]
	v_add_f64_e64 v[1:2], v[71:72], -v[1:2]
	scratch_store_b128 off, v[1:4], off offset:112
	v_cmpx_lt_u32_e32 5, v0
	s_cbranch_execz .LBB26_165
; %bb.164:
	scratch_load_b128 v[1:4], off, s30
	v_mov_b32_e32 v6, 0
	s_delay_alu instid0(VALU_DEP_1)
	v_dual_mov_b32 v7, v6 :: v_dual_mov_b32 v8, v6
	v_mov_b32_e32 v9, v6
	scratch_store_b128 off, v[6:9], off offset:96
	s_wait_loadcnt 0x0
	ds_store_b128 v5, v[1:4]
.LBB26_165:
	s_wait_alu 0xfffe
	s_or_b32 exec_lo, exec_lo, s0
	s_wait_storecnt_dscnt 0x0
	s_barrier_signal -1
	s_barrier_wait -1
	global_inv scope:SCOPE_SE
	s_clause 0x7
	scratch_load_b128 v[6:9], off, off offset:112
	scratch_load_b128 v[67:70], off, off offset:128
	;; [unrolled: 1-line block ×8, first 2 shown]
	v_mov_b32_e32 v1, 0
	s_clause 0x1
	scratch_load_b128 v[99:102], off, off offset:240
	scratch_load_b128 v[103:106], off, off offset:256
	s_mov_b32 s0, exec_lo
	ds_load_b128 v[95:98], v1 offset:528
	s_wait_loadcnt_dscnt 0x900
	v_mul_f64_e32 v[2:3], v[97:98], v[8:9]
	v_mul_f64_e32 v[107:108], v[95:96], v[8:9]
	ds_load_b128 v[8:11], v1 offset:544
	v_fma_f64 v[2:3], v[95:96], v[6:7], -v[2:3]
	v_fma_f64 v[6:7], v[97:98], v[6:7], v[107:108]
	ds_load_b128 v[95:98], v1 offset:560
	s_wait_loadcnt_dscnt 0x801
	v_mul_f64_e32 v[111:112], v[8:9], v[69:70]
	v_mul_f64_e32 v[69:70], v[10:11], v[69:70]
	scratch_load_b128 v[107:110], off, off offset:272
	s_wait_loadcnt_dscnt 0x800
	v_mul_f64_e32 v[113:114], v[95:96], v[73:74]
	v_mul_f64_e32 v[73:74], v[97:98], v[73:74]
	v_add_f64_e32 v[2:3], 0, v[2:3]
	v_add_f64_e32 v[115:116], 0, v[6:7]
	v_fma_f64 v[10:11], v[10:11], v[67:68], v[111:112]
	v_fma_f64 v[111:112], v[8:9], v[67:68], -v[69:70]
	ds_load_b128 v[6:9], v1 offset:576
	scratch_load_b128 v[67:70], off, off offset:288
	v_fma_f64 v[113:114], v[97:98], v[71:72], v[113:114]
	v_fma_f64 v[119:120], v[95:96], v[71:72], -v[73:74]
	ds_load_b128 v[71:74], v1 offset:592
	s_wait_loadcnt_dscnt 0x801
	v_mul_f64_e32 v[117:118], v[6:7], v[77:78]
	v_mul_f64_e32 v[77:78], v[8:9], v[77:78]
	scratch_load_b128 v[95:98], off, off offset:304
	v_add_f64_e32 v[10:11], v[115:116], v[10:11]
	v_add_f64_e32 v[2:3], v[2:3], v[111:112]
	s_wait_loadcnt_dscnt 0x800
	v_mul_f64_e32 v[111:112], v[71:72], v[81:82]
	v_mul_f64_e32 v[81:82], v[73:74], v[81:82]
	v_fma_f64 v[115:116], v[8:9], v[75:76], v[117:118]
	v_fma_f64 v[117:118], v[6:7], v[75:76], -v[77:78]
	ds_load_b128 v[6:9], v1 offset:608
	scratch_load_b128 v[75:78], off, off offset:320
	v_add_f64_e32 v[10:11], v[10:11], v[113:114]
	v_add_f64_e32 v[2:3], v[2:3], v[119:120]
	v_fma_f64 v[111:112], v[73:74], v[79:80], v[111:112]
	v_fma_f64 v[119:120], v[71:72], v[79:80], -v[81:82]
	ds_load_b128 v[71:74], v1 offset:624
	s_wait_loadcnt_dscnt 0x801
	v_mul_f64_e32 v[113:114], v[6:7], v[85:86]
	v_mul_f64_e32 v[85:86], v[8:9], v[85:86]
	scratch_load_b128 v[79:82], off, off offset:336
	v_add_f64_e32 v[10:11], v[10:11], v[115:116]
	v_add_f64_e32 v[2:3], v[2:3], v[117:118]
	s_wait_loadcnt_dscnt 0x800
	v_mul_f64_e32 v[115:116], v[71:72], v[89:90]
	v_mul_f64_e32 v[89:90], v[73:74], v[89:90]
	v_fma_f64 v[113:114], v[8:9], v[83:84], v[113:114]
	v_fma_f64 v[117:118], v[6:7], v[83:84], -v[85:86]
	ds_load_b128 v[6:9], v1 offset:640
	scratch_load_b128 v[83:86], off, off offset:352
	v_add_f64_e32 v[10:11], v[10:11], v[111:112]
	v_add_f64_e32 v[2:3], v[2:3], v[119:120]
	;; [unrolled: 18-line block ×3, first 2 shown]
	v_fma_f64 v[113:114], v[73:74], v[99:100], v[113:114]
	v_fma_f64 v[119:120], v[71:72], v[99:100], -v[101:102]
	ds_load_b128 v[71:74], v1 offset:688
	s_wait_loadcnt_dscnt 0x801
	v_mul_f64_e32 v[115:116], v[6:7], v[105:106]
	v_mul_f64_e32 v[105:106], v[8:9], v[105:106]
	scratch_load_b128 v[99:102], off, off offset:400
	v_add_f64_e32 v[10:11], v[10:11], v[111:112]
	v_add_f64_e32 v[2:3], v[2:3], v[117:118]
	v_fma_f64 v[115:116], v[8:9], v[103:104], v[115:116]
	v_fma_f64 v[117:118], v[6:7], v[103:104], -v[105:106]
	ds_load_b128 v[6:9], v1 offset:704
	scratch_load_b128 v[103:106], off, off offset:416
	s_wait_loadcnt_dscnt 0x901
	v_mul_f64_e32 v[111:112], v[71:72], v[109:110]
	v_mul_f64_e32 v[109:110], v[73:74], v[109:110]
	v_add_f64_e32 v[10:11], v[10:11], v[113:114]
	v_add_f64_e32 v[2:3], v[2:3], v[119:120]
	s_delay_alu instid0(VALU_DEP_4)
	v_fma_f64 v[73:74], v[73:74], v[107:108], v[111:112]
	s_wait_loadcnt_dscnt 0x800
	v_mul_f64_e32 v[113:114], v[6:7], v[69:70]
	v_mul_f64_e32 v[119:120], v[8:9], v[69:70]
	v_fma_f64 v[111:112], v[71:72], v[107:108], -v[109:110]
	ds_load_b128 v[69:72], v1 offset:720
	scratch_load_b128 v[107:110], off, off offset:432
	v_add_f64_e32 v[10:11], v[10:11], v[115:116]
	v_add_f64_e32 v[2:3], v[2:3], v[117:118]
	v_fma_f64 v[113:114], v[8:9], v[67:68], v[113:114]
	v_fma_f64 v[67:68], v[6:7], v[67:68], -v[119:120]
	ds_load_b128 v[6:9], v1 offset:736
	s_wait_loadcnt_dscnt 0x801
	v_mul_f64_e32 v[115:116], v[69:70], v[97:98]
	v_mul_f64_e32 v[97:98], v[71:72], v[97:98]
	v_add_f64_e32 v[10:11], v[10:11], v[73:74]
	v_add_f64_e32 v[2:3], v[2:3], v[111:112]
	s_wait_loadcnt_dscnt 0x700
	v_mul_f64_e32 v[73:74], v[6:7], v[77:78]
	v_mul_f64_e32 v[77:78], v[8:9], v[77:78]
	v_fma_f64 v[71:72], v[71:72], v[95:96], v[115:116]
	v_fma_f64 v[95:96], v[69:70], v[95:96], -v[97:98]
	v_add_f64_e32 v[10:11], v[10:11], v[113:114]
	v_add_f64_e32 v[2:3], v[2:3], v[67:68]
	ds_load_b128 v[67:70], v1 offset:752
	v_fma_f64 v[111:112], v[8:9], v[75:76], v[73:74]
	v_fma_f64 v[75:76], v[6:7], v[75:76], -v[77:78]
	ds_load_b128 v[6:9], v1 offset:768
	s_wait_loadcnt_dscnt 0x500
	v_mul_f64_e32 v[77:78], v[6:7], v[85:86]
	v_mul_f64_e32 v[85:86], v[8:9], v[85:86]
	v_add_f64_e32 v[10:11], v[10:11], v[71:72]
	v_add_f64_e32 v[2:3], v[2:3], v[95:96]
	scratch_load_b128 v[71:74], off, off offset:96
	v_mul_f64_e32 v[97:98], v[67:68], v[81:82]
	v_mul_f64_e32 v[81:82], v[69:70], v[81:82]
	v_fma_f64 v[77:78], v[8:9], v[83:84], v[77:78]
	v_fma_f64 v[83:84], v[6:7], v[83:84], -v[85:86]
	ds_load_b128 v[6:9], v1 offset:800
	v_add_f64_e32 v[10:11], v[10:11], v[111:112]
	v_add_f64_e32 v[2:3], v[2:3], v[75:76]
	v_fma_f64 v[95:96], v[69:70], v[79:80], v[97:98]
	v_fma_f64 v[79:80], v[67:68], v[79:80], -v[81:82]
	ds_load_b128 v[67:70], v1 offset:784
	s_wait_loadcnt_dscnt 0x401
	v_mul_f64_e32 v[85:86], v[8:9], v[93:94]
	s_wait_dscnt 0x0
	v_mul_f64_e32 v[75:76], v[67:68], v[89:90]
	v_mul_f64_e32 v[81:82], v[69:70], v[89:90]
	v_add_f64_e32 v[10:11], v[10:11], v[95:96]
	v_add_f64_e32 v[2:3], v[2:3], v[79:80]
	v_mul_f64_e32 v[79:80], v[6:7], v[93:94]
	v_fma_f64 v[85:86], v[6:7], v[91:92], -v[85:86]
	v_fma_f64 v[75:76], v[69:70], v[87:88], v[75:76]
	v_fma_f64 v[81:82], v[67:68], v[87:88], -v[81:82]
	ds_load_b128 v[67:70], v1 offset:816
	v_add_f64_e32 v[10:11], v[10:11], v[77:78]
	v_add_f64_e32 v[2:3], v[2:3], v[83:84]
	v_fma_f64 v[79:80], v[8:9], v[91:92], v[79:80]
	ds_load_b128 v[6:9], v1 offset:832
	s_wait_loadcnt_dscnt 0x301
	v_mul_f64_e32 v[77:78], v[67:68], v[101:102]
	v_mul_f64_e32 v[83:84], v[69:70], v[101:102]
	v_add_f64_e32 v[10:11], v[10:11], v[75:76]
	v_add_f64_e32 v[2:3], v[2:3], v[81:82]
	s_wait_loadcnt_dscnt 0x200
	v_mul_f64_e32 v[75:76], v[6:7], v[105:106]
	v_mul_f64_e32 v[81:82], v[8:9], v[105:106]
	v_fma_f64 v[77:78], v[69:70], v[99:100], v[77:78]
	v_fma_f64 v[83:84], v[67:68], v[99:100], -v[83:84]
	ds_load_b128 v[67:70], v1 offset:848
	v_add_f64_e32 v[10:11], v[10:11], v[79:80]
	v_add_f64_e32 v[2:3], v[2:3], v[85:86]
	s_wait_loadcnt_dscnt 0x100
	v_mul_f64_e32 v[79:80], v[67:68], v[109:110]
	v_mul_f64_e32 v[85:86], v[69:70], v[109:110]
	v_fma_f64 v[8:9], v[8:9], v[103:104], v[75:76]
	v_fma_f64 v[6:7], v[6:7], v[103:104], -v[81:82]
	v_add_f64_e32 v[10:11], v[10:11], v[77:78]
	v_add_f64_e32 v[2:3], v[2:3], v[83:84]
	v_fma_f64 v[69:70], v[69:70], v[107:108], v[79:80]
	v_fma_f64 v[67:68], v[67:68], v[107:108], -v[85:86]
	s_delay_alu instid0(VALU_DEP_3) | instskip(SKIP_1) | instid1(VALU_DEP_2)
	v_add_f64_e32 v[2:3], v[2:3], v[6:7]
	v_add_f64_e32 v[6:7], v[10:11], v[8:9]
	;; [unrolled: 1-line block ×3, first 2 shown]
	s_delay_alu instid0(VALU_DEP_2) | instskip(SKIP_1) | instid1(VALU_DEP_2)
	v_add_f64_e32 v[8:9], v[6:7], v[69:70]
	s_wait_loadcnt 0x0
	v_add_f64_e64 v[6:7], v[71:72], -v[2:3]
	s_delay_alu instid0(VALU_DEP_2)
	v_add_f64_e64 v[8:9], v[73:74], -v[8:9]
	scratch_store_b128 off, v[6:9], off offset:96
	v_cmpx_lt_u32_e32 4, v0
	s_cbranch_execz .LBB26_167
; %bb.166:
	scratch_load_b128 v[6:9], off, s23
	v_dual_mov_b32 v2, v1 :: v_dual_mov_b32 v3, v1
	v_mov_b32_e32 v4, v1
	scratch_store_b128 off, v[1:4], off offset:80
	s_wait_loadcnt 0x0
	ds_store_b128 v5, v[6:9]
.LBB26_167:
	s_wait_alu 0xfffe
	s_or_b32 exec_lo, exec_lo, s0
	s_wait_storecnt_dscnt 0x0
	s_barrier_signal -1
	s_barrier_wait -1
	global_inv scope:SCOPE_SE
	s_clause 0x7
	scratch_load_b128 v[6:9], off, off offset:96
	scratch_load_b128 v[67:70], off, off offset:112
	;; [unrolled: 1-line block ×8, first 2 shown]
	ds_load_b128 v[95:98], v1 offset:512
	s_clause 0x1
	scratch_load_b128 v[99:102], off, off offset:224
	scratch_load_b128 v[103:106], off, off offset:240
	s_mov_b32 s0, exec_lo
	s_wait_loadcnt_dscnt 0x900
	v_mul_f64_e32 v[2:3], v[97:98], v[8:9]
	v_mul_f64_e32 v[107:108], v[95:96], v[8:9]
	ds_load_b128 v[8:11], v1 offset:528
	v_fma_f64 v[2:3], v[95:96], v[6:7], -v[2:3]
	v_fma_f64 v[6:7], v[97:98], v[6:7], v[107:108]
	ds_load_b128 v[95:98], v1 offset:544
	s_wait_loadcnt_dscnt 0x801
	v_mul_f64_e32 v[111:112], v[8:9], v[69:70]
	v_mul_f64_e32 v[69:70], v[10:11], v[69:70]
	scratch_load_b128 v[107:110], off, off offset:256
	s_wait_loadcnt_dscnt 0x800
	v_mul_f64_e32 v[113:114], v[95:96], v[73:74]
	v_mul_f64_e32 v[73:74], v[97:98], v[73:74]
	v_add_f64_e32 v[2:3], 0, v[2:3]
	v_add_f64_e32 v[115:116], 0, v[6:7]
	v_fma_f64 v[10:11], v[10:11], v[67:68], v[111:112]
	v_fma_f64 v[111:112], v[8:9], v[67:68], -v[69:70]
	ds_load_b128 v[6:9], v1 offset:560
	scratch_load_b128 v[67:70], off, off offset:272
	v_fma_f64 v[113:114], v[97:98], v[71:72], v[113:114]
	v_fma_f64 v[119:120], v[95:96], v[71:72], -v[73:74]
	ds_load_b128 v[71:74], v1 offset:576
	s_wait_loadcnt_dscnt 0x801
	v_mul_f64_e32 v[117:118], v[6:7], v[77:78]
	v_mul_f64_e32 v[77:78], v[8:9], v[77:78]
	scratch_load_b128 v[95:98], off, off offset:288
	v_add_f64_e32 v[10:11], v[115:116], v[10:11]
	v_add_f64_e32 v[2:3], v[2:3], v[111:112]
	s_wait_loadcnt_dscnt 0x800
	v_mul_f64_e32 v[111:112], v[71:72], v[81:82]
	v_mul_f64_e32 v[81:82], v[73:74], v[81:82]
	v_fma_f64 v[115:116], v[8:9], v[75:76], v[117:118]
	v_fma_f64 v[117:118], v[6:7], v[75:76], -v[77:78]
	ds_load_b128 v[6:9], v1 offset:592
	scratch_load_b128 v[75:78], off, off offset:304
	v_add_f64_e32 v[10:11], v[10:11], v[113:114]
	v_add_f64_e32 v[2:3], v[2:3], v[119:120]
	v_fma_f64 v[111:112], v[73:74], v[79:80], v[111:112]
	v_fma_f64 v[119:120], v[71:72], v[79:80], -v[81:82]
	ds_load_b128 v[71:74], v1 offset:608
	s_wait_loadcnt_dscnt 0x801
	v_mul_f64_e32 v[113:114], v[6:7], v[85:86]
	v_mul_f64_e32 v[85:86], v[8:9], v[85:86]
	scratch_load_b128 v[79:82], off, off offset:320
	v_add_f64_e32 v[10:11], v[10:11], v[115:116]
	v_add_f64_e32 v[2:3], v[2:3], v[117:118]
	s_wait_loadcnt_dscnt 0x800
	v_mul_f64_e32 v[115:116], v[71:72], v[89:90]
	v_mul_f64_e32 v[89:90], v[73:74], v[89:90]
	v_fma_f64 v[113:114], v[8:9], v[83:84], v[113:114]
	v_fma_f64 v[117:118], v[6:7], v[83:84], -v[85:86]
	ds_load_b128 v[6:9], v1 offset:624
	scratch_load_b128 v[83:86], off, off offset:336
	v_add_f64_e32 v[10:11], v[10:11], v[111:112]
	v_add_f64_e32 v[2:3], v[2:3], v[119:120]
	;; [unrolled: 18-line block ×3, first 2 shown]
	v_fma_f64 v[113:114], v[73:74], v[99:100], v[113:114]
	v_fma_f64 v[119:120], v[71:72], v[99:100], -v[101:102]
	ds_load_b128 v[71:74], v1 offset:672
	s_wait_loadcnt_dscnt 0x801
	v_mul_f64_e32 v[115:116], v[6:7], v[105:106]
	v_mul_f64_e32 v[105:106], v[8:9], v[105:106]
	scratch_load_b128 v[99:102], off, off offset:384
	v_add_f64_e32 v[10:11], v[10:11], v[111:112]
	v_add_f64_e32 v[2:3], v[2:3], v[117:118]
	v_fma_f64 v[115:116], v[8:9], v[103:104], v[115:116]
	v_fma_f64 v[117:118], v[6:7], v[103:104], -v[105:106]
	ds_load_b128 v[6:9], v1 offset:688
	scratch_load_b128 v[103:106], off, off offset:400
	s_wait_loadcnt_dscnt 0x901
	v_mul_f64_e32 v[111:112], v[71:72], v[109:110]
	v_mul_f64_e32 v[109:110], v[73:74], v[109:110]
	v_add_f64_e32 v[10:11], v[10:11], v[113:114]
	v_add_f64_e32 v[2:3], v[2:3], v[119:120]
	s_delay_alu instid0(VALU_DEP_4)
	v_fma_f64 v[73:74], v[73:74], v[107:108], v[111:112]
	s_wait_loadcnt_dscnt 0x800
	v_mul_f64_e32 v[113:114], v[6:7], v[69:70]
	v_mul_f64_e32 v[119:120], v[8:9], v[69:70]
	v_fma_f64 v[111:112], v[71:72], v[107:108], -v[109:110]
	ds_load_b128 v[69:72], v1 offset:704
	scratch_load_b128 v[107:110], off, off offset:416
	v_add_f64_e32 v[10:11], v[10:11], v[115:116]
	v_add_f64_e32 v[2:3], v[2:3], v[117:118]
	v_fma_f64 v[117:118], v[8:9], v[67:68], v[113:114]
	v_fma_f64 v[67:68], v[6:7], v[67:68], -v[119:120]
	ds_load_b128 v[6:9], v1 offset:720
	s_wait_loadcnt_dscnt 0x801
	v_mul_f64_e32 v[115:116], v[69:70], v[97:98]
	v_mul_f64_e32 v[97:98], v[71:72], v[97:98]
	v_add_f64_e32 v[10:11], v[10:11], v[73:74]
	v_add_f64_e32 v[2:3], v[2:3], v[111:112]
	scratch_load_b128 v[111:114], off, off offset:432
	s_wait_loadcnt_dscnt 0x800
	v_mul_f64_e32 v[73:74], v[6:7], v[77:78]
	v_mul_f64_e32 v[77:78], v[8:9], v[77:78]
	v_fma_f64 v[71:72], v[71:72], v[95:96], v[115:116]
	v_fma_f64 v[95:96], v[69:70], v[95:96], -v[97:98]
	v_add_f64_e32 v[10:11], v[10:11], v[117:118]
	v_add_f64_e32 v[2:3], v[2:3], v[67:68]
	ds_load_b128 v[67:70], v1 offset:736
	v_fma_f64 v[73:74], v[8:9], v[75:76], v[73:74]
	v_fma_f64 v[75:76], v[6:7], v[75:76], -v[77:78]
	ds_load_b128 v[6:9], v1 offset:752
	s_wait_loadcnt_dscnt 0x600
	v_mul_f64_e32 v[77:78], v[6:7], v[85:86]
	v_mul_f64_e32 v[85:86], v[8:9], v[85:86]
	v_add_f64_e32 v[10:11], v[10:11], v[71:72]
	v_add_f64_e32 v[2:3], v[2:3], v[95:96]
	s_delay_alu instid0(VALU_DEP_4) | instskip(NEXT) | instid1(VALU_DEP_4)
	v_fma_f64 v[77:78], v[8:9], v[83:84], v[77:78]
	v_fma_f64 v[83:84], v[6:7], v[83:84], -v[85:86]
	ds_load_b128 v[6:9], v1 offset:784
	v_add_f64_e32 v[10:11], v[10:11], v[73:74]
	scratch_load_b128 v[71:74], off, off offset:80
	v_mul_f64_e32 v[97:98], v[67:68], v[81:82]
	v_mul_f64_e32 v[81:82], v[69:70], v[81:82]
	v_add_f64_e32 v[2:3], v[2:3], v[75:76]
	s_wait_loadcnt_dscnt 0x500
	v_mul_f64_e32 v[85:86], v[8:9], v[93:94]
	s_delay_alu instid0(VALU_DEP_4) | instskip(NEXT) | instid1(VALU_DEP_4)
	v_fma_f64 v[95:96], v[69:70], v[79:80], v[97:98]
	v_fma_f64 v[79:80], v[67:68], v[79:80], -v[81:82]
	ds_load_b128 v[67:70], v1 offset:768
	s_wait_dscnt 0x0
	v_mul_f64_e32 v[75:76], v[67:68], v[89:90]
	v_mul_f64_e32 v[81:82], v[69:70], v[89:90]
	v_fma_f64 v[85:86], v[6:7], v[91:92], -v[85:86]
	v_add_f64_e32 v[10:11], v[10:11], v[95:96]
	v_add_f64_e32 v[2:3], v[2:3], v[79:80]
	v_mul_f64_e32 v[79:80], v[6:7], v[93:94]
	v_fma_f64 v[75:76], v[69:70], v[87:88], v[75:76]
	v_fma_f64 v[81:82], v[67:68], v[87:88], -v[81:82]
	ds_load_b128 v[67:70], v1 offset:800
	v_add_f64_e32 v[10:11], v[10:11], v[77:78]
	v_add_f64_e32 v[2:3], v[2:3], v[83:84]
	v_fma_f64 v[79:80], v[8:9], v[91:92], v[79:80]
	ds_load_b128 v[6:9], v1 offset:816
	s_wait_loadcnt_dscnt 0x401
	v_mul_f64_e32 v[77:78], v[67:68], v[101:102]
	v_mul_f64_e32 v[83:84], v[69:70], v[101:102]
	v_add_f64_e32 v[10:11], v[10:11], v[75:76]
	v_add_f64_e32 v[2:3], v[2:3], v[81:82]
	s_wait_loadcnt_dscnt 0x300
	v_mul_f64_e32 v[75:76], v[6:7], v[105:106]
	v_mul_f64_e32 v[81:82], v[8:9], v[105:106]
	v_fma_f64 v[77:78], v[69:70], v[99:100], v[77:78]
	v_fma_f64 v[83:84], v[67:68], v[99:100], -v[83:84]
	ds_load_b128 v[67:70], v1 offset:832
	v_add_f64_e32 v[10:11], v[10:11], v[79:80]
	v_add_f64_e32 v[2:3], v[2:3], v[85:86]
	s_wait_loadcnt_dscnt 0x200
	v_mul_f64_e32 v[79:80], v[67:68], v[109:110]
	v_mul_f64_e32 v[85:86], v[69:70], v[109:110]
	v_fma_f64 v[8:9], v[8:9], v[103:104], v[75:76]
	v_fma_f64 v[6:7], v[6:7], v[103:104], -v[81:82]
	v_add_f64_e32 v[10:11], v[10:11], v[77:78]
	v_add_f64_e32 v[75:76], v[2:3], v[83:84]
	ds_load_b128 v[1:4], v1 offset:848
	v_fma_f64 v[69:70], v[69:70], v[107:108], v[79:80]
	v_fma_f64 v[67:68], v[67:68], v[107:108], -v[85:86]
	s_wait_loadcnt_dscnt 0x100
	v_mul_f64_e32 v[77:78], v[1:2], v[113:114]
	v_mul_f64_e32 v[81:82], v[3:4], v[113:114]
	v_add_f64_e32 v[8:9], v[10:11], v[8:9]
	v_add_f64_e32 v[6:7], v[75:76], v[6:7]
	s_delay_alu instid0(VALU_DEP_4) | instskip(NEXT) | instid1(VALU_DEP_4)
	v_fma_f64 v[3:4], v[3:4], v[111:112], v[77:78]
	v_fma_f64 v[1:2], v[1:2], v[111:112], -v[81:82]
	s_delay_alu instid0(VALU_DEP_4) | instskip(NEXT) | instid1(VALU_DEP_4)
	v_add_f64_e32 v[8:9], v[8:9], v[69:70]
	v_add_f64_e32 v[6:7], v[6:7], v[67:68]
	s_delay_alu instid0(VALU_DEP_2) | instskip(NEXT) | instid1(VALU_DEP_2)
	v_add_f64_e32 v[3:4], v[8:9], v[3:4]
	v_add_f64_e32 v[1:2], v[6:7], v[1:2]
	s_wait_loadcnt 0x0
	s_delay_alu instid0(VALU_DEP_2) | instskip(NEXT) | instid1(VALU_DEP_2)
	v_add_f64_e64 v[3:4], v[73:74], -v[3:4]
	v_add_f64_e64 v[1:2], v[71:72], -v[1:2]
	scratch_store_b128 off, v[1:4], off offset:80
	v_cmpx_lt_u32_e32 3, v0
	s_cbranch_execz .LBB26_169
; %bb.168:
	scratch_load_b128 v[1:4], off, s24
	v_mov_b32_e32 v6, 0
	s_delay_alu instid0(VALU_DEP_1)
	v_dual_mov_b32 v7, v6 :: v_dual_mov_b32 v8, v6
	v_mov_b32_e32 v9, v6
	scratch_store_b128 off, v[6:9], off offset:64
	s_wait_loadcnt 0x0
	ds_store_b128 v5, v[1:4]
.LBB26_169:
	s_wait_alu 0xfffe
	s_or_b32 exec_lo, exec_lo, s0
	s_wait_storecnt_dscnt 0x0
	s_barrier_signal -1
	s_barrier_wait -1
	global_inv scope:SCOPE_SE
	s_clause 0x7
	scratch_load_b128 v[6:9], off, off offset:80
	scratch_load_b128 v[67:70], off, off offset:96
	;; [unrolled: 1-line block ×8, first 2 shown]
	v_mov_b32_e32 v1, 0
	s_clause 0x1
	scratch_load_b128 v[99:102], off, off offset:208
	scratch_load_b128 v[103:106], off, off offset:224
	s_mov_b32 s0, exec_lo
	ds_load_b128 v[95:98], v1 offset:496
	s_wait_loadcnt_dscnt 0x900
	v_mul_f64_e32 v[2:3], v[97:98], v[8:9]
	v_mul_f64_e32 v[107:108], v[95:96], v[8:9]
	ds_load_b128 v[8:11], v1 offset:512
	v_fma_f64 v[2:3], v[95:96], v[6:7], -v[2:3]
	v_fma_f64 v[6:7], v[97:98], v[6:7], v[107:108]
	ds_load_b128 v[95:98], v1 offset:528
	s_wait_loadcnt_dscnt 0x801
	v_mul_f64_e32 v[111:112], v[8:9], v[69:70]
	v_mul_f64_e32 v[69:70], v[10:11], v[69:70]
	scratch_load_b128 v[107:110], off, off offset:240
	s_wait_loadcnt_dscnt 0x800
	v_mul_f64_e32 v[113:114], v[95:96], v[73:74]
	v_mul_f64_e32 v[73:74], v[97:98], v[73:74]
	v_add_f64_e32 v[2:3], 0, v[2:3]
	v_add_f64_e32 v[115:116], 0, v[6:7]
	v_fma_f64 v[10:11], v[10:11], v[67:68], v[111:112]
	v_fma_f64 v[111:112], v[8:9], v[67:68], -v[69:70]
	ds_load_b128 v[6:9], v1 offset:544
	scratch_load_b128 v[67:70], off, off offset:256
	v_fma_f64 v[113:114], v[97:98], v[71:72], v[113:114]
	v_fma_f64 v[119:120], v[95:96], v[71:72], -v[73:74]
	ds_load_b128 v[71:74], v1 offset:560
	s_wait_loadcnt_dscnt 0x801
	v_mul_f64_e32 v[117:118], v[6:7], v[77:78]
	v_mul_f64_e32 v[77:78], v[8:9], v[77:78]
	scratch_load_b128 v[95:98], off, off offset:272
	v_add_f64_e32 v[10:11], v[115:116], v[10:11]
	v_add_f64_e32 v[2:3], v[2:3], v[111:112]
	s_wait_loadcnt_dscnt 0x800
	v_mul_f64_e32 v[111:112], v[71:72], v[81:82]
	v_mul_f64_e32 v[81:82], v[73:74], v[81:82]
	v_fma_f64 v[115:116], v[8:9], v[75:76], v[117:118]
	v_fma_f64 v[117:118], v[6:7], v[75:76], -v[77:78]
	ds_load_b128 v[6:9], v1 offset:576
	scratch_load_b128 v[75:78], off, off offset:288
	v_add_f64_e32 v[10:11], v[10:11], v[113:114]
	v_add_f64_e32 v[2:3], v[2:3], v[119:120]
	v_fma_f64 v[111:112], v[73:74], v[79:80], v[111:112]
	v_fma_f64 v[119:120], v[71:72], v[79:80], -v[81:82]
	ds_load_b128 v[71:74], v1 offset:592
	s_wait_loadcnt_dscnt 0x801
	v_mul_f64_e32 v[113:114], v[6:7], v[85:86]
	v_mul_f64_e32 v[85:86], v[8:9], v[85:86]
	scratch_load_b128 v[79:82], off, off offset:304
	v_add_f64_e32 v[10:11], v[10:11], v[115:116]
	v_add_f64_e32 v[2:3], v[2:3], v[117:118]
	s_wait_loadcnt_dscnt 0x800
	v_mul_f64_e32 v[115:116], v[71:72], v[89:90]
	v_mul_f64_e32 v[89:90], v[73:74], v[89:90]
	v_fma_f64 v[113:114], v[8:9], v[83:84], v[113:114]
	v_fma_f64 v[117:118], v[6:7], v[83:84], -v[85:86]
	ds_load_b128 v[6:9], v1 offset:608
	scratch_load_b128 v[83:86], off, off offset:320
	v_add_f64_e32 v[10:11], v[10:11], v[111:112]
	v_add_f64_e32 v[2:3], v[2:3], v[119:120]
	;; [unrolled: 18-line block ×3, first 2 shown]
	v_fma_f64 v[113:114], v[73:74], v[99:100], v[113:114]
	v_fma_f64 v[119:120], v[71:72], v[99:100], -v[101:102]
	ds_load_b128 v[71:74], v1 offset:656
	s_wait_loadcnt_dscnt 0x801
	v_mul_f64_e32 v[115:116], v[6:7], v[105:106]
	v_mul_f64_e32 v[105:106], v[8:9], v[105:106]
	scratch_load_b128 v[99:102], off, off offset:368
	v_add_f64_e32 v[10:11], v[10:11], v[111:112]
	v_add_f64_e32 v[2:3], v[2:3], v[117:118]
	v_fma_f64 v[115:116], v[8:9], v[103:104], v[115:116]
	v_fma_f64 v[117:118], v[6:7], v[103:104], -v[105:106]
	ds_load_b128 v[6:9], v1 offset:672
	scratch_load_b128 v[103:106], off, off offset:384
	s_wait_loadcnt_dscnt 0x901
	v_mul_f64_e32 v[111:112], v[71:72], v[109:110]
	v_mul_f64_e32 v[109:110], v[73:74], v[109:110]
	v_add_f64_e32 v[10:11], v[10:11], v[113:114]
	v_add_f64_e32 v[2:3], v[2:3], v[119:120]
	s_delay_alu instid0(VALU_DEP_4)
	v_fma_f64 v[73:74], v[73:74], v[107:108], v[111:112]
	s_wait_loadcnt_dscnt 0x800
	v_mul_f64_e32 v[113:114], v[6:7], v[69:70]
	v_mul_f64_e32 v[119:120], v[8:9], v[69:70]
	v_fma_f64 v[111:112], v[71:72], v[107:108], -v[109:110]
	ds_load_b128 v[69:72], v1 offset:688
	scratch_load_b128 v[107:110], off, off offset:400
	v_add_f64_e32 v[10:11], v[10:11], v[115:116]
	v_add_f64_e32 v[2:3], v[2:3], v[117:118]
	v_fma_f64 v[117:118], v[8:9], v[67:68], v[113:114]
	v_fma_f64 v[67:68], v[6:7], v[67:68], -v[119:120]
	ds_load_b128 v[6:9], v1 offset:704
	s_wait_loadcnt_dscnt 0x801
	v_mul_f64_e32 v[115:116], v[69:70], v[97:98]
	v_mul_f64_e32 v[97:98], v[71:72], v[97:98]
	v_add_f64_e32 v[10:11], v[10:11], v[73:74]
	v_add_f64_e32 v[2:3], v[2:3], v[111:112]
	scratch_load_b128 v[111:114], off, off offset:416
	s_wait_loadcnt_dscnt 0x800
	v_mul_f64_e32 v[119:120], v[6:7], v[77:78]
	v_mul_f64_e32 v[77:78], v[8:9], v[77:78]
	v_fma_f64 v[115:116], v[71:72], v[95:96], v[115:116]
	v_fma_f64 v[95:96], v[69:70], v[95:96], -v[97:98]
	scratch_load_b128 v[71:74], off, off offset:432
	v_add_f64_e32 v[10:11], v[10:11], v[117:118]
	v_add_f64_e32 v[2:3], v[2:3], v[67:68]
	ds_load_b128 v[67:70], v1 offset:720
	v_fma_f64 v[117:118], v[8:9], v[75:76], v[119:120]
	v_fma_f64 v[75:76], v[6:7], v[75:76], -v[77:78]
	ds_load_b128 v[6:9], v1 offset:736
	s_wait_loadcnt_dscnt 0x801
	v_mul_f64_e32 v[97:98], v[67:68], v[81:82]
	v_mul_f64_e32 v[81:82], v[69:70], v[81:82]
	s_wait_loadcnt_dscnt 0x700
	v_mul_f64_e32 v[77:78], v[6:7], v[85:86]
	v_mul_f64_e32 v[85:86], v[8:9], v[85:86]
	v_add_f64_e32 v[10:11], v[10:11], v[115:116]
	v_add_f64_e32 v[2:3], v[2:3], v[95:96]
	v_fma_f64 v[95:96], v[69:70], v[79:80], v[97:98]
	v_fma_f64 v[79:80], v[67:68], v[79:80], -v[81:82]
	ds_load_b128 v[67:70], v1 offset:752
	v_fma_f64 v[97:98], v[8:9], v[83:84], v[77:78]
	v_fma_f64 v[83:84], v[6:7], v[83:84], -v[85:86]
	ds_load_b128 v[6:9], v1 offset:768
	v_add_f64_e32 v[10:11], v[10:11], v[117:118]
	v_add_f64_e32 v[2:3], v[2:3], v[75:76]
	scratch_load_b128 v[75:78], off, off offset:64
	s_wait_loadcnt_dscnt 0x701
	v_mul_f64_e32 v[81:82], v[67:68], v[89:90]
	v_mul_f64_e32 v[89:90], v[69:70], v[89:90]
	s_wait_loadcnt_dscnt 0x600
	v_mul_f64_e32 v[85:86], v[8:9], v[93:94]
	v_add_f64_e32 v[10:11], v[10:11], v[95:96]
	v_add_f64_e32 v[2:3], v[2:3], v[79:80]
	v_mul_f64_e32 v[79:80], v[6:7], v[93:94]
	v_fma_f64 v[81:82], v[69:70], v[87:88], v[81:82]
	v_fma_f64 v[87:88], v[67:68], v[87:88], -v[89:90]
	ds_load_b128 v[67:70], v1 offset:784
	v_fma_f64 v[85:86], v[6:7], v[91:92], -v[85:86]
	v_add_f64_e32 v[10:11], v[10:11], v[97:98]
	v_add_f64_e32 v[2:3], v[2:3], v[83:84]
	v_fma_f64 v[79:80], v[8:9], v[91:92], v[79:80]
	ds_load_b128 v[6:9], v1 offset:800
	s_wait_loadcnt_dscnt 0x501
	v_mul_f64_e32 v[83:84], v[67:68], v[101:102]
	v_mul_f64_e32 v[89:90], v[69:70], v[101:102]
	v_add_f64_e32 v[10:11], v[10:11], v[81:82]
	v_add_f64_e32 v[2:3], v[2:3], v[87:88]
	s_wait_loadcnt_dscnt 0x400
	v_mul_f64_e32 v[81:82], v[6:7], v[105:106]
	v_mul_f64_e32 v[87:88], v[8:9], v[105:106]
	v_fma_f64 v[83:84], v[69:70], v[99:100], v[83:84]
	v_fma_f64 v[89:90], v[67:68], v[99:100], -v[89:90]
	ds_load_b128 v[67:70], v1 offset:816
	v_add_f64_e32 v[10:11], v[10:11], v[79:80]
	v_add_f64_e32 v[2:3], v[2:3], v[85:86]
	v_fma_f64 v[81:82], v[8:9], v[103:104], v[81:82]
	v_fma_f64 v[87:88], v[6:7], v[103:104], -v[87:88]
	ds_load_b128 v[6:9], v1 offset:832
	s_wait_loadcnt_dscnt 0x301
	v_mul_f64_e32 v[79:80], v[67:68], v[109:110]
	v_mul_f64_e32 v[85:86], v[69:70], v[109:110]
	v_add_f64_e32 v[10:11], v[10:11], v[83:84]
	v_add_f64_e32 v[2:3], v[2:3], v[89:90]
	s_delay_alu instid0(VALU_DEP_4) | instskip(NEXT) | instid1(VALU_DEP_4)
	v_fma_f64 v[79:80], v[69:70], v[107:108], v[79:80]
	v_fma_f64 v[85:86], v[67:68], v[107:108], -v[85:86]
	ds_load_b128 v[67:70], v1 offset:848
	s_wait_loadcnt_dscnt 0x201
	v_mul_f64_e32 v[83:84], v[6:7], v[113:114]
	v_mul_f64_e32 v[89:90], v[8:9], v[113:114]
	v_add_f64_e32 v[10:11], v[10:11], v[81:82]
	v_add_f64_e32 v[2:3], v[2:3], v[87:88]
	s_wait_loadcnt_dscnt 0x100
	v_mul_f64_e32 v[81:82], v[67:68], v[73:74]
	v_mul_f64_e32 v[73:74], v[69:70], v[73:74]
	v_fma_f64 v[8:9], v[8:9], v[111:112], v[83:84]
	v_fma_f64 v[6:7], v[6:7], v[111:112], -v[89:90]
	v_add_f64_e32 v[10:11], v[10:11], v[79:80]
	v_add_f64_e32 v[2:3], v[2:3], v[85:86]
	v_fma_f64 v[69:70], v[69:70], v[71:72], v[81:82]
	v_fma_f64 v[67:68], v[67:68], v[71:72], -v[73:74]
	s_delay_alu instid0(VALU_DEP_3) | instskip(SKIP_1) | instid1(VALU_DEP_2)
	v_add_f64_e32 v[2:3], v[2:3], v[6:7]
	v_add_f64_e32 v[6:7], v[10:11], v[8:9]
	;; [unrolled: 1-line block ×3, first 2 shown]
	s_delay_alu instid0(VALU_DEP_2) | instskip(SKIP_1) | instid1(VALU_DEP_2)
	v_add_f64_e32 v[8:9], v[6:7], v[69:70]
	s_wait_loadcnt 0x0
	v_add_f64_e64 v[6:7], v[75:76], -v[2:3]
	s_delay_alu instid0(VALU_DEP_2)
	v_add_f64_e64 v[8:9], v[77:78], -v[8:9]
	scratch_store_b128 off, v[6:9], off offset:64
	v_cmpx_lt_u32_e32 2, v0
	s_cbranch_execz .LBB26_171
; %bb.170:
	scratch_load_b128 v[6:9], off, s26
	v_dual_mov_b32 v2, v1 :: v_dual_mov_b32 v3, v1
	v_mov_b32_e32 v4, v1
	scratch_store_b128 off, v[1:4], off offset:48
	s_wait_loadcnt 0x0
	ds_store_b128 v5, v[6:9]
.LBB26_171:
	s_wait_alu 0xfffe
	s_or_b32 exec_lo, exec_lo, s0
	s_wait_storecnt_dscnt 0x0
	s_barrier_signal -1
	s_barrier_wait -1
	global_inv scope:SCOPE_SE
	s_clause 0x7
	scratch_load_b128 v[6:9], off, off offset:64
	scratch_load_b128 v[67:70], off, off offset:80
	;; [unrolled: 1-line block ×8, first 2 shown]
	ds_load_b128 v[95:98], v1 offset:480
	s_clause 0x1
	scratch_load_b128 v[99:102], off, off offset:192
	scratch_load_b128 v[103:106], off, off offset:208
	s_mov_b32 s0, exec_lo
	s_wait_loadcnt_dscnt 0x900
	v_mul_f64_e32 v[2:3], v[97:98], v[8:9]
	v_mul_f64_e32 v[107:108], v[95:96], v[8:9]
	ds_load_b128 v[8:11], v1 offset:496
	v_fma_f64 v[2:3], v[95:96], v[6:7], -v[2:3]
	v_fma_f64 v[6:7], v[97:98], v[6:7], v[107:108]
	ds_load_b128 v[95:98], v1 offset:512
	s_wait_loadcnt_dscnt 0x801
	v_mul_f64_e32 v[111:112], v[8:9], v[69:70]
	v_mul_f64_e32 v[69:70], v[10:11], v[69:70]
	scratch_load_b128 v[107:110], off, off offset:224
	s_wait_loadcnt_dscnt 0x800
	v_mul_f64_e32 v[113:114], v[95:96], v[73:74]
	v_mul_f64_e32 v[73:74], v[97:98], v[73:74]
	v_add_f64_e32 v[2:3], 0, v[2:3]
	v_add_f64_e32 v[115:116], 0, v[6:7]
	v_fma_f64 v[10:11], v[10:11], v[67:68], v[111:112]
	v_fma_f64 v[111:112], v[8:9], v[67:68], -v[69:70]
	ds_load_b128 v[6:9], v1 offset:528
	scratch_load_b128 v[67:70], off, off offset:240
	v_fma_f64 v[113:114], v[97:98], v[71:72], v[113:114]
	v_fma_f64 v[119:120], v[95:96], v[71:72], -v[73:74]
	ds_load_b128 v[71:74], v1 offset:544
	s_wait_loadcnt_dscnt 0x801
	v_mul_f64_e32 v[117:118], v[6:7], v[77:78]
	v_mul_f64_e32 v[77:78], v[8:9], v[77:78]
	scratch_load_b128 v[95:98], off, off offset:256
	v_add_f64_e32 v[10:11], v[115:116], v[10:11]
	v_add_f64_e32 v[2:3], v[2:3], v[111:112]
	s_wait_loadcnt_dscnt 0x800
	v_mul_f64_e32 v[111:112], v[71:72], v[81:82]
	v_mul_f64_e32 v[81:82], v[73:74], v[81:82]
	v_fma_f64 v[115:116], v[8:9], v[75:76], v[117:118]
	v_fma_f64 v[117:118], v[6:7], v[75:76], -v[77:78]
	scratch_load_b128 v[75:78], off, off offset:272
	ds_load_b128 v[6:9], v1 offset:560
	v_add_f64_e32 v[10:11], v[10:11], v[113:114]
	v_add_f64_e32 v[2:3], v[2:3], v[119:120]
	v_fma_f64 v[111:112], v[73:74], v[79:80], v[111:112]
	v_fma_f64 v[119:120], v[71:72], v[79:80], -v[81:82]
	ds_load_b128 v[71:74], v1 offset:576
	scratch_load_b128 v[79:82], off, off offset:288
	s_wait_loadcnt_dscnt 0x901
	v_mul_f64_e32 v[113:114], v[6:7], v[85:86]
	v_mul_f64_e32 v[85:86], v[8:9], v[85:86]
	v_add_f64_e32 v[10:11], v[10:11], v[115:116]
	v_add_f64_e32 v[2:3], v[2:3], v[117:118]
	s_wait_loadcnt_dscnt 0x800
	v_mul_f64_e32 v[115:116], v[71:72], v[89:90]
	v_mul_f64_e32 v[89:90], v[73:74], v[89:90]
	v_fma_f64 v[113:114], v[8:9], v[83:84], v[113:114]
	v_fma_f64 v[117:118], v[6:7], v[83:84], -v[85:86]
	ds_load_b128 v[6:9], v1 offset:592
	scratch_load_b128 v[83:86], off, off offset:304
	v_add_f64_e32 v[10:11], v[10:11], v[111:112]
	v_add_f64_e32 v[2:3], v[2:3], v[119:120]
	v_fma_f64 v[115:116], v[73:74], v[87:88], v[115:116]
	v_fma_f64 v[119:120], v[71:72], v[87:88], -v[89:90]
	scratch_load_b128 v[87:90], off, off offset:320
	ds_load_b128 v[71:74], v1 offset:608
	s_wait_loadcnt_dscnt 0x901
	v_mul_f64_e32 v[111:112], v[6:7], v[93:94]
	v_mul_f64_e32 v[93:94], v[8:9], v[93:94]
	v_add_f64_e32 v[10:11], v[10:11], v[113:114]
	v_add_f64_e32 v[2:3], v[2:3], v[117:118]
	s_wait_loadcnt_dscnt 0x800
	v_mul_f64_e32 v[113:114], v[71:72], v[101:102]
	v_mul_f64_e32 v[101:102], v[73:74], v[101:102]
	v_fma_f64 v[111:112], v[8:9], v[91:92], v[111:112]
	v_fma_f64 v[117:118], v[6:7], v[91:92], -v[93:94]
	ds_load_b128 v[6:9], v1 offset:624
	scratch_load_b128 v[91:94], off, off offset:336
	v_add_f64_e32 v[10:11], v[10:11], v[115:116]
	v_add_f64_e32 v[2:3], v[2:3], v[119:120]
	v_fma_f64 v[113:114], v[73:74], v[99:100], v[113:114]
	v_fma_f64 v[119:120], v[71:72], v[99:100], -v[101:102]
	ds_load_b128 v[71:74], v1 offset:640
	s_wait_loadcnt_dscnt 0x801
	v_mul_f64_e32 v[115:116], v[6:7], v[105:106]
	v_mul_f64_e32 v[105:106], v[8:9], v[105:106]
	scratch_load_b128 v[99:102], off, off offset:352
	v_add_f64_e32 v[10:11], v[10:11], v[111:112]
	v_add_f64_e32 v[2:3], v[2:3], v[117:118]
	v_fma_f64 v[115:116], v[8:9], v[103:104], v[115:116]
	v_fma_f64 v[117:118], v[6:7], v[103:104], -v[105:106]
	ds_load_b128 v[6:9], v1 offset:656
	scratch_load_b128 v[103:106], off, off offset:368
	s_wait_loadcnt_dscnt 0x901
	v_mul_f64_e32 v[111:112], v[71:72], v[109:110]
	v_mul_f64_e32 v[109:110], v[73:74], v[109:110]
	v_add_f64_e32 v[10:11], v[10:11], v[113:114]
	v_add_f64_e32 v[2:3], v[2:3], v[119:120]
	s_delay_alu instid0(VALU_DEP_4)
	v_fma_f64 v[73:74], v[73:74], v[107:108], v[111:112]
	s_wait_loadcnt_dscnt 0x800
	v_mul_f64_e32 v[113:114], v[6:7], v[69:70]
	v_mul_f64_e32 v[119:120], v[8:9], v[69:70]
	v_fma_f64 v[111:112], v[71:72], v[107:108], -v[109:110]
	ds_load_b128 v[69:72], v1 offset:672
	scratch_load_b128 v[107:110], off, off offset:384
	v_add_f64_e32 v[10:11], v[10:11], v[115:116]
	v_add_f64_e32 v[2:3], v[2:3], v[117:118]
	v_fma_f64 v[117:118], v[8:9], v[67:68], v[113:114]
	v_fma_f64 v[67:68], v[6:7], v[67:68], -v[119:120]
	ds_load_b128 v[6:9], v1 offset:688
	s_wait_loadcnt_dscnt 0x801
	v_mul_f64_e32 v[115:116], v[69:70], v[97:98]
	v_mul_f64_e32 v[97:98], v[71:72], v[97:98]
	v_add_f64_e32 v[10:11], v[10:11], v[73:74]
	v_add_f64_e32 v[2:3], v[2:3], v[111:112]
	scratch_load_b128 v[111:114], off, off offset:400
	s_wait_loadcnt_dscnt 0x800
	v_mul_f64_e32 v[119:120], v[6:7], v[77:78]
	v_mul_f64_e32 v[77:78], v[8:9], v[77:78]
	v_fma_f64 v[115:116], v[71:72], v[95:96], v[115:116]
	v_fma_f64 v[95:96], v[69:70], v[95:96], -v[97:98]
	scratch_load_b128 v[71:74], off, off offset:416
	v_add_f64_e32 v[10:11], v[10:11], v[117:118]
	v_add_f64_e32 v[2:3], v[2:3], v[67:68]
	ds_load_b128 v[67:70], v1 offset:704
	v_fma_f64 v[117:118], v[8:9], v[75:76], v[119:120]
	v_fma_f64 v[119:120], v[6:7], v[75:76], -v[77:78]
	ds_load_b128 v[6:9], v1 offset:720
	scratch_load_b128 v[75:78], off, off offset:432
	s_wait_loadcnt_dscnt 0x901
	v_mul_f64_e32 v[97:98], v[67:68], v[81:82]
	v_mul_f64_e32 v[81:82], v[69:70], v[81:82]
	v_add_f64_e32 v[10:11], v[10:11], v[115:116]
	v_add_f64_e32 v[2:3], v[2:3], v[95:96]
	s_delay_alu instid0(VALU_DEP_4) | instskip(NEXT) | instid1(VALU_DEP_4)
	v_fma_f64 v[97:98], v[69:70], v[79:80], v[97:98]
	v_fma_f64 v[79:80], v[67:68], v[79:80], -v[81:82]
	ds_load_b128 v[67:70], v1 offset:736
	v_add_f64_e32 v[10:11], v[10:11], v[117:118]
	v_add_f64_e32 v[2:3], v[2:3], v[119:120]
	s_wait_loadcnt_dscnt 0x700
	v_mul_f64_e32 v[81:82], v[67:68], v[89:90]
	v_mul_f64_e32 v[89:90], v[69:70], v[89:90]
	s_delay_alu instid0(VALU_DEP_4) | instskip(NEXT) | instid1(VALU_DEP_4)
	v_add_f64_e32 v[10:11], v[10:11], v[97:98]
	v_add_f64_e32 v[2:3], v[2:3], v[79:80]
	s_delay_alu instid0(VALU_DEP_4)
	v_fma_f64 v[97:98], v[69:70], v[87:88], v[81:82]
	scratch_load_b128 v[79:82], off, off offset:48
	v_mul_f64_e32 v[95:96], v[6:7], v[85:86]
	v_mul_f64_e32 v[85:86], v[8:9], v[85:86]
	v_fma_f64 v[87:88], v[67:68], v[87:88], -v[89:90]
	ds_load_b128 v[67:70], v1 offset:768
	s_wait_loadcnt_dscnt 0x600
	v_mul_f64_e32 v[89:90], v[69:70], v[101:102]
	v_fma_f64 v[95:96], v[8:9], v[83:84], v[95:96]
	v_fma_f64 v[83:84], v[6:7], v[83:84], -v[85:86]
	ds_load_b128 v[6:9], v1 offset:752
	s_wait_dscnt 0x0
	v_mul_f64_e32 v[85:86], v[6:7], v[93:94]
	v_mul_f64_e32 v[93:94], v[8:9], v[93:94]
	v_fma_f64 v[89:90], v[67:68], v[99:100], -v[89:90]
	v_add_f64_e32 v[10:11], v[10:11], v[95:96]
	v_add_f64_e32 v[2:3], v[2:3], v[83:84]
	v_mul_f64_e32 v[83:84], v[67:68], v[101:102]
	v_fma_f64 v[85:86], v[8:9], v[91:92], v[85:86]
	v_fma_f64 v[91:92], v[6:7], v[91:92], -v[93:94]
	ds_load_b128 v[6:9], v1 offset:784
	v_add_f64_e32 v[10:11], v[10:11], v[97:98]
	v_add_f64_e32 v[2:3], v[2:3], v[87:88]
	v_fma_f64 v[83:84], v[69:70], v[99:100], v[83:84]
	ds_load_b128 v[67:70], v1 offset:800
	s_wait_loadcnt_dscnt 0x501
	v_mul_f64_e32 v[87:88], v[6:7], v[105:106]
	v_mul_f64_e32 v[93:94], v[8:9], v[105:106]
	v_add_f64_e32 v[10:11], v[10:11], v[85:86]
	v_add_f64_e32 v[2:3], v[2:3], v[91:92]
	s_wait_loadcnt_dscnt 0x400
	v_mul_f64_e32 v[85:86], v[67:68], v[109:110]
	v_mul_f64_e32 v[91:92], v[69:70], v[109:110]
	v_fma_f64 v[87:88], v[8:9], v[103:104], v[87:88]
	v_fma_f64 v[93:94], v[6:7], v[103:104], -v[93:94]
	ds_load_b128 v[6:9], v1 offset:816
	v_add_f64_e32 v[10:11], v[10:11], v[83:84]
	v_add_f64_e32 v[2:3], v[2:3], v[89:90]
	v_fma_f64 v[85:86], v[69:70], v[107:108], v[85:86]
	v_fma_f64 v[91:92], v[67:68], v[107:108], -v[91:92]
	ds_load_b128 v[67:70], v1 offset:832
	s_wait_loadcnt_dscnt 0x301
	v_mul_f64_e32 v[83:84], v[6:7], v[113:114]
	v_mul_f64_e32 v[89:90], v[8:9], v[113:114]
	v_add_f64_e32 v[10:11], v[10:11], v[87:88]
	v_add_f64_e32 v[2:3], v[2:3], v[93:94]
	s_wait_loadcnt_dscnt 0x200
	v_mul_f64_e32 v[87:88], v[67:68], v[73:74]
	v_mul_f64_e32 v[73:74], v[69:70], v[73:74]
	v_fma_f64 v[8:9], v[8:9], v[111:112], v[83:84]
	v_fma_f64 v[6:7], v[6:7], v[111:112], -v[89:90]
	v_add_f64_e32 v[10:11], v[10:11], v[85:86]
	v_add_f64_e32 v[83:84], v[2:3], v[91:92]
	ds_load_b128 v[1:4], v1 offset:848
	v_fma_f64 v[69:70], v[69:70], v[71:72], v[87:88]
	v_fma_f64 v[67:68], v[67:68], v[71:72], -v[73:74]
	s_wait_loadcnt_dscnt 0x100
	v_mul_f64_e32 v[85:86], v[1:2], v[77:78]
	v_mul_f64_e32 v[77:78], v[3:4], v[77:78]
	v_add_f64_e32 v[8:9], v[10:11], v[8:9]
	v_add_f64_e32 v[6:7], v[83:84], v[6:7]
	s_delay_alu instid0(VALU_DEP_4) | instskip(NEXT) | instid1(VALU_DEP_4)
	v_fma_f64 v[3:4], v[3:4], v[75:76], v[85:86]
	v_fma_f64 v[1:2], v[1:2], v[75:76], -v[77:78]
	s_delay_alu instid0(VALU_DEP_4) | instskip(NEXT) | instid1(VALU_DEP_4)
	v_add_f64_e32 v[8:9], v[8:9], v[69:70]
	v_add_f64_e32 v[6:7], v[6:7], v[67:68]
	s_delay_alu instid0(VALU_DEP_2) | instskip(NEXT) | instid1(VALU_DEP_2)
	v_add_f64_e32 v[3:4], v[8:9], v[3:4]
	v_add_f64_e32 v[1:2], v[6:7], v[1:2]
	s_wait_loadcnt 0x0
	s_delay_alu instid0(VALU_DEP_2) | instskip(NEXT) | instid1(VALU_DEP_2)
	v_add_f64_e64 v[3:4], v[81:82], -v[3:4]
	v_add_f64_e64 v[1:2], v[79:80], -v[1:2]
	scratch_store_b128 off, v[1:4], off offset:48
	v_cmpx_lt_u32_e32 1, v0
	s_cbranch_execz .LBB26_173
; %bb.172:
	scratch_load_b128 v[1:4], off, s28
	v_mov_b32_e32 v6, 0
	s_delay_alu instid0(VALU_DEP_1)
	v_dual_mov_b32 v7, v6 :: v_dual_mov_b32 v8, v6
	v_mov_b32_e32 v9, v6
	scratch_store_b128 off, v[6:9], off offset:32
	s_wait_loadcnt 0x0
	ds_store_b128 v5, v[1:4]
.LBB26_173:
	s_wait_alu 0xfffe
	s_or_b32 exec_lo, exec_lo, s0
	s_wait_storecnt_dscnt 0x0
	s_barrier_signal -1
	s_barrier_wait -1
	global_inv scope:SCOPE_SE
	s_clause 0x7
	scratch_load_b128 v[6:9], off, off offset:48
	scratch_load_b128 v[67:70], off, off offset:64
	;; [unrolled: 1-line block ×8, first 2 shown]
	v_mov_b32_e32 v1, 0
	s_clause 0x1
	scratch_load_b128 v[99:102], off, off offset:176
	scratch_load_b128 v[103:106], off, off offset:192
	s_mov_b32 s0, exec_lo
	ds_load_b128 v[95:98], v1 offset:464
	s_wait_loadcnt_dscnt 0x900
	v_mul_f64_e32 v[2:3], v[97:98], v[8:9]
	v_mul_f64_e32 v[107:108], v[95:96], v[8:9]
	ds_load_b128 v[8:11], v1 offset:480
	v_fma_f64 v[2:3], v[95:96], v[6:7], -v[2:3]
	v_fma_f64 v[6:7], v[97:98], v[6:7], v[107:108]
	ds_load_b128 v[95:98], v1 offset:496
	s_wait_loadcnt_dscnt 0x801
	v_mul_f64_e32 v[111:112], v[8:9], v[69:70]
	v_mul_f64_e32 v[69:70], v[10:11], v[69:70]
	scratch_load_b128 v[107:110], off, off offset:208
	s_wait_loadcnt_dscnt 0x800
	v_mul_f64_e32 v[113:114], v[95:96], v[73:74]
	v_mul_f64_e32 v[73:74], v[97:98], v[73:74]
	v_add_f64_e32 v[2:3], 0, v[2:3]
	v_add_f64_e32 v[115:116], 0, v[6:7]
	v_fma_f64 v[10:11], v[10:11], v[67:68], v[111:112]
	v_fma_f64 v[111:112], v[8:9], v[67:68], -v[69:70]
	ds_load_b128 v[6:9], v1 offset:512
	scratch_load_b128 v[67:70], off, off offset:224
	v_fma_f64 v[113:114], v[97:98], v[71:72], v[113:114]
	v_fma_f64 v[119:120], v[95:96], v[71:72], -v[73:74]
	ds_load_b128 v[71:74], v1 offset:528
	s_wait_loadcnt_dscnt 0x801
	v_mul_f64_e32 v[117:118], v[6:7], v[77:78]
	v_mul_f64_e32 v[77:78], v[8:9], v[77:78]
	scratch_load_b128 v[95:98], off, off offset:240
	v_add_f64_e32 v[10:11], v[115:116], v[10:11]
	v_add_f64_e32 v[2:3], v[2:3], v[111:112]
	s_wait_loadcnt_dscnt 0x800
	v_mul_f64_e32 v[111:112], v[71:72], v[81:82]
	v_mul_f64_e32 v[81:82], v[73:74], v[81:82]
	v_fma_f64 v[115:116], v[8:9], v[75:76], v[117:118]
	v_fma_f64 v[117:118], v[6:7], v[75:76], -v[77:78]
	ds_load_b128 v[6:9], v1 offset:544
	scratch_load_b128 v[75:78], off, off offset:256
	v_add_f64_e32 v[10:11], v[10:11], v[113:114]
	v_add_f64_e32 v[2:3], v[2:3], v[119:120]
	v_fma_f64 v[111:112], v[73:74], v[79:80], v[111:112]
	v_fma_f64 v[119:120], v[71:72], v[79:80], -v[81:82]
	ds_load_b128 v[71:74], v1 offset:560
	s_wait_loadcnt_dscnt 0x801
	v_mul_f64_e32 v[113:114], v[6:7], v[85:86]
	v_mul_f64_e32 v[85:86], v[8:9], v[85:86]
	scratch_load_b128 v[79:82], off, off offset:272
	v_add_f64_e32 v[10:11], v[10:11], v[115:116]
	v_add_f64_e32 v[2:3], v[2:3], v[117:118]
	s_wait_loadcnt_dscnt 0x800
	v_mul_f64_e32 v[115:116], v[71:72], v[89:90]
	v_mul_f64_e32 v[89:90], v[73:74], v[89:90]
	v_fma_f64 v[113:114], v[8:9], v[83:84], v[113:114]
	v_fma_f64 v[117:118], v[6:7], v[83:84], -v[85:86]
	ds_load_b128 v[6:9], v1 offset:576
	scratch_load_b128 v[83:86], off, off offset:288
	v_add_f64_e32 v[10:11], v[10:11], v[111:112]
	v_add_f64_e32 v[2:3], v[2:3], v[119:120]
	;; [unrolled: 18-line block ×3, first 2 shown]
	v_fma_f64 v[113:114], v[73:74], v[99:100], v[113:114]
	v_fma_f64 v[119:120], v[71:72], v[99:100], -v[101:102]
	ds_load_b128 v[71:74], v1 offset:624
	s_wait_loadcnt_dscnt 0x801
	v_mul_f64_e32 v[115:116], v[6:7], v[105:106]
	v_mul_f64_e32 v[105:106], v[8:9], v[105:106]
	scratch_load_b128 v[99:102], off, off offset:336
	v_add_f64_e32 v[10:11], v[10:11], v[111:112]
	v_add_f64_e32 v[2:3], v[2:3], v[117:118]
	v_fma_f64 v[115:116], v[8:9], v[103:104], v[115:116]
	v_fma_f64 v[117:118], v[6:7], v[103:104], -v[105:106]
	ds_load_b128 v[6:9], v1 offset:640
	scratch_load_b128 v[103:106], off, off offset:352
	s_wait_loadcnt_dscnt 0x901
	v_mul_f64_e32 v[111:112], v[71:72], v[109:110]
	v_mul_f64_e32 v[109:110], v[73:74], v[109:110]
	v_add_f64_e32 v[10:11], v[10:11], v[113:114]
	v_add_f64_e32 v[2:3], v[2:3], v[119:120]
	s_delay_alu instid0(VALU_DEP_4)
	v_fma_f64 v[73:74], v[73:74], v[107:108], v[111:112]
	s_wait_loadcnt_dscnt 0x800
	v_mul_f64_e32 v[113:114], v[6:7], v[69:70]
	v_mul_f64_e32 v[119:120], v[8:9], v[69:70]
	v_fma_f64 v[111:112], v[71:72], v[107:108], -v[109:110]
	ds_load_b128 v[69:72], v1 offset:656
	scratch_load_b128 v[107:110], off, off offset:368
	v_add_f64_e32 v[10:11], v[10:11], v[115:116]
	v_add_f64_e32 v[2:3], v[2:3], v[117:118]
	v_fma_f64 v[117:118], v[8:9], v[67:68], v[113:114]
	v_fma_f64 v[67:68], v[6:7], v[67:68], -v[119:120]
	ds_load_b128 v[6:9], v1 offset:672
	s_wait_loadcnt_dscnt 0x801
	v_mul_f64_e32 v[115:116], v[69:70], v[97:98]
	v_mul_f64_e32 v[97:98], v[71:72], v[97:98]
	v_add_f64_e32 v[10:11], v[10:11], v[73:74]
	v_add_f64_e32 v[2:3], v[2:3], v[111:112]
	scratch_load_b128 v[111:114], off, off offset:384
	s_wait_loadcnt_dscnt 0x800
	v_mul_f64_e32 v[119:120], v[6:7], v[77:78]
	v_mul_f64_e32 v[77:78], v[8:9], v[77:78]
	v_fma_f64 v[115:116], v[71:72], v[95:96], v[115:116]
	v_fma_f64 v[95:96], v[69:70], v[95:96], -v[97:98]
	scratch_load_b128 v[71:74], off, off offset:400
	v_add_f64_e32 v[10:11], v[10:11], v[117:118]
	v_add_f64_e32 v[2:3], v[2:3], v[67:68]
	ds_load_b128 v[67:70], v1 offset:688
	v_fma_f64 v[117:118], v[8:9], v[75:76], v[119:120]
	v_fma_f64 v[119:120], v[6:7], v[75:76], -v[77:78]
	ds_load_b128 v[6:9], v1 offset:704
	scratch_load_b128 v[75:78], off, off offset:416
	s_wait_loadcnt_dscnt 0x901
	v_mul_f64_e32 v[97:98], v[67:68], v[81:82]
	v_mul_f64_e32 v[81:82], v[69:70], v[81:82]
	v_add_f64_e32 v[10:11], v[10:11], v[115:116]
	v_add_f64_e32 v[2:3], v[2:3], v[95:96]
	s_wait_loadcnt_dscnt 0x800
	v_mul_f64_e32 v[95:96], v[6:7], v[85:86]
	v_mul_f64_e32 v[85:86], v[8:9], v[85:86]
	v_fma_f64 v[97:98], v[69:70], v[79:80], v[97:98]
	v_fma_f64 v[115:116], v[67:68], v[79:80], -v[81:82]
	ds_load_b128 v[67:70], v1 offset:720
	scratch_load_b128 v[79:82], off, off offset:432
	v_add_f64_e32 v[10:11], v[10:11], v[117:118]
	v_add_f64_e32 v[2:3], v[2:3], v[119:120]
	v_fma_f64 v[95:96], v[8:9], v[83:84], v[95:96]
	v_fma_f64 v[83:84], v[6:7], v[83:84], -v[85:86]
	ds_load_b128 v[6:9], v1 offset:736
	s_wait_loadcnt_dscnt 0x801
	v_mul_f64_e32 v[117:118], v[67:68], v[89:90]
	v_mul_f64_e32 v[89:90], v[69:70], v[89:90]
	s_wait_loadcnt_dscnt 0x700
	v_mul_f64_e32 v[85:86], v[6:7], v[93:94]
	v_mul_f64_e32 v[93:94], v[8:9], v[93:94]
	v_add_f64_e32 v[10:11], v[10:11], v[97:98]
	v_add_f64_e32 v[2:3], v[2:3], v[115:116]
	v_fma_f64 v[97:98], v[69:70], v[87:88], v[117:118]
	v_fma_f64 v[87:88], v[67:68], v[87:88], -v[89:90]
	ds_load_b128 v[67:70], v1 offset:752
	s_wait_loadcnt_dscnt 0x600
	v_mul_f64_e32 v[89:90], v[67:68], v[101:102]
	v_add_f64_e32 v[10:11], v[10:11], v[95:96]
	v_add_f64_e32 v[2:3], v[2:3], v[83:84]
	v_mul_f64_e32 v[95:96], v[69:70], v[101:102]
	v_fma_f64 v[101:102], v[8:9], v[91:92], v[85:86]
	v_fma_f64 v[91:92], v[6:7], v[91:92], -v[93:94]
	ds_load_b128 v[6:9], v1 offset:768
	scratch_load_b128 v[83:86], off, off offset:32
	v_fma_f64 v[89:90], v[69:70], v[99:100], v[89:90]
	v_add_f64_e32 v[10:11], v[10:11], v[97:98]
	v_add_f64_e32 v[2:3], v[2:3], v[87:88]
	v_fma_f64 v[95:96], v[67:68], v[99:100], -v[95:96]
	ds_load_b128 v[67:70], v1 offset:784
	s_wait_loadcnt_dscnt 0x601
	v_mul_f64_e32 v[87:88], v[6:7], v[105:106]
	v_mul_f64_e32 v[93:94], v[8:9], v[105:106]
	v_add_f64_e32 v[10:11], v[10:11], v[101:102]
	v_add_f64_e32 v[2:3], v[2:3], v[91:92]
	s_wait_loadcnt_dscnt 0x500
	v_mul_f64_e32 v[91:92], v[67:68], v[109:110]
	v_mul_f64_e32 v[97:98], v[69:70], v[109:110]
	v_fma_f64 v[87:88], v[8:9], v[103:104], v[87:88]
	v_fma_f64 v[93:94], v[6:7], v[103:104], -v[93:94]
	ds_load_b128 v[6:9], v1 offset:800
	v_add_f64_e32 v[10:11], v[10:11], v[89:90]
	v_add_f64_e32 v[2:3], v[2:3], v[95:96]
	v_fma_f64 v[91:92], v[69:70], v[107:108], v[91:92]
	v_fma_f64 v[97:98], v[67:68], v[107:108], -v[97:98]
	ds_load_b128 v[67:70], v1 offset:816
	s_wait_loadcnt_dscnt 0x401
	v_mul_f64_e32 v[89:90], v[6:7], v[113:114]
	v_mul_f64_e32 v[95:96], v[8:9], v[113:114]
	v_add_f64_e32 v[10:11], v[10:11], v[87:88]
	v_add_f64_e32 v[2:3], v[2:3], v[93:94]
	s_wait_loadcnt_dscnt 0x300
	v_mul_f64_e32 v[87:88], v[67:68], v[73:74]
	v_mul_f64_e32 v[73:74], v[69:70], v[73:74]
	v_fma_f64 v[89:90], v[8:9], v[111:112], v[89:90]
	v_fma_f64 v[93:94], v[6:7], v[111:112], -v[95:96]
	ds_load_b128 v[6:9], v1 offset:832
	v_add_f64_e32 v[10:11], v[10:11], v[91:92]
	v_add_f64_e32 v[2:3], v[2:3], v[97:98]
	v_fma_f64 v[87:88], v[69:70], v[71:72], v[87:88]
	v_fma_f64 v[71:72], v[67:68], v[71:72], -v[73:74]
	ds_load_b128 v[67:70], v1 offset:848
	s_wait_loadcnt_dscnt 0x201
	v_mul_f64_e32 v[91:92], v[6:7], v[77:78]
	v_mul_f64_e32 v[77:78], v[8:9], v[77:78]
	v_add_f64_e32 v[10:11], v[10:11], v[89:90]
	v_add_f64_e32 v[2:3], v[2:3], v[93:94]
	s_wait_loadcnt_dscnt 0x100
	v_mul_f64_e32 v[73:74], v[67:68], v[81:82]
	v_mul_f64_e32 v[81:82], v[69:70], v[81:82]
	v_fma_f64 v[8:9], v[8:9], v[75:76], v[91:92]
	v_fma_f64 v[6:7], v[6:7], v[75:76], -v[77:78]
	v_add_f64_e32 v[10:11], v[10:11], v[87:88]
	v_add_f64_e32 v[2:3], v[2:3], v[71:72]
	v_fma_f64 v[69:70], v[69:70], v[79:80], v[73:74]
	v_fma_f64 v[67:68], v[67:68], v[79:80], -v[81:82]
	s_delay_alu instid0(VALU_DEP_3) | instskip(SKIP_1) | instid1(VALU_DEP_2)
	v_add_f64_e32 v[2:3], v[2:3], v[6:7]
	v_add_f64_e32 v[6:7], v[10:11], v[8:9]
	;; [unrolled: 1-line block ×3, first 2 shown]
	s_delay_alu instid0(VALU_DEP_2) | instskip(SKIP_1) | instid1(VALU_DEP_2)
	v_add_f64_e32 v[8:9], v[6:7], v[69:70]
	s_wait_loadcnt 0x0
	v_add_f64_e64 v[6:7], v[83:84], -v[2:3]
	s_delay_alu instid0(VALU_DEP_2)
	v_add_f64_e64 v[8:9], v[85:86], -v[8:9]
	scratch_store_b128 off, v[6:9], off offset:32
	v_cmpx_ne_u32_e32 0, v0
	s_cbranch_execz .LBB26_175
; %bb.174:
	scratch_load_b128 v[6:9], off, off offset:16
	v_dual_mov_b32 v2, v1 :: v_dual_mov_b32 v3, v1
	v_mov_b32_e32 v4, v1
	scratch_store_b128 off, v[1:4], off offset:16
	s_wait_loadcnt 0x0
	ds_store_b128 v5, v[6:9]
.LBB26_175:
	s_wait_alu 0xfffe
	s_or_b32 exec_lo, exec_lo, s0
	s_wait_storecnt_dscnt 0x0
	s_barrier_signal -1
	s_barrier_wait -1
	global_inv scope:SCOPE_SE
	s_clause 0x7
	scratch_load_b128 v[2:5], off, off offset:32
	scratch_load_b128 v[6:9], off, off offset:48
	scratch_load_b128 v[67:70], off, off offset:64
	scratch_load_b128 v[71:74], off, off offset:80
	scratch_load_b128 v[75:78], off, off offset:96
	scratch_load_b128 v[79:82], off, off offset:112
	scratch_load_b128 v[83:86], off, off offset:128
	scratch_load_b128 v[87:90], off, off offset:144
	ds_load_b128 v[91:94], v1 offset:448
	ds_load_b128 v[99:102], v1 offset:464
	s_clause 0x1
	scratch_load_b128 v[95:98], off, off offset:160
	scratch_load_b128 v[103:106], off, off offset:176
	s_and_b32 vcc_lo, exec_lo, s18
	s_wait_loadcnt_dscnt 0x901
	v_mul_f64_e32 v[10:11], v[93:94], v[4:5]
	v_mul_f64_e32 v[4:5], v[91:92], v[4:5]
	s_wait_loadcnt_dscnt 0x800
	v_mul_f64_e32 v[107:108], v[99:100], v[8:9]
	v_mul_f64_e32 v[109:110], v[101:102], v[8:9]
	s_delay_alu instid0(VALU_DEP_4) | instskip(NEXT) | instid1(VALU_DEP_4)
	v_fma_f64 v[91:92], v[91:92], v[2:3], -v[10:11]
	v_fma_f64 v[93:94], v[93:94], v[2:3], v[4:5]
	ds_load_b128 v[2:5], v1 offset:480
	scratch_load_b128 v[8:11], off, off offset:192
	v_fma_f64 v[107:108], v[101:102], v[6:7], v[107:108]
	v_fma_f64 v[6:7], v[99:100], v[6:7], -v[109:110]
	scratch_load_b128 v[99:102], off, off offset:208
	v_add_f64_e32 v[109:110], 0, v[91:92]
	v_add_f64_e32 v[113:114], 0, v[93:94]
	ds_load_b128 v[91:94], v1 offset:496
	s_wait_loadcnt_dscnt 0x901
	v_mul_f64_e32 v[111:112], v[2:3], v[69:70]
	v_mul_f64_e32 v[69:70], v[4:5], v[69:70]
	s_wait_loadcnt_dscnt 0x800
	v_mul_f64_e32 v[115:116], v[91:92], v[73:74]
	v_mul_f64_e32 v[73:74], v[93:94], v[73:74]
	v_add_f64_e32 v[6:7], v[109:110], v[6:7]
	v_add_f64_e32 v[107:108], v[113:114], v[107:108]
	v_fma_f64 v[111:112], v[4:5], v[67:68], v[111:112]
	v_fma_f64 v[117:118], v[2:3], v[67:68], -v[69:70]
	ds_load_b128 v[2:5], v1 offset:512
	scratch_load_b128 v[67:70], off, off offset:224
	v_fma_f64 v[113:114], v[93:94], v[71:72], v[115:116]
	v_fma_f64 v[115:116], v[91:92], v[71:72], -v[73:74]
	ds_load_b128 v[71:74], v1 offset:528
	s_wait_loadcnt_dscnt 0x801
	v_mul_f64_e32 v[109:110], v[2:3], v[77:78]
	v_mul_f64_e32 v[77:78], v[4:5], v[77:78]
	scratch_load_b128 v[91:94], off, off offset:240
	v_add_f64_e32 v[107:108], v[107:108], v[111:112]
	v_add_f64_e32 v[6:7], v[6:7], v[117:118]
	s_wait_loadcnt_dscnt 0x800
	v_mul_f64_e32 v[111:112], v[71:72], v[81:82]
	v_mul_f64_e32 v[81:82], v[73:74], v[81:82]
	v_fma_f64 v[109:110], v[4:5], v[75:76], v[109:110]
	v_fma_f64 v[117:118], v[2:3], v[75:76], -v[77:78]
	ds_load_b128 v[2:5], v1 offset:544
	scratch_load_b128 v[75:78], off, off offset:256
	v_add_f64_e32 v[107:108], v[107:108], v[113:114]
	v_add_f64_e32 v[6:7], v[6:7], v[115:116]
	v_fma_f64 v[111:112], v[73:74], v[79:80], v[111:112]
	v_fma_f64 v[115:116], v[71:72], v[79:80], -v[81:82]
	ds_load_b128 v[71:74], v1 offset:560
	s_wait_loadcnt_dscnt 0x801
	v_mul_f64_e32 v[113:114], v[2:3], v[85:86]
	v_mul_f64_e32 v[85:86], v[4:5], v[85:86]
	scratch_load_b128 v[79:82], off, off offset:272
	v_add_f64_e32 v[107:108], v[107:108], v[109:110]
	v_add_f64_e32 v[6:7], v[6:7], v[117:118]
	s_wait_loadcnt_dscnt 0x800
	v_mul_f64_e32 v[109:110], v[71:72], v[89:90]
	v_mul_f64_e32 v[89:90], v[73:74], v[89:90]
	v_fma_f64 v[113:114], v[4:5], v[83:84], v[113:114]
	v_fma_f64 v[117:118], v[2:3], v[83:84], -v[85:86]
	ds_load_b128 v[2:5], v1 offset:576
	scratch_load_b128 v[83:86], off, off offset:288
	v_add_f64_e32 v[107:108], v[107:108], v[111:112]
	v_add_f64_e32 v[6:7], v[6:7], v[115:116]
	;; [unrolled: 18-line block ×3, first 2 shown]
	v_fma_f64 v[113:114], v[73:74], v[103:104], v[113:114]
	v_fma_f64 v[115:116], v[71:72], v[103:104], -v[105:106]
	ds_load_b128 v[71:74], v1 offset:624
	scratch_load_b128 v[103:106], off, off offset:336
	s_wait_loadcnt_dscnt 0x901
	v_mul_f64_e32 v[109:110], v[2:3], v[10:11]
	v_mul_f64_e32 v[10:11], v[4:5], v[10:11]
	v_add_f64_e32 v[107:108], v[107:108], v[111:112]
	v_add_f64_e32 v[6:7], v[6:7], v[117:118]
	s_wait_loadcnt_dscnt 0x800
	v_mul_f64_e32 v[111:112], v[71:72], v[101:102]
	v_mul_f64_e32 v[101:102], v[73:74], v[101:102]
	v_fma_f64 v[109:110], v[4:5], v[8:9], v[109:110]
	v_fma_f64 v[10:11], v[2:3], v[8:9], -v[10:11]
	ds_load_b128 v[2:5], v1 offset:640
	v_add_f64_e32 v[107:108], v[107:108], v[113:114]
	v_add_f64_e32 v[115:116], v[6:7], v[115:116]
	v_fma_f64 v[73:74], v[73:74], v[99:100], v[111:112]
	v_fma_f64 v[111:112], v[71:72], v[99:100], -v[101:102]
	s_clause 0x1
	scratch_load_b128 v[6:9], off, off offset:352
	scratch_load_b128 v[99:102], off, off offset:368
	s_wait_loadcnt_dscnt 0x900
	v_mul_f64_e32 v[113:114], v[2:3], v[69:70]
	v_mul_f64_e32 v[117:118], v[4:5], v[69:70]
	ds_load_b128 v[69:72], v1 offset:656
	v_add_f64_e32 v[107:108], v[107:108], v[109:110]
	v_add_f64_e32 v[10:11], v[115:116], v[10:11]
	v_fma_f64 v[113:114], v[4:5], v[67:68], v[113:114]
	v_fma_f64 v[67:68], v[2:3], v[67:68], -v[117:118]
	ds_load_b128 v[2:5], v1 offset:672
	s_wait_loadcnt_dscnt 0x801
	v_mul_f64_e32 v[115:116], v[69:70], v[93:94]
	v_mul_f64_e32 v[93:94], v[71:72], v[93:94]
	v_add_f64_e32 v[73:74], v[107:108], v[73:74]
	v_add_f64_e32 v[10:11], v[10:11], v[111:112]
	scratch_load_b128 v[107:110], off, off offset:384
	s_wait_loadcnt_dscnt 0x800
	v_mul_f64_e32 v[111:112], v[2:3], v[77:78]
	v_mul_f64_e32 v[77:78], v[4:5], v[77:78]
	v_fma_f64 v[115:116], v[71:72], v[91:92], v[115:116]
	v_fma_f64 v[91:92], v[69:70], v[91:92], -v[93:94]
	v_add_f64_e32 v[93:94], v[73:74], v[113:114]
	v_add_f64_e32 v[10:11], v[10:11], v[67:68]
	ds_load_b128 v[67:70], v1 offset:688
	v_fma_f64 v[111:112], v[4:5], v[75:76], v[111:112]
	v_fma_f64 v[117:118], v[2:3], v[75:76], -v[77:78]
	ds_load_b128 v[2:5], v1 offset:704
	s_clause 0x1
	scratch_load_b128 v[71:74], off, off offset:400
	scratch_load_b128 v[75:78], off, off offset:416
	s_wait_loadcnt_dscnt 0x901
	v_mul_f64_e32 v[113:114], v[67:68], v[81:82]
	v_mul_f64_e32 v[81:82], v[69:70], v[81:82]
	v_add_f64_e32 v[10:11], v[10:11], v[91:92]
	v_add_f64_e32 v[91:92], v[93:94], v[115:116]
	s_wait_loadcnt_dscnt 0x800
	v_mul_f64_e32 v[93:94], v[2:3], v[85:86]
	v_mul_f64_e32 v[85:86], v[4:5], v[85:86]
	v_fma_f64 v[113:114], v[69:70], v[79:80], v[113:114]
	v_fma_f64 v[115:116], v[67:68], v[79:80], -v[81:82]
	ds_load_b128 v[67:70], v1 offset:720
	scratch_load_b128 v[79:82], off, off offset:432
	v_add_f64_e32 v[10:11], v[10:11], v[117:118]
	v_add_f64_e32 v[91:92], v[91:92], v[111:112]
	v_fma_f64 v[93:94], v[4:5], v[83:84], v[93:94]
	v_fma_f64 v[83:84], v[2:3], v[83:84], -v[85:86]
	ds_load_b128 v[2:5], v1 offset:736
	s_wait_loadcnt_dscnt 0x801
	v_mul_f64_e32 v[111:112], v[67:68], v[89:90]
	v_mul_f64_e32 v[89:90], v[69:70], v[89:90]
	v_add_f64_e32 v[10:11], v[10:11], v[115:116]
	v_add_f64_e32 v[85:86], v[91:92], v[113:114]
	s_delay_alu instid0(VALU_DEP_4) | instskip(NEXT) | instid1(VALU_DEP_4)
	v_fma_f64 v[111:112], v[69:70], v[87:88], v[111:112]
	v_fma_f64 v[87:88], v[67:68], v[87:88], -v[89:90]
	ds_load_b128 v[67:70], v1 offset:752
	v_add_f64_e32 v[10:11], v[10:11], v[83:84]
	v_add_f64_e32 v[83:84], v[85:86], v[93:94]
	s_delay_alu instid0(VALU_DEP_2) | instskip(NEXT) | instid1(VALU_DEP_2)
	v_add_f64_e32 v[10:11], v[10:11], v[87:88]
	v_add_f64_e32 v[87:88], v[83:84], v[111:112]
	scratch_load_b128 v[83:86], off, off offset:16
	s_wait_loadcnt_dscnt 0x801
	v_mul_f64_e32 v[91:92], v[2:3], v[97:98]
	v_mul_f64_e32 v[97:98], v[4:5], v[97:98]
	s_delay_alu instid0(VALU_DEP_2) | instskip(NEXT) | instid1(VALU_DEP_2)
	v_fma_f64 v[91:92], v[4:5], v[95:96], v[91:92]
	v_fma_f64 v[95:96], v[2:3], v[95:96], -v[97:98]
	ds_load_b128 v[2:5], v1 offset:768
	s_wait_loadcnt_dscnt 0x701
	v_mul_f64_e32 v[89:90], v[67:68], v[105:106]
	v_mul_f64_e32 v[93:94], v[69:70], v[105:106]
	s_wait_loadcnt_dscnt 0x600
	v_mul_f64_e32 v[97:98], v[2:3], v[8:9]
	v_mul_f64_e32 v[105:106], v[4:5], v[8:9]
	v_add_f64_e32 v[87:88], v[87:88], v[91:92]
	v_fma_f64 v[69:70], v[69:70], v[103:104], v[89:90]
	v_fma_f64 v[67:68], v[67:68], v[103:104], -v[93:94]
	v_add_f64_e32 v[89:90], v[10:11], v[95:96]
	ds_load_b128 v[8:11], v1 offset:784
	v_fma_f64 v[95:96], v[4:5], v[6:7], v[97:98]
	v_fma_f64 v[6:7], v[2:3], v[6:7], -v[105:106]
	ds_load_b128 v[2:5], v1 offset:800
	s_wait_loadcnt_dscnt 0x501
	v_mul_f64_e32 v[91:92], v[8:9], v[101:102]
	v_mul_f64_e32 v[93:94], v[10:11], v[101:102]
	v_add_f64_e32 v[69:70], v[87:88], v[69:70]
	v_add_f64_e32 v[67:68], v[89:90], v[67:68]
	s_wait_loadcnt_dscnt 0x400
	v_mul_f64_e32 v[87:88], v[2:3], v[109:110]
	v_mul_f64_e32 v[89:90], v[4:5], v[109:110]
	v_fma_f64 v[10:11], v[10:11], v[99:100], v[91:92]
	v_fma_f64 v[91:92], v[8:9], v[99:100], -v[93:94]
	v_add_f64_e32 v[69:70], v[69:70], v[95:96]
	v_add_f64_e32 v[67:68], v[67:68], v[6:7]
	ds_load_b128 v[6:9], v1 offset:816
	v_fma_f64 v[87:88], v[4:5], v[107:108], v[87:88]
	v_fma_f64 v[89:90], v[2:3], v[107:108], -v[89:90]
	ds_load_b128 v[2:5], v1 offset:832
	s_wait_loadcnt_dscnt 0x301
	v_mul_f64_e32 v[93:94], v[6:7], v[73:74]
	v_mul_f64_e32 v[73:74], v[8:9], v[73:74]
	v_add_f64_e32 v[10:11], v[69:70], v[10:11]
	s_wait_loadcnt_dscnt 0x200
	v_mul_f64_e32 v[69:70], v[2:3], v[77:78]
	v_add_f64_e32 v[67:68], v[67:68], v[91:92]
	v_mul_f64_e32 v[77:78], v[4:5], v[77:78]
	v_fma_f64 v[91:92], v[8:9], v[71:72], v[93:94]
	v_fma_f64 v[71:72], v[6:7], v[71:72], -v[73:74]
	ds_load_b128 v[6:9], v1 offset:848
	v_add_f64_e32 v[10:11], v[10:11], v[87:88]
	v_fma_f64 v[4:5], v[4:5], v[75:76], v[69:70]
	v_add_f64_e32 v[67:68], v[67:68], v[89:90]
	v_fma_f64 v[2:3], v[2:3], v[75:76], -v[77:78]
	s_wait_loadcnt_dscnt 0x100
	v_mul_f64_e32 v[0:1], v[6:7], v[81:82]
	v_mul_f64_e32 v[73:74], v[8:9], v[81:82]
	v_add_f64_e32 v[10:11], v[10:11], v[91:92]
	v_add_f64_e32 v[67:68], v[67:68], v[71:72]
	s_delay_alu instid0(VALU_DEP_4) | instskip(NEXT) | instid1(VALU_DEP_4)
	v_fma_f64 v[0:1], v[8:9], v[79:80], v[0:1]
	v_fma_f64 v[6:7], v[6:7], v[79:80], -v[73:74]
	s_delay_alu instid0(VALU_DEP_4) | instskip(NEXT) | instid1(VALU_DEP_4)
	v_add_f64_e32 v[4:5], v[10:11], v[4:5]
	v_add_f64_e32 v[2:3], v[67:68], v[2:3]
	s_delay_alu instid0(VALU_DEP_2) | instskip(NEXT) | instid1(VALU_DEP_2)
	v_add_f64_e32 v[4:5], v[4:5], v[0:1]
	v_add_f64_e32 v[2:3], v[2:3], v[6:7]
	s_wait_loadcnt 0x0
	s_delay_alu instid0(VALU_DEP_1) | instskip(NEXT) | instid1(VALU_DEP_3)
	v_add_f64_e64 v[0:1], v[83:84], -v[2:3]
	v_add_f64_e64 v[2:3], v[85:86], -v[4:5]
	scratch_store_b128 off, v[0:3], off offset:16
	s_wait_alu 0xfffe
	s_cbranch_vccz .LBB26_228
; %bb.176:
	v_mov_b32_e32 v0, 0
	global_load_b32 v1, v0, s[2:3] offset:100
	s_wait_loadcnt 0x0
	v_cmp_ne_u32_e32 vcc_lo, 26, v1
	s_cbranch_vccz .LBB26_178
; %bb.177:
	v_lshlrev_b32_e32 v1, 4, v1
	s_delay_alu instid0(VALU_DEP_1)
	v_add_nc_u32_e32 v9, 16, v1
	s_clause 0x1
	scratch_load_b128 v[1:4], v9, off offset:-16
	scratch_load_b128 v[5:8], off, s10
	s_wait_loadcnt 0x1
	scratch_store_b128 off, v[1:4], s10
	s_wait_loadcnt 0x0
	scratch_store_b128 v9, v[5:8], off offset:-16
.LBB26_178:
	global_load_b32 v0, v0, s[2:3] offset:96
	s_wait_loadcnt 0x0
	v_cmp_eq_u32_e32 vcc_lo, 25, v0
	s_cbranch_vccnz .LBB26_180
; %bb.179:
	v_lshlrev_b32_e32 v0, 4, v0
	s_delay_alu instid0(VALU_DEP_1)
	v_add_nc_u32_e32 v8, 16, v0
	s_clause 0x1
	scratch_load_b128 v[0:3], v8, off offset:-16
	scratch_load_b128 v[4:7], off, s13
	s_wait_loadcnt 0x1
	scratch_store_b128 off, v[0:3], s13
	s_wait_loadcnt 0x0
	scratch_store_b128 v8, v[4:7], off offset:-16
.LBB26_180:
	v_mov_b32_e32 v0, 0
	global_load_b32 v1, v0, s[2:3] offset:92
	s_wait_loadcnt 0x0
	v_cmp_eq_u32_e32 vcc_lo, 24, v1
	s_cbranch_vccnz .LBB26_182
; %bb.181:
	v_lshlrev_b32_e32 v1, 4, v1
	s_delay_alu instid0(VALU_DEP_1)
	v_add_nc_u32_e32 v9, 16, v1
	s_clause 0x1
	scratch_load_b128 v[1:4], v9, off offset:-16
	scratch_load_b128 v[5:8], off, s8
	s_wait_loadcnt 0x1
	scratch_store_b128 off, v[1:4], s8
	s_wait_loadcnt 0x0
	scratch_store_b128 v9, v[5:8], off offset:-16
.LBB26_182:
	global_load_b32 v0, v0, s[2:3] offset:88
	s_wait_loadcnt 0x0
	v_cmp_eq_u32_e32 vcc_lo, 23, v0
	s_cbranch_vccnz .LBB26_184
; %bb.183:
	v_lshlrev_b32_e32 v0, 4, v0
	s_delay_alu instid0(VALU_DEP_1)
	v_add_nc_u32_e32 v8, 16, v0
	s_clause 0x1
	scratch_load_b128 v[0:3], v8, off offset:-16
	scratch_load_b128 v[4:7], off, s11
	s_wait_loadcnt 0x1
	scratch_store_b128 off, v[0:3], s11
	s_wait_loadcnt 0x0
	scratch_store_b128 v8, v[4:7], off offset:-16
.LBB26_184:
	v_mov_b32_e32 v0, 0
	global_load_b32 v1, v0, s[2:3] offset:84
	s_wait_loadcnt 0x0
	v_cmp_eq_u32_e32 vcc_lo, 22, v1
	s_cbranch_vccnz .LBB26_186
; %bb.185:
	v_lshlrev_b32_e32 v1, 4, v1
	s_delay_alu instid0(VALU_DEP_1)
	v_add_nc_u32_e32 v9, 16, v1
	s_clause 0x1
	scratch_load_b128 v[1:4], v9, off offset:-16
	scratch_load_b128 v[5:8], off, s5
	s_wait_loadcnt 0x1
	scratch_store_b128 off, v[1:4], s5
	s_wait_loadcnt 0x0
	scratch_store_b128 v9, v[5:8], off offset:-16
.LBB26_186:
	;; [unrolled: 33-line block ×12, first 2 shown]
	global_load_b32 v0, v0, s[2:3]
	s_wait_loadcnt 0x0
	v_cmp_eq_u32_e32 vcc_lo, 1, v0
	s_cbranch_vccnz .LBB26_228
; %bb.227:
	v_lshlrev_b32_e32 v0, 4, v0
	s_delay_alu instid0(VALU_DEP_1)
	v_add_nc_u32_e32 v8, 16, v0
	scratch_load_b128 v[0:3], v8, off offset:-16
	scratch_load_b128 v[4:7], off, off offset:16
	s_wait_loadcnt 0x1
	scratch_store_b128 off, v[0:3], off offset:16
	s_wait_loadcnt 0x0
	scratch_store_b128 v8, v[4:7], off offset:-16
.LBB26_228:
	scratch_load_b128 v[0:3], off, off offset:16
	s_clause 0xd
	scratch_load_b128 v[4:7], off, s28
	scratch_load_b128 v[8:11], off, s26
	;; [unrolled: 1-line block ×14, first 2 shown]
	s_wait_loadcnt 0xe
	global_store_b128 v[13:14], v[0:3], off
	s_clause 0x1
	scratch_load_b128 v[0:3], off, s19
	scratch_load_b128 v[115:118], off, s20
	s_wait_loadcnt 0xf
	global_store_b128 v[15:16], v[4:7], off
	s_wait_loadcnt 0xe
	global_store_b128 v[17:18], v[8:11], off
	s_clause 0x1
	scratch_load_b128 v[4:7], off, s15
	scratch_load_b128 v[8:11], off, s12
	s_wait_loadcnt 0xf
	global_store_b128 v[21:22], v[67:70], off
	s_clause 0x1
	scratch_load_b128 v[12:15], off, s4
	scratch_load_b128 v[67:70], off, s9
	;; [unrolled: 5-line block ×3, first 2 shown]
	s_wait_loadcnt 0x11
	global_store_b128 v[23:24], v[75:78], off
	s_wait_loadcnt 0x10
	global_store_b128 v[25:26], v[79:82], off
	s_clause 0x1
	scratch_load_b128 v[20:23], off, s8
	scratch_load_b128 v[75:78], off, s13
	s_wait_loadcnt 0x11
	global_store_b128 v[27:28], v[83:86], off
	s_clause 0x1
	scratch_load_b128 v[24:27], off, s10
	scratch_load_b128 v[79:82], off, s14
	s_wait_loadcnt 0x12
	global_store_b128 v[29:30], v[87:90], off
	s_wait_loadcnt 0x11
	global_store_b128 v[31:32], v[91:94], off
	;; [unrolled: 2-line block ×19, first 2 shown]
	s_nop 0
	s_sendmsg sendmsg(MSG_DEALLOC_VGPRS)
	s_endpgm
	.section	.rodata,"a",@progbits
	.p2align	6, 0x0
	.amdhsa_kernel _ZN9rocsolver6v33100L18getri_kernel_smallILi27E19rocblas_complex_numIdEPS3_EEvT1_iilPiilS6_bb
		.amdhsa_group_segment_fixed_size 872
		.amdhsa_private_segment_fixed_size 464
		.amdhsa_kernarg_size 60
		.amdhsa_user_sgpr_count 2
		.amdhsa_user_sgpr_dispatch_ptr 0
		.amdhsa_user_sgpr_queue_ptr 0
		.amdhsa_user_sgpr_kernarg_segment_ptr 1
		.amdhsa_user_sgpr_dispatch_id 0
		.amdhsa_user_sgpr_private_segment_size 0
		.amdhsa_wavefront_size32 1
		.amdhsa_uses_dynamic_stack 0
		.amdhsa_enable_private_segment 1
		.amdhsa_system_sgpr_workgroup_id_x 1
		.amdhsa_system_sgpr_workgroup_id_y 0
		.amdhsa_system_sgpr_workgroup_id_z 0
		.amdhsa_system_sgpr_workgroup_info 0
		.amdhsa_system_vgpr_workitem_id 0
		.amdhsa_next_free_vgpr 121
		.amdhsa_next_free_sgpr 39
		.amdhsa_reserve_vcc 1
		.amdhsa_float_round_mode_32 0
		.amdhsa_float_round_mode_16_64 0
		.amdhsa_float_denorm_mode_32 3
		.amdhsa_float_denorm_mode_16_64 3
		.amdhsa_fp16_overflow 0
		.amdhsa_workgroup_processor_mode 1
		.amdhsa_memory_ordered 1
		.amdhsa_forward_progress 1
		.amdhsa_inst_pref_size 255
		.amdhsa_round_robin_scheduling 0
		.amdhsa_exception_fp_ieee_invalid_op 0
		.amdhsa_exception_fp_denorm_src 0
		.amdhsa_exception_fp_ieee_div_zero 0
		.amdhsa_exception_fp_ieee_overflow 0
		.amdhsa_exception_fp_ieee_underflow 0
		.amdhsa_exception_fp_ieee_inexact 0
		.amdhsa_exception_int_div_zero 0
	.end_amdhsa_kernel
	.section	.text._ZN9rocsolver6v33100L18getri_kernel_smallILi27E19rocblas_complex_numIdEPS3_EEvT1_iilPiilS6_bb,"axG",@progbits,_ZN9rocsolver6v33100L18getri_kernel_smallILi27E19rocblas_complex_numIdEPS3_EEvT1_iilPiilS6_bb,comdat
.Lfunc_end26:
	.size	_ZN9rocsolver6v33100L18getri_kernel_smallILi27E19rocblas_complex_numIdEPS3_EEvT1_iilPiilS6_bb, .Lfunc_end26-_ZN9rocsolver6v33100L18getri_kernel_smallILi27E19rocblas_complex_numIdEPS3_EEvT1_iilPiilS6_bb
                                        ; -- End function
	.set _ZN9rocsolver6v33100L18getri_kernel_smallILi27E19rocblas_complex_numIdEPS3_EEvT1_iilPiilS6_bb.num_vgpr, 121
	.set _ZN9rocsolver6v33100L18getri_kernel_smallILi27E19rocblas_complex_numIdEPS3_EEvT1_iilPiilS6_bb.num_agpr, 0
	.set _ZN9rocsolver6v33100L18getri_kernel_smallILi27E19rocblas_complex_numIdEPS3_EEvT1_iilPiilS6_bb.numbered_sgpr, 39
	.set _ZN9rocsolver6v33100L18getri_kernel_smallILi27E19rocblas_complex_numIdEPS3_EEvT1_iilPiilS6_bb.num_named_barrier, 0
	.set _ZN9rocsolver6v33100L18getri_kernel_smallILi27E19rocblas_complex_numIdEPS3_EEvT1_iilPiilS6_bb.private_seg_size, 464
	.set _ZN9rocsolver6v33100L18getri_kernel_smallILi27E19rocblas_complex_numIdEPS3_EEvT1_iilPiilS6_bb.uses_vcc, 1
	.set _ZN9rocsolver6v33100L18getri_kernel_smallILi27E19rocblas_complex_numIdEPS3_EEvT1_iilPiilS6_bb.uses_flat_scratch, 1
	.set _ZN9rocsolver6v33100L18getri_kernel_smallILi27E19rocblas_complex_numIdEPS3_EEvT1_iilPiilS6_bb.has_dyn_sized_stack, 0
	.set _ZN9rocsolver6v33100L18getri_kernel_smallILi27E19rocblas_complex_numIdEPS3_EEvT1_iilPiilS6_bb.has_recursion, 0
	.set _ZN9rocsolver6v33100L18getri_kernel_smallILi27E19rocblas_complex_numIdEPS3_EEvT1_iilPiilS6_bb.has_indirect_call, 0
	.section	.AMDGPU.csdata,"",@progbits
; Kernel info:
; codeLenInByte = 38096
; TotalNumSgprs: 41
; NumVgprs: 121
; ScratchSize: 464
; MemoryBound: 0
; FloatMode: 240
; IeeeMode: 1
; LDSByteSize: 872 bytes/workgroup (compile time only)
; SGPRBlocks: 0
; VGPRBlocks: 15
; NumSGPRsForWavesPerEU: 41
; NumVGPRsForWavesPerEU: 121
; Occupancy: 10
; WaveLimiterHint : 1
; COMPUTE_PGM_RSRC2:SCRATCH_EN: 1
; COMPUTE_PGM_RSRC2:USER_SGPR: 2
; COMPUTE_PGM_RSRC2:TRAP_HANDLER: 0
; COMPUTE_PGM_RSRC2:TGID_X_EN: 1
; COMPUTE_PGM_RSRC2:TGID_Y_EN: 0
; COMPUTE_PGM_RSRC2:TGID_Z_EN: 0
; COMPUTE_PGM_RSRC2:TIDIG_COMP_CNT: 0
	.section	.text._ZN9rocsolver6v33100L18getri_kernel_smallILi28E19rocblas_complex_numIdEPS3_EEvT1_iilPiilS6_bb,"axG",@progbits,_ZN9rocsolver6v33100L18getri_kernel_smallILi28E19rocblas_complex_numIdEPS3_EEvT1_iilPiilS6_bb,comdat
	.globl	_ZN9rocsolver6v33100L18getri_kernel_smallILi28E19rocblas_complex_numIdEPS3_EEvT1_iilPiilS6_bb ; -- Begin function _ZN9rocsolver6v33100L18getri_kernel_smallILi28E19rocblas_complex_numIdEPS3_EEvT1_iilPiilS6_bb
	.p2align	8
	.type	_ZN9rocsolver6v33100L18getri_kernel_smallILi28E19rocblas_complex_numIdEPS3_EEvT1_iilPiilS6_bb,@function
_ZN9rocsolver6v33100L18getri_kernel_smallILi28E19rocblas_complex_numIdEPS3_EEvT1_iilPiilS6_bb: ; @_ZN9rocsolver6v33100L18getri_kernel_smallILi28E19rocblas_complex_numIdEPS3_EEvT1_iilPiilS6_bb
; %bb.0:
	s_mov_b32 s2, exec_lo
	v_cmpx_gt_u32_e32 28, v0
	s_cbranch_execz .LBB27_126
; %bb.1:
	s_clause 0x2
	s_load_b32 s2, s[0:1], 0x38
	s_load_b128 s[12:15], s[0:1], 0x10
	s_load_b128 s[4:7], s[0:1], 0x28
	s_mov_b32 s16, ttmp9
	s_wait_kmcnt 0x0
	s_bitcmp1_b32 s2, 8
	s_cselect_b32 s18, -1, 0
	s_bfe_u32 s2, s2, 0x10008
	s_ashr_i32 s17, ttmp9, 31
	s_cmp_eq_u32 s2, 0
                                        ; implicit-def: $sgpr2_sgpr3
	s_cbranch_scc1 .LBB27_3
; %bb.2:
	s_load_b32 s2, s[0:1], 0x20
	s_mul_u64 s[4:5], s[4:5], s[16:17]
	s_delay_alu instid0(SALU_CYCLE_1) | instskip(NEXT) | instid1(SALU_CYCLE_1)
	s_lshl_b64 s[4:5], s[4:5], 2
	s_add_nc_u64 s[4:5], s[14:15], s[4:5]
	s_wait_kmcnt 0x0
	s_ashr_i32 s3, s2, 31
	s_delay_alu instid0(SALU_CYCLE_1) | instskip(NEXT) | instid1(SALU_CYCLE_1)
	s_lshl_b64 s[2:3], s[2:3], 2
	s_add_nc_u64 s[2:3], s[4:5], s[2:3]
.LBB27_3:
	s_clause 0x1
	s_load_b128 s[8:11], s[0:1], 0x0
	s_load_b32 s37, s[0:1], 0x38
	s_mul_u64 s[0:1], s[12:13], s[16:17]
	v_lshlrev_b32_e32 v69, 4, v0
	s_lshl_b64 s[0:1], s[0:1], 4
	s_movk_i32 s12, 0xc0
	s_mov_b32 s21, 32
	s_add_co_i32 s31, s12, 16
	s_mov_b32 s19, 48
	s_mov_b32 s13, 64
	s_wait_kmcnt 0x0
	v_add3_u32 v5, s11, s11, v0
	s_ashr_i32 s5, s10, 31
	s_mov_b32 s4, s10
	s_add_nc_u64 s[0:1], s[8:9], s[0:1]
	s_lshl_b64 s[4:5], s[4:5], 4
	v_add_nc_u32_e32 v7, s11, v5
	v_ashrrev_i32_e32 v6, 31, v5
	s_add_nc_u64 s[0:1], s[0:1], s[4:5]
	s_ashr_i32 s9, s11, 31
	v_add_co_u32 v13, s4, s0, v69
	v_add_nc_u32_e32 v9, s11, v7
	v_ashrrev_i32_e32 v8, 31, v7
	s_mov_b32 s8, s11
	v_lshlrev_b64_e32 v[5:6], 4, v[5:6]
	v_add_co_ci_u32_e64 v14, null, s1, 0, s4
	v_add_nc_u32_e32 v23, s11, v9
	v_ashrrev_i32_e32 v10, 31, v9
	s_lshl_b64 s[8:9], s[8:9], 4
	v_lshlrev_b64_e32 v[19:20], 4, v[7:8]
	v_add_co_u32 v15, vcc_lo, v13, s8
	v_add_nc_u32_e32 v27, s11, v23
	v_lshlrev_b64_e32 v[25:26], 4, v[9:10]
	v_add_co_ci_u32_e64 v16, null, s9, v14, vcc_lo
	v_add_co_u32 v17, vcc_lo, s0, v5
	s_delay_alu instid0(VALU_DEP_4)
	v_add_nc_u32_e32 v29, s11, v27
	s_wait_alu 0xfffd
	v_add_co_ci_u32_e64 v18, null, s1, v6, vcc_lo
	v_ashrrev_i32_e32 v24, 31, v23
	v_add_co_u32 v21, vcc_lo, s0, v19
	s_wait_alu 0xfffd
	v_add_co_ci_u32_e64 v22, null, s1, v20, vcc_lo
	v_add_co_u32 v19, vcc_lo, s0, v25
	v_ashrrev_i32_e32 v28, 31, v27
	s_wait_alu 0xfffd
	v_add_co_ci_u32_e64 v20, null, s1, v26, vcc_lo
	v_ashrrev_i32_e32 v30, 31, v29
	v_lshlrev_b64_e32 v[23:24], 4, v[23:24]
	global_load_b128 v[1:4], v69, s[0:1]
	v_lshlrev_b64_e32 v[25:26], 4, v[27:28]
	s_clause 0x3
	global_load_b128 v[5:8], v[15:16], off
	global_load_b128 v[9:12], v[17:18], off
	;; [unrolled: 1-line block ×4, first 2 shown]
	v_lshlrev_b64_e32 v[27:28], 4, v[29:30]
	v_add_co_u32 v23, vcc_lo, s0, v23
	s_wait_alu 0xfffd
	v_add_co_ci_u32_e64 v24, null, s1, v24, vcc_lo
	v_add_co_u32 v25, vcc_lo, s0, v25
	s_wait_alu 0xfffd
	v_add_co_ci_u32_e64 v26, null, s1, v26, vcc_lo
	;; [unrolled: 3-line block ×3, first 2 shown]
	s_clause 0x2
	global_load_b128 v[74:77], v[23:24], off
	global_load_b128 v[78:81], v[25:26], off
	;; [unrolled: 1-line block ×3, first 2 shown]
	v_add_nc_u32_e32 v29, s11, v29
	s_movk_i32 s4, 0x70
	s_movk_i32 s5, 0x80
	;; [unrolled: 1-line block ×3, first 2 shown]
	s_wait_alu 0xfffe
	s_add_co_i32 s25, s4, 16
	v_add_nc_u32_e32 v31, s11, v29
	v_ashrrev_i32_e32 v30, 31, v29
	s_movk_i32 s9, 0xa0
	s_movk_i32 s10, 0xb0
	s_add_co_i32 s23, s5, 16
	v_add_nc_u32_e32 v33, s11, v31
	v_ashrrev_i32_e32 v32, 31, v31
	v_lshlrev_b64_e32 v[29:30], 4, v[29:30]
	s_add_co_i32 s22, s8, 16
	s_wait_alu 0xfffe
	s_add_co_i32 s20, s9, 16
	v_add_nc_u32_e32 v35, s11, v33
	v_ashrrev_i32_e32 v34, 31, v33
	v_lshlrev_b64_e32 v[31:32], 4, v[31:32]
	v_add_co_u32 v29, vcc_lo, s0, v29
	s_delay_alu instid0(VALU_DEP_4)
	v_add_nc_u32_e32 v37, s11, v35
	v_ashrrev_i32_e32 v36, 31, v35
	v_lshlrev_b64_e32 v[33:34], 4, v[33:34]
	s_wait_alu 0xfffd
	v_add_co_ci_u32_e64 v30, null, s1, v30, vcc_lo
	v_add_nc_u32_e32 v39, s11, v37
	v_ashrrev_i32_e32 v38, 31, v37
	v_lshlrev_b64_e32 v[35:36], 4, v[35:36]
	v_add_co_u32 v31, vcc_lo, s0, v31
	s_delay_alu instid0(VALU_DEP_4)
	v_add_nc_u32_e32 v41, s11, v39
	v_ashrrev_i32_e32 v40, 31, v39
	v_lshlrev_b64_e32 v[37:38], 4, v[37:38]
	s_wait_alu 0xfffd
	v_add_co_ci_u32_e64 v32, null, s1, v32, vcc_lo
	v_add_nc_u32_e32 v43, s11, v41
	v_ashrrev_i32_e32 v42, 31, v41
	v_add_co_u32 v33, vcc_lo, s0, v33
	v_lshlrev_b64_e32 v[39:40], 4, v[39:40]
	s_delay_alu instid0(VALU_DEP_4)
	v_add_nc_u32_e32 v45, s11, v43
	v_ashrrev_i32_e32 v44, 31, v43
	s_wait_alu 0xfffd
	v_add_co_ci_u32_e64 v34, null, s1, v34, vcc_lo
	v_add_co_u32 v35, vcc_lo, s0, v35
	v_add_nc_u32_e32 v47, s11, v45
	v_ashrrev_i32_e32 v46, 31, v45
	v_lshlrev_b64_e32 v[41:42], 4, v[41:42]
	s_wait_alu 0xfffd
	v_add_co_ci_u32_e64 v36, null, s1, v36, vcc_lo
	v_add_nc_u32_e32 v49, s11, v47
	v_ashrrev_i32_e32 v48, 31, v47
	v_add_co_u32 v37, vcc_lo, s0, v37
	v_lshlrev_b64_e32 v[43:44], 4, v[43:44]
	s_delay_alu instid0(VALU_DEP_4)
	v_add_nc_u32_e32 v51, s11, v49
	v_ashrrev_i32_e32 v50, 31, v49
	s_wait_alu 0xfffd
	v_add_co_ci_u32_e64 v38, null, s1, v38, vcc_lo
	v_add_co_u32 v39, vcc_lo, s0, v39
	v_add_nc_u32_e32 v53, s11, v51
	v_lshlrev_b64_e32 v[45:46], 4, v[45:46]
	v_ashrrev_i32_e32 v52, 31, v51
	s_wait_alu 0xfffd
	v_add_co_ci_u32_e64 v40, null, s1, v40, vcc_lo
	v_add_nc_u32_e32 v55, s11, v53
	v_add_co_u32 v41, vcc_lo, s0, v41
	v_lshlrev_b64_e32 v[47:48], 4, v[47:48]
	v_ashrrev_i32_e32 v54, 31, v53
	s_delay_alu instid0(VALU_DEP_4) | instskip(SKIP_3) | instid1(VALU_DEP_3)
	v_add_nc_u32_e32 v57, s11, v55
	s_wait_alu 0xfffd
	v_add_co_ci_u32_e64 v42, null, s1, v42, vcc_lo
	v_add_co_u32 v43, vcc_lo, s0, v43
	v_add_nc_u32_e32 v59, s11, v57
	v_lshlrev_b64_e32 v[49:50], 4, v[49:50]
	v_ashrrev_i32_e32 v56, 31, v55
	s_wait_alu 0xfffd
	v_add_co_ci_u32_e64 v44, null, s1, v44, vcc_lo
	v_add_nc_u32_e32 v61, s11, v59
	v_add_co_u32 v45, vcc_lo, s0, v45
	v_lshlrev_b64_e32 v[51:52], 4, v[51:52]
	v_ashrrev_i32_e32 v58, 31, v57
	s_delay_alu instid0(VALU_DEP_4)
	v_add_nc_u32_e32 v63, s11, v61
	s_wait_alu 0xfffd
	v_add_co_ci_u32_e64 v46, null, s1, v46, vcc_lo
	v_add_co_u32 v47, vcc_lo, s0, v47
	v_lshlrev_b64_e32 v[53:54], 4, v[53:54]
	v_add_nc_u32_e32 v138, s11, v63
	s_wait_alu 0xfffd
	v_add_co_ci_u32_e64 v48, null, s1, v48, vcc_lo
	v_add_co_u32 v49, vcc_lo, s0, v49
	v_lshlrev_b64_e32 v[55:56], 4, v[55:56]
	v_ashrrev_i32_e32 v60, 31, v59
	s_wait_alu 0xfffd
	v_add_co_ci_u32_e64 v50, null, s1, v50, vcc_lo
	v_add_co_u32 v51, vcc_lo, s0, v51
	v_lshlrev_b64_e32 v[57:58], 4, v[57:58]
	v_ashrrev_i32_e32 v62, 31, v61
	s_wait_alu 0xfffd
	v_add_co_ci_u32_e64 v52, null, s1, v52, vcc_lo
	v_add_co_u32 v53, vcc_lo, s0, v53
	v_add_nc_u32_e32 v140, s11, v138
	v_ashrrev_i32_e32 v64, 31, v63
	s_wait_alu 0xfffd
	v_add_co_ci_u32_e64 v54, null, s1, v54, vcc_lo
	v_add_co_u32 v55, vcc_lo, s0, v55
	v_lshlrev_b64_e32 v[59:60], 4, v[59:60]
	v_ashrrev_i32_e32 v139, 31, v138
	s_wait_alu 0xfffd
	v_add_co_ci_u32_e64 v56, null, s1, v56, vcc_lo
	v_add_co_u32 v57, vcc_lo, s0, v57
	v_lshlrev_b64_e32 v[61:62], 4, v[61:62]
	v_ashrrev_i32_e32 v141, 31, v140
	s_wait_alu 0xfffd
	v_add_co_ci_u32_e64 v58, null, s1, v58, vcc_lo
	v_lshlrev_b64_e32 v[63:64], 4, v[63:64]
	v_add_co_u32 v59, vcc_lo, s0, v59
	v_lshlrev_b64_e32 v[138:139], 4, v[138:139]
	s_clause 0xc
	global_load_b128 v[86:89], v[29:30], off
	global_load_b128 v[90:93], v[31:32], off
	;; [unrolled: 1-line block ×13, first 2 shown]
	s_wait_alu 0xfffd
	v_add_co_ci_u32_e64 v60, null, s1, v60, vcc_lo
	v_add_co_u32 v61, vcc_lo, s0, v61
	s_wait_alu 0xfffd
	v_add_co_ci_u32_e64 v62, null, s1, v62, vcc_lo
	v_add_co_u32 v63, vcc_lo, s0, v63
	s_wait_alu 0xfffd
	v_add_co_ci_u32_e64 v64, null, s1, v64, vcc_lo
	s_add_co_i32 s14, s10, 16
	s_movk_i32 s11, 0x50
	s_wait_loadcnt 0x14
	scratch_store_b128 off, v[1:4], off offset:16
	s_wait_loadcnt 0x13
	scratch_store_b128 off, v[5:8], off offset:32
	s_clause 0x1
	global_load_b128 v[1:4], v[55:56], off
	global_load_b128 v[5:8], v[57:58], off
	s_wait_loadcnt 0x14
	scratch_store_b128 off, v[9:12], off offset:48
	s_wait_loadcnt 0x13
	scratch_store_b128 off, v[65:68], off offset:64
	;; [unrolled: 2-line block ×3, first 2 shown]
	v_lshlrev_b64_e32 v[67:68], 4, v[140:141]
	v_add_co_u32 v65, vcc_lo, s0, v138
	s_wait_alu 0xfffd
	v_add_co_ci_u32_e64 v66, null, s1, v139, vcc_lo
	s_clause 0x1
	global_load_b128 v[9:12], v[59:60], off
	global_load_b128 v[70:73], v[61:62], off
	v_add_co_u32 v67, vcc_lo, s0, v67
	s_wait_alu 0xfffd
	v_add_co_ci_u32_e64 v68, null, s1, v68, vcc_lo
	s_movk_i32 s0, 0x50
	s_movk_i32 s1, 0x60
	s_wait_loadcnt 0x13
	scratch_store_b128 off, v[74:77], off offset:96
	s_wait_loadcnt 0x12
	scratch_store_b128 off, v[78:81], off offset:112
	s_clause 0x1
	global_load_b128 v[74:77], v[63:64], off
	global_load_b128 v[78:81], v[65:66], off
	s_wait_loadcnt 0x13
	scratch_store_b128 off, v[82:85], off offset:128
	global_load_b128 v[82:85], v[67:68], off
	s_wait_alu 0xfffe
	s_add_co_i32 s27, s0, 16
	s_movk_i32 s0, 0xd0
	s_add_co_i32 s26, s1, 16
	s_wait_alu 0xfffe
	s_add_co_i32 s28, s0, 16
	s_movk_i32 s0, 0xe0
	s_movk_i32 s1, 0xf0
	s_wait_alu 0xfffe
	s_add_co_i32 s33, s0, 16
	s_add_co_i32 s29, s1, 16
	s_movk_i32 s0, 0x100
	s_movk_i32 s1, 0x110
	s_wait_alu 0xfffe
	s_add_co_i32 s34, s0, 16
	;; [unrolled: 5-line block ×7, first 2 shown]
	s_add_co_i32 s36, s1, 16
	s_mov_b32 s1, -1
	s_bitcmp0_b32 s37, 0
	s_wait_loadcnt 0x13
	scratch_store_b128 off, v[86:89], off offset:144
	s_wait_loadcnt 0x12
	scratch_store_b128 off, v[90:93], off offset:160
	;; [unrolled: 2-line block ×20, first 2 shown]
	s_cbranch_scc1 .LBB27_124
; %bb.4:
	v_cmp_eq_u32_e64 s0, 0, v0
	s_and_saveexec_b32 s1, s0
; %bb.5:
	v_mov_b32_e32 v1, 0
	ds_store_b32 v1, v1 offset:896
; %bb.6:
	s_wait_alu 0xfffe
	s_or_b32 exec_lo, exec_lo, s1
	s_wait_storecnt_dscnt 0x0
	s_barrier_signal -1
	s_barrier_wait -1
	global_inv scope:SCOPE_SE
	scratch_load_b128 v[1:4], v69, off offset:16
	s_wait_loadcnt 0x0
	v_cmp_eq_f64_e32 vcc_lo, 0, v[1:2]
	v_cmp_eq_f64_e64 s1, 0, v[3:4]
	s_and_b32 s1, vcc_lo, s1
	s_wait_alu 0xfffe
	s_and_saveexec_b32 s37, s1
	s_cbranch_execz .LBB27_10
; %bb.7:
	v_mov_b32_e32 v1, 0
	s_mov_b32 s38, 0
	ds_load_b32 v2, v1 offset:896
	s_wait_dscnt 0x0
	v_readfirstlane_b32 s1, v2
	v_add_nc_u32_e32 v2, 1, v0
	s_cmp_eq_u32 s1, 0
	s_delay_alu instid0(VALU_DEP_1) | instskip(SKIP_1) | instid1(SALU_CYCLE_1)
	v_cmp_gt_i32_e32 vcc_lo, s1, v2
	s_cselect_b32 s39, -1, 0
	s_or_b32 s39, s39, vcc_lo
	s_delay_alu instid0(SALU_CYCLE_1)
	s_and_b32 exec_lo, exec_lo, s39
	s_cbranch_execz .LBB27_10
; %bb.8:
	v_mov_b32_e32 v3, s1
.LBB27_9:                               ; =>This Inner Loop Header: Depth=1
	ds_cmpstore_rtn_b32 v3, v1, v2, v3 offset:896
	s_wait_dscnt 0x0
	v_cmp_ne_u32_e32 vcc_lo, 0, v3
	v_cmp_le_i32_e64 s1, v3, v2
	s_and_b32 s1, vcc_lo, s1
	s_wait_alu 0xfffe
	s_and_b32 s1, exec_lo, s1
	s_wait_alu 0xfffe
	s_or_b32 s38, s1, s38
	s_delay_alu instid0(SALU_CYCLE_1)
	s_and_not1_b32 exec_lo, exec_lo, s38
	s_cbranch_execnz .LBB27_9
.LBB27_10:
	s_or_b32 exec_lo, exec_lo, s37
	v_mov_b32_e32 v1, 0
	s_barrier_signal -1
	s_barrier_wait -1
	global_inv scope:SCOPE_SE
	ds_load_b32 v2, v1 offset:896
	s_and_saveexec_b32 s1, s0
	s_cbranch_execz .LBB27_12
; %bb.11:
	s_lshl_b64 s[38:39], s[16:17], 2
	s_delay_alu instid0(SALU_CYCLE_1)
	s_add_nc_u64 s[38:39], s[6:7], s[38:39]
	s_wait_dscnt 0x0
	global_store_b32 v1, v2, s[38:39]
.LBB27_12:
	s_wait_alu 0xfffe
	s_or_b32 exec_lo, exec_lo, s1
	s_wait_dscnt 0x0
	v_cmp_ne_u32_e32 vcc_lo, 0, v2
	s_mov_b32 s1, 0
	s_cbranch_vccnz .LBB27_124
; %bb.13:
	v_add_nc_u32_e32 v70, 16, v69
                                        ; implicit-def: $vgpr1_vgpr2
                                        ; implicit-def: $vgpr9_vgpr10
	scratch_load_b128 v[5:8], v70, off
	s_wait_loadcnt 0x0
	v_cmp_ngt_f64_e64 s1, |v[5:6]|, |v[7:8]|
	s_wait_alu 0xfffe
	s_and_saveexec_b32 s37, s1
	s_delay_alu instid0(SALU_CYCLE_1)
	s_xor_b32 s1, exec_lo, s37
	s_cbranch_execz .LBB27_15
; %bb.14:
	v_div_scale_f64 v[1:2], null, v[7:8], v[7:8], v[5:6]
	v_div_scale_f64 v[11:12], vcc_lo, v[5:6], v[7:8], v[5:6]
	s_delay_alu instid0(VALU_DEP_2) | instskip(NEXT) | instid1(TRANS32_DEP_1)
	v_rcp_f64_e32 v[3:4], v[1:2]
	v_fma_f64 v[9:10], -v[1:2], v[3:4], 1.0
	s_delay_alu instid0(VALU_DEP_1) | instskip(NEXT) | instid1(VALU_DEP_1)
	v_fma_f64 v[3:4], v[3:4], v[9:10], v[3:4]
	v_fma_f64 v[9:10], -v[1:2], v[3:4], 1.0
	s_delay_alu instid0(VALU_DEP_1) | instskip(NEXT) | instid1(VALU_DEP_1)
	v_fma_f64 v[3:4], v[3:4], v[9:10], v[3:4]
	v_mul_f64_e32 v[9:10], v[11:12], v[3:4]
	s_delay_alu instid0(VALU_DEP_1) | instskip(SKIP_1) | instid1(VALU_DEP_1)
	v_fma_f64 v[1:2], -v[1:2], v[9:10], v[11:12]
	s_wait_alu 0xfffd
	v_div_fmas_f64 v[1:2], v[1:2], v[3:4], v[9:10]
	s_delay_alu instid0(VALU_DEP_1) | instskip(NEXT) | instid1(VALU_DEP_1)
	v_div_fixup_f64 v[1:2], v[1:2], v[7:8], v[5:6]
	v_fma_f64 v[3:4], v[5:6], v[1:2], v[7:8]
	s_delay_alu instid0(VALU_DEP_1) | instskip(SKIP_1) | instid1(VALU_DEP_2)
	v_div_scale_f64 v[5:6], null, v[3:4], v[3:4], 1.0
	v_div_scale_f64 v[11:12], vcc_lo, 1.0, v[3:4], 1.0
	v_rcp_f64_e32 v[7:8], v[5:6]
	s_delay_alu instid0(TRANS32_DEP_1) | instskip(NEXT) | instid1(VALU_DEP_1)
	v_fma_f64 v[9:10], -v[5:6], v[7:8], 1.0
	v_fma_f64 v[7:8], v[7:8], v[9:10], v[7:8]
	s_delay_alu instid0(VALU_DEP_1) | instskip(NEXT) | instid1(VALU_DEP_1)
	v_fma_f64 v[9:10], -v[5:6], v[7:8], 1.0
	v_fma_f64 v[7:8], v[7:8], v[9:10], v[7:8]
	s_delay_alu instid0(VALU_DEP_1) | instskip(NEXT) | instid1(VALU_DEP_1)
	v_mul_f64_e32 v[9:10], v[11:12], v[7:8]
	v_fma_f64 v[5:6], -v[5:6], v[9:10], v[11:12]
	s_wait_alu 0xfffd
	s_delay_alu instid0(VALU_DEP_1) | instskip(NEXT) | instid1(VALU_DEP_1)
	v_div_fmas_f64 v[5:6], v[5:6], v[7:8], v[9:10]
	v_div_fixup_f64 v[3:4], v[5:6], v[3:4], 1.0
                                        ; implicit-def: $vgpr5_vgpr6
	s_delay_alu instid0(VALU_DEP_1) | instskip(SKIP_1) | instid1(VALU_DEP_2)
	v_mul_f64_e32 v[1:2], v[1:2], v[3:4]
	v_xor_b32_e32 v4, 0x80000000, v4
	v_xor_b32_e32 v10, 0x80000000, v2
	s_delay_alu instid0(VALU_DEP_3)
	v_mov_b32_e32 v9, v1
.LBB27_15:
	s_wait_alu 0xfffe
	s_and_not1_saveexec_b32 s1, s1
	s_cbranch_execz .LBB27_17
; %bb.16:
	v_div_scale_f64 v[1:2], null, v[5:6], v[5:6], v[7:8]
	v_div_scale_f64 v[11:12], vcc_lo, v[7:8], v[5:6], v[7:8]
	s_delay_alu instid0(VALU_DEP_2) | instskip(NEXT) | instid1(TRANS32_DEP_1)
	v_rcp_f64_e32 v[3:4], v[1:2]
	v_fma_f64 v[9:10], -v[1:2], v[3:4], 1.0
	s_delay_alu instid0(VALU_DEP_1) | instskip(NEXT) | instid1(VALU_DEP_1)
	v_fma_f64 v[3:4], v[3:4], v[9:10], v[3:4]
	v_fma_f64 v[9:10], -v[1:2], v[3:4], 1.0
	s_delay_alu instid0(VALU_DEP_1) | instskip(NEXT) | instid1(VALU_DEP_1)
	v_fma_f64 v[3:4], v[3:4], v[9:10], v[3:4]
	v_mul_f64_e32 v[9:10], v[11:12], v[3:4]
	s_delay_alu instid0(VALU_DEP_1) | instskip(SKIP_1) | instid1(VALU_DEP_1)
	v_fma_f64 v[1:2], -v[1:2], v[9:10], v[11:12]
	s_wait_alu 0xfffd
	v_div_fmas_f64 v[1:2], v[1:2], v[3:4], v[9:10]
	s_delay_alu instid0(VALU_DEP_1) | instskip(NEXT) | instid1(VALU_DEP_1)
	v_div_fixup_f64 v[3:4], v[1:2], v[5:6], v[7:8]
	v_fma_f64 v[1:2], v[7:8], v[3:4], v[5:6]
	s_delay_alu instid0(VALU_DEP_1) | instskip(NEXT) | instid1(VALU_DEP_1)
	v_div_scale_f64 v[5:6], null, v[1:2], v[1:2], 1.0
	v_rcp_f64_e32 v[7:8], v[5:6]
	s_delay_alu instid0(TRANS32_DEP_1) | instskip(NEXT) | instid1(VALU_DEP_1)
	v_fma_f64 v[9:10], -v[5:6], v[7:8], 1.0
	v_fma_f64 v[7:8], v[7:8], v[9:10], v[7:8]
	s_delay_alu instid0(VALU_DEP_1) | instskip(NEXT) | instid1(VALU_DEP_1)
	v_fma_f64 v[9:10], -v[5:6], v[7:8], 1.0
	v_fma_f64 v[7:8], v[7:8], v[9:10], v[7:8]
	v_div_scale_f64 v[9:10], vcc_lo, 1.0, v[1:2], 1.0
	s_delay_alu instid0(VALU_DEP_1) | instskip(NEXT) | instid1(VALU_DEP_1)
	v_mul_f64_e32 v[11:12], v[9:10], v[7:8]
	v_fma_f64 v[5:6], -v[5:6], v[11:12], v[9:10]
	s_wait_alu 0xfffd
	s_delay_alu instid0(VALU_DEP_1) | instskip(NEXT) | instid1(VALU_DEP_1)
	v_div_fmas_f64 v[5:6], v[5:6], v[7:8], v[11:12]
	v_div_fixup_f64 v[1:2], v[5:6], v[1:2], 1.0
	s_delay_alu instid0(VALU_DEP_1)
	v_mul_f64_e64 v[3:4], v[3:4], -v[1:2]
	v_xor_b32_e32 v10, 0x80000000, v2
	v_mov_b32_e32 v9, v1
.LBB27_17:
	s_wait_alu 0xfffe
	s_or_b32 exec_lo, exec_lo, s1
	scratch_store_b128 v70, v[1:4], off
	scratch_load_b128 v[71:74], off, s21
	v_xor_b32_e32 v12, 0x80000000, v4
	v_mov_b32_e32 v11, v3
	v_add_nc_u32_e32 v5, 0x1c0, v69
	ds_store_b128 v69, v[9:12]
	s_wait_loadcnt 0x0
	ds_store_b128 v69, v[71:74] offset:448
	s_wait_storecnt_dscnt 0x0
	s_barrier_signal -1
	s_barrier_wait -1
	global_inv scope:SCOPE_SE
	s_and_saveexec_b32 s1, s0
	s_cbranch_execz .LBB27_19
; %bb.18:
	scratch_load_b128 v[1:4], v70, off
	ds_load_b128 v[6:9], v5
	v_mov_b32_e32 v10, 0
	ds_load_b128 v[71:74], v10 offset:16
	s_wait_loadcnt_dscnt 0x1
	v_mul_f64_e32 v[10:11], v[6:7], v[3:4]
	v_mul_f64_e32 v[3:4], v[8:9], v[3:4]
	s_delay_alu instid0(VALU_DEP_2) | instskip(NEXT) | instid1(VALU_DEP_2)
	v_fma_f64 v[8:9], v[8:9], v[1:2], v[10:11]
	v_fma_f64 v[1:2], v[6:7], v[1:2], -v[3:4]
	s_delay_alu instid0(VALU_DEP_2) | instskip(NEXT) | instid1(VALU_DEP_2)
	v_add_f64_e32 v[3:4], 0, v[8:9]
	v_add_f64_e32 v[1:2], 0, v[1:2]
	s_wait_dscnt 0x0
	s_delay_alu instid0(VALU_DEP_2) | instskip(NEXT) | instid1(VALU_DEP_2)
	v_mul_f64_e32 v[6:7], v[3:4], v[73:74]
	v_mul_f64_e32 v[8:9], v[1:2], v[73:74]
	s_delay_alu instid0(VALU_DEP_2) | instskip(NEXT) | instid1(VALU_DEP_2)
	v_fma_f64 v[1:2], v[1:2], v[71:72], -v[6:7]
	v_fma_f64 v[3:4], v[3:4], v[71:72], v[8:9]
	scratch_store_b128 off, v[1:4], off offset:32
.LBB27_19:
	s_wait_alu 0xfffe
	s_or_b32 exec_lo, exec_lo, s1
	s_wait_loadcnt 0x0
	s_wait_storecnt 0x0
	s_barrier_signal -1
	s_barrier_wait -1
	global_inv scope:SCOPE_SE
	scratch_load_b128 v[1:4], off, s19
	s_mov_b32 s1, exec_lo
	s_wait_loadcnt 0x0
	ds_store_b128 v5, v[1:4]
	s_wait_dscnt 0x0
	s_barrier_signal -1
	s_barrier_wait -1
	global_inv scope:SCOPE_SE
	v_cmpx_gt_u32_e32 2, v0
	s_cbranch_execz .LBB27_23
; %bb.20:
	scratch_load_b128 v[1:4], v70, off
	ds_load_b128 v[6:9], v5
	s_wait_loadcnt_dscnt 0x0
	v_mul_f64_e32 v[10:11], v[8:9], v[3:4]
	v_mul_f64_e32 v[3:4], v[6:7], v[3:4]
	s_delay_alu instid0(VALU_DEP_2) | instskip(NEXT) | instid1(VALU_DEP_2)
	v_fma_f64 v[6:7], v[6:7], v[1:2], -v[10:11]
	v_fma_f64 v[3:4], v[8:9], v[1:2], v[3:4]
	s_delay_alu instid0(VALU_DEP_2) | instskip(NEXT) | instid1(VALU_DEP_2)
	v_add_f64_e32 v[1:2], 0, v[6:7]
	v_add_f64_e32 v[3:4], 0, v[3:4]
	s_and_saveexec_b32 s37, s0
	s_cbranch_execz .LBB27_22
; %bb.21:
	scratch_load_b128 v[6:9], off, off offset:32
	v_mov_b32_e32 v10, 0
	ds_load_b128 v[71:74], v10 offset:464
	s_wait_loadcnt_dscnt 0x0
	v_mul_f64_e32 v[10:11], v[71:72], v[8:9]
	v_mul_f64_e32 v[8:9], v[73:74], v[8:9]
	s_delay_alu instid0(VALU_DEP_2) | instskip(NEXT) | instid1(VALU_DEP_2)
	v_fma_f64 v[10:11], v[73:74], v[6:7], v[10:11]
	v_fma_f64 v[6:7], v[71:72], v[6:7], -v[8:9]
	s_delay_alu instid0(VALU_DEP_2) | instskip(NEXT) | instid1(VALU_DEP_2)
	v_add_f64_e32 v[3:4], v[3:4], v[10:11]
	v_add_f64_e32 v[1:2], v[1:2], v[6:7]
.LBB27_22:
	s_or_b32 exec_lo, exec_lo, s37
	v_mov_b32_e32 v6, 0
	ds_load_b128 v[6:9], v6 offset:32
	s_wait_dscnt 0x0
	v_mul_f64_e32 v[10:11], v[3:4], v[8:9]
	v_mul_f64_e32 v[8:9], v[1:2], v[8:9]
	s_delay_alu instid0(VALU_DEP_2) | instskip(NEXT) | instid1(VALU_DEP_2)
	v_fma_f64 v[1:2], v[1:2], v[6:7], -v[10:11]
	v_fma_f64 v[3:4], v[3:4], v[6:7], v[8:9]
	scratch_store_b128 off, v[1:4], off offset:48
.LBB27_23:
	s_wait_alu 0xfffe
	s_or_b32 exec_lo, exec_lo, s1
	s_wait_loadcnt 0x0
	s_wait_storecnt 0x0
	s_barrier_signal -1
	s_barrier_wait -1
	global_inv scope:SCOPE_SE
	scratch_load_b128 v[1:4], off, s13
	v_add_nc_u32_e32 v6, -1, v0
	s_mov_b32 s0, exec_lo
	s_wait_loadcnt 0x0
	ds_store_b128 v5, v[1:4]
	s_wait_dscnt 0x0
	s_barrier_signal -1
	s_barrier_wait -1
	global_inv scope:SCOPE_SE
	v_cmpx_gt_u32_e32 3, v0
	s_cbranch_execz .LBB27_27
; %bb.24:
	v_dual_mov_b32 v1, 0 :: v_dual_add_nc_u32 v8, 0x1c0, v69
	v_mov_b32_e32 v3, 0
	v_dual_mov_b32 v2, 0 :: v_dual_add_nc_u32 v7, -1, v0
	v_mov_b32_e32 v4, 0
	v_or_b32_e32 v9, 8, v70
	s_mov_b32 s1, 0
.LBB27_25:                              ; =>This Inner Loop Header: Depth=1
	scratch_load_b128 v[71:74], v9, off offset:-8
	ds_load_b128 v[75:78], v8
	v_add_nc_u32_e32 v7, 1, v7
	v_add_nc_u32_e32 v8, 16, v8
	v_add_nc_u32_e32 v9, 16, v9
	s_delay_alu instid0(VALU_DEP_3)
	v_cmp_lt_u32_e32 vcc_lo, 1, v7
	s_wait_alu 0xfffe
	s_or_b32 s1, vcc_lo, s1
	s_wait_loadcnt_dscnt 0x0
	v_mul_f64_e32 v[10:11], v[77:78], v[73:74]
	v_mul_f64_e32 v[73:74], v[75:76], v[73:74]
	s_delay_alu instid0(VALU_DEP_2) | instskip(NEXT) | instid1(VALU_DEP_2)
	v_fma_f64 v[10:11], v[75:76], v[71:72], -v[10:11]
	v_fma_f64 v[71:72], v[77:78], v[71:72], v[73:74]
	s_delay_alu instid0(VALU_DEP_2) | instskip(NEXT) | instid1(VALU_DEP_2)
	v_add_f64_e32 v[3:4], v[3:4], v[10:11]
	v_add_f64_e32 v[1:2], v[1:2], v[71:72]
	s_wait_alu 0xfffe
	s_and_not1_b32 exec_lo, exec_lo, s1
	s_cbranch_execnz .LBB27_25
; %bb.26:
	s_or_b32 exec_lo, exec_lo, s1
	v_mov_b32_e32 v7, 0
	ds_load_b128 v[7:10], v7 offset:48
	s_wait_dscnt 0x0
	v_mul_f64_e32 v[11:12], v[1:2], v[9:10]
	v_mul_f64_e32 v[71:72], v[3:4], v[9:10]
	s_delay_alu instid0(VALU_DEP_2) | instskip(NEXT) | instid1(VALU_DEP_2)
	v_fma_f64 v[9:10], v[3:4], v[7:8], -v[11:12]
	v_fma_f64 v[11:12], v[1:2], v[7:8], v[71:72]
	scratch_store_b128 off, v[9:12], off offset:64
.LBB27_27:
	s_wait_alu 0xfffe
	s_or_b32 exec_lo, exec_lo, s0
	s_wait_loadcnt 0x0
	s_wait_storecnt 0x0
	s_barrier_signal -1
	s_barrier_wait -1
	global_inv scope:SCOPE_SE
	scratch_load_b128 v[1:4], off, s11
	s_mov_b32 s0, exec_lo
	s_wait_loadcnt 0x0
	ds_store_b128 v5, v[1:4]
	s_wait_dscnt 0x0
	s_barrier_signal -1
	s_barrier_wait -1
	global_inv scope:SCOPE_SE
	v_cmpx_gt_u32_e32 4, v0
	s_cbranch_execz .LBB27_31
; %bb.28:
	v_dual_mov_b32 v1, 0 :: v_dual_add_nc_u32 v8, 0x1c0, v69
	v_mov_b32_e32 v3, 0
	v_dual_mov_b32 v2, 0 :: v_dual_add_nc_u32 v7, -1, v0
	v_mov_b32_e32 v4, 0
	v_or_b32_e32 v9, 8, v70
	s_mov_b32 s1, 0
.LBB27_29:                              ; =>This Inner Loop Header: Depth=1
	scratch_load_b128 v[71:74], v9, off offset:-8
	ds_load_b128 v[75:78], v8
	v_add_nc_u32_e32 v7, 1, v7
	v_add_nc_u32_e32 v8, 16, v8
	v_add_nc_u32_e32 v9, 16, v9
	s_delay_alu instid0(VALU_DEP_3)
	v_cmp_lt_u32_e32 vcc_lo, 2, v7
	s_wait_alu 0xfffe
	s_or_b32 s1, vcc_lo, s1
	s_wait_loadcnt_dscnt 0x0
	v_mul_f64_e32 v[10:11], v[77:78], v[73:74]
	v_mul_f64_e32 v[73:74], v[75:76], v[73:74]
	s_delay_alu instid0(VALU_DEP_2) | instskip(NEXT) | instid1(VALU_DEP_2)
	v_fma_f64 v[10:11], v[75:76], v[71:72], -v[10:11]
	v_fma_f64 v[71:72], v[77:78], v[71:72], v[73:74]
	s_delay_alu instid0(VALU_DEP_2) | instskip(NEXT) | instid1(VALU_DEP_2)
	v_add_f64_e32 v[3:4], v[3:4], v[10:11]
	v_add_f64_e32 v[1:2], v[1:2], v[71:72]
	s_wait_alu 0xfffe
	s_and_not1_b32 exec_lo, exec_lo, s1
	s_cbranch_execnz .LBB27_29
; %bb.30:
	s_or_b32 exec_lo, exec_lo, s1
	v_mov_b32_e32 v7, 0
	ds_load_b128 v[7:10], v7 offset:64
	s_wait_dscnt 0x0
	v_mul_f64_e32 v[11:12], v[1:2], v[9:10]
	v_mul_f64_e32 v[71:72], v[3:4], v[9:10]
	s_delay_alu instid0(VALU_DEP_2) | instskip(NEXT) | instid1(VALU_DEP_2)
	v_fma_f64 v[9:10], v[3:4], v[7:8], -v[11:12]
	v_fma_f64 v[11:12], v[1:2], v[7:8], v[71:72]
	scratch_store_b128 off, v[9:12], off offset:80
.LBB27_31:
	s_wait_alu 0xfffe
	s_or_b32 exec_lo, exec_lo, s0
	s_wait_loadcnt 0x0
	s_wait_storecnt 0x0
	s_barrier_signal -1
	s_barrier_wait -1
	global_inv scope:SCOPE_SE
	scratch_load_b128 v[1:4], off, s27
	;; [unrolled: 58-line block ×19, first 2 shown]
	s_mov_b32 s0, exec_lo
	s_wait_loadcnt 0x0
	ds_store_b128 v5, v[1:4]
	s_wait_dscnt 0x0
	s_barrier_signal -1
	s_barrier_wait -1
	global_inv scope:SCOPE_SE
	v_cmpx_gt_u32_e32 22, v0
	s_cbranch_execz .LBB27_103
; %bb.100:
	v_dual_mov_b32 v1, 0 :: v_dual_add_nc_u32 v8, 0x1c0, v69
	v_mov_b32_e32 v3, 0
	v_dual_mov_b32 v2, 0 :: v_dual_add_nc_u32 v7, -1, v0
	v_mov_b32_e32 v4, 0
	v_or_b32_e32 v9, 8, v70
	s_mov_b32 s1, 0
.LBB27_101:                             ; =>This Inner Loop Header: Depth=1
	scratch_load_b128 v[71:74], v9, off offset:-8
	ds_load_b128 v[75:78], v8
	v_add_nc_u32_e32 v7, 1, v7
	v_add_nc_u32_e32 v8, 16, v8
	v_add_nc_u32_e32 v9, 16, v9
	s_delay_alu instid0(VALU_DEP_3)
	v_cmp_lt_u32_e32 vcc_lo, 20, v7
	s_wait_alu 0xfffe
	s_or_b32 s1, vcc_lo, s1
	s_wait_loadcnt_dscnt 0x0
	v_mul_f64_e32 v[10:11], v[77:78], v[73:74]
	v_mul_f64_e32 v[73:74], v[75:76], v[73:74]
	s_delay_alu instid0(VALU_DEP_2) | instskip(NEXT) | instid1(VALU_DEP_2)
	v_fma_f64 v[10:11], v[75:76], v[71:72], -v[10:11]
	v_fma_f64 v[71:72], v[77:78], v[71:72], v[73:74]
	s_delay_alu instid0(VALU_DEP_2) | instskip(NEXT) | instid1(VALU_DEP_2)
	v_add_f64_e32 v[3:4], v[3:4], v[10:11]
	v_add_f64_e32 v[1:2], v[1:2], v[71:72]
	s_wait_alu 0xfffe
	s_and_not1_b32 exec_lo, exec_lo, s1
	s_cbranch_execnz .LBB27_101
; %bb.102:
	s_or_b32 exec_lo, exec_lo, s1
	v_mov_b32_e32 v7, 0
	ds_load_b128 v[7:10], v7 offset:352
	s_wait_dscnt 0x0
	v_mul_f64_e32 v[11:12], v[1:2], v[9:10]
	v_mul_f64_e32 v[71:72], v[3:4], v[9:10]
	s_delay_alu instid0(VALU_DEP_2) | instskip(NEXT) | instid1(VALU_DEP_2)
	v_fma_f64 v[9:10], v[3:4], v[7:8], -v[11:12]
	v_fma_f64 v[11:12], v[1:2], v[7:8], v[71:72]
	scratch_store_b128 off, v[9:12], off offset:368
.LBB27_103:
	s_wait_alu 0xfffe
	s_or_b32 exec_lo, exec_lo, s0
	s_wait_loadcnt 0x0
	s_wait_storecnt 0x0
	s_barrier_signal -1
	s_barrier_wait -1
	global_inv scope:SCOPE_SE
	scratch_load_b128 v[1:4], off, s9
	s_mov_b32 s0, exec_lo
	s_wait_loadcnt 0x0
	ds_store_b128 v5, v[1:4]
	s_wait_dscnt 0x0
	s_barrier_signal -1
	s_barrier_wait -1
	global_inv scope:SCOPE_SE
	v_cmpx_gt_u32_e32 23, v0
	s_cbranch_execz .LBB27_107
; %bb.104:
	v_dual_mov_b32 v1, 0 :: v_dual_add_nc_u32 v8, 0x1c0, v69
	v_mov_b32_e32 v3, 0
	v_dual_mov_b32 v2, 0 :: v_dual_add_nc_u32 v7, -1, v0
	v_mov_b32_e32 v4, 0
	v_or_b32_e32 v9, 8, v70
	s_mov_b32 s1, 0
.LBB27_105:                             ; =>This Inner Loop Header: Depth=1
	scratch_load_b128 v[71:74], v9, off offset:-8
	ds_load_b128 v[75:78], v8
	v_add_nc_u32_e32 v7, 1, v7
	v_add_nc_u32_e32 v8, 16, v8
	v_add_nc_u32_e32 v9, 16, v9
	s_delay_alu instid0(VALU_DEP_3)
	v_cmp_lt_u32_e32 vcc_lo, 21, v7
	s_wait_alu 0xfffe
	s_or_b32 s1, vcc_lo, s1
	s_wait_loadcnt_dscnt 0x0
	v_mul_f64_e32 v[10:11], v[77:78], v[73:74]
	v_mul_f64_e32 v[73:74], v[75:76], v[73:74]
	s_delay_alu instid0(VALU_DEP_2) | instskip(NEXT) | instid1(VALU_DEP_2)
	v_fma_f64 v[10:11], v[75:76], v[71:72], -v[10:11]
	v_fma_f64 v[71:72], v[77:78], v[71:72], v[73:74]
	s_delay_alu instid0(VALU_DEP_2) | instskip(NEXT) | instid1(VALU_DEP_2)
	v_add_f64_e32 v[3:4], v[3:4], v[10:11]
	v_add_f64_e32 v[1:2], v[1:2], v[71:72]
	s_wait_alu 0xfffe
	s_and_not1_b32 exec_lo, exec_lo, s1
	s_cbranch_execnz .LBB27_105
; %bb.106:
	s_or_b32 exec_lo, exec_lo, s1
	v_mov_b32_e32 v7, 0
	ds_load_b128 v[7:10], v7 offset:368
	s_wait_dscnt 0x0
	v_mul_f64_e32 v[11:12], v[1:2], v[9:10]
	v_mul_f64_e32 v[71:72], v[3:4], v[9:10]
	s_delay_alu instid0(VALU_DEP_2) | instskip(NEXT) | instid1(VALU_DEP_2)
	v_fma_f64 v[9:10], v[3:4], v[7:8], -v[11:12]
	v_fma_f64 v[11:12], v[1:2], v[7:8], v[71:72]
	scratch_store_b128 off, v[9:12], off offset:384
.LBB27_107:
	s_wait_alu 0xfffe
	s_or_b32 exec_lo, exec_lo, s0
	s_wait_loadcnt 0x0
	s_wait_storecnt 0x0
	s_barrier_signal -1
	s_barrier_wait -1
	global_inv scope:SCOPE_SE
	scratch_load_b128 v[1:4], off, s15
	;; [unrolled: 58-line block ×5, first 2 shown]
	s_mov_b32 s0, exec_lo
	s_wait_loadcnt 0x0
	ds_store_b128 v5, v[1:4]
	s_wait_dscnt 0x0
	s_barrier_signal -1
	s_barrier_wait -1
	global_inv scope:SCOPE_SE
	v_cmpx_ne_u32_e32 27, v0
	s_cbranch_execz .LBB27_123
; %bb.120:
	v_mov_b32_e32 v1, 0
	v_dual_mov_b32 v2, 0 :: v_dual_mov_b32 v3, 0
	v_mov_b32_e32 v4, 0
	v_or_b32_e32 v7, 8, v70
	s_mov_b32 s1, 0
.LBB27_121:                             ; =>This Inner Loop Header: Depth=1
	scratch_load_b128 v[8:11], v7, off offset:-8
	ds_load_b128 v[69:72], v5
	v_add_nc_u32_e32 v6, 1, v6
	v_add_nc_u32_e32 v5, 16, v5
	;; [unrolled: 1-line block ×3, first 2 shown]
	s_delay_alu instid0(VALU_DEP_3)
	v_cmp_lt_u32_e32 vcc_lo, 25, v6
	s_wait_alu 0xfffe
	s_or_b32 s1, vcc_lo, s1
	s_wait_loadcnt_dscnt 0x0
	v_mul_f64_e32 v[73:74], v[71:72], v[10:11]
	v_mul_f64_e32 v[10:11], v[69:70], v[10:11]
	s_delay_alu instid0(VALU_DEP_2) | instskip(NEXT) | instid1(VALU_DEP_2)
	v_fma_f64 v[69:70], v[69:70], v[8:9], -v[73:74]
	v_fma_f64 v[8:9], v[71:72], v[8:9], v[10:11]
	s_delay_alu instid0(VALU_DEP_2) | instskip(NEXT) | instid1(VALU_DEP_2)
	v_add_f64_e32 v[3:4], v[3:4], v[69:70]
	v_add_f64_e32 v[1:2], v[1:2], v[8:9]
	s_wait_alu 0xfffe
	s_and_not1_b32 exec_lo, exec_lo, s1
	s_cbranch_execnz .LBB27_121
; %bb.122:
	s_or_b32 exec_lo, exec_lo, s1
	v_mov_b32_e32 v5, 0
	ds_load_b128 v[5:8], v5 offset:432
	s_wait_dscnt 0x0
	v_mul_f64_e32 v[9:10], v[1:2], v[7:8]
	v_mul_f64_e32 v[7:8], v[3:4], v[7:8]
	s_delay_alu instid0(VALU_DEP_2) | instskip(NEXT) | instid1(VALU_DEP_2)
	v_fma_f64 v[3:4], v[3:4], v[5:6], -v[9:10]
	v_fma_f64 v[5:6], v[1:2], v[5:6], v[7:8]
	scratch_store_b128 off, v[3:6], off offset:448
.LBB27_123:
	s_wait_alu 0xfffe
	s_or_b32 exec_lo, exec_lo, s0
	s_mov_b32 s1, -1
	s_wait_loadcnt 0x0
	s_wait_storecnt 0x0
	s_barrier_signal -1
	s_barrier_wait -1
	global_inv scope:SCOPE_SE
.LBB27_124:
	s_wait_alu 0xfffe
	s_and_b32 vcc_lo, exec_lo, s1
	s_wait_alu 0xfffe
	s_cbranch_vccz .LBB27_126
; %bb.125:
	v_mov_b32_e32 v1, 0
	s_lshl_b64 s[0:1], s[16:17], 2
	s_wait_alu 0xfffe
	s_add_nc_u64 s[0:1], s[6:7], s[0:1]
	global_load_b32 v1, v1, s[0:1]
	s_wait_loadcnt 0x0
	v_cmp_ne_u32_e32 vcc_lo, 0, v1
	s_cbranch_vccz .LBB27_127
.LBB27_126:
	s_nop 0
	s_sendmsg sendmsg(MSG_DEALLOC_VGPRS)
	s_endpgm
.LBB27_127:
	v_lshl_add_u32 v5, v0, 4, 0x1c0
	s_mov_b32 s0, exec_lo
	v_cmpx_eq_u32_e32 27, v0
	s_cbranch_execz .LBB27_129
; %bb.128:
	scratch_load_b128 v[1:4], off, s24
	v_mov_b32_e32 v6, 0
	s_delay_alu instid0(VALU_DEP_1)
	v_dual_mov_b32 v7, v6 :: v_dual_mov_b32 v8, v6
	v_mov_b32_e32 v9, v6
	scratch_store_b128 off, v[6:9], off offset:432
	s_wait_loadcnt 0x0
	ds_store_b128 v5, v[1:4]
.LBB27_129:
	s_wait_alu 0xfffe
	s_or_b32 exec_lo, exec_lo, s0
	s_wait_storecnt_dscnt 0x0
	s_barrier_signal -1
	s_barrier_wait -1
	global_inv scope:SCOPE_SE
	s_clause 0x1
	scratch_load_b128 v[6:9], off, off offset:448
	scratch_load_b128 v[69:72], off, off offset:432
	v_mov_b32_e32 v1, 0
	s_mov_b32 s0, exec_lo
	ds_load_b128 v[73:76], v1 offset:880
	s_wait_loadcnt_dscnt 0x100
	v_mul_f64_e32 v[2:3], v[75:76], v[8:9]
	v_mul_f64_e32 v[8:9], v[73:74], v[8:9]
	s_delay_alu instid0(VALU_DEP_2) | instskip(NEXT) | instid1(VALU_DEP_2)
	v_fma_f64 v[2:3], v[73:74], v[6:7], -v[2:3]
	v_fma_f64 v[6:7], v[75:76], v[6:7], v[8:9]
	s_delay_alu instid0(VALU_DEP_2) | instskip(NEXT) | instid1(VALU_DEP_2)
	v_add_f64_e32 v[2:3], 0, v[2:3]
	v_add_f64_e32 v[8:9], 0, v[6:7]
	s_wait_loadcnt 0x0
	s_delay_alu instid0(VALU_DEP_2) | instskip(NEXT) | instid1(VALU_DEP_2)
	v_add_f64_e64 v[6:7], v[69:70], -v[2:3]
	v_add_f64_e64 v[8:9], v[71:72], -v[8:9]
	scratch_store_b128 off, v[6:9], off offset:432
	v_cmpx_lt_u32_e32 25, v0
	s_cbranch_execz .LBB27_131
; %bb.130:
	scratch_load_b128 v[6:9], off, s12
	v_dual_mov_b32 v2, v1 :: v_dual_mov_b32 v3, v1
	v_mov_b32_e32 v4, v1
	scratch_store_b128 off, v[1:4], off offset:416
	s_wait_loadcnt 0x0
	ds_store_b128 v5, v[6:9]
.LBB27_131:
	s_wait_alu 0xfffe
	s_or_b32 exec_lo, exec_lo, s0
	s_wait_storecnt_dscnt 0x0
	s_barrier_signal -1
	s_barrier_wait -1
	global_inv scope:SCOPE_SE
	s_clause 0x2
	scratch_load_b128 v[6:9], off, off offset:432
	scratch_load_b128 v[69:72], off, off offset:448
	;; [unrolled: 1-line block ×3, first 2 shown]
	ds_load_b128 v[77:80], v1 offset:864
	ds_load_b128 v[1:4], v1 offset:880
	s_mov_b32 s0, exec_lo
	s_wait_loadcnt_dscnt 0x201
	v_mul_f64_e32 v[10:11], v[79:80], v[8:9]
	v_mul_f64_e32 v[8:9], v[77:78], v[8:9]
	s_wait_loadcnt_dscnt 0x100
	v_mul_f64_e32 v[81:82], v[1:2], v[71:72]
	v_mul_f64_e32 v[71:72], v[3:4], v[71:72]
	s_delay_alu instid0(VALU_DEP_4) | instskip(NEXT) | instid1(VALU_DEP_4)
	v_fma_f64 v[10:11], v[77:78], v[6:7], -v[10:11]
	v_fma_f64 v[6:7], v[79:80], v[6:7], v[8:9]
	s_delay_alu instid0(VALU_DEP_4) | instskip(NEXT) | instid1(VALU_DEP_4)
	v_fma_f64 v[3:4], v[3:4], v[69:70], v[81:82]
	v_fma_f64 v[1:2], v[1:2], v[69:70], -v[71:72]
	s_delay_alu instid0(VALU_DEP_4) | instskip(NEXT) | instid1(VALU_DEP_4)
	v_add_f64_e32 v[8:9], 0, v[10:11]
	v_add_f64_e32 v[6:7], 0, v[6:7]
	s_delay_alu instid0(VALU_DEP_2) | instskip(NEXT) | instid1(VALU_DEP_2)
	v_add_f64_e32 v[1:2], v[8:9], v[1:2]
	v_add_f64_e32 v[3:4], v[6:7], v[3:4]
	s_wait_loadcnt 0x0
	s_delay_alu instid0(VALU_DEP_2) | instskip(NEXT) | instid1(VALU_DEP_2)
	v_add_f64_e64 v[1:2], v[73:74], -v[1:2]
	v_add_f64_e64 v[3:4], v[75:76], -v[3:4]
	scratch_store_b128 off, v[1:4], off offset:416
	v_cmpx_lt_u32_e32 24, v0
	s_cbranch_execz .LBB27_133
; %bb.132:
	scratch_load_b128 v[1:4], off, s15
	v_mov_b32_e32 v6, 0
	s_delay_alu instid0(VALU_DEP_1)
	v_dual_mov_b32 v7, v6 :: v_dual_mov_b32 v8, v6
	v_mov_b32_e32 v9, v6
	scratch_store_b128 off, v[6:9], off offset:400
	s_wait_loadcnt 0x0
	ds_store_b128 v5, v[1:4]
.LBB27_133:
	s_wait_alu 0xfffe
	s_or_b32 exec_lo, exec_lo, s0
	s_wait_storecnt_dscnt 0x0
	s_barrier_signal -1
	s_barrier_wait -1
	global_inv scope:SCOPE_SE
	s_clause 0x3
	scratch_load_b128 v[6:9], off, off offset:416
	scratch_load_b128 v[69:72], off, off offset:432
	;; [unrolled: 1-line block ×4, first 2 shown]
	v_mov_b32_e32 v1, 0
	ds_load_b128 v[81:84], v1 offset:848
	ds_load_b128 v[85:88], v1 offset:864
	s_mov_b32 s0, exec_lo
	s_wait_loadcnt_dscnt 0x301
	v_mul_f64_e32 v[2:3], v[83:84], v[8:9]
	v_mul_f64_e32 v[8:9], v[81:82], v[8:9]
	s_wait_loadcnt_dscnt 0x200
	v_mul_f64_e32 v[10:11], v[85:86], v[71:72]
	v_mul_f64_e32 v[71:72], v[87:88], v[71:72]
	s_delay_alu instid0(VALU_DEP_4) | instskip(NEXT) | instid1(VALU_DEP_4)
	v_fma_f64 v[2:3], v[81:82], v[6:7], -v[2:3]
	v_fma_f64 v[81:82], v[83:84], v[6:7], v[8:9]
	ds_load_b128 v[6:9], v1 offset:880
	v_fma_f64 v[10:11], v[87:88], v[69:70], v[10:11]
	v_fma_f64 v[69:70], v[85:86], v[69:70], -v[71:72]
	s_wait_loadcnt_dscnt 0x100
	v_mul_f64_e32 v[83:84], v[6:7], v[75:76]
	v_mul_f64_e32 v[75:76], v[8:9], v[75:76]
	v_add_f64_e32 v[2:3], 0, v[2:3]
	v_add_f64_e32 v[71:72], 0, v[81:82]
	s_delay_alu instid0(VALU_DEP_4) | instskip(NEXT) | instid1(VALU_DEP_4)
	v_fma_f64 v[8:9], v[8:9], v[73:74], v[83:84]
	v_fma_f64 v[6:7], v[6:7], v[73:74], -v[75:76]
	s_delay_alu instid0(VALU_DEP_4) | instskip(NEXT) | instid1(VALU_DEP_4)
	v_add_f64_e32 v[2:3], v[2:3], v[69:70]
	v_add_f64_e32 v[10:11], v[71:72], v[10:11]
	s_delay_alu instid0(VALU_DEP_2) | instskip(NEXT) | instid1(VALU_DEP_2)
	v_add_f64_e32 v[2:3], v[2:3], v[6:7]
	v_add_f64_e32 v[8:9], v[10:11], v[8:9]
	s_wait_loadcnt 0x0
	s_delay_alu instid0(VALU_DEP_2) | instskip(NEXT) | instid1(VALU_DEP_2)
	v_add_f64_e64 v[6:7], v[77:78], -v[2:3]
	v_add_f64_e64 v[8:9], v[79:80], -v[8:9]
	scratch_store_b128 off, v[6:9], off offset:400
	v_cmpx_lt_u32_e32 23, v0
	s_cbranch_execz .LBB27_135
; %bb.134:
	scratch_load_b128 v[6:9], off, s9
	v_dual_mov_b32 v2, v1 :: v_dual_mov_b32 v3, v1
	v_mov_b32_e32 v4, v1
	scratch_store_b128 off, v[1:4], off offset:384
	s_wait_loadcnt 0x0
	ds_store_b128 v5, v[6:9]
.LBB27_135:
	s_wait_alu 0xfffe
	s_or_b32 exec_lo, exec_lo, s0
	s_wait_storecnt_dscnt 0x0
	s_barrier_signal -1
	s_barrier_wait -1
	global_inv scope:SCOPE_SE
	s_clause 0x4
	scratch_load_b128 v[6:9], off, off offset:400
	scratch_load_b128 v[69:72], off, off offset:416
	;; [unrolled: 1-line block ×5, first 2 shown]
	ds_load_b128 v[85:88], v1 offset:832
	ds_load_b128 v[89:92], v1 offset:848
	s_mov_b32 s0, exec_lo
	s_wait_loadcnt_dscnt 0x401
	v_mul_f64_e32 v[2:3], v[87:88], v[8:9]
	v_mul_f64_e32 v[8:9], v[85:86], v[8:9]
	s_wait_loadcnt_dscnt 0x300
	v_mul_f64_e32 v[10:11], v[89:90], v[71:72]
	v_mul_f64_e32 v[71:72], v[91:92], v[71:72]
	s_delay_alu instid0(VALU_DEP_4) | instskip(NEXT) | instid1(VALU_DEP_4)
	v_fma_f64 v[85:86], v[85:86], v[6:7], -v[2:3]
	v_fma_f64 v[87:88], v[87:88], v[6:7], v[8:9]
	ds_load_b128 v[6:9], v1 offset:864
	ds_load_b128 v[1:4], v1 offset:880
	v_fma_f64 v[10:11], v[91:92], v[69:70], v[10:11]
	v_fma_f64 v[69:70], v[89:90], v[69:70], -v[71:72]
	s_wait_loadcnt_dscnt 0x201
	v_mul_f64_e32 v[93:94], v[6:7], v[75:76]
	v_mul_f64_e32 v[75:76], v[8:9], v[75:76]
	v_add_f64_e32 v[71:72], 0, v[85:86]
	v_add_f64_e32 v[85:86], 0, v[87:88]
	s_wait_loadcnt_dscnt 0x100
	v_mul_f64_e32 v[87:88], v[1:2], v[79:80]
	v_mul_f64_e32 v[79:80], v[3:4], v[79:80]
	v_fma_f64 v[8:9], v[8:9], v[73:74], v[93:94]
	v_fma_f64 v[6:7], v[6:7], v[73:74], -v[75:76]
	v_add_f64_e32 v[69:70], v[71:72], v[69:70]
	v_add_f64_e32 v[10:11], v[85:86], v[10:11]
	v_fma_f64 v[3:4], v[3:4], v[77:78], v[87:88]
	v_fma_f64 v[1:2], v[1:2], v[77:78], -v[79:80]
	s_delay_alu instid0(VALU_DEP_4) | instskip(NEXT) | instid1(VALU_DEP_4)
	v_add_f64_e32 v[6:7], v[69:70], v[6:7]
	v_add_f64_e32 v[8:9], v[10:11], v[8:9]
	s_delay_alu instid0(VALU_DEP_2) | instskip(NEXT) | instid1(VALU_DEP_2)
	v_add_f64_e32 v[1:2], v[6:7], v[1:2]
	v_add_f64_e32 v[3:4], v[8:9], v[3:4]
	s_wait_loadcnt 0x0
	s_delay_alu instid0(VALU_DEP_2) | instskip(NEXT) | instid1(VALU_DEP_2)
	v_add_f64_e64 v[1:2], v[81:82], -v[1:2]
	v_add_f64_e64 v[3:4], v[83:84], -v[3:4]
	scratch_store_b128 off, v[1:4], off offset:384
	v_cmpx_lt_u32_e32 22, v0
	s_cbranch_execz .LBB27_137
; %bb.136:
	scratch_load_b128 v[1:4], off, s10
	v_mov_b32_e32 v6, 0
	s_delay_alu instid0(VALU_DEP_1)
	v_dual_mov_b32 v7, v6 :: v_dual_mov_b32 v8, v6
	v_mov_b32_e32 v9, v6
	scratch_store_b128 off, v[6:9], off offset:368
	s_wait_loadcnt 0x0
	ds_store_b128 v5, v[1:4]
.LBB27_137:
	s_wait_alu 0xfffe
	s_or_b32 exec_lo, exec_lo, s0
	s_wait_storecnt_dscnt 0x0
	s_barrier_signal -1
	s_barrier_wait -1
	global_inv scope:SCOPE_SE
	s_clause 0x5
	scratch_load_b128 v[6:9], off, off offset:384
	scratch_load_b128 v[69:72], off, off offset:400
	scratch_load_b128 v[73:76], off, off offset:416
	scratch_load_b128 v[77:80], off, off offset:432
	scratch_load_b128 v[81:84], off, off offset:448
	scratch_load_b128 v[85:88], off, off offset:368
	v_mov_b32_e32 v1, 0
	ds_load_b128 v[89:92], v1 offset:816
	ds_load_b128 v[93:96], v1 offset:832
	s_mov_b32 s0, exec_lo
	s_wait_loadcnt_dscnt 0x501
	v_mul_f64_e32 v[2:3], v[91:92], v[8:9]
	v_mul_f64_e32 v[8:9], v[89:90], v[8:9]
	s_wait_loadcnt_dscnt 0x400
	v_mul_f64_e32 v[10:11], v[93:94], v[71:72]
	v_mul_f64_e32 v[71:72], v[95:96], v[71:72]
	s_delay_alu instid0(VALU_DEP_4) | instskip(NEXT) | instid1(VALU_DEP_4)
	v_fma_f64 v[2:3], v[89:90], v[6:7], -v[2:3]
	v_fma_f64 v[97:98], v[91:92], v[6:7], v[8:9]
	ds_load_b128 v[6:9], v1 offset:848
	ds_load_b128 v[89:92], v1 offset:864
	v_fma_f64 v[10:11], v[95:96], v[69:70], v[10:11]
	v_fma_f64 v[69:70], v[93:94], v[69:70], -v[71:72]
	s_wait_loadcnt_dscnt 0x301
	v_mul_f64_e32 v[99:100], v[6:7], v[75:76]
	v_mul_f64_e32 v[75:76], v[8:9], v[75:76]
	s_wait_loadcnt_dscnt 0x200
	v_mul_f64_e32 v[93:94], v[89:90], v[79:80]
	v_mul_f64_e32 v[79:80], v[91:92], v[79:80]
	v_add_f64_e32 v[2:3], 0, v[2:3]
	v_add_f64_e32 v[71:72], 0, v[97:98]
	v_fma_f64 v[95:96], v[8:9], v[73:74], v[99:100]
	v_fma_f64 v[73:74], v[6:7], v[73:74], -v[75:76]
	ds_load_b128 v[6:9], v1 offset:880
	v_fma_f64 v[75:76], v[91:92], v[77:78], v[93:94]
	v_fma_f64 v[77:78], v[89:90], v[77:78], -v[79:80]
	v_add_f64_e32 v[2:3], v[2:3], v[69:70]
	v_add_f64_e32 v[10:11], v[71:72], v[10:11]
	s_wait_loadcnt_dscnt 0x100
	v_mul_f64_e32 v[69:70], v[6:7], v[83:84]
	v_mul_f64_e32 v[71:72], v[8:9], v[83:84]
	s_delay_alu instid0(VALU_DEP_4) | instskip(NEXT) | instid1(VALU_DEP_4)
	v_add_f64_e32 v[2:3], v[2:3], v[73:74]
	v_add_f64_e32 v[10:11], v[10:11], v[95:96]
	s_delay_alu instid0(VALU_DEP_4) | instskip(NEXT) | instid1(VALU_DEP_4)
	v_fma_f64 v[8:9], v[8:9], v[81:82], v[69:70]
	v_fma_f64 v[6:7], v[6:7], v[81:82], -v[71:72]
	s_delay_alu instid0(VALU_DEP_4) | instskip(NEXT) | instid1(VALU_DEP_4)
	v_add_f64_e32 v[2:3], v[2:3], v[77:78]
	v_add_f64_e32 v[10:11], v[10:11], v[75:76]
	s_delay_alu instid0(VALU_DEP_2) | instskip(NEXT) | instid1(VALU_DEP_2)
	v_add_f64_e32 v[2:3], v[2:3], v[6:7]
	v_add_f64_e32 v[8:9], v[10:11], v[8:9]
	s_wait_loadcnt 0x0
	s_delay_alu instid0(VALU_DEP_2) | instskip(NEXT) | instid1(VALU_DEP_2)
	v_add_f64_e64 v[6:7], v[85:86], -v[2:3]
	v_add_f64_e64 v[8:9], v[87:88], -v[8:9]
	scratch_store_b128 off, v[6:9], off offset:368
	v_cmpx_lt_u32_e32 21, v0
	s_cbranch_execz .LBB27_139
; %bb.138:
	scratch_load_b128 v[6:9], off, s5
	v_dual_mov_b32 v2, v1 :: v_dual_mov_b32 v3, v1
	v_mov_b32_e32 v4, v1
	scratch_store_b128 off, v[1:4], off offset:352
	s_wait_loadcnt 0x0
	ds_store_b128 v5, v[6:9]
.LBB27_139:
	s_wait_alu 0xfffe
	s_or_b32 exec_lo, exec_lo, s0
	s_wait_storecnt_dscnt 0x0
	s_barrier_signal -1
	s_barrier_wait -1
	global_inv scope:SCOPE_SE
	s_clause 0x5
	scratch_load_b128 v[6:9], off, off offset:368
	scratch_load_b128 v[69:72], off, off offset:384
	;; [unrolled: 1-line block ×6, first 2 shown]
	ds_load_b128 v[89:92], v1 offset:800
	ds_load_b128 v[97:100], v1 offset:816
	scratch_load_b128 v[93:96], off, off offset:352
	s_mov_b32 s0, exec_lo
	s_wait_loadcnt_dscnt 0x601
	v_mul_f64_e32 v[2:3], v[91:92], v[8:9]
	v_mul_f64_e32 v[8:9], v[89:90], v[8:9]
	s_wait_loadcnt_dscnt 0x500
	v_mul_f64_e32 v[10:11], v[97:98], v[71:72]
	v_mul_f64_e32 v[71:72], v[99:100], v[71:72]
	s_delay_alu instid0(VALU_DEP_4) | instskip(NEXT) | instid1(VALU_DEP_4)
	v_fma_f64 v[2:3], v[89:90], v[6:7], -v[2:3]
	v_fma_f64 v[101:102], v[91:92], v[6:7], v[8:9]
	ds_load_b128 v[6:9], v1 offset:832
	ds_load_b128 v[89:92], v1 offset:848
	v_fma_f64 v[10:11], v[99:100], v[69:70], v[10:11]
	v_fma_f64 v[69:70], v[97:98], v[69:70], -v[71:72]
	s_wait_loadcnt_dscnt 0x401
	v_mul_f64_e32 v[103:104], v[6:7], v[75:76]
	v_mul_f64_e32 v[75:76], v[8:9], v[75:76]
	s_wait_loadcnt_dscnt 0x300
	v_mul_f64_e32 v[97:98], v[89:90], v[79:80]
	v_mul_f64_e32 v[79:80], v[91:92], v[79:80]
	v_add_f64_e32 v[2:3], 0, v[2:3]
	v_add_f64_e32 v[71:72], 0, v[101:102]
	v_fma_f64 v[99:100], v[8:9], v[73:74], v[103:104]
	v_fma_f64 v[73:74], v[6:7], v[73:74], -v[75:76]
	s_delay_alu instid0(VALU_DEP_4) | instskip(NEXT) | instid1(VALU_DEP_4)
	v_add_f64_e32 v[69:70], v[2:3], v[69:70]
	v_add_f64_e32 v[10:11], v[71:72], v[10:11]
	ds_load_b128 v[6:9], v1 offset:864
	ds_load_b128 v[1:4], v1 offset:880
	s_wait_loadcnt_dscnt 0x201
	v_mul_f64_e32 v[71:72], v[6:7], v[83:84]
	v_mul_f64_e32 v[75:76], v[8:9], v[83:84]
	v_fma_f64 v[83:84], v[91:92], v[77:78], v[97:98]
	v_fma_f64 v[77:78], v[89:90], v[77:78], -v[79:80]
	s_wait_loadcnt_dscnt 0x100
	v_mul_f64_e32 v[79:80], v[3:4], v[87:88]
	v_add_f64_e32 v[69:70], v[69:70], v[73:74]
	v_add_f64_e32 v[10:11], v[10:11], v[99:100]
	v_mul_f64_e32 v[73:74], v[1:2], v[87:88]
	v_fma_f64 v[8:9], v[8:9], v[81:82], v[71:72]
	v_fma_f64 v[6:7], v[6:7], v[81:82], -v[75:76]
	v_fma_f64 v[1:2], v[1:2], v[85:86], -v[79:80]
	v_add_f64_e32 v[69:70], v[69:70], v[77:78]
	v_add_f64_e32 v[10:11], v[10:11], v[83:84]
	v_fma_f64 v[3:4], v[3:4], v[85:86], v[73:74]
	s_delay_alu instid0(VALU_DEP_3) | instskip(NEXT) | instid1(VALU_DEP_3)
	v_add_f64_e32 v[6:7], v[69:70], v[6:7]
	v_add_f64_e32 v[8:9], v[10:11], v[8:9]
	s_delay_alu instid0(VALU_DEP_2) | instskip(NEXT) | instid1(VALU_DEP_2)
	v_add_f64_e32 v[1:2], v[6:7], v[1:2]
	v_add_f64_e32 v[3:4], v[8:9], v[3:4]
	s_wait_loadcnt 0x0
	s_delay_alu instid0(VALU_DEP_2) | instskip(NEXT) | instid1(VALU_DEP_2)
	v_add_f64_e64 v[1:2], v[93:94], -v[1:2]
	v_add_f64_e64 v[3:4], v[95:96], -v[3:4]
	scratch_store_b128 off, v[1:4], off offset:352
	v_cmpx_lt_u32_e32 20, v0
	s_cbranch_execz .LBB27_141
; %bb.140:
	scratch_load_b128 v[1:4], off, s8
	v_mov_b32_e32 v6, 0
	s_delay_alu instid0(VALU_DEP_1)
	v_dual_mov_b32 v7, v6 :: v_dual_mov_b32 v8, v6
	v_mov_b32_e32 v9, v6
	scratch_store_b128 off, v[6:9], off offset:336
	s_wait_loadcnt 0x0
	ds_store_b128 v5, v[1:4]
.LBB27_141:
	s_wait_alu 0xfffe
	s_or_b32 exec_lo, exec_lo, s0
	s_wait_storecnt_dscnt 0x0
	s_barrier_signal -1
	s_barrier_wait -1
	global_inv scope:SCOPE_SE
	s_clause 0x6
	scratch_load_b128 v[6:9], off, off offset:352
	scratch_load_b128 v[69:72], off, off offset:368
	;; [unrolled: 1-line block ×7, first 2 shown]
	v_mov_b32_e32 v1, 0
	scratch_load_b128 v[97:100], off, off offset:336
	s_mov_b32 s0, exec_lo
	ds_load_b128 v[93:96], v1 offset:784
	ds_load_b128 v[101:104], v1 offset:800
	s_wait_loadcnt_dscnt 0x701
	v_mul_f64_e32 v[2:3], v[95:96], v[8:9]
	v_mul_f64_e32 v[8:9], v[93:94], v[8:9]
	s_wait_loadcnt_dscnt 0x600
	v_mul_f64_e32 v[10:11], v[101:102], v[71:72]
	v_mul_f64_e32 v[71:72], v[103:104], v[71:72]
	s_delay_alu instid0(VALU_DEP_4) | instskip(NEXT) | instid1(VALU_DEP_4)
	v_fma_f64 v[2:3], v[93:94], v[6:7], -v[2:3]
	v_fma_f64 v[105:106], v[95:96], v[6:7], v[8:9]
	ds_load_b128 v[6:9], v1 offset:816
	ds_load_b128 v[93:96], v1 offset:832
	v_fma_f64 v[10:11], v[103:104], v[69:70], v[10:11]
	v_fma_f64 v[69:70], v[101:102], v[69:70], -v[71:72]
	s_wait_loadcnt_dscnt 0x501
	v_mul_f64_e32 v[107:108], v[6:7], v[75:76]
	v_mul_f64_e32 v[75:76], v[8:9], v[75:76]
	s_wait_loadcnt_dscnt 0x400
	v_mul_f64_e32 v[101:102], v[93:94], v[79:80]
	v_mul_f64_e32 v[79:80], v[95:96], v[79:80]
	v_add_f64_e32 v[2:3], 0, v[2:3]
	v_add_f64_e32 v[71:72], 0, v[105:106]
	v_fma_f64 v[103:104], v[8:9], v[73:74], v[107:108]
	v_fma_f64 v[73:74], v[6:7], v[73:74], -v[75:76]
	v_fma_f64 v[95:96], v[95:96], v[77:78], v[101:102]
	v_fma_f64 v[77:78], v[93:94], v[77:78], -v[79:80]
	v_add_f64_e32 v[2:3], v[2:3], v[69:70]
	v_add_f64_e32 v[10:11], v[71:72], v[10:11]
	ds_load_b128 v[6:9], v1 offset:848
	ds_load_b128 v[69:72], v1 offset:864
	s_wait_loadcnt_dscnt 0x301
	v_mul_f64_e32 v[75:76], v[6:7], v[83:84]
	v_mul_f64_e32 v[83:84], v[8:9], v[83:84]
	s_wait_loadcnt_dscnt 0x200
	v_mul_f64_e32 v[79:80], v[71:72], v[87:88]
	v_add_f64_e32 v[2:3], v[2:3], v[73:74]
	v_add_f64_e32 v[10:11], v[10:11], v[103:104]
	v_mul_f64_e32 v[73:74], v[69:70], v[87:88]
	v_fma_f64 v[75:76], v[8:9], v[81:82], v[75:76]
	v_fma_f64 v[81:82], v[6:7], v[81:82], -v[83:84]
	ds_load_b128 v[6:9], v1 offset:880
	v_fma_f64 v[69:70], v[69:70], v[85:86], -v[79:80]
	v_add_f64_e32 v[2:3], v[2:3], v[77:78]
	v_add_f64_e32 v[10:11], v[10:11], v[95:96]
	v_fma_f64 v[71:72], v[71:72], v[85:86], v[73:74]
	s_wait_loadcnt_dscnt 0x100
	v_mul_f64_e32 v[77:78], v[6:7], v[91:92]
	v_mul_f64_e32 v[83:84], v[8:9], v[91:92]
	v_add_f64_e32 v[2:3], v[2:3], v[81:82]
	v_add_f64_e32 v[10:11], v[10:11], v[75:76]
	s_delay_alu instid0(VALU_DEP_4) | instskip(NEXT) | instid1(VALU_DEP_4)
	v_fma_f64 v[8:9], v[8:9], v[89:90], v[77:78]
	v_fma_f64 v[6:7], v[6:7], v[89:90], -v[83:84]
	s_delay_alu instid0(VALU_DEP_4) | instskip(NEXT) | instid1(VALU_DEP_4)
	v_add_f64_e32 v[2:3], v[2:3], v[69:70]
	v_add_f64_e32 v[10:11], v[10:11], v[71:72]
	s_delay_alu instid0(VALU_DEP_2) | instskip(NEXT) | instid1(VALU_DEP_2)
	v_add_f64_e32 v[2:3], v[2:3], v[6:7]
	v_add_f64_e32 v[8:9], v[10:11], v[8:9]
	s_wait_loadcnt 0x0
	s_delay_alu instid0(VALU_DEP_2) | instskip(NEXT) | instid1(VALU_DEP_2)
	v_add_f64_e64 v[6:7], v[97:98], -v[2:3]
	v_add_f64_e64 v[8:9], v[99:100], -v[8:9]
	scratch_store_b128 off, v[6:9], off offset:336
	v_cmpx_lt_u32_e32 19, v0
	s_cbranch_execz .LBB27_143
; %bb.142:
	scratch_load_b128 v[6:9], off, s4
	v_dual_mov_b32 v2, v1 :: v_dual_mov_b32 v3, v1
	v_mov_b32_e32 v4, v1
	scratch_store_b128 off, v[1:4], off offset:320
	s_wait_loadcnt 0x0
	ds_store_b128 v5, v[6:9]
.LBB27_143:
	s_wait_alu 0xfffe
	s_or_b32 exec_lo, exec_lo, s0
	s_wait_storecnt_dscnt 0x0
	s_barrier_signal -1
	s_barrier_wait -1
	global_inv scope:SCOPE_SE
	s_clause 0x7
	scratch_load_b128 v[6:9], off, off offset:336
	scratch_load_b128 v[69:72], off, off offset:352
	;; [unrolled: 1-line block ×8, first 2 shown]
	ds_load_b128 v[97:100], v1 offset:768
	ds_load_b128 v[101:104], v1 offset:784
	scratch_load_b128 v[105:108], off, off offset:320
	s_mov_b32 s0, exec_lo
	s_wait_loadcnt_dscnt 0x801
	v_mul_f64_e32 v[2:3], v[99:100], v[8:9]
	v_mul_f64_e32 v[8:9], v[97:98], v[8:9]
	s_wait_loadcnt_dscnt 0x700
	v_mul_f64_e32 v[10:11], v[101:102], v[71:72]
	v_mul_f64_e32 v[71:72], v[103:104], v[71:72]
	s_delay_alu instid0(VALU_DEP_4) | instskip(NEXT) | instid1(VALU_DEP_4)
	v_fma_f64 v[2:3], v[97:98], v[6:7], -v[2:3]
	v_fma_f64 v[109:110], v[99:100], v[6:7], v[8:9]
	ds_load_b128 v[6:9], v1 offset:800
	ds_load_b128 v[97:100], v1 offset:816
	v_fma_f64 v[10:11], v[103:104], v[69:70], v[10:11]
	v_fma_f64 v[69:70], v[101:102], v[69:70], -v[71:72]
	s_wait_loadcnt_dscnt 0x601
	v_mul_f64_e32 v[111:112], v[6:7], v[75:76]
	v_mul_f64_e32 v[75:76], v[8:9], v[75:76]
	s_wait_loadcnt_dscnt 0x500
	v_mul_f64_e32 v[101:102], v[97:98], v[79:80]
	v_mul_f64_e32 v[79:80], v[99:100], v[79:80]
	v_add_f64_e32 v[2:3], 0, v[2:3]
	v_add_f64_e32 v[71:72], 0, v[109:110]
	v_fma_f64 v[103:104], v[8:9], v[73:74], v[111:112]
	v_fma_f64 v[73:74], v[6:7], v[73:74], -v[75:76]
	v_fma_f64 v[99:100], v[99:100], v[77:78], v[101:102]
	v_fma_f64 v[77:78], v[97:98], v[77:78], -v[79:80]
	v_add_f64_e32 v[2:3], v[2:3], v[69:70]
	v_add_f64_e32 v[10:11], v[71:72], v[10:11]
	ds_load_b128 v[6:9], v1 offset:832
	ds_load_b128 v[69:72], v1 offset:848
	s_wait_loadcnt_dscnt 0x401
	v_mul_f64_e32 v[75:76], v[6:7], v[83:84]
	v_mul_f64_e32 v[83:84], v[8:9], v[83:84]
	s_wait_loadcnt_dscnt 0x300
	v_mul_f64_e32 v[79:80], v[71:72], v[87:88]
	v_add_f64_e32 v[2:3], v[2:3], v[73:74]
	v_add_f64_e32 v[10:11], v[10:11], v[103:104]
	v_mul_f64_e32 v[73:74], v[69:70], v[87:88]
	v_fma_f64 v[75:76], v[8:9], v[81:82], v[75:76]
	v_fma_f64 v[81:82], v[6:7], v[81:82], -v[83:84]
	v_fma_f64 v[69:70], v[69:70], v[85:86], -v[79:80]
	v_add_f64_e32 v[77:78], v[2:3], v[77:78]
	v_add_f64_e32 v[10:11], v[10:11], v[99:100]
	ds_load_b128 v[6:9], v1 offset:864
	ds_load_b128 v[1:4], v1 offset:880
	v_fma_f64 v[71:72], v[71:72], v[85:86], v[73:74]
	s_wait_loadcnt_dscnt 0x201
	v_mul_f64_e32 v[83:84], v[6:7], v[91:92]
	v_mul_f64_e32 v[87:88], v[8:9], v[91:92]
	v_add_f64_e32 v[73:74], v[77:78], v[81:82]
	v_add_f64_e32 v[10:11], v[10:11], v[75:76]
	s_wait_loadcnt_dscnt 0x100
	v_mul_f64_e32 v[75:76], v[1:2], v[95:96]
	v_mul_f64_e32 v[77:78], v[3:4], v[95:96]
	v_fma_f64 v[8:9], v[8:9], v[89:90], v[83:84]
	v_fma_f64 v[6:7], v[6:7], v[89:90], -v[87:88]
	v_add_f64_e32 v[69:70], v[73:74], v[69:70]
	v_add_f64_e32 v[10:11], v[10:11], v[71:72]
	v_fma_f64 v[3:4], v[3:4], v[93:94], v[75:76]
	v_fma_f64 v[1:2], v[1:2], v[93:94], -v[77:78]
	s_delay_alu instid0(VALU_DEP_4) | instskip(NEXT) | instid1(VALU_DEP_4)
	v_add_f64_e32 v[6:7], v[69:70], v[6:7]
	v_add_f64_e32 v[8:9], v[10:11], v[8:9]
	s_delay_alu instid0(VALU_DEP_2) | instskip(NEXT) | instid1(VALU_DEP_2)
	v_add_f64_e32 v[1:2], v[6:7], v[1:2]
	v_add_f64_e32 v[3:4], v[8:9], v[3:4]
	s_wait_loadcnt 0x0
	s_delay_alu instid0(VALU_DEP_2) | instskip(NEXT) | instid1(VALU_DEP_2)
	v_add_f64_e64 v[1:2], v[105:106], -v[1:2]
	v_add_f64_e64 v[3:4], v[107:108], -v[3:4]
	scratch_store_b128 off, v[1:4], off offset:320
	v_cmpx_lt_u32_e32 18, v0
	s_cbranch_execz .LBB27_145
; %bb.144:
	scratch_load_b128 v[1:4], off, s35
	v_mov_b32_e32 v6, 0
	s_delay_alu instid0(VALU_DEP_1)
	v_dual_mov_b32 v7, v6 :: v_dual_mov_b32 v8, v6
	v_mov_b32_e32 v9, v6
	scratch_store_b128 off, v[6:9], off offset:304
	s_wait_loadcnt 0x0
	ds_store_b128 v5, v[1:4]
.LBB27_145:
	s_wait_alu 0xfffe
	s_or_b32 exec_lo, exec_lo, s0
	s_wait_storecnt_dscnt 0x0
	s_barrier_signal -1
	s_barrier_wait -1
	global_inv scope:SCOPE_SE
	s_clause 0x7
	scratch_load_b128 v[6:9], off, off offset:320
	scratch_load_b128 v[69:72], off, off offset:336
	;; [unrolled: 1-line block ×8, first 2 shown]
	v_mov_b32_e32 v1, 0
	s_mov_b32 s0, exec_lo
	ds_load_b128 v[97:100], v1 offset:752
	s_clause 0x1
	scratch_load_b128 v[101:104], off, off offset:448
	scratch_load_b128 v[105:108], off, off offset:304
	ds_load_b128 v[109:112], v1 offset:768
	s_wait_loadcnt_dscnt 0x901
	v_mul_f64_e32 v[2:3], v[99:100], v[8:9]
	v_mul_f64_e32 v[8:9], v[97:98], v[8:9]
	s_wait_loadcnt_dscnt 0x800
	v_mul_f64_e32 v[10:11], v[109:110], v[71:72]
	v_mul_f64_e32 v[71:72], v[111:112], v[71:72]
	s_delay_alu instid0(VALU_DEP_4) | instskip(NEXT) | instid1(VALU_DEP_4)
	v_fma_f64 v[2:3], v[97:98], v[6:7], -v[2:3]
	v_fma_f64 v[113:114], v[99:100], v[6:7], v[8:9]
	ds_load_b128 v[6:9], v1 offset:784
	ds_load_b128 v[97:100], v1 offset:800
	v_fma_f64 v[10:11], v[111:112], v[69:70], v[10:11]
	v_fma_f64 v[69:70], v[109:110], v[69:70], -v[71:72]
	s_wait_loadcnt_dscnt 0x701
	v_mul_f64_e32 v[115:116], v[6:7], v[75:76]
	v_mul_f64_e32 v[75:76], v[8:9], v[75:76]
	s_wait_loadcnt_dscnt 0x600
	v_mul_f64_e32 v[109:110], v[97:98], v[79:80]
	v_mul_f64_e32 v[79:80], v[99:100], v[79:80]
	v_add_f64_e32 v[2:3], 0, v[2:3]
	v_add_f64_e32 v[71:72], 0, v[113:114]
	v_fma_f64 v[111:112], v[8:9], v[73:74], v[115:116]
	v_fma_f64 v[73:74], v[6:7], v[73:74], -v[75:76]
	v_fma_f64 v[99:100], v[99:100], v[77:78], v[109:110]
	v_fma_f64 v[77:78], v[97:98], v[77:78], -v[79:80]
	v_add_f64_e32 v[2:3], v[2:3], v[69:70]
	v_add_f64_e32 v[10:11], v[71:72], v[10:11]
	ds_load_b128 v[6:9], v1 offset:816
	ds_load_b128 v[69:72], v1 offset:832
	s_wait_loadcnt_dscnt 0x501
	v_mul_f64_e32 v[75:76], v[6:7], v[83:84]
	v_mul_f64_e32 v[83:84], v[8:9], v[83:84]
	s_wait_loadcnt_dscnt 0x400
	v_mul_f64_e32 v[79:80], v[69:70], v[87:88]
	v_mul_f64_e32 v[87:88], v[71:72], v[87:88]
	v_add_f64_e32 v[2:3], v[2:3], v[73:74]
	v_add_f64_e32 v[10:11], v[10:11], v[111:112]
	v_fma_f64 v[97:98], v[8:9], v[81:82], v[75:76]
	v_fma_f64 v[81:82], v[6:7], v[81:82], -v[83:84]
	ds_load_b128 v[6:9], v1 offset:848
	ds_load_b128 v[73:76], v1 offset:864
	v_fma_f64 v[71:72], v[71:72], v[85:86], v[79:80]
	v_fma_f64 v[69:70], v[69:70], v[85:86], -v[87:88]
	v_add_f64_e32 v[2:3], v[2:3], v[77:78]
	v_add_f64_e32 v[10:11], v[10:11], v[99:100]
	s_wait_loadcnt_dscnt 0x301
	v_mul_f64_e32 v[77:78], v[6:7], v[91:92]
	v_mul_f64_e32 v[83:84], v[8:9], v[91:92]
	s_wait_loadcnt_dscnt 0x200
	v_mul_f64_e32 v[79:80], v[73:74], v[95:96]
	v_add_f64_e32 v[2:3], v[2:3], v[81:82]
	v_add_f64_e32 v[10:11], v[10:11], v[97:98]
	v_mul_f64_e32 v[81:82], v[75:76], v[95:96]
	v_fma_f64 v[77:78], v[8:9], v[89:90], v[77:78]
	v_fma_f64 v[83:84], v[6:7], v[89:90], -v[83:84]
	ds_load_b128 v[6:9], v1 offset:880
	v_fma_f64 v[75:76], v[75:76], v[93:94], v[79:80]
	v_add_f64_e32 v[2:3], v[2:3], v[69:70]
	v_add_f64_e32 v[10:11], v[10:11], v[71:72]
	s_wait_loadcnt_dscnt 0x100
	v_mul_f64_e32 v[69:70], v[6:7], v[103:104]
	v_mul_f64_e32 v[71:72], v[8:9], v[103:104]
	v_fma_f64 v[73:74], v[73:74], v[93:94], -v[81:82]
	v_add_f64_e32 v[2:3], v[2:3], v[83:84]
	v_add_f64_e32 v[10:11], v[10:11], v[77:78]
	v_fma_f64 v[8:9], v[8:9], v[101:102], v[69:70]
	v_fma_f64 v[6:7], v[6:7], v[101:102], -v[71:72]
	s_delay_alu instid0(VALU_DEP_4) | instskip(NEXT) | instid1(VALU_DEP_4)
	v_add_f64_e32 v[2:3], v[2:3], v[73:74]
	v_add_f64_e32 v[10:11], v[10:11], v[75:76]
	s_delay_alu instid0(VALU_DEP_2) | instskip(NEXT) | instid1(VALU_DEP_2)
	v_add_f64_e32 v[2:3], v[2:3], v[6:7]
	v_add_f64_e32 v[8:9], v[10:11], v[8:9]
	s_wait_loadcnt 0x0
	s_delay_alu instid0(VALU_DEP_2) | instskip(NEXT) | instid1(VALU_DEP_2)
	v_add_f64_e64 v[6:7], v[105:106], -v[2:3]
	v_add_f64_e64 v[8:9], v[107:108], -v[8:9]
	scratch_store_b128 off, v[6:9], off offset:304
	v_cmpx_lt_u32_e32 17, v0
	s_cbranch_execz .LBB27_147
; %bb.146:
	scratch_load_b128 v[6:9], off, s30
	v_dual_mov_b32 v2, v1 :: v_dual_mov_b32 v3, v1
	v_mov_b32_e32 v4, v1
	scratch_store_b128 off, v[1:4], off offset:288
	s_wait_loadcnt 0x0
	ds_store_b128 v5, v[6:9]
.LBB27_147:
	s_wait_alu 0xfffe
	s_or_b32 exec_lo, exec_lo, s0
	s_wait_storecnt_dscnt 0x0
	s_barrier_signal -1
	s_barrier_wait -1
	global_inv scope:SCOPE_SE
	s_clause 0x7
	scratch_load_b128 v[6:9], off, off offset:304
	scratch_load_b128 v[69:72], off, off offset:320
	;; [unrolled: 1-line block ×8, first 2 shown]
	ds_load_b128 v[97:100], v1 offset:736
	s_clause 0x1
	scratch_load_b128 v[101:104], off, off offset:432
	scratch_load_b128 v[105:108], off, off offset:448
	s_mov_b32 s0, exec_lo
	s_wait_loadcnt_dscnt 0x900
	v_mul_f64_e32 v[2:3], v[99:100], v[8:9]
	v_mul_f64_e32 v[109:110], v[97:98], v[8:9]
	ds_load_b128 v[8:11], v1 offset:752
	v_fma_f64 v[2:3], v[97:98], v[6:7], -v[2:3]
	v_fma_f64 v[6:7], v[99:100], v[6:7], v[109:110]
	ds_load_b128 v[97:100], v1 offset:768
	s_wait_loadcnt_dscnt 0x801
	v_mul_f64_e32 v[111:112], v[8:9], v[71:72]
	v_mul_f64_e32 v[71:72], v[10:11], v[71:72]
	s_wait_loadcnt_dscnt 0x700
	v_mul_f64_e32 v[109:110], v[97:98], v[75:76]
	v_mul_f64_e32 v[75:76], v[99:100], v[75:76]
	v_add_f64_e32 v[2:3], 0, v[2:3]
	v_fma_f64 v[10:11], v[10:11], v[69:70], v[111:112]
	v_fma_f64 v[69:70], v[8:9], v[69:70], -v[71:72]
	v_add_f64_e32 v[71:72], 0, v[6:7]
	ds_load_b128 v[6:9], v1 offset:784
	v_fma_f64 v[99:100], v[99:100], v[73:74], v[109:110]
	v_fma_f64 v[97:98], v[97:98], v[73:74], -v[75:76]
	scratch_load_b128 v[73:76], off, off offset:288
	v_add_f64_e32 v[2:3], v[2:3], v[69:70]
	v_add_f64_e32 v[10:11], v[71:72], v[10:11]
	ds_load_b128 v[69:72], v1 offset:800
	s_wait_loadcnt_dscnt 0x701
	v_mul_f64_e32 v[111:112], v[6:7], v[79:80]
	v_mul_f64_e32 v[79:80], v[8:9], v[79:80]
	s_wait_loadcnt_dscnt 0x600
	v_mul_f64_e32 v[109:110], v[69:70], v[83:84]
	v_mul_f64_e32 v[83:84], v[71:72], v[83:84]
	v_add_f64_e32 v[2:3], v[2:3], v[97:98]
	v_add_f64_e32 v[10:11], v[10:11], v[99:100]
	v_fma_f64 v[111:112], v[8:9], v[77:78], v[111:112]
	v_fma_f64 v[77:78], v[6:7], v[77:78], -v[79:80]
	ds_load_b128 v[6:9], v1 offset:816
	v_fma_f64 v[97:98], v[71:72], v[81:82], v[109:110]
	v_fma_f64 v[81:82], v[69:70], v[81:82], -v[83:84]
	ds_load_b128 v[69:72], v1 offset:832
	s_wait_loadcnt_dscnt 0x501
	v_mul_f64_e32 v[79:80], v[6:7], v[87:88]
	v_mul_f64_e32 v[87:88], v[8:9], v[87:88]
	v_add_f64_e32 v[10:11], v[10:11], v[111:112]
	v_add_f64_e32 v[2:3], v[2:3], v[77:78]
	s_wait_loadcnt_dscnt 0x400
	v_mul_f64_e32 v[77:78], v[69:70], v[91:92]
	v_mul_f64_e32 v[83:84], v[71:72], v[91:92]
	v_fma_f64 v[79:80], v[8:9], v[85:86], v[79:80]
	v_fma_f64 v[85:86], v[6:7], v[85:86], -v[87:88]
	ds_load_b128 v[6:9], v1 offset:848
	v_add_f64_e32 v[10:11], v[10:11], v[97:98]
	v_add_f64_e32 v[2:3], v[2:3], v[81:82]
	v_fma_f64 v[77:78], v[71:72], v[89:90], v[77:78]
	v_fma_f64 v[83:84], v[69:70], v[89:90], -v[83:84]
	ds_load_b128 v[69:72], v1 offset:864
	s_wait_loadcnt_dscnt 0x301
	v_mul_f64_e32 v[81:82], v[6:7], v[95:96]
	v_mul_f64_e32 v[87:88], v[8:9], v[95:96]
	v_add_f64_e32 v[10:11], v[10:11], v[79:80]
	v_add_f64_e32 v[2:3], v[2:3], v[85:86]
	s_wait_loadcnt_dscnt 0x200
	v_mul_f64_e32 v[79:80], v[69:70], v[103:104]
	v_mul_f64_e32 v[85:86], v[71:72], v[103:104]
	v_fma_f64 v[8:9], v[8:9], v[93:94], v[81:82]
	v_fma_f64 v[6:7], v[6:7], v[93:94], -v[87:88]
	v_add_f64_e32 v[10:11], v[10:11], v[77:78]
	v_add_f64_e32 v[81:82], v[2:3], v[83:84]
	ds_load_b128 v[1:4], v1 offset:880
	v_fma_f64 v[71:72], v[71:72], v[101:102], v[79:80]
	v_fma_f64 v[69:70], v[69:70], v[101:102], -v[85:86]
	s_wait_loadcnt_dscnt 0x100
	v_mul_f64_e32 v[77:78], v[1:2], v[107:108]
	v_mul_f64_e32 v[83:84], v[3:4], v[107:108]
	v_add_f64_e32 v[8:9], v[10:11], v[8:9]
	v_add_f64_e32 v[6:7], v[81:82], v[6:7]
	s_delay_alu instid0(VALU_DEP_4) | instskip(NEXT) | instid1(VALU_DEP_4)
	v_fma_f64 v[3:4], v[3:4], v[105:106], v[77:78]
	v_fma_f64 v[1:2], v[1:2], v[105:106], -v[83:84]
	s_delay_alu instid0(VALU_DEP_4) | instskip(NEXT) | instid1(VALU_DEP_4)
	v_add_f64_e32 v[8:9], v[8:9], v[71:72]
	v_add_f64_e32 v[6:7], v[6:7], v[69:70]
	s_delay_alu instid0(VALU_DEP_2) | instskip(NEXT) | instid1(VALU_DEP_2)
	v_add_f64_e32 v[3:4], v[8:9], v[3:4]
	v_add_f64_e32 v[1:2], v[6:7], v[1:2]
	s_wait_loadcnt 0x0
	s_delay_alu instid0(VALU_DEP_2) | instskip(NEXT) | instid1(VALU_DEP_2)
	v_add_f64_e64 v[3:4], v[75:76], -v[3:4]
	v_add_f64_e64 v[1:2], v[73:74], -v[1:2]
	scratch_store_b128 off, v[1:4], off offset:288
	v_cmpx_lt_u32_e32 16, v0
	s_cbranch_execz .LBB27_149
; %bb.148:
	scratch_load_b128 v[1:4], off, s34
	v_mov_b32_e32 v6, 0
	s_delay_alu instid0(VALU_DEP_1)
	v_dual_mov_b32 v7, v6 :: v_dual_mov_b32 v8, v6
	v_mov_b32_e32 v9, v6
	scratch_store_b128 off, v[6:9], off offset:272
	s_wait_loadcnt 0x0
	ds_store_b128 v5, v[1:4]
.LBB27_149:
	s_wait_alu 0xfffe
	s_or_b32 exec_lo, exec_lo, s0
	s_wait_storecnt_dscnt 0x0
	s_barrier_signal -1
	s_barrier_wait -1
	global_inv scope:SCOPE_SE
	s_clause 0x7
	scratch_load_b128 v[6:9], off, off offset:288
	scratch_load_b128 v[69:72], off, off offset:304
	;; [unrolled: 1-line block ×8, first 2 shown]
	v_mov_b32_e32 v1, 0
	s_clause 0x1
	scratch_load_b128 v[101:104], off, off offset:416
	scratch_load_b128 v[105:108], off, off offset:432
	s_mov_b32 s0, exec_lo
	ds_load_b128 v[97:100], v1 offset:720
	s_wait_loadcnt_dscnt 0x900
	v_mul_f64_e32 v[2:3], v[99:100], v[8:9]
	v_mul_f64_e32 v[109:110], v[97:98], v[8:9]
	ds_load_b128 v[8:11], v1 offset:736
	v_fma_f64 v[2:3], v[97:98], v[6:7], -v[2:3]
	v_fma_f64 v[6:7], v[99:100], v[6:7], v[109:110]
	ds_load_b128 v[97:100], v1 offset:752
	s_wait_loadcnt_dscnt 0x801
	v_mul_f64_e32 v[113:114], v[8:9], v[71:72]
	v_mul_f64_e32 v[71:72], v[10:11], v[71:72]
	scratch_load_b128 v[109:112], off, off offset:448
	s_wait_loadcnt_dscnt 0x800
	v_mul_f64_e32 v[115:116], v[97:98], v[75:76]
	v_mul_f64_e32 v[75:76], v[99:100], v[75:76]
	v_add_f64_e32 v[2:3], 0, v[2:3]
	v_fma_f64 v[10:11], v[10:11], v[69:70], v[113:114]
	v_fma_f64 v[69:70], v[8:9], v[69:70], -v[71:72]
	v_add_f64_e32 v[71:72], 0, v[6:7]
	ds_load_b128 v[6:9], v1 offset:768
	v_fma_f64 v[99:100], v[99:100], v[73:74], v[115:116]
	v_fma_f64 v[73:74], v[97:98], v[73:74], -v[75:76]
	v_add_f64_e32 v[2:3], v[2:3], v[69:70]
	v_add_f64_e32 v[10:11], v[71:72], v[10:11]
	ds_load_b128 v[69:72], v1 offset:784
	s_wait_loadcnt_dscnt 0x701
	v_mul_f64_e32 v[113:114], v[6:7], v[79:80]
	v_mul_f64_e32 v[79:80], v[8:9], v[79:80]
	s_wait_loadcnt_dscnt 0x600
	v_mul_f64_e32 v[97:98], v[69:70], v[83:84]
	v_mul_f64_e32 v[83:84], v[71:72], v[83:84]
	v_add_f64_e32 v[2:3], v[2:3], v[73:74]
	v_add_f64_e32 v[10:11], v[10:11], v[99:100]
	scratch_load_b128 v[73:76], off, off offset:272
	v_fma_f64 v[113:114], v[8:9], v[77:78], v[113:114]
	v_fma_f64 v[77:78], v[6:7], v[77:78], -v[79:80]
	ds_load_b128 v[6:9], v1 offset:800
	v_fma_f64 v[97:98], v[71:72], v[81:82], v[97:98]
	v_fma_f64 v[81:82], v[69:70], v[81:82], -v[83:84]
	ds_load_b128 v[69:72], v1 offset:816
	s_wait_loadcnt_dscnt 0x601
	v_mul_f64_e32 v[79:80], v[6:7], v[87:88]
	v_mul_f64_e32 v[87:88], v[8:9], v[87:88]
	v_add_f64_e32 v[10:11], v[10:11], v[113:114]
	v_add_f64_e32 v[2:3], v[2:3], v[77:78]
	s_wait_loadcnt_dscnt 0x500
	v_mul_f64_e32 v[77:78], v[69:70], v[91:92]
	v_mul_f64_e32 v[83:84], v[71:72], v[91:92]
	v_fma_f64 v[79:80], v[8:9], v[85:86], v[79:80]
	v_fma_f64 v[85:86], v[6:7], v[85:86], -v[87:88]
	ds_load_b128 v[6:9], v1 offset:832
	v_add_f64_e32 v[10:11], v[10:11], v[97:98]
	v_add_f64_e32 v[2:3], v[2:3], v[81:82]
	v_fma_f64 v[77:78], v[71:72], v[89:90], v[77:78]
	v_fma_f64 v[83:84], v[69:70], v[89:90], -v[83:84]
	ds_load_b128 v[69:72], v1 offset:848
	s_wait_loadcnt_dscnt 0x401
	v_mul_f64_e32 v[81:82], v[6:7], v[95:96]
	v_mul_f64_e32 v[87:88], v[8:9], v[95:96]
	v_add_f64_e32 v[10:11], v[10:11], v[79:80]
	v_add_f64_e32 v[2:3], v[2:3], v[85:86]
	s_wait_loadcnt_dscnt 0x300
	v_mul_f64_e32 v[79:80], v[69:70], v[103:104]
	v_mul_f64_e32 v[85:86], v[71:72], v[103:104]
	v_fma_f64 v[81:82], v[8:9], v[93:94], v[81:82]
	v_fma_f64 v[87:88], v[6:7], v[93:94], -v[87:88]
	ds_load_b128 v[6:9], v1 offset:864
	v_add_f64_e32 v[10:11], v[10:11], v[77:78]
	v_add_f64_e32 v[2:3], v[2:3], v[83:84]
	v_fma_f64 v[79:80], v[71:72], v[101:102], v[79:80]
	v_fma_f64 v[85:86], v[69:70], v[101:102], -v[85:86]
	ds_load_b128 v[69:72], v1 offset:880
	s_wait_loadcnt_dscnt 0x201
	v_mul_f64_e32 v[77:78], v[6:7], v[107:108]
	v_mul_f64_e32 v[83:84], v[8:9], v[107:108]
	v_add_f64_e32 v[10:11], v[10:11], v[81:82]
	v_add_f64_e32 v[2:3], v[2:3], v[87:88]
	s_delay_alu instid0(VALU_DEP_4) | instskip(NEXT) | instid1(VALU_DEP_4)
	v_fma_f64 v[8:9], v[8:9], v[105:106], v[77:78]
	v_fma_f64 v[6:7], v[6:7], v[105:106], -v[83:84]
	s_wait_loadcnt_dscnt 0x100
	v_mul_f64_e32 v[81:82], v[69:70], v[111:112]
	v_mul_f64_e32 v[87:88], v[71:72], v[111:112]
	v_add_f64_e32 v[10:11], v[10:11], v[79:80]
	v_add_f64_e32 v[2:3], v[2:3], v[85:86]
	s_delay_alu instid0(VALU_DEP_4) | instskip(NEXT) | instid1(VALU_DEP_4)
	v_fma_f64 v[71:72], v[71:72], v[109:110], v[81:82]
	v_fma_f64 v[69:70], v[69:70], v[109:110], -v[87:88]
	s_delay_alu instid0(VALU_DEP_3) | instskip(SKIP_1) | instid1(VALU_DEP_2)
	v_add_f64_e32 v[2:3], v[2:3], v[6:7]
	v_add_f64_e32 v[6:7], v[10:11], v[8:9]
	;; [unrolled: 1-line block ×3, first 2 shown]
	s_delay_alu instid0(VALU_DEP_2) | instskip(SKIP_1) | instid1(VALU_DEP_2)
	v_add_f64_e32 v[8:9], v[6:7], v[71:72]
	s_wait_loadcnt 0x0
	v_add_f64_e64 v[6:7], v[73:74], -v[2:3]
	s_delay_alu instid0(VALU_DEP_2)
	v_add_f64_e64 v[8:9], v[75:76], -v[8:9]
	scratch_store_b128 off, v[6:9], off offset:272
	v_cmpx_lt_u32_e32 15, v0
	s_cbranch_execz .LBB27_151
; %bb.150:
	scratch_load_b128 v[6:9], off, s29
	v_dual_mov_b32 v2, v1 :: v_dual_mov_b32 v3, v1
	v_mov_b32_e32 v4, v1
	scratch_store_b128 off, v[1:4], off offset:256
	s_wait_loadcnt 0x0
	ds_store_b128 v5, v[6:9]
.LBB27_151:
	s_wait_alu 0xfffe
	s_or_b32 exec_lo, exec_lo, s0
	s_wait_storecnt_dscnt 0x0
	s_barrier_signal -1
	s_barrier_wait -1
	global_inv scope:SCOPE_SE
	s_clause 0x7
	scratch_load_b128 v[6:9], off, off offset:272
	scratch_load_b128 v[69:72], off, off offset:288
	;; [unrolled: 1-line block ×8, first 2 shown]
	ds_load_b128 v[97:100], v1 offset:704
	s_clause 0x1
	scratch_load_b128 v[101:104], off, off offset:400
	scratch_load_b128 v[105:108], off, off offset:416
	s_mov_b32 s0, exec_lo
	s_wait_loadcnt_dscnt 0x900
	v_mul_f64_e32 v[2:3], v[99:100], v[8:9]
	v_mul_f64_e32 v[109:110], v[97:98], v[8:9]
	ds_load_b128 v[8:11], v1 offset:720
	v_fma_f64 v[2:3], v[97:98], v[6:7], -v[2:3]
	v_fma_f64 v[6:7], v[99:100], v[6:7], v[109:110]
	ds_load_b128 v[97:100], v1 offset:736
	s_wait_loadcnt_dscnt 0x801
	v_mul_f64_e32 v[113:114], v[8:9], v[71:72]
	v_mul_f64_e32 v[71:72], v[10:11], v[71:72]
	scratch_load_b128 v[109:112], off, off offset:432
	s_wait_loadcnt_dscnt 0x800
	v_mul_f64_e32 v[115:116], v[97:98], v[75:76]
	v_mul_f64_e32 v[75:76], v[99:100], v[75:76]
	v_add_f64_e32 v[2:3], 0, v[2:3]
	v_add_f64_e32 v[117:118], 0, v[6:7]
	v_fma_f64 v[10:11], v[10:11], v[69:70], v[113:114]
	v_fma_f64 v[113:114], v[8:9], v[69:70], -v[71:72]
	ds_load_b128 v[6:9], v1 offset:752
	scratch_load_b128 v[69:72], off, off offset:448
	v_fma_f64 v[99:100], v[99:100], v[73:74], v[115:116]
	v_fma_f64 v[97:98], v[97:98], v[73:74], -v[75:76]
	ds_load_b128 v[73:76], v1 offset:768
	s_wait_loadcnt_dscnt 0x801
	v_mul_f64_e32 v[119:120], v[6:7], v[79:80]
	v_mul_f64_e32 v[79:80], v[8:9], v[79:80]
	v_add_f64_e32 v[10:11], v[117:118], v[10:11]
	v_add_f64_e32 v[2:3], v[2:3], v[113:114]
	s_wait_loadcnt_dscnt 0x700
	v_mul_f64_e32 v[113:114], v[73:74], v[83:84]
	v_mul_f64_e32 v[83:84], v[75:76], v[83:84]
	v_fma_f64 v[115:116], v[8:9], v[77:78], v[119:120]
	v_fma_f64 v[77:78], v[6:7], v[77:78], -v[79:80]
	ds_load_b128 v[6:9], v1 offset:784
	v_add_f64_e32 v[10:11], v[10:11], v[99:100]
	v_add_f64_e32 v[2:3], v[2:3], v[97:98]
	v_fma_f64 v[99:100], v[75:76], v[81:82], v[113:114]
	v_fma_f64 v[81:82], v[73:74], v[81:82], -v[83:84]
	ds_load_b128 v[73:76], v1 offset:800
	s_wait_loadcnt_dscnt 0x601
	v_mul_f64_e32 v[97:98], v[6:7], v[87:88]
	v_mul_f64_e32 v[87:88], v[8:9], v[87:88]
	s_wait_loadcnt_dscnt 0x500
	v_mul_f64_e32 v[83:84], v[73:74], v[91:92]
	v_mul_f64_e32 v[91:92], v[75:76], v[91:92]
	v_add_f64_e32 v[10:11], v[10:11], v[115:116]
	v_add_f64_e32 v[2:3], v[2:3], v[77:78]
	scratch_load_b128 v[77:80], off, off offset:256
	v_fma_f64 v[97:98], v[8:9], v[85:86], v[97:98]
	v_fma_f64 v[85:86], v[6:7], v[85:86], -v[87:88]
	ds_load_b128 v[6:9], v1 offset:816
	v_fma_f64 v[83:84], v[75:76], v[89:90], v[83:84]
	v_fma_f64 v[89:90], v[73:74], v[89:90], -v[91:92]
	ds_load_b128 v[73:76], v1 offset:832
	s_wait_loadcnt_dscnt 0x501
	v_mul_f64_e32 v[87:88], v[8:9], v[95:96]
	v_add_f64_e32 v[10:11], v[10:11], v[99:100]
	v_add_f64_e32 v[2:3], v[2:3], v[81:82]
	v_mul_f64_e32 v[81:82], v[6:7], v[95:96]
	s_wait_loadcnt_dscnt 0x400
	v_mul_f64_e32 v[91:92], v[75:76], v[103:104]
	v_fma_f64 v[87:88], v[6:7], v[93:94], -v[87:88]
	v_add_f64_e32 v[10:11], v[10:11], v[97:98]
	v_add_f64_e32 v[2:3], v[2:3], v[85:86]
	v_mul_f64_e32 v[85:86], v[73:74], v[103:104]
	v_fma_f64 v[81:82], v[8:9], v[93:94], v[81:82]
	ds_load_b128 v[6:9], v1 offset:848
	v_fma_f64 v[91:92], v[73:74], v[101:102], -v[91:92]
	v_add_f64_e32 v[10:11], v[10:11], v[83:84]
	v_add_f64_e32 v[2:3], v[2:3], v[89:90]
	v_fma_f64 v[85:86], v[75:76], v[101:102], v[85:86]
	ds_load_b128 v[73:76], v1 offset:864
	s_wait_loadcnt_dscnt 0x301
	v_mul_f64_e32 v[83:84], v[6:7], v[107:108]
	v_mul_f64_e32 v[89:90], v[8:9], v[107:108]
	v_add_f64_e32 v[10:11], v[10:11], v[81:82]
	v_add_f64_e32 v[2:3], v[2:3], v[87:88]
	s_delay_alu instid0(VALU_DEP_4) | instskip(NEXT) | instid1(VALU_DEP_4)
	v_fma_f64 v[8:9], v[8:9], v[105:106], v[83:84]
	v_fma_f64 v[6:7], v[6:7], v[105:106], -v[89:90]
	s_wait_loadcnt_dscnt 0x200
	v_mul_f64_e32 v[81:82], v[73:74], v[111:112]
	v_mul_f64_e32 v[87:88], v[75:76], v[111:112]
	v_add_f64_e32 v[10:11], v[10:11], v[85:86]
	v_add_f64_e32 v[83:84], v[2:3], v[91:92]
	ds_load_b128 v[1:4], v1 offset:880
	v_fma_f64 v[75:76], v[75:76], v[109:110], v[81:82]
	v_fma_f64 v[73:74], v[73:74], v[109:110], -v[87:88]
	s_wait_loadcnt_dscnt 0x100
	v_mul_f64_e32 v[85:86], v[1:2], v[71:72]
	v_mul_f64_e32 v[71:72], v[3:4], v[71:72]
	v_add_f64_e32 v[8:9], v[10:11], v[8:9]
	v_add_f64_e32 v[6:7], v[83:84], v[6:7]
	s_delay_alu instid0(VALU_DEP_4) | instskip(NEXT) | instid1(VALU_DEP_4)
	v_fma_f64 v[3:4], v[3:4], v[69:70], v[85:86]
	v_fma_f64 v[1:2], v[1:2], v[69:70], -v[71:72]
	s_delay_alu instid0(VALU_DEP_4) | instskip(NEXT) | instid1(VALU_DEP_4)
	v_add_f64_e32 v[8:9], v[8:9], v[75:76]
	v_add_f64_e32 v[6:7], v[6:7], v[73:74]
	s_delay_alu instid0(VALU_DEP_2) | instskip(NEXT) | instid1(VALU_DEP_2)
	v_add_f64_e32 v[3:4], v[8:9], v[3:4]
	v_add_f64_e32 v[1:2], v[6:7], v[1:2]
	s_wait_loadcnt 0x0
	s_delay_alu instid0(VALU_DEP_2) | instskip(NEXT) | instid1(VALU_DEP_2)
	v_add_f64_e64 v[3:4], v[79:80], -v[3:4]
	v_add_f64_e64 v[1:2], v[77:78], -v[1:2]
	scratch_store_b128 off, v[1:4], off offset:256
	v_cmpx_lt_u32_e32 14, v0
	s_cbranch_execz .LBB27_153
; %bb.152:
	scratch_load_b128 v[1:4], off, s33
	v_mov_b32_e32 v6, 0
	s_delay_alu instid0(VALU_DEP_1)
	v_dual_mov_b32 v7, v6 :: v_dual_mov_b32 v8, v6
	v_mov_b32_e32 v9, v6
	scratch_store_b128 off, v[6:9], off offset:240
	s_wait_loadcnt 0x0
	ds_store_b128 v5, v[1:4]
.LBB27_153:
	s_wait_alu 0xfffe
	s_or_b32 exec_lo, exec_lo, s0
	s_wait_storecnt_dscnt 0x0
	s_barrier_signal -1
	s_barrier_wait -1
	global_inv scope:SCOPE_SE
	s_clause 0x7
	scratch_load_b128 v[6:9], off, off offset:256
	scratch_load_b128 v[69:72], off, off offset:272
	;; [unrolled: 1-line block ×8, first 2 shown]
	v_mov_b32_e32 v1, 0
	s_mov_b32 s0, exec_lo
	ds_load_b128 v[97:100], v1 offset:688
	s_clause 0x1
	scratch_load_b128 v[101:104], off, off offset:384
	scratch_load_b128 v[105:108], off, off offset:240
	ds_load_b128 v[109:112], v1 offset:704
	ds_load_b128 v[117:120], v1 offset:736
	s_wait_loadcnt_dscnt 0x902
	v_mul_f64_e32 v[2:3], v[99:100], v[8:9]
	v_mul_f64_e32 v[113:114], v[97:98], v[8:9]
	scratch_load_b128 v[8:11], off, off offset:400
	v_fma_f64 v[2:3], v[97:98], v[6:7], -v[2:3]
	v_fma_f64 v[6:7], v[99:100], v[6:7], v[113:114]
	ds_load_b128 v[97:100], v1 offset:720
	s_wait_loadcnt_dscnt 0x902
	v_mul_f64_e32 v[121:122], v[109:110], v[71:72]
	v_mul_f64_e32 v[71:72], v[111:112], v[71:72]
	scratch_load_b128 v[113:116], off, off offset:416
	s_wait_loadcnt_dscnt 0x900
	v_mul_f64_e32 v[123:124], v[97:98], v[75:76]
	v_mul_f64_e32 v[75:76], v[99:100], v[75:76]
	v_add_f64_e32 v[2:3], 0, v[2:3]
	v_add_f64_e32 v[6:7], 0, v[6:7]
	v_fma_f64 v[111:112], v[111:112], v[69:70], v[121:122]
	v_fma_f64 v[109:110], v[109:110], v[69:70], -v[71:72]
	scratch_load_b128 v[69:72], off, off offset:432
	v_fma_f64 v[123:124], v[99:100], v[73:74], v[123:124]
	v_fma_f64 v[125:126], v[97:98], v[73:74], -v[75:76]
	ds_load_b128 v[73:76], v1 offset:752
	s_wait_loadcnt 0x9
	v_mul_f64_e32 v[121:122], v[117:118], v[79:80]
	v_mul_f64_e32 v[79:80], v[119:120], v[79:80]
	scratch_load_b128 v[97:100], off, off offset:448
	v_add_f64_e32 v[6:7], v[6:7], v[111:112]
	v_add_f64_e32 v[2:3], v[2:3], v[109:110]
	ds_load_b128 v[109:112], v1 offset:768
	s_wait_loadcnt_dscnt 0x901
	v_mul_f64_e32 v[127:128], v[73:74], v[83:84]
	v_mul_f64_e32 v[83:84], v[75:76], v[83:84]
	v_fma_f64 v[119:120], v[119:120], v[77:78], v[121:122]
	v_fma_f64 v[77:78], v[117:118], v[77:78], -v[79:80]
	s_wait_loadcnt_dscnt 0x800
	v_mul_f64_e32 v[117:118], v[109:110], v[87:88]
	v_mul_f64_e32 v[87:88], v[111:112], v[87:88]
	v_add_f64_e32 v[6:7], v[6:7], v[123:124]
	v_add_f64_e32 v[2:3], v[2:3], v[125:126]
	v_fma_f64 v[121:122], v[75:76], v[81:82], v[127:128]
	v_fma_f64 v[81:82], v[73:74], v[81:82], -v[83:84]
	v_fma_f64 v[111:112], v[111:112], v[85:86], v[117:118]
	v_fma_f64 v[85:86], v[109:110], v[85:86], -v[87:88]
	v_add_f64_e32 v[6:7], v[6:7], v[119:120]
	v_add_f64_e32 v[2:3], v[2:3], v[77:78]
	ds_load_b128 v[73:76], v1 offset:784
	ds_load_b128 v[77:80], v1 offset:800
	s_wait_loadcnt_dscnt 0x701
	v_mul_f64_e32 v[83:84], v[73:74], v[91:92]
	v_mul_f64_e32 v[91:92], v[75:76], v[91:92]
	s_wait_loadcnt_dscnt 0x600
	v_mul_f64_e32 v[87:88], v[77:78], v[95:96]
	v_mul_f64_e32 v[95:96], v[79:80], v[95:96]
	v_add_f64_e32 v[6:7], v[6:7], v[121:122]
	v_add_f64_e32 v[2:3], v[2:3], v[81:82]
	v_fma_f64 v[109:110], v[75:76], v[89:90], v[83:84]
	v_fma_f64 v[89:90], v[73:74], v[89:90], -v[91:92]
	ds_load_b128 v[73:76], v1 offset:816
	ds_load_b128 v[81:84], v1 offset:832
	v_fma_f64 v[79:80], v[79:80], v[93:94], v[87:88]
	v_fma_f64 v[77:78], v[77:78], v[93:94], -v[95:96]
	v_add_f64_e32 v[6:7], v[6:7], v[111:112]
	v_add_f64_e32 v[2:3], v[2:3], v[85:86]
	s_wait_loadcnt_dscnt 0x501
	v_mul_f64_e32 v[85:86], v[73:74], v[103:104]
	v_mul_f64_e32 v[91:92], v[75:76], v[103:104]
	s_delay_alu instid0(VALU_DEP_4) | instskip(NEXT) | instid1(VALU_DEP_4)
	v_add_f64_e32 v[6:7], v[6:7], v[109:110]
	v_add_f64_e32 v[2:3], v[2:3], v[89:90]
	s_delay_alu instid0(VALU_DEP_4) | instskip(NEXT) | instid1(VALU_DEP_4)
	v_fma_f64 v[85:86], v[75:76], v[101:102], v[85:86]
	v_fma_f64 v[89:90], v[73:74], v[101:102], -v[91:92]
	s_wait_loadcnt_dscnt 0x300
	v_mul_f64_e32 v[87:88], v[81:82], v[10:11]
	v_mul_f64_e32 v[10:11], v[83:84], v[10:11]
	v_add_f64_e32 v[6:7], v[6:7], v[79:80]
	v_add_f64_e32 v[2:3], v[2:3], v[77:78]
	ds_load_b128 v[73:76], v1 offset:848
	ds_load_b128 v[77:80], v1 offset:864
	v_fma_f64 v[83:84], v[83:84], v[8:9], v[87:88]
	v_fma_f64 v[8:9], v[81:82], v[8:9], -v[10:11]
	s_wait_loadcnt_dscnt 0x201
	v_mul_f64_e32 v[91:92], v[73:74], v[115:116]
	v_mul_f64_e32 v[93:94], v[75:76], v[115:116]
	v_add_f64_e32 v[6:7], v[6:7], v[85:86]
	v_add_f64_e32 v[2:3], v[2:3], v[89:90]
	s_wait_loadcnt_dscnt 0x100
	v_mul_f64_e32 v[10:11], v[77:78], v[71:72]
	v_mul_f64_e32 v[71:72], v[79:80], v[71:72]
	v_fma_f64 v[75:76], v[75:76], v[113:114], v[91:92]
	v_fma_f64 v[73:74], v[73:74], v[113:114], -v[93:94]
	v_add_f64_e32 v[81:82], v[6:7], v[83:84]
	v_add_f64_e32 v[2:3], v[2:3], v[8:9]
	ds_load_b128 v[6:9], v1 offset:880
	v_fma_f64 v[10:11], v[79:80], v[69:70], v[10:11]
	v_fma_f64 v[69:70], v[77:78], v[69:70], -v[71:72]
	s_wait_loadcnt_dscnt 0x0
	v_mul_f64_e32 v[83:84], v[6:7], v[99:100]
	v_mul_f64_e32 v[85:86], v[8:9], v[99:100]
	v_add_f64_e32 v[71:72], v[81:82], v[75:76]
	v_add_f64_e32 v[2:3], v[2:3], v[73:74]
	s_delay_alu instid0(VALU_DEP_4) | instskip(NEXT) | instid1(VALU_DEP_4)
	v_fma_f64 v[8:9], v[8:9], v[97:98], v[83:84]
	v_fma_f64 v[6:7], v[6:7], v[97:98], -v[85:86]
	s_delay_alu instid0(VALU_DEP_4) | instskip(NEXT) | instid1(VALU_DEP_4)
	v_add_f64_e32 v[10:11], v[71:72], v[10:11]
	v_add_f64_e32 v[2:3], v[2:3], v[69:70]
	s_delay_alu instid0(VALU_DEP_2) | instskip(NEXT) | instid1(VALU_DEP_2)
	v_add_f64_e32 v[8:9], v[10:11], v[8:9]
	v_add_f64_e32 v[2:3], v[2:3], v[6:7]
	s_delay_alu instid0(VALU_DEP_2) | instskip(NEXT) | instid1(VALU_DEP_2)
	v_add_f64_e64 v[8:9], v[107:108], -v[8:9]
	v_add_f64_e64 v[6:7], v[105:106], -v[2:3]
	scratch_store_b128 off, v[6:9], off offset:240
	v_cmpx_lt_u32_e32 13, v0
	s_cbranch_execz .LBB27_155
; %bb.154:
	scratch_load_b128 v[6:9], off, s28
	v_dual_mov_b32 v2, v1 :: v_dual_mov_b32 v3, v1
	v_mov_b32_e32 v4, v1
	scratch_store_b128 off, v[1:4], off offset:224
	s_wait_loadcnt 0x0
	ds_store_b128 v5, v[6:9]
.LBB27_155:
	s_wait_alu 0xfffe
	s_or_b32 exec_lo, exec_lo, s0
	s_wait_storecnt_dscnt 0x0
	s_barrier_signal -1
	s_barrier_wait -1
	global_inv scope:SCOPE_SE
	s_clause 0x8
	scratch_load_b128 v[6:9], off, off offset:240
	scratch_load_b128 v[69:72], off, off offset:256
	;; [unrolled: 1-line block ×9, first 2 shown]
	ds_load_b128 v[101:104], v1 offset:672
	ds_load_b128 v[105:108], v1 offset:688
	scratch_load_b128 v[109:112], off, off offset:224
	s_mov_b32 s0, exec_lo
	ds_load_b128 v[117:120], v1 offset:720
	s_wait_loadcnt_dscnt 0x902
	v_mul_f64_e32 v[2:3], v[103:104], v[8:9]
	v_mul_f64_e32 v[113:114], v[101:102], v[8:9]
	scratch_load_b128 v[8:11], off, off offset:384
	s_wait_loadcnt_dscnt 0x901
	v_mul_f64_e32 v[121:122], v[105:106], v[71:72]
	v_mul_f64_e32 v[71:72], v[107:108], v[71:72]
	v_fma_f64 v[2:3], v[101:102], v[6:7], -v[2:3]
	v_fma_f64 v[6:7], v[103:104], v[6:7], v[113:114]
	ds_load_b128 v[101:104], v1 offset:704
	scratch_load_b128 v[113:116], off, off offset:400
	v_fma_f64 v[107:108], v[107:108], v[69:70], v[121:122]
	v_fma_f64 v[105:106], v[105:106], v[69:70], -v[71:72]
	scratch_load_b128 v[69:72], off, off offset:416
	s_wait_loadcnt_dscnt 0x901
	v_mul_f64_e32 v[121:122], v[117:118], v[79:80]
	v_mul_f64_e32 v[79:80], v[119:120], v[79:80]
	s_wait_dscnt 0x0
	v_mul_f64_e32 v[123:124], v[101:102], v[75:76]
	v_mul_f64_e32 v[75:76], v[103:104], v[75:76]
	v_add_f64_e32 v[2:3], 0, v[2:3]
	v_add_f64_e32 v[6:7], 0, v[6:7]
	v_fma_f64 v[119:120], v[119:120], v[77:78], v[121:122]
	v_fma_f64 v[117:118], v[117:118], v[77:78], -v[79:80]
	scratch_load_b128 v[77:80], off, off offset:448
	v_fma_f64 v[123:124], v[103:104], v[73:74], v[123:124]
	v_fma_f64 v[125:126], v[101:102], v[73:74], -v[75:76]
	ds_load_b128 v[73:76], v1 offset:736
	scratch_load_b128 v[101:104], off, off offset:432
	v_add_f64_e32 v[2:3], v[2:3], v[105:106]
	v_add_f64_e32 v[6:7], v[6:7], v[107:108]
	ds_load_b128 v[105:108], v1 offset:752
	s_wait_loadcnt_dscnt 0xa01
	v_mul_f64_e32 v[127:128], v[73:74], v[83:84]
	v_mul_f64_e32 v[83:84], v[75:76], v[83:84]
	s_wait_loadcnt_dscnt 0x900
	v_mul_f64_e32 v[121:122], v[105:106], v[87:88]
	v_mul_f64_e32 v[87:88], v[107:108], v[87:88]
	v_add_f64_e32 v[2:3], v[2:3], v[125:126]
	v_add_f64_e32 v[6:7], v[6:7], v[123:124]
	v_fma_f64 v[123:124], v[75:76], v[81:82], v[127:128]
	v_fma_f64 v[125:126], v[73:74], v[81:82], -v[83:84]
	ds_load_b128 v[73:76], v1 offset:768
	ds_load_b128 v[81:84], v1 offset:784
	v_fma_f64 v[107:108], v[107:108], v[85:86], v[121:122]
	v_fma_f64 v[85:86], v[105:106], v[85:86], -v[87:88]
	s_wait_loadcnt_dscnt 0x700
	v_mul_f64_e32 v[105:106], v[81:82], v[95:96]
	v_mul_f64_e32 v[95:96], v[83:84], v[95:96]
	v_add_f64_e32 v[2:3], v[2:3], v[117:118]
	v_add_f64_e32 v[6:7], v[6:7], v[119:120]
	v_mul_f64_e32 v[117:118], v[73:74], v[91:92]
	v_mul_f64_e32 v[91:92], v[75:76], v[91:92]
	v_fma_f64 v[83:84], v[83:84], v[93:94], v[105:106]
	v_fma_f64 v[81:82], v[81:82], v[93:94], -v[95:96]
	v_add_f64_e32 v[2:3], v[2:3], v[125:126]
	v_add_f64_e32 v[6:7], v[6:7], v[123:124]
	v_fma_f64 v[117:118], v[75:76], v[89:90], v[117:118]
	v_fma_f64 v[89:90], v[73:74], v[89:90], -v[91:92]
	s_delay_alu instid0(VALU_DEP_4) | instskip(NEXT) | instid1(VALU_DEP_4)
	v_add_f64_e32 v[2:3], v[2:3], v[85:86]
	v_add_f64_e32 v[6:7], v[6:7], v[107:108]
	ds_load_b128 v[73:76], v1 offset:800
	ds_load_b128 v[85:88], v1 offset:816
	s_wait_loadcnt_dscnt 0x601
	v_mul_f64_e32 v[91:92], v[73:74], v[99:100]
	v_mul_f64_e32 v[99:100], v[75:76], v[99:100]
	v_add_f64_e32 v[2:3], v[2:3], v[89:90]
	v_add_f64_e32 v[6:7], v[6:7], v[117:118]
	s_wait_loadcnt_dscnt 0x400
	v_mul_f64_e32 v[89:90], v[85:86], v[10:11]
	v_mul_f64_e32 v[10:11], v[87:88], v[10:11]
	v_fma_f64 v[91:92], v[75:76], v[97:98], v[91:92]
	v_fma_f64 v[93:94], v[73:74], v[97:98], -v[99:100]
	v_add_f64_e32 v[2:3], v[2:3], v[81:82]
	v_add_f64_e32 v[6:7], v[6:7], v[83:84]
	ds_load_b128 v[73:76], v1 offset:832
	ds_load_b128 v[81:84], v1 offset:848
	v_fma_f64 v[87:88], v[87:88], v[8:9], v[89:90]
	v_fma_f64 v[8:9], v[85:86], v[8:9], -v[10:11]
	s_wait_loadcnt_dscnt 0x301
	v_mul_f64_e32 v[95:96], v[73:74], v[115:116]
	v_mul_f64_e32 v[97:98], v[75:76], v[115:116]
	s_wait_loadcnt_dscnt 0x200
	v_mul_f64_e32 v[10:11], v[81:82], v[71:72]
	v_mul_f64_e32 v[71:72], v[83:84], v[71:72]
	v_add_f64_e32 v[2:3], v[2:3], v[93:94]
	v_add_f64_e32 v[6:7], v[6:7], v[91:92]
	v_fma_f64 v[75:76], v[75:76], v[113:114], v[95:96]
	v_fma_f64 v[73:74], v[73:74], v[113:114], -v[97:98]
	v_fma_f64 v[10:11], v[83:84], v[69:70], v[10:11]
	v_fma_f64 v[69:70], v[81:82], v[69:70], -v[71:72]
	v_add_f64_e32 v[85:86], v[2:3], v[8:9]
	v_add_f64_e32 v[87:88], v[6:7], v[87:88]
	ds_load_b128 v[6:9], v1 offset:864
	ds_load_b128 v[1:4], v1 offset:880
	s_wait_loadcnt_dscnt 0x1
	v_mul_f64_e32 v[89:90], v[6:7], v[103:104]
	v_mul_f64_e32 v[91:92], v[8:9], v[103:104]
	v_add_f64_e32 v[71:72], v[85:86], v[73:74]
	v_add_f64_e32 v[73:74], v[87:88], v[75:76]
	s_wait_dscnt 0x0
	v_mul_f64_e32 v[75:76], v[1:2], v[79:80]
	v_mul_f64_e32 v[79:80], v[3:4], v[79:80]
	v_fma_f64 v[8:9], v[8:9], v[101:102], v[89:90]
	v_fma_f64 v[6:7], v[6:7], v[101:102], -v[91:92]
	v_add_f64_e32 v[69:70], v[71:72], v[69:70]
	v_add_f64_e32 v[10:11], v[73:74], v[10:11]
	v_fma_f64 v[3:4], v[3:4], v[77:78], v[75:76]
	v_fma_f64 v[1:2], v[1:2], v[77:78], -v[79:80]
	s_delay_alu instid0(VALU_DEP_4) | instskip(NEXT) | instid1(VALU_DEP_4)
	v_add_f64_e32 v[6:7], v[69:70], v[6:7]
	v_add_f64_e32 v[8:9], v[10:11], v[8:9]
	s_delay_alu instid0(VALU_DEP_2) | instskip(NEXT) | instid1(VALU_DEP_2)
	v_add_f64_e32 v[1:2], v[6:7], v[1:2]
	v_add_f64_e32 v[3:4], v[8:9], v[3:4]
	s_delay_alu instid0(VALU_DEP_2) | instskip(NEXT) | instid1(VALU_DEP_2)
	v_add_f64_e64 v[1:2], v[109:110], -v[1:2]
	v_add_f64_e64 v[3:4], v[111:112], -v[3:4]
	scratch_store_b128 off, v[1:4], off offset:224
	v_cmpx_lt_u32_e32 12, v0
	s_cbranch_execz .LBB27_157
; %bb.156:
	scratch_load_b128 v[1:4], off, s31
	v_mov_b32_e32 v6, 0
	s_delay_alu instid0(VALU_DEP_1)
	v_dual_mov_b32 v7, v6 :: v_dual_mov_b32 v8, v6
	v_mov_b32_e32 v9, v6
	scratch_store_b128 off, v[6:9], off offset:208
	s_wait_loadcnt 0x0
	ds_store_b128 v5, v[1:4]
.LBB27_157:
	s_wait_alu 0xfffe
	s_or_b32 exec_lo, exec_lo, s0
	s_wait_storecnt_dscnt 0x0
	s_barrier_signal -1
	s_barrier_wait -1
	global_inv scope:SCOPE_SE
	s_clause 0x7
	scratch_load_b128 v[6:9], off, off offset:224
	scratch_load_b128 v[69:72], off, off offset:240
	;; [unrolled: 1-line block ×8, first 2 shown]
	v_mov_b32_e32 v1, 0
	s_mov_b32 s0, exec_lo
	ds_load_b128 v[97:100], v1 offset:656
	s_clause 0x1
	scratch_load_b128 v[101:104], off, off offset:352
	scratch_load_b128 v[105:108], off, off offset:208
	ds_load_b128 v[109:112], v1 offset:672
	ds_load_b128 v[117:120], v1 offset:704
	s_wait_loadcnt_dscnt 0x902
	v_mul_f64_e32 v[2:3], v[99:100], v[8:9]
	v_mul_f64_e32 v[113:114], v[97:98], v[8:9]
	scratch_load_b128 v[8:11], off, off offset:368
	v_fma_f64 v[2:3], v[97:98], v[6:7], -v[2:3]
	v_fma_f64 v[6:7], v[99:100], v[6:7], v[113:114]
	ds_load_b128 v[97:100], v1 offset:688
	s_wait_loadcnt_dscnt 0x902
	v_mul_f64_e32 v[121:122], v[109:110], v[71:72]
	v_mul_f64_e32 v[71:72], v[111:112], v[71:72]
	scratch_load_b128 v[113:116], off, off offset:384
	s_wait_loadcnt_dscnt 0x900
	v_mul_f64_e32 v[123:124], v[97:98], v[75:76]
	v_mul_f64_e32 v[75:76], v[99:100], v[75:76]
	v_add_f64_e32 v[2:3], 0, v[2:3]
	v_add_f64_e32 v[6:7], 0, v[6:7]
	v_fma_f64 v[111:112], v[111:112], v[69:70], v[121:122]
	v_fma_f64 v[109:110], v[109:110], v[69:70], -v[71:72]
	scratch_load_b128 v[69:72], off, off offset:400
	v_fma_f64 v[123:124], v[99:100], v[73:74], v[123:124]
	v_fma_f64 v[125:126], v[97:98], v[73:74], -v[75:76]
	ds_load_b128 v[73:76], v1 offset:720
	s_wait_loadcnt 0x9
	v_mul_f64_e32 v[121:122], v[117:118], v[79:80]
	v_mul_f64_e32 v[79:80], v[119:120], v[79:80]
	scratch_load_b128 v[97:100], off, off offset:416
	v_add_f64_e32 v[6:7], v[6:7], v[111:112]
	v_add_f64_e32 v[2:3], v[2:3], v[109:110]
	ds_load_b128 v[109:112], v1 offset:736
	s_wait_loadcnt_dscnt 0x901
	v_mul_f64_e32 v[127:128], v[73:74], v[83:84]
	v_mul_f64_e32 v[83:84], v[75:76], v[83:84]
	v_fma_f64 v[119:120], v[119:120], v[77:78], v[121:122]
	v_fma_f64 v[117:118], v[117:118], v[77:78], -v[79:80]
	scratch_load_b128 v[77:80], off, off offset:432
	v_add_f64_e32 v[6:7], v[6:7], v[123:124]
	v_add_f64_e32 v[2:3], v[2:3], v[125:126]
	v_fma_f64 v[123:124], v[75:76], v[81:82], v[127:128]
	v_fma_f64 v[125:126], v[73:74], v[81:82], -v[83:84]
	ds_load_b128 v[73:76], v1 offset:752
	s_wait_loadcnt_dscnt 0x901
	v_mul_f64_e32 v[121:122], v[109:110], v[87:88]
	v_mul_f64_e32 v[87:88], v[111:112], v[87:88]
	scratch_load_b128 v[81:84], off, off offset:448
	s_wait_loadcnt_dscnt 0x900
	v_mul_f64_e32 v[127:128], v[73:74], v[91:92]
	v_mul_f64_e32 v[91:92], v[75:76], v[91:92]
	v_add_f64_e32 v[6:7], v[6:7], v[119:120]
	v_add_f64_e32 v[2:3], v[2:3], v[117:118]
	ds_load_b128 v[117:120], v1 offset:768
	v_fma_f64 v[111:112], v[111:112], v[85:86], v[121:122]
	v_fma_f64 v[85:86], v[109:110], v[85:86], -v[87:88]
	s_wait_loadcnt_dscnt 0x800
	v_mul_f64_e32 v[109:110], v[117:118], v[95:96]
	v_mul_f64_e32 v[95:96], v[119:120], v[95:96]
	v_fma_f64 v[121:122], v[75:76], v[89:90], v[127:128]
	v_fma_f64 v[89:90], v[73:74], v[89:90], -v[91:92]
	v_add_f64_e32 v[6:7], v[6:7], v[123:124]
	v_add_f64_e32 v[2:3], v[2:3], v[125:126]
	v_fma_f64 v[109:110], v[119:120], v[93:94], v[109:110]
	v_fma_f64 v[93:94], v[117:118], v[93:94], -v[95:96]
	s_delay_alu instid0(VALU_DEP_4) | instskip(NEXT) | instid1(VALU_DEP_4)
	v_add_f64_e32 v[6:7], v[6:7], v[111:112]
	v_add_f64_e32 v[2:3], v[2:3], v[85:86]
	ds_load_b128 v[73:76], v1 offset:784
	ds_load_b128 v[85:88], v1 offset:800
	s_wait_loadcnt_dscnt 0x701
	v_mul_f64_e32 v[91:92], v[73:74], v[103:104]
	v_mul_f64_e32 v[103:104], v[75:76], v[103:104]
	v_add_f64_e32 v[6:7], v[6:7], v[121:122]
	v_add_f64_e32 v[2:3], v[2:3], v[89:90]
	s_wait_loadcnt_dscnt 0x500
	v_mul_f64_e32 v[95:96], v[85:86], v[10:11]
	v_mul_f64_e32 v[10:11], v[87:88], v[10:11]
	v_fma_f64 v[111:112], v[75:76], v[101:102], v[91:92]
	v_fma_f64 v[101:102], v[73:74], v[101:102], -v[103:104]
	ds_load_b128 v[73:76], v1 offset:816
	ds_load_b128 v[89:92], v1 offset:832
	v_add_f64_e32 v[6:7], v[6:7], v[109:110]
	v_add_f64_e32 v[2:3], v[2:3], v[93:94]
	v_fma_f64 v[87:88], v[87:88], v[8:9], v[95:96]
	v_fma_f64 v[8:9], v[85:86], v[8:9], -v[10:11]
	s_wait_loadcnt_dscnt 0x401
	v_mul_f64_e32 v[93:94], v[73:74], v[115:116]
	v_mul_f64_e32 v[103:104], v[75:76], v[115:116]
	v_add_f64_e32 v[6:7], v[6:7], v[111:112]
	v_add_f64_e32 v[2:3], v[2:3], v[101:102]
	s_wait_loadcnt_dscnt 0x300
	v_mul_f64_e32 v[10:11], v[89:90], v[71:72]
	v_mul_f64_e32 v[85:86], v[91:92], v[71:72]
	v_fma_f64 v[75:76], v[75:76], v[113:114], v[93:94]
	v_fma_f64 v[93:94], v[73:74], v[113:114], -v[103:104]
	v_add_f64_e32 v[87:88], v[6:7], v[87:88]
	v_add_f64_e32 v[2:3], v[2:3], v[8:9]
	ds_load_b128 v[6:9], v1 offset:848
	ds_load_b128 v[71:74], v1 offset:864
	v_fma_f64 v[10:11], v[91:92], v[69:70], v[10:11]
	v_fma_f64 v[69:70], v[89:90], v[69:70], -v[85:86]
	s_wait_loadcnt_dscnt 0x201
	v_mul_f64_e32 v[95:96], v[6:7], v[99:100]
	v_mul_f64_e32 v[99:100], v[8:9], v[99:100]
	v_add_f64_e32 v[75:76], v[87:88], v[75:76]
	v_add_f64_e32 v[2:3], v[2:3], v[93:94]
	s_wait_loadcnt_dscnt 0x100
	v_mul_f64_e32 v[85:86], v[71:72], v[79:80]
	v_mul_f64_e32 v[79:80], v[73:74], v[79:80]
	v_fma_f64 v[87:88], v[8:9], v[97:98], v[95:96]
	v_fma_f64 v[89:90], v[6:7], v[97:98], -v[99:100]
	ds_load_b128 v[6:9], v1 offset:880
	v_add_f64_e32 v[10:11], v[75:76], v[10:11]
	v_add_f64_e32 v[2:3], v[2:3], v[69:70]
	v_fma_f64 v[73:74], v[73:74], v[77:78], v[85:86]
	v_fma_f64 v[71:72], v[71:72], v[77:78], -v[79:80]
	s_wait_loadcnt_dscnt 0x0
	v_mul_f64_e32 v[69:70], v[6:7], v[83:84]
	v_mul_f64_e32 v[75:76], v[8:9], v[83:84]
	v_add_f64_e32 v[10:11], v[10:11], v[87:88]
	v_add_f64_e32 v[2:3], v[2:3], v[89:90]
	s_delay_alu instid0(VALU_DEP_4) | instskip(NEXT) | instid1(VALU_DEP_4)
	v_fma_f64 v[8:9], v[8:9], v[81:82], v[69:70]
	v_fma_f64 v[6:7], v[6:7], v[81:82], -v[75:76]
	s_delay_alu instid0(VALU_DEP_4) | instskip(NEXT) | instid1(VALU_DEP_4)
	v_add_f64_e32 v[10:11], v[10:11], v[73:74]
	v_add_f64_e32 v[2:3], v[2:3], v[71:72]
	s_delay_alu instid0(VALU_DEP_2) | instskip(NEXT) | instid1(VALU_DEP_2)
	v_add_f64_e32 v[8:9], v[10:11], v[8:9]
	v_add_f64_e32 v[2:3], v[2:3], v[6:7]
	s_delay_alu instid0(VALU_DEP_2) | instskip(NEXT) | instid1(VALU_DEP_2)
	v_add_f64_e64 v[8:9], v[107:108], -v[8:9]
	v_add_f64_e64 v[6:7], v[105:106], -v[2:3]
	scratch_store_b128 off, v[6:9], off offset:208
	v_cmpx_lt_u32_e32 11, v0
	s_cbranch_execz .LBB27_159
; %bb.158:
	scratch_load_b128 v[6:9], off, s14
	v_dual_mov_b32 v2, v1 :: v_dual_mov_b32 v3, v1
	v_mov_b32_e32 v4, v1
	scratch_store_b128 off, v[1:4], off offset:192
	s_wait_loadcnt 0x0
	ds_store_b128 v5, v[6:9]
.LBB27_159:
	s_wait_alu 0xfffe
	s_or_b32 exec_lo, exec_lo, s0
	s_wait_storecnt_dscnt 0x0
	s_barrier_signal -1
	s_barrier_wait -1
	global_inv scope:SCOPE_SE
	s_clause 0x8
	scratch_load_b128 v[6:9], off, off offset:208
	scratch_load_b128 v[69:72], off, off offset:224
	;; [unrolled: 1-line block ×9, first 2 shown]
	ds_load_b128 v[101:104], v1 offset:640
	ds_load_b128 v[105:108], v1 offset:656
	scratch_load_b128 v[109:112], off, off offset:192
	s_mov_b32 s0, exec_lo
	ds_load_b128 v[117:120], v1 offset:688
	s_wait_loadcnt_dscnt 0x902
	v_mul_f64_e32 v[2:3], v[103:104], v[8:9]
	v_mul_f64_e32 v[113:114], v[101:102], v[8:9]
	scratch_load_b128 v[8:11], off, off offset:352
	s_wait_loadcnt_dscnt 0x901
	v_mul_f64_e32 v[121:122], v[105:106], v[71:72]
	v_mul_f64_e32 v[71:72], v[107:108], v[71:72]
	v_fma_f64 v[2:3], v[101:102], v[6:7], -v[2:3]
	v_fma_f64 v[6:7], v[103:104], v[6:7], v[113:114]
	ds_load_b128 v[101:104], v1 offset:672
	scratch_load_b128 v[113:116], off, off offset:368
	v_fma_f64 v[107:108], v[107:108], v[69:70], v[121:122]
	v_fma_f64 v[105:106], v[105:106], v[69:70], -v[71:72]
	scratch_load_b128 v[69:72], off, off offset:384
	s_wait_loadcnt_dscnt 0x901
	v_mul_f64_e32 v[121:122], v[117:118], v[79:80]
	v_mul_f64_e32 v[79:80], v[119:120], v[79:80]
	s_wait_dscnt 0x0
	v_mul_f64_e32 v[123:124], v[101:102], v[75:76]
	v_mul_f64_e32 v[75:76], v[103:104], v[75:76]
	v_add_f64_e32 v[2:3], 0, v[2:3]
	v_add_f64_e32 v[6:7], 0, v[6:7]
	v_fma_f64 v[119:120], v[119:120], v[77:78], v[121:122]
	v_fma_f64 v[117:118], v[117:118], v[77:78], -v[79:80]
	scratch_load_b128 v[77:80], off, off offset:416
	v_fma_f64 v[123:124], v[103:104], v[73:74], v[123:124]
	v_fma_f64 v[125:126], v[101:102], v[73:74], -v[75:76]
	ds_load_b128 v[73:76], v1 offset:704
	scratch_load_b128 v[101:104], off, off offset:400
	v_add_f64_e32 v[2:3], v[2:3], v[105:106]
	v_add_f64_e32 v[6:7], v[6:7], v[107:108]
	ds_load_b128 v[105:108], v1 offset:720
	s_wait_loadcnt_dscnt 0xa01
	v_mul_f64_e32 v[127:128], v[73:74], v[83:84]
	v_mul_f64_e32 v[83:84], v[75:76], v[83:84]
	s_wait_loadcnt_dscnt 0x900
	v_mul_f64_e32 v[121:122], v[105:106], v[87:88]
	v_mul_f64_e32 v[87:88], v[107:108], v[87:88]
	v_add_f64_e32 v[2:3], v[2:3], v[125:126]
	v_add_f64_e32 v[6:7], v[6:7], v[123:124]
	v_fma_f64 v[123:124], v[75:76], v[81:82], v[127:128]
	v_fma_f64 v[125:126], v[73:74], v[81:82], -v[83:84]
	ds_load_b128 v[73:76], v1 offset:736
	scratch_load_b128 v[81:84], off, off offset:432
	v_fma_f64 v[107:108], v[107:108], v[85:86], v[121:122]
	v_fma_f64 v[105:106], v[105:106], v[85:86], -v[87:88]
	scratch_load_b128 v[85:88], off, off offset:448
	v_add_f64_e32 v[2:3], v[2:3], v[117:118]
	v_add_f64_e32 v[6:7], v[6:7], v[119:120]
	ds_load_b128 v[117:120], v1 offset:752
	s_wait_loadcnt_dscnt 0xa01
	v_mul_f64_e32 v[127:128], v[73:74], v[91:92]
	v_mul_f64_e32 v[91:92], v[75:76], v[91:92]
	s_wait_loadcnt_dscnt 0x900
	v_mul_f64_e32 v[121:122], v[117:118], v[95:96]
	v_mul_f64_e32 v[95:96], v[119:120], v[95:96]
	v_add_f64_e32 v[2:3], v[2:3], v[125:126]
	v_add_f64_e32 v[6:7], v[6:7], v[123:124]
	v_fma_f64 v[123:124], v[75:76], v[89:90], v[127:128]
	v_fma_f64 v[125:126], v[73:74], v[89:90], -v[91:92]
	ds_load_b128 v[73:76], v1 offset:768
	ds_load_b128 v[89:92], v1 offset:784
	v_add_f64_e32 v[2:3], v[2:3], v[105:106]
	v_add_f64_e32 v[6:7], v[6:7], v[107:108]
	s_wait_loadcnt_dscnt 0x801
	v_mul_f64_e32 v[105:106], v[73:74], v[99:100]
	v_mul_f64_e32 v[99:100], v[75:76], v[99:100]
	v_fma_f64 v[107:108], v[119:120], v[93:94], v[121:122]
	v_fma_f64 v[93:94], v[117:118], v[93:94], -v[95:96]
	v_add_f64_e32 v[2:3], v[2:3], v[125:126]
	v_add_f64_e32 v[6:7], v[6:7], v[123:124]
	v_fma_f64 v[105:106], v[75:76], v[97:98], v[105:106]
	v_fma_f64 v[97:98], v[73:74], v[97:98], -v[99:100]
	s_wait_loadcnt_dscnt 0x600
	v_mul_f64_e32 v[117:118], v[89:90], v[10:11]
	v_mul_f64_e32 v[10:11], v[91:92], v[10:11]
	v_add_f64_e32 v[2:3], v[2:3], v[93:94]
	v_add_f64_e32 v[6:7], v[6:7], v[107:108]
	ds_load_b128 v[73:76], v1 offset:800
	ds_load_b128 v[93:96], v1 offset:816
	v_fma_f64 v[91:92], v[91:92], v[8:9], v[117:118]
	v_fma_f64 v[8:9], v[89:90], v[8:9], -v[10:11]
	s_wait_loadcnt_dscnt 0x501
	v_mul_f64_e32 v[99:100], v[73:74], v[115:116]
	v_mul_f64_e32 v[107:108], v[75:76], v[115:116]
	s_wait_loadcnt_dscnt 0x400
	v_mul_f64_e32 v[10:11], v[93:94], v[71:72]
	v_mul_f64_e32 v[89:90], v[95:96], v[71:72]
	v_add_f64_e32 v[2:3], v[2:3], v[97:98]
	v_add_f64_e32 v[6:7], v[6:7], v[105:106]
	v_fma_f64 v[75:76], v[75:76], v[113:114], v[99:100]
	v_fma_f64 v[97:98], v[73:74], v[113:114], -v[107:108]
	v_fma_f64 v[10:11], v[95:96], v[69:70], v[10:11]
	v_fma_f64 v[69:70], v[93:94], v[69:70], -v[89:90]
	v_add_f64_e32 v[2:3], v[2:3], v[8:9]
	v_add_f64_e32 v[91:92], v[6:7], v[91:92]
	ds_load_b128 v[6:9], v1 offset:832
	ds_load_b128 v[71:74], v1 offset:848
	s_wait_loadcnt_dscnt 0x201
	v_mul_f64_e32 v[99:100], v[6:7], v[103:104]
	v_mul_f64_e32 v[103:104], v[8:9], v[103:104]
	s_wait_dscnt 0x0
	v_mul_f64_e32 v[89:90], v[71:72], v[79:80]
	v_mul_f64_e32 v[79:80], v[73:74], v[79:80]
	v_add_f64_e32 v[2:3], v[2:3], v[97:98]
	v_add_f64_e32 v[75:76], v[91:92], v[75:76]
	v_fma_f64 v[91:92], v[8:9], v[101:102], v[99:100]
	v_fma_f64 v[93:94], v[6:7], v[101:102], -v[103:104]
	v_fma_f64 v[73:74], v[73:74], v[77:78], v[89:90]
	v_fma_f64 v[71:72], v[71:72], v[77:78], -v[79:80]
	v_add_f64_e32 v[69:70], v[2:3], v[69:70]
	v_add_f64_e32 v[10:11], v[75:76], v[10:11]
	ds_load_b128 v[6:9], v1 offset:864
	ds_load_b128 v[1:4], v1 offset:880
	s_wait_loadcnt_dscnt 0x101
	v_mul_f64_e32 v[75:76], v[6:7], v[83:84]
	v_mul_f64_e32 v[83:84], v[8:9], v[83:84]
	s_wait_loadcnt_dscnt 0x0
	v_mul_f64_e32 v[77:78], v[1:2], v[87:88]
	v_mul_f64_e32 v[79:80], v[3:4], v[87:88]
	v_add_f64_e32 v[69:70], v[69:70], v[93:94]
	v_add_f64_e32 v[10:11], v[10:11], v[91:92]
	v_fma_f64 v[8:9], v[8:9], v[81:82], v[75:76]
	v_fma_f64 v[6:7], v[6:7], v[81:82], -v[83:84]
	v_fma_f64 v[3:4], v[3:4], v[85:86], v[77:78]
	v_fma_f64 v[1:2], v[1:2], v[85:86], -v[79:80]
	v_add_f64_e32 v[69:70], v[69:70], v[71:72]
	v_add_f64_e32 v[10:11], v[10:11], v[73:74]
	s_delay_alu instid0(VALU_DEP_2) | instskip(NEXT) | instid1(VALU_DEP_2)
	v_add_f64_e32 v[6:7], v[69:70], v[6:7]
	v_add_f64_e32 v[8:9], v[10:11], v[8:9]
	s_delay_alu instid0(VALU_DEP_2) | instskip(NEXT) | instid1(VALU_DEP_2)
	;; [unrolled: 3-line block ×3, first 2 shown]
	v_add_f64_e64 v[1:2], v[109:110], -v[1:2]
	v_add_f64_e64 v[3:4], v[111:112], -v[3:4]
	scratch_store_b128 off, v[1:4], off offset:192
	v_cmpx_lt_u32_e32 10, v0
	s_cbranch_execz .LBB27_161
; %bb.160:
	scratch_load_b128 v[1:4], off, s20
	v_mov_b32_e32 v6, 0
	s_delay_alu instid0(VALU_DEP_1)
	v_dual_mov_b32 v7, v6 :: v_dual_mov_b32 v8, v6
	v_mov_b32_e32 v9, v6
	scratch_store_b128 off, v[6:9], off offset:176
	s_wait_loadcnt 0x0
	ds_store_b128 v5, v[1:4]
.LBB27_161:
	s_wait_alu 0xfffe
	s_or_b32 exec_lo, exec_lo, s0
	s_wait_storecnt_dscnt 0x0
	s_barrier_signal -1
	s_barrier_wait -1
	global_inv scope:SCOPE_SE
	s_clause 0x7
	scratch_load_b128 v[6:9], off, off offset:192
	scratch_load_b128 v[69:72], off, off offset:208
	scratch_load_b128 v[73:76], off, off offset:224
	scratch_load_b128 v[77:80], off, off offset:240
	scratch_load_b128 v[81:84], off, off offset:256
	scratch_load_b128 v[85:88], off, off offset:272
	scratch_load_b128 v[89:92], off, off offset:288
	scratch_load_b128 v[93:96], off, off offset:304
	v_mov_b32_e32 v1, 0
	s_mov_b32 s0, exec_lo
	ds_load_b128 v[97:100], v1 offset:624
	s_clause 0x1
	scratch_load_b128 v[101:104], off, off offset:320
	scratch_load_b128 v[105:108], off, off offset:176
	ds_load_b128 v[109:112], v1 offset:640
	ds_load_b128 v[117:120], v1 offset:672
	s_wait_loadcnt_dscnt 0x902
	v_mul_f64_e32 v[2:3], v[99:100], v[8:9]
	v_mul_f64_e32 v[113:114], v[97:98], v[8:9]
	scratch_load_b128 v[8:11], off, off offset:336
	v_fma_f64 v[2:3], v[97:98], v[6:7], -v[2:3]
	v_fma_f64 v[6:7], v[99:100], v[6:7], v[113:114]
	ds_load_b128 v[97:100], v1 offset:656
	s_wait_loadcnt_dscnt 0x902
	v_mul_f64_e32 v[121:122], v[109:110], v[71:72]
	v_mul_f64_e32 v[71:72], v[111:112], v[71:72]
	scratch_load_b128 v[113:116], off, off offset:352
	s_wait_loadcnt_dscnt 0x900
	v_mul_f64_e32 v[123:124], v[97:98], v[75:76]
	v_mul_f64_e32 v[75:76], v[99:100], v[75:76]
	v_add_f64_e32 v[2:3], 0, v[2:3]
	v_add_f64_e32 v[6:7], 0, v[6:7]
	v_fma_f64 v[111:112], v[111:112], v[69:70], v[121:122]
	v_fma_f64 v[109:110], v[109:110], v[69:70], -v[71:72]
	scratch_load_b128 v[69:72], off, off offset:368
	v_fma_f64 v[123:124], v[99:100], v[73:74], v[123:124]
	v_fma_f64 v[125:126], v[97:98], v[73:74], -v[75:76]
	ds_load_b128 v[73:76], v1 offset:688
	s_wait_loadcnt 0x9
	v_mul_f64_e32 v[121:122], v[117:118], v[79:80]
	v_mul_f64_e32 v[79:80], v[119:120], v[79:80]
	scratch_load_b128 v[97:100], off, off offset:384
	v_add_f64_e32 v[6:7], v[6:7], v[111:112]
	v_add_f64_e32 v[2:3], v[2:3], v[109:110]
	ds_load_b128 v[109:112], v1 offset:704
	s_wait_loadcnt_dscnt 0x901
	v_mul_f64_e32 v[127:128], v[73:74], v[83:84]
	v_mul_f64_e32 v[83:84], v[75:76], v[83:84]
	v_fma_f64 v[119:120], v[119:120], v[77:78], v[121:122]
	v_fma_f64 v[117:118], v[117:118], v[77:78], -v[79:80]
	scratch_load_b128 v[77:80], off, off offset:400
	v_add_f64_e32 v[6:7], v[6:7], v[123:124]
	v_add_f64_e32 v[2:3], v[2:3], v[125:126]
	v_fma_f64 v[123:124], v[75:76], v[81:82], v[127:128]
	v_fma_f64 v[125:126], v[73:74], v[81:82], -v[83:84]
	ds_load_b128 v[73:76], v1 offset:720
	s_wait_loadcnt_dscnt 0x901
	v_mul_f64_e32 v[121:122], v[109:110], v[87:88]
	v_mul_f64_e32 v[87:88], v[111:112], v[87:88]
	scratch_load_b128 v[81:84], off, off offset:416
	s_wait_loadcnt_dscnt 0x900
	v_mul_f64_e32 v[127:128], v[73:74], v[91:92]
	v_mul_f64_e32 v[91:92], v[75:76], v[91:92]
	v_add_f64_e32 v[6:7], v[6:7], v[119:120]
	v_add_f64_e32 v[2:3], v[2:3], v[117:118]
	ds_load_b128 v[117:120], v1 offset:736
	v_fma_f64 v[111:112], v[111:112], v[85:86], v[121:122]
	v_fma_f64 v[109:110], v[109:110], v[85:86], -v[87:88]
	scratch_load_b128 v[85:88], off, off offset:432
	v_add_f64_e32 v[6:7], v[6:7], v[123:124]
	v_add_f64_e32 v[2:3], v[2:3], v[125:126]
	v_fma_f64 v[123:124], v[75:76], v[89:90], v[127:128]
	v_fma_f64 v[125:126], v[73:74], v[89:90], -v[91:92]
	ds_load_b128 v[73:76], v1 offset:752
	s_wait_loadcnt_dscnt 0x901
	v_mul_f64_e32 v[121:122], v[117:118], v[95:96]
	v_mul_f64_e32 v[95:96], v[119:120], v[95:96]
	scratch_load_b128 v[89:92], off, off offset:448
	s_wait_loadcnt_dscnt 0x900
	v_mul_f64_e32 v[127:128], v[73:74], v[103:104]
	v_mul_f64_e32 v[103:104], v[75:76], v[103:104]
	v_add_f64_e32 v[6:7], v[6:7], v[111:112]
	v_add_f64_e32 v[2:3], v[2:3], v[109:110]
	ds_load_b128 v[109:112], v1 offset:768
	v_fma_f64 v[119:120], v[119:120], v[93:94], v[121:122]
	v_fma_f64 v[93:94], v[117:118], v[93:94], -v[95:96]
	v_fma_f64 v[121:122], v[75:76], v[101:102], v[127:128]
	v_fma_f64 v[101:102], v[73:74], v[101:102], -v[103:104]
	v_add_f64_e32 v[6:7], v[6:7], v[123:124]
	v_add_f64_e32 v[2:3], v[2:3], v[125:126]
	s_wait_loadcnt_dscnt 0x700
	v_mul_f64_e32 v[117:118], v[109:110], v[10:11]
	v_mul_f64_e32 v[10:11], v[111:112], v[10:11]
	s_delay_alu instid0(VALU_DEP_4) | instskip(NEXT) | instid1(VALU_DEP_4)
	v_add_f64_e32 v[6:7], v[6:7], v[119:120]
	v_add_f64_e32 v[2:3], v[2:3], v[93:94]
	ds_load_b128 v[73:76], v1 offset:784
	ds_load_b128 v[93:96], v1 offset:800
	v_fma_f64 v[111:112], v[111:112], v[8:9], v[117:118]
	v_fma_f64 v[8:9], v[109:110], v[8:9], -v[10:11]
	s_wait_loadcnt_dscnt 0x601
	v_mul_f64_e32 v[103:104], v[73:74], v[115:116]
	v_mul_f64_e32 v[115:116], v[75:76], v[115:116]
	v_add_f64_e32 v[6:7], v[6:7], v[121:122]
	v_add_f64_e32 v[2:3], v[2:3], v[101:102]
	s_wait_loadcnt_dscnt 0x500
	v_mul_f64_e32 v[10:11], v[93:94], v[71:72]
	v_mul_f64_e32 v[101:102], v[95:96], v[71:72]
	v_fma_f64 v[75:76], v[75:76], v[113:114], v[103:104]
	v_fma_f64 v[103:104], v[73:74], v[113:114], -v[115:116]
	v_add_f64_e32 v[109:110], v[6:7], v[111:112]
	v_add_f64_e32 v[2:3], v[2:3], v[8:9]
	ds_load_b128 v[6:9], v1 offset:816
	ds_load_b128 v[71:74], v1 offset:832
	v_fma_f64 v[10:11], v[95:96], v[69:70], v[10:11]
	v_fma_f64 v[69:70], v[93:94], v[69:70], -v[101:102]
	s_wait_loadcnt_dscnt 0x401
	v_mul_f64_e32 v[111:112], v[6:7], v[99:100]
	v_mul_f64_e32 v[99:100], v[8:9], v[99:100]
	v_add_f64_e32 v[75:76], v[109:110], v[75:76]
	v_add_f64_e32 v[2:3], v[2:3], v[103:104]
	s_wait_loadcnt_dscnt 0x300
	v_mul_f64_e32 v[101:102], v[71:72], v[79:80]
	v_mul_f64_e32 v[79:80], v[73:74], v[79:80]
	v_fma_f64 v[103:104], v[8:9], v[97:98], v[111:112]
	v_fma_f64 v[97:98], v[6:7], v[97:98], -v[99:100]
	ds_load_b128 v[6:9], v1 offset:848
	ds_load_b128 v[93:96], v1 offset:864
	v_add_f64_e32 v[10:11], v[75:76], v[10:11]
	v_add_f64_e32 v[2:3], v[2:3], v[69:70]
	v_fma_f64 v[73:74], v[73:74], v[77:78], v[101:102]
	v_fma_f64 v[71:72], v[71:72], v[77:78], -v[79:80]
	s_wait_loadcnt_dscnt 0x201
	v_mul_f64_e32 v[69:70], v[6:7], v[83:84]
	v_mul_f64_e32 v[75:76], v[8:9], v[83:84]
	s_wait_loadcnt_dscnt 0x100
	v_mul_f64_e32 v[77:78], v[93:94], v[87:88]
	v_mul_f64_e32 v[79:80], v[95:96], v[87:88]
	v_add_f64_e32 v[10:11], v[10:11], v[103:104]
	v_add_f64_e32 v[2:3], v[2:3], v[97:98]
	v_fma_f64 v[69:70], v[8:9], v[81:82], v[69:70]
	v_fma_f64 v[75:76], v[6:7], v[81:82], -v[75:76]
	ds_load_b128 v[6:9], v1 offset:880
	v_fma_f64 v[77:78], v[95:96], v[85:86], v[77:78]
	v_fma_f64 v[79:80], v[93:94], v[85:86], -v[79:80]
	v_add_f64_e32 v[10:11], v[10:11], v[73:74]
	v_add_f64_e32 v[2:3], v[2:3], v[71:72]
	s_wait_loadcnt_dscnt 0x0
	v_mul_f64_e32 v[71:72], v[6:7], v[91:92]
	v_mul_f64_e32 v[73:74], v[8:9], v[91:92]
	s_delay_alu instid0(VALU_DEP_4) | instskip(NEXT) | instid1(VALU_DEP_4)
	v_add_f64_e32 v[10:11], v[10:11], v[69:70]
	v_add_f64_e32 v[2:3], v[2:3], v[75:76]
	s_delay_alu instid0(VALU_DEP_4) | instskip(NEXT) | instid1(VALU_DEP_4)
	v_fma_f64 v[8:9], v[8:9], v[89:90], v[71:72]
	v_fma_f64 v[6:7], v[6:7], v[89:90], -v[73:74]
	s_delay_alu instid0(VALU_DEP_4) | instskip(NEXT) | instid1(VALU_DEP_4)
	v_add_f64_e32 v[10:11], v[10:11], v[77:78]
	v_add_f64_e32 v[2:3], v[2:3], v[79:80]
	s_delay_alu instid0(VALU_DEP_2) | instskip(NEXT) | instid1(VALU_DEP_2)
	v_add_f64_e32 v[8:9], v[10:11], v[8:9]
	v_add_f64_e32 v[2:3], v[2:3], v[6:7]
	s_delay_alu instid0(VALU_DEP_2) | instskip(NEXT) | instid1(VALU_DEP_2)
	v_add_f64_e64 v[8:9], v[107:108], -v[8:9]
	v_add_f64_e64 v[6:7], v[105:106], -v[2:3]
	scratch_store_b128 off, v[6:9], off offset:176
	v_cmpx_lt_u32_e32 9, v0
	s_cbranch_execz .LBB27_163
; %bb.162:
	scratch_load_b128 v[6:9], off, s22
	v_dual_mov_b32 v2, v1 :: v_dual_mov_b32 v3, v1
	v_mov_b32_e32 v4, v1
	scratch_store_b128 off, v[1:4], off offset:160
	s_wait_loadcnt 0x0
	ds_store_b128 v5, v[6:9]
.LBB27_163:
	s_wait_alu 0xfffe
	s_or_b32 exec_lo, exec_lo, s0
	s_wait_storecnt_dscnt 0x0
	s_barrier_signal -1
	s_barrier_wait -1
	global_inv scope:SCOPE_SE
	s_clause 0x8
	scratch_load_b128 v[6:9], off, off offset:176
	scratch_load_b128 v[69:72], off, off offset:192
	;; [unrolled: 1-line block ×9, first 2 shown]
	ds_load_b128 v[101:104], v1 offset:608
	ds_load_b128 v[105:108], v1 offset:624
	scratch_load_b128 v[109:112], off, off offset:160
	s_mov_b32 s0, exec_lo
	ds_load_b128 v[117:120], v1 offset:656
	s_wait_loadcnt_dscnt 0x902
	v_mul_f64_e32 v[2:3], v[103:104], v[8:9]
	v_mul_f64_e32 v[113:114], v[101:102], v[8:9]
	scratch_load_b128 v[8:11], off, off offset:320
	s_wait_loadcnt_dscnt 0x901
	v_mul_f64_e32 v[121:122], v[105:106], v[71:72]
	v_mul_f64_e32 v[71:72], v[107:108], v[71:72]
	v_fma_f64 v[2:3], v[101:102], v[6:7], -v[2:3]
	v_fma_f64 v[6:7], v[103:104], v[6:7], v[113:114]
	ds_load_b128 v[101:104], v1 offset:640
	scratch_load_b128 v[113:116], off, off offset:336
	v_fma_f64 v[107:108], v[107:108], v[69:70], v[121:122]
	v_fma_f64 v[105:106], v[105:106], v[69:70], -v[71:72]
	scratch_load_b128 v[69:72], off, off offset:352
	s_wait_loadcnt_dscnt 0x901
	v_mul_f64_e32 v[121:122], v[117:118], v[79:80]
	v_mul_f64_e32 v[79:80], v[119:120], v[79:80]
	s_wait_dscnt 0x0
	v_mul_f64_e32 v[123:124], v[101:102], v[75:76]
	v_mul_f64_e32 v[75:76], v[103:104], v[75:76]
	v_add_f64_e32 v[2:3], 0, v[2:3]
	v_add_f64_e32 v[6:7], 0, v[6:7]
	v_fma_f64 v[119:120], v[119:120], v[77:78], v[121:122]
	v_fma_f64 v[117:118], v[117:118], v[77:78], -v[79:80]
	scratch_load_b128 v[77:80], off, off offset:384
	v_fma_f64 v[123:124], v[103:104], v[73:74], v[123:124]
	v_fma_f64 v[125:126], v[101:102], v[73:74], -v[75:76]
	ds_load_b128 v[73:76], v1 offset:672
	scratch_load_b128 v[101:104], off, off offset:368
	v_add_f64_e32 v[2:3], v[2:3], v[105:106]
	v_add_f64_e32 v[6:7], v[6:7], v[107:108]
	ds_load_b128 v[105:108], v1 offset:688
	s_wait_loadcnt_dscnt 0xa01
	v_mul_f64_e32 v[127:128], v[73:74], v[83:84]
	v_mul_f64_e32 v[83:84], v[75:76], v[83:84]
	s_wait_loadcnt_dscnt 0x900
	v_mul_f64_e32 v[121:122], v[105:106], v[87:88]
	v_mul_f64_e32 v[87:88], v[107:108], v[87:88]
	v_add_f64_e32 v[2:3], v[2:3], v[125:126]
	v_add_f64_e32 v[6:7], v[6:7], v[123:124]
	v_fma_f64 v[123:124], v[75:76], v[81:82], v[127:128]
	v_fma_f64 v[125:126], v[73:74], v[81:82], -v[83:84]
	ds_load_b128 v[73:76], v1 offset:704
	scratch_load_b128 v[81:84], off, off offset:400
	v_fma_f64 v[107:108], v[107:108], v[85:86], v[121:122]
	v_fma_f64 v[105:106], v[105:106], v[85:86], -v[87:88]
	scratch_load_b128 v[85:88], off, off offset:416
	v_add_f64_e32 v[2:3], v[2:3], v[117:118]
	v_add_f64_e32 v[6:7], v[6:7], v[119:120]
	ds_load_b128 v[117:120], v1 offset:720
	s_wait_loadcnt_dscnt 0xa01
	v_mul_f64_e32 v[127:128], v[73:74], v[91:92]
	v_mul_f64_e32 v[91:92], v[75:76], v[91:92]
	s_wait_loadcnt_dscnt 0x900
	v_mul_f64_e32 v[121:122], v[117:118], v[95:96]
	v_mul_f64_e32 v[95:96], v[119:120], v[95:96]
	v_add_f64_e32 v[2:3], v[2:3], v[125:126]
	v_add_f64_e32 v[6:7], v[6:7], v[123:124]
	v_fma_f64 v[123:124], v[75:76], v[89:90], v[127:128]
	v_fma_f64 v[125:126], v[73:74], v[89:90], -v[91:92]
	ds_load_b128 v[73:76], v1 offset:736
	scratch_load_b128 v[89:92], off, off offset:432
	v_fma_f64 v[119:120], v[119:120], v[93:94], v[121:122]
	v_fma_f64 v[117:118], v[117:118], v[93:94], -v[95:96]
	scratch_load_b128 v[93:96], off, off offset:448
	v_add_f64_e32 v[2:3], v[2:3], v[105:106]
	v_add_f64_e32 v[6:7], v[6:7], v[107:108]
	ds_load_b128 v[105:108], v1 offset:752
	s_wait_loadcnt_dscnt 0xa01
	v_mul_f64_e32 v[127:128], v[73:74], v[99:100]
	v_mul_f64_e32 v[99:100], v[75:76], v[99:100]
	v_add_f64_e32 v[2:3], v[2:3], v[125:126]
	v_add_f64_e32 v[6:7], v[6:7], v[123:124]
	s_delay_alu instid0(VALU_DEP_4) | instskip(NEXT) | instid1(VALU_DEP_4)
	v_fma_f64 v[123:124], v[75:76], v[97:98], v[127:128]
	v_fma_f64 v[125:126], v[73:74], v[97:98], -v[99:100]
	ds_load_b128 v[73:76], v1 offset:768
	ds_load_b128 v[97:100], v1 offset:784
	s_wait_loadcnt_dscnt 0x802
	v_mul_f64_e32 v[121:122], v[105:106], v[10:11]
	v_mul_f64_e32 v[10:11], v[107:108], v[10:11]
	v_add_f64_e32 v[2:3], v[2:3], v[117:118]
	v_add_f64_e32 v[6:7], v[6:7], v[119:120]
	s_delay_alu instid0(VALU_DEP_4)
	v_fma_f64 v[107:108], v[107:108], v[8:9], v[121:122]
	s_wait_loadcnt_dscnt 0x701
	v_mul_f64_e32 v[117:118], v[73:74], v[115:116]
	v_mul_f64_e32 v[115:116], v[75:76], v[115:116]
	v_fma_f64 v[8:9], v[105:106], v[8:9], -v[10:11]
	s_wait_loadcnt_dscnt 0x600
	v_mul_f64_e32 v[10:11], v[97:98], v[71:72]
	v_mul_f64_e32 v[105:106], v[99:100], v[71:72]
	v_add_f64_e32 v[2:3], v[2:3], v[125:126]
	v_add_f64_e32 v[6:7], v[6:7], v[123:124]
	v_fma_f64 v[75:76], v[75:76], v[113:114], v[117:118]
	v_fma_f64 v[113:114], v[73:74], v[113:114], -v[115:116]
	v_fma_f64 v[10:11], v[99:100], v[69:70], v[10:11]
	v_fma_f64 v[69:70], v[97:98], v[69:70], -v[105:106]
	v_add_f64_e32 v[2:3], v[2:3], v[8:9]
	v_add_f64_e32 v[107:108], v[6:7], v[107:108]
	ds_load_b128 v[6:9], v1 offset:800
	ds_load_b128 v[71:74], v1 offset:816
	s_wait_loadcnt_dscnt 0x401
	v_mul_f64_e32 v[115:116], v[6:7], v[103:104]
	v_mul_f64_e32 v[103:104], v[8:9], v[103:104]
	s_wait_dscnt 0x0
	v_mul_f64_e32 v[105:106], v[71:72], v[79:80]
	v_mul_f64_e32 v[79:80], v[73:74], v[79:80]
	v_add_f64_e32 v[2:3], v[2:3], v[113:114]
	v_add_f64_e32 v[75:76], v[107:108], v[75:76]
	v_fma_f64 v[107:108], v[8:9], v[101:102], v[115:116]
	v_fma_f64 v[101:102], v[6:7], v[101:102], -v[103:104]
	ds_load_b128 v[6:9], v1 offset:832
	ds_load_b128 v[97:100], v1 offset:848
	v_fma_f64 v[73:74], v[73:74], v[77:78], v[105:106]
	v_fma_f64 v[71:72], v[71:72], v[77:78], -v[79:80]
	v_add_f64_e32 v[2:3], v[2:3], v[69:70]
	v_add_f64_e32 v[10:11], v[75:76], v[10:11]
	s_wait_loadcnt_dscnt 0x301
	v_mul_f64_e32 v[69:70], v[6:7], v[83:84]
	v_mul_f64_e32 v[75:76], v[8:9], v[83:84]
	s_wait_loadcnt_dscnt 0x200
	v_mul_f64_e32 v[77:78], v[97:98], v[87:88]
	v_mul_f64_e32 v[79:80], v[99:100], v[87:88]
	v_add_f64_e32 v[2:3], v[2:3], v[101:102]
	v_add_f64_e32 v[10:11], v[10:11], v[107:108]
	v_fma_f64 v[69:70], v[8:9], v[81:82], v[69:70]
	v_fma_f64 v[75:76], v[6:7], v[81:82], -v[75:76]
	v_fma_f64 v[77:78], v[99:100], v[85:86], v[77:78]
	v_fma_f64 v[79:80], v[97:98], v[85:86], -v[79:80]
	v_add_f64_e32 v[71:72], v[2:3], v[71:72]
	v_add_f64_e32 v[10:11], v[10:11], v[73:74]
	ds_load_b128 v[6:9], v1 offset:864
	ds_load_b128 v[1:4], v1 offset:880
	s_wait_loadcnt_dscnt 0x101
	v_mul_f64_e32 v[73:74], v[6:7], v[91:92]
	v_mul_f64_e32 v[81:82], v[8:9], v[91:92]
	v_add_f64_e32 v[71:72], v[71:72], v[75:76]
	v_add_f64_e32 v[10:11], v[10:11], v[69:70]
	s_wait_loadcnt_dscnt 0x0
	v_mul_f64_e32 v[69:70], v[1:2], v[95:96]
	v_mul_f64_e32 v[75:76], v[3:4], v[95:96]
	v_fma_f64 v[8:9], v[8:9], v[89:90], v[73:74]
	v_fma_f64 v[6:7], v[6:7], v[89:90], -v[81:82]
	v_add_f64_e32 v[71:72], v[71:72], v[79:80]
	v_add_f64_e32 v[10:11], v[10:11], v[77:78]
	v_fma_f64 v[3:4], v[3:4], v[93:94], v[69:70]
	v_fma_f64 v[1:2], v[1:2], v[93:94], -v[75:76]
	s_delay_alu instid0(VALU_DEP_4) | instskip(NEXT) | instid1(VALU_DEP_4)
	v_add_f64_e32 v[6:7], v[71:72], v[6:7]
	v_add_f64_e32 v[8:9], v[10:11], v[8:9]
	s_delay_alu instid0(VALU_DEP_2) | instskip(NEXT) | instid1(VALU_DEP_2)
	v_add_f64_e32 v[1:2], v[6:7], v[1:2]
	v_add_f64_e32 v[3:4], v[8:9], v[3:4]
	s_delay_alu instid0(VALU_DEP_2) | instskip(NEXT) | instid1(VALU_DEP_2)
	v_add_f64_e64 v[1:2], v[109:110], -v[1:2]
	v_add_f64_e64 v[3:4], v[111:112], -v[3:4]
	scratch_store_b128 off, v[1:4], off offset:160
	v_cmpx_lt_u32_e32 8, v0
	s_cbranch_execz .LBB27_165
; %bb.164:
	scratch_load_b128 v[1:4], off, s23
	v_mov_b32_e32 v6, 0
	s_delay_alu instid0(VALU_DEP_1)
	v_dual_mov_b32 v7, v6 :: v_dual_mov_b32 v8, v6
	v_mov_b32_e32 v9, v6
	scratch_store_b128 off, v[6:9], off offset:144
	s_wait_loadcnt 0x0
	ds_store_b128 v5, v[1:4]
.LBB27_165:
	s_wait_alu 0xfffe
	s_or_b32 exec_lo, exec_lo, s0
	s_wait_storecnt_dscnt 0x0
	s_barrier_signal -1
	s_barrier_wait -1
	global_inv scope:SCOPE_SE
	s_clause 0x7
	scratch_load_b128 v[6:9], off, off offset:160
	scratch_load_b128 v[69:72], off, off offset:176
	;; [unrolled: 1-line block ×8, first 2 shown]
	v_mov_b32_e32 v1, 0
	s_mov_b32 s0, exec_lo
	ds_load_b128 v[97:100], v1 offset:592
	s_clause 0x1
	scratch_load_b128 v[101:104], off, off offset:288
	scratch_load_b128 v[105:108], off, off offset:144
	ds_load_b128 v[109:112], v1 offset:608
	ds_load_b128 v[117:120], v1 offset:640
	s_wait_loadcnt_dscnt 0x902
	v_mul_f64_e32 v[2:3], v[99:100], v[8:9]
	v_mul_f64_e32 v[113:114], v[97:98], v[8:9]
	scratch_load_b128 v[8:11], off, off offset:304
	v_fma_f64 v[2:3], v[97:98], v[6:7], -v[2:3]
	v_fma_f64 v[6:7], v[99:100], v[6:7], v[113:114]
	ds_load_b128 v[97:100], v1 offset:624
	s_wait_loadcnt_dscnt 0x902
	v_mul_f64_e32 v[121:122], v[109:110], v[71:72]
	v_mul_f64_e32 v[71:72], v[111:112], v[71:72]
	scratch_load_b128 v[113:116], off, off offset:320
	s_wait_loadcnt_dscnt 0x900
	v_mul_f64_e32 v[123:124], v[97:98], v[75:76]
	v_mul_f64_e32 v[75:76], v[99:100], v[75:76]
	v_add_f64_e32 v[2:3], 0, v[2:3]
	v_add_f64_e32 v[6:7], 0, v[6:7]
	v_fma_f64 v[111:112], v[111:112], v[69:70], v[121:122]
	v_fma_f64 v[109:110], v[109:110], v[69:70], -v[71:72]
	scratch_load_b128 v[69:72], off, off offset:336
	v_fma_f64 v[123:124], v[99:100], v[73:74], v[123:124]
	v_fma_f64 v[125:126], v[97:98], v[73:74], -v[75:76]
	ds_load_b128 v[73:76], v1 offset:656
	s_wait_loadcnt 0x9
	v_mul_f64_e32 v[121:122], v[117:118], v[79:80]
	v_mul_f64_e32 v[79:80], v[119:120], v[79:80]
	scratch_load_b128 v[97:100], off, off offset:352
	v_add_f64_e32 v[6:7], v[6:7], v[111:112]
	v_add_f64_e32 v[2:3], v[2:3], v[109:110]
	ds_load_b128 v[109:112], v1 offset:672
	s_wait_loadcnt_dscnt 0x901
	v_mul_f64_e32 v[127:128], v[73:74], v[83:84]
	v_mul_f64_e32 v[83:84], v[75:76], v[83:84]
	v_fma_f64 v[119:120], v[119:120], v[77:78], v[121:122]
	v_fma_f64 v[117:118], v[117:118], v[77:78], -v[79:80]
	scratch_load_b128 v[77:80], off, off offset:368
	v_add_f64_e32 v[6:7], v[6:7], v[123:124]
	v_add_f64_e32 v[2:3], v[2:3], v[125:126]
	v_fma_f64 v[123:124], v[75:76], v[81:82], v[127:128]
	v_fma_f64 v[125:126], v[73:74], v[81:82], -v[83:84]
	ds_load_b128 v[73:76], v1 offset:688
	s_wait_loadcnt_dscnt 0x901
	v_mul_f64_e32 v[121:122], v[109:110], v[87:88]
	v_mul_f64_e32 v[87:88], v[111:112], v[87:88]
	scratch_load_b128 v[81:84], off, off offset:384
	s_wait_loadcnt_dscnt 0x900
	v_mul_f64_e32 v[127:128], v[73:74], v[91:92]
	v_mul_f64_e32 v[91:92], v[75:76], v[91:92]
	v_add_f64_e32 v[6:7], v[6:7], v[119:120]
	v_add_f64_e32 v[2:3], v[2:3], v[117:118]
	ds_load_b128 v[117:120], v1 offset:704
	v_fma_f64 v[111:112], v[111:112], v[85:86], v[121:122]
	v_fma_f64 v[109:110], v[109:110], v[85:86], -v[87:88]
	scratch_load_b128 v[85:88], off, off offset:400
	v_add_f64_e32 v[6:7], v[6:7], v[123:124]
	v_add_f64_e32 v[2:3], v[2:3], v[125:126]
	v_fma_f64 v[123:124], v[75:76], v[89:90], v[127:128]
	v_fma_f64 v[125:126], v[73:74], v[89:90], -v[91:92]
	ds_load_b128 v[73:76], v1 offset:720
	s_wait_loadcnt_dscnt 0x901
	v_mul_f64_e32 v[121:122], v[117:118], v[95:96]
	v_mul_f64_e32 v[95:96], v[119:120], v[95:96]
	scratch_load_b128 v[89:92], off, off offset:416
	s_wait_loadcnt_dscnt 0x900
	v_mul_f64_e32 v[127:128], v[73:74], v[103:104]
	v_mul_f64_e32 v[103:104], v[75:76], v[103:104]
	v_add_f64_e32 v[6:7], v[6:7], v[111:112]
	v_add_f64_e32 v[2:3], v[2:3], v[109:110]
	ds_load_b128 v[109:112], v1 offset:736
	v_fma_f64 v[119:120], v[119:120], v[93:94], v[121:122]
	v_fma_f64 v[117:118], v[117:118], v[93:94], -v[95:96]
	scratch_load_b128 v[93:96], off, off offset:432
	v_add_f64_e32 v[6:7], v[6:7], v[123:124]
	v_add_f64_e32 v[2:3], v[2:3], v[125:126]
	v_fma_f64 v[123:124], v[75:76], v[101:102], v[127:128]
	v_fma_f64 v[125:126], v[73:74], v[101:102], -v[103:104]
	ds_load_b128 v[73:76], v1 offset:752
	scratch_load_b128 v[101:104], off, off offset:448
	s_wait_loadcnt_dscnt 0x901
	v_mul_f64_e32 v[121:122], v[109:110], v[10:11]
	v_mul_f64_e32 v[10:11], v[111:112], v[10:11]
	v_add_f64_e32 v[6:7], v[6:7], v[119:120]
	v_add_f64_e32 v[2:3], v[2:3], v[117:118]
	ds_load_b128 v[117:120], v1 offset:768
	v_fma_f64 v[111:112], v[111:112], v[8:9], v[121:122]
	v_fma_f64 v[8:9], v[109:110], v[8:9], -v[10:11]
	s_wait_loadcnt_dscnt 0x801
	v_mul_f64_e32 v[127:128], v[73:74], v[115:116]
	v_mul_f64_e32 v[115:116], v[75:76], v[115:116]
	v_add_f64_e32 v[6:7], v[6:7], v[123:124]
	v_add_f64_e32 v[2:3], v[2:3], v[125:126]
	s_wait_loadcnt_dscnt 0x700
	v_mul_f64_e32 v[10:11], v[117:118], v[71:72]
	v_mul_f64_e32 v[109:110], v[119:120], v[71:72]
	v_fma_f64 v[75:76], v[75:76], v[113:114], v[127:128]
	v_fma_f64 v[113:114], v[73:74], v[113:114], -v[115:116]
	v_add_f64_e32 v[111:112], v[6:7], v[111:112]
	v_add_f64_e32 v[2:3], v[2:3], v[8:9]
	ds_load_b128 v[6:9], v1 offset:784
	ds_load_b128 v[71:74], v1 offset:800
	v_fma_f64 v[10:11], v[119:120], v[69:70], v[10:11]
	v_fma_f64 v[69:70], v[117:118], v[69:70], -v[109:110]
	s_wait_loadcnt_dscnt 0x601
	v_mul_f64_e32 v[115:116], v[6:7], v[99:100]
	v_mul_f64_e32 v[99:100], v[8:9], v[99:100]
	v_add_f64_e32 v[75:76], v[111:112], v[75:76]
	v_add_f64_e32 v[2:3], v[2:3], v[113:114]
	s_wait_loadcnt_dscnt 0x500
	v_mul_f64_e32 v[109:110], v[71:72], v[79:80]
	v_mul_f64_e32 v[79:80], v[73:74], v[79:80]
	v_fma_f64 v[111:112], v[8:9], v[97:98], v[115:116]
	v_fma_f64 v[113:114], v[6:7], v[97:98], -v[99:100]
	ds_load_b128 v[6:9], v1 offset:816
	ds_load_b128 v[97:100], v1 offset:832
	v_add_f64_e32 v[10:11], v[75:76], v[10:11]
	v_add_f64_e32 v[2:3], v[2:3], v[69:70]
	v_fma_f64 v[73:74], v[73:74], v[77:78], v[109:110]
	v_fma_f64 v[71:72], v[71:72], v[77:78], -v[79:80]
	s_wait_loadcnt_dscnt 0x401
	v_mul_f64_e32 v[69:70], v[6:7], v[83:84]
	v_mul_f64_e32 v[75:76], v[8:9], v[83:84]
	s_wait_loadcnt_dscnt 0x300
	v_mul_f64_e32 v[77:78], v[97:98], v[87:88]
	v_mul_f64_e32 v[79:80], v[99:100], v[87:88]
	v_add_f64_e32 v[10:11], v[10:11], v[111:112]
	v_add_f64_e32 v[2:3], v[2:3], v[113:114]
	v_fma_f64 v[83:84], v[8:9], v[81:82], v[69:70]
	v_fma_f64 v[75:76], v[6:7], v[81:82], -v[75:76]
	v_fma_f64 v[77:78], v[99:100], v[85:86], v[77:78]
	v_fma_f64 v[79:80], v[97:98], v[85:86], -v[79:80]
	v_add_f64_e32 v[10:11], v[10:11], v[73:74]
	v_add_f64_e32 v[2:3], v[2:3], v[71:72]
	ds_load_b128 v[6:9], v1 offset:848
	ds_load_b128 v[69:72], v1 offset:864
	s_wait_loadcnt_dscnt 0x201
	v_mul_f64_e32 v[73:74], v[6:7], v[91:92]
	v_mul_f64_e32 v[81:82], v[8:9], v[91:92]
	v_add_f64_e32 v[10:11], v[10:11], v[83:84]
	v_add_f64_e32 v[2:3], v[2:3], v[75:76]
	s_wait_loadcnt_dscnt 0x100
	v_mul_f64_e32 v[75:76], v[69:70], v[95:96]
	v_mul_f64_e32 v[83:84], v[71:72], v[95:96]
	v_fma_f64 v[73:74], v[8:9], v[89:90], v[73:74]
	v_fma_f64 v[81:82], v[6:7], v[89:90], -v[81:82]
	ds_load_b128 v[6:9], v1 offset:880
	v_add_f64_e32 v[10:11], v[10:11], v[77:78]
	v_add_f64_e32 v[2:3], v[2:3], v[79:80]
	v_fma_f64 v[71:72], v[71:72], v[93:94], v[75:76]
	v_fma_f64 v[69:70], v[69:70], v[93:94], -v[83:84]
	s_wait_loadcnt_dscnt 0x0
	v_mul_f64_e32 v[77:78], v[6:7], v[103:104]
	v_mul_f64_e32 v[79:80], v[8:9], v[103:104]
	v_add_f64_e32 v[10:11], v[10:11], v[73:74]
	v_add_f64_e32 v[2:3], v[2:3], v[81:82]
	s_delay_alu instid0(VALU_DEP_4) | instskip(NEXT) | instid1(VALU_DEP_4)
	v_fma_f64 v[8:9], v[8:9], v[101:102], v[77:78]
	v_fma_f64 v[6:7], v[6:7], v[101:102], -v[79:80]
	s_delay_alu instid0(VALU_DEP_4) | instskip(NEXT) | instid1(VALU_DEP_4)
	v_add_f64_e32 v[10:11], v[10:11], v[71:72]
	v_add_f64_e32 v[2:3], v[2:3], v[69:70]
	s_delay_alu instid0(VALU_DEP_2) | instskip(NEXT) | instid1(VALU_DEP_2)
	v_add_f64_e32 v[8:9], v[10:11], v[8:9]
	v_add_f64_e32 v[2:3], v[2:3], v[6:7]
	s_delay_alu instid0(VALU_DEP_2) | instskip(NEXT) | instid1(VALU_DEP_2)
	v_add_f64_e64 v[8:9], v[107:108], -v[8:9]
	v_add_f64_e64 v[6:7], v[105:106], -v[2:3]
	scratch_store_b128 off, v[6:9], off offset:144
	v_cmpx_lt_u32_e32 7, v0
	s_cbranch_execz .LBB27_167
; %bb.166:
	scratch_load_b128 v[6:9], off, s25
	v_dual_mov_b32 v2, v1 :: v_dual_mov_b32 v3, v1
	v_mov_b32_e32 v4, v1
	scratch_store_b128 off, v[1:4], off offset:128
	s_wait_loadcnt 0x0
	ds_store_b128 v5, v[6:9]
.LBB27_167:
	s_wait_alu 0xfffe
	s_or_b32 exec_lo, exec_lo, s0
	s_wait_storecnt_dscnt 0x0
	s_barrier_signal -1
	s_barrier_wait -1
	global_inv scope:SCOPE_SE
	s_clause 0x8
	scratch_load_b128 v[6:9], off, off offset:144
	scratch_load_b128 v[69:72], off, off offset:160
	;; [unrolled: 1-line block ×9, first 2 shown]
	ds_load_b128 v[101:104], v1 offset:576
	ds_load_b128 v[105:108], v1 offset:592
	scratch_load_b128 v[109:112], off, off offset:128
	s_mov_b32 s0, exec_lo
	ds_load_b128 v[117:120], v1 offset:624
	s_wait_loadcnt_dscnt 0x902
	v_mul_f64_e32 v[2:3], v[103:104], v[8:9]
	v_mul_f64_e32 v[113:114], v[101:102], v[8:9]
	scratch_load_b128 v[8:11], off, off offset:288
	s_wait_loadcnt_dscnt 0x901
	v_mul_f64_e32 v[121:122], v[105:106], v[71:72]
	v_mul_f64_e32 v[71:72], v[107:108], v[71:72]
	v_fma_f64 v[2:3], v[101:102], v[6:7], -v[2:3]
	v_fma_f64 v[6:7], v[103:104], v[6:7], v[113:114]
	ds_load_b128 v[101:104], v1 offset:608
	scratch_load_b128 v[113:116], off, off offset:304
	v_fma_f64 v[107:108], v[107:108], v[69:70], v[121:122]
	v_fma_f64 v[105:106], v[105:106], v[69:70], -v[71:72]
	scratch_load_b128 v[69:72], off, off offset:320
	s_wait_loadcnt_dscnt 0x901
	v_mul_f64_e32 v[121:122], v[117:118], v[79:80]
	v_mul_f64_e32 v[79:80], v[119:120], v[79:80]
	s_wait_dscnt 0x0
	v_mul_f64_e32 v[123:124], v[101:102], v[75:76]
	v_mul_f64_e32 v[75:76], v[103:104], v[75:76]
	v_add_f64_e32 v[2:3], 0, v[2:3]
	v_add_f64_e32 v[6:7], 0, v[6:7]
	v_fma_f64 v[119:120], v[119:120], v[77:78], v[121:122]
	v_fma_f64 v[117:118], v[117:118], v[77:78], -v[79:80]
	scratch_load_b128 v[77:80], off, off offset:352
	v_fma_f64 v[123:124], v[103:104], v[73:74], v[123:124]
	v_fma_f64 v[125:126], v[101:102], v[73:74], -v[75:76]
	ds_load_b128 v[73:76], v1 offset:640
	scratch_load_b128 v[101:104], off, off offset:336
	v_add_f64_e32 v[2:3], v[2:3], v[105:106]
	v_add_f64_e32 v[6:7], v[6:7], v[107:108]
	ds_load_b128 v[105:108], v1 offset:656
	s_wait_loadcnt_dscnt 0xa01
	v_mul_f64_e32 v[127:128], v[73:74], v[83:84]
	v_mul_f64_e32 v[83:84], v[75:76], v[83:84]
	s_wait_loadcnt_dscnt 0x900
	v_mul_f64_e32 v[121:122], v[105:106], v[87:88]
	v_mul_f64_e32 v[87:88], v[107:108], v[87:88]
	v_add_f64_e32 v[2:3], v[2:3], v[125:126]
	v_add_f64_e32 v[6:7], v[6:7], v[123:124]
	v_fma_f64 v[123:124], v[75:76], v[81:82], v[127:128]
	v_fma_f64 v[125:126], v[73:74], v[81:82], -v[83:84]
	ds_load_b128 v[73:76], v1 offset:672
	scratch_load_b128 v[81:84], off, off offset:368
	v_fma_f64 v[107:108], v[107:108], v[85:86], v[121:122]
	v_fma_f64 v[105:106], v[105:106], v[85:86], -v[87:88]
	scratch_load_b128 v[85:88], off, off offset:384
	v_add_f64_e32 v[2:3], v[2:3], v[117:118]
	v_add_f64_e32 v[6:7], v[6:7], v[119:120]
	ds_load_b128 v[117:120], v1 offset:688
	s_wait_loadcnt_dscnt 0xa01
	v_mul_f64_e32 v[127:128], v[73:74], v[91:92]
	v_mul_f64_e32 v[91:92], v[75:76], v[91:92]
	s_wait_loadcnt_dscnt 0x900
	v_mul_f64_e32 v[121:122], v[117:118], v[95:96]
	v_mul_f64_e32 v[95:96], v[119:120], v[95:96]
	v_add_f64_e32 v[2:3], v[2:3], v[125:126]
	v_add_f64_e32 v[6:7], v[6:7], v[123:124]
	v_fma_f64 v[123:124], v[75:76], v[89:90], v[127:128]
	v_fma_f64 v[125:126], v[73:74], v[89:90], -v[91:92]
	ds_load_b128 v[73:76], v1 offset:704
	scratch_load_b128 v[89:92], off, off offset:400
	v_fma_f64 v[119:120], v[119:120], v[93:94], v[121:122]
	v_fma_f64 v[117:118], v[117:118], v[93:94], -v[95:96]
	scratch_load_b128 v[93:96], off, off offset:416
	v_add_f64_e32 v[2:3], v[2:3], v[105:106]
	v_add_f64_e32 v[6:7], v[6:7], v[107:108]
	ds_load_b128 v[105:108], v1 offset:720
	s_wait_loadcnt_dscnt 0xa01
	v_mul_f64_e32 v[127:128], v[73:74], v[99:100]
	v_mul_f64_e32 v[99:100], v[75:76], v[99:100]
	v_add_f64_e32 v[2:3], v[2:3], v[125:126]
	v_add_f64_e32 v[6:7], v[6:7], v[123:124]
	s_delay_alu instid0(VALU_DEP_4) | instskip(NEXT) | instid1(VALU_DEP_4)
	v_fma_f64 v[123:124], v[75:76], v[97:98], v[127:128]
	v_fma_f64 v[125:126], v[73:74], v[97:98], -v[99:100]
	ds_load_b128 v[73:76], v1 offset:736
	scratch_load_b128 v[97:100], off, off offset:432
	s_wait_loadcnt_dscnt 0x901
	v_mul_f64_e32 v[121:122], v[105:106], v[10:11]
	v_mul_f64_e32 v[10:11], v[107:108], v[10:11]
	v_add_f64_e32 v[2:3], v[2:3], v[117:118]
	v_add_f64_e32 v[6:7], v[6:7], v[119:120]
	ds_load_b128 v[117:120], v1 offset:752
	v_fma_f64 v[107:108], v[107:108], v[8:9], v[121:122]
	s_wait_loadcnt_dscnt 0x801
	v_mul_f64_e32 v[127:128], v[73:74], v[115:116]
	v_mul_f64_e32 v[115:116], v[75:76], v[115:116]
	v_fma_f64 v[10:11], v[105:106], v[8:9], -v[10:11]
	s_wait_loadcnt_dscnt 0x700
	v_mul_f64_e32 v[121:122], v[117:118], v[71:72]
	v_add_f64_e32 v[2:3], v[2:3], v[125:126]
	v_add_f64_e32 v[105:106], v[6:7], v[123:124]
	scratch_load_b128 v[6:9], off, off offset:448
	v_mul_f64_e32 v[123:124], v[119:120], v[71:72]
	v_fma_f64 v[75:76], v[75:76], v[113:114], v[127:128]
	v_fma_f64 v[113:114], v[73:74], v[113:114], -v[115:116]
	v_fma_f64 v[119:120], v[119:120], v[69:70], v[121:122]
	v_add_f64_e32 v[2:3], v[2:3], v[10:11]
	v_add_f64_e32 v[10:11], v[105:106], v[107:108]
	ds_load_b128 v[71:74], v1 offset:768
	ds_load_b128 v[105:108], v1 offset:784
	v_fma_f64 v[69:70], v[117:118], v[69:70], -v[123:124]
	s_wait_loadcnt_dscnt 0x601
	v_mul_f64_e32 v[115:116], v[71:72], v[103:104]
	v_mul_f64_e32 v[103:104], v[73:74], v[103:104]
	v_add_f64_e32 v[2:3], v[2:3], v[113:114]
	v_add_f64_e32 v[10:11], v[10:11], v[75:76]
	s_wait_dscnt 0x0
	v_mul_f64_e32 v[113:114], v[105:106], v[79:80]
	v_mul_f64_e32 v[79:80], v[107:108], v[79:80]
	v_fma_f64 v[115:116], v[73:74], v[101:102], v[115:116]
	v_fma_f64 v[101:102], v[71:72], v[101:102], -v[103:104]
	v_add_f64_e32 v[2:3], v[2:3], v[69:70]
	v_add_f64_e32 v[10:11], v[10:11], v[119:120]
	ds_load_b128 v[69:72], v1 offset:800
	ds_load_b128 v[73:76], v1 offset:816
	v_fma_f64 v[107:108], v[107:108], v[77:78], v[113:114]
	v_fma_f64 v[77:78], v[105:106], v[77:78], -v[79:80]
	s_wait_loadcnt_dscnt 0x501
	v_mul_f64_e32 v[103:104], v[69:70], v[83:84]
	v_mul_f64_e32 v[83:84], v[71:72], v[83:84]
	v_add_f64_e32 v[2:3], v[2:3], v[101:102]
	v_add_f64_e32 v[10:11], v[10:11], v[115:116]
	s_wait_loadcnt_dscnt 0x400
	v_mul_f64_e32 v[101:102], v[73:74], v[87:88]
	v_mul_f64_e32 v[87:88], v[75:76], v[87:88]
	v_fma_f64 v[103:104], v[71:72], v[81:82], v[103:104]
	v_fma_f64 v[81:82], v[69:70], v[81:82], -v[83:84]
	v_add_f64_e32 v[2:3], v[2:3], v[77:78]
	v_add_f64_e32 v[10:11], v[10:11], v[107:108]
	ds_load_b128 v[69:72], v1 offset:832
	ds_load_b128 v[77:80], v1 offset:848
	v_fma_f64 v[75:76], v[75:76], v[85:86], v[101:102]
	v_fma_f64 v[73:74], v[73:74], v[85:86], -v[87:88]
	s_wait_loadcnt_dscnt 0x301
	v_mul_f64_e32 v[83:84], v[69:70], v[91:92]
	v_mul_f64_e32 v[91:92], v[71:72], v[91:92]
	s_wait_loadcnt_dscnt 0x200
	v_mul_f64_e32 v[85:86], v[79:80], v[95:96]
	v_add_f64_e32 v[2:3], v[2:3], v[81:82]
	v_add_f64_e32 v[10:11], v[10:11], v[103:104]
	v_mul_f64_e32 v[81:82], v[77:78], v[95:96]
	v_fma_f64 v[83:84], v[71:72], v[89:90], v[83:84]
	v_fma_f64 v[87:88], v[69:70], v[89:90], -v[91:92]
	v_fma_f64 v[77:78], v[77:78], v[93:94], -v[85:86]
	v_add_f64_e32 v[73:74], v[2:3], v[73:74]
	v_add_f64_e32 v[10:11], v[10:11], v[75:76]
	ds_load_b128 v[69:72], v1 offset:864
	ds_load_b128 v[1:4], v1 offset:880
	v_fma_f64 v[79:80], v[79:80], v[93:94], v[81:82]
	s_wait_loadcnt_dscnt 0x101
	v_mul_f64_e32 v[75:76], v[69:70], v[99:100]
	v_mul_f64_e32 v[89:90], v[71:72], v[99:100]
	v_add_f64_e32 v[73:74], v[73:74], v[87:88]
	v_add_f64_e32 v[10:11], v[10:11], v[83:84]
	s_wait_loadcnt_dscnt 0x0
	v_mul_f64_e32 v[81:82], v[1:2], v[8:9]
	v_mul_f64_e32 v[8:9], v[3:4], v[8:9]
	v_fma_f64 v[71:72], v[71:72], v[97:98], v[75:76]
	v_fma_f64 v[69:70], v[69:70], v[97:98], -v[89:90]
	v_add_f64_e32 v[73:74], v[73:74], v[77:78]
	v_add_f64_e32 v[10:11], v[10:11], v[79:80]
	v_fma_f64 v[3:4], v[3:4], v[6:7], v[81:82]
	v_fma_f64 v[1:2], v[1:2], v[6:7], -v[8:9]
	s_delay_alu instid0(VALU_DEP_4) | instskip(NEXT) | instid1(VALU_DEP_4)
	v_add_f64_e32 v[6:7], v[73:74], v[69:70]
	v_add_f64_e32 v[8:9], v[10:11], v[71:72]
	s_delay_alu instid0(VALU_DEP_2) | instskip(NEXT) | instid1(VALU_DEP_2)
	v_add_f64_e32 v[1:2], v[6:7], v[1:2]
	v_add_f64_e32 v[3:4], v[8:9], v[3:4]
	s_delay_alu instid0(VALU_DEP_2) | instskip(NEXT) | instid1(VALU_DEP_2)
	v_add_f64_e64 v[1:2], v[109:110], -v[1:2]
	v_add_f64_e64 v[3:4], v[111:112], -v[3:4]
	scratch_store_b128 off, v[1:4], off offset:128
	v_cmpx_lt_u32_e32 6, v0
	s_cbranch_execz .LBB27_169
; %bb.168:
	scratch_load_b128 v[1:4], off, s26
	v_mov_b32_e32 v6, 0
	s_delay_alu instid0(VALU_DEP_1)
	v_dual_mov_b32 v7, v6 :: v_dual_mov_b32 v8, v6
	v_mov_b32_e32 v9, v6
	scratch_store_b128 off, v[6:9], off offset:112
	s_wait_loadcnt 0x0
	ds_store_b128 v5, v[1:4]
.LBB27_169:
	s_wait_alu 0xfffe
	s_or_b32 exec_lo, exec_lo, s0
	s_wait_storecnt_dscnt 0x0
	s_barrier_signal -1
	s_barrier_wait -1
	global_inv scope:SCOPE_SE
	s_clause 0x7
	scratch_load_b128 v[6:9], off, off offset:128
	scratch_load_b128 v[69:72], off, off offset:144
	;; [unrolled: 1-line block ×8, first 2 shown]
	v_mov_b32_e32 v1, 0
	s_mov_b32 s0, exec_lo
	ds_load_b128 v[97:100], v1 offset:560
	s_clause 0x1
	scratch_load_b128 v[101:104], off, off offset:256
	scratch_load_b128 v[105:108], off, off offset:112
	ds_load_b128 v[109:112], v1 offset:576
	ds_load_b128 v[117:120], v1 offset:608
	s_wait_loadcnt_dscnt 0x902
	v_mul_f64_e32 v[2:3], v[99:100], v[8:9]
	v_mul_f64_e32 v[113:114], v[97:98], v[8:9]
	scratch_load_b128 v[8:11], off, off offset:272
	v_fma_f64 v[2:3], v[97:98], v[6:7], -v[2:3]
	v_fma_f64 v[6:7], v[99:100], v[6:7], v[113:114]
	ds_load_b128 v[97:100], v1 offset:592
	s_wait_loadcnt_dscnt 0x902
	v_mul_f64_e32 v[121:122], v[109:110], v[71:72]
	v_mul_f64_e32 v[71:72], v[111:112], v[71:72]
	scratch_load_b128 v[113:116], off, off offset:288
	s_wait_loadcnt_dscnt 0x900
	v_mul_f64_e32 v[123:124], v[97:98], v[75:76]
	v_mul_f64_e32 v[75:76], v[99:100], v[75:76]
	v_add_f64_e32 v[2:3], 0, v[2:3]
	v_add_f64_e32 v[6:7], 0, v[6:7]
	v_fma_f64 v[111:112], v[111:112], v[69:70], v[121:122]
	v_fma_f64 v[109:110], v[109:110], v[69:70], -v[71:72]
	scratch_load_b128 v[69:72], off, off offset:304
	v_fma_f64 v[123:124], v[99:100], v[73:74], v[123:124]
	v_fma_f64 v[125:126], v[97:98], v[73:74], -v[75:76]
	ds_load_b128 v[73:76], v1 offset:624
	s_wait_loadcnt 0x9
	v_mul_f64_e32 v[121:122], v[117:118], v[79:80]
	v_mul_f64_e32 v[79:80], v[119:120], v[79:80]
	scratch_load_b128 v[97:100], off, off offset:320
	v_add_f64_e32 v[6:7], v[6:7], v[111:112]
	v_add_f64_e32 v[2:3], v[2:3], v[109:110]
	ds_load_b128 v[109:112], v1 offset:640
	s_wait_loadcnt_dscnt 0x901
	v_mul_f64_e32 v[127:128], v[73:74], v[83:84]
	v_mul_f64_e32 v[83:84], v[75:76], v[83:84]
	v_fma_f64 v[119:120], v[119:120], v[77:78], v[121:122]
	v_fma_f64 v[117:118], v[117:118], v[77:78], -v[79:80]
	scratch_load_b128 v[77:80], off, off offset:336
	v_add_f64_e32 v[6:7], v[6:7], v[123:124]
	v_add_f64_e32 v[2:3], v[2:3], v[125:126]
	v_fma_f64 v[123:124], v[75:76], v[81:82], v[127:128]
	v_fma_f64 v[125:126], v[73:74], v[81:82], -v[83:84]
	ds_load_b128 v[73:76], v1 offset:656
	s_wait_loadcnt_dscnt 0x901
	v_mul_f64_e32 v[121:122], v[109:110], v[87:88]
	v_mul_f64_e32 v[87:88], v[111:112], v[87:88]
	scratch_load_b128 v[81:84], off, off offset:352
	s_wait_loadcnt_dscnt 0x900
	v_mul_f64_e32 v[127:128], v[73:74], v[91:92]
	v_mul_f64_e32 v[91:92], v[75:76], v[91:92]
	v_add_f64_e32 v[6:7], v[6:7], v[119:120]
	v_add_f64_e32 v[2:3], v[2:3], v[117:118]
	ds_load_b128 v[117:120], v1 offset:672
	v_fma_f64 v[111:112], v[111:112], v[85:86], v[121:122]
	v_fma_f64 v[109:110], v[109:110], v[85:86], -v[87:88]
	scratch_load_b128 v[85:88], off, off offset:368
	v_add_f64_e32 v[6:7], v[6:7], v[123:124]
	v_add_f64_e32 v[2:3], v[2:3], v[125:126]
	v_fma_f64 v[123:124], v[75:76], v[89:90], v[127:128]
	v_fma_f64 v[125:126], v[73:74], v[89:90], -v[91:92]
	ds_load_b128 v[73:76], v1 offset:688
	s_wait_loadcnt_dscnt 0x901
	v_mul_f64_e32 v[121:122], v[117:118], v[95:96]
	v_mul_f64_e32 v[95:96], v[119:120], v[95:96]
	scratch_load_b128 v[89:92], off, off offset:384
	s_wait_loadcnt_dscnt 0x900
	v_mul_f64_e32 v[127:128], v[73:74], v[103:104]
	v_mul_f64_e32 v[103:104], v[75:76], v[103:104]
	v_add_f64_e32 v[6:7], v[6:7], v[111:112]
	v_add_f64_e32 v[2:3], v[2:3], v[109:110]
	ds_load_b128 v[109:112], v1 offset:704
	v_fma_f64 v[119:120], v[119:120], v[93:94], v[121:122]
	v_fma_f64 v[117:118], v[117:118], v[93:94], -v[95:96]
	scratch_load_b128 v[93:96], off, off offset:400
	v_add_f64_e32 v[6:7], v[6:7], v[123:124]
	v_add_f64_e32 v[2:3], v[2:3], v[125:126]
	v_fma_f64 v[123:124], v[75:76], v[101:102], v[127:128]
	v_fma_f64 v[125:126], v[73:74], v[101:102], -v[103:104]
	ds_load_b128 v[73:76], v1 offset:720
	scratch_load_b128 v[101:104], off, off offset:416
	s_wait_loadcnt_dscnt 0x901
	v_mul_f64_e32 v[121:122], v[109:110], v[10:11]
	v_mul_f64_e32 v[10:11], v[111:112], v[10:11]
	v_add_f64_e32 v[6:7], v[6:7], v[119:120]
	v_add_f64_e32 v[2:3], v[2:3], v[117:118]
	ds_load_b128 v[117:120], v1 offset:736
	v_fma_f64 v[111:112], v[111:112], v[8:9], v[121:122]
	v_fma_f64 v[10:11], v[109:110], v[8:9], -v[10:11]
	s_wait_loadcnt_dscnt 0x801
	v_mul_f64_e32 v[127:128], v[73:74], v[115:116]
	v_mul_f64_e32 v[115:116], v[75:76], v[115:116]
	v_add_f64_e32 v[109:110], v[6:7], v[123:124]
	v_add_f64_e32 v[2:3], v[2:3], v[125:126]
	scratch_load_b128 v[6:9], off, off offset:432
	v_fma_f64 v[75:76], v[75:76], v[113:114], v[127:128]
	v_fma_f64 v[125:126], v[73:74], v[113:114], -v[115:116]
	ds_load_b128 v[113:116], v1 offset:768
	s_wait_loadcnt_dscnt 0x801
	v_mul_f64_e32 v[121:122], v[117:118], v[71:72]
	v_mul_f64_e32 v[123:124], v[119:120], v[71:72]
	ds_load_b128 v[71:74], v1 offset:752
	v_add_f64_e32 v[2:3], v[2:3], v[10:11]
	v_add_f64_e32 v[10:11], v[109:110], v[111:112]
	scratch_load_b128 v[109:112], off, off offset:448
	s_wait_loadcnt_dscnt 0x800
	v_mul_f64_e32 v[127:128], v[71:72], v[99:100]
	v_mul_f64_e32 v[99:100], v[73:74], v[99:100]
	v_fma_f64 v[119:120], v[119:120], v[69:70], v[121:122]
	v_fma_f64 v[69:70], v[117:118], v[69:70], -v[123:124]
	v_add_f64_e32 v[2:3], v[2:3], v[125:126]
	v_add_f64_e32 v[10:11], v[10:11], v[75:76]
	s_wait_loadcnt 0x7
	v_mul_f64_e32 v[117:118], v[113:114], v[79:80]
	v_mul_f64_e32 v[79:80], v[115:116], v[79:80]
	v_fma_f64 v[121:122], v[73:74], v[97:98], v[127:128]
	v_fma_f64 v[97:98], v[71:72], v[97:98], -v[99:100]
	v_add_f64_e32 v[2:3], v[2:3], v[69:70]
	v_add_f64_e32 v[10:11], v[10:11], v[119:120]
	ds_load_b128 v[69:72], v1 offset:784
	ds_load_b128 v[73:76], v1 offset:800
	v_fma_f64 v[115:116], v[115:116], v[77:78], v[117:118]
	v_fma_f64 v[77:78], v[113:114], v[77:78], -v[79:80]
	s_wait_loadcnt_dscnt 0x601
	v_mul_f64_e32 v[99:100], v[69:70], v[83:84]
	v_mul_f64_e32 v[83:84], v[71:72], v[83:84]
	v_add_f64_e32 v[2:3], v[2:3], v[97:98]
	v_add_f64_e32 v[10:11], v[10:11], v[121:122]
	s_wait_loadcnt_dscnt 0x500
	v_mul_f64_e32 v[97:98], v[73:74], v[87:88]
	v_mul_f64_e32 v[87:88], v[75:76], v[87:88]
	v_fma_f64 v[99:100], v[71:72], v[81:82], v[99:100]
	v_fma_f64 v[81:82], v[69:70], v[81:82], -v[83:84]
	v_add_f64_e32 v[2:3], v[2:3], v[77:78]
	v_add_f64_e32 v[10:11], v[10:11], v[115:116]
	ds_load_b128 v[69:72], v1 offset:816
	ds_load_b128 v[77:80], v1 offset:832
	v_fma_f64 v[75:76], v[75:76], v[85:86], v[97:98]
	v_fma_f64 v[73:74], v[73:74], v[85:86], -v[87:88]
	s_wait_loadcnt_dscnt 0x401
	v_mul_f64_e32 v[83:84], v[69:70], v[91:92]
	v_mul_f64_e32 v[91:92], v[71:72], v[91:92]
	s_wait_loadcnt_dscnt 0x300
	v_mul_f64_e32 v[85:86], v[79:80], v[95:96]
	v_add_f64_e32 v[2:3], v[2:3], v[81:82]
	v_add_f64_e32 v[10:11], v[10:11], v[99:100]
	v_mul_f64_e32 v[81:82], v[77:78], v[95:96]
	v_fma_f64 v[83:84], v[71:72], v[89:90], v[83:84]
	v_fma_f64 v[87:88], v[69:70], v[89:90], -v[91:92]
	v_fma_f64 v[77:78], v[77:78], v[93:94], -v[85:86]
	v_add_f64_e32 v[2:3], v[2:3], v[73:74]
	v_add_f64_e32 v[10:11], v[10:11], v[75:76]
	ds_load_b128 v[69:72], v1 offset:848
	ds_load_b128 v[73:76], v1 offset:864
	v_fma_f64 v[79:80], v[79:80], v[93:94], v[81:82]
	s_wait_loadcnt_dscnt 0x201
	v_mul_f64_e32 v[89:90], v[69:70], v[103:104]
	v_mul_f64_e32 v[91:92], v[71:72], v[103:104]
	v_add_f64_e32 v[2:3], v[2:3], v[87:88]
	v_add_f64_e32 v[10:11], v[10:11], v[83:84]
	s_wait_loadcnt_dscnt 0x100
	v_mul_f64_e32 v[81:82], v[73:74], v[8:9]
	v_mul_f64_e32 v[83:84], v[75:76], v[8:9]
	v_fma_f64 v[71:72], v[71:72], v[101:102], v[89:90]
	v_fma_f64 v[69:70], v[69:70], v[101:102], -v[91:92]
	v_add_f64_e32 v[2:3], v[2:3], v[77:78]
	v_add_f64_e32 v[77:78], v[10:11], v[79:80]
	ds_load_b128 v[8:11], v1 offset:880
	v_fma_f64 v[75:76], v[75:76], v[6:7], v[81:82]
	v_fma_f64 v[6:7], v[73:74], v[6:7], -v[83:84]
	s_wait_loadcnt_dscnt 0x0
	v_mul_f64_e32 v[79:80], v[8:9], v[111:112]
	v_mul_f64_e32 v[85:86], v[10:11], v[111:112]
	v_add_f64_e32 v[2:3], v[2:3], v[69:70]
	v_add_f64_e32 v[69:70], v[77:78], v[71:72]
	s_delay_alu instid0(VALU_DEP_4) | instskip(NEXT) | instid1(VALU_DEP_4)
	v_fma_f64 v[10:11], v[10:11], v[109:110], v[79:80]
	v_fma_f64 v[8:9], v[8:9], v[109:110], -v[85:86]
	s_delay_alu instid0(VALU_DEP_4) | instskip(NEXT) | instid1(VALU_DEP_4)
	v_add_f64_e32 v[2:3], v[2:3], v[6:7]
	v_add_f64_e32 v[6:7], v[69:70], v[75:76]
	s_delay_alu instid0(VALU_DEP_2) | instskip(NEXT) | instid1(VALU_DEP_2)
	v_add_f64_e32 v[2:3], v[2:3], v[8:9]
	v_add_f64_e32 v[8:9], v[6:7], v[10:11]
	s_delay_alu instid0(VALU_DEP_2) | instskip(NEXT) | instid1(VALU_DEP_2)
	v_add_f64_e64 v[6:7], v[105:106], -v[2:3]
	v_add_f64_e64 v[8:9], v[107:108], -v[8:9]
	scratch_store_b128 off, v[6:9], off offset:112
	v_cmpx_lt_u32_e32 5, v0
	s_cbranch_execz .LBB27_171
; %bb.170:
	scratch_load_b128 v[6:9], off, s27
	v_dual_mov_b32 v2, v1 :: v_dual_mov_b32 v3, v1
	v_mov_b32_e32 v4, v1
	scratch_store_b128 off, v[1:4], off offset:96
	s_wait_loadcnt 0x0
	ds_store_b128 v5, v[6:9]
.LBB27_171:
	s_wait_alu 0xfffe
	s_or_b32 exec_lo, exec_lo, s0
	s_wait_storecnt_dscnt 0x0
	s_barrier_signal -1
	s_barrier_wait -1
	global_inv scope:SCOPE_SE
	s_clause 0x8
	scratch_load_b128 v[6:9], off, off offset:112
	scratch_load_b128 v[69:72], off, off offset:128
	;; [unrolled: 1-line block ×9, first 2 shown]
	ds_load_b128 v[101:104], v1 offset:544
	ds_load_b128 v[105:108], v1 offset:560
	scratch_load_b128 v[109:112], off, off offset:96
	s_mov_b32 s0, exec_lo
	ds_load_b128 v[117:120], v1 offset:592
	s_wait_loadcnt_dscnt 0x902
	v_mul_f64_e32 v[2:3], v[103:104], v[8:9]
	v_mul_f64_e32 v[113:114], v[101:102], v[8:9]
	scratch_load_b128 v[8:11], off, off offset:256
	s_wait_loadcnt_dscnt 0x901
	v_mul_f64_e32 v[121:122], v[105:106], v[71:72]
	v_mul_f64_e32 v[71:72], v[107:108], v[71:72]
	v_fma_f64 v[2:3], v[101:102], v[6:7], -v[2:3]
	v_fma_f64 v[6:7], v[103:104], v[6:7], v[113:114]
	ds_load_b128 v[101:104], v1 offset:576
	scratch_load_b128 v[113:116], off, off offset:272
	v_fma_f64 v[107:108], v[107:108], v[69:70], v[121:122]
	v_fma_f64 v[105:106], v[105:106], v[69:70], -v[71:72]
	scratch_load_b128 v[69:72], off, off offset:288
	s_wait_loadcnt_dscnt 0x901
	v_mul_f64_e32 v[121:122], v[117:118], v[79:80]
	v_mul_f64_e32 v[79:80], v[119:120], v[79:80]
	s_wait_dscnt 0x0
	v_mul_f64_e32 v[123:124], v[101:102], v[75:76]
	v_mul_f64_e32 v[75:76], v[103:104], v[75:76]
	v_add_f64_e32 v[2:3], 0, v[2:3]
	v_add_f64_e32 v[6:7], 0, v[6:7]
	v_fma_f64 v[119:120], v[119:120], v[77:78], v[121:122]
	v_fma_f64 v[117:118], v[117:118], v[77:78], -v[79:80]
	scratch_load_b128 v[77:80], off, off offset:320
	v_fma_f64 v[123:124], v[103:104], v[73:74], v[123:124]
	v_fma_f64 v[125:126], v[101:102], v[73:74], -v[75:76]
	ds_load_b128 v[73:76], v1 offset:608
	scratch_load_b128 v[101:104], off, off offset:304
	v_add_f64_e32 v[2:3], v[2:3], v[105:106]
	v_add_f64_e32 v[6:7], v[6:7], v[107:108]
	ds_load_b128 v[105:108], v1 offset:624
	s_wait_loadcnt_dscnt 0xa01
	v_mul_f64_e32 v[127:128], v[73:74], v[83:84]
	v_mul_f64_e32 v[83:84], v[75:76], v[83:84]
	s_wait_loadcnt_dscnt 0x900
	v_mul_f64_e32 v[121:122], v[105:106], v[87:88]
	v_mul_f64_e32 v[87:88], v[107:108], v[87:88]
	v_add_f64_e32 v[2:3], v[2:3], v[125:126]
	v_add_f64_e32 v[6:7], v[6:7], v[123:124]
	v_fma_f64 v[123:124], v[75:76], v[81:82], v[127:128]
	v_fma_f64 v[125:126], v[73:74], v[81:82], -v[83:84]
	ds_load_b128 v[73:76], v1 offset:640
	scratch_load_b128 v[81:84], off, off offset:336
	v_fma_f64 v[107:108], v[107:108], v[85:86], v[121:122]
	v_fma_f64 v[105:106], v[105:106], v[85:86], -v[87:88]
	scratch_load_b128 v[85:88], off, off offset:352
	v_add_f64_e32 v[2:3], v[2:3], v[117:118]
	v_add_f64_e32 v[6:7], v[6:7], v[119:120]
	ds_load_b128 v[117:120], v1 offset:656
	s_wait_loadcnt_dscnt 0xa01
	v_mul_f64_e32 v[127:128], v[73:74], v[91:92]
	v_mul_f64_e32 v[91:92], v[75:76], v[91:92]
	s_wait_loadcnt_dscnt 0x900
	v_mul_f64_e32 v[121:122], v[117:118], v[95:96]
	v_mul_f64_e32 v[95:96], v[119:120], v[95:96]
	v_add_f64_e32 v[2:3], v[2:3], v[125:126]
	v_add_f64_e32 v[6:7], v[6:7], v[123:124]
	v_fma_f64 v[123:124], v[75:76], v[89:90], v[127:128]
	v_fma_f64 v[125:126], v[73:74], v[89:90], -v[91:92]
	ds_load_b128 v[73:76], v1 offset:672
	scratch_load_b128 v[89:92], off, off offset:368
	v_fma_f64 v[119:120], v[119:120], v[93:94], v[121:122]
	v_fma_f64 v[117:118], v[117:118], v[93:94], -v[95:96]
	scratch_load_b128 v[93:96], off, off offset:384
	v_add_f64_e32 v[2:3], v[2:3], v[105:106]
	v_add_f64_e32 v[6:7], v[6:7], v[107:108]
	ds_load_b128 v[105:108], v1 offset:688
	s_wait_loadcnt_dscnt 0xa01
	v_mul_f64_e32 v[127:128], v[73:74], v[99:100]
	v_mul_f64_e32 v[99:100], v[75:76], v[99:100]
	v_add_f64_e32 v[2:3], v[2:3], v[125:126]
	v_add_f64_e32 v[6:7], v[6:7], v[123:124]
	s_delay_alu instid0(VALU_DEP_4) | instskip(NEXT) | instid1(VALU_DEP_4)
	v_fma_f64 v[123:124], v[75:76], v[97:98], v[127:128]
	v_fma_f64 v[125:126], v[73:74], v[97:98], -v[99:100]
	ds_load_b128 v[73:76], v1 offset:704
	scratch_load_b128 v[97:100], off, off offset:400
	s_wait_loadcnt_dscnt 0x901
	v_mul_f64_e32 v[121:122], v[105:106], v[10:11]
	v_mul_f64_e32 v[10:11], v[107:108], v[10:11]
	v_add_f64_e32 v[2:3], v[2:3], v[117:118]
	v_add_f64_e32 v[6:7], v[6:7], v[119:120]
	ds_load_b128 v[117:120], v1 offset:720
	v_fma_f64 v[107:108], v[107:108], v[8:9], v[121:122]
	s_wait_loadcnt_dscnt 0x801
	v_mul_f64_e32 v[127:128], v[73:74], v[115:116]
	v_mul_f64_e32 v[115:116], v[75:76], v[115:116]
	v_fma_f64 v[10:11], v[105:106], v[8:9], -v[10:11]
	s_wait_loadcnt_dscnt 0x700
	v_mul_f64_e32 v[121:122], v[117:118], v[71:72]
	v_add_f64_e32 v[2:3], v[2:3], v[125:126]
	v_add_f64_e32 v[105:106], v[6:7], v[123:124]
	scratch_load_b128 v[6:9], off, off offset:416
	v_mul_f64_e32 v[123:124], v[119:120], v[71:72]
	v_fma_f64 v[75:76], v[75:76], v[113:114], v[127:128]
	v_fma_f64 v[125:126], v[73:74], v[113:114], -v[115:116]
	ds_load_b128 v[71:74], v1 offset:736
	ds_load_b128 v[113:116], v1 offset:752
	v_fma_f64 v[121:122], v[119:120], v[69:70], v[121:122]
	v_add_f64_e32 v[2:3], v[2:3], v[10:11]
	v_add_f64_e32 v[10:11], v[105:106], v[107:108]
	scratch_load_b128 v[105:108], off, off offset:432
	s_wait_loadcnt_dscnt 0x701
	v_mul_f64_e32 v[127:128], v[71:72], v[103:104]
	v_mul_f64_e32 v[103:104], v[73:74], v[103:104]
	v_fma_f64 v[69:70], v[117:118], v[69:70], -v[123:124]
	scratch_load_b128 v[117:120], off, off offset:448
	s_wait_dscnt 0x0
	v_mul_f64_e32 v[123:124], v[113:114], v[79:80]
	v_mul_f64_e32 v[79:80], v[115:116], v[79:80]
	v_add_f64_e32 v[2:3], v[2:3], v[125:126]
	v_add_f64_e32 v[10:11], v[10:11], v[75:76]
	v_fma_f64 v[125:126], v[73:74], v[101:102], v[127:128]
	v_fma_f64 v[101:102], v[71:72], v[101:102], -v[103:104]
	v_fma_f64 v[115:116], v[115:116], v[77:78], v[123:124]
	v_fma_f64 v[77:78], v[113:114], v[77:78], -v[79:80]
	v_add_f64_e32 v[2:3], v[2:3], v[69:70]
	v_add_f64_e32 v[10:11], v[10:11], v[121:122]
	ds_load_b128 v[69:72], v1 offset:768
	ds_load_b128 v[73:76], v1 offset:784
	s_wait_loadcnt_dscnt 0x701
	v_mul_f64_e32 v[103:104], v[69:70], v[83:84]
	v_mul_f64_e32 v[83:84], v[71:72], v[83:84]
	v_add_f64_e32 v[2:3], v[2:3], v[101:102]
	v_add_f64_e32 v[10:11], v[10:11], v[125:126]
	s_wait_loadcnt_dscnt 0x600
	v_mul_f64_e32 v[101:102], v[73:74], v[87:88]
	v_mul_f64_e32 v[87:88], v[75:76], v[87:88]
	v_fma_f64 v[103:104], v[71:72], v[81:82], v[103:104]
	v_fma_f64 v[81:82], v[69:70], v[81:82], -v[83:84]
	v_add_f64_e32 v[2:3], v[2:3], v[77:78]
	v_add_f64_e32 v[10:11], v[10:11], v[115:116]
	ds_load_b128 v[69:72], v1 offset:800
	ds_load_b128 v[77:80], v1 offset:816
	v_fma_f64 v[75:76], v[75:76], v[85:86], v[101:102]
	v_fma_f64 v[73:74], v[73:74], v[85:86], -v[87:88]
	s_wait_loadcnt_dscnt 0x501
	v_mul_f64_e32 v[83:84], v[69:70], v[91:92]
	v_mul_f64_e32 v[91:92], v[71:72], v[91:92]
	s_wait_loadcnt_dscnt 0x400
	v_mul_f64_e32 v[85:86], v[79:80], v[95:96]
	v_add_f64_e32 v[2:3], v[2:3], v[81:82]
	v_add_f64_e32 v[10:11], v[10:11], v[103:104]
	v_mul_f64_e32 v[81:82], v[77:78], v[95:96]
	v_fma_f64 v[83:84], v[71:72], v[89:90], v[83:84]
	v_fma_f64 v[87:88], v[69:70], v[89:90], -v[91:92]
	v_fma_f64 v[77:78], v[77:78], v[93:94], -v[85:86]
	v_add_f64_e32 v[2:3], v[2:3], v[73:74]
	v_add_f64_e32 v[10:11], v[10:11], v[75:76]
	ds_load_b128 v[69:72], v1 offset:832
	ds_load_b128 v[73:76], v1 offset:848
	v_fma_f64 v[79:80], v[79:80], v[93:94], v[81:82]
	s_wait_loadcnt_dscnt 0x301
	v_mul_f64_e32 v[89:90], v[69:70], v[99:100]
	v_mul_f64_e32 v[91:92], v[71:72], v[99:100]
	v_add_f64_e32 v[2:3], v[2:3], v[87:88]
	v_add_f64_e32 v[10:11], v[10:11], v[83:84]
	s_wait_loadcnt_dscnt 0x200
	v_mul_f64_e32 v[81:82], v[73:74], v[8:9]
	v_mul_f64_e32 v[83:84], v[75:76], v[8:9]
	v_fma_f64 v[71:72], v[71:72], v[97:98], v[89:90]
	v_fma_f64 v[69:70], v[69:70], v[97:98], -v[91:92]
	v_add_f64_e32 v[77:78], v[2:3], v[77:78]
	v_add_f64_e32 v[79:80], v[10:11], v[79:80]
	ds_load_b128 v[8:11], v1 offset:864
	ds_load_b128 v[1:4], v1 offset:880
	v_fma_f64 v[75:76], v[75:76], v[6:7], v[81:82]
	v_fma_f64 v[6:7], v[73:74], v[6:7], -v[83:84]
	s_wait_loadcnt_dscnt 0x101
	v_mul_f64_e32 v[85:86], v[8:9], v[107:108]
	v_mul_f64_e32 v[87:88], v[10:11], v[107:108]
	s_wait_loadcnt_dscnt 0x0
	v_mul_f64_e32 v[73:74], v[1:2], v[119:120]
	v_add_f64_e32 v[69:70], v[77:78], v[69:70]
	v_add_f64_e32 v[71:72], v[79:80], v[71:72]
	v_mul_f64_e32 v[77:78], v[3:4], v[119:120]
	v_fma_f64 v[10:11], v[10:11], v[105:106], v[85:86]
	v_fma_f64 v[8:9], v[8:9], v[105:106], -v[87:88]
	v_fma_f64 v[3:4], v[3:4], v[117:118], v[73:74]
	v_add_f64_e32 v[6:7], v[69:70], v[6:7]
	v_add_f64_e32 v[69:70], v[71:72], v[75:76]
	v_fma_f64 v[1:2], v[1:2], v[117:118], -v[77:78]
	s_delay_alu instid0(VALU_DEP_3) | instskip(NEXT) | instid1(VALU_DEP_3)
	v_add_f64_e32 v[6:7], v[6:7], v[8:9]
	v_add_f64_e32 v[8:9], v[69:70], v[10:11]
	s_delay_alu instid0(VALU_DEP_2) | instskip(NEXT) | instid1(VALU_DEP_2)
	v_add_f64_e32 v[1:2], v[6:7], v[1:2]
	v_add_f64_e32 v[3:4], v[8:9], v[3:4]
	s_delay_alu instid0(VALU_DEP_2) | instskip(NEXT) | instid1(VALU_DEP_2)
	v_add_f64_e64 v[1:2], v[109:110], -v[1:2]
	v_add_f64_e64 v[3:4], v[111:112], -v[3:4]
	scratch_store_b128 off, v[1:4], off offset:96
	v_cmpx_lt_u32_e32 4, v0
	s_cbranch_execz .LBB27_173
; %bb.172:
	scratch_load_b128 v[1:4], off, s11
	v_mov_b32_e32 v6, 0
	s_delay_alu instid0(VALU_DEP_1)
	v_dual_mov_b32 v7, v6 :: v_dual_mov_b32 v8, v6
	v_mov_b32_e32 v9, v6
	scratch_store_b128 off, v[6:9], off offset:80
	s_wait_loadcnt 0x0
	ds_store_b128 v5, v[1:4]
.LBB27_173:
	s_wait_alu 0xfffe
	s_or_b32 exec_lo, exec_lo, s0
	s_wait_storecnt_dscnt 0x0
	s_barrier_signal -1
	s_barrier_wait -1
	global_inv scope:SCOPE_SE
	s_clause 0x7
	scratch_load_b128 v[6:9], off, off offset:96
	scratch_load_b128 v[69:72], off, off offset:112
	;; [unrolled: 1-line block ×8, first 2 shown]
	v_mov_b32_e32 v1, 0
	s_mov_b32 s0, exec_lo
	ds_load_b128 v[97:100], v1 offset:528
	s_clause 0x1
	scratch_load_b128 v[101:104], off, off offset:224
	scratch_load_b128 v[105:108], off, off offset:80
	ds_load_b128 v[109:112], v1 offset:544
	ds_load_b128 v[117:120], v1 offset:576
	s_wait_loadcnt_dscnt 0x902
	v_mul_f64_e32 v[2:3], v[99:100], v[8:9]
	v_mul_f64_e32 v[113:114], v[97:98], v[8:9]
	scratch_load_b128 v[8:11], off, off offset:240
	v_fma_f64 v[2:3], v[97:98], v[6:7], -v[2:3]
	v_fma_f64 v[6:7], v[99:100], v[6:7], v[113:114]
	ds_load_b128 v[97:100], v1 offset:560
	s_wait_loadcnt_dscnt 0x902
	v_mul_f64_e32 v[121:122], v[109:110], v[71:72]
	v_mul_f64_e32 v[71:72], v[111:112], v[71:72]
	scratch_load_b128 v[113:116], off, off offset:256
	s_wait_loadcnt_dscnt 0x900
	v_mul_f64_e32 v[123:124], v[97:98], v[75:76]
	v_mul_f64_e32 v[75:76], v[99:100], v[75:76]
	v_add_f64_e32 v[2:3], 0, v[2:3]
	v_add_f64_e32 v[6:7], 0, v[6:7]
	v_fma_f64 v[111:112], v[111:112], v[69:70], v[121:122]
	v_fma_f64 v[109:110], v[109:110], v[69:70], -v[71:72]
	scratch_load_b128 v[69:72], off, off offset:272
	v_fma_f64 v[123:124], v[99:100], v[73:74], v[123:124]
	v_fma_f64 v[125:126], v[97:98], v[73:74], -v[75:76]
	ds_load_b128 v[73:76], v1 offset:592
	s_wait_loadcnt 0x9
	v_mul_f64_e32 v[121:122], v[117:118], v[79:80]
	v_mul_f64_e32 v[79:80], v[119:120], v[79:80]
	scratch_load_b128 v[97:100], off, off offset:288
	v_add_f64_e32 v[6:7], v[6:7], v[111:112]
	v_add_f64_e32 v[2:3], v[2:3], v[109:110]
	ds_load_b128 v[109:112], v1 offset:608
	s_wait_loadcnt_dscnt 0x901
	v_mul_f64_e32 v[127:128], v[73:74], v[83:84]
	v_mul_f64_e32 v[83:84], v[75:76], v[83:84]
	v_fma_f64 v[119:120], v[119:120], v[77:78], v[121:122]
	v_fma_f64 v[117:118], v[117:118], v[77:78], -v[79:80]
	scratch_load_b128 v[77:80], off, off offset:304
	v_add_f64_e32 v[6:7], v[6:7], v[123:124]
	v_add_f64_e32 v[2:3], v[2:3], v[125:126]
	v_fma_f64 v[123:124], v[75:76], v[81:82], v[127:128]
	v_fma_f64 v[125:126], v[73:74], v[81:82], -v[83:84]
	ds_load_b128 v[73:76], v1 offset:624
	s_wait_loadcnt_dscnt 0x901
	v_mul_f64_e32 v[121:122], v[109:110], v[87:88]
	v_mul_f64_e32 v[87:88], v[111:112], v[87:88]
	scratch_load_b128 v[81:84], off, off offset:320
	s_wait_loadcnt_dscnt 0x900
	v_mul_f64_e32 v[127:128], v[73:74], v[91:92]
	v_mul_f64_e32 v[91:92], v[75:76], v[91:92]
	v_add_f64_e32 v[6:7], v[6:7], v[119:120]
	v_add_f64_e32 v[2:3], v[2:3], v[117:118]
	ds_load_b128 v[117:120], v1 offset:640
	v_fma_f64 v[111:112], v[111:112], v[85:86], v[121:122]
	v_fma_f64 v[109:110], v[109:110], v[85:86], -v[87:88]
	scratch_load_b128 v[85:88], off, off offset:336
	v_add_f64_e32 v[6:7], v[6:7], v[123:124]
	v_add_f64_e32 v[2:3], v[2:3], v[125:126]
	v_fma_f64 v[123:124], v[75:76], v[89:90], v[127:128]
	v_fma_f64 v[125:126], v[73:74], v[89:90], -v[91:92]
	ds_load_b128 v[73:76], v1 offset:656
	s_wait_loadcnt_dscnt 0x901
	v_mul_f64_e32 v[121:122], v[117:118], v[95:96]
	v_mul_f64_e32 v[95:96], v[119:120], v[95:96]
	scratch_load_b128 v[89:92], off, off offset:352
	s_wait_loadcnt_dscnt 0x900
	v_mul_f64_e32 v[127:128], v[73:74], v[103:104]
	v_mul_f64_e32 v[103:104], v[75:76], v[103:104]
	v_add_f64_e32 v[6:7], v[6:7], v[111:112]
	v_add_f64_e32 v[2:3], v[2:3], v[109:110]
	ds_load_b128 v[109:112], v1 offset:672
	v_fma_f64 v[119:120], v[119:120], v[93:94], v[121:122]
	v_fma_f64 v[117:118], v[117:118], v[93:94], -v[95:96]
	scratch_load_b128 v[93:96], off, off offset:368
	v_add_f64_e32 v[6:7], v[6:7], v[123:124]
	v_add_f64_e32 v[2:3], v[2:3], v[125:126]
	v_fma_f64 v[123:124], v[75:76], v[101:102], v[127:128]
	v_fma_f64 v[125:126], v[73:74], v[101:102], -v[103:104]
	ds_load_b128 v[73:76], v1 offset:688
	scratch_load_b128 v[101:104], off, off offset:384
	s_wait_loadcnt_dscnt 0x901
	v_mul_f64_e32 v[121:122], v[109:110], v[10:11]
	v_mul_f64_e32 v[10:11], v[111:112], v[10:11]
	v_add_f64_e32 v[6:7], v[6:7], v[119:120]
	v_add_f64_e32 v[2:3], v[2:3], v[117:118]
	ds_load_b128 v[117:120], v1 offset:704
	v_fma_f64 v[111:112], v[111:112], v[8:9], v[121:122]
	v_fma_f64 v[10:11], v[109:110], v[8:9], -v[10:11]
	s_wait_loadcnt_dscnt 0x801
	v_mul_f64_e32 v[127:128], v[73:74], v[115:116]
	v_mul_f64_e32 v[115:116], v[75:76], v[115:116]
	v_add_f64_e32 v[109:110], v[6:7], v[123:124]
	v_add_f64_e32 v[2:3], v[2:3], v[125:126]
	scratch_load_b128 v[6:9], off, off offset:400
	v_fma_f64 v[75:76], v[75:76], v[113:114], v[127:128]
	v_fma_f64 v[125:126], v[73:74], v[113:114], -v[115:116]
	ds_load_b128 v[113:116], v1 offset:736
	s_wait_loadcnt_dscnt 0x801
	v_mul_f64_e32 v[121:122], v[117:118], v[71:72]
	v_mul_f64_e32 v[123:124], v[119:120], v[71:72]
	ds_load_b128 v[71:74], v1 offset:720
	v_add_f64_e32 v[2:3], v[2:3], v[10:11]
	v_add_f64_e32 v[10:11], v[109:110], v[111:112]
	scratch_load_b128 v[109:112], off, off offset:416
	s_wait_loadcnt_dscnt 0x800
	v_mul_f64_e32 v[127:128], v[71:72], v[99:100]
	v_mul_f64_e32 v[99:100], v[73:74], v[99:100]
	v_fma_f64 v[121:122], v[119:120], v[69:70], v[121:122]
	v_fma_f64 v[69:70], v[117:118], v[69:70], -v[123:124]
	scratch_load_b128 v[117:120], off, off offset:432
	v_add_f64_e32 v[2:3], v[2:3], v[125:126]
	v_add_f64_e32 v[10:11], v[10:11], v[75:76]
	s_wait_loadcnt 0x8
	v_mul_f64_e32 v[123:124], v[113:114], v[79:80]
	v_mul_f64_e32 v[79:80], v[115:116], v[79:80]
	v_fma_f64 v[125:126], v[73:74], v[97:98], v[127:128]
	v_fma_f64 v[127:128], v[71:72], v[97:98], -v[99:100]
	scratch_load_b128 v[73:76], off, off offset:448
	ds_load_b128 v[97:100], v1 offset:768
	v_add_f64_e32 v[2:3], v[2:3], v[69:70]
	v_add_f64_e32 v[10:11], v[10:11], v[121:122]
	ds_load_b128 v[69:72], v1 offset:752
	v_fma_f64 v[115:116], v[115:116], v[77:78], v[123:124]
	v_fma_f64 v[77:78], v[113:114], v[77:78], -v[79:80]
	s_wait_loadcnt_dscnt 0x800
	v_mul_f64_e32 v[121:122], v[69:70], v[83:84]
	v_mul_f64_e32 v[83:84], v[71:72], v[83:84]
	s_wait_loadcnt 0x7
	v_mul_f64_e32 v[113:114], v[97:98], v[87:88]
	v_mul_f64_e32 v[87:88], v[99:100], v[87:88]
	v_add_f64_e32 v[2:3], v[2:3], v[127:128]
	v_add_f64_e32 v[10:11], v[10:11], v[125:126]
	v_fma_f64 v[121:122], v[71:72], v[81:82], v[121:122]
	v_fma_f64 v[81:82], v[69:70], v[81:82], -v[83:84]
	v_fma_f64 v[99:100], v[99:100], v[85:86], v[113:114]
	v_fma_f64 v[85:86], v[97:98], v[85:86], -v[87:88]
	v_add_f64_e32 v[2:3], v[2:3], v[77:78]
	v_add_f64_e32 v[10:11], v[10:11], v[115:116]
	ds_load_b128 v[69:72], v1 offset:784
	ds_load_b128 v[77:80], v1 offset:800
	s_wait_loadcnt_dscnt 0x601
	v_mul_f64_e32 v[83:84], v[69:70], v[91:92]
	v_mul_f64_e32 v[91:92], v[71:72], v[91:92]
	s_wait_loadcnt_dscnt 0x500
	v_mul_f64_e32 v[87:88], v[77:78], v[95:96]
	v_mul_f64_e32 v[95:96], v[79:80], v[95:96]
	v_add_f64_e32 v[2:3], v[2:3], v[81:82]
	v_add_f64_e32 v[10:11], v[10:11], v[121:122]
	v_fma_f64 v[97:98], v[71:72], v[89:90], v[83:84]
	v_fma_f64 v[89:90], v[69:70], v[89:90], -v[91:92]
	ds_load_b128 v[69:72], v1 offset:816
	ds_load_b128 v[81:84], v1 offset:832
	v_fma_f64 v[79:80], v[79:80], v[93:94], v[87:88]
	v_fma_f64 v[77:78], v[77:78], v[93:94], -v[95:96]
	v_add_f64_e32 v[2:3], v[2:3], v[85:86]
	v_add_f64_e32 v[10:11], v[10:11], v[99:100]
	s_wait_loadcnt_dscnt 0x401
	v_mul_f64_e32 v[85:86], v[69:70], v[103:104]
	v_mul_f64_e32 v[91:92], v[71:72], v[103:104]
	s_delay_alu instid0(VALU_DEP_4) | instskip(NEXT) | instid1(VALU_DEP_4)
	v_add_f64_e32 v[2:3], v[2:3], v[89:90]
	v_add_f64_e32 v[10:11], v[10:11], v[97:98]
	s_delay_alu instid0(VALU_DEP_4) | instskip(NEXT) | instid1(VALU_DEP_4)
	v_fma_f64 v[85:86], v[71:72], v[101:102], v[85:86]
	v_fma_f64 v[91:92], v[69:70], v[101:102], -v[91:92]
	s_wait_loadcnt_dscnt 0x300
	v_mul_f64_e32 v[87:88], v[81:82], v[8:9]
	v_mul_f64_e32 v[89:90], v[83:84], v[8:9]
	v_add_f64_e32 v[2:3], v[2:3], v[77:78]
	v_add_f64_e32 v[77:78], v[10:11], v[79:80]
	ds_load_b128 v[8:11], v1 offset:848
	ds_load_b128 v[69:72], v1 offset:864
	v_fma_f64 v[83:84], v[83:84], v[6:7], v[87:88]
	v_fma_f64 v[6:7], v[81:82], v[6:7], -v[89:90]
	s_wait_loadcnt_dscnt 0x201
	v_mul_f64_e32 v[79:80], v[8:9], v[111:112]
	v_mul_f64_e32 v[93:94], v[10:11], v[111:112]
	s_wait_loadcnt_dscnt 0x100
	v_mul_f64_e32 v[81:82], v[69:70], v[119:120]
	v_add_f64_e32 v[2:3], v[2:3], v[91:92]
	v_add_f64_e32 v[77:78], v[77:78], v[85:86]
	v_mul_f64_e32 v[85:86], v[71:72], v[119:120]
	v_fma_f64 v[10:11], v[10:11], v[109:110], v[79:80]
	v_fma_f64 v[79:80], v[8:9], v[109:110], -v[93:94]
	v_fma_f64 v[71:72], v[71:72], v[117:118], v[81:82]
	v_add_f64_e32 v[2:3], v[2:3], v[6:7]
	v_add_f64_e32 v[77:78], v[77:78], v[83:84]
	ds_load_b128 v[6:9], v1 offset:880
	v_fma_f64 v[69:70], v[69:70], v[117:118], -v[85:86]
	s_wait_loadcnt_dscnt 0x0
	v_mul_f64_e32 v[83:84], v[6:7], v[75:76]
	v_mul_f64_e32 v[75:76], v[8:9], v[75:76]
	v_add_f64_e32 v[2:3], v[2:3], v[79:80]
	v_add_f64_e32 v[10:11], v[77:78], v[10:11]
	s_delay_alu instid0(VALU_DEP_4) | instskip(NEXT) | instid1(VALU_DEP_4)
	v_fma_f64 v[8:9], v[8:9], v[73:74], v[83:84]
	v_fma_f64 v[6:7], v[6:7], v[73:74], -v[75:76]
	s_delay_alu instid0(VALU_DEP_4) | instskip(NEXT) | instid1(VALU_DEP_4)
	v_add_f64_e32 v[2:3], v[2:3], v[69:70]
	v_add_f64_e32 v[10:11], v[10:11], v[71:72]
	s_delay_alu instid0(VALU_DEP_2) | instskip(NEXT) | instid1(VALU_DEP_2)
	v_add_f64_e32 v[2:3], v[2:3], v[6:7]
	v_add_f64_e32 v[8:9], v[10:11], v[8:9]
	s_delay_alu instid0(VALU_DEP_2) | instskip(NEXT) | instid1(VALU_DEP_2)
	v_add_f64_e64 v[6:7], v[105:106], -v[2:3]
	v_add_f64_e64 v[8:9], v[107:108], -v[8:9]
	scratch_store_b128 off, v[6:9], off offset:80
	v_cmpx_lt_u32_e32 3, v0
	s_cbranch_execz .LBB27_175
; %bb.174:
	scratch_load_b128 v[6:9], off, s13
	v_dual_mov_b32 v2, v1 :: v_dual_mov_b32 v3, v1
	v_mov_b32_e32 v4, v1
	scratch_store_b128 off, v[1:4], off offset:64
	s_wait_loadcnt 0x0
	ds_store_b128 v5, v[6:9]
.LBB27_175:
	s_wait_alu 0xfffe
	s_or_b32 exec_lo, exec_lo, s0
	s_wait_storecnt_dscnt 0x0
	s_barrier_signal -1
	s_barrier_wait -1
	global_inv scope:SCOPE_SE
	s_clause 0x8
	scratch_load_b128 v[6:9], off, off offset:80
	scratch_load_b128 v[69:72], off, off offset:96
	;; [unrolled: 1-line block ×9, first 2 shown]
	ds_load_b128 v[101:104], v1 offset:512
	ds_load_b128 v[105:108], v1 offset:528
	scratch_load_b128 v[109:112], off, off offset:64
	s_mov_b32 s0, exec_lo
	ds_load_b128 v[117:120], v1 offset:560
	s_wait_loadcnt_dscnt 0x902
	v_mul_f64_e32 v[2:3], v[103:104], v[8:9]
	v_mul_f64_e32 v[113:114], v[101:102], v[8:9]
	scratch_load_b128 v[8:11], off, off offset:224
	s_wait_loadcnt_dscnt 0x901
	v_mul_f64_e32 v[121:122], v[105:106], v[71:72]
	v_mul_f64_e32 v[71:72], v[107:108], v[71:72]
	v_fma_f64 v[2:3], v[101:102], v[6:7], -v[2:3]
	v_fma_f64 v[6:7], v[103:104], v[6:7], v[113:114]
	ds_load_b128 v[101:104], v1 offset:544
	scratch_load_b128 v[113:116], off, off offset:240
	v_fma_f64 v[107:108], v[107:108], v[69:70], v[121:122]
	v_fma_f64 v[105:106], v[105:106], v[69:70], -v[71:72]
	scratch_load_b128 v[69:72], off, off offset:256
	s_wait_loadcnt_dscnt 0x901
	v_mul_f64_e32 v[121:122], v[117:118], v[79:80]
	v_mul_f64_e32 v[79:80], v[119:120], v[79:80]
	s_wait_dscnt 0x0
	v_mul_f64_e32 v[123:124], v[101:102], v[75:76]
	v_mul_f64_e32 v[75:76], v[103:104], v[75:76]
	v_add_f64_e32 v[2:3], 0, v[2:3]
	v_add_f64_e32 v[6:7], 0, v[6:7]
	v_fma_f64 v[119:120], v[119:120], v[77:78], v[121:122]
	v_fma_f64 v[117:118], v[117:118], v[77:78], -v[79:80]
	scratch_load_b128 v[77:80], off, off offset:288
	v_fma_f64 v[123:124], v[103:104], v[73:74], v[123:124]
	v_fma_f64 v[125:126], v[101:102], v[73:74], -v[75:76]
	ds_load_b128 v[73:76], v1 offset:576
	scratch_load_b128 v[101:104], off, off offset:272
	v_add_f64_e32 v[2:3], v[2:3], v[105:106]
	v_add_f64_e32 v[6:7], v[6:7], v[107:108]
	ds_load_b128 v[105:108], v1 offset:592
	s_wait_loadcnt_dscnt 0xa01
	v_mul_f64_e32 v[127:128], v[73:74], v[83:84]
	v_mul_f64_e32 v[83:84], v[75:76], v[83:84]
	s_wait_loadcnt_dscnt 0x900
	v_mul_f64_e32 v[121:122], v[105:106], v[87:88]
	v_mul_f64_e32 v[87:88], v[107:108], v[87:88]
	v_add_f64_e32 v[2:3], v[2:3], v[125:126]
	v_add_f64_e32 v[6:7], v[6:7], v[123:124]
	v_fma_f64 v[123:124], v[75:76], v[81:82], v[127:128]
	v_fma_f64 v[125:126], v[73:74], v[81:82], -v[83:84]
	ds_load_b128 v[73:76], v1 offset:608
	scratch_load_b128 v[81:84], off, off offset:304
	v_fma_f64 v[107:108], v[107:108], v[85:86], v[121:122]
	v_fma_f64 v[105:106], v[105:106], v[85:86], -v[87:88]
	scratch_load_b128 v[85:88], off, off offset:320
	v_add_f64_e32 v[2:3], v[2:3], v[117:118]
	v_add_f64_e32 v[6:7], v[6:7], v[119:120]
	ds_load_b128 v[117:120], v1 offset:624
	s_wait_loadcnt_dscnt 0xa01
	v_mul_f64_e32 v[127:128], v[73:74], v[91:92]
	v_mul_f64_e32 v[91:92], v[75:76], v[91:92]
	s_wait_loadcnt_dscnt 0x900
	v_mul_f64_e32 v[121:122], v[117:118], v[95:96]
	v_mul_f64_e32 v[95:96], v[119:120], v[95:96]
	v_add_f64_e32 v[2:3], v[2:3], v[125:126]
	v_add_f64_e32 v[6:7], v[6:7], v[123:124]
	v_fma_f64 v[123:124], v[75:76], v[89:90], v[127:128]
	v_fma_f64 v[125:126], v[73:74], v[89:90], -v[91:92]
	ds_load_b128 v[73:76], v1 offset:640
	scratch_load_b128 v[89:92], off, off offset:336
	v_fma_f64 v[119:120], v[119:120], v[93:94], v[121:122]
	v_fma_f64 v[117:118], v[117:118], v[93:94], -v[95:96]
	scratch_load_b128 v[93:96], off, off offset:352
	v_add_f64_e32 v[2:3], v[2:3], v[105:106]
	v_add_f64_e32 v[6:7], v[6:7], v[107:108]
	ds_load_b128 v[105:108], v1 offset:656
	s_wait_loadcnt_dscnt 0xa01
	v_mul_f64_e32 v[127:128], v[73:74], v[99:100]
	v_mul_f64_e32 v[99:100], v[75:76], v[99:100]
	v_add_f64_e32 v[2:3], v[2:3], v[125:126]
	v_add_f64_e32 v[6:7], v[6:7], v[123:124]
	s_delay_alu instid0(VALU_DEP_4) | instskip(NEXT) | instid1(VALU_DEP_4)
	v_fma_f64 v[123:124], v[75:76], v[97:98], v[127:128]
	v_fma_f64 v[125:126], v[73:74], v[97:98], -v[99:100]
	ds_load_b128 v[73:76], v1 offset:672
	scratch_load_b128 v[97:100], off, off offset:368
	s_wait_loadcnt_dscnt 0x901
	v_mul_f64_e32 v[121:122], v[105:106], v[10:11]
	v_mul_f64_e32 v[10:11], v[107:108], v[10:11]
	v_add_f64_e32 v[2:3], v[2:3], v[117:118]
	v_add_f64_e32 v[6:7], v[6:7], v[119:120]
	ds_load_b128 v[117:120], v1 offset:688
	v_fma_f64 v[107:108], v[107:108], v[8:9], v[121:122]
	s_wait_loadcnt_dscnt 0x801
	v_mul_f64_e32 v[127:128], v[73:74], v[115:116]
	v_mul_f64_e32 v[115:116], v[75:76], v[115:116]
	v_fma_f64 v[10:11], v[105:106], v[8:9], -v[10:11]
	s_wait_loadcnt_dscnt 0x700
	v_mul_f64_e32 v[121:122], v[117:118], v[71:72]
	v_add_f64_e32 v[2:3], v[2:3], v[125:126]
	v_add_f64_e32 v[105:106], v[6:7], v[123:124]
	scratch_load_b128 v[6:9], off, off offset:384
	v_mul_f64_e32 v[123:124], v[119:120], v[71:72]
	v_fma_f64 v[75:76], v[75:76], v[113:114], v[127:128]
	v_fma_f64 v[125:126], v[73:74], v[113:114], -v[115:116]
	ds_load_b128 v[71:74], v1 offset:704
	ds_load_b128 v[113:116], v1 offset:720
	v_fma_f64 v[121:122], v[119:120], v[69:70], v[121:122]
	v_add_f64_e32 v[2:3], v[2:3], v[10:11]
	v_add_f64_e32 v[10:11], v[105:106], v[107:108]
	scratch_load_b128 v[105:108], off, off offset:400
	s_wait_loadcnt_dscnt 0x701
	v_mul_f64_e32 v[127:128], v[71:72], v[103:104]
	v_mul_f64_e32 v[103:104], v[73:74], v[103:104]
	v_fma_f64 v[69:70], v[117:118], v[69:70], -v[123:124]
	scratch_load_b128 v[117:120], off, off offset:416
	s_wait_dscnt 0x0
	v_mul_f64_e32 v[123:124], v[113:114], v[79:80]
	v_mul_f64_e32 v[79:80], v[115:116], v[79:80]
	v_add_f64_e32 v[2:3], v[2:3], v[125:126]
	v_add_f64_e32 v[10:11], v[10:11], v[75:76]
	v_fma_f64 v[125:126], v[73:74], v[101:102], v[127:128]
	v_fma_f64 v[127:128], v[71:72], v[101:102], -v[103:104]
	scratch_load_b128 v[73:76], off, off offset:432
	ds_load_b128 v[101:104], v1 offset:752
	v_fma_f64 v[115:116], v[115:116], v[77:78], v[123:124]
	v_fma_f64 v[113:114], v[113:114], v[77:78], -v[79:80]
	scratch_load_b128 v[77:80], off, off offset:448
	v_add_f64_e32 v[2:3], v[2:3], v[69:70]
	v_add_f64_e32 v[10:11], v[10:11], v[121:122]
	ds_load_b128 v[69:72], v1 offset:736
	s_wait_loadcnt_dscnt 0x801
	v_mul_f64_e32 v[123:124], v[101:102], v[87:88]
	v_mul_f64_e32 v[87:88], v[103:104], v[87:88]
	s_wait_dscnt 0x0
	v_mul_f64_e32 v[121:122], v[69:70], v[83:84]
	v_mul_f64_e32 v[83:84], v[71:72], v[83:84]
	v_add_f64_e32 v[2:3], v[2:3], v[127:128]
	v_add_f64_e32 v[10:11], v[10:11], v[125:126]
	v_fma_f64 v[103:104], v[103:104], v[85:86], v[123:124]
	v_fma_f64 v[85:86], v[101:102], v[85:86], -v[87:88]
	v_fma_f64 v[121:122], v[71:72], v[81:82], v[121:122]
	v_fma_f64 v[125:126], v[69:70], v[81:82], -v[83:84]
	ds_load_b128 v[69:72], v1 offset:768
	ds_load_b128 v[81:84], v1 offset:784
	v_add_f64_e32 v[2:3], v[2:3], v[113:114]
	v_add_f64_e32 v[10:11], v[10:11], v[115:116]
	s_wait_loadcnt_dscnt 0x701
	v_mul_f64_e32 v[113:114], v[69:70], v[91:92]
	v_mul_f64_e32 v[91:92], v[71:72], v[91:92]
	s_wait_loadcnt_dscnt 0x600
	v_mul_f64_e32 v[101:102], v[81:82], v[95:96]
	v_mul_f64_e32 v[95:96], v[83:84], v[95:96]
	v_add_f64_e32 v[2:3], v[2:3], v[125:126]
	v_add_f64_e32 v[10:11], v[10:11], v[121:122]
	v_fma_f64 v[113:114], v[71:72], v[89:90], v[113:114]
	v_fma_f64 v[89:90], v[69:70], v[89:90], -v[91:92]
	v_fma_f64 v[83:84], v[83:84], v[93:94], v[101:102]
	v_fma_f64 v[81:82], v[81:82], v[93:94], -v[95:96]
	v_add_f64_e32 v[2:3], v[2:3], v[85:86]
	v_add_f64_e32 v[10:11], v[10:11], v[103:104]
	ds_load_b128 v[69:72], v1 offset:800
	ds_load_b128 v[85:88], v1 offset:816
	s_wait_loadcnt_dscnt 0x501
	v_mul_f64_e32 v[91:92], v[69:70], v[99:100]
	v_mul_f64_e32 v[99:100], v[71:72], v[99:100]
	v_add_f64_e32 v[2:3], v[2:3], v[89:90]
	v_add_f64_e32 v[10:11], v[10:11], v[113:114]
	s_wait_loadcnt_dscnt 0x400
	v_mul_f64_e32 v[89:90], v[85:86], v[8:9]
	v_mul_f64_e32 v[93:94], v[87:88], v[8:9]
	v_fma_f64 v[91:92], v[71:72], v[97:98], v[91:92]
	v_fma_f64 v[95:96], v[69:70], v[97:98], -v[99:100]
	v_add_f64_e32 v[2:3], v[2:3], v[81:82]
	v_add_f64_e32 v[81:82], v[10:11], v[83:84]
	ds_load_b128 v[8:11], v1 offset:832
	ds_load_b128 v[69:72], v1 offset:848
	v_fma_f64 v[87:88], v[87:88], v[6:7], v[89:90]
	v_fma_f64 v[6:7], v[85:86], v[6:7], -v[93:94]
	s_wait_loadcnt_dscnt 0x301
	v_mul_f64_e32 v[83:84], v[8:9], v[107:108]
	v_mul_f64_e32 v[97:98], v[10:11], v[107:108]
	s_wait_loadcnt_dscnt 0x200
	v_mul_f64_e32 v[85:86], v[69:70], v[119:120]
	v_mul_f64_e32 v[89:90], v[71:72], v[119:120]
	v_add_f64_e32 v[2:3], v[2:3], v[95:96]
	v_add_f64_e32 v[81:82], v[81:82], v[91:92]
	v_fma_f64 v[10:11], v[10:11], v[105:106], v[83:84]
	v_fma_f64 v[83:84], v[8:9], v[105:106], -v[97:98]
	v_fma_f64 v[71:72], v[71:72], v[117:118], v[85:86]
	v_fma_f64 v[69:70], v[69:70], v[117:118], -v[89:90]
	v_add_f64_e32 v[91:92], v[2:3], v[6:7]
	v_add_f64_e32 v[81:82], v[81:82], v[87:88]
	ds_load_b128 v[6:9], v1 offset:864
	ds_load_b128 v[1:4], v1 offset:880
	s_wait_loadcnt_dscnt 0x101
	v_mul_f64_e32 v[87:88], v[6:7], v[75:76]
	v_mul_f64_e32 v[75:76], v[8:9], v[75:76]
	v_add_f64_e32 v[83:84], v[91:92], v[83:84]
	v_add_f64_e32 v[10:11], v[81:82], v[10:11]
	s_wait_loadcnt_dscnt 0x0
	v_mul_f64_e32 v[81:82], v[1:2], v[79:80]
	v_mul_f64_e32 v[79:80], v[3:4], v[79:80]
	v_fma_f64 v[8:9], v[8:9], v[73:74], v[87:88]
	v_fma_f64 v[6:7], v[6:7], v[73:74], -v[75:76]
	v_add_f64_e32 v[69:70], v[83:84], v[69:70]
	v_add_f64_e32 v[10:11], v[10:11], v[71:72]
	v_fma_f64 v[3:4], v[3:4], v[77:78], v[81:82]
	v_fma_f64 v[1:2], v[1:2], v[77:78], -v[79:80]
	s_delay_alu instid0(VALU_DEP_4) | instskip(NEXT) | instid1(VALU_DEP_4)
	v_add_f64_e32 v[6:7], v[69:70], v[6:7]
	v_add_f64_e32 v[8:9], v[10:11], v[8:9]
	s_delay_alu instid0(VALU_DEP_2) | instskip(NEXT) | instid1(VALU_DEP_2)
	v_add_f64_e32 v[1:2], v[6:7], v[1:2]
	v_add_f64_e32 v[3:4], v[8:9], v[3:4]
	s_delay_alu instid0(VALU_DEP_2) | instskip(NEXT) | instid1(VALU_DEP_2)
	v_add_f64_e64 v[1:2], v[109:110], -v[1:2]
	v_add_f64_e64 v[3:4], v[111:112], -v[3:4]
	scratch_store_b128 off, v[1:4], off offset:64
	v_cmpx_lt_u32_e32 2, v0
	s_cbranch_execz .LBB27_177
; %bb.176:
	scratch_load_b128 v[1:4], off, s19
	v_mov_b32_e32 v6, 0
	s_delay_alu instid0(VALU_DEP_1)
	v_dual_mov_b32 v7, v6 :: v_dual_mov_b32 v8, v6
	v_mov_b32_e32 v9, v6
	scratch_store_b128 off, v[6:9], off offset:48
	s_wait_loadcnt 0x0
	ds_store_b128 v5, v[1:4]
.LBB27_177:
	s_wait_alu 0xfffe
	s_or_b32 exec_lo, exec_lo, s0
	s_wait_storecnt_dscnt 0x0
	s_barrier_signal -1
	s_barrier_wait -1
	global_inv scope:SCOPE_SE
	s_clause 0x7
	scratch_load_b128 v[6:9], off, off offset:64
	scratch_load_b128 v[69:72], off, off offset:80
	;; [unrolled: 1-line block ×8, first 2 shown]
	v_mov_b32_e32 v1, 0
	s_mov_b32 s0, exec_lo
	ds_load_b128 v[97:100], v1 offset:496
	s_clause 0x1
	scratch_load_b128 v[101:104], off, off offset:192
	scratch_load_b128 v[105:108], off, off offset:48
	ds_load_b128 v[109:112], v1 offset:512
	ds_load_b128 v[117:120], v1 offset:544
	s_wait_loadcnt_dscnt 0x902
	v_mul_f64_e32 v[2:3], v[99:100], v[8:9]
	v_mul_f64_e32 v[113:114], v[97:98], v[8:9]
	scratch_load_b128 v[8:11], off, off offset:208
	v_fma_f64 v[2:3], v[97:98], v[6:7], -v[2:3]
	v_fma_f64 v[6:7], v[99:100], v[6:7], v[113:114]
	ds_load_b128 v[97:100], v1 offset:528
	s_wait_loadcnt_dscnt 0x902
	v_mul_f64_e32 v[121:122], v[109:110], v[71:72]
	v_mul_f64_e32 v[71:72], v[111:112], v[71:72]
	scratch_load_b128 v[113:116], off, off offset:224
	s_wait_loadcnt_dscnt 0x900
	v_mul_f64_e32 v[123:124], v[97:98], v[75:76]
	v_mul_f64_e32 v[75:76], v[99:100], v[75:76]
	v_add_f64_e32 v[2:3], 0, v[2:3]
	v_add_f64_e32 v[6:7], 0, v[6:7]
	v_fma_f64 v[111:112], v[111:112], v[69:70], v[121:122]
	v_fma_f64 v[109:110], v[109:110], v[69:70], -v[71:72]
	scratch_load_b128 v[69:72], off, off offset:240
	v_fma_f64 v[123:124], v[99:100], v[73:74], v[123:124]
	v_fma_f64 v[125:126], v[97:98], v[73:74], -v[75:76]
	ds_load_b128 v[73:76], v1 offset:560
	s_wait_loadcnt 0x9
	v_mul_f64_e32 v[121:122], v[117:118], v[79:80]
	v_mul_f64_e32 v[79:80], v[119:120], v[79:80]
	scratch_load_b128 v[97:100], off, off offset:256
	v_add_f64_e32 v[6:7], v[6:7], v[111:112]
	v_add_f64_e32 v[2:3], v[2:3], v[109:110]
	ds_load_b128 v[109:112], v1 offset:576
	s_wait_loadcnt_dscnt 0x901
	v_mul_f64_e32 v[127:128], v[73:74], v[83:84]
	v_mul_f64_e32 v[83:84], v[75:76], v[83:84]
	v_fma_f64 v[119:120], v[119:120], v[77:78], v[121:122]
	v_fma_f64 v[117:118], v[117:118], v[77:78], -v[79:80]
	scratch_load_b128 v[77:80], off, off offset:272
	v_add_f64_e32 v[6:7], v[6:7], v[123:124]
	v_add_f64_e32 v[2:3], v[2:3], v[125:126]
	v_fma_f64 v[123:124], v[75:76], v[81:82], v[127:128]
	v_fma_f64 v[125:126], v[73:74], v[81:82], -v[83:84]
	ds_load_b128 v[73:76], v1 offset:592
	s_wait_loadcnt_dscnt 0x901
	v_mul_f64_e32 v[121:122], v[109:110], v[87:88]
	v_mul_f64_e32 v[87:88], v[111:112], v[87:88]
	scratch_load_b128 v[81:84], off, off offset:288
	s_wait_loadcnt_dscnt 0x900
	v_mul_f64_e32 v[127:128], v[73:74], v[91:92]
	v_mul_f64_e32 v[91:92], v[75:76], v[91:92]
	v_add_f64_e32 v[6:7], v[6:7], v[119:120]
	v_add_f64_e32 v[2:3], v[2:3], v[117:118]
	ds_load_b128 v[117:120], v1 offset:608
	v_fma_f64 v[111:112], v[111:112], v[85:86], v[121:122]
	v_fma_f64 v[109:110], v[109:110], v[85:86], -v[87:88]
	scratch_load_b128 v[85:88], off, off offset:304
	v_add_f64_e32 v[6:7], v[6:7], v[123:124]
	v_add_f64_e32 v[2:3], v[2:3], v[125:126]
	v_fma_f64 v[123:124], v[75:76], v[89:90], v[127:128]
	v_fma_f64 v[125:126], v[73:74], v[89:90], -v[91:92]
	ds_load_b128 v[73:76], v1 offset:624
	s_wait_loadcnt_dscnt 0x901
	v_mul_f64_e32 v[121:122], v[117:118], v[95:96]
	v_mul_f64_e32 v[95:96], v[119:120], v[95:96]
	scratch_load_b128 v[89:92], off, off offset:320
	s_wait_loadcnt_dscnt 0x900
	v_mul_f64_e32 v[127:128], v[73:74], v[103:104]
	v_mul_f64_e32 v[103:104], v[75:76], v[103:104]
	v_add_f64_e32 v[6:7], v[6:7], v[111:112]
	v_add_f64_e32 v[2:3], v[2:3], v[109:110]
	ds_load_b128 v[109:112], v1 offset:640
	v_fma_f64 v[119:120], v[119:120], v[93:94], v[121:122]
	v_fma_f64 v[117:118], v[117:118], v[93:94], -v[95:96]
	scratch_load_b128 v[93:96], off, off offset:336
	v_add_f64_e32 v[6:7], v[6:7], v[123:124]
	v_add_f64_e32 v[2:3], v[2:3], v[125:126]
	v_fma_f64 v[123:124], v[75:76], v[101:102], v[127:128]
	v_fma_f64 v[125:126], v[73:74], v[101:102], -v[103:104]
	ds_load_b128 v[73:76], v1 offset:656
	scratch_load_b128 v[101:104], off, off offset:352
	s_wait_loadcnt_dscnt 0x901
	v_mul_f64_e32 v[121:122], v[109:110], v[10:11]
	v_mul_f64_e32 v[10:11], v[111:112], v[10:11]
	v_add_f64_e32 v[6:7], v[6:7], v[119:120]
	v_add_f64_e32 v[2:3], v[2:3], v[117:118]
	ds_load_b128 v[117:120], v1 offset:672
	v_fma_f64 v[111:112], v[111:112], v[8:9], v[121:122]
	v_fma_f64 v[10:11], v[109:110], v[8:9], -v[10:11]
	s_wait_loadcnt_dscnt 0x801
	v_mul_f64_e32 v[127:128], v[73:74], v[115:116]
	v_mul_f64_e32 v[115:116], v[75:76], v[115:116]
	v_add_f64_e32 v[109:110], v[6:7], v[123:124]
	v_add_f64_e32 v[2:3], v[2:3], v[125:126]
	scratch_load_b128 v[6:9], off, off offset:368
	v_fma_f64 v[75:76], v[75:76], v[113:114], v[127:128]
	v_fma_f64 v[125:126], v[73:74], v[113:114], -v[115:116]
	ds_load_b128 v[113:116], v1 offset:704
	s_wait_loadcnt_dscnt 0x801
	v_mul_f64_e32 v[121:122], v[117:118], v[71:72]
	v_mul_f64_e32 v[123:124], v[119:120], v[71:72]
	ds_load_b128 v[71:74], v1 offset:688
	v_add_f64_e32 v[2:3], v[2:3], v[10:11]
	v_add_f64_e32 v[10:11], v[109:110], v[111:112]
	scratch_load_b128 v[109:112], off, off offset:384
	s_wait_loadcnt_dscnt 0x800
	v_mul_f64_e32 v[127:128], v[71:72], v[99:100]
	v_mul_f64_e32 v[99:100], v[73:74], v[99:100]
	v_fma_f64 v[121:122], v[119:120], v[69:70], v[121:122]
	v_fma_f64 v[69:70], v[117:118], v[69:70], -v[123:124]
	scratch_load_b128 v[117:120], off, off offset:400
	v_add_f64_e32 v[2:3], v[2:3], v[125:126]
	v_add_f64_e32 v[10:11], v[10:11], v[75:76]
	s_wait_loadcnt 0x8
	v_mul_f64_e32 v[123:124], v[113:114], v[79:80]
	v_mul_f64_e32 v[79:80], v[115:116], v[79:80]
	v_fma_f64 v[125:126], v[73:74], v[97:98], v[127:128]
	v_fma_f64 v[127:128], v[71:72], v[97:98], -v[99:100]
	scratch_load_b128 v[73:76], off, off offset:416
	ds_load_b128 v[97:100], v1 offset:736
	v_add_f64_e32 v[2:3], v[2:3], v[69:70]
	v_add_f64_e32 v[10:11], v[10:11], v[121:122]
	ds_load_b128 v[69:72], v1 offset:720
	v_fma_f64 v[115:116], v[115:116], v[77:78], v[123:124]
	v_fma_f64 v[113:114], v[113:114], v[77:78], -v[79:80]
	scratch_load_b128 v[77:80], off, off offset:432
	s_wait_loadcnt_dscnt 0x900
	v_mul_f64_e32 v[121:122], v[69:70], v[83:84]
	v_mul_f64_e32 v[83:84], v[71:72], v[83:84]
	s_wait_loadcnt 0x8
	v_mul_f64_e32 v[123:124], v[97:98], v[87:88]
	v_mul_f64_e32 v[87:88], v[99:100], v[87:88]
	v_add_f64_e32 v[2:3], v[2:3], v[127:128]
	v_add_f64_e32 v[10:11], v[10:11], v[125:126]
	v_fma_f64 v[121:122], v[71:72], v[81:82], v[121:122]
	v_fma_f64 v[125:126], v[69:70], v[81:82], -v[83:84]
	ds_load_b128 v[69:72], v1 offset:752
	scratch_load_b128 v[81:84], off, off offset:448
	v_fma_f64 v[99:100], v[99:100], v[85:86], v[123:124]
	v_fma_f64 v[85:86], v[97:98], v[85:86], -v[87:88]
	v_add_f64_e32 v[2:3], v[2:3], v[113:114]
	v_add_f64_e32 v[10:11], v[10:11], v[115:116]
	ds_load_b128 v[113:116], v1 offset:768
	s_wait_loadcnt_dscnt 0x801
	v_mul_f64_e32 v[127:128], v[69:70], v[91:92]
	v_mul_f64_e32 v[91:92], v[71:72], v[91:92]
	s_wait_loadcnt_dscnt 0x700
	v_mul_f64_e32 v[97:98], v[113:114], v[95:96]
	v_mul_f64_e32 v[95:96], v[115:116], v[95:96]
	v_add_f64_e32 v[2:3], v[2:3], v[125:126]
	v_add_f64_e32 v[10:11], v[10:11], v[121:122]
	v_fma_f64 v[121:122], v[71:72], v[89:90], v[127:128]
	v_fma_f64 v[89:90], v[69:70], v[89:90], -v[91:92]
	v_fma_f64 v[97:98], v[115:116], v[93:94], v[97:98]
	v_fma_f64 v[93:94], v[113:114], v[93:94], -v[95:96]
	v_add_f64_e32 v[2:3], v[2:3], v[85:86]
	v_add_f64_e32 v[10:11], v[10:11], v[99:100]
	ds_load_b128 v[69:72], v1 offset:784
	ds_load_b128 v[85:88], v1 offset:800
	s_wait_loadcnt_dscnt 0x601
	v_mul_f64_e32 v[91:92], v[69:70], v[103:104]
	v_mul_f64_e32 v[99:100], v[71:72], v[103:104]
	v_add_f64_e32 v[2:3], v[2:3], v[89:90]
	v_add_f64_e32 v[10:11], v[10:11], v[121:122]
	s_wait_loadcnt_dscnt 0x500
	v_mul_f64_e32 v[89:90], v[85:86], v[8:9]
	v_mul_f64_e32 v[95:96], v[87:88], v[8:9]
	v_fma_f64 v[91:92], v[71:72], v[101:102], v[91:92]
	v_fma_f64 v[99:100], v[69:70], v[101:102], -v[99:100]
	v_add_f64_e32 v[2:3], v[2:3], v[93:94]
	v_add_f64_e32 v[93:94], v[10:11], v[97:98]
	ds_load_b128 v[8:11], v1 offset:816
	ds_load_b128 v[69:72], v1 offset:832
	v_fma_f64 v[87:88], v[87:88], v[6:7], v[89:90]
	v_fma_f64 v[6:7], v[85:86], v[6:7], -v[95:96]
	s_wait_loadcnt_dscnt 0x401
	v_mul_f64_e32 v[97:98], v[8:9], v[111:112]
	v_mul_f64_e32 v[101:102], v[10:11], v[111:112]
	s_wait_loadcnt_dscnt 0x300
	v_mul_f64_e32 v[89:90], v[69:70], v[119:120]
	v_add_f64_e32 v[2:3], v[2:3], v[99:100]
	v_add_f64_e32 v[85:86], v[93:94], v[91:92]
	v_mul_f64_e32 v[91:92], v[71:72], v[119:120]
	v_fma_f64 v[10:11], v[10:11], v[109:110], v[97:98]
	v_fma_f64 v[93:94], v[8:9], v[109:110], -v[101:102]
	v_fma_f64 v[71:72], v[71:72], v[117:118], v[89:90]
	v_add_f64_e32 v[2:3], v[2:3], v[6:7]
	v_add_f64_e32 v[95:96], v[85:86], v[87:88]
	ds_load_b128 v[6:9], v1 offset:848
	ds_load_b128 v[85:88], v1 offset:864
	v_fma_f64 v[69:70], v[69:70], v[117:118], -v[91:92]
	s_wait_loadcnt_dscnt 0x201
	v_mul_f64_e32 v[97:98], v[6:7], v[75:76]
	v_mul_f64_e32 v[75:76], v[8:9], v[75:76]
	s_wait_loadcnt_dscnt 0x100
	v_mul_f64_e32 v[89:90], v[85:86], v[79:80]
	v_mul_f64_e32 v[79:80], v[87:88], v[79:80]
	v_add_f64_e32 v[2:3], v[2:3], v[93:94]
	v_add_f64_e32 v[10:11], v[95:96], v[10:11]
	v_fma_f64 v[91:92], v[8:9], v[73:74], v[97:98]
	v_fma_f64 v[73:74], v[6:7], v[73:74], -v[75:76]
	ds_load_b128 v[6:9], v1 offset:880
	v_fma_f64 v[75:76], v[87:88], v[77:78], v[89:90]
	v_fma_f64 v[77:78], v[85:86], v[77:78], -v[79:80]
	v_add_f64_e32 v[2:3], v[2:3], v[69:70]
	v_add_f64_e32 v[10:11], v[10:11], v[71:72]
	s_wait_loadcnt_dscnt 0x0
	v_mul_f64_e32 v[69:70], v[6:7], v[83:84]
	v_mul_f64_e32 v[71:72], v[8:9], v[83:84]
	s_delay_alu instid0(VALU_DEP_4) | instskip(NEXT) | instid1(VALU_DEP_4)
	v_add_f64_e32 v[2:3], v[2:3], v[73:74]
	v_add_f64_e32 v[10:11], v[10:11], v[91:92]
	s_delay_alu instid0(VALU_DEP_4) | instskip(NEXT) | instid1(VALU_DEP_4)
	v_fma_f64 v[8:9], v[8:9], v[81:82], v[69:70]
	v_fma_f64 v[6:7], v[6:7], v[81:82], -v[71:72]
	s_delay_alu instid0(VALU_DEP_4) | instskip(NEXT) | instid1(VALU_DEP_4)
	v_add_f64_e32 v[2:3], v[2:3], v[77:78]
	v_add_f64_e32 v[10:11], v[10:11], v[75:76]
	s_delay_alu instid0(VALU_DEP_2) | instskip(NEXT) | instid1(VALU_DEP_2)
	v_add_f64_e32 v[2:3], v[2:3], v[6:7]
	v_add_f64_e32 v[8:9], v[10:11], v[8:9]
	s_delay_alu instid0(VALU_DEP_2) | instskip(NEXT) | instid1(VALU_DEP_2)
	v_add_f64_e64 v[6:7], v[105:106], -v[2:3]
	v_add_f64_e64 v[8:9], v[107:108], -v[8:9]
	scratch_store_b128 off, v[6:9], off offset:48
	v_cmpx_lt_u32_e32 1, v0
	s_cbranch_execz .LBB27_179
; %bb.178:
	scratch_load_b128 v[6:9], off, s21
	v_dual_mov_b32 v2, v1 :: v_dual_mov_b32 v3, v1
	v_mov_b32_e32 v4, v1
	scratch_store_b128 off, v[1:4], off offset:32
	s_wait_loadcnt 0x0
	ds_store_b128 v5, v[6:9]
.LBB27_179:
	s_wait_alu 0xfffe
	s_or_b32 exec_lo, exec_lo, s0
	s_wait_storecnt_dscnt 0x0
	s_barrier_signal -1
	s_barrier_wait -1
	global_inv scope:SCOPE_SE
	s_clause 0x8
	scratch_load_b128 v[6:9], off, off offset:48
	scratch_load_b128 v[69:72], off, off offset:64
	;; [unrolled: 1-line block ×9, first 2 shown]
	ds_load_b128 v[101:104], v1 offset:480
	ds_load_b128 v[105:108], v1 offset:496
	scratch_load_b128 v[109:112], off, off offset:32
	s_mov_b32 s0, exec_lo
	ds_load_b128 v[117:120], v1 offset:528
	s_wait_loadcnt_dscnt 0x902
	v_mul_f64_e32 v[2:3], v[103:104], v[8:9]
	v_mul_f64_e32 v[113:114], v[101:102], v[8:9]
	scratch_load_b128 v[8:11], off, off offset:192
	s_wait_loadcnt_dscnt 0x901
	v_mul_f64_e32 v[121:122], v[105:106], v[71:72]
	v_mul_f64_e32 v[71:72], v[107:108], v[71:72]
	v_fma_f64 v[2:3], v[101:102], v[6:7], -v[2:3]
	v_fma_f64 v[6:7], v[103:104], v[6:7], v[113:114]
	ds_load_b128 v[101:104], v1 offset:512
	scratch_load_b128 v[113:116], off, off offset:208
	v_fma_f64 v[107:108], v[107:108], v[69:70], v[121:122]
	v_fma_f64 v[105:106], v[105:106], v[69:70], -v[71:72]
	scratch_load_b128 v[69:72], off, off offset:224
	s_wait_loadcnt_dscnt 0x901
	v_mul_f64_e32 v[121:122], v[117:118], v[79:80]
	v_mul_f64_e32 v[79:80], v[119:120], v[79:80]
	s_wait_dscnt 0x0
	v_mul_f64_e32 v[123:124], v[101:102], v[75:76]
	v_mul_f64_e32 v[75:76], v[103:104], v[75:76]
	v_add_f64_e32 v[2:3], 0, v[2:3]
	v_add_f64_e32 v[6:7], 0, v[6:7]
	v_fma_f64 v[119:120], v[119:120], v[77:78], v[121:122]
	v_fma_f64 v[117:118], v[117:118], v[77:78], -v[79:80]
	scratch_load_b128 v[77:80], off, off offset:256
	v_fma_f64 v[123:124], v[103:104], v[73:74], v[123:124]
	v_fma_f64 v[125:126], v[101:102], v[73:74], -v[75:76]
	ds_load_b128 v[73:76], v1 offset:544
	scratch_load_b128 v[101:104], off, off offset:240
	v_add_f64_e32 v[2:3], v[2:3], v[105:106]
	v_add_f64_e32 v[6:7], v[6:7], v[107:108]
	ds_load_b128 v[105:108], v1 offset:560
	s_wait_loadcnt_dscnt 0xa01
	v_mul_f64_e32 v[127:128], v[73:74], v[83:84]
	v_mul_f64_e32 v[83:84], v[75:76], v[83:84]
	s_wait_loadcnt_dscnt 0x900
	v_mul_f64_e32 v[121:122], v[105:106], v[87:88]
	v_mul_f64_e32 v[87:88], v[107:108], v[87:88]
	v_add_f64_e32 v[2:3], v[2:3], v[125:126]
	v_add_f64_e32 v[6:7], v[6:7], v[123:124]
	v_fma_f64 v[123:124], v[75:76], v[81:82], v[127:128]
	v_fma_f64 v[125:126], v[73:74], v[81:82], -v[83:84]
	ds_load_b128 v[73:76], v1 offset:576
	scratch_load_b128 v[81:84], off, off offset:272
	v_fma_f64 v[107:108], v[107:108], v[85:86], v[121:122]
	v_fma_f64 v[105:106], v[105:106], v[85:86], -v[87:88]
	scratch_load_b128 v[85:88], off, off offset:288
	v_add_f64_e32 v[2:3], v[2:3], v[117:118]
	v_add_f64_e32 v[6:7], v[6:7], v[119:120]
	ds_load_b128 v[117:120], v1 offset:592
	s_wait_loadcnt_dscnt 0xa01
	v_mul_f64_e32 v[127:128], v[73:74], v[91:92]
	v_mul_f64_e32 v[91:92], v[75:76], v[91:92]
	s_wait_loadcnt_dscnt 0x900
	v_mul_f64_e32 v[121:122], v[117:118], v[95:96]
	v_mul_f64_e32 v[95:96], v[119:120], v[95:96]
	v_add_f64_e32 v[2:3], v[2:3], v[125:126]
	v_add_f64_e32 v[6:7], v[6:7], v[123:124]
	v_fma_f64 v[123:124], v[75:76], v[89:90], v[127:128]
	v_fma_f64 v[125:126], v[73:74], v[89:90], -v[91:92]
	ds_load_b128 v[73:76], v1 offset:608
	scratch_load_b128 v[89:92], off, off offset:304
	v_fma_f64 v[119:120], v[119:120], v[93:94], v[121:122]
	v_fma_f64 v[117:118], v[117:118], v[93:94], -v[95:96]
	scratch_load_b128 v[93:96], off, off offset:320
	v_add_f64_e32 v[2:3], v[2:3], v[105:106]
	v_add_f64_e32 v[6:7], v[6:7], v[107:108]
	ds_load_b128 v[105:108], v1 offset:624
	s_wait_loadcnt_dscnt 0xa01
	v_mul_f64_e32 v[127:128], v[73:74], v[99:100]
	v_mul_f64_e32 v[99:100], v[75:76], v[99:100]
	v_add_f64_e32 v[2:3], v[2:3], v[125:126]
	v_add_f64_e32 v[6:7], v[6:7], v[123:124]
	s_delay_alu instid0(VALU_DEP_4) | instskip(NEXT) | instid1(VALU_DEP_4)
	v_fma_f64 v[123:124], v[75:76], v[97:98], v[127:128]
	v_fma_f64 v[125:126], v[73:74], v[97:98], -v[99:100]
	ds_load_b128 v[73:76], v1 offset:640
	scratch_load_b128 v[97:100], off, off offset:336
	s_wait_loadcnt_dscnt 0x901
	v_mul_f64_e32 v[121:122], v[105:106], v[10:11]
	v_mul_f64_e32 v[10:11], v[107:108], v[10:11]
	v_add_f64_e32 v[2:3], v[2:3], v[117:118]
	v_add_f64_e32 v[6:7], v[6:7], v[119:120]
	ds_load_b128 v[117:120], v1 offset:656
	v_fma_f64 v[107:108], v[107:108], v[8:9], v[121:122]
	s_wait_loadcnt_dscnt 0x801
	v_mul_f64_e32 v[127:128], v[73:74], v[115:116]
	v_mul_f64_e32 v[115:116], v[75:76], v[115:116]
	v_fma_f64 v[10:11], v[105:106], v[8:9], -v[10:11]
	s_wait_loadcnt_dscnt 0x700
	v_mul_f64_e32 v[121:122], v[117:118], v[71:72]
	v_add_f64_e32 v[2:3], v[2:3], v[125:126]
	v_add_f64_e32 v[105:106], v[6:7], v[123:124]
	scratch_load_b128 v[6:9], off, off offset:352
	v_mul_f64_e32 v[123:124], v[119:120], v[71:72]
	v_fma_f64 v[75:76], v[75:76], v[113:114], v[127:128]
	v_fma_f64 v[125:126], v[73:74], v[113:114], -v[115:116]
	ds_load_b128 v[71:74], v1 offset:672
	ds_load_b128 v[113:116], v1 offset:688
	v_fma_f64 v[121:122], v[119:120], v[69:70], v[121:122]
	v_add_f64_e32 v[2:3], v[2:3], v[10:11]
	v_add_f64_e32 v[10:11], v[105:106], v[107:108]
	scratch_load_b128 v[105:108], off, off offset:368
	s_wait_loadcnt_dscnt 0x701
	v_mul_f64_e32 v[127:128], v[71:72], v[103:104]
	v_mul_f64_e32 v[103:104], v[73:74], v[103:104]
	v_fma_f64 v[69:70], v[117:118], v[69:70], -v[123:124]
	scratch_load_b128 v[117:120], off, off offset:384
	s_wait_dscnt 0x0
	v_mul_f64_e32 v[123:124], v[113:114], v[79:80]
	v_mul_f64_e32 v[79:80], v[115:116], v[79:80]
	v_add_f64_e32 v[2:3], v[2:3], v[125:126]
	v_add_f64_e32 v[10:11], v[10:11], v[75:76]
	v_fma_f64 v[125:126], v[73:74], v[101:102], v[127:128]
	v_fma_f64 v[127:128], v[71:72], v[101:102], -v[103:104]
	scratch_load_b128 v[73:76], off, off offset:400
	ds_load_b128 v[101:104], v1 offset:720
	v_fma_f64 v[115:116], v[115:116], v[77:78], v[123:124]
	v_fma_f64 v[113:114], v[113:114], v[77:78], -v[79:80]
	scratch_load_b128 v[77:80], off, off offset:416
	v_add_f64_e32 v[2:3], v[2:3], v[69:70]
	v_add_f64_e32 v[10:11], v[10:11], v[121:122]
	ds_load_b128 v[69:72], v1 offset:704
	s_wait_loadcnt_dscnt 0x801
	v_mul_f64_e32 v[123:124], v[101:102], v[87:88]
	v_mul_f64_e32 v[87:88], v[103:104], v[87:88]
	s_wait_dscnt 0x0
	v_mul_f64_e32 v[121:122], v[69:70], v[83:84]
	v_mul_f64_e32 v[83:84], v[71:72], v[83:84]
	v_add_f64_e32 v[2:3], v[2:3], v[127:128]
	v_add_f64_e32 v[10:11], v[10:11], v[125:126]
	v_fma_f64 v[103:104], v[103:104], v[85:86], v[123:124]
	v_fma_f64 v[101:102], v[101:102], v[85:86], -v[87:88]
	scratch_load_b128 v[85:88], off, off offset:448
	v_fma_f64 v[121:122], v[71:72], v[81:82], v[121:122]
	v_fma_f64 v[125:126], v[69:70], v[81:82], -v[83:84]
	ds_load_b128 v[69:72], v1 offset:736
	scratch_load_b128 v[81:84], off, off offset:432
	v_add_f64_e32 v[2:3], v[2:3], v[113:114]
	v_add_f64_e32 v[10:11], v[10:11], v[115:116]
	ds_load_b128 v[113:116], v1 offset:752
	s_wait_loadcnt_dscnt 0x901
	v_mul_f64_e32 v[127:128], v[69:70], v[91:92]
	v_mul_f64_e32 v[91:92], v[71:72], v[91:92]
	v_add_f64_e32 v[2:3], v[2:3], v[125:126]
	v_add_f64_e32 v[10:11], v[10:11], v[121:122]
	s_wait_loadcnt_dscnt 0x800
	v_mul_f64_e32 v[121:122], v[113:114], v[95:96]
	v_mul_f64_e32 v[95:96], v[115:116], v[95:96]
	v_fma_f64 v[123:124], v[71:72], v[89:90], v[127:128]
	v_fma_f64 v[125:126], v[69:70], v[89:90], -v[91:92]
	ds_load_b128 v[69:72], v1 offset:768
	ds_load_b128 v[89:92], v1 offset:784
	v_add_f64_e32 v[2:3], v[2:3], v[101:102]
	v_add_f64_e32 v[10:11], v[10:11], v[103:104]
	s_wait_loadcnt_dscnt 0x701
	v_mul_f64_e32 v[101:102], v[69:70], v[99:100]
	v_mul_f64_e32 v[99:100], v[71:72], v[99:100]
	v_fma_f64 v[103:104], v[115:116], v[93:94], v[121:122]
	v_fma_f64 v[93:94], v[113:114], v[93:94], -v[95:96]
	v_add_f64_e32 v[2:3], v[2:3], v[125:126]
	v_add_f64_e32 v[10:11], v[10:11], v[123:124]
	v_fma_f64 v[101:102], v[71:72], v[97:98], v[101:102]
	v_fma_f64 v[97:98], v[69:70], v[97:98], -v[99:100]
	s_wait_loadcnt_dscnt 0x600
	v_mul_f64_e32 v[95:96], v[89:90], v[8:9]
	v_mul_f64_e32 v[113:114], v[91:92], v[8:9]
	v_add_f64_e32 v[2:3], v[2:3], v[93:94]
	v_add_f64_e32 v[93:94], v[10:11], v[103:104]
	ds_load_b128 v[8:11], v1 offset:800
	ds_load_b128 v[69:72], v1 offset:816
	v_fma_f64 v[91:92], v[91:92], v[6:7], v[95:96]
	v_fma_f64 v[6:7], v[89:90], v[6:7], -v[113:114]
	s_wait_loadcnt_dscnt 0x501
	v_mul_f64_e32 v[99:100], v[8:9], v[107:108]
	v_mul_f64_e32 v[103:104], v[10:11], v[107:108]
	s_wait_loadcnt_dscnt 0x400
	v_mul_f64_e32 v[95:96], v[71:72], v[119:120]
	v_add_f64_e32 v[2:3], v[2:3], v[97:98]
	v_add_f64_e32 v[89:90], v[93:94], v[101:102]
	v_mul_f64_e32 v[93:94], v[69:70], v[119:120]
	v_fma_f64 v[10:11], v[10:11], v[105:106], v[99:100]
	v_fma_f64 v[97:98], v[8:9], v[105:106], -v[103:104]
	v_fma_f64 v[69:70], v[69:70], v[117:118], -v[95:96]
	v_add_f64_e32 v[2:3], v[2:3], v[6:7]
	v_add_f64_e32 v[99:100], v[89:90], v[91:92]
	ds_load_b128 v[6:9], v1 offset:832
	ds_load_b128 v[89:92], v1 offset:848
	v_fma_f64 v[71:72], v[71:72], v[117:118], v[93:94]
	s_wait_loadcnt_dscnt 0x301
	v_mul_f64_e32 v[101:102], v[6:7], v[75:76]
	v_mul_f64_e32 v[75:76], v[8:9], v[75:76]
	s_wait_loadcnt_dscnt 0x200
	v_mul_f64_e32 v[93:94], v[89:90], v[79:80]
	v_mul_f64_e32 v[79:80], v[91:92], v[79:80]
	v_add_f64_e32 v[2:3], v[2:3], v[97:98]
	v_add_f64_e32 v[10:11], v[99:100], v[10:11]
	v_fma_f64 v[95:96], v[8:9], v[73:74], v[101:102]
	v_fma_f64 v[73:74], v[6:7], v[73:74], -v[75:76]
	s_delay_alu instid0(VALU_DEP_4) | instskip(NEXT) | instid1(VALU_DEP_4)
	v_add_f64_e32 v[69:70], v[2:3], v[69:70]
	v_add_f64_e32 v[10:11], v[10:11], v[71:72]
	ds_load_b128 v[6:9], v1 offset:864
	ds_load_b128 v[1:4], v1 offset:880
	s_wait_loadcnt_dscnt 0x1
	v_mul_f64_e32 v[71:72], v[6:7], v[83:84]
	v_mul_f64_e32 v[75:76], v[8:9], v[83:84]
	v_fma_f64 v[83:84], v[91:92], v[77:78], v[93:94]
	v_fma_f64 v[77:78], v[89:90], v[77:78], -v[79:80]
	s_wait_dscnt 0x0
	v_mul_f64_e32 v[79:80], v[3:4], v[87:88]
	v_add_f64_e32 v[69:70], v[69:70], v[73:74]
	v_add_f64_e32 v[10:11], v[10:11], v[95:96]
	v_mul_f64_e32 v[73:74], v[1:2], v[87:88]
	v_fma_f64 v[8:9], v[8:9], v[81:82], v[71:72]
	v_fma_f64 v[6:7], v[6:7], v[81:82], -v[75:76]
	v_fma_f64 v[1:2], v[1:2], v[85:86], -v[79:80]
	v_add_f64_e32 v[69:70], v[69:70], v[77:78]
	v_add_f64_e32 v[10:11], v[10:11], v[83:84]
	v_fma_f64 v[3:4], v[3:4], v[85:86], v[73:74]
	s_delay_alu instid0(VALU_DEP_3) | instskip(NEXT) | instid1(VALU_DEP_3)
	v_add_f64_e32 v[6:7], v[69:70], v[6:7]
	v_add_f64_e32 v[8:9], v[10:11], v[8:9]
	s_delay_alu instid0(VALU_DEP_2) | instskip(NEXT) | instid1(VALU_DEP_2)
	v_add_f64_e32 v[1:2], v[6:7], v[1:2]
	v_add_f64_e32 v[3:4], v[8:9], v[3:4]
	s_delay_alu instid0(VALU_DEP_2) | instskip(NEXT) | instid1(VALU_DEP_2)
	v_add_f64_e64 v[1:2], v[109:110], -v[1:2]
	v_add_f64_e64 v[3:4], v[111:112], -v[3:4]
	scratch_store_b128 off, v[1:4], off offset:32
	v_cmpx_ne_u32_e32 0, v0
	s_cbranch_execz .LBB27_181
; %bb.180:
	scratch_load_b128 v[0:3], off, off offset:16
	v_mov_b32_e32 v6, 0
	s_delay_alu instid0(VALU_DEP_1)
	v_dual_mov_b32 v7, v6 :: v_dual_mov_b32 v8, v6
	v_mov_b32_e32 v9, v6
	scratch_store_b128 off, v[6:9], off offset:16
	s_wait_loadcnt 0x0
	ds_store_b128 v5, v[0:3]
.LBB27_181:
	s_wait_alu 0xfffe
	s_or_b32 exec_lo, exec_lo, s0
	s_wait_storecnt_dscnt 0x0
	s_barrier_signal -1
	s_barrier_wait -1
	global_inv scope:SCOPE_SE
	s_clause 0x7
	scratch_load_b128 v[1:4], off, off offset:32
	scratch_load_b128 v[5:8], off, off offset:48
	;; [unrolled: 1-line block ×8, first 2 shown]
	v_mov_b32_e32 v0, 0
	s_and_b32 vcc_lo, exec_lo, s18
	ds_load_b128 v[89:92], v0 offset:464
	s_clause 0x1
	scratch_load_b128 v[93:96], off, off offset:160
	scratch_load_b128 v[97:100], off, off offset:16
	ds_load_b128 v[101:104], v0 offset:480
	scratch_load_b128 v[105:108], off, off offset:176
	s_wait_loadcnt_dscnt 0xa01
	v_mul_f64_e32 v[109:110], v[91:92], v[3:4]
	v_mul_f64_e32 v[3:4], v[89:90], v[3:4]
	s_delay_alu instid0(VALU_DEP_2) | instskip(NEXT) | instid1(VALU_DEP_2)
	v_fma_f64 v[115:116], v[89:90], v[1:2], -v[109:110]
	v_fma_f64 v[117:118], v[91:92], v[1:2], v[3:4]
	ds_load_b128 v[1:4], v0 offset:496
	s_wait_loadcnt_dscnt 0x901
	v_mul_f64_e32 v[113:114], v[101:102], v[7:8]
	v_mul_f64_e32 v[7:8], v[103:104], v[7:8]
	scratch_load_b128 v[89:92], off, off offset:192
	ds_load_b128 v[109:112], v0 offset:512
	s_wait_loadcnt_dscnt 0x901
	v_mul_f64_e32 v[119:120], v[1:2], v[11:12]
	v_mul_f64_e32 v[11:12], v[3:4], v[11:12]
	v_fma_f64 v[103:104], v[103:104], v[5:6], v[113:114]
	v_fma_f64 v[101:102], v[101:102], v[5:6], -v[7:8]
	v_add_f64_e32 v[113:114], 0, v[115:116]
	v_add_f64_e32 v[115:116], 0, v[117:118]
	scratch_load_b128 v[5:8], off, off offset:208
	v_fma_f64 v[119:120], v[3:4], v[9:10], v[119:120]
	v_fma_f64 v[121:122], v[1:2], v[9:10], -v[11:12]
	ds_load_b128 v[1:4], v0 offset:528
	s_wait_loadcnt_dscnt 0x901
	v_mul_f64_e32 v[117:118], v[109:110], v[71:72]
	v_mul_f64_e32 v[71:72], v[111:112], v[71:72]
	scratch_load_b128 v[9:12], off, off offset:224
	v_add_f64_e32 v[113:114], v[113:114], v[101:102]
	v_add_f64_e32 v[115:116], v[115:116], v[103:104]
	s_wait_loadcnt_dscnt 0x900
	v_mul_f64_e32 v[123:124], v[1:2], v[75:76]
	v_mul_f64_e32 v[75:76], v[3:4], v[75:76]
	ds_load_b128 v[101:104], v0 offset:544
	v_fma_f64 v[111:112], v[111:112], v[69:70], v[117:118]
	v_fma_f64 v[109:110], v[109:110], v[69:70], -v[71:72]
	scratch_load_b128 v[69:72], off, off offset:240
	v_add_f64_e32 v[113:114], v[113:114], v[121:122]
	v_add_f64_e32 v[115:116], v[115:116], v[119:120]
	v_fma_f64 v[119:120], v[3:4], v[73:74], v[123:124]
	v_fma_f64 v[121:122], v[1:2], v[73:74], -v[75:76]
	ds_load_b128 v[1:4], v0 offset:560
	s_wait_loadcnt_dscnt 0x901
	v_mul_f64_e32 v[117:118], v[101:102], v[79:80]
	v_mul_f64_e32 v[79:80], v[103:104], v[79:80]
	scratch_load_b128 v[73:76], off, off offset:256
	s_wait_loadcnt_dscnt 0x900
	v_mul_f64_e32 v[123:124], v[1:2], v[83:84]
	v_mul_f64_e32 v[83:84], v[3:4], v[83:84]
	v_add_f64_e32 v[113:114], v[113:114], v[109:110]
	v_add_f64_e32 v[115:116], v[115:116], v[111:112]
	ds_load_b128 v[109:112], v0 offset:576
	v_fma_f64 v[103:104], v[103:104], v[77:78], v[117:118]
	v_fma_f64 v[101:102], v[101:102], v[77:78], -v[79:80]
	scratch_load_b128 v[77:80], off, off offset:272
	v_add_f64_e32 v[113:114], v[113:114], v[121:122]
	v_add_f64_e32 v[115:116], v[115:116], v[119:120]
	v_fma_f64 v[119:120], v[3:4], v[81:82], v[123:124]
	v_fma_f64 v[121:122], v[1:2], v[81:82], -v[83:84]
	ds_load_b128 v[1:4], v0 offset:592
	s_wait_loadcnt_dscnt 0x901
	v_mul_f64_e32 v[117:118], v[109:110], v[87:88]
	v_mul_f64_e32 v[87:88], v[111:112], v[87:88]
	scratch_load_b128 v[81:84], off, off offset:288
	s_wait_loadcnt_dscnt 0x900
	v_mul_f64_e32 v[123:124], v[1:2], v[95:96]
	v_mul_f64_e32 v[95:96], v[3:4], v[95:96]
	v_add_f64_e32 v[113:114], v[113:114], v[101:102]
	v_add_f64_e32 v[115:116], v[115:116], v[103:104]
	ds_load_b128 v[101:104], v0 offset:608
	v_fma_f64 v[111:112], v[111:112], v[85:86], v[117:118]
	v_fma_f64 v[109:110], v[109:110], v[85:86], -v[87:88]
	scratch_load_b128 v[85:88], off, off offset:304
	v_add_f64_e32 v[113:114], v[113:114], v[121:122]
	v_add_f64_e32 v[115:116], v[115:116], v[119:120]
	v_fma_f64 v[121:122], v[3:4], v[93:94], v[123:124]
	v_fma_f64 v[123:124], v[1:2], v[93:94], -v[95:96]
	ds_load_b128 v[1:4], v0 offset:624
	s_wait_loadcnt_dscnt 0x801
	v_mul_f64_e32 v[117:118], v[101:102], v[107:108]
	v_mul_f64_e32 v[119:120], v[103:104], v[107:108]
	scratch_load_b128 v[93:96], off, off offset:320
	v_add_f64_e32 v[113:114], v[113:114], v[109:110]
	v_add_f64_e32 v[111:112], v[115:116], v[111:112]
	ds_load_b128 v[107:110], v0 offset:640
	v_fma_f64 v[117:118], v[103:104], v[105:106], v[117:118]
	v_fma_f64 v[105:106], v[101:102], v[105:106], -v[119:120]
	scratch_load_b128 v[101:104], off, off offset:336
	s_wait_loadcnt_dscnt 0x901
	v_mul_f64_e32 v[115:116], v[1:2], v[91:92]
	v_mul_f64_e32 v[91:92], v[3:4], v[91:92]
	v_add_f64_e32 v[113:114], v[113:114], v[123:124]
	v_add_f64_e32 v[111:112], v[111:112], v[121:122]
	s_delay_alu instid0(VALU_DEP_4) | instskip(NEXT) | instid1(VALU_DEP_4)
	v_fma_f64 v[115:116], v[3:4], v[89:90], v[115:116]
	v_fma_f64 v[121:122], v[1:2], v[89:90], -v[91:92]
	ds_load_b128 v[1:4], v0 offset:656
	s_wait_loadcnt_dscnt 0x801
	v_mul_f64_e32 v[119:120], v[107:108], v[7:8]
	v_mul_f64_e32 v[7:8], v[109:110], v[7:8]
	scratch_load_b128 v[89:92], off, off offset:352
	s_wait_loadcnt_dscnt 0x800
	v_mul_f64_e32 v[123:124], v[1:2], v[11:12]
	v_add_f64_e32 v[105:106], v[113:114], v[105:106]
	v_add_f64_e32 v[117:118], v[111:112], v[117:118]
	v_mul_f64_e32 v[11:12], v[3:4], v[11:12]
	ds_load_b128 v[111:114], v0 offset:672
	v_fma_f64 v[109:110], v[109:110], v[5:6], v[119:120]
	v_fma_f64 v[107:108], v[107:108], v[5:6], -v[7:8]
	scratch_load_b128 v[5:8], off, off offset:368
	v_fma_f64 v[119:120], v[3:4], v[9:10], v[123:124]
	v_add_f64_e32 v[105:106], v[105:106], v[121:122]
	v_add_f64_e32 v[115:116], v[117:118], v[115:116]
	v_fma_f64 v[121:122], v[1:2], v[9:10], -v[11:12]
	ds_load_b128 v[1:4], v0 offset:688
	s_wait_loadcnt_dscnt 0x801
	v_mul_f64_e32 v[117:118], v[111:112], v[71:72]
	v_mul_f64_e32 v[71:72], v[113:114], v[71:72]
	scratch_load_b128 v[9:12], off, off offset:384
	v_add_f64_e32 v[123:124], v[105:106], v[107:108]
	v_add_f64_e32 v[109:110], v[115:116], v[109:110]
	s_wait_loadcnt_dscnt 0x800
	v_mul_f64_e32 v[115:116], v[1:2], v[75:76]
	v_mul_f64_e32 v[75:76], v[3:4], v[75:76]
	v_fma_f64 v[113:114], v[113:114], v[69:70], v[117:118]
	v_fma_f64 v[111:112], v[111:112], v[69:70], -v[71:72]
	ds_load_b128 v[105:108], v0 offset:704
	scratch_load_b128 v[69:72], off, off offset:400
	v_add_f64_e32 v[117:118], v[123:124], v[121:122]
	v_add_f64_e32 v[109:110], v[109:110], v[119:120]
	v_fma_f64 v[115:116], v[3:4], v[73:74], v[115:116]
	v_fma_f64 v[121:122], v[1:2], v[73:74], -v[75:76]
	ds_load_b128 v[1:4], v0 offset:720
	s_wait_loadcnt_dscnt 0x801
	v_mul_f64_e32 v[119:120], v[105:106], v[79:80]
	v_mul_f64_e32 v[79:80], v[107:108], v[79:80]
	scratch_load_b128 v[73:76], off, off offset:416
	s_wait_loadcnt_dscnt 0x800
	v_mul_f64_e32 v[123:124], v[1:2], v[83:84]
	v_mul_f64_e32 v[83:84], v[3:4], v[83:84]
	v_add_f64_e32 v[117:118], v[117:118], v[111:112]
	v_add_f64_e32 v[113:114], v[109:110], v[113:114]
	ds_load_b128 v[109:112], v0 offset:736
	v_fma_f64 v[107:108], v[107:108], v[77:78], v[119:120]
	v_fma_f64 v[105:106], v[105:106], v[77:78], -v[79:80]
	scratch_load_b128 v[77:80], off, off offset:432
	v_fma_f64 v[119:120], v[3:4], v[81:82], v[123:124]
	v_add_f64_e32 v[117:118], v[117:118], v[121:122]
	v_add_f64_e32 v[113:114], v[113:114], v[115:116]
	v_fma_f64 v[121:122], v[1:2], v[81:82], -v[83:84]
	ds_load_b128 v[1:4], v0 offset:752
	s_wait_loadcnt_dscnt 0x801
	v_mul_f64_e32 v[115:116], v[109:110], v[87:88]
	v_mul_f64_e32 v[87:88], v[111:112], v[87:88]
	scratch_load_b128 v[81:84], off, off offset:448
	s_wait_loadcnt_dscnt 0x800
	v_mul_f64_e32 v[123:124], v[1:2], v[95:96]
	v_mul_f64_e32 v[95:96], v[3:4], v[95:96]
	v_add_f64_e32 v[117:118], v[117:118], v[105:106]
	v_add_f64_e32 v[113:114], v[113:114], v[107:108]
	ds_load_b128 v[105:108], v0 offset:768
	v_fma_f64 v[111:112], v[111:112], v[85:86], v[115:116]
	v_fma_f64 v[85:86], v[109:110], v[85:86], -v[87:88]
	v_fma_f64 v[115:116], v[3:4], v[93:94], v[123:124]
	v_fma_f64 v[93:94], v[1:2], v[93:94], -v[95:96]
	v_add_f64_e32 v[87:88], v[117:118], v[121:122]
	v_add_f64_e32 v[109:110], v[113:114], v[119:120]
	s_wait_loadcnt_dscnt 0x700
	v_mul_f64_e32 v[113:114], v[105:106], v[103:104]
	v_mul_f64_e32 v[103:104], v[107:108], v[103:104]
	s_delay_alu instid0(VALU_DEP_4) | instskip(NEXT) | instid1(VALU_DEP_4)
	v_add_f64_e32 v[95:96], v[87:88], v[85:86]
	v_add_f64_e32 v[109:110], v[109:110], v[111:112]
	ds_load_b128 v[1:4], v0 offset:784
	ds_load_b128 v[85:88], v0 offset:800
	v_fma_f64 v[107:108], v[107:108], v[101:102], v[113:114]
	v_fma_f64 v[101:102], v[105:106], v[101:102], -v[103:104]
	s_wait_loadcnt_dscnt 0x601
	v_mul_f64_e32 v[111:112], v[1:2], v[91:92]
	v_mul_f64_e32 v[91:92], v[3:4], v[91:92]
	s_wait_loadcnt_dscnt 0x500
	v_mul_f64_e32 v[103:104], v[85:86], v[7:8]
	v_mul_f64_e32 v[7:8], v[87:88], v[7:8]
	v_add_f64_e32 v[93:94], v[95:96], v[93:94]
	v_add_f64_e32 v[95:96], v[109:110], v[115:116]
	v_fma_f64 v[105:106], v[3:4], v[89:90], v[111:112]
	v_fma_f64 v[109:110], v[1:2], v[89:90], -v[91:92]
	ds_load_b128 v[1:4], v0 offset:816
	ds_load_b128 v[89:92], v0 offset:832
	v_fma_f64 v[87:88], v[87:88], v[5:6], v[103:104]
	v_fma_f64 v[5:6], v[85:86], v[5:6], -v[7:8]
	v_add_f64_e32 v[93:94], v[93:94], v[101:102]
	v_add_f64_e32 v[95:96], v[95:96], v[107:108]
	s_wait_loadcnt_dscnt 0x401
	v_mul_f64_e32 v[101:102], v[1:2], v[11:12]
	v_mul_f64_e32 v[11:12], v[3:4], v[11:12]
	s_delay_alu instid0(VALU_DEP_4) | instskip(NEXT) | instid1(VALU_DEP_4)
	v_add_f64_e32 v[7:8], v[93:94], v[109:110]
	v_add_f64_e32 v[85:86], v[95:96], v[105:106]
	s_wait_loadcnt_dscnt 0x300
	v_mul_f64_e32 v[93:94], v[89:90], v[71:72]
	v_mul_f64_e32 v[71:72], v[91:92], v[71:72]
	v_fma_f64 v[95:96], v[3:4], v[9:10], v[101:102]
	v_fma_f64 v[9:10], v[1:2], v[9:10], -v[11:12]
	v_add_f64_e32 v[11:12], v[7:8], v[5:6]
	v_add_f64_e32 v[85:86], v[85:86], v[87:88]
	ds_load_b128 v[1:4], v0 offset:848
	ds_load_b128 v[5:8], v0 offset:864
	v_fma_f64 v[91:92], v[91:92], v[69:70], v[93:94]
	v_fma_f64 v[69:70], v[89:90], v[69:70], -v[71:72]
	s_wait_loadcnt_dscnt 0x201
	v_mul_f64_e32 v[87:88], v[1:2], v[75:76]
	v_mul_f64_e32 v[75:76], v[3:4], v[75:76]
	s_wait_loadcnt_dscnt 0x100
	v_mul_f64_e32 v[71:72], v[5:6], v[79:80]
	v_mul_f64_e32 v[79:80], v[7:8], v[79:80]
	v_add_f64_e32 v[9:10], v[11:12], v[9:10]
	v_add_f64_e32 v[11:12], v[85:86], v[95:96]
	v_fma_f64 v[85:86], v[3:4], v[73:74], v[87:88]
	v_fma_f64 v[73:74], v[1:2], v[73:74], -v[75:76]
	ds_load_b128 v[1:4], v0 offset:880
	v_fma_f64 v[7:8], v[7:8], v[77:78], v[71:72]
	v_fma_f64 v[5:6], v[5:6], v[77:78], -v[79:80]
	v_add_f64_e32 v[9:10], v[9:10], v[69:70]
	v_add_f64_e32 v[11:12], v[11:12], v[91:92]
	s_wait_loadcnt_dscnt 0x0
	v_mul_f64_e32 v[69:70], v[1:2], v[83:84]
	v_mul_f64_e32 v[75:76], v[3:4], v[83:84]
	s_delay_alu instid0(VALU_DEP_4) | instskip(NEXT) | instid1(VALU_DEP_4)
	v_add_f64_e32 v[9:10], v[9:10], v[73:74]
	v_add_f64_e32 v[11:12], v[11:12], v[85:86]
	s_delay_alu instid0(VALU_DEP_4) | instskip(NEXT) | instid1(VALU_DEP_4)
	v_fma_f64 v[3:4], v[3:4], v[81:82], v[69:70]
	v_fma_f64 v[1:2], v[1:2], v[81:82], -v[75:76]
	s_delay_alu instid0(VALU_DEP_4) | instskip(NEXT) | instid1(VALU_DEP_4)
	v_add_f64_e32 v[5:6], v[9:10], v[5:6]
	v_add_f64_e32 v[7:8], v[11:12], v[7:8]
	s_delay_alu instid0(VALU_DEP_2) | instskip(NEXT) | instid1(VALU_DEP_2)
	v_add_f64_e32 v[1:2], v[5:6], v[1:2]
	v_add_f64_e32 v[3:4], v[7:8], v[3:4]
	s_delay_alu instid0(VALU_DEP_2) | instskip(NEXT) | instid1(VALU_DEP_2)
	v_add_f64_e64 v[1:2], v[97:98], -v[1:2]
	v_add_f64_e64 v[3:4], v[99:100], -v[3:4]
	scratch_store_b128 off, v[1:4], off offset:16
	s_wait_alu 0xfffe
	s_cbranch_vccz .LBB27_236
; %bb.182:
	global_load_b32 v0, v0, s[2:3] offset:104
	s_wait_loadcnt 0x0
	v_cmp_ne_u32_e32 vcc_lo, 27, v0
	s_cbranch_vccz .LBB27_184
; %bb.183:
	v_lshlrev_b32_e32 v0, 4, v0
	s_delay_alu instid0(VALU_DEP_1)
	v_add_nc_u32_e32 v8, 16, v0
	s_clause 0x1
	scratch_load_b128 v[0:3], v8, off offset:-16
	scratch_load_b128 v[4:7], off, s24
	s_wait_loadcnt 0x1
	scratch_store_b128 off, v[0:3], s24
	s_wait_loadcnt 0x0
	scratch_store_b128 v8, v[4:7], off offset:-16
.LBB27_184:
	v_mov_b32_e32 v0, 0
	global_load_b32 v1, v0, s[2:3] offset:100
	s_wait_loadcnt 0x0
	v_cmp_eq_u32_e32 vcc_lo, 26, v1
	s_cbranch_vccnz .LBB27_186
; %bb.185:
	v_lshlrev_b32_e32 v1, 4, v1
	s_delay_alu instid0(VALU_DEP_1)
	v_add_nc_u32_e32 v9, 16, v1
	s_clause 0x1
	scratch_load_b128 v[1:4], v9, off offset:-16
	scratch_load_b128 v[5:8], off, s12
	s_wait_loadcnt 0x1
	scratch_store_b128 off, v[1:4], s12
	s_wait_loadcnt 0x0
	scratch_store_b128 v9, v[5:8], off offset:-16
.LBB27_186:
	global_load_b32 v0, v0, s[2:3] offset:96
	s_wait_loadcnt 0x0
	v_cmp_eq_u32_e32 vcc_lo, 25, v0
	s_cbranch_vccnz .LBB27_188
; %bb.187:
	v_lshlrev_b32_e32 v0, 4, v0
	s_delay_alu instid0(VALU_DEP_1)
	v_add_nc_u32_e32 v8, 16, v0
	s_clause 0x1
	scratch_load_b128 v[0:3], v8, off offset:-16
	scratch_load_b128 v[4:7], off, s15
	s_wait_loadcnt 0x1
	scratch_store_b128 off, v[0:3], s15
	s_wait_loadcnt 0x0
	scratch_store_b128 v8, v[4:7], off offset:-16
.LBB27_188:
	v_mov_b32_e32 v0, 0
	global_load_b32 v1, v0, s[2:3] offset:92
	s_wait_loadcnt 0x0
	v_cmp_eq_u32_e32 vcc_lo, 24, v1
	s_cbranch_vccnz .LBB27_190
; %bb.189:
	v_lshlrev_b32_e32 v1, 4, v1
	s_delay_alu instid0(VALU_DEP_1)
	v_add_nc_u32_e32 v9, 16, v1
	s_clause 0x1
	scratch_load_b128 v[1:4], v9, off offset:-16
	scratch_load_b128 v[5:8], off, s9
	s_wait_loadcnt 0x1
	scratch_store_b128 off, v[1:4], s9
	s_wait_loadcnt 0x0
	scratch_store_b128 v9, v[5:8], off offset:-16
.LBB27_190:
	global_load_b32 v0, v0, s[2:3] offset:88
	s_wait_loadcnt 0x0
	v_cmp_eq_u32_e32 vcc_lo, 23, v0
	s_cbranch_vccnz .LBB27_192
; %bb.191:
	v_lshlrev_b32_e32 v0, 4, v0
	s_delay_alu instid0(VALU_DEP_1)
	v_add_nc_u32_e32 v8, 16, v0
	s_clause 0x1
	scratch_load_b128 v[0:3], v8, off offset:-16
	scratch_load_b128 v[4:7], off, s10
	s_wait_loadcnt 0x1
	scratch_store_b128 off, v[0:3], s10
	s_wait_loadcnt 0x0
	scratch_store_b128 v8, v[4:7], off offset:-16
.LBB27_192:
	;; [unrolled: 33-line block ×12, first 2 shown]
	v_mov_b32_e32 v0, 0
	global_load_b32 v1, v0, s[2:3] offset:4
	s_wait_loadcnt 0x0
	v_cmp_eq_u32_e32 vcc_lo, 2, v1
	s_cbranch_vccnz .LBB27_234
; %bb.233:
	v_lshlrev_b32_e32 v1, 4, v1
	s_delay_alu instid0(VALU_DEP_1)
	v_add_nc_u32_e32 v9, 16, v1
	s_clause 0x1
	scratch_load_b128 v[1:4], v9, off offset:-16
	scratch_load_b128 v[5:8], off, s21
	s_wait_loadcnt 0x1
	scratch_store_b128 off, v[1:4], s21
	s_wait_loadcnt 0x0
	scratch_store_b128 v9, v[5:8], off offset:-16
.LBB27_234:
	global_load_b32 v0, v0, s[2:3]
	s_wait_loadcnt 0x0
	v_cmp_eq_u32_e32 vcc_lo, 1, v0
	s_cbranch_vccnz .LBB27_236
; %bb.235:
	v_lshlrev_b32_e32 v0, 4, v0
	s_delay_alu instid0(VALU_DEP_1)
	v_add_nc_u32_e32 v8, 16, v0
	scratch_load_b128 v[0:3], v8, off offset:-16
	scratch_load_b128 v[4:7], off, off offset:16
	s_wait_loadcnt 0x1
	scratch_store_b128 off, v[0:3], off offset:16
	s_wait_loadcnt 0x0
	scratch_store_b128 v8, v[4:7], off offset:-16
.LBB27_236:
	scratch_load_b128 v[0:3], off, off offset:16
	s_clause 0x12
	scratch_load_b128 v[4:7], off, s21
	scratch_load_b128 v[8:11], off, s19
	scratch_load_b128 v[69:72], off, s13
	scratch_load_b128 v[73:76], off, s11
	scratch_load_b128 v[77:80], off, s27
	scratch_load_b128 v[81:84], off, s26
	scratch_load_b128 v[85:88], off, s25
	scratch_load_b128 v[89:92], off, s23
	scratch_load_b128 v[93:96], off, s22
	scratch_load_b128 v[97:100], off, s20
	scratch_load_b128 v[101:104], off, s14
	scratch_load_b128 v[105:108], off, s31
	scratch_load_b128 v[109:112], off, s28
	scratch_load_b128 v[113:116], off, s33
	scratch_load_b128 v[117:120], off, s29
	scratch_load_b128 v[121:124], off, s34
	scratch_load_b128 v[125:128], off, s30
	scratch_load_b128 v[129:132], off, s35
	scratch_load_b128 v[133:136], off, s36
	s_wait_loadcnt 0x13
	global_store_b128 v[13:14], v[0:3], off
	s_clause 0x1
	scratch_load_b128 v[0:3], off, s4
	scratch_load_b128 v[137:140], off, s8
	s_wait_loadcnt 0x14
	global_store_b128 v[15:16], v[4:7], off
	s_clause 0x1
	scratch_load_b128 v[4:7], off, s5
	scratch_load_b128 v[12:15], off, s10
	s_wait_loadcnt 0x15
	global_store_b128 v[17:18], v[8:11], off
	s_wait_loadcnt 0x14
	global_store_b128 v[21:22], v[69:72], off
	s_clause 0x1
	scratch_load_b128 v[8:11], off, s9
	scratch_load_b128 v[69:72], off, s15
	s_wait_loadcnt 0x15
	global_store_b128 v[19:20], v[73:76], off
	s_clause 0x1
	scratch_load_b128 v[16:19], off, s12
	scratch_load_b128 v[73:76], off, s24
	s_wait_loadcnt 0x16
	global_store_b128 v[23:24], v[77:80], off
	s_wait_loadcnt 0x15
	global_store_b128 v[25:26], v[81:84], off
	;; [unrolled: 2-line block ×21, first 2 shown]
	s_wait_loadcnt 0x0
	s_clause 0x1
	global_store_b128 v[65:66], v[73:76], off
	global_store_b128 v[67:68], v[133:136], off
	s_nop 0
	s_sendmsg sendmsg(MSG_DEALLOC_VGPRS)
	s_endpgm
	.section	.rodata,"a",@progbits
	.p2align	6, 0x0
	.amdhsa_kernel _ZN9rocsolver6v33100L18getri_kernel_smallILi28E19rocblas_complex_numIdEPS3_EEvT1_iilPiilS6_bb
		.amdhsa_group_segment_fixed_size 904
		.amdhsa_private_segment_fixed_size 480
		.amdhsa_kernarg_size 60
		.amdhsa_user_sgpr_count 2
		.amdhsa_user_sgpr_dispatch_ptr 0
		.amdhsa_user_sgpr_queue_ptr 0
		.amdhsa_user_sgpr_kernarg_segment_ptr 1
		.amdhsa_user_sgpr_dispatch_id 0
		.amdhsa_user_sgpr_private_segment_size 0
		.amdhsa_wavefront_size32 1
		.amdhsa_uses_dynamic_stack 0
		.amdhsa_enable_private_segment 1
		.amdhsa_system_sgpr_workgroup_id_x 1
		.amdhsa_system_sgpr_workgroup_id_y 0
		.amdhsa_system_sgpr_workgroup_id_z 0
		.amdhsa_system_sgpr_workgroup_info 0
		.amdhsa_system_vgpr_workitem_id 0
		.amdhsa_next_free_vgpr 142
		.amdhsa_next_free_sgpr 40
		.amdhsa_reserve_vcc 1
		.amdhsa_float_round_mode_32 0
		.amdhsa_float_round_mode_16_64 0
		.amdhsa_float_denorm_mode_32 3
		.amdhsa_float_denorm_mode_16_64 3
		.amdhsa_fp16_overflow 0
		.amdhsa_workgroup_processor_mode 1
		.amdhsa_memory_ordered 1
		.amdhsa_forward_progress 1
		.amdhsa_inst_pref_size 255
		.amdhsa_round_robin_scheduling 0
		.amdhsa_exception_fp_ieee_invalid_op 0
		.amdhsa_exception_fp_denorm_src 0
		.amdhsa_exception_fp_ieee_div_zero 0
		.amdhsa_exception_fp_ieee_overflow 0
		.amdhsa_exception_fp_ieee_underflow 0
		.amdhsa_exception_fp_ieee_inexact 0
		.amdhsa_exception_int_div_zero 0
	.end_amdhsa_kernel
	.section	.text._ZN9rocsolver6v33100L18getri_kernel_smallILi28E19rocblas_complex_numIdEPS3_EEvT1_iilPiilS6_bb,"axG",@progbits,_ZN9rocsolver6v33100L18getri_kernel_smallILi28E19rocblas_complex_numIdEPS3_EEvT1_iilPiilS6_bb,comdat
.Lfunc_end27:
	.size	_ZN9rocsolver6v33100L18getri_kernel_smallILi28E19rocblas_complex_numIdEPS3_EEvT1_iilPiilS6_bb, .Lfunc_end27-_ZN9rocsolver6v33100L18getri_kernel_smallILi28E19rocblas_complex_numIdEPS3_EEvT1_iilPiilS6_bb
                                        ; -- End function
	.set _ZN9rocsolver6v33100L18getri_kernel_smallILi28E19rocblas_complex_numIdEPS3_EEvT1_iilPiilS6_bb.num_vgpr, 142
	.set _ZN9rocsolver6v33100L18getri_kernel_smallILi28E19rocblas_complex_numIdEPS3_EEvT1_iilPiilS6_bb.num_agpr, 0
	.set _ZN9rocsolver6v33100L18getri_kernel_smallILi28E19rocblas_complex_numIdEPS3_EEvT1_iilPiilS6_bb.numbered_sgpr, 40
	.set _ZN9rocsolver6v33100L18getri_kernel_smallILi28E19rocblas_complex_numIdEPS3_EEvT1_iilPiilS6_bb.num_named_barrier, 0
	.set _ZN9rocsolver6v33100L18getri_kernel_smallILi28E19rocblas_complex_numIdEPS3_EEvT1_iilPiilS6_bb.private_seg_size, 480
	.set _ZN9rocsolver6v33100L18getri_kernel_smallILi28E19rocblas_complex_numIdEPS3_EEvT1_iilPiilS6_bb.uses_vcc, 1
	.set _ZN9rocsolver6v33100L18getri_kernel_smallILi28E19rocblas_complex_numIdEPS3_EEvT1_iilPiilS6_bb.uses_flat_scratch, 1
	.set _ZN9rocsolver6v33100L18getri_kernel_smallILi28E19rocblas_complex_numIdEPS3_EEvT1_iilPiilS6_bb.has_dyn_sized_stack, 0
	.set _ZN9rocsolver6v33100L18getri_kernel_smallILi28E19rocblas_complex_numIdEPS3_EEvT1_iilPiilS6_bb.has_recursion, 0
	.set _ZN9rocsolver6v33100L18getri_kernel_smallILi28E19rocblas_complex_numIdEPS3_EEvT1_iilPiilS6_bb.has_indirect_call, 0
	.section	.AMDGPU.csdata,"",@progbits
; Kernel info:
; codeLenInByte = 40132
; TotalNumSgprs: 42
; NumVgprs: 142
; ScratchSize: 480
; MemoryBound: 0
; FloatMode: 240
; IeeeMode: 1
; LDSByteSize: 904 bytes/workgroup (compile time only)
; SGPRBlocks: 0
; VGPRBlocks: 17
; NumSGPRsForWavesPerEU: 42
; NumVGPRsForWavesPerEU: 142
; Occupancy: 10
; WaveLimiterHint : 1
; COMPUTE_PGM_RSRC2:SCRATCH_EN: 1
; COMPUTE_PGM_RSRC2:USER_SGPR: 2
; COMPUTE_PGM_RSRC2:TRAP_HANDLER: 0
; COMPUTE_PGM_RSRC2:TGID_X_EN: 1
; COMPUTE_PGM_RSRC2:TGID_Y_EN: 0
; COMPUTE_PGM_RSRC2:TGID_Z_EN: 0
; COMPUTE_PGM_RSRC2:TIDIG_COMP_CNT: 0
	.section	.text._ZN9rocsolver6v33100L18getri_kernel_smallILi29E19rocblas_complex_numIdEPS3_EEvT1_iilPiilS6_bb,"axG",@progbits,_ZN9rocsolver6v33100L18getri_kernel_smallILi29E19rocblas_complex_numIdEPS3_EEvT1_iilPiilS6_bb,comdat
	.globl	_ZN9rocsolver6v33100L18getri_kernel_smallILi29E19rocblas_complex_numIdEPS3_EEvT1_iilPiilS6_bb ; -- Begin function _ZN9rocsolver6v33100L18getri_kernel_smallILi29E19rocblas_complex_numIdEPS3_EEvT1_iilPiilS6_bb
	.p2align	8
	.type	_ZN9rocsolver6v33100L18getri_kernel_smallILi29E19rocblas_complex_numIdEPS3_EEvT1_iilPiilS6_bb,@function
_ZN9rocsolver6v33100L18getri_kernel_smallILi29E19rocblas_complex_numIdEPS3_EEvT1_iilPiilS6_bb: ; @_ZN9rocsolver6v33100L18getri_kernel_smallILi29E19rocblas_complex_numIdEPS3_EEvT1_iilPiilS6_bb
; %bb.0:
	s_mov_b32 s2, exec_lo
	v_cmpx_gt_u32_e32 29, v0
	s_cbranch_execz .LBB28_130
; %bb.1:
	s_clause 0x2
	s_load_b32 s2, s[0:1], 0x38
	s_load_b128 s[12:15], s[0:1], 0x10
	s_load_b128 s[4:7], s[0:1], 0x28
	s_mov_b32 s16, ttmp9
	s_wait_kmcnt 0x0
	s_bitcmp1_b32 s2, 8
	s_cselect_b32 s18, -1, 0
	s_bfe_u32 s2, s2, 0x10008
	s_ashr_i32 s17, ttmp9, 31
	s_cmp_eq_u32 s2, 0
                                        ; implicit-def: $sgpr2_sgpr3
	s_cbranch_scc1 .LBB28_3
; %bb.2:
	s_load_b32 s2, s[0:1], 0x20
	s_mul_u64 s[4:5], s[4:5], s[16:17]
	s_delay_alu instid0(SALU_CYCLE_1) | instskip(NEXT) | instid1(SALU_CYCLE_1)
	s_lshl_b64 s[4:5], s[4:5], 2
	s_add_nc_u64 s[4:5], s[14:15], s[4:5]
	s_wait_kmcnt 0x0
	s_ashr_i32 s3, s2, 31
	s_delay_alu instid0(SALU_CYCLE_1) | instskip(NEXT) | instid1(SALU_CYCLE_1)
	s_lshl_b64 s[2:3], s[2:3], 2
	s_add_nc_u64 s[2:3], s[4:5], s[2:3]
.LBB28_3:
	s_clause 0x1
	s_load_b128 s[8:11], s[0:1], 0x0
	s_load_b32 s38, s[0:1], 0x38
	s_mul_u64 s[0:1], s[12:13], s[16:17]
	v_lshlrev_b32_e32 v71, 4, v0
	s_lshl_b64 s[0:1], s[0:1], 4
	s_movk_i32 s21, 0xc0
	s_movk_i32 s22, 0xd0
	s_add_co_i32 s26, s21, 16
	s_add_co_i32 s21, s22, 16
	s_movk_i32 s15, 0x90
	s_movk_i32 s14, 0x80
	s_add_co_i32 s37, s15, 16
	s_movk_i32 s19, 0xa0
	s_movk_i32 s20, 0xb0
	s_add_co_i32 s36, s19, 16
	s_add_co_i32 s31, s20, 16
	s_wait_kmcnt 0x0
	v_add3_u32 v5, s11, s11, v0
	s_ashr_i32 s5, s10, 31
	s_mov_b32 s4, s10
	s_add_nc_u64 s[0:1], s[8:9], s[0:1]
	s_lshl_b64 s[4:5], s[4:5], 4
	v_add_nc_u32_e32 v7, s11, v5
	v_ashrrev_i32_e32 v6, 31, v5
	s_add_nc_u64 s[0:1], s[0:1], s[4:5]
	s_ashr_i32 s9, s11, 31
	v_add_co_u32 v13, s4, s0, v71
	v_add_nc_u32_e32 v9, s11, v7
	v_ashrrev_i32_e32 v8, 31, v7
	s_mov_b32 s8, s11
	v_lshlrev_b64_e32 v[5:6], 4, v[5:6]
	v_add_co_ci_u32_e64 v14, null, s1, 0, s4
	v_add_nc_u32_e32 v21, s11, v9
	v_ashrrev_i32_e32 v10, 31, v9
	s_lshl_b64 s[8:9], s[8:9], 4
	v_lshlrev_b64_e32 v[19:20], 4, v[7:8]
	v_add_co_u32 v15, vcc_lo, v13, s8
	v_add_nc_u32_e32 v25, s11, v21
	v_ashrrev_i32_e32 v22, 31, v21
	v_lshlrev_b64_e32 v[23:24], 4, v[9:10]
	v_add_co_ci_u32_e64 v16, null, s9, v14, vcc_lo
	s_delay_alu instid0(VALU_DEP_4) | instskip(SKIP_3) | instid1(VALU_DEP_4)
	v_add_nc_u32_e32 v27, s11, v25
	v_ashrrev_i32_e32 v26, 31, v25
	v_add_co_u32 v17, vcc_lo, s0, v5
	v_lshlrev_b64_e32 v[29:30], 4, v[21:22]
	v_add_nc_u32_e32 v31, s11, v27
	v_ashrrev_i32_e32 v28, 31, v27
	s_wait_alu 0xfffd
	v_add_co_ci_u32_e64 v18, null, s1, v6, vcc_lo
	v_add_co_u32 v19, vcc_lo, s0, v19
	v_ashrrev_i32_e32 v32, 31, v31
	s_wait_alu 0xfffd
	v_add_co_ci_u32_e64 v20, null, s1, v20, vcc_lo
	v_add_co_u32 v21, vcc_lo, s0, v23
	v_lshlrev_b64_e32 v[25:26], 4, v[25:26]
	s_wait_alu 0xfffd
	v_add_co_ci_u32_e64 v22, null, s1, v24, vcc_lo
	v_add_co_u32 v23, vcc_lo, s0, v29
	v_lshlrev_b64_e32 v[27:28], 4, v[27:28]
	s_wait_alu 0xfffd
	v_add_co_ci_u32_e64 v24, null, s1, v30, vcc_lo
	v_lshlrev_b64_e32 v[29:30], 4, v[31:32]
	v_add_co_u32 v25, vcc_lo, s0, v25
	s_wait_alu 0xfffd
	v_add_co_ci_u32_e64 v26, null, s1, v26, vcc_lo
	v_add_co_u32 v27, vcc_lo, s0, v27
	s_wait_alu 0xfffd
	v_add_co_ci_u32_e64 v28, null, s1, v28, vcc_lo
	;; [unrolled: 3-line block ×3, first 2 shown]
	s_clause 0x8
	global_load_b128 v[1:4], v71, s[0:1]
	global_load_b128 v[5:8], v[15:16], off
	global_load_b128 v[9:12], v[17:18], off
	global_load_b128 v[72:75], v[19:20], off
	global_load_b128 v[76:79], v[21:22], off
	global_load_b128 v[80:83], v[23:24], off
	global_load_b128 v[84:87], v[25:26], off
	global_load_b128 v[88:91], v[27:28], off
	global_load_b128 v[92:95], v[29:30], off
	v_add_nc_u32_e32 v31, s11, v31
	s_movk_i32 s10, 0x70
	s_mov_b32 s9, 32
	s_mov_b32 s8, 48
	;; [unrolled: 1-line block ×3, first 2 shown]
	v_add_nc_u32_e32 v33, s11, v31
	v_ashrrev_i32_e32 v32, 31, v31
	s_movk_i32 s4, 0x50
	s_delay_alu instid0(VALU_DEP_2) | instskip(SKIP_1) | instid1(VALU_DEP_3)
	v_add_nc_u32_e32 v35, s11, v33
	v_ashrrev_i32_e32 v34, 31, v33
	v_lshlrev_b64_e32 v[31:32], 4, v[31:32]
	s_delay_alu instid0(VALU_DEP_3) | instskip(SKIP_1) | instid1(VALU_DEP_4)
	v_add_nc_u32_e32 v37, s11, v35
	v_ashrrev_i32_e32 v36, 31, v35
	v_lshlrev_b64_e32 v[33:34], 4, v[33:34]
	s_delay_alu instid0(VALU_DEP_4) | instskip(NEXT) | instid1(VALU_DEP_4)
	v_add_co_u32 v31, vcc_lo, s0, v31
	v_add_nc_u32_e32 v39, s11, v37
	v_ashrrev_i32_e32 v38, 31, v37
	v_lshlrev_b64_e32 v[35:36], 4, v[35:36]
	s_wait_alu 0xfffd
	v_add_co_ci_u32_e64 v32, null, s1, v32, vcc_lo
	v_add_nc_u32_e32 v41, s11, v39
	v_ashrrev_i32_e32 v40, 31, v39
	v_lshlrev_b64_e32 v[37:38], 4, v[37:38]
	v_add_co_u32 v33, vcc_lo, s0, v33
	s_delay_alu instid0(VALU_DEP_4)
	v_add_nc_u32_e32 v43, s11, v41
	v_ashrrev_i32_e32 v42, 31, v41
	v_lshlrev_b64_e32 v[39:40], 4, v[39:40]
	s_wait_alu 0xfffd
	v_add_co_ci_u32_e64 v34, null, s1, v34, vcc_lo
	v_add_nc_u32_e32 v45, s11, v43
	v_ashrrev_i32_e32 v44, 31, v43
	v_add_co_u32 v35, vcc_lo, s0, v35
	v_lshlrev_b64_e32 v[41:42], 4, v[41:42]
	s_delay_alu instid0(VALU_DEP_4)
	v_add_nc_u32_e32 v47, s11, v45
	v_ashrrev_i32_e32 v46, 31, v45
	s_wait_alu 0xfffd
	v_add_co_ci_u32_e64 v36, null, s1, v36, vcc_lo
	v_add_co_u32 v37, vcc_lo, s0, v37
	v_add_nc_u32_e32 v49, s11, v47
	v_ashrrev_i32_e32 v48, 31, v47
	v_lshlrev_b64_e32 v[43:44], 4, v[43:44]
	s_wait_alu 0xfffd
	v_add_co_ci_u32_e64 v38, null, s1, v38, vcc_lo
	v_add_nc_u32_e32 v51, s11, v49
	v_ashrrev_i32_e32 v50, 31, v49
	v_add_co_u32 v39, vcc_lo, s0, v39
	v_lshlrev_b64_e32 v[45:46], 4, v[45:46]
	s_delay_alu instid0(VALU_DEP_4)
	v_add_nc_u32_e32 v53, s11, v51
	v_ashrrev_i32_e32 v52, 31, v51
	s_wait_alu 0xfffd
	v_add_co_ci_u32_e64 v40, null, s1, v40, vcc_lo
	v_add_co_u32 v41, vcc_lo, s0, v41
	v_add_nc_u32_e32 v55, s11, v53
	v_lshlrev_b64_e32 v[47:48], 4, v[47:48]
	v_ashrrev_i32_e32 v54, 31, v53
	s_wait_alu 0xfffd
	v_add_co_ci_u32_e64 v42, null, s1, v42, vcc_lo
	v_add_nc_u32_e32 v57, s11, v55
	v_add_co_u32 v43, vcc_lo, s0, v43
	v_lshlrev_b64_e32 v[49:50], 4, v[49:50]
	v_ashrrev_i32_e32 v56, 31, v55
	s_delay_alu instid0(VALU_DEP_4) | instskip(SKIP_3) | instid1(VALU_DEP_3)
	v_add_nc_u32_e32 v59, s11, v57
	s_wait_alu 0xfffd
	v_add_co_ci_u32_e64 v44, null, s1, v44, vcc_lo
	v_add_co_u32 v45, vcc_lo, s0, v45
	v_add_nc_u32_e32 v61, s11, v59
	v_lshlrev_b64_e32 v[51:52], 4, v[51:52]
	v_ashrrev_i32_e32 v58, 31, v57
	s_wait_alu 0xfffd
	v_add_co_ci_u32_e64 v46, null, s1, v46, vcc_lo
	v_add_nc_u32_e32 v63, s11, v61
	v_add_co_u32 v47, vcc_lo, s0, v47
	v_lshlrev_b64_e32 v[53:54], 4, v[53:54]
	v_ashrrev_i32_e32 v60, 31, v59
	s_delay_alu instid0(VALU_DEP_4) | instskip(SKIP_3) | instid1(VALU_DEP_3)
	v_add_nc_u32_e32 v65, s11, v63
	s_wait_alu 0xfffd
	v_add_co_ci_u32_e64 v48, null, s1, v48, vcc_lo
	v_add_co_u32 v49, vcc_lo, s0, v49
	v_add_nc_u32_e32 v67, s11, v65
	v_lshlrev_b64_e32 v[55:56], 4, v[55:56]
	v_ashrrev_i32_e32 v62, 31, v61
	s_wait_alu 0xfffd
	v_add_co_ci_u32_e64 v50, null, s1, v50, vcc_lo
	v_add_co_u32 v51, vcc_lo, s0, v51
	v_lshlrev_b64_e32 v[57:58], 4, v[57:58]
	v_ashrrev_i32_e32 v64, 31, v63
	s_wait_alu 0xfffd
	v_add_co_ci_u32_e64 v52, null, s1, v52, vcc_lo
	v_add_co_u32 v53, vcc_lo, s0, v53
	v_lshlrev_b64_e32 v[59:60], 4, v[59:60]
	v_add_nc_u32_e32 v69, s11, v67
	v_ashrrev_i32_e32 v66, 31, v65
	s_wait_alu 0xfffd
	v_add_co_ci_u32_e64 v54, null, s1, v54, vcc_lo
	v_add_co_u32 v55, vcc_lo, s0, v55
	v_lshlrev_b64_e32 v[61:62], 4, v[61:62]
	v_ashrrev_i32_e32 v68, 31, v67
	s_wait_alu 0xfffd
	v_add_co_ci_u32_e64 v56, null, s1, v56, vcc_lo
	v_add_co_u32 v57, vcc_lo, s0, v57
	v_lshlrev_b64_e32 v[63:64], 4, v[63:64]
	;; [unrolled: 5-line block ×3, first 2 shown]
	s_wait_alu 0xfffd
	v_add_co_ci_u32_e64 v60, null, s1, v60, vcc_lo
	v_add_co_u32 v61, vcc_lo, s0, v61
	v_lshlrev_b64_e32 v[67:68], 4, v[67:68]
	s_wait_alu 0xfffd
	v_add_co_ci_u32_e64 v62, null, s1, v62, vcc_lo
	v_add_co_u32 v63, vcc_lo, s0, v63
	v_lshlrev_b64_e32 v[69:70], 4, v[69:70]
	s_wait_alu 0xfffd
	v_add_co_ci_u32_e64 v64, null, s1, v64, vcc_lo
	v_add_co_u32 v65, vcc_lo, s0, v65
	s_wait_alu 0xfffd
	v_add_co_ci_u32_e64 v66, null, s1, v66, vcc_lo
	v_add_co_u32 v67, vcc_lo, s0, v67
	;; [unrolled: 3-line block ×3, first 2 shown]
	s_wait_alu 0xfffd
	v_add_co_ci_u32_e64 v70, null, s1, v70, vcc_lo
	s_clause 0xa
	global_load_b128 v[96:99], v[31:32], off
	global_load_b128 v[100:103], v[33:34], off
	;; [unrolled: 1-line block ×11, first 2 shown]
	s_movk_i32 s0, 0x50
	s_movk_i32 s1, 0x60
	s_wait_alu 0xfffe
	s_add_co_i32 s13, s0, 16
	s_movk_i32 s0, 0xe0
	s_add_co_i32 s12, s1, 16
	s_movk_i32 s1, 0xf0
	s_wait_alu 0xfffe
	s_add_co_i32 s27, s0, 16
	s_movk_i32 s0, 0x100
	s_add_co_i32 s22, s1, 16
	s_movk_i32 s1, 0x110
	s_wait_alu 0xfffe
	s_add_co_i32 s28, s0, 16
	s_movk_i32 s0, 0x120
	s_add_co_i32 s23, s1, 16
	s_movk_i32 s1, 0x130
	s_wait_alu 0xfffe
	s_add_co_i32 s29, s0, 16
	s_movk_i32 s0, 0x140
	s_add_co_i32 s15, s1, 16
	s_movk_i32 s1, 0x150
	s_wait_alu 0xfffe
	s_add_co_i32 s24, s0, 16
	s_movk_i32 s0, 0x160
	s_add_co_i32 s11, s10, 16
	s_add_co_i32 s10, s14, 16
	s_add_co_i32 s14, s1, 16
	s_movk_i32 s1, 0x170
	s_wait_alu 0xfffe
	s_add_co_i32 s30, s0, 16
	s_movk_i32 s0, 0x180
	s_add_co_i32 s19, s1, 16
	s_movk_i32 s1, 0x190
	s_wait_alu 0xfffe
	s_add_co_i32 s33, s0, 16
	s_movk_i32 s0, 0x1a0
	;; [unrolled: 5-line block ×3, first 2 shown]
	s_add_co_i32 s25, s1, 16
	s_wait_alu 0xfffe
	s_add_co_i32 s35, s0, 16
	s_bitcmp0_b32 s38, 0
	s_mov_b32 s1, -1
	s_wait_loadcnt 0x13
	scratch_store_b128 off, v[1:4], off offset:16
	s_wait_loadcnt 0x12
	scratch_store_b128 off, v[5:8], off offset:32
	s_clause 0x1
	global_load_b128 v[1:4], v[53:54], off
	global_load_b128 v[5:8], v[55:56], off
	s_wait_loadcnt 0x13
	scratch_store_b128 off, v[9:12], off offset:48
	s_wait_loadcnt 0x12
	scratch_store_b128 off, v[72:75], off offset:64
	s_clause 0x1
	global_load_b128 v[9:12], v[57:58], off
	global_load_b128 v[72:75], v[59:60], off
	;; [unrolled: 7-line block ×4, first 2 shown]
	s_wait_loadcnt 0x13
	scratch_store_b128 off, v[92:95], off offset:144
	global_load_b128 v[92:95], v[69:70], off
	s_wait_loadcnt 0x13
	scratch_store_b128 off, v[96:99], off offset:160
	s_wait_loadcnt 0x12
	scratch_store_b128 off, v[100:103], off offset:176
	;; [unrolled: 2-line block ×20, first 2 shown]
	s_cbranch_scc1 .LBB28_128
; %bb.4:
	v_cmp_eq_u32_e64 s0, 0, v0
	s_and_saveexec_b32 s1, s0
; %bb.5:
	v_mov_b32_e32 v1, 0
	ds_store_b32 v1, v1 offset:928
; %bb.6:
	s_wait_alu 0xfffe
	s_or_b32 exec_lo, exec_lo, s1
	s_wait_storecnt_dscnt 0x0
	s_barrier_signal -1
	s_barrier_wait -1
	global_inv scope:SCOPE_SE
	scratch_load_b128 v[1:4], v71, off offset:16
	s_wait_loadcnt 0x0
	v_cmp_eq_f64_e32 vcc_lo, 0, v[1:2]
	v_cmp_eq_f64_e64 s1, 0, v[3:4]
	s_and_b32 s1, vcc_lo, s1
	s_wait_alu 0xfffe
	s_and_saveexec_b32 s38, s1
	s_cbranch_execz .LBB28_10
; %bb.7:
	v_mov_b32_e32 v1, 0
	s_mov_b32 s39, 0
	ds_load_b32 v2, v1 offset:928
	s_wait_dscnt 0x0
	v_readfirstlane_b32 s1, v2
	v_add_nc_u32_e32 v2, 1, v0
	s_cmp_eq_u32 s1, 0
	s_delay_alu instid0(VALU_DEP_1) | instskip(SKIP_1) | instid1(SALU_CYCLE_1)
	v_cmp_gt_i32_e32 vcc_lo, s1, v2
	s_cselect_b32 s40, -1, 0
	s_or_b32 s40, s40, vcc_lo
	s_delay_alu instid0(SALU_CYCLE_1)
	s_and_b32 exec_lo, exec_lo, s40
	s_cbranch_execz .LBB28_10
; %bb.8:
	v_mov_b32_e32 v3, s1
.LBB28_9:                               ; =>This Inner Loop Header: Depth=1
	ds_cmpstore_rtn_b32 v3, v1, v2, v3 offset:928
	s_wait_dscnt 0x0
	v_cmp_ne_u32_e32 vcc_lo, 0, v3
	v_cmp_le_i32_e64 s1, v3, v2
	s_and_b32 s1, vcc_lo, s1
	s_wait_alu 0xfffe
	s_and_b32 s1, exec_lo, s1
	s_wait_alu 0xfffe
	s_or_b32 s39, s1, s39
	s_delay_alu instid0(SALU_CYCLE_1)
	s_and_not1_b32 exec_lo, exec_lo, s39
	s_cbranch_execnz .LBB28_9
.LBB28_10:
	s_or_b32 exec_lo, exec_lo, s38
	v_mov_b32_e32 v1, 0
	s_barrier_signal -1
	s_barrier_wait -1
	global_inv scope:SCOPE_SE
	ds_load_b32 v2, v1 offset:928
	s_and_saveexec_b32 s1, s0
	s_cbranch_execz .LBB28_12
; %bb.11:
	s_lshl_b64 s[38:39], s[16:17], 2
	s_delay_alu instid0(SALU_CYCLE_1)
	s_add_nc_u64 s[38:39], s[6:7], s[38:39]
	s_wait_dscnt 0x0
	global_store_b32 v1, v2, s[38:39]
.LBB28_12:
	s_wait_alu 0xfffe
	s_or_b32 exec_lo, exec_lo, s1
	s_wait_dscnt 0x0
	v_cmp_ne_u32_e32 vcc_lo, 0, v2
	s_mov_b32 s1, 0
	s_cbranch_vccnz .LBB28_128
; %bb.13:
	v_add_nc_u32_e32 v72, 16, v71
                                        ; implicit-def: $vgpr1_vgpr2
                                        ; implicit-def: $vgpr9_vgpr10
	scratch_load_b128 v[5:8], v72, off
	s_wait_loadcnt 0x0
	v_cmp_ngt_f64_e64 s1, |v[5:6]|, |v[7:8]|
	s_wait_alu 0xfffe
	s_and_saveexec_b32 s38, s1
	s_delay_alu instid0(SALU_CYCLE_1)
	s_xor_b32 s1, exec_lo, s38
	s_cbranch_execz .LBB28_15
; %bb.14:
	v_div_scale_f64 v[1:2], null, v[7:8], v[7:8], v[5:6]
	v_div_scale_f64 v[11:12], vcc_lo, v[5:6], v[7:8], v[5:6]
	s_delay_alu instid0(VALU_DEP_2) | instskip(NEXT) | instid1(TRANS32_DEP_1)
	v_rcp_f64_e32 v[3:4], v[1:2]
	v_fma_f64 v[9:10], -v[1:2], v[3:4], 1.0
	s_delay_alu instid0(VALU_DEP_1) | instskip(NEXT) | instid1(VALU_DEP_1)
	v_fma_f64 v[3:4], v[3:4], v[9:10], v[3:4]
	v_fma_f64 v[9:10], -v[1:2], v[3:4], 1.0
	s_delay_alu instid0(VALU_DEP_1) | instskip(NEXT) | instid1(VALU_DEP_1)
	v_fma_f64 v[3:4], v[3:4], v[9:10], v[3:4]
	v_mul_f64_e32 v[9:10], v[11:12], v[3:4]
	s_delay_alu instid0(VALU_DEP_1) | instskip(SKIP_1) | instid1(VALU_DEP_1)
	v_fma_f64 v[1:2], -v[1:2], v[9:10], v[11:12]
	s_wait_alu 0xfffd
	v_div_fmas_f64 v[1:2], v[1:2], v[3:4], v[9:10]
	s_delay_alu instid0(VALU_DEP_1) | instskip(NEXT) | instid1(VALU_DEP_1)
	v_div_fixup_f64 v[1:2], v[1:2], v[7:8], v[5:6]
	v_fma_f64 v[3:4], v[5:6], v[1:2], v[7:8]
	s_delay_alu instid0(VALU_DEP_1) | instskip(SKIP_1) | instid1(VALU_DEP_2)
	v_div_scale_f64 v[5:6], null, v[3:4], v[3:4], 1.0
	v_div_scale_f64 v[11:12], vcc_lo, 1.0, v[3:4], 1.0
	v_rcp_f64_e32 v[7:8], v[5:6]
	s_delay_alu instid0(TRANS32_DEP_1) | instskip(NEXT) | instid1(VALU_DEP_1)
	v_fma_f64 v[9:10], -v[5:6], v[7:8], 1.0
	v_fma_f64 v[7:8], v[7:8], v[9:10], v[7:8]
	s_delay_alu instid0(VALU_DEP_1) | instskip(NEXT) | instid1(VALU_DEP_1)
	v_fma_f64 v[9:10], -v[5:6], v[7:8], 1.0
	v_fma_f64 v[7:8], v[7:8], v[9:10], v[7:8]
	s_delay_alu instid0(VALU_DEP_1) | instskip(NEXT) | instid1(VALU_DEP_1)
	v_mul_f64_e32 v[9:10], v[11:12], v[7:8]
	v_fma_f64 v[5:6], -v[5:6], v[9:10], v[11:12]
	s_wait_alu 0xfffd
	s_delay_alu instid0(VALU_DEP_1) | instskip(NEXT) | instid1(VALU_DEP_1)
	v_div_fmas_f64 v[5:6], v[5:6], v[7:8], v[9:10]
	v_div_fixup_f64 v[3:4], v[5:6], v[3:4], 1.0
                                        ; implicit-def: $vgpr5_vgpr6
	s_delay_alu instid0(VALU_DEP_1) | instskip(SKIP_1) | instid1(VALU_DEP_2)
	v_mul_f64_e32 v[1:2], v[1:2], v[3:4]
	v_xor_b32_e32 v4, 0x80000000, v4
	v_xor_b32_e32 v10, 0x80000000, v2
	s_delay_alu instid0(VALU_DEP_3)
	v_mov_b32_e32 v9, v1
.LBB28_15:
	s_wait_alu 0xfffe
	s_and_not1_saveexec_b32 s1, s1
	s_cbranch_execz .LBB28_17
; %bb.16:
	v_div_scale_f64 v[1:2], null, v[5:6], v[5:6], v[7:8]
	v_div_scale_f64 v[11:12], vcc_lo, v[7:8], v[5:6], v[7:8]
	s_delay_alu instid0(VALU_DEP_2) | instskip(NEXT) | instid1(TRANS32_DEP_1)
	v_rcp_f64_e32 v[3:4], v[1:2]
	v_fma_f64 v[9:10], -v[1:2], v[3:4], 1.0
	s_delay_alu instid0(VALU_DEP_1) | instskip(NEXT) | instid1(VALU_DEP_1)
	v_fma_f64 v[3:4], v[3:4], v[9:10], v[3:4]
	v_fma_f64 v[9:10], -v[1:2], v[3:4], 1.0
	s_delay_alu instid0(VALU_DEP_1) | instskip(NEXT) | instid1(VALU_DEP_1)
	v_fma_f64 v[3:4], v[3:4], v[9:10], v[3:4]
	v_mul_f64_e32 v[9:10], v[11:12], v[3:4]
	s_delay_alu instid0(VALU_DEP_1) | instskip(SKIP_1) | instid1(VALU_DEP_1)
	v_fma_f64 v[1:2], -v[1:2], v[9:10], v[11:12]
	s_wait_alu 0xfffd
	v_div_fmas_f64 v[1:2], v[1:2], v[3:4], v[9:10]
	s_delay_alu instid0(VALU_DEP_1) | instskip(NEXT) | instid1(VALU_DEP_1)
	v_div_fixup_f64 v[3:4], v[1:2], v[5:6], v[7:8]
	v_fma_f64 v[1:2], v[7:8], v[3:4], v[5:6]
	s_delay_alu instid0(VALU_DEP_1) | instskip(NEXT) | instid1(VALU_DEP_1)
	v_div_scale_f64 v[5:6], null, v[1:2], v[1:2], 1.0
	v_rcp_f64_e32 v[7:8], v[5:6]
	s_delay_alu instid0(TRANS32_DEP_1) | instskip(NEXT) | instid1(VALU_DEP_1)
	v_fma_f64 v[9:10], -v[5:6], v[7:8], 1.0
	v_fma_f64 v[7:8], v[7:8], v[9:10], v[7:8]
	s_delay_alu instid0(VALU_DEP_1) | instskip(NEXT) | instid1(VALU_DEP_1)
	v_fma_f64 v[9:10], -v[5:6], v[7:8], 1.0
	v_fma_f64 v[7:8], v[7:8], v[9:10], v[7:8]
	v_div_scale_f64 v[9:10], vcc_lo, 1.0, v[1:2], 1.0
	s_delay_alu instid0(VALU_DEP_1) | instskip(NEXT) | instid1(VALU_DEP_1)
	v_mul_f64_e32 v[11:12], v[9:10], v[7:8]
	v_fma_f64 v[5:6], -v[5:6], v[11:12], v[9:10]
	s_wait_alu 0xfffd
	s_delay_alu instid0(VALU_DEP_1) | instskip(NEXT) | instid1(VALU_DEP_1)
	v_div_fmas_f64 v[5:6], v[5:6], v[7:8], v[11:12]
	v_div_fixup_f64 v[1:2], v[5:6], v[1:2], 1.0
	s_delay_alu instid0(VALU_DEP_1)
	v_mul_f64_e64 v[3:4], v[3:4], -v[1:2]
	v_xor_b32_e32 v10, 0x80000000, v2
	v_mov_b32_e32 v9, v1
.LBB28_17:
	s_wait_alu 0xfffe
	s_or_b32 exec_lo, exec_lo, s1
	scratch_store_b128 v72, v[1:4], off
	scratch_load_b128 v[73:76], off, s9
	v_xor_b32_e32 v12, 0x80000000, v4
	v_mov_b32_e32 v11, v3
	v_add_nc_u32_e32 v5, 0x1d0, v71
	ds_store_b128 v71, v[9:12]
	s_wait_loadcnt 0x0
	ds_store_b128 v71, v[73:76] offset:464
	s_wait_storecnt_dscnt 0x0
	s_barrier_signal -1
	s_barrier_wait -1
	global_inv scope:SCOPE_SE
	s_and_saveexec_b32 s1, s0
	s_cbranch_execz .LBB28_19
; %bb.18:
	scratch_load_b128 v[1:4], v72, off
	ds_load_b128 v[6:9], v5
	v_mov_b32_e32 v10, 0
	ds_load_b128 v[73:76], v10 offset:16
	s_wait_loadcnt_dscnt 0x1
	v_mul_f64_e32 v[10:11], v[6:7], v[3:4]
	v_mul_f64_e32 v[3:4], v[8:9], v[3:4]
	s_delay_alu instid0(VALU_DEP_2) | instskip(NEXT) | instid1(VALU_DEP_2)
	v_fma_f64 v[8:9], v[8:9], v[1:2], v[10:11]
	v_fma_f64 v[1:2], v[6:7], v[1:2], -v[3:4]
	s_delay_alu instid0(VALU_DEP_2) | instskip(NEXT) | instid1(VALU_DEP_2)
	v_add_f64_e32 v[3:4], 0, v[8:9]
	v_add_f64_e32 v[1:2], 0, v[1:2]
	s_wait_dscnt 0x0
	s_delay_alu instid0(VALU_DEP_2) | instskip(NEXT) | instid1(VALU_DEP_2)
	v_mul_f64_e32 v[6:7], v[3:4], v[75:76]
	v_mul_f64_e32 v[8:9], v[1:2], v[75:76]
	s_delay_alu instid0(VALU_DEP_2) | instskip(NEXT) | instid1(VALU_DEP_2)
	v_fma_f64 v[1:2], v[1:2], v[73:74], -v[6:7]
	v_fma_f64 v[3:4], v[3:4], v[73:74], v[8:9]
	scratch_store_b128 off, v[1:4], off offset:32
.LBB28_19:
	s_wait_alu 0xfffe
	s_or_b32 exec_lo, exec_lo, s1
	s_wait_loadcnt 0x0
	s_wait_storecnt 0x0
	s_barrier_signal -1
	s_barrier_wait -1
	global_inv scope:SCOPE_SE
	scratch_load_b128 v[1:4], off, s8
	s_mov_b32 s1, exec_lo
	s_wait_loadcnt 0x0
	ds_store_b128 v5, v[1:4]
	s_wait_dscnt 0x0
	s_barrier_signal -1
	s_barrier_wait -1
	global_inv scope:SCOPE_SE
	v_cmpx_gt_u32_e32 2, v0
	s_cbranch_execz .LBB28_23
; %bb.20:
	scratch_load_b128 v[1:4], v72, off
	ds_load_b128 v[6:9], v5
	s_wait_loadcnt_dscnt 0x0
	v_mul_f64_e32 v[10:11], v[8:9], v[3:4]
	v_mul_f64_e32 v[3:4], v[6:7], v[3:4]
	s_delay_alu instid0(VALU_DEP_2) | instskip(NEXT) | instid1(VALU_DEP_2)
	v_fma_f64 v[6:7], v[6:7], v[1:2], -v[10:11]
	v_fma_f64 v[3:4], v[8:9], v[1:2], v[3:4]
	s_delay_alu instid0(VALU_DEP_2) | instskip(NEXT) | instid1(VALU_DEP_2)
	v_add_f64_e32 v[1:2], 0, v[6:7]
	v_add_f64_e32 v[3:4], 0, v[3:4]
	s_and_saveexec_b32 s38, s0
	s_cbranch_execz .LBB28_22
; %bb.21:
	scratch_load_b128 v[6:9], off, off offset:32
	v_mov_b32_e32 v10, 0
	ds_load_b128 v[73:76], v10 offset:480
	s_wait_loadcnt_dscnt 0x0
	v_mul_f64_e32 v[10:11], v[73:74], v[8:9]
	v_mul_f64_e32 v[8:9], v[75:76], v[8:9]
	s_delay_alu instid0(VALU_DEP_2) | instskip(NEXT) | instid1(VALU_DEP_2)
	v_fma_f64 v[10:11], v[75:76], v[6:7], v[10:11]
	v_fma_f64 v[6:7], v[73:74], v[6:7], -v[8:9]
	s_delay_alu instid0(VALU_DEP_2) | instskip(NEXT) | instid1(VALU_DEP_2)
	v_add_f64_e32 v[3:4], v[3:4], v[10:11]
	v_add_f64_e32 v[1:2], v[1:2], v[6:7]
.LBB28_22:
	s_or_b32 exec_lo, exec_lo, s38
	v_mov_b32_e32 v6, 0
	ds_load_b128 v[6:9], v6 offset:32
	s_wait_dscnt 0x0
	v_mul_f64_e32 v[10:11], v[3:4], v[8:9]
	v_mul_f64_e32 v[8:9], v[1:2], v[8:9]
	s_delay_alu instid0(VALU_DEP_2) | instskip(NEXT) | instid1(VALU_DEP_2)
	v_fma_f64 v[1:2], v[1:2], v[6:7], -v[10:11]
	v_fma_f64 v[3:4], v[3:4], v[6:7], v[8:9]
	scratch_store_b128 off, v[1:4], off offset:48
.LBB28_23:
	s_wait_alu 0xfffe
	s_or_b32 exec_lo, exec_lo, s1
	s_wait_loadcnt 0x0
	s_wait_storecnt 0x0
	s_barrier_signal -1
	s_barrier_wait -1
	global_inv scope:SCOPE_SE
	scratch_load_b128 v[1:4], off, s5
	v_add_nc_u32_e32 v6, -1, v0
	s_mov_b32 s0, exec_lo
	s_wait_loadcnt 0x0
	ds_store_b128 v5, v[1:4]
	s_wait_dscnt 0x0
	s_barrier_signal -1
	s_barrier_wait -1
	global_inv scope:SCOPE_SE
	v_cmpx_gt_u32_e32 3, v0
	s_cbranch_execz .LBB28_27
; %bb.24:
	v_dual_mov_b32 v1, 0 :: v_dual_add_nc_u32 v8, 0x1d0, v71
	v_mov_b32_e32 v3, 0
	v_dual_mov_b32 v2, 0 :: v_dual_add_nc_u32 v7, -1, v0
	v_mov_b32_e32 v4, 0
	v_or_b32_e32 v9, 8, v72
	s_mov_b32 s1, 0
.LBB28_25:                              ; =>This Inner Loop Header: Depth=1
	scratch_load_b128 v[73:76], v9, off offset:-8
	ds_load_b128 v[77:80], v8
	v_add_nc_u32_e32 v7, 1, v7
	v_add_nc_u32_e32 v8, 16, v8
	v_add_nc_u32_e32 v9, 16, v9
	s_delay_alu instid0(VALU_DEP_3)
	v_cmp_lt_u32_e32 vcc_lo, 1, v7
	s_wait_alu 0xfffe
	s_or_b32 s1, vcc_lo, s1
	s_wait_loadcnt_dscnt 0x0
	v_mul_f64_e32 v[10:11], v[79:80], v[75:76]
	v_mul_f64_e32 v[75:76], v[77:78], v[75:76]
	s_delay_alu instid0(VALU_DEP_2) | instskip(NEXT) | instid1(VALU_DEP_2)
	v_fma_f64 v[10:11], v[77:78], v[73:74], -v[10:11]
	v_fma_f64 v[73:74], v[79:80], v[73:74], v[75:76]
	s_delay_alu instid0(VALU_DEP_2) | instskip(NEXT) | instid1(VALU_DEP_2)
	v_add_f64_e32 v[3:4], v[3:4], v[10:11]
	v_add_f64_e32 v[1:2], v[1:2], v[73:74]
	s_wait_alu 0xfffe
	s_and_not1_b32 exec_lo, exec_lo, s1
	s_cbranch_execnz .LBB28_25
; %bb.26:
	s_or_b32 exec_lo, exec_lo, s1
	v_mov_b32_e32 v7, 0
	ds_load_b128 v[7:10], v7 offset:48
	s_wait_dscnt 0x0
	v_mul_f64_e32 v[11:12], v[1:2], v[9:10]
	v_mul_f64_e32 v[73:74], v[3:4], v[9:10]
	s_delay_alu instid0(VALU_DEP_2) | instskip(NEXT) | instid1(VALU_DEP_2)
	v_fma_f64 v[9:10], v[3:4], v[7:8], -v[11:12]
	v_fma_f64 v[11:12], v[1:2], v[7:8], v[73:74]
	scratch_store_b128 off, v[9:12], off offset:64
.LBB28_27:
	s_wait_alu 0xfffe
	s_or_b32 exec_lo, exec_lo, s0
	s_wait_loadcnt 0x0
	s_wait_storecnt 0x0
	s_barrier_signal -1
	s_barrier_wait -1
	global_inv scope:SCOPE_SE
	scratch_load_b128 v[1:4], off, s4
	s_mov_b32 s0, exec_lo
	s_wait_loadcnt 0x0
	ds_store_b128 v5, v[1:4]
	s_wait_dscnt 0x0
	s_barrier_signal -1
	s_barrier_wait -1
	global_inv scope:SCOPE_SE
	v_cmpx_gt_u32_e32 4, v0
	s_cbranch_execz .LBB28_31
; %bb.28:
	v_dual_mov_b32 v1, 0 :: v_dual_add_nc_u32 v8, 0x1d0, v71
	v_mov_b32_e32 v3, 0
	v_dual_mov_b32 v2, 0 :: v_dual_add_nc_u32 v7, -1, v0
	v_mov_b32_e32 v4, 0
	v_or_b32_e32 v9, 8, v72
	s_mov_b32 s1, 0
.LBB28_29:                              ; =>This Inner Loop Header: Depth=1
	scratch_load_b128 v[73:76], v9, off offset:-8
	ds_load_b128 v[77:80], v8
	v_add_nc_u32_e32 v7, 1, v7
	v_add_nc_u32_e32 v8, 16, v8
	v_add_nc_u32_e32 v9, 16, v9
	s_delay_alu instid0(VALU_DEP_3)
	v_cmp_lt_u32_e32 vcc_lo, 2, v7
	s_wait_alu 0xfffe
	s_or_b32 s1, vcc_lo, s1
	s_wait_loadcnt_dscnt 0x0
	v_mul_f64_e32 v[10:11], v[79:80], v[75:76]
	v_mul_f64_e32 v[75:76], v[77:78], v[75:76]
	s_delay_alu instid0(VALU_DEP_2) | instskip(NEXT) | instid1(VALU_DEP_2)
	v_fma_f64 v[10:11], v[77:78], v[73:74], -v[10:11]
	v_fma_f64 v[73:74], v[79:80], v[73:74], v[75:76]
	s_delay_alu instid0(VALU_DEP_2) | instskip(NEXT) | instid1(VALU_DEP_2)
	v_add_f64_e32 v[3:4], v[3:4], v[10:11]
	v_add_f64_e32 v[1:2], v[1:2], v[73:74]
	s_wait_alu 0xfffe
	s_and_not1_b32 exec_lo, exec_lo, s1
	s_cbranch_execnz .LBB28_29
; %bb.30:
	s_or_b32 exec_lo, exec_lo, s1
	v_mov_b32_e32 v7, 0
	ds_load_b128 v[7:10], v7 offset:64
	s_wait_dscnt 0x0
	v_mul_f64_e32 v[11:12], v[1:2], v[9:10]
	v_mul_f64_e32 v[73:74], v[3:4], v[9:10]
	s_delay_alu instid0(VALU_DEP_2) | instskip(NEXT) | instid1(VALU_DEP_2)
	v_fma_f64 v[9:10], v[3:4], v[7:8], -v[11:12]
	v_fma_f64 v[11:12], v[1:2], v[7:8], v[73:74]
	scratch_store_b128 off, v[9:12], off offset:80
.LBB28_31:
	s_wait_alu 0xfffe
	s_or_b32 exec_lo, exec_lo, s0
	s_wait_loadcnt 0x0
	s_wait_storecnt 0x0
	s_barrier_signal -1
	s_barrier_wait -1
	global_inv scope:SCOPE_SE
	scratch_load_b128 v[1:4], off, s13
	;; [unrolled: 58-line block ×19, first 2 shown]
	s_mov_b32 s0, exec_lo
	s_wait_loadcnt 0x0
	ds_store_b128 v5, v[1:4]
	s_wait_dscnt 0x0
	s_barrier_signal -1
	s_barrier_wait -1
	global_inv scope:SCOPE_SE
	v_cmpx_gt_u32_e32 22, v0
	s_cbranch_execz .LBB28_103
; %bb.100:
	v_dual_mov_b32 v1, 0 :: v_dual_add_nc_u32 v8, 0x1d0, v71
	v_mov_b32_e32 v3, 0
	v_dual_mov_b32 v2, 0 :: v_dual_add_nc_u32 v7, -1, v0
	v_mov_b32_e32 v4, 0
	v_or_b32_e32 v9, 8, v72
	s_mov_b32 s1, 0
.LBB28_101:                             ; =>This Inner Loop Header: Depth=1
	scratch_load_b128 v[73:76], v9, off offset:-8
	ds_load_b128 v[77:80], v8
	v_add_nc_u32_e32 v7, 1, v7
	v_add_nc_u32_e32 v8, 16, v8
	v_add_nc_u32_e32 v9, 16, v9
	s_delay_alu instid0(VALU_DEP_3)
	v_cmp_lt_u32_e32 vcc_lo, 20, v7
	s_wait_alu 0xfffe
	s_or_b32 s1, vcc_lo, s1
	s_wait_loadcnt_dscnt 0x0
	v_mul_f64_e32 v[10:11], v[79:80], v[75:76]
	v_mul_f64_e32 v[75:76], v[77:78], v[75:76]
	s_delay_alu instid0(VALU_DEP_2) | instskip(NEXT) | instid1(VALU_DEP_2)
	v_fma_f64 v[10:11], v[77:78], v[73:74], -v[10:11]
	v_fma_f64 v[73:74], v[79:80], v[73:74], v[75:76]
	s_delay_alu instid0(VALU_DEP_2) | instskip(NEXT) | instid1(VALU_DEP_2)
	v_add_f64_e32 v[3:4], v[3:4], v[10:11]
	v_add_f64_e32 v[1:2], v[1:2], v[73:74]
	s_wait_alu 0xfffe
	s_and_not1_b32 exec_lo, exec_lo, s1
	s_cbranch_execnz .LBB28_101
; %bb.102:
	s_or_b32 exec_lo, exec_lo, s1
	v_mov_b32_e32 v7, 0
	ds_load_b128 v[7:10], v7 offset:352
	s_wait_dscnt 0x0
	v_mul_f64_e32 v[11:12], v[1:2], v[9:10]
	v_mul_f64_e32 v[73:74], v[3:4], v[9:10]
	s_delay_alu instid0(VALU_DEP_2) | instskip(NEXT) | instid1(VALU_DEP_2)
	v_fma_f64 v[9:10], v[3:4], v[7:8], -v[11:12]
	v_fma_f64 v[11:12], v[1:2], v[7:8], v[73:74]
	scratch_store_b128 off, v[9:12], off offset:368
.LBB28_103:
	s_wait_alu 0xfffe
	s_or_b32 exec_lo, exec_lo, s0
	s_wait_loadcnt 0x0
	s_wait_storecnt 0x0
	s_barrier_signal -1
	s_barrier_wait -1
	global_inv scope:SCOPE_SE
	scratch_load_b128 v[1:4], off, s19
	s_mov_b32 s0, exec_lo
	s_wait_loadcnt 0x0
	ds_store_b128 v5, v[1:4]
	s_wait_dscnt 0x0
	s_barrier_signal -1
	s_barrier_wait -1
	global_inv scope:SCOPE_SE
	v_cmpx_gt_u32_e32 23, v0
	s_cbranch_execz .LBB28_107
; %bb.104:
	v_dual_mov_b32 v1, 0 :: v_dual_add_nc_u32 v8, 0x1d0, v71
	v_mov_b32_e32 v3, 0
	v_dual_mov_b32 v2, 0 :: v_dual_add_nc_u32 v7, -1, v0
	v_mov_b32_e32 v4, 0
	v_or_b32_e32 v9, 8, v72
	s_mov_b32 s1, 0
.LBB28_105:                             ; =>This Inner Loop Header: Depth=1
	scratch_load_b128 v[73:76], v9, off offset:-8
	ds_load_b128 v[77:80], v8
	v_add_nc_u32_e32 v7, 1, v7
	v_add_nc_u32_e32 v8, 16, v8
	v_add_nc_u32_e32 v9, 16, v9
	s_delay_alu instid0(VALU_DEP_3)
	v_cmp_lt_u32_e32 vcc_lo, 21, v7
	s_wait_alu 0xfffe
	s_or_b32 s1, vcc_lo, s1
	s_wait_loadcnt_dscnt 0x0
	v_mul_f64_e32 v[10:11], v[79:80], v[75:76]
	v_mul_f64_e32 v[75:76], v[77:78], v[75:76]
	s_delay_alu instid0(VALU_DEP_2) | instskip(NEXT) | instid1(VALU_DEP_2)
	v_fma_f64 v[10:11], v[77:78], v[73:74], -v[10:11]
	v_fma_f64 v[73:74], v[79:80], v[73:74], v[75:76]
	s_delay_alu instid0(VALU_DEP_2) | instskip(NEXT) | instid1(VALU_DEP_2)
	v_add_f64_e32 v[3:4], v[3:4], v[10:11]
	v_add_f64_e32 v[1:2], v[1:2], v[73:74]
	s_wait_alu 0xfffe
	s_and_not1_b32 exec_lo, exec_lo, s1
	s_cbranch_execnz .LBB28_105
; %bb.106:
	s_or_b32 exec_lo, exec_lo, s1
	v_mov_b32_e32 v7, 0
	ds_load_b128 v[7:10], v7 offset:368
	s_wait_dscnt 0x0
	v_mul_f64_e32 v[11:12], v[1:2], v[9:10]
	v_mul_f64_e32 v[73:74], v[3:4], v[9:10]
	s_delay_alu instid0(VALU_DEP_2) | instskip(NEXT) | instid1(VALU_DEP_2)
	v_fma_f64 v[9:10], v[3:4], v[7:8], -v[11:12]
	v_fma_f64 v[11:12], v[1:2], v[7:8], v[73:74]
	scratch_store_b128 off, v[9:12], off offset:384
.LBB28_107:
	s_wait_alu 0xfffe
	s_or_b32 exec_lo, exec_lo, s0
	s_wait_loadcnt 0x0
	s_wait_storecnt 0x0
	s_barrier_signal -1
	s_barrier_wait -1
	global_inv scope:SCOPE_SE
	scratch_load_b128 v[1:4], off, s33
	;; [unrolled: 58-line block ×6, first 2 shown]
	s_mov_b32 s0, exec_lo
	s_wait_loadcnt 0x0
	ds_store_b128 v5, v[1:4]
	s_wait_dscnt 0x0
	s_barrier_signal -1
	s_barrier_wait -1
	global_inv scope:SCOPE_SE
	v_cmpx_ne_u32_e32 28, v0
	s_cbranch_execz .LBB28_127
; %bb.124:
	v_mov_b32_e32 v1, 0
	v_dual_mov_b32 v2, 0 :: v_dual_mov_b32 v3, 0
	v_mov_b32_e32 v4, 0
	v_or_b32_e32 v7, 8, v72
	s_mov_b32 s1, 0
.LBB28_125:                             ; =>This Inner Loop Header: Depth=1
	scratch_load_b128 v[8:11], v7, off offset:-8
	ds_load_b128 v[71:74], v5
	v_add_nc_u32_e32 v6, 1, v6
	v_add_nc_u32_e32 v5, 16, v5
	;; [unrolled: 1-line block ×3, first 2 shown]
	s_delay_alu instid0(VALU_DEP_3)
	v_cmp_lt_u32_e32 vcc_lo, 26, v6
	s_wait_alu 0xfffe
	s_or_b32 s1, vcc_lo, s1
	s_wait_loadcnt_dscnt 0x0
	v_mul_f64_e32 v[75:76], v[73:74], v[10:11]
	v_mul_f64_e32 v[10:11], v[71:72], v[10:11]
	s_delay_alu instid0(VALU_DEP_2) | instskip(NEXT) | instid1(VALU_DEP_2)
	v_fma_f64 v[71:72], v[71:72], v[8:9], -v[75:76]
	v_fma_f64 v[8:9], v[73:74], v[8:9], v[10:11]
	s_delay_alu instid0(VALU_DEP_2) | instskip(NEXT) | instid1(VALU_DEP_2)
	v_add_f64_e32 v[3:4], v[3:4], v[71:72]
	v_add_f64_e32 v[1:2], v[1:2], v[8:9]
	s_wait_alu 0xfffe
	s_and_not1_b32 exec_lo, exec_lo, s1
	s_cbranch_execnz .LBB28_125
; %bb.126:
	s_or_b32 exec_lo, exec_lo, s1
	v_mov_b32_e32 v5, 0
	ds_load_b128 v[5:8], v5 offset:448
	s_wait_dscnt 0x0
	v_mul_f64_e32 v[9:10], v[1:2], v[7:8]
	v_mul_f64_e32 v[7:8], v[3:4], v[7:8]
	s_delay_alu instid0(VALU_DEP_2) | instskip(NEXT) | instid1(VALU_DEP_2)
	v_fma_f64 v[3:4], v[3:4], v[5:6], -v[9:10]
	v_fma_f64 v[5:6], v[1:2], v[5:6], v[7:8]
	scratch_store_b128 off, v[3:6], off offset:464
.LBB28_127:
	s_wait_alu 0xfffe
	s_or_b32 exec_lo, exec_lo, s0
	s_mov_b32 s1, -1
	s_wait_loadcnt 0x0
	s_wait_storecnt 0x0
	s_barrier_signal -1
	s_barrier_wait -1
	global_inv scope:SCOPE_SE
.LBB28_128:
	s_wait_alu 0xfffe
	s_and_b32 vcc_lo, exec_lo, s1
	s_wait_alu 0xfffe
	s_cbranch_vccz .LBB28_130
; %bb.129:
	v_mov_b32_e32 v1, 0
	s_lshl_b64 s[0:1], s[16:17], 2
	s_wait_alu 0xfffe
	s_add_nc_u64 s[0:1], s[6:7], s[0:1]
	global_load_b32 v1, v1, s[0:1]
	s_wait_loadcnt 0x0
	v_cmp_ne_u32_e32 vcc_lo, 0, v1
	s_cbranch_vccz .LBB28_131
.LBB28_130:
	s_nop 0
	s_sendmsg sendmsg(MSG_DEALLOC_VGPRS)
	s_endpgm
.LBB28_131:
	v_lshl_add_u32 v5, v0, 4, 0x1d0
	s_mov_b32 s0, exec_lo
	v_cmpx_eq_u32_e32 28, v0
	s_cbranch_execz .LBB28_133
; %bb.132:
	scratch_load_b128 v[1:4], off, s25
	v_mov_b32_e32 v6, 0
	s_delay_alu instid0(VALU_DEP_1)
	v_dual_mov_b32 v7, v6 :: v_dual_mov_b32 v8, v6
	v_mov_b32_e32 v9, v6
	scratch_store_b128 off, v[6:9], off offset:448
	s_wait_loadcnt 0x0
	ds_store_b128 v5, v[1:4]
.LBB28_133:
	s_wait_alu 0xfffe
	s_or_b32 exec_lo, exec_lo, s0
	s_wait_storecnt_dscnt 0x0
	s_barrier_signal -1
	s_barrier_wait -1
	global_inv scope:SCOPE_SE
	s_clause 0x1
	scratch_load_b128 v[6:9], off, off offset:464
	scratch_load_b128 v[71:74], off, off offset:448
	v_mov_b32_e32 v1, 0
	s_mov_b32 s0, exec_lo
	ds_load_b128 v[75:78], v1 offset:912
	s_wait_loadcnt_dscnt 0x100
	v_mul_f64_e32 v[2:3], v[77:78], v[8:9]
	v_mul_f64_e32 v[8:9], v[75:76], v[8:9]
	s_delay_alu instid0(VALU_DEP_2) | instskip(NEXT) | instid1(VALU_DEP_2)
	v_fma_f64 v[2:3], v[75:76], v[6:7], -v[2:3]
	v_fma_f64 v[6:7], v[77:78], v[6:7], v[8:9]
	s_delay_alu instid0(VALU_DEP_2) | instskip(NEXT) | instid1(VALU_DEP_2)
	v_add_f64_e32 v[2:3], 0, v[2:3]
	v_add_f64_e32 v[8:9], 0, v[6:7]
	s_wait_loadcnt 0x0
	s_delay_alu instid0(VALU_DEP_2) | instskip(NEXT) | instid1(VALU_DEP_2)
	v_add_f64_e64 v[6:7], v[71:72], -v[2:3]
	v_add_f64_e64 v[8:9], v[73:74], -v[8:9]
	scratch_store_b128 off, v[6:9], off offset:448
	v_cmpx_lt_u32_e32 26, v0
	s_cbranch_execz .LBB28_135
; %bb.134:
	scratch_load_b128 v[6:9], off, s34
	v_dual_mov_b32 v2, v1 :: v_dual_mov_b32 v3, v1
	v_mov_b32_e32 v4, v1
	scratch_store_b128 off, v[1:4], off offset:432
	s_wait_loadcnt 0x0
	ds_store_b128 v5, v[6:9]
.LBB28_135:
	s_wait_alu 0xfffe
	s_or_b32 exec_lo, exec_lo, s0
	s_wait_storecnt_dscnt 0x0
	s_barrier_signal -1
	s_barrier_wait -1
	global_inv scope:SCOPE_SE
	s_clause 0x2
	scratch_load_b128 v[6:9], off, off offset:448
	scratch_load_b128 v[71:74], off, off offset:464
	;; [unrolled: 1-line block ×3, first 2 shown]
	ds_load_b128 v[79:82], v1 offset:896
	ds_load_b128 v[1:4], v1 offset:912
	s_mov_b32 s0, exec_lo
	s_wait_loadcnt_dscnt 0x201
	v_mul_f64_e32 v[10:11], v[81:82], v[8:9]
	v_mul_f64_e32 v[8:9], v[79:80], v[8:9]
	s_wait_loadcnt_dscnt 0x100
	v_mul_f64_e32 v[83:84], v[1:2], v[73:74]
	v_mul_f64_e32 v[73:74], v[3:4], v[73:74]
	s_delay_alu instid0(VALU_DEP_4) | instskip(NEXT) | instid1(VALU_DEP_4)
	v_fma_f64 v[10:11], v[79:80], v[6:7], -v[10:11]
	v_fma_f64 v[6:7], v[81:82], v[6:7], v[8:9]
	s_delay_alu instid0(VALU_DEP_4) | instskip(NEXT) | instid1(VALU_DEP_4)
	v_fma_f64 v[3:4], v[3:4], v[71:72], v[83:84]
	v_fma_f64 v[1:2], v[1:2], v[71:72], -v[73:74]
	s_delay_alu instid0(VALU_DEP_4) | instskip(NEXT) | instid1(VALU_DEP_4)
	v_add_f64_e32 v[8:9], 0, v[10:11]
	v_add_f64_e32 v[6:7], 0, v[6:7]
	s_delay_alu instid0(VALU_DEP_2) | instskip(NEXT) | instid1(VALU_DEP_2)
	v_add_f64_e32 v[1:2], v[8:9], v[1:2]
	v_add_f64_e32 v[3:4], v[6:7], v[3:4]
	s_wait_loadcnt 0x0
	s_delay_alu instid0(VALU_DEP_2) | instskip(NEXT) | instid1(VALU_DEP_2)
	v_add_f64_e64 v[1:2], v[75:76], -v[1:2]
	v_add_f64_e64 v[3:4], v[77:78], -v[3:4]
	scratch_store_b128 off, v[1:4], off offset:432
	v_cmpx_lt_u32_e32 25, v0
	s_cbranch_execz .LBB28_137
; %bb.136:
	scratch_load_b128 v[1:4], off, s20
	v_mov_b32_e32 v6, 0
	s_delay_alu instid0(VALU_DEP_1)
	v_dual_mov_b32 v7, v6 :: v_dual_mov_b32 v8, v6
	v_mov_b32_e32 v9, v6
	scratch_store_b128 off, v[6:9], off offset:416
	s_wait_loadcnt 0x0
	ds_store_b128 v5, v[1:4]
.LBB28_137:
	s_wait_alu 0xfffe
	s_or_b32 exec_lo, exec_lo, s0
	s_wait_storecnt_dscnt 0x0
	s_barrier_signal -1
	s_barrier_wait -1
	global_inv scope:SCOPE_SE
	s_clause 0x3
	scratch_load_b128 v[6:9], off, off offset:432
	scratch_load_b128 v[71:74], off, off offset:448
	;; [unrolled: 1-line block ×4, first 2 shown]
	v_mov_b32_e32 v1, 0
	ds_load_b128 v[83:86], v1 offset:880
	ds_load_b128 v[87:90], v1 offset:896
	s_mov_b32 s0, exec_lo
	s_wait_loadcnt_dscnt 0x301
	v_mul_f64_e32 v[2:3], v[85:86], v[8:9]
	v_mul_f64_e32 v[8:9], v[83:84], v[8:9]
	s_wait_loadcnt_dscnt 0x200
	v_mul_f64_e32 v[10:11], v[87:88], v[73:74]
	v_mul_f64_e32 v[73:74], v[89:90], v[73:74]
	s_delay_alu instid0(VALU_DEP_4) | instskip(NEXT) | instid1(VALU_DEP_4)
	v_fma_f64 v[2:3], v[83:84], v[6:7], -v[2:3]
	v_fma_f64 v[83:84], v[85:86], v[6:7], v[8:9]
	ds_load_b128 v[6:9], v1 offset:912
	v_fma_f64 v[10:11], v[89:90], v[71:72], v[10:11]
	v_fma_f64 v[71:72], v[87:88], v[71:72], -v[73:74]
	s_wait_loadcnt_dscnt 0x100
	v_mul_f64_e32 v[85:86], v[6:7], v[77:78]
	v_mul_f64_e32 v[77:78], v[8:9], v[77:78]
	v_add_f64_e32 v[2:3], 0, v[2:3]
	v_add_f64_e32 v[73:74], 0, v[83:84]
	s_delay_alu instid0(VALU_DEP_4) | instskip(NEXT) | instid1(VALU_DEP_4)
	v_fma_f64 v[8:9], v[8:9], v[75:76], v[85:86]
	v_fma_f64 v[6:7], v[6:7], v[75:76], -v[77:78]
	s_delay_alu instid0(VALU_DEP_4) | instskip(NEXT) | instid1(VALU_DEP_4)
	v_add_f64_e32 v[2:3], v[2:3], v[71:72]
	v_add_f64_e32 v[10:11], v[73:74], v[10:11]
	s_delay_alu instid0(VALU_DEP_2) | instskip(NEXT) | instid1(VALU_DEP_2)
	v_add_f64_e32 v[2:3], v[2:3], v[6:7]
	v_add_f64_e32 v[8:9], v[10:11], v[8:9]
	s_wait_loadcnt 0x0
	s_delay_alu instid0(VALU_DEP_2) | instskip(NEXT) | instid1(VALU_DEP_2)
	v_add_f64_e64 v[6:7], v[79:80], -v[2:3]
	v_add_f64_e64 v[8:9], v[81:82], -v[8:9]
	scratch_store_b128 off, v[6:9], off offset:416
	v_cmpx_lt_u32_e32 24, v0
	s_cbranch_execz .LBB28_139
; %bb.138:
	scratch_load_b128 v[6:9], off, s33
	v_dual_mov_b32 v2, v1 :: v_dual_mov_b32 v3, v1
	v_mov_b32_e32 v4, v1
	scratch_store_b128 off, v[1:4], off offset:400
	s_wait_loadcnt 0x0
	ds_store_b128 v5, v[6:9]
.LBB28_139:
	s_wait_alu 0xfffe
	s_or_b32 exec_lo, exec_lo, s0
	s_wait_storecnt_dscnt 0x0
	s_barrier_signal -1
	s_barrier_wait -1
	global_inv scope:SCOPE_SE
	s_clause 0x4
	scratch_load_b128 v[6:9], off, off offset:416
	scratch_load_b128 v[71:74], off, off offset:432
	;; [unrolled: 1-line block ×5, first 2 shown]
	ds_load_b128 v[87:90], v1 offset:864
	ds_load_b128 v[91:94], v1 offset:880
	s_mov_b32 s0, exec_lo
	s_wait_loadcnt_dscnt 0x401
	v_mul_f64_e32 v[2:3], v[89:90], v[8:9]
	v_mul_f64_e32 v[8:9], v[87:88], v[8:9]
	s_wait_loadcnt_dscnt 0x300
	v_mul_f64_e32 v[10:11], v[91:92], v[73:74]
	v_mul_f64_e32 v[73:74], v[93:94], v[73:74]
	s_delay_alu instid0(VALU_DEP_4) | instskip(NEXT) | instid1(VALU_DEP_4)
	v_fma_f64 v[87:88], v[87:88], v[6:7], -v[2:3]
	v_fma_f64 v[89:90], v[89:90], v[6:7], v[8:9]
	ds_load_b128 v[6:9], v1 offset:896
	ds_load_b128 v[1:4], v1 offset:912
	v_fma_f64 v[10:11], v[93:94], v[71:72], v[10:11]
	v_fma_f64 v[71:72], v[91:92], v[71:72], -v[73:74]
	s_wait_loadcnt_dscnt 0x201
	v_mul_f64_e32 v[95:96], v[6:7], v[77:78]
	v_mul_f64_e32 v[77:78], v[8:9], v[77:78]
	v_add_f64_e32 v[73:74], 0, v[87:88]
	v_add_f64_e32 v[87:88], 0, v[89:90]
	s_wait_loadcnt_dscnt 0x100
	v_mul_f64_e32 v[89:90], v[1:2], v[81:82]
	v_mul_f64_e32 v[81:82], v[3:4], v[81:82]
	v_fma_f64 v[8:9], v[8:9], v[75:76], v[95:96]
	v_fma_f64 v[6:7], v[6:7], v[75:76], -v[77:78]
	v_add_f64_e32 v[71:72], v[73:74], v[71:72]
	v_add_f64_e32 v[10:11], v[87:88], v[10:11]
	v_fma_f64 v[3:4], v[3:4], v[79:80], v[89:90]
	v_fma_f64 v[1:2], v[1:2], v[79:80], -v[81:82]
	s_delay_alu instid0(VALU_DEP_4) | instskip(NEXT) | instid1(VALU_DEP_4)
	v_add_f64_e32 v[6:7], v[71:72], v[6:7]
	v_add_f64_e32 v[8:9], v[10:11], v[8:9]
	s_delay_alu instid0(VALU_DEP_2) | instskip(NEXT) | instid1(VALU_DEP_2)
	v_add_f64_e32 v[1:2], v[6:7], v[1:2]
	v_add_f64_e32 v[3:4], v[8:9], v[3:4]
	s_wait_loadcnt 0x0
	s_delay_alu instid0(VALU_DEP_2) | instskip(NEXT) | instid1(VALU_DEP_2)
	v_add_f64_e64 v[1:2], v[83:84], -v[1:2]
	v_add_f64_e64 v[3:4], v[85:86], -v[3:4]
	scratch_store_b128 off, v[1:4], off offset:400
	v_cmpx_lt_u32_e32 23, v0
	s_cbranch_execz .LBB28_141
; %bb.140:
	scratch_load_b128 v[1:4], off, s19
	v_mov_b32_e32 v6, 0
	s_delay_alu instid0(VALU_DEP_1)
	v_dual_mov_b32 v7, v6 :: v_dual_mov_b32 v8, v6
	v_mov_b32_e32 v9, v6
	scratch_store_b128 off, v[6:9], off offset:384
	s_wait_loadcnt 0x0
	ds_store_b128 v5, v[1:4]
.LBB28_141:
	s_wait_alu 0xfffe
	s_or_b32 exec_lo, exec_lo, s0
	s_wait_storecnt_dscnt 0x0
	s_barrier_signal -1
	s_barrier_wait -1
	global_inv scope:SCOPE_SE
	s_clause 0x5
	scratch_load_b128 v[6:9], off, off offset:400
	scratch_load_b128 v[71:74], off, off offset:416
	;; [unrolled: 1-line block ×6, first 2 shown]
	v_mov_b32_e32 v1, 0
	ds_load_b128 v[91:94], v1 offset:848
	ds_load_b128 v[95:98], v1 offset:864
	s_mov_b32 s0, exec_lo
	s_wait_loadcnt_dscnt 0x501
	v_mul_f64_e32 v[2:3], v[93:94], v[8:9]
	v_mul_f64_e32 v[8:9], v[91:92], v[8:9]
	s_wait_loadcnt_dscnt 0x400
	v_mul_f64_e32 v[10:11], v[95:96], v[73:74]
	v_mul_f64_e32 v[73:74], v[97:98], v[73:74]
	s_delay_alu instid0(VALU_DEP_4) | instskip(NEXT) | instid1(VALU_DEP_4)
	v_fma_f64 v[2:3], v[91:92], v[6:7], -v[2:3]
	v_fma_f64 v[99:100], v[93:94], v[6:7], v[8:9]
	ds_load_b128 v[6:9], v1 offset:880
	ds_load_b128 v[91:94], v1 offset:896
	v_fma_f64 v[10:11], v[97:98], v[71:72], v[10:11]
	v_fma_f64 v[71:72], v[95:96], v[71:72], -v[73:74]
	s_wait_loadcnt_dscnt 0x301
	v_mul_f64_e32 v[101:102], v[6:7], v[77:78]
	v_mul_f64_e32 v[77:78], v[8:9], v[77:78]
	s_wait_loadcnt_dscnt 0x200
	v_mul_f64_e32 v[95:96], v[91:92], v[81:82]
	v_mul_f64_e32 v[81:82], v[93:94], v[81:82]
	v_add_f64_e32 v[2:3], 0, v[2:3]
	v_add_f64_e32 v[73:74], 0, v[99:100]
	v_fma_f64 v[97:98], v[8:9], v[75:76], v[101:102]
	v_fma_f64 v[75:76], v[6:7], v[75:76], -v[77:78]
	ds_load_b128 v[6:9], v1 offset:912
	v_fma_f64 v[77:78], v[93:94], v[79:80], v[95:96]
	v_fma_f64 v[79:80], v[91:92], v[79:80], -v[81:82]
	v_add_f64_e32 v[2:3], v[2:3], v[71:72]
	v_add_f64_e32 v[10:11], v[73:74], v[10:11]
	s_wait_loadcnt_dscnt 0x100
	v_mul_f64_e32 v[71:72], v[6:7], v[85:86]
	v_mul_f64_e32 v[73:74], v[8:9], v[85:86]
	s_delay_alu instid0(VALU_DEP_4) | instskip(NEXT) | instid1(VALU_DEP_4)
	v_add_f64_e32 v[2:3], v[2:3], v[75:76]
	v_add_f64_e32 v[10:11], v[10:11], v[97:98]
	s_delay_alu instid0(VALU_DEP_4) | instskip(NEXT) | instid1(VALU_DEP_4)
	v_fma_f64 v[8:9], v[8:9], v[83:84], v[71:72]
	v_fma_f64 v[6:7], v[6:7], v[83:84], -v[73:74]
	s_delay_alu instid0(VALU_DEP_4) | instskip(NEXT) | instid1(VALU_DEP_4)
	v_add_f64_e32 v[2:3], v[2:3], v[79:80]
	v_add_f64_e32 v[10:11], v[10:11], v[77:78]
	s_delay_alu instid0(VALU_DEP_2) | instskip(NEXT) | instid1(VALU_DEP_2)
	v_add_f64_e32 v[2:3], v[2:3], v[6:7]
	v_add_f64_e32 v[8:9], v[10:11], v[8:9]
	s_wait_loadcnt 0x0
	s_delay_alu instid0(VALU_DEP_2) | instskip(NEXT) | instid1(VALU_DEP_2)
	v_add_f64_e64 v[6:7], v[87:88], -v[2:3]
	v_add_f64_e64 v[8:9], v[89:90], -v[8:9]
	scratch_store_b128 off, v[6:9], off offset:384
	v_cmpx_lt_u32_e32 22, v0
	s_cbranch_execz .LBB28_143
; %bb.142:
	scratch_load_b128 v[6:9], off, s30
	v_dual_mov_b32 v2, v1 :: v_dual_mov_b32 v3, v1
	v_mov_b32_e32 v4, v1
	scratch_store_b128 off, v[1:4], off offset:368
	s_wait_loadcnt 0x0
	ds_store_b128 v5, v[6:9]
.LBB28_143:
	s_wait_alu 0xfffe
	s_or_b32 exec_lo, exec_lo, s0
	s_wait_storecnt_dscnt 0x0
	s_barrier_signal -1
	s_barrier_wait -1
	global_inv scope:SCOPE_SE
	s_clause 0x5
	scratch_load_b128 v[6:9], off, off offset:384
	scratch_load_b128 v[71:74], off, off offset:400
	;; [unrolled: 1-line block ×6, first 2 shown]
	ds_load_b128 v[91:94], v1 offset:832
	ds_load_b128 v[99:102], v1 offset:848
	scratch_load_b128 v[95:98], off, off offset:368
	s_mov_b32 s0, exec_lo
	s_wait_loadcnt_dscnt 0x601
	v_mul_f64_e32 v[2:3], v[93:94], v[8:9]
	v_mul_f64_e32 v[8:9], v[91:92], v[8:9]
	s_wait_loadcnt_dscnt 0x500
	v_mul_f64_e32 v[10:11], v[99:100], v[73:74]
	v_mul_f64_e32 v[73:74], v[101:102], v[73:74]
	s_delay_alu instid0(VALU_DEP_4) | instskip(NEXT) | instid1(VALU_DEP_4)
	v_fma_f64 v[2:3], v[91:92], v[6:7], -v[2:3]
	v_fma_f64 v[103:104], v[93:94], v[6:7], v[8:9]
	ds_load_b128 v[6:9], v1 offset:864
	ds_load_b128 v[91:94], v1 offset:880
	v_fma_f64 v[10:11], v[101:102], v[71:72], v[10:11]
	v_fma_f64 v[71:72], v[99:100], v[71:72], -v[73:74]
	s_wait_loadcnt_dscnt 0x401
	v_mul_f64_e32 v[105:106], v[6:7], v[77:78]
	v_mul_f64_e32 v[77:78], v[8:9], v[77:78]
	s_wait_loadcnt_dscnt 0x300
	v_mul_f64_e32 v[99:100], v[91:92], v[81:82]
	v_mul_f64_e32 v[81:82], v[93:94], v[81:82]
	v_add_f64_e32 v[2:3], 0, v[2:3]
	v_add_f64_e32 v[73:74], 0, v[103:104]
	v_fma_f64 v[101:102], v[8:9], v[75:76], v[105:106]
	v_fma_f64 v[75:76], v[6:7], v[75:76], -v[77:78]
	s_delay_alu instid0(VALU_DEP_4) | instskip(NEXT) | instid1(VALU_DEP_4)
	v_add_f64_e32 v[71:72], v[2:3], v[71:72]
	v_add_f64_e32 v[10:11], v[73:74], v[10:11]
	ds_load_b128 v[6:9], v1 offset:896
	ds_load_b128 v[1:4], v1 offset:912
	s_wait_loadcnt_dscnt 0x201
	v_mul_f64_e32 v[73:74], v[6:7], v[85:86]
	v_mul_f64_e32 v[77:78], v[8:9], v[85:86]
	v_fma_f64 v[85:86], v[93:94], v[79:80], v[99:100]
	v_fma_f64 v[79:80], v[91:92], v[79:80], -v[81:82]
	s_wait_loadcnt_dscnt 0x100
	v_mul_f64_e32 v[81:82], v[3:4], v[89:90]
	v_add_f64_e32 v[71:72], v[71:72], v[75:76]
	v_add_f64_e32 v[10:11], v[10:11], v[101:102]
	v_mul_f64_e32 v[75:76], v[1:2], v[89:90]
	v_fma_f64 v[8:9], v[8:9], v[83:84], v[73:74]
	v_fma_f64 v[6:7], v[6:7], v[83:84], -v[77:78]
	v_fma_f64 v[1:2], v[1:2], v[87:88], -v[81:82]
	v_add_f64_e32 v[71:72], v[71:72], v[79:80]
	v_add_f64_e32 v[10:11], v[10:11], v[85:86]
	v_fma_f64 v[3:4], v[3:4], v[87:88], v[75:76]
	s_delay_alu instid0(VALU_DEP_3) | instskip(NEXT) | instid1(VALU_DEP_3)
	v_add_f64_e32 v[6:7], v[71:72], v[6:7]
	v_add_f64_e32 v[8:9], v[10:11], v[8:9]
	s_delay_alu instid0(VALU_DEP_2) | instskip(NEXT) | instid1(VALU_DEP_2)
	v_add_f64_e32 v[1:2], v[6:7], v[1:2]
	v_add_f64_e32 v[3:4], v[8:9], v[3:4]
	s_wait_loadcnt 0x0
	s_delay_alu instid0(VALU_DEP_2) | instskip(NEXT) | instid1(VALU_DEP_2)
	v_add_f64_e64 v[1:2], v[95:96], -v[1:2]
	v_add_f64_e64 v[3:4], v[97:98], -v[3:4]
	scratch_store_b128 off, v[1:4], off offset:368
	v_cmpx_lt_u32_e32 21, v0
	s_cbranch_execz .LBB28_145
; %bb.144:
	scratch_load_b128 v[1:4], off, s14
	v_mov_b32_e32 v6, 0
	s_delay_alu instid0(VALU_DEP_1)
	v_dual_mov_b32 v7, v6 :: v_dual_mov_b32 v8, v6
	v_mov_b32_e32 v9, v6
	scratch_store_b128 off, v[6:9], off offset:352
	s_wait_loadcnt 0x0
	ds_store_b128 v5, v[1:4]
.LBB28_145:
	s_wait_alu 0xfffe
	s_or_b32 exec_lo, exec_lo, s0
	s_wait_storecnt_dscnt 0x0
	s_barrier_signal -1
	s_barrier_wait -1
	global_inv scope:SCOPE_SE
	s_clause 0x6
	scratch_load_b128 v[6:9], off, off offset:368
	scratch_load_b128 v[71:74], off, off offset:384
	;; [unrolled: 1-line block ×7, first 2 shown]
	v_mov_b32_e32 v1, 0
	scratch_load_b128 v[99:102], off, off offset:352
	s_mov_b32 s0, exec_lo
	ds_load_b128 v[95:98], v1 offset:816
	ds_load_b128 v[103:106], v1 offset:832
	s_wait_loadcnt_dscnt 0x701
	v_mul_f64_e32 v[2:3], v[97:98], v[8:9]
	v_mul_f64_e32 v[8:9], v[95:96], v[8:9]
	s_wait_loadcnt_dscnt 0x600
	v_mul_f64_e32 v[10:11], v[103:104], v[73:74]
	v_mul_f64_e32 v[73:74], v[105:106], v[73:74]
	s_delay_alu instid0(VALU_DEP_4) | instskip(NEXT) | instid1(VALU_DEP_4)
	v_fma_f64 v[2:3], v[95:96], v[6:7], -v[2:3]
	v_fma_f64 v[107:108], v[97:98], v[6:7], v[8:9]
	ds_load_b128 v[6:9], v1 offset:848
	ds_load_b128 v[95:98], v1 offset:864
	v_fma_f64 v[10:11], v[105:106], v[71:72], v[10:11]
	v_fma_f64 v[71:72], v[103:104], v[71:72], -v[73:74]
	s_wait_loadcnt_dscnt 0x501
	v_mul_f64_e32 v[109:110], v[6:7], v[77:78]
	v_mul_f64_e32 v[77:78], v[8:9], v[77:78]
	s_wait_loadcnt_dscnt 0x400
	v_mul_f64_e32 v[103:104], v[95:96], v[81:82]
	v_mul_f64_e32 v[81:82], v[97:98], v[81:82]
	v_add_f64_e32 v[2:3], 0, v[2:3]
	v_add_f64_e32 v[73:74], 0, v[107:108]
	v_fma_f64 v[105:106], v[8:9], v[75:76], v[109:110]
	v_fma_f64 v[75:76], v[6:7], v[75:76], -v[77:78]
	v_fma_f64 v[97:98], v[97:98], v[79:80], v[103:104]
	v_fma_f64 v[79:80], v[95:96], v[79:80], -v[81:82]
	v_add_f64_e32 v[2:3], v[2:3], v[71:72]
	v_add_f64_e32 v[10:11], v[73:74], v[10:11]
	ds_load_b128 v[6:9], v1 offset:880
	ds_load_b128 v[71:74], v1 offset:896
	s_wait_loadcnt_dscnt 0x301
	v_mul_f64_e32 v[77:78], v[6:7], v[85:86]
	v_mul_f64_e32 v[85:86], v[8:9], v[85:86]
	s_wait_loadcnt_dscnt 0x200
	v_mul_f64_e32 v[81:82], v[73:74], v[89:90]
	v_add_f64_e32 v[2:3], v[2:3], v[75:76]
	v_add_f64_e32 v[10:11], v[10:11], v[105:106]
	v_mul_f64_e32 v[75:76], v[71:72], v[89:90]
	v_fma_f64 v[77:78], v[8:9], v[83:84], v[77:78]
	v_fma_f64 v[83:84], v[6:7], v[83:84], -v[85:86]
	ds_load_b128 v[6:9], v1 offset:912
	v_fma_f64 v[71:72], v[71:72], v[87:88], -v[81:82]
	v_add_f64_e32 v[2:3], v[2:3], v[79:80]
	v_add_f64_e32 v[10:11], v[10:11], v[97:98]
	v_fma_f64 v[73:74], v[73:74], v[87:88], v[75:76]
	s_wait_loadcnt_dscnt 0x100
	v_mul_f64_e32 v[79:80], v[6:7], v[93:94]
	v_mul_f64_e32 v[85:86], v[8:9], v[93:94]
	v_add_f64_e32 v[2:3], v[2:3], v[83:84]
	v_add_f64_e32 v[10:11], v[10:11], v[77:78]
	s_delay_alu instid0(VALU_DEP_4) | instskip(NEXT) | instid1(VALU_DEP_4)
	v_fma_f64 v[8:9], v[8:9], v[91:92], v[79:80]
	v_fma_f64 v[6:7], v[6:7], v[91:92], -v[85:86]
	s_delay_alu instid0(VALU_DEP_4) | instskip(NEXT) | instid1(VALU_DEP_4)
	v_add_f64_e32 v[2:3], v[2:3], v[71:72]
	v_add_f64_e32 v[10:11], v[10:11], v[73:74]
	s_delay_alu instid0(VALU_DEP_2) | instskip(NEXT) | instid1(VALU_DEP_2)
	v_add_f64_e32 v[2:3], v[2:3], v[6:7]
	v_add_f64_e32 v[8:9], v[10:11], v[8:9]
	s_wait_loadcnt 0x0
	s_delay_alu instid0(VALU_DEP_2) | instskip(NEXT) | instid1(VALU_DEP_2)
	v_add_f64_e64 v[6:7], v[99:100], -v[2:3]
	v_add_f64_e64 v[8:9], v[101:102], -v[8:9]
	scratch_store_b128 off, v[6:9], off offset:352
	v_cmpx_lt_u32_e32 20, v0
	s_cbranch_execz .LBB28_147
; %bb.146:
	scratch_load_b128 v[6:9], off, s24
	v_dual_mov_b32 v2, v1 :: v_dual_mov_b32 v3, v1
	v_mov_b32_e32 v4, v1
	scratch_store_b128 off, v[1:4], off offset:336
	s_wait_loadcnt 0x0
	ds_store_b128 v5, v[6:9]
.LBB28_147:
	s_wait_alu 0xfffe
	s_or_b32 exec_lo, exec_lo, s0
	s_wait_storecnt_dscnt 0x0
	s_barrier_signal -1
	s_barrier_wait -1
	global_inv scope:SCOPE_SE
	s_clause 0x7
	scratch_load_b128 v[6:9], off, off offset:352
	scratch_load_b128 v[71:74], off, off offset:368
	;; [unrolled: 1-line block ×8, first 2 shown]
	ds_load_b128 v[99:102], v1 offset:800
	ds_load_b128 v[103:106], v1 offset:816
	scratch_load_b128 v[107:110], off, off offset:336
	s_mov_b32 s0, exec_lo
	s_wait_loadcnt_dscnt 0x801
	v_mul_f64_e32 v[2:3], v[101:102], v[8:9]
	v_mul_f64_e32 v[8:9], v[99:100], v[8:9]
	s_wait_loadcnt_dscnt 0x700
	v_mul_f64_e32 v[10:11], v[103:104], v[73:74]
	v_mul_f64_e32 v[73:74], v[105:106], v[73:74]
	s_delay_alu instid0(VALU_DEP_4) | instskip(NEXT) | instid1(VALU_DEP_4)
	v_fma_f64 v[2:3], v[99:100], v[6:7], -v[2:3]
	v_fma_f64 v[111:112], v[101:102], v[6:7], v[8:9]
	ds_load_b128 v[6:9], v1 offset:832
	ds_load_b128 v[99:102], v1 offset:848
	v_fma_f64 v[10:11], v[105:106], v[71:72], v[10:11]
	v_fma_f64 v[71:72], v[103:104], v[71:72], -v[73:74]
	s_wait_loadcnt_dscnt 0x601
	v_mul_f64_e32 v[113:114], v[6:7], v[77:78]
	v_mul_f64_e32 v[77:78], v[8:9], v[77:78]
	s_wait_loadcnt_dscnt 0x500
	v_mul_f64_e32 v[103:104], v[99:100], v[81:82]
	v_mul_f64_e32 v[81:82], v[101:102], v[81:82]
	v_add_f64_e32 v[2:3], 0, v[2:3]
	v_add_f64_e32 v[73:74], 0, v[111:112]
	v_fma_f64 v[105:106], v[8:9], v[75:76], v[113:114]
	v_fma_f64 v[75:76], v[6:7], v[75:76], -v[77:78]
	v_fma_f64 v[101:102], v[101:102], v[79:80], v[103:104]
	v_fma_f64 v[79:80], v[99:100], v[79:80], -v[81:82]
	v_add_f64_e32 v[2:3], v[2:3], v[71:72]
	v_add_f64_e32 v[10:11], v[73:74], v[10:11]
	ds_load_b128 v[6:9], v1 offset:864
	ds_load_b128 v[71:74], v1 offset:880
	s_wait_loadcnt_dscnt 0x401
	v_mul_f64_e32 v[77:78], v[6:7], v[85:86]
	v_mul_f64_e32 v[85:86], v[8:9], v[85:86]
	s_wait_loadcnt_dscnt 0x300
	v_mul_f64_e32 v[81:82], v[73:74], v[89:90]
	v_add_f64_e32 v[2:3], v[2:3], v[75:76]
	v_add_f64_e32 v[10:11], v[10:11], v[105:106]
	v_mul_f64_e32 v[75:76], v[71:72], v[89:90]
	v_fma_f64 v[77:78], v[8:9], v[83:84], v[77:78]
	v_fma_f64 v[83:84], v[6:7], v[83:84], -v[85:86]
	v_fma_f64 v[71:72], v[71:72], v[87:88], -v[81:82]
	v_add_f64_e32 v[79:80], v[2:3], v[79:80]
	v_add_f64_e32 v[10:11], v[10:11], v[101:102]
	ds_load_b128 v[6:9], v1 offset:896
	ds_load_b128 v[1:4], v1 offset:912
	v_fma_f64 v[73:74], v[73:74], v[87:88], v[75:76]
	s_wait_loadcnt_dscnt 0x201
	v_mul_f64_e32 v[85:86], v[6:7], v[93:94]
	v_mul_f64_e32 v[89:90], v[8:9], v[93:94]
	v_add_f64_e32 v[75:76], v[79:80], v[83:84]
	v_add_f64_e32 v[10:11], v[10:11], v[77:78]
	s_wait_loadcnt_dscnt 0x100
	v_mul_f64_e32 v[77:78], v[1:2], v[97:98]
	v_mul_f64_e32 v[79:80], v[3:4], v[97:98]
	v_fma_f64 v[8:9], v[8:9], v[91:92], v[85:86]
	v_fma_f64 v[6:7], v[6:7], v[91:92], -v[89:90]
	v_add_f64_e32 v[71:72], v[75:76], v[71:72]
	v_add_f64_e32 v[10:11], v[10:11], v[73:74]
	v_fma_f64 v[3:4], v[3:4], v[95:96], v[77:78]
	v_fma_f64 v[1:2], v[1:2], v[95:96], -v[79:80]
	s_delay_alu instid0(VALU_DEP_4) | instskip(NEXT) | instid1(VALU_DEP_4)
	v_add_f64_e32 v[6:7], v[71:72], v[6:7]
	v_add_f64_e32 v[8:9], v[10:11], v[8:9]
	s_delay_alu instid0(VALU_DEP_2) | instskip(NEXT) | instid1(VALU_DEP_2)
	v_add_f64_e32 v[1:2], v[6:7], v[1:2]
	v_add_f64_e32 v[3:4], v[8:9], v[3:4]
	s_wait_loadcnt 0x0
	s_delay_alu instid0(VALU_DEP_2) | instskip(NEXT) | instid1(VALU_DEP_2)
	v_add_f64_e64 v[1:2], v[107:108], -v[1:2]
	v_add_f64_e64 v[3:4], v[109:110], -v[3:4]
	scratch_store_b128 off, v[1:4], off offset:336
	v_cmpx_lt_u32_e32 19, v0
	s_cbranch_execz .LBB28_149
; %bb.148:
	scratch_load_b128 v[1:4], off, s15
	v_mov_b32_e32 v6, 0
	s_delay_alu instid0(VALU_DEP_1)
	v_dual_mov_b32 v7, v6 :: v_dual_mov_b32 v8, v6
	v_mov_b32_e32 v9, v6
	scratch_store_b128 off, v[6:9], off offset:320
	s_wait_loadcnt 0x0
	ds_store_b128 v5, v[1:4]
.LBB28_149:
	s_wait_alu 0xfffe
	s_or_b32 exec_lo, exec_lo, s0
	s_wait_storecnt_dscnt 0x0
	s_barrier_signal -1
	s_barrier_wait -1
	global_inv scope:SCOPE_SE
	s_clause 0x7
	scratch_load_b128 v[6:9], off, off offset:336
	scratch_load_b128 v[71:74], off, off offset:352
	;; [unrolled: 1-line block ×8, first 2 shown]
	v_mov_b32_e32 v1, 0
	s_mov_b32 s0, exec_lo
	ds_load_b128 v[99:102], v1 offset:784
	s_clause 0x1
	scratch_load_b128 v[103:106], off, off offset:464
	scratch_load_b128 v[107:110], off, off offset:320
	ds_load_b128 v[111:114], v1 offset:800
	s_wait_loadcnt_dscnt 0x901
	v_mul_f64_e32 v[2:3], v[101:102], v[8:9]
	v_mul_f64_e32 v[8:9], v[99:100], v[8:9]
	s_wait_loadcnt_dscnt 0x800
	v_mul_f64_e32 v[10:11], v[111:112], v[73:74]
	v_mul_f64_e32 v[73:74], v[113:114], v[73:74]
	s_delay_alu instid0(VALU_DEP_4) | instskip(NEXT) | instid1(VALU_DEP_4)
	v_fma_f64 v[2:3], v[99:100], v[6:7], -v[2:3]
	v_fma_f64 v[115:116], v[101:102], v[6:7], v[8:9]
	ds_load_b128 v[6:9], v1 offset:816
	ds_load_b128 v[99:102], v1 offset:832
	v_fma_f64 v[10:11], v[113:114], v[71:72], v[10:11]
	v_fma_f64 v[71:72], v[111:112], v[71:72], -v[73:74]
	s_wait_loadcnt_dscnt 0x701
	v_mul_f64_e32 v[117:118], v[6:7], v[77:78]
	v_mul_f64_e32 v[77:78], v[8:9], v[77:78]
	s_wait_loadcnt_dscnt 0x600
	v_mul_f64_e32 v[111:112], v[99:100], v[81:82]
	v_mul_f64_e32 v[81:82], v[101:102], v[81:82]
	v_add_f64_e32 v[2:3], 0, v[2:3]
	v_add_f64_e32 v[73:74], 0, v[115:116]
	v_fma_f64 v[113:114], v[8:9], v[75:76], v[117:118]
	v_fma_f64 v[75:76], v[6:7], v[75:76], -v[77:78]
	v_fma_f64 v[101:102], v[101:102], v[79:80], v[111:112]
	v_fma_f64 v[79:80], v[99:100], v[79:80], -v[81:82]
	v_add_f64_e32 v[2:3], v[2:3], v[71:72]
	v_add_f64_e32 v[10:11], v[73:74], v[10:11]
	ds_load_b128 v[6:9], v1 offset:848
	ds_load_b128 v[71:74], v1 offset:864
	s_wait_loadcnt_dscnt 0x501
	v_mul_f64_e32 v[77:78], v[6:7], v[85:86]
	v_mul_f64_e32 v[85:86], v[8:9], v[85:86]
	s_wait_loadcnt_dscnt 0x400
	v_mul_f64_e32 v[81:82], v[71:72], v[89:90]
	v_mul_f64_e32 v[89:90], v[73:74], v[89:90]
	v_add_f64_e32 v[2:3], v[2:3], v[75:76]
	v_add_f64_e32 v[10:11], v[10:11], v[113:114]
	v_fma_f64 v[99:100], v[8:9], v[83:84], v[77:78]
	v_fma_f64 v[83:84], v[6:7], v[83:84], -v[85:86]
	ds_load_b128 v[6:9], v1 offset:880
	ds_load_b128 v[75:78], v1 offset:896
	v_fma_f64 v[73:74], v[73:74], v[87:88], v[81:82]
	v_fma_f64 v[71:72], v[71:72], v[87:88], -v[89:90]
	v_add_f64_e32 v[2:3], v[2:3], v[79:80]
	v_add_f64_e32 v[10:11], v[10:11], v[101:102]
	s_wait_loadcnt_dscnt 0x301
	v_mul_f64_e32 v[79:80], v[6:7], v[93:94]
	v_mul_f64_e32 v[85:86], v[8:9], v[93:94]
	s_wait_loadcnt_dscnt 0x200
	v_mul_f64_e32 v[81:82], v[75:76], v[97:98]
	v_add_f64_e32 v[2:3], v[2:3], v[83:84]
	v_add_f64_e32 v[10:11], v[10:11], v[99:100]
	v_mul_f64_e32 v[83:84], v[77:78], v[97:98]
	v_fma_f64 v[79:80], v[8:9], v[91:92], v[79:80]
	v_fma_f64 v[85:86], v[6:7], v[91:92], -v[85:86]
	ds_load_b128 v[6:9], v1 offset:912
	v_fma_f64 v[77:78], v[77:78], v[95:96], v[81:82]
	v_add_f64_e32 v[2:3], v[2:3], v[71:72]
	v_add_f64_e32 v[10:11], v[10:11], v[73:74]
	s_wait_loadcnt_dscnt 0x100
	v_mul_f64_e32 v[71:72], v[6:7], v[105:106]
	v_mul_f64_e32 v[73:74], v[8:9], v[105:106]
	v_fma_f64 v[75:76], v[75:76], v[95:96], -v[83:84]
	v_add_f64_e32 v[2:3], v[2:3], v[85:86]
	v_add_f64_e32 v[10:11], v[10:11], v[79:80]
	v_fma_f64 v[8:9], v[8:9], v[103:104], v[71:72]
	v_fma_f64 v[6:7], v[6:7], v[103:104], -v[73:74]
	s_delay_alu instid0(VALU_DEP_4) | instskip(NEXT) | instid1(VALU_DEP_4)
	v_add_f64_e32 v[2:3], v[2:3], v[75:76]
	v_add_f64_e32 v[10:11], v[10:11], v[77:78]
	s_delay_alu instid0(VALU_DEP_2) | instskip(NEXT) | instid1(VALU_DEP_2)
	v_add_f64_e32 v[2:3], v[2:3], v[6:7]
	v_add_f64_e32 v[8:9], v[10:11], v[8:9]
	s_wait_loadcnt 0x0
	s_delay_alu instid0(VALU_DEP_2) | instskip(NEXT) | instid1(VALU_DEP_2)
	v_add_f64_e64 v[6:7], v[107:108], -v[2:3]
	v_add_f64_e64 v[8:9], v[109:110], -v[8:9]
	scratch_store_b128 off, v[6:9], off offset:320
	v_cmpx_lt_u32_e32 18, v0
	s_cbranch_execz .LBB28_151
; %bb.150:
	scratch_load_b128 v[6:9], off, s29
	v_dual_mov_b32 v2, v1 :: v_dual_mov_b32 v3, v1
	v_mov_b32_e32 v4, v1
	scratch_store_b128 off, v[1:4], off offset:304
	s_wait_loadcnt 0x0
	ds_store_b128 v5, v[6:9]
.LBB28_151:
	s_wait_alu 0xfffe
	s_or_b32 exec_lo, exec_lo, s0
	s_wait_storecnt_dscnt 0x0
	s_barrier_signal -1
	s_barrier_wait -1
	global_inv scope:SCOPE_SE
	s_clause 0x7
	scratch_load_b128 v[6:9], off, off offset:320
	scratch_load_b128 v[71:74], off, off offset:336
	;; [unrolled: 1-line block ×8, first 2 shown]
	ds_load_b128 v[99:102], v1 offset:768
	s_clause 0x1
	scratch_load_b128 v[103:106], off, off offset:448
	scratch_load_b128 v[107:110], off, off offset:464
	s_mov_b32 s0, exec_lo
	s_wait_loadcnt_dscnt 0x900
	v_mul_f64_e32 v[2:3], v[101:102], v[8:9]
	v_mul_f64_e32 v[111:112], v[99:100], v[8:9]
	ds_load_b128 v[8:11], v1 offset:784
	v_fma_f64 v[2:3], v[99:100], v[6:7], -v[2:3]
	v_fma_f64 v[6:7], v[101:102], v[6:7], v[111:112]
	ds_load_b128 v[99:102], v1 offset:800
	s_wait_loadcnt_dscnt 0x801
	v_mul_f64_e32 v[113:114], v[8:9], v[73:74]
	v_mul_f64_e32 v[73:74], v[10:11], v[73:74]
	s_wait_loadcnt_dscnt 0x700
	v_mul_f64_e32 v[111:112], v[99:100], v[77:78]
	v_mul_f64_e32 v[77:78], v[101:102], v[77:78]
	v_add_f64_e32 v[2:3], 0, v[2:3]
	v_fma_f64 v[10:11], v[10:11], v[71:72], v[113:114]
	v_fma_f64 v[71:72], v[8:9], v[71:72], -v[73:74]
	v_add_f64_e32 v[73:74], 0, v[6:7]
	ds_load_b128 v[6:9], v1 offset:816
	v_fma_f64 v[101:102], v[101:102], v[75:76], v[111:112]
	v_fma_f64 v[99:100], v[99:100], v[75:76], -v[77:78]
	scratch_load_b128 v[75:78], off, off offset:304
	v_add_f64_e32 v[2:3], v[2:3], v[71:72]
	v_add_f64_e32 v[10:11], v[73:74], v[10:11]
	ds_load_b128 v[71:74], v1 offset:832
	s_wait_loadcnt_dscnt 0x701
	v_mul_f64_e32 v[113:114], v[6:7], v[81:82]
	v_mul_f64_e32 v[81:82], v[8:9], v[81:82]
	s_wait_loadcnt_dscnt 0x600
	v_mul_f64_e32 v[111:112], v[71:72], v[85:86]
	v_mul_f64_e32 v[85:86], v[73:74], v[85:86]
	v_add_f64_e32 v[2:3], v[2:3], v[99:100]
	v_add_f64_e32 v[10:11], v[10:11], v[101:102]
	v_fma_f64 v[113:114], v[8:9], v[79:80], v[113:114]
	v_fma_f64 v[79:80], v[6:7], v[79:80], -v[81:82]
	ds_load_b128 v[6:9], v1 offset:848
	v_fma_f64 v[99:100], v[73:74], v[83:84], v[111:112]
	v_fma_f64 v[83:84], v[71:72], v[83:84], -v[85:86]
	ds_load_b128 v[71:74], v1 offset:864
	s_wait_loadcnt_dscnt 0x501
	v_mul_f64_e32 v[81:82], v[6:7], v[89:90]
	v_mul_f64_e32 v[89:90], v[8:9], v[89:90]
	v_add_f64_e32 v[10:11], v[10:11], v[113:114]
	v_add_f64_e32 v[2:3], v[2:3], v[79:80]
	s_wait_loadcnt_dscnt 0x400
	v_mul_f64_e32 v[79:80], v[71:72], v[93:94]
	v_mul_f64_e32 v[85:86], v[73:74], v[93:94]
	v_fma_f64 v[81:82], v[8:9], v[87:88], v[81:82]
	v_fma_f64 v[87:88], v[6:7], v[87:88], -v[89:90]
	ds_load_b128 v[6:9], v1 offset:880
	v_add_f64_e32 v[10:11], v[10:11], v[99:100]
	v_add_f64_e32 v[2:3], v[2:3], v[83:84]
	v_fma_f64 v[79:80], v[73:74], v[91:92], v[79:80]
	v_fma_f64 v[85:86], v[71:72], v[91:92], -v[85:86]
	ds_load_b128 v[71:74], v1 offset:896
	s_wait_loadcnt_dscnt 0x301
	v_mul_f64_e32 v[83:84], v[6:7], v[97:98]
	v_mul_f64_e32 v[89:90], v[8:9], v[97:98]
	v_add_f64_e32 v[10:11], v[10:11], v[81:82]
	v_add_f64_e32 v[2:3], v[2:3], v[87:88]
	s_wait_loadcnt_dscnt 0x200
	v_mul_f64_e32 v[81:82], v[71:72], v[105:106]
	v_mul_f64_e32 v[87:88], v[73:74], v[105:106]
	v_fma_f64 v[8:9], v[8:9], v[95:96], v[83:84]
	v_fma_f64 v[6:7], v[6:7], v[95:96], -v[89:90]
	v_add_f64_e32 v[10:11], v[10:11], v[79:80]
	v_add_f64_e32 v[83:84], v[2:3], v[85:86]
	ds_load_b128 v[1:4], v1 offset:912
	v_fma_f64 v[73:74], v[73:74], v[103:104], v[81:82]
	v_fma_f64 v[71:72], v[71:72], v[103:104], -v[87:88]
	s_wait_loadcnt_dscnt 0x100
	v_mul_f64_e32 v[79:80], v[1:2], v[109:110]
	v_mul_f64_e32 v[85:86], v[3:4], v[109:110]
	v_add_f64_e32 v[8:9], v[10:11], v[8:9]
	v_add_f64_e32 v[6:7], v[83:84], v[6:7]
	s_delay_alu instid0(VALU_DEP_4) | instskip(NEXT) | instid1(VALU_DEP_4)
	v_fma_f64 v[3:4], v[3:4], v[107:108], v[79:80]
	v_fma_f64 v[1:2], v[1:2], v[107:108], -v[85:86]
	s_delay_alu instid0(VALU_DEP_4) | instskip(NEXT) | instid1(VALU_DEP_4)
	v_add_f64_e32 v[8:9], v[8:9], v[73:74]
	v_add_f64_e32 v[6:7], v[6:7], v[71:72]
	s_delay_alu instid0(VALU_DEP_2) | instskip(NEXT) | instid1(VALU_DEP_2)
	v_add_f64_e32 v[3:4], v[8:9], v[3:4]
	v_add_f64_e32 v[1:2], v[6:7], v[1:2]
	s_wait_loadcnt 0x0
	s_delay_alu instid0(VALU_DEP_2) | instskip(NEXT) | instid1(VALU_DEP_2)
	v_add_f64_e64 v[3:4], v[77:78], -v[3:4]
	v_add_f64_e64 v[1:2], v[75:76], -v[1:2]
	scratch_store_b128 off, v[1:4], off offset:304
	v_cmpx_lt_u32_e32 17, v0
	s_cbranch_execz .LBB28_153
; %bb.152:
	scratch_load_b128 v[1:4], off, s23
	v_mov_b32_e32 v6, 0
	s_delay_alu instid0(VALU_DEP_1)
	v_dual_mov_b32 v7, v6 :: v_dual_mov_b32 v8, v6
	v_mov_b32_e32 v9, v6
	scratch_store_b128 off, v[6:9], off offset:288
	s_wait_loadcnt 0x0
	ds_store_b128 v5, v[1:4]
.LBB28_153:
	s_wait_alu 0xfffe
	s_or_b32 exec_lo, exec_lo, s0
	s_wait_storecnt_dscnt 0x0
	s_barrier_signal -1
	s_barrier_wait -1
	global_inv scope:SCOPE_SE
	s_clause 0x7
	scratch_load_b128 v[6:9], off, off offset:304
	scratch_load_b128 v[71:74], off, off offset:320
	;; [unrolled: 1-line block ×8, first 2 shown]
	v_mov_b32_e32 v1, 0
	s_clause 0x1
	scratch_load_b128 v[103:106], off, off offset:432
	scratch_load_b128 v[107:110], off, off offset:448
	s_mov_b32 s0, exec_lo
	ds_load_b128 v[99:102], v1 offset:752
	s_wait_loadcnt_dscnt 0x900
	v_mul_f64_e32 v[2:3], v[101:102], v[8:9]
	v_mul_f64_e32 v[111:112], v[99:100], v[8:9]
	ds_load_b128 v[8:11], v1 offset:768
	v_fma_f64 v[2:3], v[99:100], v[6:7], -v[2:3]
	v_fma_f64 v[6:7], v[101:102], v[6:7], v[111:112]
	ds_load_b128 v[99:102], v1 offset:784
	s_wait_loadcnt_dscnt 0x801
	v_mul_f64_e32 v[115:116], v[8:9], v[73:74]
	v_mul_f64_e32 v[73:74], v[10:11], v[73:74]
	scratch_load_b128 v[111:114], off, off offset:464
	s_wait_loadcnt_dscnt 0x800
	v_mul_f64_e32 v[117:118], v[99:100], v[77:78]
	v_mul_f64_e32 v[77:78], v[101:102], v[77:78]
	v_add_f64_e32 v[2:3], 0, v[2:3]
	v_fma_f64 v[10:11], v[10:11], v[71:72], v[115:116]
	v_fma_f64 v[71:72], v[8:9], v[71:72], -v[73:74]
	v_add_f64_e32 v[73:74], 0, v[6:7]
	ds_load_b128 v[6:9], v1 offset:800
	v_fma_f64 v[101:102], v[101:102], v[75:76], v[117:118]
	v_fma_f64 v[75:76], v[99:100], v[75:76], -v[77:78]
	v_add_f64_e32 v[2:3], v[2:3], v[71:72]
	v_add_f64_e32 v[10:11], v[73:74], v[10:11]
	ds_load_b128 v[71:74], v1 offset:816
	s_wait_loadcnt_dscnt 0x701
	v_mul_f64_e32 v[115:116], v[6:7], v[81:82]
	v_mul_f64_e32 v[81:82], v[8:9], v[81:82]
	s_wait_loadcnt_dscnt 0x600
	v_mul_f64_e32 v[99:100], v[71:72], v[85:86]
	v_mul_f64_e32 v[85:86], v[73:74], v[85:86]
	v_add_f64_e32 v[2:3], v[2:3], v[75:76]
	v_add_f64_e32 v[10:11], v[10:11], v[101:102]
	scratch_load_b128 v[75:78], off, off offset:288
	v_fma_f64 v[115:116], v[8:9], v[79:80], v[115:116]
	v_fma_f64 v[79:80], v[6:7], v[79:80], -v[81:82]
	ds_load_b128 v[6:9], v1 offset:832
	v_fma_f64 v[99:100], v[73:74], v[83:84], v[99:100]
	v_fma_f64 v[83:84], v[71:72], v[83:84], -v[85:86]
	ds_load_b128 v[71:74], v1 offset:848
	s_wait_loadcnt_dscnt 0x601
	v_mul_f64_e32 v[81:82], v[6:7], v[89:90]
	v_mul_f64_e32 v[89:90], v[8:9], v[89:90]
	v_add_f64_e32 v[10:11], v[10:11], v[115:116]
	v_add_f64_e32 v[2:3], v[2:3], v[79:80]
	s_wait_loadcnt_dscnt 0x500
	v_mul_f64_e32 v[79:80], v[71:72], v[93:94]
	v_mul_f64_e32 v[85:86], v[73:74], v[93:94]
	v_fma_f64 v[81:82], v[8:9], v[87:88], v[81:82]
	v_fma_f64 v[87:88], v[6:7], v[87:88], -v[89:90]
	ds_load_b128 v[6:9], v1 offset:864
	v_add_f64_e32 v[10:11], v[10:11], v[99:100]
	v_add_f64_e32 v[2:3], v[2:3], v[83:84]
	v_fma_f64 v[79:80], v[73:74], v[91:92], v[79:80]
	v_fma_f64 v[85:86], v[71:72], v[91:92], -v[85:86]
	ds_load_b128 v[71:74], v1 offset:880
	s_wait_loadcnt_dscnt 0x401
	v_mul_f64_e32 v[83:84], v[6:7], v[97:98]
	v_mul_f64_e32 v[89:90], v[8:9], v[97:98]
	v_add_f64_e32 v[10:11], v[10:11], v[81:82]
	v_add_f64_e32 v[2:3], v[2:3], v[87:88]
	s_wait_loadcnt_dscnt 0x300
	v_mul_f64_e32 v[81:82], v[71:72], v[105:106]
	v_mul_f64_e32 v[87:88], v[73:74], v[105:106]
	v_fma_f64 v[83:84], v[8:9], v[95:96], v[83:84]
	v_fma_f64 v[89:90], v[6:7], v[95:96], -v[89:90]
	ds_load_b128 v[6:9], v1 offset:896
	v_add_f64_e32 v[10:11], v[10:11], v[79:80]
	v_add_f64_e32 v[2:3], v[2:3], v[85:86]
	v_fma_f64 v[81:82], v[73:74], v[103:104], v[81:82]
	v_fma_f64 v[87:88], v[71:72], v[103:104], -v[87:88]
	ds_load_b128 v[71:74], v1 offset:912
	s_wait_loadcnt_dscnt 0x201
	v_mul_f64_e32 v[79:80], v[6:7], v[109:110]
	v_mul_f64_e32 v[85:86], v[8:9], v[109:110]
	v_add_f64_e32 v[10:11], v[10:11], v[83:84]
	v_add_f64_e32 v[2:3], v[2:3], v[89:90]
	s_delay_alu instid0(VALU_DEP_4) | instskip(NEXT) | instid1(VALU_DEP_4)
	v_fma_f64 v[8:9], v[8:9], v[107:108], v[79:80]
	v_fma_f64 v[6:7], v[6:7], v[107:108], -v[85:86]
	s_wait_loadcnt_dscnt 0x100
	v_mul_f64_e32 v[83:84], v[71:72], v[113:114]
	v_mul_f64_e32 v[89:90], v[73:74], v[113:114]
	v_add_f64_e32 v[10:11], v[10:11], v[81:82]
	v_add_f64_e32 v[2:3], v[2:3], v[87:88]
	s_delay_alu instid0(VALU_DEP_4) | instskip(NEXT) | instid1(VALU_DEP_4)
	v_fma_f64 v[73:74], v[73:74], v[111:112], v[83:84]
	v_fma_f64 v[71:72], v[71:72], v[111:112], -v[89:90]
	s_delay_alu instid0(VALU_DEP_3) | instskip(SKIP_1) | instid1(VALU_DEP_2)
	v_add_f64_e32 v[2:3], v[2:3], v[6:7]
	v_add_f64_e32 v[6:7], v[10:11], v[8:9]
	;; [unrolled: 1-line block ×3, first 2 shown]
	s_delay_alu instid0(VALU_DEP_2) | instskip(SKIP_1) | instid1(VALU_DEP_2)
	v_add_f64_e32 v[8:9], v[6:7], v[73:74]
	s_wait_loadcnt 0x0
	v_add_f64_e64 v[6:7], v[75:76], -v[2:3]
	s_delay_alu instid0(VALU_DEP_2)
	v_add_f64_e64 v[8:9], v[77:78], -v[8:9]
	scratch_store_b128 off, v[6:9], off offset:288
	v_cmpx_lt_u32_e32 16, v0
	s_cbranch_execz .LBB28_155
; %bb.154:
	scratch_load_b128 v[6:9], off, s28
	v_dual_mov_b32 v2, v1 :: v_dual_mov_b32 v3, v1
	v_mov_b32_e32 v4, v1
	scratch_store_b128 off, v[1:4], off offset:272
	s_wait_loadcnt 0x0
	ds_store_b128 v5, v[6:9]
.LBB28_155:
	s_wait_alu 0xfffe
	s_or_b32 exec_lo, exec_lo, s0
	s_wait_storecnt_dscnt 0x0
	s_barrier_signal -1
	s_barrier_wait -1
	global_inv scope:SCOPE_SE
	s_clause 0x7
	scratch_load_b128 v[6:9], off, off offset:288
	scratch_load_b128 v[71:74], off, off offset:304
	;; [unrolled: 1-line block ×8, first 2 shown]
	ds_load_b128 v[99:102], v1 offset:736
	s_clause 0x1
	scratch_load_b128 v[103:106], off, off offset:416
	scratch_load_b128 v[107:110], off, off offset:432
	s_mov_b32 s0, exec_lo
	s_wait_loadcnt_dscnt 0x900
	v_mul_f64_e32 v[2:3], v[101:102], v[8:9]
	v_mul_f64_e32 v[111:112], v[99:100], v[8:9]
	ds_load_b128 v[8:11], v1 offset:752
	v_fma_f64 v[2:3], v[99:100], v[6:7], -v[2:3]
	v_fma_f64 v[6:7], v[101:102], v[6:7], v[111:112]
	ds_load_b128 v[99:102], v1 offset:768
	s_wait_loadcnt_dscnt 0x801
	v_mul_f64_e32 v[115:116], v[8:9], v[73:74]
	v_mul_f64_e32 v[73:74], v[10:11], v[73:74]
	scratch_load_b128 v[111:114], off, off offset:448
	s_wait_loadcnt_dscnt 0x800
	v_mul_f64_e32 v[117:118], v[99:100], v[77:78]
	v_mul_f64_e32 v[77:78], v[101:102], v[77:78]
	v_add_f64_e32 v[2:3], 0, v[2:3]
	v_add_f64_e32 v[119:120], 0, v[6:7]
	v_fma_f64 v[10:11], v[10:11], v[71:72], v[115:116]
	v_fma_f64 v[115:116], v[8:9], v[71:72], -v[73:74]
	ds_load_b128 v[6:9], v1 offset:784
	scratch_load_b128 v[71:74], off, off offset:464
	v_fma_f64 v[101:102], v[101:102], v[75:76], v[117:118]
	v_fma_f64 v[99:100], v[99:100], v[75:76], -v[77:78]
	ds_load_b128 v[75:78], v1 offset:800
	s_wait_loadcnt_dscnt 0x801
	v_mul_f64_e32 v[121:122], v[6:7], v[81:82]
	v_mul_f64_e32 v[81:82], v[8:9], v[81:82]
	v_add_f64_e32 v[10:11], v[119:120], v[10:11]
	v_add_f64_e32 v[2:3], v[2:3], v[115:116]
	s_wait_loadcnt_dscnt 0x700
	v_mul_f64_e32 v[115:116], v[75:76], v[85:86]
	v_mul_f64_e32 v[85:86], v[77:78], v[85:86]
	v_fma_f64 v[117:118], v[8:9], v[79:80], v[121:122]
	v_fma_f64 v[79:80], v[6:7], v[79:80], -v[81:82]
	ds_load_b128 v[6:9], v1 offset:816
	v_add_f64_e32 v[10:11], v[10:11], v[101:102]
	v_add_f64_e32 v[2:3], v[2:3], v[99:100]
	v_fma_f64 v[101:102], v[77:78], v[83:84], v[115:116]
	v_fma_f64 v[83:84], v[75:76], v[83:84], -v[85:86]
	ds_load_b128 v[75:78], v1 offset:832
	s_wait_loadcnt_dscnt 0x601
	v_mul_f64_e32 v[99:100], v[6:7], v[89:90]
	v_mul_f64_e32 v[89:90], v[8:9], v[89:90]
	s_wait_loadcnt_dscnt 0x500
	v_mul_f64_e32 v[85:86], v[75:76], v[93:94]
	v_mul_f64_e32 v[93:94], v[77:78], v[93:94]
	v_add_f64_e32 v[10:11], v[10:11], v[117:118]
	v_add_f64_e32 v[2:3], v[2:3], v[79:80]
	scratch_load_b128 v[79:82], off, off offset:272
	v_fma_f64 v[99:100], v[8:9], v[87:88], v[99:100]
	v_fma_f64 v[87:88], v[6:7], v[87:88], -v[89:90]
	ds_load_b128 v[6:9], v1 offset:848
	v_fma_f64 v[85:86], v[77:78], v[91:92], v[85:86]
	v_fma_f64 v[91:92], v[75:76], v[91:92], -v[93:94]
	ds_load_b128 v[75:78], v1 offset:864
	s_wait_loadcnt_dscnt 0x501
	v_mul_f64_e32 v[89:90], v[8:9], v[97:98]
	v_add_f64_e32 v[10:11], v[10:11], v[101:102]
	v_add_f64_e32 v[2:3], v[2:3], v[83:84]
	v_mul_f64_e32 v[83:84], v[6:7], v[97:98]
	s_wait_loadcnt_dscnt 0x400
	v_mul_f64_e32 v[93:94], v[77:78], v[105:106]
	v_fma_f64 v[89:90], v[6:7], v[95:96], -v[89:90]
	v_add_f64_e32 v[10:11], v[10:11], v[99:100]
	v_add_f64_e32 v[2:3], v[2:3], v[87:88]
	v_mul_f64_e32 v[87:88], v[75:76], v[105:106]
	v_fma_f64 v[83:84], v[8:9], v[95:96], v[83:84]
	ds_load_b128 v[6:9], v1 offset:880
	v_fma_f64 v[93:94], v[75:76], v[103:104], -v[93:94]
	v_add_f64_e32 v[10:11], v[10:11], v[85:86]
	v_add_f64_e32 v[2:3], v[2:3], v[91:92]
	v_fma_f64 v[87:88], v[77:78], v[103:104], v[87:88]
	ds_load_b128 v[75:78], v1 offset:896
	s_wait_loadcnt_dscnt 0x301
	v_mul_f64_e32 v[85:86], v[6:7], v[109:110]
	v_mul_f64_e32 v[91:92], v[8:9], v[109:110]
	v_add_f64_e32 v[10:11], v[10:11], v[83:84]
	v_add_f64_e32 v[2:3], v[2:3], v[89:90]
	s_delay_alu instid0(VALU_DEP_4) | instskip(NEXT) | instid1(VALU_DEP_4)
	v_fma_f64 v[8:9], v[8:9], v[107:108], v[85:86]
	v_fma_f64 v[6:7], v[6:7], v[107:108], -v[91:92]
	s_wait_loadcnt_dscnt 0x200
	v_mul_f64_e32 v[83:84], v[75:76], v[113:114]
	v_mul_f64_e32 v[89:90], v[77:78], v[113:114]
	v_add_f64_e32 v[10:11], v[10:11], v[87:88]
	v_add_f64_e32 v[85:86], v[2:3], v[93:94]
	ds_load_b128 v[1:4], v1 offset:912
	v_fma_f64 v[77:78], v[77:78], v[111:112], v[83:84]
	v_fma_f64 v[75:76], v[75:76], v[111:112], -v[89:90]
	s_wait_loadcnt_dscnt 0x100
	v_mul_f64_e32 v[87:88], v[1:2], v[73:74]
	v_mul_f64_e32 v[73:74], v[3:4], v[73:74]
	v_add_f64_e32 v[8:9], v[10:11], v[8:9]
	v_add_f64_e32 v[6:7], v[85:86], v[6:7]
	s_delay_alu instid0(VALU_DEP_4) | instskip(NEXT) | instid1(VALU_DEP_4)
	v_fma_f64 v[3:4], v[3:4], v[71:72], v[87:88]
	v_fma_f64 v[1:2], v[1:2], v[71:72], -v[73:74]
	s_delay_alu instid0(VALU_DEP_4) | instskip(NEXT) | instid1(VALU_DEP_4)
	v_add_f64_e32 v[8:9], v[8:9], v[77:78]
	v_add_f64_e32 v[6:7], v[6:7], v[75:76]
	s_delay_alu instid0(VALU_DEP_2) | instskip(NEXT) | instid1(VALU_DEP_2)
	v_add_f64_e32 v[3:4], v[8:9], v[3:4]
	v_add_f64_e32 v[1:2], v[6:7], v[1:2]
	s_wait_loadcnt 0x0
	s_delay_alu instid0(VALU_DEP_2) | instskip(NEXT) | instid1(VALU_DEP_2)
	v_add_f64_e64 v[3:4], v[81:82], -v[3:4]
	v_add_f64_e64 v[1:2], v[79:80], -v[1:2]
	scratch_store_b128 off, v[1:4], off offset:272
	v_cmpx_lt_u32_e32 15, v0
	s_cbranch_execz .LBB28_157
; %bb.156:
	scratch_load_b128 v[1:4], off, s22
	v_mov_b32_e32 v6, 0
	s_delay_alu instid0(VALU_DEP_1)
	v_dual_mov_b32 v7, v6 :: v_dual_mov_b32 v8, v6
	v_mov_b32_e32 v9, v6
	scratch_store_b128 off, v[6:9], off offset:256
	s_wait_loadcnt 0x0
	ds_store_b128 v5, v[1:4]
.LBB28_157:
	s_wait_alu 0xfffe
	s_or_b32 exec_lo, exec_lo, s0
	s_wait_storecnt_dscnt 0x0
	s_barrier_signal -1
	s_barrier_wait -1
	global_inv scope:SCOPE_SE
	s_clause 0x7
	scratch_load_b128 v[6:9], off, off offset:272
	scratch_load_b128 v[71:74], off, off offset:288
	;; [unrolled: 1-line block ×8, first 2 shown]
	v_mov_b32_e32 v1, 0
	s_mov_b32 s0, exec_lo
	ds_load_b128 v[99:102], v1 offset:720
	s_clause 0x1
	scratch_load_b128 v[103:106], off, off offset:400
	scratch_load_b128 v[107:110], off, off offset:256
	ds_load_b128 v[111:114], v1 offset:736
	ds_load_b128 v[119:122], v1 offset:768
	s_wait_loadcnt_dscnt 0x902
	v_mul_f64_e32 v[2:3], v[101:102], v[8:9]
	v_mul_f64_e32 v[115:116], v[99:100], v[8:9]
	scratch_load_b128 v[8:11], off, off offset:416
	v_fma_f64 v[2:3], v[99:100], v[6:7], -v[2:3]
	v_fma_f64 v[6:7], v[101:102], v[6:7], v[115:116]
	ds_load_b128 v[99:102], v1 offset:752
	s_wait_loadcnt_dscnt 0x902
	v_mul_f64_e32 v[123:124], v[111:112], v[73:74]
	v_mul_f64_e32 v[73:74], v[113:114], v[73:74]
	scratch_load_b128 v[115:118], off, off offset:432
	s_wait_loadcnt_dscnt 0x900
	v_mul_f64_e32 v[125:126], v[99:100], v[77:78]
	v_mul_f64_e32 v[77:78], v[101:102], v[77:78]
	v_add_f64_e32 v[2:3], 0, v[2:3]
	v_add_f64_e32 v[6:7], 0, v[6:7]
	v_fma_f64 v[113:114], v[113:114], v[71:72], v[123:124]
	v_fma_f64 v[111:112], v[111:112], v[71:72], -v[73:74]
	scratch_load_b128 v[71:74], off, off offset:448
	v_fma_f64 v[125:126], v[101:102], v[75:76], v[125:126]
	v_fma_f64 v[127:128], v[99:100], v[75:76], -v[77:78]
	ds_load_b128 v[75:78], v1 offset:784
	s_wait_loadcnt 0x9
	v_mul_f64_e32 v[123:124], v[119:120], v[81:82]
	v_mul_f64_e32 v[81:82], v[121:122], v[81:82]
	scratch_load_b128 v[99:102], off, off offset:464
	v_add_f64_e32 v[6:7], v[6:7], v[113:114]
	v_add_f64_e32 v[2:3], v[2:3], v[111:112]
	ds_load_b128 v[111:114], v1 offset:800
	s_wait_loadcnt_dscnt 0x901
	v_mul_f64_e32 v[129:130], v[75:76], v[85:86]
	v_mul_f64_e32 v[85:86], v[77:78], v[85:86]
	v_fma_f64 v[121:122], v[121:122], v[79:80], v[123:124]
	v_fma_f64 v[79:80], v[119:120], v[79:80], -v[81:82]
	s_wait_loadcnt_dscnt 0x800
	v_mul_f64_e32 v[119:120], v[111:112], v[89:90]
	v_mul_f64_e32 v[89:90], v[113:114], v[89:90]
	v_add_f64_e32 v[6:7], v[6:7], v[125:126]
	v_add_f64_e32 v[2:3], v[2:3], v[127:128]
	v_fma_f64 v[123:124], v[77:78], v[83:84], v[129:130]
	v_fma_f64 v[83:84], v[75:76], v[83:84], -v[85:86]
	v_fma_f64 v[113:114], v[113:114], v[87:88], v[119:120]
	v_fma_f64 v[87:88], v[111:112], v[87:88], -v[89:90]
	v_add_f64_e32 v[6:7], v[6:7], v[121:122]
	v_add_f64_e32 v[2:3], v[2:3], v[79:80]
	ds_load_b128 v[75:78], v1 offset:816
	ds_load_b128 v[79:82], v1 offset:832
	s_wait_loadcnt_dscnt 0x701
	v_mul_f64_e32 v[85:86], v[75:76], v[93:94]
	v_mul_f64_e32 v[93:94], v[77:78], v[93:94]
	s_wait_loadcnt_dscnt 0x600
	v_mul_f64_e32 v[89:90], v[79:80], v[97:98]
	v_mul_f64_e32 v[97:98], v[81:82], v[97:98]
	v_add_f64_e32 v[6:7], v[6:7], v[123:124]
	v_add_f64_e32 v[2:3], v[2:3], v[83:84]
	v_fma_f64 v[111:112], v[77:78], v[91:92], v[85:86]
	v_fma_f64 v[91:92], v[75:76], v[91:92], -v[93:94]
	ds_load_b128 v[75:78], v1 offset:848
	ds_load_b128 v[83:86], v1 offset:864
	v_fma_f64 v[81:82], v[81:82], v[95:96], v[89:90]
	v_fma_f64 v[79:80], v[79:80], v[95:96], -v[97:98]
	v_add_f64_e32 v[6:7], v[6:7], v[113:114]
	v_add_f64_e32 v[2:3], v[2:3], v[87:88]
	s_wait_loadcnt_dscnt 0x501
	v_mul_f64_e32 v[87:88], v[75:76], v[105:106]
	v_mul_f64_e32 v[93:94], v[77:78], v[105:106]
	s_delay_alu instid0(VALU_DEP_4) | instskip(NEXT) | instid1(VALU_DEP_4)
	v_add_f64_e32 v[6:7], v[6:7], v[111:112]
	v_add_f64_e32 v[2:3], v[2:3], v[91:92]
	s_delay_alu instid0(VALU_DEP_4) | instskip(NEXT) | instid1(VALU_DEP_4)
	v_fma_f64 v[87:88], v[77:78], v[103:104], v[87:88]
	v_fma_f64 v[91:92], v[75:76], v[103:104], -v[93:94]
	s_wait_loadcnt_dscnt 0x300
	v_mul_f64_e32 v[89:90], v[83:84], v[10:11]
	v_mul_f64_e32 v[10:11], v[85:86], v[10:11]
	v_add_f64_e32 v[6:7], v[6:7], v[81:82]
	v_add_f64_e32 v[2:3], v[2:3], v[79:80]
	ds_load_b128 v[75:78], v1 offset:880
	ds_load_b128 v[79:82], v1 offset:896
	v_fma_f64 v[85:86], v[85:86], v[8:9], v[89:90]
	v_fma_f64 v[8:9], v[83:84], v[8:9], -v[10:11]
	s_wait_loadcnt_dscnt 0x201
	v_mul_f64_e32 v[93:94], v[75:76], v[117:118]
	v_mul_f64_e32 v[95:96], v[77:78], v[117:118]
	v_add_f64_e32 v[6:7], v[6:7], v[87:88]
	v_add_f64_e32 v[2:3], v[2:3], v[91:92]
	s_wait_loadcnt_dscnt 0x100
	v_mul_f64_e32 v[10:11], v[79:80], v[73:74]
	v_mul_f64_e32 v[73:74], v[81:82], v[73:74]
	v_fma_f64 v[77:78], v[77:78], v[115:116], v[93:94]
	v_fma_f64 v[75:76], v[75:76], v[115:116], -v[95:96]
	v_add_f64_e32 v[83:84], v[6:7], v[85:86]
	v_add_f64_e32 v[2:3], v[2:3], v[8:9]
	ds_load_b128 v[6:9], v1 offset:912
	v_fma_f64 v[10:11], v[81:82], v[71:72], v[10:11]
	v_fma_f64 v[71:72], v[79:80], v[71:72], -v[73:74]
	s_wait_loadcnt_dscnt 0x0
	v_mul_f64_e32 v[85:86], v[6:7], v[101:102]
	v_mul_f64_e32 v[87:88], v[8:9], v[101:102]
	v_add_f64_e32 v[73:74], v[83:84], v[77:78]
	v_add_f64_e32 v[2:3], v[2:3], v[75:76]
	s_delay_alu instid0(VALU_DEP_4) | instskip(NEXT) | instid1(VALU_DEP_4)
	v_fma_f64 v[8:9], v[8:9], v[99:100], v[85:86]
	v_fma_f64 v[6:7], v[6:7], v[99:100], -v[87:88]
	s_delay_alu instid0(VALU_DEP_4) | instskip(NEXT) | instid1(VALU_DEP_4)
	v_add_f64_e32 v[10:11], v[73:74], v[10:11]
	v_add_f64_e32 v[2:3], v[2:3], v[71:72]
	s_delay_alu instid0(VALU_DEP_2) | instskip(NEXT) | instid1(VALU_DEP_2)
	v_add_f64_e32 v[8:9], v[10:11], v[8:9]
	v_add_f64_e32 v[2:3], v[2:3], v[6:7]
	s_delay_alu instid0(VALU_DEP_2) | instskip(NEXT) | instid1(VALU_DEP_2)
	v_add_f64_e64 v[8:9], v[109:110], -v[8:9]
	v_add_f64_e64 v[6:7], v[107:108], -v[2:3]
	scratch_store_b128 off, v[6:9], off offset:256
	v_cmpx_lt_u32_e32 14, v0
	s_cbranch_execz .LBB28_159
; %bb.158:
	scratch_load_b128 v[6:9], off, s27
	v_dual_mov_b32 v2, v1 :: v_dual_mov_b32 v3, v1
	v_mov_b32_e32 v4, v1
	scratch_store_b128 off, v[1:4], off offset:240
	s_wait_loadcnt 0x0
	ds_store_b128 v5, v[6:9]
.LBB28_159:
	s_wait_alu 0xfffe
	s_or_b32 exec_lo, exec_lo, s0
	s_wait_storecnt_dscnt 0x0
	s_barrier_signal -1
	s_barrier_wait -1
	global_inv scope:SCOPE_SE
	s_clause 0x8
	scratch_load_b128 v[6:9], off, off offset:256
	scratch_load_b128 v[71:74], off, off offset:272
	;; [unrolled: 1-line block ×9, first 2 shown]
	ds_load_b128 v[103:106], v1 offset:704
	ds_load_b128 v[107:110], v1 offset:720
	scratch_load_b128 v[111:114], off, off offset:240
	s_mov_b32 s0, exec_lo
	ds_load_b128 v[119:122], v1 offset:752
	s_wait_loadcnt_dscnt 0x902
	v_mul_f64_e32 v[2:3], v[105:106], v[8:9]
	v_mul_f64_e32 v[115:116], v[103:104], v[8:9]
	scratch_load_b128 v[8:11], off, off offset:400
	s_wait_loadcnt_dscnt 0x901
	v_mul_f64_e32 v[123:124], v[107:108], v[73:74]
	v_mul_f64_e32 v[73:74], v[109:110], v[73:74]
	v_fma_f64 v[2:3], v[103:104], v[6:7], -v[2:3]
	v_fma_f64 v[6:7], v[105:106], v[6:7], v[115:116]
	ds_load_b128 v[103:106], v1 offset:736
	scratch_load_b128 v[115:118], off, off offset:416
	v_fma_f64 v[109:110], v[109:110], v[71:72], v[123:124]
	v_fma_f64 v[107:108], v[107:108], v[71:72], -v[73:74]
	scratch_load_b128 v[71:74], off, off offset:432
	s_wait_loadcnt_dscnt 0x901
	v_mul_f64_e32 v[123:124], v[119:120], v[81:82]
	v_mul_f64_e32 v[81:82], v[121:122], v[81:82]
	s_wait_dscnt 0x0
	v_mul_f64_e32 v[125:126], v[103:104], v[77:78]
	v_mul_f64_e32 v[77:78], v[105:106], v[77:78]
	v_add_f64_e32 v[2:3], 0, v[2:3]
	v_add_f64_e32 v[6:7], 0, v[6:7]
	v_fma_f64 v[121:122], v[121:122], v[79:80], v[123:124]
	v_fma_f64 v[119:120], v[119:120], v[79:80], -v[81:82]
	scratch_load_b128 v[79:82], off, off offset:464
	v_fma_f64 v[125:126], v[105:106], v[75:76], v[125:126]
	v_fma_f64 v[127:128], v[103:104], v[75:76], -v[77:78]
	ds_load_b128 v[75:78], v1 offset:768
	scratch_load_b128 v[103:106], off, off offset:448
	v_add_f64_e32 v[2:3], v[2:3], v[107:108]
	v_add_f64_e32 v[6:7], v[6:7], v[109:110]
	ds_load_b128 v[107:110], v1 offset:784
	s_wait_loadcnt_dscnt 0xa01
	v_mul_f64_e32 v[129:130], v[75:76], v[85:86]
	v_mul_f64_e32 v[85:86], v[77:78], v[85:86]
	s_wait_loadcnt_dscnt 0x900
	v_mul_f64_e32 v[123:124], v[107:108], v[89:90]
	v_mul_f64_e32 v[89:90], v[109:110], v[89:90]
	v_add_f64_e32 v[2:3], v[2:3], v[127:128]
	v_add_f64_e32 v[6:7], v[6:7], v[125:126]
	v_fma_f64 v[125:126], v[77:78], v[83:84], v[129:130]
	v_fma_f64 v[127:128], v[75:76], v[83:84], -v[85:86]
	ds_load_b128 v[75:78], v1 offset:800
	ds_load_b128 v[83:86], v1 offset:816
	v_fma_f64 v[109:110], v[109:110], v[87:88], v[123:124]
	v_fma_f64 v[87:88], v[107:108], v[87:88], -v[89:90]
	s_wait_loadcnt_dscnt 0x700
	v_mul_f64_e32 v[107:108], v[83:84], v[97:98]
	v_mul_f64_e32 v[97:98], v[85:86], v[97:98]
	v_add_f64_e32 v[2:3], v[2:3], v[119:120]
	v_add_f64_e32 v[6:7], v[6:7], v[121:122]
	v_mul_f64_e32 v[119:120], v[75:76], v[93:94]
	v_mul_f64_e32 v[93:94], v[77:78], v[93:94]
	v_fma_f64 v[85:86], v[85:86], v[95:96], v[107:108]
	v_fma_f64 v[83:84], v[83:84], v[95:96], -v[97:98]
	v_add_f64_e32 v[2:3], v[2:3], v[127:128]
	v_add_f64_e32 v[6:7], v[6:7], v[125:126]
	v_fma_f64 v[119:120], v[77:78], v[91:92], v[119:120]
	v_fma_f64 v[91:92], v[75:76], v[91:92], -v[93:94]
	s_delay_alu instid0(VALU_DEP_4) | instskip(NEXT) | instid1(VALU_DEP_4)
	v_add_f64_e32 v[2:3], v[2:3], v[87:88]
	v_add_f64_e32 v[6:7], v[6:7], v[109:110]
	ds_load_b128 v[75:78], v1 offset:832
	ds_load_b128 v[87:90], v1 offset:848
	s_wait_loadcnt_dscnt 0x601
	v_mul_f64_e32 v[93:94], v[75:76], v[101:102]
	v_mul_f64_e32 v[101:102], v[77:78], v[101:102]
	v_add_f64_e32 v[2:3], v[2:3], v[91:92]
	v_add_f64_e32 v[6:7], v[6:7], v[119:120]
	s_wait_loadcnt_dscnt 0x400
	v_mul_f64_e32 v[91:92], v[87:88], v[10:11]
	v_mul_f64_e32 v[10:11], v[89:90], v[10:11]
	v_fma_f64 v[93:94], v[77:78], v[99:100], v[93:94]
	v_fma_f64 v[95:96], v[75:76], v[99:100], -v[101:102]
	v_add_f64_e32 v[2:3], v[2:3], v[83:84]
	v_add_f64_e32 v[6:7], v[6:7], v[85:86]
	ds_load_b128 v[75:78], v1 offset:864
	ds_load_b128 v[83:86], v1 offset:880
	v_fma_f64 v[89:90], v[89:90], v[8:9], v[91:92]
	v_fma_f64 v[8:9], v[87:88], v[8:9], -v[10:11]
	s_wait_loadcnt_dscnt 0x301
	v_mul_f64_e32 v[97:98], v[75:76], v[117:118]
	v_mul_f64_e32 v[99:100], v[77:78], v[117:118]
	s_wait_loadcnt_dscnt 0x200
	v_mul_f64_e32 v[10:11], v[83:84], v[73:74]
	v_mul_f64_e32 v[73:74], v[85:86], v[73:74]
	v_add_f64_e32 v[2:3], v[2:3], v[95:96]
	v_add_f64_e32 v[6:7], v[6:7], v[93:94]
	v_fma_f64 v[77:78], v[77:78], v[115:116], v[97:98]
	v_fma_f64 v[75:76], v[75:76], v[115:116], -v[99:100]
	v_fma_f64 v[10:11], v[85:86], v[71:72], v[10:11]
	v_fma_f64 v[71:72], v[83:84], v[71:72], -v[73:74]
	v_add_f64_e32 v[87:88], v[2:3], v[8:9]
	v_add_f64_e32 v[89:90], v[6:7], v[89:90]
	ds_load_b128 v[6:9], v1 offset:896
	ds_load_b128 v[1:4], v1 offset:912
	s_wait_loadcnt_dscnt 0x1
	v_mul_f64_e32 v[91:92], v[6:7], v[105:106]
	v_mul_f64_e32 v[93:94], v[8:9], v[105:106]
	v_add_f64_e32 v[73:74], v[87:88], v[75:76]
	v_add_f64_e32 v[75:76], v[89:90], v[77:78]
	s_wait_dscnt 0x0
	v_mul_f64_e32 v[77:78], v[1:2], v[81:82]
	v_mul_f64_e32 v[81:82], v[3:4], v[81:82]
	v_fma_f64 v[8:9], v[8:9], v[103:104], v[91:92]
	v_fma_f64 v[6:7], v[6:7], v[103:104], -v[93:94]
	v_add_f64_e32 v[71:72], v[73:74], v[71:72]
	v_add_f64_e32 v[10:11], v[75:76], v[10:11]
	v_fma_f64 v[3:4], v[3:4], v[79:80], v[77:78]
	v_fma_f64 v[1:2], v[1:2], v[79:80], -v[81:82]
	s_delay_alu instid0(VALU_DEP_4) | instskip(NEXT) | instid1(VALU_DEP_4)
	v_add_f64_e32 v[6:7], v[71:72], v[6:7]
	v_add_f64_e32 v[8:9], v[10:11], v[8:9]
	s_delay_alu instid0(VALU_DEP_2) | instskip(NEXT) | instid1(VALU_DEP_2)
	v_add_f64_e32 v[1:2], v[6:7], v[1:2]
	v_add_f64_e32 v[3:4], v[8:9], v[3:4]
	s_delay_alu instid0(VALU_DEP_2) | instskip(NEXT) | instid1(VALU_DEP_2)
	v_add_f64_e64 v[1:2], v[111:112], -v[1:2]
	v_add_f64_e64 v[3:4], v[113:114], -v[3:4]
	scratch_store_b128 off, v[1:4], off offset:240
	v_cmpx_lt_u32_e32 13, v0
	s_cbranch_execz .LBB28_161
; %bb.160:
	scratch_load_b128 v[1:4], off, s21
	v_mov_b32_e32 v6, 0
	s_delay_alu instid0(VALU_DEP_1)
	v_dual_mov_b32 v7, v6 :: v_dual_mov_b32 v8, v6
	v_mov_b32_e32 v9, v6
	scratch_store_b128 off, v[6:9], off offset:224
	s_wait_loadcnt 0x0
	ds_store_b128 v5, v[1:4]
.LBB28_161:
	s_wait_alu 0xfffe
	s_or_b32 exec_lo, exec_lo, s0
	s_wait_storecnt_dscnt 0x0
	s_barrier_signal -1
	s_barrier_wait -1
	global_inv scope:SCOPE_SE
	s_clause 0x7
	scratch_load_b128 v[6:9], off, off offset:240
	scratch_load_b128 v[71:74], off, off offset:256
	;; [unrolled: 1-line block ×8, first 2 shown]
	v_mov_b32_e32 v1, 0
	s_mov_b32 s0, exec_lo
	ds_load_b128 v[99:102], v1 offset:688
	s_clause 0x1
	scratch_load_b128 v[103:106], off, off offset:368
	scratch_load_b128 v[107:110], off, off offset:224
	ds_load_b128 v[111:114], v1 offset:704
	ds_load_b128 v[119:122], v1 offset:736
	s_wait_loadcnt_dscnt 0x902
	v_mul_f64_e32 v[2:3], v[101:102], v[8:9]
	v_mul_f64_e32 v[115:116], v[99:100], v[8:9]
	scratch_load_b128 v[8:11], off, off offset:384
	v_fma_f64 v[2:3], v[99:100], v[6:7], -v[2:3]
	v_fma_f64 v[6:7], v[101:102], v[6:7], v[115:116]
	ds_load_b128 v[99:102], v1 offset:720
	s_wait_loadcnt_dscnt 0x902
	v_mul_f64_e32 v[123:124], v[111:112], v[73:74]
	v_mul_f64_e32 v[73:74], v[113:114], v[73:74]
	scratch_load_b128 v[115:118], off, off offset:400
	s_wait_loadcnt_dscnt 0x900
	v_mul_f64_e32 v[125:126], v[99:100], v[77:78]
	v_mul_f64_e32 v[77:78], v[101:102], v[77:78]
	v_add_f64_e32 v[2:3], 0, v[2:3]
	v_add_f64_e32 v[6:7], 0, v[6:7]
	v_fma_f64 v[113:114], v[113:114], v[71:72], v[123:124]
	v_fma_f64 v[111:112], v[111:112], v[71:72], -v[73:74]
	scratch_load_b128 v[71:74], off, off offset:416
	v_fma_f64 v[125:126], v[101:102], v[75:76], v[125:126]
	v_fma_f64 v[127:128], v[99:100], v[75:76], -v[77:78]
	ds_load_b128 v[75:78], v1 offset:752
	s_wait_loadcnt 0x9
	v_mul_f64_e32 v[123:124], v[119:120], v[81:82]
	v_mul_f64_e32 v[81:82], v[121:122], v[81:82]
	scratch_load_b128 v[99:102], off, off offset:432
	v_add_f64_e32 v[6:7], v[6:7], v[113:114]
	v_add_f64_e32 v[2:3], v[2:3], v[111:112]
	ds_load_b128 v[111:114], v1 offset:768
	s_wait_loadcnt_dscnt 0x901
	v_mul_f64_e32 v[129:130], v[75:76], v[85:86]
	v_mul_f64_e32 v[85:86], v[77:78], v[85:86]
	v_fma_f64 v[121:122], v[121:122], v[79:80], v[123:124]
	v_fma_f64 v[119:120], v[119:120], v[79:80], -v[81:82]
	scratch_load_b128 v[79:82], off, off offset:448
	v_add_f64_e32 v[6:7], v[6:7], v[125:126]
	v_add_f64_e32 v[2:3], v[2:3], v[127:128]
	v_fma_f64 v[125:126], v[77:78], v[83:84], v[129:130]
	v_fma_f64 v[127:128], v[75:76], v[83:84], -v[85:86]
	ds_load_b128 v[75:78], v1 offset:784
	s_wait_loadcnt_dscnt 0x901
	v_mul_f64_e32 v[123:124], v[111:112], v[89:90]
	v_mul_f64_e32 v[89:90], v[113:114], v[89:90]
	scratch_load_b128 v[83:86], off, off offset:464
	s_wait_loadcnt_dscnt 0x900
	v_mul_f64_e32 v[129:130], v[75:76], v[93:94]
	v_mul_f64_e32 v[93:94], v[77:78], v[93:94]
	v_add_f64_e32 v[6:7], v[6:7], v[121:122]
	v_add_f64_e32 v[2:3], v[2:3], v[119:120]
	ds_load_b128 v[119:122], v1 offset:800
	v_fma_f64 v[113:114], v[113:114], v[87:88], v[123:124]
	v_fma_f64 v[87:88], v[111:112], v[87:88], -v[89:90]
	s_wait_loadcnt_dscnt 0x800
	v_mul_f64_e32 v[111:112], v[119:120], v[97:98]
	v_mul_f64_e32 v[97:98], v[121:122], v[97:98]
	v_fma_f64 v[123:124], v[77:78], v[91:92], v[129:130]
	v_fma_f64 v[91:92], v[75:76], v[91:92], -v[93:94]
	v_add_f64_e32 v[6:7], v[6:7], v[125:126]
	v_add_f64_e32 v[2:3], v[2:3], v[127:128]
	v_fma_f64 v[111:112], v[121:122], v[95:96], v[111:112]
	v_fma_f64 v[95:96], v[119:120], v[95:96], -v[97:98]
	s_delay_alu instid0(VALU_DEP_4) | instskip(NEXT) | instid1(VALU_DEP_4)
	v_add_f64_e32 v[6:7], v[6:7], v[113:114]
	v_add_f64_e32 v[2:3], v[2:3], v[87:88]
	ds_load_b128 v[75:78], v1 offset:816
	ds_load_b128 v[87:90], v1 offset:832
	s_wait_loadcnt_dscnt 0x701
	v_mul_f64_e32 v[93:94], v[75:76], v[105:106]
	v_mul_f64_e32 v[105:106], v[77:78], v[105:106]
	v_add_f64_e32 v[6:7], v[6:7], v[123:124]
	v_add_f64_e32 v[2:3], v[2:3], v[91:92]
	s_wait_loadcnt_dscnt 0x500
	v_mul_f64_e32 v[97:98], v[87:88], v[10:11]
	v_mul_f64_e32 v[10:11], v[89:90], v[10:11]
	v_fma_f64 v[113:114], v[77:78], v[103:104], v[93:94]
	v_fma_f64 v[103:104], v[75:76], v[103:104], -v[105:106]
	ds_load_b128 v[75:78], v1 offset:848
	ds_load_b128 v[91:94], v1 offset:864
	v_add_f64_e32 v[6:7], v[6:7], v[111:112]
	v_add_f64_e32 v[2:3], v[2:3], v[95:96]
	v_fma_f64 v[89:90], v[89:90], v[8:9], v[97:98]
	v_fma_f64 v[8:9], v[87:88], v[8:9], -v[10:11]
	s_wait_loadcnt_dscnt 0x401
	v_mul_f64_e32 v[95:96], v[75:76], v[117:118]
	v_mul_f64_e32 v[105:106], v[77:78], v[117:118]
	v_add_f64_e32 v[6:7], v[6:7], v[113:114]
	v_add_f64_e32 v[2:3], v[2:3], v[103:104]
	s_wait_loadcnt_dscnt 0x300
	v_mul_f64_e32 v[10:11], v[91:92], v[73:74]
	v_mul_f64_e32 v[87:88], v[93:94], v[73:74]
	v_fma_f64 v[77:78], v[77:78], v[115:116], v[95:96]
	v_fma_f64 v[95:96], v[75:76], v[115:116], -v[105:106]
	v_add_f64_e32 v[89:90], v[6:7], v[89:90]
	v_add_f64_e32 v[2:3], v[2:3], v[8:9]
	ds_load_b128 v[6:9], v1 offset:880
	ds_load_b128 v[73:76], v1 offset:896
	v_fma_f64 v[10:11], v[93:94], v[71:72], v[10:11]
	v_fma_f64 v[71:72], v[91:92], v[71:72], -v[87:88]
	s_wait_loadcnt_dscnt 0x201
	v_mul_f64_e32 v[97:98], v[6:7], v[101:102]
	v_mul_f64_e32 v[101:102], v[8:9], v[101:102]
	v_add_f64_e32 v[77:78], v[89:90], v[77:78]
	v_add_f64_e32 v[2:3], v[2:3], v[95:96]
	s_wait_loadcnt_dscnt 0x100
	v_mul_f64_e32 v[87:88], v[73:74], v[81:82]
	v_mul_f64_e32 v[81:82], v[75:76], v[81:82]
	v_fma_f64 v[89:90], v[8:9], v[99:100], v[97:98]
	v_fma_f64 v[91:92], v[6:7], v[99:100], -v[101:102]
	ds_load_b128 v[6:9], v1 offset:912
	v_add_f64_e32 v[10:11], v[77:78], v[10:11]
	v_add_f64_e32 v[2:3], v[2:3], v[71:72]
	v_fma_f64 v[75:76], v[75:76], v[79:80], v[87:88]
	v_fma_f64 v[73:74], v[73:74], v[79:80], -v[81:82]
	s_wait_loadcnt_dscnt 0x0
	v_mul_f64_e32 v[71:72], v[6:7], v[85:86]
	v_mul_f64_e32 v[77:78], v[8:9], v[85:86]
	v_add_f64_e32 v[10:11], v[10:11], v[89:90]
	v_add_f64_e32 v[2:3], v[2:3], v[91:92]
	s_delay_alu instid0(VALU_DEP_4) | instskip(NEXT) | instid1(VALU_DEP_4)
	v_fma_f64 v[8:9], v[8:9], v[83:84], v[71:72]
	v_fma_f64 v[6:7], v[6:7], v[83:84], -v[77:78]
	s_delay_alu instid0(VALU_DEP_4) | instskip(NEXT) | instid1(VALU_DEP_4)
	v_add_f64_e32 v[10:11], v[10:11], v[75:76]
	v_add_f64_e32 v[2:3], v[2:3], v[73:74]
	s_delay_alu instid0(VALU_DEP_2) | instskip(NEXT) | instid1(VALU_DEP_2)
	v_add_f64_e32 v[8:9], v[10:11], v[8:9]
	v_add_f64_e32 v[2:3], v[2:3], v[6:7]
	s_delay_alu instid0(VALU_DEP_2) | instskip(NEXT) | instid1(VALU_DEP_2)
	v_add_f64_e64 v[8:9], v[109:110], -v[8:9]
	v_add_f64_e64 v[6:7], v[107:108], -v[2:3]
	scratch_store_b128 off, v[6:9], off offset:224
	v_cmpx_lt_u32_e32 12, v0
	s_cbranch_execz .LBB28_163
; %bb.162:
	scratch_load_b128 v[6:9], off, s26
	v_dual_mov_b32 v2, v1 :: v_dual_mov_b32 v3, v1
	v_mov_b32_e32 v4, v1
	scratch_store_b128 off, v[1:4], off offset:208
	s_wait_loadcnt 0x0
	ds_store_b128 v5, v[6:9]
.LBB28_163:
	s_wait_alu 0xfffe
	s_or_b32 exec_lo, exec_lo, s0
	s_wait_storecnt_dscnt 0x0
	s_barrier_signal -1
	s_barrier_wait -1
	global_inv scope:SCOPE_SE
	s_clause 0x8
	scratch_load_b128 v[6:9], off, off offset:224
	scratch_load_b128 v[71:74], off, off offset:240
	scratch_load_b128 v[75:78], off, off offset:256
	scratch_load_b128 v[79:82], off, off offset:272
	scratch_load_b128 v[83:86], off, off offset:288
	scratch_load_b128 v[87:90], off, off offset:304
	scratch_load_b128 v[91:94], off, off offset:320
	scratch_load_b128 v[95:98], off, off offset:336
	scratch_load_b128 v[99:102], off, off offset:352
	ds_load_b128 v[103:106], v1 offset:672
	ds_load_b128 v[107:110], v1 offset:688
	scratch_load_b128 v[111:114], off, off offset:208
	s_mov_b32 s0, exec_lo
	ds_load_b128 v[119:122], v1 offset:720
	s_wait_loadcnt_dscnt 0x902
	v_mul_f64_e32 v[2:3], v[105:106], v[8:9]
	v_mul_f64_e32 v[115:116], v[103:104], v[8:9]
	scratch_load_b128 v[8:11], off, off offset:368
	s_wait_loadcnt_dscnt 0x901
	v_mul_f64_e32 v[123:124], v[107:108], v[73:74]
	v_mul_f64_e32 v[73:74], v[109:110], v[73:74]
	v_fma_f64 v[2:3], v[103:104], v[6:7], -v[2:3]
	v_fma_f64 v[6:7], v[105:106], v[6:7], v[115:116]
	ds_load_b128 v[103:106], v1 offset:704
	scratch_load_b128 v[115:118], off, off offset:384
	v_fma_f64 v[109:110], v[109:110], v[71:72], v[123:124]
	v_fma_f64 v[107:108], v[107:108], v[71:72], -v[73:74]
	scratch_load_b128 v[71:74], off, off offset:400
	s_wait_loadcnt_dscnt 0x901
	v_mul_f64_e32 v[123:124], v[119:120], v[81:82]
	v_mul_f64_e32 v[81:82], v[121:122], v[81:82]
	s_wait_dscnt 0x0
	v_mul_f64_e32 v[125:126], v[103:104], v[77:78]
	v_mul_f64_e32 v[77:78], v[105:106], v[77:78]
	v_add_f64_e32 v[2:3], 0, v[2:3]
	v_add_f64_e32 v[6:7], 0, v[6:7]
	v_fma_f64 v[121:122], v[121:122], v[79:80], v[123:124]
	v_fma_f64 v[119:120], v[119:120], v[79:80], -v[81:82]
	scratch_load_b128 v[79:82], off, off offset:432
	v_fma_f64 v[125:126], v[105:106], v[75:76], v[125:126]
	v_fma_f64 v[127:128], v[103:104], v[75:76], -v[77:78]
	ds_load_b128 v[75:78], v1 offset:736
	scratch_load_b128 v[103:106], off, off offset:416
	v_add_f64_e32 v[2:3], v[2:3], v[107:108]
	v_add_f64_e32 v[6:7], v[6:7], v[109:110]
	ds_load_b128 v[107:110], v1 offset:752
	s_wait_loadcnt_dscnt 0xa01
	v_mul_f64_e32 v[129:130], v[75:76], v[85:86]
	v_mul_f64_e32 v[85:86], v[77:78], v[85:86]
	s_wait_loadcnt_dscnt 0x900
	v_mul_f64_e32 v[123:124], v[107:108], v[89:90]
	v_mul_f64_e32 v[89:90], v[109:110], v[89:90]
	v_add_f64_e32 v[2:3], v[2:3], v[127:128]
	v_add_f64_e32 v[6:7], v[6:7], v[125:126]
	v_fma_f64 v[125:126], v[77:78], v[83:84], v[129:130]
	v_fma_f64 v[127:128], v[75:76], v[83:84], -v[85:86]
	ds_load_b128 v[75:78], v1 offset:768
	scratch_load_b128 v[83:86], off, off offset:448
	v_fma_f64 v[109:110], v[109:110], v[87:88], v[123:124]
	v_fma_f64 v[107:108], v[107:108], v[87:88], -v[89:90]
	scratch_load_b128 v[87:90], off, off offset:464
	v_add_f64_e32 v[2:3], v[2:3], v[119:120]
	v_add_f64_e32 v[6:7], v[6:7], v[121:122]
	ds_load_b128 v[119:122], v1 offset:784
	s_wait_loadcnt_dscnt 0xa01
	v_mul_f64_e32 v[129:130], v[75:76], v[93:94]
	v_mul_f64_e32 v[93:94], v[77:78], v[93:94]
	s_wait_loadcnt_dscnt 0x900
	v_mul_f64_e32 v[123:124], v[119:120], v[97:98]
	v_mul_f64_e32 v[97:98], v[121:122], v[97:98]
	v_add_f64_e32 v[2:3], v[2:3], v[127:128]
	v_add_f64_e32 v[6:7], v[6:7], v[125:126]
	v_fma_f64 v[125:126], v[77:78], v[91:92], v[129:130]
	v_fma_f64 v[127:128], v[75:76], v[91:92], -v[93:94]
	ds_load_b128 v[75:78], v1 offset:800
	ds_load_b128 v[91:94], v1 offset:816
	v_add_f64_e32 v[2:3], v[2:3], v[107:108]
	v_add_f64_e32 v[6:7], v[6:7], v[109:110]
	s_wait_loadcnt_dscnt 0x801
	v_mul_f64_e32 v[107:108], v[75:76], v[101:102]
	v_mul_f64_e32 v[101:102], v[77:78], v[101:102]
	v_fma_f64 v[109:110], v[121:122], v[95:96], v[123:124]
	v_fma_f64 v[95:96], v[119:120], v[95:96], -v[97:98]
	v_add_f64_e32 v[2:3], v[2:3], v[127:128]
	v_add_f64_e32 v[6:7], v[6:7], v[125:126]
	v_fma_f64 v[107:108], v[77:78], v[99:100], v[107:108]
	v_fma_f64 v[99:100], v[75:76], v[99:100], -v[101:102]
	s_wait_loadcnt_dscnt 0x600
	v_mul_f64_e32 v[119:120], v[91:92], v[10:11]
	v_mul_f64_e32 v[10:11], v[93:94], v[10:11]
	v_add_f64_e32 v[2:3], v[2:3], v[95:96]
	v_add_f64_e32 v[6:7], v[6:7], v[109:110]
	ds_load_b128 v[75:78], v1 offset:832
	ds_load_b128 v[95:98], v1 offset:848
	v_fma_f64 v[93:94], v[93:94], v[8:9], v[119:120]
	v_fma_f64 v[8:9], v[91:92], v[8:9], -v[10:11]
	s_wait_loadcnt_dscnt 0x501
	v_mul_f64_e32 v[101:102], v[75:76], v[117:118]
	v_mul_f64_e32 v[109:110], v[77:78], v[117:118]
	s_wait_loadcnt_dscnt 0x400
	v_mul_f64_e32 v[10:11], v[95:96], v[73:74]
	v_mul_f64_e32 v[91:92], v[97:98], v[73:74]
	v_add_f64_e32 v[2:3], v[2:3], v[99:100]
	v_add_f64_e32 v[6:7], v[6:7], v[107:108]
	v_fma_f64 v[77:78], v[77:78], v[115:116], v[101:102]
	v_fma_f64 v[99:100], v[75:76], v[115:116], -v[109:110]
	v_fma_f64 v[10:11], v[97:98], v[71:72], v[10:11]
	v_fma_f64 v[71:72], v[95:96], v[71:72], -v[91:92]
	v_add_f64_e32 v[2:3], v[2:3], v[8:9]
	v_add_f64_e32 v[93:94], v[6:7], v[93:94]
	ds_load_b128 v[6:9], v1 offset:864
	ds_load_b128 v[73:76], v1 offset:880
	s_wait_loadcnt_dscnt 0x201
	v_mul_f64_e32 v[101:102], v[6:7], v[105:106]
	v_mul_f64_e32 v[105:106], v[8:9], v[105:106]
	s_wait_dscnt 0x0
	v_mul_f64_e32 v[91:92], v[73:74], v[81:82]
	v_mul_f64_e32 v[81:82], v[75:76], v[81:82]
	v_add_f64_e32 v[2:3], v[2:3], v[99:100]
	v_add_f64_e32 v[77:78], v[93:94], v[77:78]
	v_fma_f64 v[93:94], v[8:9], v[103:104], v[101:102]
	v_fma_f64 v[95:96], v[6:7], v[103:104], -v[105:106]
	v_fma_f64 v[75:76], v[75:76], v[79:80], v[91:92]
	v_fma_f64 v[73:74], v[73:74], v[79:80], -v[81:82]
	v_add_f64_e32 v[71:72], v[2:3], v[71:72]
	v_add_f64_e32 v[10:11], v[77:78], v[10:11]
	ds_load_b128 v[6:9], v1 offset:896
	ds_load_b128 v[1:4], v1 offset:912
	s_wait_loadcnt_dscnt 0x101
	v_mul_f64_e32 v[77:78], v[6:7], v[85:86]
	v_mul_f64_e32 v[85:86], v[8:9], v[85:86]
	s_wait_loadcnt_dscnt 0x0
	v_mul_f64_e32 v[79:80], v[1:2], v[89:90]
	v_mul_f64_e32 v[81:82], v[3:4], v[89:90]
	v_add_f64_e32 v[71:72], v[71:72], v[95:96]
	v_add_f64_e32 v[10:11], v[10:11], v[93:94]
	v_fma_f64 v[8:9], v[8:9], v[83:84], v[77:78]
	v_fma_f64 v[6:7], v[6:7], v[83:84], -v[85:86]
	v_fma_f64 v[3:4], v[3:4], v[87:88], v[79:80]
	v_fma_f64 v[1:2], v[1:2], v[87:88], -v[81:82]
	v_add_f64_e32 v[71:72], v[71:72], v[73:74]
	v_add_f64_e32 v[10:11], v[10:11], v[75:76]
	s_delay_alu instid0(VALU_DEP_2) | instskip(NEXT) | instid1(VALU_DEP_2)
	v_add_f64_e32 v[6:7], v[71:72], v[6:7]
	v_add_f64_e32 v[8:9], v[10:11], v[8:9]
	s_delay_alu instid0(VALU_DEP_2) | instskip(NEXT) | instid1(VALU_DEP_2)
	;; [unrolled: 3-line block ×3, first 2 shown]
	v_add_f64_e64 v[1:2], v[111:112], -v[1:2]
	v_add_f64_e64 v[3:4], v[113:114], -v[3:4]
	scratch_store_b128 off, v[1:4], off offset:208
	v_cmpx_lt_u32_e32 11, v0
	s_cbranch_execz .LBB28_165
; %bb.164:
	scratch_load_b128 v[1:4], off, s31
	v_mov_b32_e32 v6, 0
	s_delay_alu instid0(VALU_DEP_1)
	v_dual_mov_b32 v7, v6 :: v_dual_mov_b32 v8, v6
	v_mov_b32_e32 v9, v6
	scratch_store_b128 off, v[6:9], off offset:192
	s_wait_loadcnt 0x0
	ds_store_b128 v5, v[1:4]
.LBB28_165:
	s_wait_alu 0xfffe
	s_or_b32 exec_lo, exec_lo, s0
	s_wait_storecnt_dscnt 0x0
	s_barrier_signal -1
	s_barrier_wait -1
	global_inv scope:SCOPE_SE
	s_clause 0x7
	scratch_load_b128 v[6:9], off, off offset:208
	scratch_load_b128 v[71:74], off, off offset:224
	;; [unrolled: 1-line block ×8, first 2 shown]
	v_mov_b32_e32 v1, 0
	s_mov_b32 s0, exec_lo
	ds_load_b128 v[99:102], v1 offset:656
	s_clause 0x1
	scratch_load_b128 v[103:106], off, off offset:336
	scratch_load_b128 v[107:110], off, off offset:192
	ds_load_b128 v[111:114], v1 offset:672
	ds_load_b128 v[119:122], v1 offset:704
	s_wait_loadcnt_dscnt 0x902
	v_mul_f64_e32 v[2:3], v[101:102], v[8:9]
	v_mul_f64_e32 v[115:116], v[99:100], v[8:9]
	scratch_load_b128 v[8:11], off, off offset:352
	v_fma_f64 v[2:3], v[99:100], v[6:7], -v[2:3]
	v_fma_f64 v[6:7], v[101:102], v[6:7], v[115:116]
	ds_load_b128 v[99:102], v1 offset:688
	s_wait_loadcnt_dscnt 0x902
	v_mul_f64_e32 v[123:124], v[111:112], v[73:74]
	v_mul_f64_e32 v[73:74], v[113:114], v[73:74]
	scratch_load_b128 v[115:118], off, off offset:368
	s_wait_loadcnt_dscnt 0x900
	v_mul_f64_e32 v[125:126], v[99:100], v[77:78]
	v_mul_f64_e32 v[77:78], v[101:102], v[77:78]
	v_add_f64_e32 v[2:3], 0, v[2:3]
	v_add_f64_e32 v[6:7], 0, v[6:7]
	v_fma_f64 v[113:114], v[113:114], v[71:72], v[123:124]
	v_fma_f64 v[111:112], v[111:112], v[71:72], -v[73:74]
	scratch_load_b128 v[71:74], off, off offset:384
	v_fma_f64 v[125:126], v[101:102], v[75:76], v[125:126]
	v_fma_f64 v[127:128], v[99:100], v[75:76], -v[77:78]
	ds_load_b128 v[75:78], v1 offset:720
	s_wait_loadcnt 0x9
	v_mul_f64_e32 v[123:124], v[119:120], v[81:82]
	v_mul_f64_e32 v[81:82], v[121:122], v[81:82]
	scratch_load_b128 v[99:102], off, off offset:400
	v_add_f64_e32 v[6:7], v[6:7], v[113:114]
	v_add_f64_e32 v[2:3], v[2:3], v[111:112]
	ds_load_b128 v[111:114], v1 offset:736
	s_wait_loadcnt_dscnt 0x901
	v_mul_f64_e32 v[129:130], v[75:76], v[85:86]
	v_mul_f64_e32 v[85:86], v[77:78], v[85:86]
	v_fma_f64 v[121:122], v[121:122], v[79:80], v[123:124]
	v_fma_f64 v[119:120], v[119:120], v[79:80], -v[81:82]
	scratch_load_b128 v[79:82], off, off offset:416
	v_add_f64_e32 v[6:7], v[6:7], v[125:126]
	v_add_f64_e32 v[2:3], v[2:3], v[127:128]
	v_fma_f64 v[125:126], v[77:78], v[83:84], v[129:130]
	v_fma_f64 v[127:128], v[75:76], v[83:84], -v[85:86]
	ds_load_b128 v[75:78], v1 offset:752
	s_wait_loadcnt_dscnt 0x901
	v_mul_f64_e32 v[123:124], v[111:112], v[89:90]
	v_mul_f64_e32 v[89:90], v[113:114], v[89:90]
	scratch_load_b128 v[83:86], off, off offset:432
	s_wait_loadcnt_dscnt 0x900
	v_mul_f64_e32 v[129:130], v[75:76], v[93:94]
	v_mul_f64_e32 v[93:94], v[77:78], v[93:94]
	v_add_f64_e32 v[6:7], v[6:7], v[121:122]
	v_add_f64_e32 v[2:3], v[2:3], v[119:120]
	ds_load_b128 v[119:122], v1 offset:768
	v_fma_f64 v[113:114], v[113:114], v[87:88], v[123:124]
	v_fma_f64 v[111:112], v[111:112], v[87:88], -v[89:90]
	scratch_load_b128 v[87:90], off, off offset:448
	v_add_f64_e32 v[6:7], v[6:7], v[125:126]
	v_add_f64_e32 v[2:3], v[2:3], v[127:128]
	v_fma_f64 v[125:126], v[77:78], v[91:92], v[129:130]
	v_fma_f64 v[127:128], v[75:76], v[91:92], -v[93:94]
	ds_load_b128 v[75:78], v1 offset:784
	s_wait_loadcnt_dscnt 0x901
	v_mul_f64_e32 v[123:124], v[119:120], v[97:98]
	v_mul_f64_e32 v[97:98], v[121:122], v[97:98]
	scratch_load_b128 v[91:94], off, off offset:464
	s_wait_loadcnt_dscnt 0x900
	v_mul_f64_e32 v[129:130], v[75:76], v[105:106]
	v_mul_f64_e32 v[105:106], v[77:78], v[105:106]
	v_add_f64_e32 v[6:7], v[6:7], v[113:114]
	v_add_f64_e32 v[2:3], v[2:3], v[111:112]
	ds_load_b128 v[111:114], v1 offset:800
	v_fma_f64 v[121:122], v[121:122], v[95:96], v[123:124]
	v_fma_f64 v[95:96], v[119:120], v[95:96], -v[97:98]
	v_fma_f64 v[123:124], v[77:78], v[103:104], v[129:130]
	v_fma_f64 v[103:104], v[75:76], v[103:104], -v[105:106]
	v_add_f64_e32 v[6:7], v[6:7], v[125:126]
	v_add_f64_e32 v[2:3], v[2:3], v[127:128]
	s_wait_loadcnt_dscnt 0x700
	v_mul_f64_e32 v[119:120], v[111:112], v[10:11]
	v_mul_f64_e32 v[10:11], v[113:114], v[10:11]
	s_delay_alu instid0(VALU_DEP_4) | instskip(NEXT) | instid1(VALU_DEP_4)
	v_add_f64_e32 v[6:7], v[6:7], v[121:122]
	v_add_f64_e32 v[2:3], v[2:3], v[95:96]
	ds_load_b128 v[75:78], v1 offset:816
	ds_load_b128 v[95:98], v1 offset:832
	v_fma_f64 v[113:114], v[113:114], v[8:9], v[119:120]
	v_fma_f64 v[8:9], v[111:112], v[8:9], -v[10:11]
	s_wait_loadcnt_dscnt 0x601
	v_mul_f64_e32 v[105:106], v[75:76], v[117:118]
	v_mul_f64_e32 v[117:118], v[77:78], v[117:118]
	v_add_f64_e32 v[6:7], v[6:7], v[123:124]
	v_add_f64_e32 v[2:3], v[2:3], v[103:104]
	s_wait_loadcnt_dscnt 0x500
	v_mul_f64_e32 v[10:11], v[95:96], v[73:74]
	v_mul_f64_e32 v[103:104], v[97:98], v[73:74]
	v_fma_f64 v[77:78], v[77:78], v[115:116], v[105:106]
	v_fma_f64 v[105:106], v[75:76], v[115:116], -v[117:118]
	v_add_f64_e32 v[111:112], v[6:7], v[113:114]
	v_add_f64_e32 v[2:3], v[2:3], v[8:9]
	ds_load_b128 v[6:9], v1 offset:848
	ds_load_b128 v[73:76], v1 offset:864
	v_fma_f64 v[10:11], v[97:98], v[71:72], v[10:11]
	v_fma_f64 v[71:72], v[95:96], v[71:72], -v[103:104]
	s_wait_loadcnt_dscnt 0x401
	v_mul_f64_e32 v[113:114], v[6:7], v[101:102]
	v_mul_f64_e32 v[101:102], v[8:9], v[101:102]
	v_add_f64_e32 v[77:78], v[111:112], v[77:78]
	v_add_f64_e32 v[2:3], v[2:3], v[105:106]
	s_wait_loadcnt_dscnt 0x300
	v_mul_f64_e32 v[103:104], v[73:74], v[81:82]
	v_mul_f64_e32 v[81:82], v[75:76], v[81:82]
	v_fma_f64 v[105:106], v[8:9], v[99:100], v[113:114]
	v_fma_f64 v[99:100], v[6:7], v[99:100], -v[101:102]
	ds_load_b128 v[6:9], v1 offset:880
	ds_load_b128 v[95:98], v1 offset:896
	v_add_f64_e32 v[10:11], v[77:78], v[10:11]
	v_add_f64_e32 v[2:3], v[2:3], v[71:72]
	v_fma_f64 v[75:76], v[75:76], v[79:80], v[103:104]
	v_fma_f64 v[73:74], v[73:74], v[79:80], -v[81:82]
	s_wait_loadcnt_dscnt 0x201
	v_mul_f64_e32 v[71:72], v[6:7], v[85:86]
	v_mul_f64_e32 v[77:78], v[8:9], v[85:86]
	s_wait_loadcnt_dscnt 0x100
	v_mul_f64_e32 v[79:80], v[95:96], v[89:90]
	v_mul_f64_e32 v[81:82], v[97:98], v[89:90]
	v_add_f64_e32 v[10:11], v[10:11], v[105:106]
	v_add_f64_e32 v[2:3], v[2:3], v[99:100]
	v_fma_f64 v[71:72], v[8:9], v[83:84], v[71:72]
	v_fma_f64 v[77:78], v[6:7], v[83:84], -v[77:78]
	ds_load_b128 v[6:9], v1 offset:912
	v_fma_f64 v[79:80], v[97:98], v[87:88], v[79:80]
	v_fma_f64 v[81:82], v[95:96], v[87:88], -v[81:82]
	v_add_f64_e32 v[10:11], v[10:11], v[75:76]
	v_add_f64_e32 v[2:3], v[2:3], v[73:74]
	s_wait_loadcnt_dscnt 0x0
	v_mul_f64_e32 v[73:74], v[6:7], v[93:94]
	v_mul_f64_e32 v[75:76], v[8:9], v[93:94]
	s_delay_alu instid0(VALU_DEP_4) | instskip(NEXT) | instid1(VALU_DEP_4)
	v_add_f64_e32 v[10:11], v[10:11], v[71:72]
	v_add_f64_e32 v[2:3], v[2:3], v[77:78]
	s_delay_alu instid0(VALU_DEP_4) | instskip(NEXT) | instid1(VALU_DEP_4)
	v_fma_f64 v[8:9], v[8:9], v[91:92], v[73:74]
	v_fma_f64 v[6:7], v[6:7], v[91:92], -v[75:76]
	s_delay_alu instid0(VALU_DEP_4) | instskip(NEXT) | instid1(VALU_DEP_4)
	v_add_f64_e32 v[10:11], v[10:11], v[79:80]
	v_add_f64_e32 v[2:3], v[2:3], v[81:82]
	s_delay_alu instid0(VALU_DEP_2) | instskip(NEXT) | instid1(VALU_DEP_2)
	v_add_f64_e32 v[8:9], v[10:11], v[8:9]
	v_add_f64_e32 v[2:3], v[2:3], v[6:7]
	s_delay_alu instid0(VALU_DEP_2) | instskip(NEXT) | instid1(VALU_DEP_2)
	v_add_f64_e64 v[8:9], v[109:110], -v[8:9]
	v_add_f64_e64 v[6:7], v[107:108], -v[2:3]
	scratch_store_b128 off, v[6:9], off offset:192
	v_cmpx_lt_u32_e32 10, v0
	s_cbranch_execz .LBB28_167
; %bb.166:
	scratch_load_b128 v[6:9], off, s36
	v_dual_mov_b32 v2, v1 :: v_dual_mov_b32 v3, v1
	v_mov_b32_e32 v4, v1
	scratch_store_b128 off, v[1:4], off offset:176
	s_wait_loadcnt 0x0
	ds_store_b128 v5, v[6:9]
.LBB28_167:
	s_wait_alu 0xfffe
	s_or_b32 exec_lo, exec_lo, s0
	s_wait_storecnt_dscnt 0x0
	s_barrier_signal -1
	s_barrier_wait -1
	global_inv scope:SCOPE_SE
	s_clause 0x8
	scratch_load_b128 v[6:9], off, off offset:192
	scratch_load_b128 v[71:74], off, off offset:208
	;; [unrolled: 1-line block ×9, first 2 shown]
	ds_load_b128 v[103:106], v1 offset:640
	ds_load_b128 v[107:110], v1 offset:656
	scratch_load_b128 v[111:114], off, off offset:176
	s_mov_b32 s0, exec_lo
	ds_load_b128 v[119:122], v1 offset:688
	s_wait_loadcnt_dscnt 0x902
	v_mul_f64_e32 v[2:3], v[105:106], v[8:9]
	v_mul_f64_e32 v[115:116], v[103:104], v[8:9]
	scratch_load_b128 v[8:11], off, off offset:336
	s_wait_loadcnt_dscnt 0x901
	v_mul_f64_e32 v[123:124], v[107:108], v[73:74]
	v_mul_f64_e32 v[73:74], v[109:110], v[73:74]
	v_fma_f64 v[2:3], v[103:104], v[6:7], -v[2:3]
	v_fma_f64 v[6:7], v[105:106], v[6:7], v[115:116]
	ds_load_b128 v[103:106], v1 offset:672
	scratch_load_b128 v[115:118], off, off offset:352
	v_fma_f64 v[109:110], v[109:110], v[71:72], v[123:124]
	v_fma_f64 v[107:108], v[107:108], v[71:72], -v[73:74]
	scratch_load_b128 v[71:74], off, off offset:368
	s_wait_loadcnt_dscnt 0x901
	v_mul_f64_e32 v[123:124], v[119:120], v[81:82]
	v_mul_f64_e32 v[81:82], v[121:122], v[81:82]
	s_wait_dscnt 0x0
	v_mul_f64_e32 v[125:126], v[103:104], v[77:78]
	v_mul_f64_e32 v[77:78], v[105:106], v[77:78]
	v_add_f64_e32 v[2:3], 0, v[2:3]
	v_add_f64_e32 v[6:7], 0, v[6:7]
	v_fma_f64 v[121:122], v[121:122], v[79:80], v[123:124]
	v_fma_f64 v[119:120], v[119:120], v[79:80], -v[81:82]
	scratch_load_b128 v[79:82], off, off offset:400
	v_fma_f64 v[125:126], v[105:106], v[75:76], v[125:126]
	v_fma_f64 v[127:128], v[103:104], v[75:76], -v[77:78]
	ds_load_b128 v[75:78], v1 offset:704
	scratch_load_b128 v[103:106], off, off offset:384
	v_add_f64_e32 v[2:3], v[2:3], v[107:108]
	v_add_f64_e32 v[6:7], v[6:7], v[109:110]
	ds_load_b128 v[107:110], v1 offset:720
	s_wait_loadcnt_dscnt 0xa01
	v_mul_f64_e32 v[129:130], v[75:76], v[85:86]
	v_mul_f64_e32 v[85:86], v[77:78], v[85:86]
	s_wait_loadcnt_dscnt 0x900
	v_mul_f64_e32 v[123:124], v[107:108], v[89:90]
	v_mul_f64_e32 v[89:90], v[109:110], v[89:90]
	v_add_f64_e32 v[2:3], v[2:3], v[127:128]
	v_add_f64_e32 v[6:7], v[6:7], v[125:126]
	v_fma_f64 v[125:126], v[77:78], v[83:84], v[129:130]
	v_fma_f64 v[127:128], v[75:76], v[83:84], -v[85:86]
	ds_load_b128 v[75:78], v1 offset:736
	scratch_load_b128 v[83:86], off, off offset:416
	v_fma_f64 v[109:110], v[109:110], v[87:88], v[123:124]
	v_fma_f64 v[107:108], v[107:108], v[87:88], -v[89:90]
	scratch_load_b128 v[87:90], off, off offset:432
	v_add_f64_e32 v[2:3], v[2:3], v[119:120]
	v_add_f64_e32 v[6:7], v[6:7], v[121:122]
	ds_load_b128 v[119:122], v1 offset:752
	s_wait_loadcnt_dscnt 0xa01
	v_mul_f64_e32 v[129:130], v[75:76], v[93:94]
	v_mul_f64_e32 v[93:94], v[77:78], v[93:94]
	s_wait_loadcnt_dscnt 0x900
	v_mul_f64_e32 v[123:124], v[119:120], v[97:98]
	v_mul_f64_e32 v[97:98], v[121:122], v[97:98]
	v_add_f64_e32 v[2:3], v[2:3], v[127:128]
	v_add_f64_e32 v[6:7], v[6:7], v[125:126]
	v_fma_f64 v[125:126], v[77:78], v[91:92], v[129:130]
	v_fma_f64 v[127:128], v[75:76], v[91:92], -v[93:94]
	ds_load_b128 v[75:78], v1 offset:768
	scratch_load_b128 v[91:94], off, off offset:448
	v_fma_f64 v[121:122], v[121:122], v[95:96], v[123:124]
	v_fma_f64 v[119:120], v[119:120], v[95:96], -v[97:98]
	scratch_load_b128 v[95:98], off, off offset:464
	v_add_f64_e32 v[2:3], v[2:3], v[107:108]
	v_add_f64_e32 v[6:7], v[6:7], v[109:110]
	ds_load_b128 v[107:110], v1 offset:784
	s_wait_loadcnt_dscnt 0xa01
	v_mul_f64_e32 v[129:130], v[75:76], v[101:102]
	v_mul_f64_e32 v[101:102], v[77:78], v[101:102]
	v_add_f64_e32 v[2:3], v[2:3], v[127:128]
	v_add_f64_e32 v[6:7], v[6:7], v[125:126]
	s_delay_alu instid0(VALU_DEP_4) | instskip(NEXT) | instid1(VALU_DEP_4)
	v_fma_f64 v[125:126], v[77:78], v[99:100], v[129:130]
	v_fma_f64 v[127:128], v[75:76], v[99:100], -v[101:102]
	ds_load_b128 v[75:78], v1 offset:800
	ds_load_b128 v[99:102], v1 offset:816
	s_wait_loadcnt_dscnt 0x802
	v_mul_f64_e32 v[123:124], v[107:108], v[10:11]
	v_mul_f64_e32 v[10:11], v[109:110], v[10:11]
	v_add_f64_e32 v[2:3], v[2:3], v[119:120]
	v_add_f64_e32 v[6:7], v[6:7], v[121:122]
	s_delay_alu instid0(VALU_DEP_4)
	v_fma_f64 v[109:110], v[109:110], v[8:9], v[123:124]
	s_wait_loadcnt_dscnt 0x701
	v_mul_f64_e32 v[119:120], v[75:76], v[117:118]
	v_mul_f64_e32 v[117:118], v[77:78], v[117:118]
	v_fma_f64 v[8:9], v[107:108], v[8:9], -v[10:11]
	s_wait_loadcnt_dscnt 0x600
	v_mul_f64_e32 v[10:11], v[99:100], v[73:74]
	v_mul_f64_e32 v[107:108], v[101:102], v[73:74]
	v_add_f64_e32 v[2:3], v[2:3], v[127:128]
	v_add_f64_e32 v[6:7], v[6:7], v[125:126]
	v_fma_f64 v[77:78], v[77:78], v[115:116], v[119:120]
	v_fma_f64 v[115:116], v[75:76], v[115:116], -v[117:118]
	v_fma_f64 v[10:11], v[101:102], v[71:72], v[10:11]
	v_fma_f64 v[71:72], v[99:100], v[71:72], -v[107:108]
	v_add_f64_e32 v[2:3], v[2:3], v[8:9]
	v_add_f64_e32 v[109:110], v[6:7], v[109:110]
	ds_load_b128 v[6:9], v1 offset:832
	ds_load_b128 v[73:76], v1 offset:848
	s_wait_loadcnt_dscnt 0x401
	v_mul_f64_e32 v[117:118], v[6:7], v[105:106]
	v_mul_f64_e32 v[105:106], v[8:9], v[105:106]
	s_wait_dscnt 0x0
	v_mul_f64_e32 v[107:108], v[73:74], v[81:82]
	v_mul_f64_e32 v[81:82], v[75:76], v[81:82]
	v_add_f64_e32 v[2:3], v[2:3], v[115:116]
	v_add_f64_e32 v[77:78], v[109:110], v[77:78]
	v_fma_f64 v[109:110], v[8:9], v[103:104], v[117:118]
	v_fma_f64 v[103:104], v[6:7], v[103:104], -v[105:106]
	ds_load_b128 v[6:9], v1 offset:864
	ds_load_b128 v[99:102], v1 offset:880
	v_fma_f64 v[75:76], v[75:76], v[79:80], v[107:108]
	v_fma_f64 v[73:74], v[73:74], v[79:80], -v[81:82]
	v_add_f64_e32 v[2:3], v[2:3], v[71:72]
	v_add_f64_e32 v[10:11], v[77:78], v[10:11]
	s_wait_loadcnt_dscnt 0x301
	v_mul_f64_e32 v[71:72], v[6:7], v[85:86]
	v_mul_f64_e32 v[77:78], v[8:9], v[85:86]
	s_wait_loadcnt_dscnt 0x200
	v_mul_f64_e32 v[79:80], v[99:100], v[89:90]
	v_mul_f64_e32 v[81:82], v[101:102], v[89:90]
	v_add_f64_e32 v[2:3], v[2:3], v[103:104]
	v_add_f64_e32 v[10:11], v[10:11], v[109:110]
	v_fma_f64 v[71:72], v[8:9], v[83:84], v[71:72]
	v_fma_f64 v[77:78], v[6:7], v[83:84], -v[77:78]
	v_fma_f64 v[79:80], v[101:102], v[87:88], v[79:80]
	v_fma_f64 v[81:82], v[99:100], v[87:88], -v[81:82]
	v_add_f64_e32 v[73:74], v[2:3], v[73:74]
	v_add_f64_e32 v[10:11], v[10:11], v[75:76]
	ds_load_b128 v[6:9], v1 offset:896
	ds_load_b128 v[1:4], v1 offset:912
	s_wait_loadcnt_dscnt 0x101
	v_mul_f64_e32 v[75:76], v[6:7], v[93:94]
	v_mul_f64_e32 v[83:84], v[8:9], v[93:94]
	v_add_f64_e32 v[73:74], v[73:74], v[77:78]
	v_add_f64_e32 v[10:11], v[10:11], v[71:72]
	s_wait_loadcnt_dscnt 0x0
	v_mul_f64_e32 v[71:72], v[1:2], v[97:98]
	v_mul_f64_e32 v[77:78], v[3:4], v[97:98]
	v_fma_f64 v[8:9], v[8:9], v[91:92], v[75:76]
	v_fma_f64 v[6:7], v[6:7], v[91:92], -v[83:84]
	v_add_f64_e32 v[73:74], v[73:74], v[81:82]
	v_add_f64_e32 v[10:11], v[10:11], v[79:80]
	v_fma_f64 v[3:4], v[3:4], v[95:96], v[71:72]
	v_fma_f64 v[1:2], v[1:2], v[95:96], -v[77:78]
	s_delay_alu instid0(VALU_DEP_4) | instskip(NEXT) | instid1(VALU_DEP_4)
	v_add_f64_e32 v[6:7], v[73:74], v[6:7]
	v_add_f64_e32 v[8:9], v[10:11], v[8:9]
	s_delay_alu instid0(VALU_DEP_2) | instskip(NEXT) | instid1(VALU_DEP_2)
	v_add_f64_e32 v[1:2], v[6:7], v[1:2]
	v_add_f64_e32 v[3:4], v[8:9], v[3:4]
	s_delay_alu instid0(VALU_DEP_2) | instskip(NEXT) | instid1(VALU_DEP_2)
	v_add_f64_e64 v[1:2], v[111:112], -v[1:2]
	v_add_f64_e64 v[3:4], v[113:114], -v[3:4]
	scratch_store_b128 off, v[1:4], off offset:176
	v_cmpx_lt_u32_e32 9, v0
	s_cbranch_execz .LBB28_169
; %bb.168:
	scratch_load_b128 v[1:4], off, s37
	v_mov_b32_e32 v6, 0
	s_delay_alu instid0(VALU_DEP_1)
	v_dual_mov_b32 v7, v6 :: v_dual_mov_b32 v8, v6
	v_mov_b32_e32 v9, v6
	scratch_store_b128 off, v[6:9], off offset:160
	s_wait_loadcnt 0x0
	ds_store_b128 v5, v[1:4]
.LBB28_169:
	s_wait_alu 0xfffe
	s_or_b32 exec_lo, exec_lo, s0
	s_wait_storecnt_dscnt 0x0
	s_barrier_signal -1
	s_barrier_wait -1
	global_inv scope:SCOPE_SE
	s_clause 0x7
	scratch_load_b128 v[6:9], off, off offset:176
	scratch_load_b128 v[71:74], off, off offset:192
	;; [unrolled: 1-line block ×8, first 2 shown]
	v_mov_b32_e32 v1, 0
	s_mov_b32 s0, exec_lo
	ds_load_b128 v[99:102], v1 offset:624
	s_clause 0x1
	scratch_load_b128 v[103:106], off, off offset:304
	scratch_load_b128 v[107:110], off, off offset:160
	ds_load_b128 v[111:114], v1 offset:640
	ds_load_b128 v[119:122], v1 offset:672
	s_wait_loadcnt_dscnt 0x902
	v_mul_f64_e32 v[2:3], v[101:102], v[8:9]
	v_mul_f64_e32 v[115:116], v[99:100], v[8:9]
	scratch_load_b128 v[8:11], off, off offset:320
	v_fma_f64 v[2:3], v[99:100], v[6:7], -v[2:3]
	v_fma_f64 v[6:7], v[101:102], v[6:7], v[115:116]
	ds_load_b128 v[99:102], v1 offset:656
	s_wait_loadcnt_dscnt 0x902
	v_mul_f64_e32 v[123:124], v[111:112], v[73:74]
	v_mul_f64_e32 v[73:74], v[113:114], v[73:74]
	scratch_load_b128 v[115:118], off, off offset:336
	s_wait_loadcnt_dscnt 0x900
	v_mul_f64_e32 v[125:126], v[99:100], v[77:78]
	v_mul_f64_e32 v[77:78], v[101:102], v[77:78]
	v_add_f64_e32 v[2:3], 0, v[2:3]
	v_add_f64_e32 v[6:7], 0, v[6:7]
	v_fma_f64 v[113:114], v[113:114], v[71:72], v[123:124]
	v_fma_f64 v[111:112], v[111:112], v[71:72], -v[73:74]
	scratch_load_b128 v[71:74], off, off offset:352
	v_fma_f64 v[125:126], v[101:102], v[75:76], v[125:126]
	v_fma_f64 v[127:128], v[99:100], v[75:76], -v[77:78]
	ds_load_b128 v[75:78], v1 offset:688
	s_wait_loadcnt 0x9
	v_mul_f64_e32 v[123:124], v[119:120], v[81:82]
	v_mul_f64_e32 v[81:82], v[121:122], v[81:82]
	scratch_load_b128 v[99:102], off, off offset:368
	v_add_f64_e32 v[6:7], v[6:7], v[113:114]
	v_add_f64_e32 v[2:3], v[2:3], v[111:112]
	ds_load_b128 v[111:114], v1 offset:704
	s_wait_loadcnt_dscnt 0x901
	v_mul_f64_e32 v[129:130], v[75:76], v[85:86]
	v_mul_f64_e32 v[85:86], v[77:78], v[85:86]
	v_fma_f64 v[121:122], v[121:122], v[79:80], v[123:124]
	v_fma_f64 v[119:120], v[119:120], v[79:80], -v[81:82]
	scratch_load_b128 v[79:82], off, off offset:384
	v_add_f64_e32 v[6:7], v[6:7], v[125:126]
	v_add_f64_e32 v[2:3], v[2:3], v[127:128]
	v_fma_f64 v[125:126], v[77:78], v[83:84], v[129:130]
	v_fma_f64 v[127:128], v[75:76], v[83:84], -v[85:86]
	ds_load_b128 v[75:78], v1 offset:720
	s_wait_loadcnt_dscnt 0x901
	v_mul_f64_e32 v[123:124], v[111:112], v[89:90]
	v_mul_f64_e32 v[89:90], v[113:114], v[89:90]
	scratch_load_b128 v[83:86], off, off offset:400
	s_wait_loadcnt_dscnt 0x900
	v_mul_f64_e32 v[129:130], v[75:76], v[93:94]
	v_mul_f64_e32 v[93:94], v[77:78], v[93:94]
	v_add_f64_e32 v[6:7], v[6:7], v[121:122]
	v_add_f64_e32 v[2:3], v[2:3], v[119:120]
	ds_load_b128 v[119:122], v1 offset:736
	v_fma_f64 v[113:114], v[113:114], v[87:88], v[123:124]
	v_fma_f64 v[111:112], v[111:112], v[87:88], -v[89:90]
	scratch_load_b128 v[87:90], off, off offset:416
	v_add_f64_e32 v[6:7], v[6:7], v[125:126]
	v_add_f64_e32 v[2:3], v[2:3], v[127:128]
	v_fma_f64 v[125:126], v[77:78], v[91:92], v[129:130]
	v_fma_f64 v[127:128], v[75:76], v[91:92], -v[93:94]
	ds_load_b128 v[75:78], v1 offset:752
	s_wait_loadcnt_dscnt 0x901
	v_mul_f64_e32 v[123:124], v[119:120], v[97:98]
	v_mul_f64_e32 v[97:98], v[121:122], v[97:98]
	scratch_load_b128 v[91:94], off, off offset:432
	s_wait_loadcnt_dscnt 0x900
	v_mul_f64_e32 v[129:130], v[75:76], v[105:106]
	v_mul_f64_e32 v[105:106], v[77:78], v[105:106]
	v_add_f64_e32 v[6:7], v[6:7], v[113:114]
	v_add_f64_e32 v[2:3], v[2:3], v[111:112]
	ds_load_b128 v[111:114], v1 offset:768
	v_fma_f64 v[121:122], v[121:122], v[95:96], v[123:124]
	v_fma_f64 v[119:120], v[119:120], v[95:96], -v[97:98]
	scratch_load_b128 v[95:98], off, off offset:448
	v_add_f64_e32 v[6:7], v[6:7], v[125:126]
	v_add_f64_e32 v[2:3], v[2:3], v[127:128]
	v_fma_f64 v[125:126], v[77:78], v[103:104], v[129:130]
	v_fma_f64 v[127:128], v[75:76], v[103:104], -v[105:106]
	ds_load_b128 v[75:78], v1 offset:784
	scratch_load_b128 v[103:106], off, off offset:464
	s_wait_loadcnt_dscnt 0x901
	v_mul_f64_e32 v[123:124], v[111:112], v[10:11]
	v_mul_f64_e32 v[10:11], v[113:114], v[10:11]
	v_add_f64_e32 v[6:7], v[6:7], v[121:122]
	v_add_f64_e32 v[2:3], v[2:3], v[119:120]
	ds_load_b128 v[119:122], v1 offset:800
	v_fma_f64 v[113:114], v[113:114], v[8:9], v[123:124]
	v_fma_f64 v[8:9], v[111:112], v[8:9], -v[10:11]
	s_wait_loadcnt_dscnt 0x801
	v_mul_f64_e32 v[129:130], v[75:76], v[117:118]
	v_mul_f64_e32 v[117:118], v[77:78], v[117:118]
	v_add_f64_e32 v[6:7], v[6:7], v[125:126]
	v_add_f64_e32 v[2:3], v[2:3], v[127:128]
	s_wait_loadcnt_dscnt 0x700
	v_mul_f64_e32 v[10:11], v[119:120], v[73:74]
	v_mul_f64_e32 v[111:112], v[121:122], v[73:74]
	v_fma_f64 v[77:78], v[77:78], v[115:116], v[129:130]
	v_fma_f64 v[115:116], v[75:76], v[115:116], -v[117:118]
	v_add_f64_e32 v[113:114], v[6:7], v[113:114]
	v_add_f64_e32 v[2:3], v[2:3], v[8:9]
	ds_load_b128 v[6:9], v1 offset:816
	ds_load_b128 v[73:76], v1 offset:832
	v_fma_f64 v[10:11], v[121:122], v[71:72], v[10:11]
	v_fma_f64 v[71:72], v[119:120], v[71:72], -v[111:112]
	s_wait_loadcnt_dscnt 0x601
	v_mul_f64_e32 v[117:118], v[6:7], v[101:102]
	v_mul_f64_e32 v[101:102], v[8:9], v[101:102]
	v_add_f64_e32 v[77:78], v[113:114], v[77:78]
	v_add_f64_e32 v[2:3], v[2:3], v[115:116]
	s_wait_loadcnt_dscnt 0x500
	v_mul_f64_e32 v[111:112], v[73:74], v[81:82]
	v_mul_f64_e32 v[81:82], v[75:76], v[81:82]
	v_fma_f64 v[113:114], v[8:9], v[99:100], v[117:118]
	v_fma_f64 v[115:116], v[6:7], v[99:100], -v[101:102]
	ds_load_b128 v[6:9], v1 offset:848
	ds_load_b128 v[99:102], v1 offset:864
	v_add_f64_e32 v[10:11], v[77:78], v[10:11]
	v_add_f64_e32 v[2:3], v[2:3], v[71:72]
	v_fma_f64 v[75:76], v[75:76], v[79:80], v[111:112]
	v_fma_f64 v[73:74], v[73:74], v[79:80], -v[81:82]
	s_wait_loadcnt_dscnt 0x401
	v_mul_f64_e32 v[71:72], v[6:7], v[85:86]
	v_mul_f64_e32 v[77:78], v[8:9], v[85:86]
	s_wait_loadcnt_dscnt 0x300
	v_mul_f64_e32 v[79:80], v[99:100], v[89:90]
	v_mul_f64_e32 v[81:82], v[101:102], v[89:90]
	v_add_f64_e32 v[10:11], v[10:11], v[113:114]
	v_add_f64_e32 v[2:3], v[2:3], v[115:116]
	v_fma_f64 v[85:86], v[8:9], v[83:84], v[71:72]
	v_fma_f64 v[77:78], v[6:7], v[83:84], -v[77:78]
	v_fma_f64 v[79:80], v[101:102], v[87:88], v[79:80]
	v_fma_f64 v[81:82], v[99:100], v[87:88], -v[81:82]
	v_add_f64_e32 v[10:11], v[10:11], v[75:76]
	v_add_f64_e32 v[2:3], v[2:3], v[73:74]
	ds_load_b128 v[6:9], v1 offset:880
	ds_load_b128 v[71:74], v1 offset:896
	s_wait_loadcnt_dscnt 0x201
	v_mul_f64_e32 v[75:76], v[6:7], v[93:94]
	v_mul_f64_e32 v[83:84], v[8:9], v[93:94]
	v_add_f64_e32 v[10:11], v[10:11], v[85:86]
	v_add_f64_e32 v[2:3], v[2:3], v[77:78]
	s_wait_loadcnt_dscnt 0x100
	v_mul_f64_e32 v[77:78], v[71:72], v[97:98]
	v_mul_f64_e32 v[85:86], v[73:74], v[97:98]
	v_fma_f64 v[75:76], v[8:9], v[91:92], v[75:76]
	v_fma_f64 v[83:84], v[6:7], v[91:92], -v[83:84]
	ds_load_b128 v[6:9], v1 offset:912
	v_add_f64_e32 v[10:11], v[10:11], v[79:80]
	v_add_f64_e32 v[2:3], v[2:3], v[81:82]
	v_fma_f64 v[73:74], v[73:74], v[95:96], v[77:78]
	v_fma_f64 v[71:72], v[71:72], v[95:96], -v[85:86]
	s_wait_loadcnt_dscnt 0x0
	v_mul_f64_e32 v[79:80], v[6:7], v[105:106]
	v_mul_f64_e32 v[81:82], v[8:9], v[105:106]
	v_add_f64_e32 v[10:11], v[10:11], v[75:76]
	v_add_f64_e32 v[2:3], v[2:3], v[83:84]
	s_delay_alu instid0(VALU_DEP_4) | instskip(NEXT) | instid1(VALU_DEP_4)
	v_fma_f64 v[8:9], v[8:9], v[103:104], v[79:80]
	v_fma_f64 v[6:7], v[6:7], v[103:104], -v[81:82]
	s_delay_alu instid0(VALU_DEP_4) | instskip(NEXT) | instid1(VALU_DEP_4)
	v_add_f64_e32 v[10:11], v[10:11], v[73:74]
	v_add_f64_e32 v[2:3], v[2:3], v[71:72]
	s_delay_alu instid0(VALU_DEP_2) | instskip(NEXT) | instid1(VALU_DEP_2)
	v_add_f64_e32 v[8:9], v[10:11], v[8:9]
	v_add_f64_e32 v[2:3], v[2:3], v[6:7]
	s_delay_alu instid0(VALU_DEP_2) | instskip(NEXT) | instid1(VALU_DEP_2)
	v_add_f64_e64 v[8:9], v[109:110], -v[8:9]
	v_add_f64_e64 v[6:7], v[107:108], -v[2:3]
	scratch_store_b128 off, v[6:9], off offset:160
	v_cmpx_lt_u32_e32 8, v0
	s_cbranch_execz .LBB28_171
; %bb.170:
	scratch_load_b128 v[6:9], off, s10
	v_dual_mov_b32 v2, v1 :: v_dual_mov_b32 v3, v1
	v_mov_b32_e32 v4, v1
	scratch_store_b128 off, v[1:4], off offset:144
	s_wait_loadcnt 0x0
	ds_store_b128 v5, v[6:9]
.LBB28_171:
	s_wait_alu 0xfffe
	s_or_b32 exec_lo, exec_lo, s0
	s_wait_storecnt_dscnt 0x0
	s_barrier_signal -1
	s_barrier_wait -1
	global_inv scope:SCOPE_SE
	s_clause 0x8
	scratch_load_b128 v[6:9], off, off offset:160
	scratch_load_b128 v[71:74], off, off offset:176
	;; [unrolled: 1-line block ×9, first 2 shown]
	ds_load_b128 v[103:106], v1 offset:608
	ds_load_b128 v[107:110], v1 offset:624
	scratch_load_b128 v[111:114], off, off offset:144
	s_mov_b32 s0, exec_lo
	ds_load_b128 v[119:122], v1 offset:656
	s_wait_loadcnt_dscnt 0x902
	v_mul_f64_e32 v[2:3], v[105:106], v[8:9]
	v_mul_f64_e32 v[115:116], v[103:104], v[8:9]
	scratch_load_b128 v[8:11], off, off offset:304
	s_wait_loadcnt_dscnt 0x901
	v_mul_f64_e32 v[123:124], v[107:108], v[73:74]
	v_mul_f64_e32 v[73:74], v[109:110], v[73:74]
	v_fma_f64 v[2:3], v[103:104], v[6:7], -v[2:3]
	v_fma_f64 v[6:7], v[105:106], v[6:7], v[115:116]
	ds_load_b128 v[103:106], v1 offset:640
	scratch_load_b128 v[115:118], off, off offset:320
	v_fma_f64 v[109:110], v[109:110], v[71:72], v[123:124]
	v_fma_f64 v[107:108], v[107:108], v[71:72], -v[73:74]
	scratch_load_b128 v[71:74], off, off offset:336
	s_wait_loadcnt_dscnt 0x901
	v_mul_f64_e32 v[123:124], v[119:120], v[81:82]
	v_mul_f64_e32 v[81:82], v[121:122], v[81:82]
	s_wait_dscnt 0x0
	v_mul_f64_e32 v[125:126], v[103:104], v[77:78]
	v_mul_f64_e32 v[77:78], v[105:106], v[77:78]
	v_add_f64_e32 v[2:3], 0, v[2:3]
	v_add_f64_e32 v[6:7], 0, v[6:7]
	v_fma_f64 v[121:122], v[121:122], v[79:80], v[123:124]
	v_fma_f64 v[119:120], v[119:120], v[79:80], -v[81:82]
	scratch_load_b128 v[79:82], off, off offset:368
	v_fma_f64 v[125:126], v[105:106], v[75:76], v[125:126]
	v_fma_f64 v[127:128], v[103:104], v[75:76], -v[77:78]
	ds_load_b128 v[75:78], v1 offset:672
	scratch_load_b128 v[103:106], off, off offset:352
	v_add_f64_e32 v[2:3], v[2:3], v[107:108]
	v_add_f64_e32 v[6:7], v[6:7], v[109:110]
	ds_load_b128 v[107:110], v1 offset:688
	s_wait_loadcnt_dscnt 0xa01
	v_mul_f64_e32 v[129:130], v[75:76], v[85:86]
	v_mul_f64_e32 v[85:86], v[77:78], v[85:86]
	s_wait_loadcnt_dscnt 0x900
	v_mul_f64_e32 v[123:124], v[107:108], v[89:90]
	v_mul_f64_e32 v[89:90], v[109:110], v[89:90]
	v_add_f64_e32 v[2:3], v[2:3], v[127:128]
	v_add_f64_e32 v[6:7], v[6:7], v[125:126]
	v_fma_f64 v[125:126], v[77:78], v[83:84], v[129:130]
	v_fma_f64 v[127:128], v[75:76], v[83:84], -v[85:86]
	ds_load_b128 v[75:78], v1 offset:704
	scratch_load_b128 v[83:86], off, off offset:384
	v_fma_f64 v[109:110], v[109:110], v[87:88], v[123:124]
	v_fma_f64 v[107:108], v[107:108], v[87:88], -v[89:90]
	scratch_load_b128 v[87:90], off, off offset:400
	v_add_f64_e32 v[2:3], v[2:3], v[119:120]
	v_add_f64_e32 v[6:7], v[6:7], v[121:122]
	ds_load_b128 v[119:122], v1 offset:720
	s_wait_loadcnt_dscnt 0xa01
	v_mul_f64_e32 v[129:130], v[75:76], v[93:94]
	v_mul_f64_e32 v[93:94], v[77:78], v[93:94]
	s_wait_loadcnt_dscnt 0x900
	v_mul_f64_e32 v[123:124], v[119:120], v[97:98]
	v_mul_f64_e32 v[97:98], v[121:122], v[97:98]
	v_add_f64_e32 v[2:3], v[2:3], v[127:128]
	v_add_f64_e32 v[6:7], v[6:7], v[125:126]
	v_fma_f64 v[125:126], v[77:78], v[91:92], v[129:130]
	v_fma_f64 v[127:128], v[75:76], v[91:92], -v[93:94]
	ds_load_b128 v[75:78], v1 offset:736
	scratch_load_b128 v[91:94], off, off offset:416
	v_fma_f64 v[121:122], v[121:122], v[95:96], v[123:124]
	v_fma_f64 v[119:120], v[119:120], v[95:96], -v[97:98]
	scratch_load_b128 v[95:98], off, off offset:432
	v_add_f64_e32 v[2:3], v[2:3], v[107:108]
	v_add_f64_e32 v[6:7], v[6:7], v[109:110]
	ds_load_b128 v[107:110], v1 offset:752
	s_wait_loadcnt_dscnt 0xa01
	v_mul_f64_e32 v[129:130], v[75:76], v[101:102]
	v_mul_f64_e32 v[101:102], v[77:78], v[101:102]
	v_add_f64_e32 v[2:3], v[2:3], v[127:128]
	v_add_f64_e32 v[6:7], v[6:7], v[125:126]
	s_delay_alu instid0(VALU_DEP_4) | instskip(NEXT) | instid1(VALU_DEP_4)
	v_fma_f64 v[125:126], v[77:78], v[99:100], v[129:130]
	v_fma_f64 v[127:128], v[75:76], v[99:100], -v[101:102]
	ds_load_b128 v[75:78], v1 offset:768
	scratch_load_b128 v[99:102], off, off offset:448
	s_wait_loadcnt_dscnt 0x901
	v_mul_f64_e32 v[123:124], v[107:108], v[10:11]
	v_mul_f64_e32 v[10:11], v[109:110], v[10:11]
	v_add_f64_e32 v[2:3], v[2:3], v[119:120]
	v_add_f64_e32 v[6:7], v[6:7], v[121:122]
	ds_load_b128 v[119:122], v1 offset:784
	v_fma_f64 v[109:110], v[109:110], v[8:9], v[123:124]
	s_wait_loadcnt_dscnt 0x801
	v_mul_f64_e32 v[129:130], v[75:76], v[117:118]
	v_mul_f64_e32 v[117:118], v[77:78], v[117:118]
	v_fma_f64 v[10:11], v[107:108], v[8:9], -v[10:11]
	s_wait_loadcnt_dscnt 0x700
	v_mul_f64_e32 v[123:124], v[119:120], v[73:74]
	v_add_f64_e32 v[2:3], v[2:3], v[127:128]
	v_add_f64_e32 v[107:108], v[6:7], v[125:126]
	scratch_load_b128 v[6:9], off, off offset:464
	v_mul_f64_e32 v[125:126], v[121:122], v[73:74]
	v_fma_f64 v[77:78], v[77:78], v[115:116], v[129:130]
	v_fma_f64 v[115:116], v[75:76], v[115:116], -v[117:118]
	v_fma_f64 v[121:122], v[121:122], v[71:72], v[123:124]
	v_add_f64_e32 v[2:3], v[2:3], v[10:11]
	v_add_f64_e32 v[10:11], v[107:108], v[109:110]
	ds_load_b128 v[73:76], v1 offset:800
	ds_load_b128 v[107:110], v1 offset:816
	v_fma_f64 v[71:72], v[119:120], v[71:72], -v[125:126]
	s_wait_loadcnt_dscnt 0x601
	v_mul_f64_e32 v[117:118], v[73:74], v[105:106]
	v_mul_f64_e32 v[105:106], v[75:76], v[105:106]
	v_add_f64_e32 v[2:3], v[2:3], v[115:116]
	v_add_f64_e32 v[10:11], v[10:11], v[77:78]
	s_wait_dscnt 0x0
	v_mul_f64_e32 v[115:116], v[107:108], v[81:82]
	v_mul_f64_e32 v[81:82], v[109:110], v[81:82]
	v_fma_f64 v[117:118], v[75:76], v[103:104], v[117:118]
	v_fma_f64 v[103:104], v[73:74], v[103:104], -v[105:106]
	v_add_f64_e32 v[2:3], v[2:3], v[71:72]
	v_add_f64_e32 v[10:11], v[10:11], v[121:122]
	ds_load_b128 v[71:74], v1 offset:832
	ds_load_b128 v[75:78], v1 offset:848
	v_fma_f64 v[109:110], v[109:110], v[79:80], v[115:116]
	v_fma_f64 v[79:80], v[107:108], v[79:80], -v[81:82]
	s_wait_loadcnt_dscnt 0x501
	v_mul_f64_e32 v[105:106], v[71:72], v[85:86]
	v_mul_f64_e32 v[85:86], v[73:74], v[85:86]
	v_add_f64_e32 v[2:3], v[2:3], v[103:104]
	v_add_f64_e32 v[10:11], v[10:11], v[117:118]
	s_wait_loadcnt_dscnt 0x400
	v_mul_f64_e32 v[103:104], v[75:76], v[89:90]
	v_mul_f64_e32 v[89:90], v[77:78], v[89:90]
	v_fma_f64 v[105:106], v[73:74], v[83:84], v[105:106]
	v_fma_f64 v[83:84], v[71:72], v[83:84], -v[85:86]
	v_add_f64_e32 v[2:3], v[2:3], v[79:80]
	v_add_f64_e32 v[10:11], v[10:11], v[109:110]
	ds_load_b128 v[71:74], v1 offset:864
	ds_load_b128 v[79:82], v1 offset:880
	v_fma_f64 v[77:78], v[77:78], v[87:88], v[103:104]
	v_fma_f64 v[75:76], v[75:76], v[87:88], -v[89:90]
	s_wait_loadcnt_dscnt 0x301
	v_mul_f64_e32 v[85:86], v[71:72], v[93:94]
	v_mul_f64_e32 v[93:94], v[73:74], v[93:94]
	s_wait_loadcnt_dscnt 0x200
	v_mul_f64_e32 v[87:88], v[81:82], v[97:98]
	v_add_f64_e32 v[2:3], v[2:3], v[83:84]
	v_add_f64_e32 v[10:11], v[10:11], v[105:106]
	v_mul_f64_e32 v[83:84], v[79:80], v[97:98]
	v_fma_f64 v[85:86], v[73:74], v[91:92], v[85:86]
	v_fma_f64 v[89:90], v[71:72], v[91:92], -v[93:94]
	v_fma_f64 v[79:80], v[79:80], v[95:96], -v[87:88]
	v_add_f64_e32 v[75:76], v[2:3], v[75:76]
	v_add_f64_e32 v[10:11], v[10:11], v[77:78]
	ds_load_b128 v[71:74], v1 offset:896
	ds_load_b128 v[1:4], v1 offset:912
	v_fma_f64 v[81:82], v[81:82], v[95:96], v[83:84]
	s_wait_loadcnt_dscnt 0x101
	v_mul_f64_e32 v[77:78], v[71:72], v[101:102]
	v_mul_f64_e32 v[91:92], v[73:74], v[101:102]
	v_add_f64_e32 v[75:76], v[75:76], v[89:90]
	v_add_f64_e32 v[10:11], v[10:11], v[85:86]
	s_wait_loadcnt_dscnt 0x0
	v_mul_f64_e32 v[83:84], v[1:2], v[8:9]
	v_mul_f64_e32 v[8:9], v[3:4], v[8:9]
	v_fma_f64 v[73:74], v[73:74], v[99:100], v[77:78]
	v_fma_f64 v[71:72], v[71:72], v[99:100], -v[91:92]
	v_add_f64_e32 v[75:76], v[75:76], v[79:80]
	v_add_f64_e32 v[10:11], v[10:11], v[81:82]
	v_fma_f64 v[3:4], v[3:4], v[6:7], v[83:84]
	v_fma_f64 v[1:2], v[1:2], v[6:7], -v[8:9]
	s_delay_alu instid0(VALU_DEP_4) | instskip(NEXT) | instid1(VALU_DEP_4)
	v_add_f64_e32 v[6:7], v[75:76], v[71:72]
	v_add_f64_e32 v[8:9], v[10:11], v[73:74]
	s_delay_alu instid0(VALU_DEP_2) | instskip(NEXT) | instid1(VALU_DEP_2)
	v_add_f64_e32 v[1:2], v[6:7], v[1:2]
	v_add_f64_e32 v[3:4], v[8:9], v[3:4]
	s_delay_alu instid0(VALU_DEP_2) | instskip(NEXT) | instid1(VALU_DEP_2)
	v_add_f64_e64 v[1:2], v[111:112], -v[1:2]
	v_add_f64_e64 v[3:4], v[113:114], -v[3:4]
	scratch_store_b128 off, v[1:4], off offset:144
	v_cmpx_lt_u32_e32 7, v0
	s_cbranch_execz .LBB28_173
; %bb.172:
	scratch_load_b128 v[1:4], off, s11
	v_mov_b32_e32 v6, 0
	s_delay_alu instid0(VALU_DEP_1)
	v_dual_mov_b32 v7, v6 :: v_dual_mov_b32 v8, v6
	v_mov_b32_e32 v9, v6
	scratch_store_b128 off, v[6:9], off offset:128
	s_wait_loadcnt 0x0
	ds_store_b128 v5, v[1:4]
.LBB28_173:
	s_wait_alu 0xfffe
	s_or_b32 exec_lo, exec_lo, s0
	s_wait_storecnt_dscnt 0x0
	s_barrier_signal -1
	s_barrier_wait -1
	global_inv scope:SCOPE_SE
	s_clause 0x7
	scratch_load_b128 v[6:9], off, off offset:144
	scratch_load_b128 v[71:74], off, off offset:160
	;; [unrolled: 1-line block ×8, first 2 shown]
	v_mov_b32_e32 v1, 0
	s_mov_b32 s0, exec_lo
	ds_load_b128 v[99:102], v1 offset:592
	s_clause 0x1
	scratch_load_b128 v[103:106], off, off offset:272
	scratch_load_b128 v[107:110], off, off offset:128
	ds_load_b128 v[111:114], v1 offset:608
	ds_load_b128 v[119:122], v1 offset:640
	s_wait_loadcnt_dscnt 0x902
	v_mul_f64_e32 v[2:3], v[101:102], v[8:9]
	v_mul_f64_e32 v[115:116], v[99:100], v[8:9]
	scratch_load_b128 v[8:11], off, off offset:288
	v_fma_f64 v[2:3], v[99:100], v[6:7], -v[2:3]
	v_fma_f64 v[6:7], v[101:102], v[6:7], v[115:116]
	ds_load_b128 v[99:102], v1 offset:624
	s_wait_loadcnt_dscnt 0x902
	v_mul_f64_e32 v[123:124], v[111:112], v[73:74]
	v_mul_f64_e32 v[73:74], v[113:114], v[73:74]
	scratch_load_b128 v[115:118], off, off offset:304
	s_wait_loadcnt_dscnt 0x900
	v_mul_f64_e32 v[125:126], v[99:100], v[77:78]
	v_mul_f64_e32 v[77:78], v[101:102], v[77:78]
	v_add_f64_e32 v[2:3], 0, v[2:3]
	v_add_f64_e32 v[6:7], 0, v[6:7]
	v_fma_f64 v[113:114], v[113:114], v[71:72], v[123:124]
	v_fma_f64 v[111:112], v[111:112], v[71:72], -v[73:74]
	scratch_load_b128 v[71:74], off, off offset:320
	v_fma_f64 v[125:126], v[101:102], v[75:76], v[125:126]
	v_fma_f64 v[127:128], v[99:100], v[75:76], -v[77:78]
	ds_load_b128 v[75:78], v1 offset:656
	s_wait_loadcnt 0x9
	v_mul_f64_e32 v[123:124], v[119:120], v[81:82]
	v_mul_f64_e32 v[81:82], v[121:122], v[81:82]
	scratch_load_b128 v[99:102], off, off offset:336
	v_add_f64_e32 v[6:7], v[6:7], v[113:114]
	v_add_f64_e32 v[2:3], v[2:3], v[111:112]
	ds_load_b128 v[111:114], v1 offset:672
	s_wait_loadcnt_dscnt 0x901
	v_mul_f64_e32 v[129:130], v[75:76], v[85:86]
	v_mul_f64_e32 v[85:86], v[77:78], v[85:86]
	v_fma_f64 v[121:122], v[121:122], v[79:80], v[123:124]
	v_fma_f64 v[119:120], v[119:120], v[79:80], -v[81:82]
	scratch_load_b128 v[79:82], off, off offset:352
	v_add_f64_e32 v[6:7], v[6:7], v[125:126]
	v_add_f64_e32 v[2:3], v[2:3], v[127:128]
	v_fma_f64 v[125:126], v[77:78], v[83:84], v[129:130]
	v_fma_f64 v[127:128], v[75:76], v[83:84], -v[85:86]
	ds_load_b128 v[75:78], v1 offset:688
	s_wait_loadcnt_dscnt 0x901
	v_mul_f64_e32 v[123:124], v[111:112], v[89:90]
	v_mul_f64_e32 v[89:90], v[113:114], v[89:90]
	scratch_load_b128 v[83:86], off, off offset:368
	s_wait_loadcnt_dscnt 0x900
	v_mul_f64_e32 v[129:130], v[75:76], v[93:94]
	v_mul_f64_e32 v[93:94], v[77:78], v[93:94]
	v_add_f64_e32 v[6:7], v[6:7], v[121:122]
	v_add_f64_e32 v[2:3], v[2:3], v[119:120]
	ds_load_b128 v[119:122], v1 offset:704
	v_fma_f64 v[113:114], v[113:114], v[87:88], v[123:124]
	v_fma_f64 v[111:112], v[111:112], v[87:88], -v[89:90]
	scratch_load_b128 v[87:90], off, off offset:384
	v_add_f64_e32 v[6:7], v[6:7], v[125:126]
	v_add_f64_e32 v[2:3], v[2:3], v[127:128]
	v_fma_f64 v[125:126], v[77:78], v[91:92], v[129:130]
	v_fma_f64 v[127:128], v[75:76], v[91:92], -v[93:94]
	ds_load_b128 v[75:78], v1 offset:720
	s_wait_loadcnt_dscnt 0x901
	v_mul_f64_e32 v[123:124], v[119:120], v[97:98]
	v_mul_f64_e32 v[97:98], v[121:122], v[97:98]
	scratch_load_b128 v[91:94], off, off offset:400
	s_wait_loadcnt_dscnt 0x900
	v_mul_f64_e32 v[129:130], v[75:76], v[105:106]
	v_mul_f64_e32 v[105:106], v[77:78], v[105:106]
	v_add_f64_e32 v[6:7], v[6:7], v[113:114]
	v_add_f64_e32 v[2:3], v[2:3], v[111:112]
	ds_load_b128 v[111:114], v1 offset:736
	v_fma_f64 v[121:122], v[121:122], v[95:96], v[123:124]
	v_fma_f64 v[119:120], v[119:120], v[95:96], -v[97:98]
	scratch_load_b128 v[95:98], off, off offset:416
	v_add_f64_e32 v[6:7], v[6:7], v[125:126]
	v_add_f64_e32 v[2:3], v[2:3], v[127:128]
	v_fma_f64 v[125:126], v[77:78], v[103:104], v[129:130]
	v_fma_f64 v[127:128], v[75:76], v[103:104], -v[105:106]
	ds_load_b128 v[75:78], v1 offset:752
	scratch_load_b128 v[103:106], off, off offset:432
	s_wait_loadcnt_dscnt 0x901
	v_mul_f64_e32 v[123:124], v[111:112], v[10:11]
	v_mul_f64_e32 v[10:11], v[113:114], v[10:11]
	v_add_f64_e32 v[6:7], v[6:7], v[121:122]
	v_add_f64_e32 v[2:3], v[2:3], v[119:120]
	ds_load_b128 v[119:122], v1 offset:768
	v_fma_f64 v[113:114], v[113:114], v[8:9], v[123:124]
	v_fma_f64 v[10:11], v[111:112], v[8:9], -v[10:11]
	s_wait_loadcnt_dscnt 0x801
	v_mul_f64_e32 v[129:130], v[75:76], v[117:118]
	v_mul_f64_e32 v[117:118], v[77:78], v[117:118]
	v_add_f64_e32 v[111:112], v[6:7], v[125:126]
	v_add_f64_e32 v[2:3], v[2:3], v[127:128]
	scratch_load_b128 v[6:9], off, off offset:448
	v_fma_f64 v[77:78], v[77:78], v[115:116], v[129:130]
	v_fma_f64 v[127:128], v[75:76], v[115:116], -v[117:118]
	ds_load_b128 v[115:118], v1 offset:800
	s_wait_loadcnt_dscnt 0x801
	v_mul_f64_e32 v[123:124], v[119:120], v[73:74]
	v_mul_f64_e32 v[125:126], v[121:122], v[73:74]
	ds_load_b128 v[73:76], v1 offset:784
	v_add_f64_e32 v[2:3], v[2:3], v[10:11]
	v_add_f64_e32 v[10:11], v[111:112], v[113:114]
	scratch_load_b128 v[111:114], off, off offset:464
	s_wait_loadcnt_dscnt 0x800
	v_mul_f64_e32 v[129:130], v[73:74], v[101:102]
	v_mul_f64_e32 v[101:102], v[75:76], v[101:102]
	v_fma_f64 v[121:122], v[121:122], v[71:72], v[123:124]
	v_fma_f64 v[71:72], v[119:120], v[71:72], -v[125:126]
	v_add_f64_e32 v[2:3], v[2:3], v[127:128]
	v_add_f64_e32 v[10:11], v[10:11], v[77:78]
	s_wait_loadcnt 0x7
	v_mul_f64_e32 v[119:120], v[115:116], v[81:82]
	v_mul_f64_e32 v[81:82], v[117:118], v[81:82]
	v_fma_f64 v[123:124], v[75:76], v[99:100], v[129:130]
	v_fma_f64 v[99:100], v[73:74], v[99:100], -v[101:102]
	v_add_f64_e32 v[2:3], v[2:3], v[71:72]
	v_add_f64_e32 v[10:11], v[10:11], v[121:122]
	ds_load_b128 v[71:74], v1 offset:816
	ds_load_b128 v[75:78], v1 offset:832
	v_fma_f64 v[117:118], v[117:118], v[79:80], v[119:120]
	v_fma_f64 v[79:80], v[115:116], v[79:80], -v[81:82]
	s_wait_loadcnt_dscnt 0x601
	v_mul_f64_e32 v[101:102], v[71:72], v[85:86]
	v_mul_f64_e32 v[85:86], v[73:74], v[85:86]
	v_add_f64_e32 v[2:3], v[2:3], v[99:100]
	v_add_f64_e32 v[10:11], v[10:11], v[123:124]
	s_wait_loadcnt_dscnt 0x500
	v_mul_f64_e32 v[99:100], v[75:76], v[89:90]
	v_mul_f64_e32 v[89:90], v[77:78], v[89:90]
	v_fma_f64 v[101:102], v[73:74], v[83:84], v[101:102]
	v_fma_f64 v[83:84], v[71:72], v[83:84], -v[85:86]
	v_add_f64_e32 v[2:3], v[2:3], v[79:80]
	v_add_f64_e32 v[10:11], v[10:11], v[117:118]
	ds_load_b128 v[71:74], v1 offset:848
	ds_load_b128 v[79:82], v1 offset:864
	v_fma_f64 v[77:78], v[77:78], v[87:88], v[99:100]
	v_fma_f64 v[75:76], v[75:76], v[87:88], -v[89:90]
	s_wait_loadcnt_dscnt 0x401
	v_mul_f64_e32 v[85:86], v[71:72], v[93:94]
	v_mul_f64_e32 v[93:94], v[73:74], v[93:94]
	s_wait_loadcnt_dscnt 0x300
	v_mul_f64_e32 v[87:88], v[81:82], v[97:98]
	v_add_f64_e32 v[2:3], v[2:3], v[83:84]
	v_add_f64_e32 v[10:11], v[10:11], v[101:102]
	v_mul_f64_e32 v[83:84], v[79:80], v[97:98]
	v_fma_f64 v[85:86], v[73:74], v[91:92], v[85:86]
	v_fma_f64 v[89:90], v[71:72], v[91:92], -v[93:94]
	v_fma_f64 v[79:80], v[79:80], v[95:96], -v[87:88]
	v_add_f64_e32 v[2:3], v[2:3], v[75:76]
	v_add_f64_e32 v[10:11], v[10:11], v[77:78]
	ds_load_b128 v[71:74], v1 offset:880
	ds_load_b128 v[75:78], v1 offset:896
	v_fma_f64 v[81:82], v[81:82], v[95:96], v[83:84]
	s_wait_loadcnt_dscnt 0x201
	v_mul_f64_e32 v[91:92], v[71:72], v[105:106]
	v_mul_f64_e32 v[93:94], v[73:74], v[105:106]
	v_add_f64_e32 v[2:3], v[2:3], v[89:90]
	v_add_f64_e32 v[10:11], v[10:11], v[85:86]
	s_wait_loadcnt_dscnt 0x100
	v_mul_f64_e32 v[83:84], v[75:76], v[8:9]
	v_mul_f64_e32 v[85:86], v[77:78], v[8:9]
	v_fma_f64 v[73:74], v[73:74], v[103:104], v[91:92]
	v_fma_f64 v[71:72], v[71:72], v[103:104], -v[93:94]
	v_add_f64_e32 v[2:3], v[2:3], v[79:80]
	v_add_f64_e32 v[79:80], v[10:11], v[81:82]
	ds_load_b128 v[8:11], v1 offset:912
	v_fma_f64 v[77:78], v[77:78], v[6:7], v[83:84]
	v_fma_f64 v[6:7], v[75:76], v[6:7], -v[85:86]
	s_wait_loadcnt_dscnt 0x0
	v_mul_f64_e32 v[81:82], v[8:9], v[113:114]
	v_mul_f64_e32 v[87:88], v[10:11], v[113:114]
	v_add_f64_e32 v[2:3], v[2:3], v[71:72]
	v_add_f64_e32 v[71:72], v[79:80], v[73:74]
	s_delay_alu instid0(VALU_DEP_4) | instskip(NEXT) | instid1(VALU_DEP_4)
	v_fma_f64 v[10:11], v[10:11], v[111:112], v[81:82]
	v_fma_f64 v[8:9], v[8:9], v[111:112], -v[87:88]
	s_delay_alu instid0(VALU_DEP_4) | instskip(NEXT) | instid1(VALU_DEP_4)
	v_add_f64_e32 v[2:3], v[2:3], v[6:7]
	v_add_f64_e32 v[6:7], v[71:72], v[77:78]
	s_delay_alu instid0(VALU_DEP_2) | instskip(NEXT) | instid1(VALU_DEP_2)
	v_add_f64_e32 v[2:3], v[2:3], v[8:9]
	v_add_f64_e32 v[8:9], v[6:7], v[10:11]
	s_delay_alu instid0(VALU_DEP_2) | instskip(NEXT) | instid1(VALU_DEP_2)
	v_add_f64_e64 v[6:7], v[107:108], -v[2:3]
	v_add_f64_e64 v[8:9], v[109:110], -v[8:9]
	scratch_store_b128 off, v[6:9], off offset:128
	v_cmpx_lt_u32_e32 6, v0
	s_cbranch_execz .LBB28_175
; %bb.174:
	scratch_load_b128 v[6:9], off, s12
	v_dual_mov_b32 v2, v1 :: v_dual_mov_b32 v3, v1
	v_mov_b32_e32 v4, v1
	scratch_store_b128 off, v[1:4], off offset:112
	s_wait_loadcnt 0x0
	ds_store_b128 v5, v[6:9]
.LBB28_175:
	s_wait_alu 0xfffe
	s_or_b32 exec_lo, exec_lo, s0
	s_wait_storecnt_dscnt 0x0
	s_barrier_signal -1
	s_barrier_wait -1
	global_inv scope:SCOPE_SE
	s_clause 0x8
	scratch_load_b128 v[6:9], off, off offset:128
	scratch_load_b128 v[71:74], off, off offset:144
	;; [unrolled: 1-line block ×9, first 2 shown]
	ds_load_b128 v[103:106], v1 offset:576
	ds_load_b128 v[107:110], v1 offset:592
	scratch_load_b128 v[111:114], off, off offset:112
	s_mov_b32 s0, exec_lo
	ds_load_b128 v[119:122], v1 offset:624
	s_wait_loadcnt_dscnt 0x902
	v_mul_f64_e32 v[2:3], v[105:106], v[8:9]
	v_mul_f64_e32 v[115:116], v[103:104], v[8:9]
	scratch_load_b128 v[8:11], off, off offset:272
	s_wait_loadcnt_dscnt 0x901
	v_mul_f64_e32 v[123:124], v[107:108], v[73:74]
	v_mul_f64_e32 v[73:74], v[109:110], v[73:74]
	v_fma_f64 v[2:3], v[103:104], v[6:7], -v[2:3]
	v_fma_f64 v[6:7], v[105:106], v[6:7], v[115:116]
	ds_load_b128 v[103:106], v1 offset:608
	scratch_load_b128 v[115:118], off, off offset:288
	v_fma_f64 v[109:110], v[109:110], v[71:72], v[123:124]
	v_fma_f64 v[107:108], v[107:108], v[71:72], -v[73:74]
	scratch_load_b128 v[71:74], off, off offset:304
	s_wait_loadcnt_dscnt 0x901
	v_mul_f64_e32 v[123:124], v[119:120], v[81:82]
	v_mul_f64_e32 v[81:82], v[121:122], v[81:82]
	s_wait_dscnt 0x0
	v_mul_f64_e32 v[125:126], v[103:104], v[77:78]
	v_mul_f64_e32 v[77:78], v[105:106], v[77:78]
	v_add_f64_e32 v[2:3], 0, v[2:3]
	v_add_f64_e32 v[6:7], 0, v[6:7]
	v_fma_f64 v[121:122], v[121:122], v[79:80], v[123:124]
	v_fma_f64 v[119:120], v[119:120], v[79:80], -v[81:82]
	scratch_load_b128 v[79:82], off, off offset:336
	v_fma_f64 v[125:126], v[105:106], v[75:76], v[125:126]
	v_fma_f64 v[127:128], v[103:104], v[75:76], -v[77:78]
	ds_load_b128 v[75:78], v1 offset:640
	scratch_load_b128 v[103:106], off, off offset:320
	v_add_f64_e32 v[2:3], v[2:3], v[107:108]
	v_add_f64_e32 v[6:7], v[6:7], v[109:110]
	ds_load_b128 v[107:110], v1 offset:656
	s_wait_loadcnt_dscnt 0xa01
	v_mul_f64_e32 v[129:130], v[75:76], v[85:86]
	v_mul_f64_e32 v[85:86], v[77:78], v[85:86]
	s_wait_loadcnt_dscnt 0x900
	v_mul_f64_e32 v[123:124], v[107:108], v[89:90]
	v_mul_f64_e32 v[89:90], v[109:110], v[89:90]
	v_add_f64_e32 v[2:3], v[2:3], v[127:128]
	v_add_f64_e32 v[6:7], v[6:7], v[125:126]
	v_fma_f64 v[125:126], v[77:78], v[83:84], v[129:130]
	v_fma_f64 v[127:128], v[75:76], v[83:84], -v[85:86]
	ds_load_b128 v[75:78], v1 offset:672
	scratch_load_b128 v[83:86], off, off offset:352
	v_fma_f64 v[109:110], v[109:110], v[87:88], v[123:124]
	v_fma_f64 v[107:108], v[107:108], v[87:88], -v[89:90]
	scratch_load_b128 v[87:90], off, off offset:368
	v_add_f64_e32 v[2:3], v[2:3], v[119:120]
	v_add_f64_e32 v[6:7], v[6:7], v[121:122]
	ds_load_b128 v[119:122], v1 offset:688
	s_wait_loadcnt_dscnt 0xa01
	v_mul_f64_e32 v[129:130], v[75:76], v[93:94]
	v_mul_f64_e32 v[93:94], v[77:78], v[93:94]
	s_wait_loadcnt_dscnt 0x900
	v_mul_f64_e32 v[123:124], v[119:120], v[97:98]
	v_mul_f64_e32 v[97:98], v[121:122], v[97:98]
	v_add_f64_e32 v[2:3], v[2:3], v[127:128]
	v_add_f64_e32 v[6:7], v[6:7], v[125:126]
	v_fma_f64 v[125:126], v[77:78], v[91:92], v[129:130]
	v_fma_f64 v[127:128], v[75:76], v[91:92], -v[93:94]
	ds_load_b128 v[75:78], v1 offset:704
	scratch_load_b128 v[91:94], off, off offset:384
	v_fma_f64 v[121:122], v[121:122], v[95:96], v[123:124]
	v_fma_f64 v[119:120], v[119:120], v[95:96], -v[97:98]
	scratch_load_b128 v[95:98], off, off offset:400
	v_add_f64_e32 v[2:3], v[2:3], v[107:108]
	v_add_f64_e32 v[6:7], v[6:7], v[109:110]
	ds_load_b128 v[107:110], v1 offset:720
	s_wait_loadcnt_dscnt 0xa01
	v_mul_f64_e32 v[129:130], v[75:76], v[101:102]
	v_mul_f64_e32 v[101:102], v[77:78], v[101:102]
	v_add_f64_e32 v[2:3], v[2:3], v[127:128]
	v_add_f64_e32 v[6:7], v[6:7], v[125:126]
	s_delay_alu instid0(VALU_DEP_4) | instskip(NEXT) | instid1(VALU_DEP_4)
	v_fma_f64 v[125:126], v[77:78], v[99:100], v[129:130]
	v_fma_f64 v[127:128], v[75:76], v[99:100], -v[101:102]
	ds_load_b128 v[75:78], v1 offset:736
	scratch_load_b128 v[99:102], off, off offset:416
	s_wait_loadcnt_dscnt 0x901
	v_mul_f64_e32 v[123:124], v[107:108], v[10:11]
	v_mul_f64_e32 v[10:11], v[109:110], v[10:11]
	v_add_f64_e32 v[2:3], v[2:3], v[119:120]
	v_add_f64_e32 v[6:7], v[6:7], v[121:122]
	ds_load_b128 v[119:122], v1 offset:752
	v_fma_f64 v[109:110], v[109:110], v[8:9], v[123:124]
	s_wait_loadcnt_dscnt 0x801
	v_mul_f64_e32 v[129:130], v[75:76], v[117:118]
	v_mul_f64_e32 v[117:118], v[77:78], v[117:118]
	v_fma_f64 v[10:11], v[107:108], v[8:9], -v[10:11]
	s_wait_loadcnt_dscnt 0x700
	v_mul_f64_e32 v[123:124], v[119:120], v[73:74]
	v_add_f64_e32 v[2:3], v[2:3], v[127:128]
	v_add_f64_e32 v[107:108], v[6:7], v[125:126]
	scratch_load_b128 v[6:9], off, off offset:432
	v_mul_f64_e32 v[125:126], v[121:122], v[73:74]
	v_fma_f64 v[77:78], v[77:78], v[115:116], v[129:130]
	v_fma_f64 v[127:128], v[75:76], v[115:116], -v[117:118]
	ds_load_b128 v[73:76], v1 offset:768
	ds_load_b128 v[115:118], v1 offset:784
	v_fma_f64 v[123:124], v[121:122], v[71:72], v[123:124]
	v_add_f64_e32 v[2:3], v[2:3], v[10:11]
	v_add_f64_e32 v[10:11], v[107:108], v[109:110]
	scratch_load_b128 v[107:110], off, off offset:448
	s_wait_loadcnt_dscnt 0x701
	v_mul_f64_e32 v[129:130], v[73:74], v[105:106]
	v_mul_f64_e32 v[105:106], v[75:76], v[105:106]
	v_fma_f64 v[71:72], v[119:120], v[71:72], -v[125:126]
	scratch_load_b128 v[119:122], off, off offset:464
	s_wait_dscnt 0x0
	v_mul_f64_e32 v[125:126], v[115:116], v[81:82]
	v_mul_f64_e32 v[81:82], v[117:118], v[81:82]
	v_add_f64_e32 v[2:3], v[2:3], v[127:128]
	v_add_f64_e32 v[10:11], v[10:11], v[77:78]
	v_fma_f64 v[127:128], v[75:76], v[103:104], v[129:130]
	v_fma_f64 v[103:104], v[73:74], v[103:104], -v[105:106]
	v_fma_f64 v[117:118], v[117:118], v[79:80], v[125:126]
	v_fma_f64 v[79:80], v[115:116], v[79:80], -v[81:82]
	v_add_f64_e32 v[2:3], v[2:3], v[71:72]
	v_add_f64_e32 v[10:11], v[10:11], v[123:124]
	ds_load_b128 v[71:74], v1 offset:800
	ds_load_b128 v[75:78], v1 offset:816
	s_wait_loadcnt_dscnt 0x701
	v_mul_f64_e32 v[105:106], v[71:72], v[85:86]
	v_mul_f64_e32 v[85:86], v[73:74], v[85:86]
	v_add_f64_e32 v[2:3], v[2:3], v[103:104]
	v_add_f64_e32 v[10:11], v[10:11], v[127:128]
	s_wait_loadcnt_dscnt 0x600
	v_mul_f64_e32 v[103:104], v[75:76], v[89:90]
	v_mul_f64_e32 v[89:90], v[77:78], v[89:90]
	v_fma_f64 v[105:106], v[73:74], v[83:84], v[105:106]
	v_fma_f64 v[83:84], v[71:72], v[83:84], -v[85:86]
	v_add_f64_e32 v[2:3], v[2:3], v[79:80]
	v_add_f64_e32 v[10:11], v[10:11], v[117:118]
	ds_load_b128 v[71:74], v1 offset:832
	ds_load_b128 v[79:82], v1 offset:848
	v_fma_f64 v[77:78], v[77:78], v[87:88], v[103:104]
	v_fma_f64 v[75:76], v[75:76], v[87:88], -v[89:90]
	s_wait_loadcnt_dscnt 0x501
	v_mul_f64_e32 v[85:86], v[71:72], v[93:94]
	v_mul_f64_e32 v[93:94], v[73:74], v[93:94]
	s_wait_loadcnt_dscnt 0x400
	v_mul_f64_e32 v[87:88], v[81:82], v[97:98]
	v_add_f64_e32 v[2:3], v[2:3], v[83:84]
	v_add_f64_e32 v[10:11], v[10:11], v[105:106]
	v_mul_f64_e32 v[83:84], v[79:80], v[97:98]
	v_fma_f64 v[85:86], v[73:74], v[91:92], v[85:86]
	v_fma_f64 v[89:90], v[71:72], v[91:92], -v[93:94]
	v_fma_f64 v[79:80], v[79:80], v[95:96], -v[87:88]
	v_add_f64_e32 v[2:3], v[2:3], v[75:76]
	v_add_f64_e32 v[10:11], v[10:11], v[77:78]
	ds_load_b128 v[71:74], v1 offset:864
	ds_load_b128 v[75:78], v1 offset:880
	v_fma_f64 v[81:82], v[81:82], v[95:96], v[83:84]
	s_wait_loadcnt_dscnt 0x301
	v_mul_f64_e32 v[91:92], v[71:72], v[101:102]
	v_mul_f64_e32 v[93:94], v[73:74], v[101:102]
	v_add_f64_e32 v[2:3], v[2:3], v[89:90]
	v_add_f64_e32 v[10:11], v[10:11], v[85:86]
	s_wait_loadcnt_dscnt 0x200
	v_mul_f64_e32 v[83:84], v[75:76], v[8:9]
	v_mul_f64_e32 v[85:86], v[77:78], v[8:9]
	v_fma_f64 v[73:74], v[73:74], v[99:100], v[91:92]
	v_fma_f64 v[71:72], v[71:72], v[99:100], -v[93:94]
	v_add_f64_e32 v[79:80], v[2:3], v[79:80]
	v_add_f64_e32 v[81:82], v[10:11], v[81:82]
	ds_load_b128 v[8:11], v1 offset:896
	ds_load_b128 v[1:4], v1 offset:912
	v_fma_f64 v[77:78], v[77:78], v[6:7], v[83:84]
	v_fma_f64 v[6:7], v[75:76], v[6:7], -v[85:86]
	s_wait_loadcnt_dscnt 0x101
	v_mul_f64_e32 v[87:88], v[8:9], v[109:110]
	v_mul_f64_e32 v[89:90], v[10:11], v[109:110]
	s_wait_loadcnt_dscnt 0x0
	v_mul_f64_e32 v[75:76], v[1:2], v[121:122]
	v_add_f64_e32 v[71:72], v[79:80], v[71:72]
	v_add_f64_e32 v[73:74], v[81:82], v[73:74]
	v_mul_f64_e32 v[79:80], v[3:4], v[121:122]
	v_fma_f64 v[10:11], v[10:11], v[107:108], v[87:88]
	v_fma_f64 v[8:9], v[8:9], v[107:108], -v[89:90]
	v_fma_f64 v[3:4], v[3:4], v[119:120], v[75:76]
	v_add_f64_e32 v[6:7], v[71:72], v[6:7]
	v_add_f64_e32 v[71:72], v[73:74], v[77:78]
	v_fma_f64 v[1:2], v[1:2], v[119:120], -v[79:80]
	s_delay_alu instid0(VALU_DEP_3) | instskip(NEXT) | instid1(VALU_DEP_3)
	v_add_f64_e32 v[6:7], v[6:7], v[8:9]
	v_add_f64_e32 v[8:9], v[71:72], v[10:11]
	s_delay_alu instid0(VALU_DEP_2) | instskip(NEXT) | instid1(VALU_DEP_2)
	v_add_f64_e32 v[1:2], v[6:7], v[1:2]
	v_add_f64_e32 v[3:4], v[8:9], v[3:4]
	s_delay_alu instid0(VALU_DEP_2) | instskip(NEXT) | instid1(VALU_DEP_2)
	v_add_f64_e64 v[1:2], v[111:112], -v[1:2]
	v_add_f64_e64 v[3:4], v[113:114], -v[3:4]
	scratch_store_b128 off, v[1:4], off offset:112
	v_cmpx_lt_u32_e32 5, v0
	s_cbranch_execz .LBB28_177
; %bb.176:
	scratch_load_b128 v[1:4], off, s13
	v_mov_b32_e32 v6, 0
	s_delay_alu instid0(VALU_DEP_1)
	v_dual_mov_b32 v7, v6 :: v_dual_mov_b32 v8, v6
	v_mov_b32_e32 v9, v6
	scratch_store_b128 off, v[6:9], off offset:96
	s_wait_loadcnt 0x0
	ds_store_b128 v5, v[1:4]
.LBB28_177:
	s_wait_alu 0xfffe
	s_or_b32 exec_lo, exec_lo, s0
	s_wait_storecnt_dscnt 0x0
	s_barrier_signal -1
	s_barrier_wait -1
	global_inv scope:SCOPE_SE
	s_clause 0x7
	scratch_load_b128 v[6:9], off, off offset:112
	scratch_load_b128 v[71:74], off, off offset:128
	;; [unrolled: 1-line block ×8, first 2 shown]
	v_mov_b32_e32 v1, 0
	s_mov_b32 s0, exec_lo
	ds_load_b128 v[99:102], v1 offset:560
	s_clause 0x1
	scratch_load_b128 v[103:106], off, off offset:240
	scratch_load_b128 v[107:110], off, off offset:96
	ds_load_b128 v[111:114], v1 offset:576
	ds_load_b128 v[119:122], v1 offset:608
	s_wait_loadcnt_dscnt 0x902
	v_mul_f64_e32 v[2:3], v[101:102], v[8:9]
	v_mul_f64_e32 v[115:116], v[99:100], v[8:9]
	scratch_load_b128 v[8:11], off, off offset:256
	v_fma_f64 v[2:3], v[99:100], v[6:7], -v[2:3]
	v_fma_f64 v[6:7], v[101:102], v[6:7], v[115:116]
	ds_load_b128 v[99:102], v1 offset:592
	s_wait_loadcnt_dscnt 0x902
	v_mul_f64_e32 v[123:124], v[111:112], v[73:74]
	v_mul_f64_e32 v[73:74], v[113:114], v[73:74]
	scratch_load_b128 v[115:118], off, off offset:272
	s_wait_loadcnt_dscnt 0x900
	v_mul_f64_e32 v[125:126], v[99:100], v[77:78]
	v_mul_f64_e32 v[77:78], v[101:102], v[77:78]
	v_add_f64_e32 v[2:3], 0, v[2:3]
	v_add_f64_e32 v[6:7], 0, v[6:7]
	v_fma_f64 v[113:114], v[113:114], v[71:72], v[123:124]
	v_fma_f64 v[111:112], v[111:112], v[71:72], -v[73:74]
	scratch_load_b128 v[71:74], off, off offset:288
	v_fma_f64 v[125:126], v[101:102], v[75:76], v[125:126]
	v_fma_f64 v[127:128], v[99:100], v[75:76], -v[77:78]
	ds_load_b128 v[75:78], v1 offset:624
	s_wait_loadcnt 0x9
	v_mul_f64_e32 v[123:124], v[119:120], v[81:82]
	v_mul_f64_e32 v[81:82], v[121:122], v[81:82]
	scratch_load_b128 v[99:102], off, off offset:304
	v_add_f64_e32 v[6:7], v[6:7], v[113:114]
	v_add_f64_e32 v[2:3], v[2:3], v[111:112]
	ds_load_b128 v[111:114], v1 offset:640
	s_wait_loadcnt_dscnt 0x901
	v_mul_f64_e32 v[129:130], v[75:76], v[85:86]
	v_mul_f64_e32 v[85:86], v[77:78], v[85:86]
	v_fma_f64 v[121:122], v[121:122], v[79:80], v[123:124]
	v_fma_f64 v[119:120], v[119:120], v[79:80], -v[81:82]
	scratch_load_b128 v[79:82], off, off offset:320
	v_add_f64_e32 v[6:7], v[6:7], v[125:126]
	v_add_f64_e32 v[2:3], v[2:3], v[127:128]
	v_fma_f64 v[125:126], v[77:78], v[83:84], v[129:130]
	v_fma_f64 v[127:128], v[75:76], v[83:84], -v[85:86]
	ds_load_b128 v[75:78], v1 offset:656
	s_wait_loadcnt_dscnt 0x901
	v_mul_f64_e32 v[123:124], v[111:112], v[89:90]
	v_mul_f64_e32 v[89:90], v[113:114], v[89:90]
	scratch_load_b128 v[83:86], off, off offset:336
	s_wait_loadcnt_dscnt 0x900
	v_mul_f64_e32 v[129:130], v[75:76], v[93:94]
	v_mul_f64_e32 v[93:94], v[77:78], v[93:94]
	v_add_f64_e32 v[6:7], v[6:7], v[121:122]
	v_add_f64_e32 v[2:3], v[2:3], v[119:120]
	ds_load_b128 v[119:122], v1 offset:672
	v_fma_f64 v[113:114], v[113:114], v[87:88], v[123:124]
	v_fma_f64 v[111:112], v[111:112], v[87:88], -v[89:90]
	scratch_load_b128 v[87:90], off, off offset:352
	v_add_f64_e32 v[6:7], v[6:7], v[125:126]
	v_add_f64_e32 v[2:3], v[2:3], v[127:128]
	v_fma_f64 v[125:126], v[77:78], v[91:92], v[129:130]
	v_fma_f64 v[127:128], v[75:76], v[91:92], -v[93:94]
	ds_load_b128 v[75:78], v1 offset:688
	s_wait_loadcnt_dscnt 0x901
	v_mul_f64_e32 v[123:124], v[119:120], v[97:98]
	v_mul_f64_e32 v[97:98], v[121:122], v[97:98]
	scratch_load_b128 v[91:94], off, off offset:368
	s_wait_loadcnt_dscnt 0x900
	v_mul_f64_e32 v[129:130], v[75:76], v[105:106]
	v_mul_f64_e32 v[105:106], v[77:78], v[105:106]
	v_add_f64_e32 v[6:7], v[6:7], v[113:114]
	v_add_f64_e32 v[2:3], v[2:3], v[111:112]
	ds_load_b128 v[111:114], v1 offset:704
	v_fma_f64 v[121:122], v[121:122], v[95:96], v[123:124]
	v_fma_f64 v[119:120], v[119:120], v[95:96], -v[97:98]
	scratch_load_b128 v[95:98], off, off offset:384
	v_add_f64_e32 v[6:7], v[6:7], v[125:126]
	v_add_f64_e32 v[2:3], v[2:3], v[127:128]
	v_fma_f64 v[125:126], v[77:78], v[103:104], v[129:130]
	v_fma_f64 v[127:128], v[75:76], v[103:104], -v[105:106]
	ds_load_b128 v[75:78], v1 offset:720
	scratch_load_b128 v[103:106], off, off offset:400
	s_wait_loadcnt_dscnt 0x901
	v_mul_f64_e32 v[123:124], v[111:112], v[10:11]
	v_mul_f64_e32 v[10:11], v[113:114], v[10:11]
	v_add_f64_e32 v[6:7], v[6:7], v[121:122]
	v_add_f64_e32 v[2:3], v[2:3], v[119:120]
	ds_load_b128 v[119:122], v1 offset:736
	v_fma_f64 v[113:114], v[113:114], v[8:9], v[123:124]
	v_fma_f64 v[10:11], v[111:112], v[8:9], -v[10:11]
	s_wait_loadcnt_dscnt 0x801
	v_mul_f64_e32 v[129:130], v[75:76], v[117:118]
	v_mul_f64_e32 v[117:118], v[77:78], v[117:118]
	v_add_f64_e32 v[111:112], v[6:7], v[125:126]
	v_add_f64_e32 v[2:3], v[2:3], v[127:128]
	scratch_load_b128 v[6:9], off, off offset:416
	v_fma_f64 v[77:78], v[77:78], v[115:116], v[129:130]
	v_fma_f64 v[127:128], v[75:76], v[115:116], -v[117:118]
	ds_load_b128 v[115:118], v1 offset:768
	s_wait_loadcnt_dscnt 0x801
	v_mul_f64_e32 v[123:124], v[119:120], v[73:74]
	v_mul_f64_e32 v[125:126], v[121:122], v[73:74]
	ds_load_b128 v[73:76], v1 offset:752
	v_add_f64_e32 v[2:3], v[2:3], v[10:11]
	v_add_f64_e32 v[10:11], v[111:112], v[113:114]
	scratch_load_b128 v[111:114], off, off offset:432
	s_wait_loadcnt_dscnt 0x800
	v_mul_f64_e32 v[129:130], v[73:74], v[101:102]
	v_mul_f64_e32 v[101:102], v[75:76], v[101:102]
	v_fma_f64 v[123:124], v[121:122], v[71:72], v[123:124]
	v_fma_f64 v[71:72], v[119:120], v[71:72], -v[125:126]
	scratch_load_b128 v[119:122], off, off offset:448
	v_add_f64_e32 v[2:3], v[2:3], v[127:128]
	v_add_f64_e32 v[10:11], v[10:11], v[77:78]
	s_wait_loadcnt 0x8
	v_mul_f64_e32 v[125:126], v[115:116], v[81:82]
	v_mul_f64_e32 v[81:82], v[117:118], v[81:82]
	v_fma_f64 v[127:128], v[75:76], v[99:100], v[129:130]
	v_fma_f64 v[129:130], v[73:74], v[99:100], -v[101:102]
	scratch_load_b128 v[75:78], off, off offset:464
	ds_load_b128 v[99:102], v1 offset:800
	v_add_f64_e32 v[2:3], v[2:3], v[71:72]
	v_add_f64_e32 v[10:11], v[10:11], v[123:124]
	ds_load_b128 v[71:74], v1 offset:784
	v_fma_f64 v[117:118], v[117:118], v[79:80], v[125:126]
	v_fma_f64 v[79:80], v[115:116], v[79:80], -v[81:82]
	s_wait_loadcnt_dscnt 0x800
	v_mul_f64_e32 v[123:124], v[71:72], v[85:86]
	v_mul_f64_e32 v[85:86], v[73:74], v[85:86]
	s_wait_loadcnt 0x7
	v_mul_f64_e32 v[115:116], v[99:100], v[89:90]
	v_mul_f64_e32 v[89:90], v[101:102], v[89:90]
	v_add_f64_e32 v[2:3], v[2:3], v[129:130]
	v_add_f64_e32 v[10:11], v[10:11], v[127:128]
	v_fma_f64 v[123:124], v[73:74], v[83:84], v[123:124]
	v_fma_f64 v[83:84], v[71:72], v[83:84], -v[85:86]
	v_fma_f64 v[101:102], v[101:102], v[87:88], v[115:116]
	v_fma_f64 v[87:88], v[99:100], v[87:88], -v[89:90]
	v_add_f64_e32 v[2:3], v[2:3], v[79:80]
	v_add_f64_e32 v[10:11], v[10:11], v[117:118]
	ds_load_b128 v[71:74], v1 offset:816
	ds_load_b128 v[79:82], v1 offset:832
	s_wait_loadcnt_dscnt 0x601
	v_mul_f64_e32 v[85:86], v[71:72], v[93:94]
	v_mul_f64_e32 v[93:94], v[73:74], v[93:94]
	s_wait_loadcnt_dscnt 0x500
	v_mul_f64_e32 v[89:90], v[79:80], v[97:98]
	v_mul_f64_e32 v[97:98], v[81:82], v[97:98]
	v_add_f64_e32 v[2:3], v[2:3], v[83:84]
	v_add_f64_e32 v[10:11], v[10:11], v[123:124]
	v_fma_f64 v[99:100], v[73:74], v[91:92], v[85:86]
	v_fma_f64 v[91:92], v[71:72], v[91:92], -v[93:94]
	ds_load_b128 v[71:74], v1 offset:848
	ds_load_b128 v[83:86], v1 offset:864
	v_fma_f64 v[81:82], v[81:82], v[95:96], v[89:90]
	v_fma_f64 v[79:80], v[79:80], v[95:96], -v[97:98]
	v_add_f64_e32 v[2:3], v[2:3], v[87:88]
	v_add_f64_e32 v[10:11], v[10:11], v[101:102]
	s_wait_loadcnt_dscnt 0x401
	v_mul_f64_e32 v[87:88], v[71:72], v[105:106]
	v_mul_f64_e32 v[93:94], v[73:74], v[105:106]
	s_delay_alu instid0(VALU_DEP_4) | instskip(NEXT) | instid1(VALU_DEP_4)
	v_add_f64_e32 v[2:3], v[2:3], v[91:92]
	v_add_f64_e32 v[10:11], v[10:11], v[99:100]
	s_delay_alu instid0(VALU_DEP_4) | instskip(NEXT) | instid1(VALU_DEP_4)
	v_fma_f64 v[87:88], v[73:74], v[103:104], v[87:88]
	v_fma_f64 v[93:94], v[71:72], v[103:104], -v[93:94]
	s_wait_loadcnt_dscnt 0x300
	v_mul_f64_e32 v[89:90], v[83:84], v[8:9]
	v_mul_f64_e32 v[91:92], v[85:86], v[8:9]
	v_add_f64_e32 v[2:3], v[2:3], v[79:80]
	v_add_f64_e32 v[79:80], v[10:11], v[81:82]
	ds_load_b128 v[8:11], v1 offset:880
	ds_load_b128 v[71:74], v1 offset:896
	v_fma_f64 v[85:86], v[85:86], v[6:7], v[89:90]
	v_fma_f64 v[6:7], v[83:84], v[6:7], -v[91:92]
	s_wait_loadcnt_dscnt 0x201
	v_mul_f64_e32 v[81:82], v[8:9], v[113:114]
	v_mul_f64_e32 v[95:96], v[10:11], v[113:114]
	s_wait_loadcnt_dscnt 0x100
	v_mul_f64_e32 v[83:84], v[71:72], v[121:122]
	v_add_f64_e32 v[2:3], v[2:3], v[93:94]
	v_add_f64_e32 v[79:80], v[79:80], v[87:88]
	v_mul_f64_e32 v[87:88], v[73:74], v[121:122]
	v_fma_f64 v[10:11], v[10:11], v[111:112], v[81:82]
	v_fma_f64 v[81:82], v[8:9], v[111:112], -v[95:96]
	v_fma_f64 v[73:74], v[73:74], v[119:120], v[83:84]
	v_add_f64_e32 v[2:3], v[2:3], v[6:7]
	v_add_f64_e32 v[79:80], v[79:80], v[85:86]
	ds_load_b128 v[6:9], v1 offset:912
	v_fma_f64 v[71:72], v[71:72], v[119:120], -v[87:88]
	s_wait_loadcnt_dscnt 0x0
	v_mul_f64_e32 v[85:86], v[6:7], v[77:78]
	v_mul_f64_e32 v[77:78], v[8:9], v[77:78]
	v_add_f64_e32 v[2:3], v[2:3], v[81:82]
	v_add_f64_e32 v[10:11], v[79:80], v[10:11]
	s_delay_alu instid0(VALU_DEP_4) | instskip(NEXT) | instid1(VALU_DEP_4)
	v_fma_f64 v[8:9], v[8:9], v[75:76], v[85:86]
	v_fma_f64 v[6:7], v[6:7], v[75:76], -v[77:78]
	s_delay_alu instid0(VALU_DEP_4) | instskip(NEXT) | instid1(VALU_DEP_4)
	v_add_f64_e32 v[2:3], v[2:3], v[71:72]
	v_add_f64_e32 v[10:11], v[10:11], v[73:74]
	s_delay_alu instid0(VALU_DEP_2) | instskip(NEXT) | instid1(VALU_DEP_2)
	v_add_f64_e32 v[2:3], v[2:3], v[6:7]
	v_add_f64_e32 v[8:9], v[10:11], v[8:9]
	s_delay_alu instid0(VALU_DEP_2) | instskip(NEXT) | instid1(VALU_DEP_2)
	v_add_f64_e64 v[6:7], v[107:108], -v[2:3]
	v_add_f64_e64 v[8:9], v[109:110], -v[8:9]
	scratch_store_b128 off, v[6:9], off offset:96
	v_cmpx_lt_u32_e32 4, v0
	s_cbranch_execz .LBB28_179
; %bb.178:
	scratch_load_b128 v[6:9], off, s4
	v_dual_mov_b32 v2, v1 :: v_dual_mov_b32 v3, v1
	v_mov_b32_e32 v4, v1
	scratch_store_b128 off, v[1:4], off offset:80
	s_wait_loadcnt 0x0
	ds_store_b128 v5, v[6:9]
.LBB28_179:
	s_wait_alu 0xfffe
	s_or_b32 exec_lo, exec_lo, s0
	s_wait_storecnt_dscnt 0x0
	s_barrier_signal -1
	s_barrier_wait -1
	global_inv scope:SCOPE_SE
	s_clause 0x8
	scratch_load_b128 v[6:9], off, off offset:96
	scratch_load_b128 v[71:74], off, off offset:112
	;; [unrolled: 1-line block ×9, first 2 shown]
	ds_load_b128 v[103:106], v1 offset:544
	ds_load_b128 v[107:110], v1 offset:560
	scratch_load_b128 v[111:114], off, off offset:80
	s_mov_b32 s0, exec_lo
	ds_load_b128 v[119:122], v1 offset:592
	s_wait_loadcnt_dscnt 0x902
	v_mul_f64_e32 v[2:3], v[105:106], v[8:9]
	v_mul_f64_e32 v[115:116], v[103:104], v[8:9]
	scratch_load_b128 v[8:11], off, off offset:240
	s_wait_loadcnt_dscnt 0x901
	v_mul_f64_e32 v[123:124], v[107:108], v[73:74]
	v_mul_f64_e32 v[73:74], v[109:110], v[73:74]
	v_fma_f64 v[2:3], v[103:104], v[6:7], -v[2:3]
	v_fma_f64 v[6:7], v[105:106], v[6:7], v[115:116]
	ds_load_b128 v[103:106], v1 offset:576
	scratch_load_b128 v[115:118], off, off offset:256
	v_fma_f64 v[109:110], v[109:110], v[71:72], v[123:124]
	v_fma_f64 v[107:108], v[107:108], v[71:72], -v[73:74]
	scratch_load_b128 v[71:74], off, off offset:272
	s_wait_loadcnt_dscnt 0x901
	v_mul_f64_e32 v[123:124], v[119:120], v[81:82]
	v_mul_f64_e32 v[81:82], v[121:122], v[81:82]
	s_wait_dscnt 0x0
	v_mul_f64_e32 v[125:126], v[103:104], v[77:78]
	v_mul_f64_e32 v[77:78], v[105:106], v[77:78]
	v_add_f64_e32 v[2:3], 0, v[2:3]
	v_add_f64_e32 v[6:7], 0, v[6:7]
	v_fma_f64 v[121:122], v[121:122], v[79:80], v[123:124]
	v_fma_f64 v[119:120], v[119:120], v[79:80], -v[81:82]
	scratch_load_b128 v[79:82], off, off offset:304
	v_fma_f64 v[125:126], v[105:106], v[75:76], v[125:126]
	v_fma_f64 v[127:128], v[103:104], v[75:76], -v[77:78]
	ds_load_b128 v[75:78], v1 offset:608
	scratch_load_b128 v[103:106], off, off offset:288
	v_add_f64_e32 v[2:3], v[2:3], v[107:108]
	v_add_f64_e32 v[6:7], v[6:7], v[109:110]
	ds_load_b128 v[107:110], v1 offset:624
	s_wait_loadcnt_dscnt 0xa01
	v_mul_f64_e32 v[129:130], v[75:76], v[85:86]
	v_mul_f64_e32 v[85:86], v[77:78], v[85:86]
	s_wait_loadcnt_dscnt 0x900
	v_mul_f64_e32 v[123:124], v[107:108], v[89:90]
	v_mul_f64_e32 v[89:90], v[109:110], v[89:90]
	v_add_f64_e32 v[2:3], v[2:3], v[127:128]
	v_add_f64_e32 v[6:7], v[6:7], v[125:126]
	v_fma_f64 v[125:126], v[77:78], v[83:84], v[129:130]
	v_fma_f64 v[127:128], v[75:76], v[83:84], -v[85:86]
	ds_load_b128 v[75:78], v1 offset:640
	scratch_load_b128 v[83:86], off, off offset:320
	v_fma_f64 v[109:110], v[109:110], v[87:88], v[123:124]
	v_fma_f64 v[107:108], v[107:108], v[87:88], -v[89:90]
	scratch_load_b128 v[87:90], off, off offset:336
	v_add_f64_e32 v[2:3], v[2:3], v[119:120]
	v_add_f64_e32 v[6:7], v[6:7], v[121:122]
	ds_load_b128 v[119:122], v1 offset:656
	s_wait_loadcnt_dscnt 0xa01
	v_mul_f64_e32 v[129:130], v[75:76], v[93:94]
	v_mul_f64_e32 v[93:94], v[77:78], v[93:94]
	s_wait_loadcnt_dscnt 0x900
	v_mul_f64_e32 v[123:124], v[119:120], v[97:98]
	v_mul_f64_e32 v[97:98], v[121:122], v[97:98]
	v_add_f64_e32 v[2:3], v[2:3], v[127:128]
	v_add_f64_e32 v[6:7], v[6:7], v[125:126]
	v_fma_f64 v[125:126], v[77:78], v[91:92], v[129:130]
	v_fma_f64 v[127:128], v[75:76], v[91:92], -v[93:94]
	ds_load_b128 v[75:78], v1 offset:672
	scratch_load_b128 v[91:94], off, off offset:352
	v_fma_f64 v[121:122], v[121:122], v[95:96], v[123:124]
	v_fma_f64 v[119:120], v[119:120], v[95:96], -v[97:98]
	scratch_load_b128 v[95:98], off, off offset:368
	v_add_f64_e32 v[2:3], v[2:3], v[107:108]
	v_add_f64_e32 v[6:7], v[6:7], v[109:110]
	ds_load_b128 v[107:110], v1 offset:688
	s_wait_loadcnt_dscnt 0xa01
	v_mul_f64_e32 v[129:130], v[75:76], v[101:102]
	v_mul_f64_e32 v[101:102], v[77:78], v[101:102]
	v_add_f64_e32 v[2:3], v[2:3], v[127:128]
	v_add_f64_e32 v[6:7], v[6:7], v[125:126]
	s_delay_alu instid0(VALU_DEP_4) | instskip(NEXT) | instid1(VALU_DEP_4)
	v_fma_f64 v[125:126], v[77:78], v[99:100], v[129:130]
	v_fma_f64 v[127:128], v[75:76], v[99:100], -v[101:102]
	ds_load_b128 v[75:78], v1 offset:704
	scratch_load_b128 v[99:102], off, off offset:384
	s_wait_loadcnt_dscnt 0x901
	v_mul_f64_e32 v[123:124], v[107:108], v[10:11]
	v_mul_f64_e32 v[10:11], v[109:110], v[10:11]
	v_add_f64_e32 v[2:3], v[2:3], v[119:120]
	v_add_f64_e32 v[6:7], v[6:7], v[121:122]
	ds_load_b128 v[119:122], v1 offset:720
	v_fma_f64 v[109:110], v[109:110], v[8:9], v[123:124]
	s_wait_loadcnt_dscnt 0x801
	v_mul_f64_e32 v[129:130], v[75:76], v[117:118]
	v_mul_f64_e32 v[117:118], v[77:78], v[117:118]
	v_fma_f64 v[10:11], v[107:108], v[8:9], -v[10:11]
	s_wait_loadcnt_dscnt 0x700
	v_mul_f64_e32 v[123:124], v[119:120], v[73:74]
	v_add_f64_e32 v[2:3], v[2:3], v[127:128]
	v_add_f64_e32 v[107:108], v[6:7], v[125:126]
	scratch_load_b128 v[6:9], off, off offset:400
	v_mul_f64_e32 v[125:126], v[121:122], v[73:74]
	v_fma_f64 v[77:78], v[77:78], v[115:116], v[129:130]
	v_fma_f64 v[127:128], v[75:76], v[115:116], -v[117:118]
	ds_load_b128 v[73:76], v1 offset:736
	ds_load_b128 v[115:118], v1 offset:752
	v_fma_f64 v[123:124], v[121:122], v[71:72], v[123:124]
	v_add_f64_e32 v[2:3], v[2:3], v[10:11]
	v_add_f64_e32 v[10:11], v[107:108], v[109:110]
	scratch_load_b128 v[107:110], off, off offset:416
	s_wait_loadcnt_dscnt 0x701
	v_mul_f64_e32 v[129:130], v[73:74], v[105:106]
	v_mul_f64_e32 v[105:106], v[75:76], v[105:106]
	v_fma_f64 v[71:72], v[119:120], v[71:72], -v[125:126]
	scratch_load_b128 v[119:122], off, off offset:432
	s_wait_dscnt 0x0
	v_mul_f64_e32 v[125:126], v[115:116], v[81:82]
	v_mul_f64_e32 v[81:82], v[117:118], v[81:82]
	v_add_f64_e32 v[2:3], v[2:3], v[127:128]
	v_add_f64_e32 v[10:11], v[10:11], v[77:78]
	v_fma_f64 v[127:128], v[75:76], v[103:104], v[129:130]
	v_fma_f64 v[129:130], v[73:74], v[103:104], -v[105:106]
	scratch_load_b128 v[75:78], off, off offset:448
	ds_load_b128 v[103:106], v1 offset:784
	v_fma_f64 v[117:118], v[117:118], v[79:80], v[125:126]
	v_fma_f64 v[115:116], v[115:116], v[79:80], -v[81:82]
	scratch_load_b128 v[79:82], off, off offset:464
	v_add_f64_e32 v[2:3], v[2:3], v[71:72]
	v_add_f64_e32 v[10:11], v[10:11], v[123:124]
	ds_load_b128 v[71:74], v1 offset:768
	s_wait_loadcnt_dscnt 0x801
	v_mul_f64_e32 v[125:126], v[103:104], v[89:90]
	v_mul_f64_e32 v[89:90], v[105:106], v[89:90]
	s_wait_dscnt 0x0
	v_mul_f64_e32 v[123:124], v[71:72], v[85:86]
	v_mul_f64_e32 v[85:86], v[73:74], v[85:86]
	v_add_f64_e32 v[2:3], v[2:3], v[129:130]
	v_add_f64_e32 v[10:11], v[10:11], v[127:128]
	v_fma_f64 v[105:106], v[105:106], v[87:88], v[125:126]
	v_fma_f64 v[87:88], v[103:104], v[87:88], -v[89:90]
	v_fma_f64 v[123:124], v[73:74], v[83:84], v[123:124]
	v_fma_f64 v[127:128], v[71:72], v[83:84], -v[85:86]
	ds_load_b128 v[71:74], v1 offset:800
	ds_load_b128 v[83:86], v1 offset:816
	v_add_f64_e32 v[2:3], v[2:3], v[115:116]
	v_add_f64_e32 v[10:11], v[10:11], v[117:118]
	s_wait_loadcnt_dscnt 0x701
	v_mul_f64_e32 v[115:116], v[71:72], v[93:94]
	v_mul_f64_e32 v[93:94], v[73:74], v[93:94]
	s_wait_loadcnt_dscnt 0x600
	v_mul_f64_e32 v[103:104], v[83:84], v[97:98]
	v_mul_f64_e32 v[97:98], v[85:86], v[97:98]
	v_add_f64_e32 v[2:3], v[2:3], v[127:128]
	v_add_f64_e32 v[10:11], v[10:11], v[123:124]
	v_fma_f64 v[115:116], v[73:74], v[91:92], v[115:116]
	v_fma_f64 v[91:92], v[71:72], v[91:92], -v[93:94]
	v_fma_f64 v[85:86], v[85:86], v[95:96], v[103:104]
	v_fma_f64 v[83:84], v[83:84], v[95:96], -v[97:98]
	v_add_f64_e32 v[2:3], v[2:3], v[87:88]
	v_add_f64_e32 v[10:11], v[10:11], v[105:106]
	ds_load_b128 v[71:74], v1 offset:832
	ds_load_b128 v[87:90], v1 offset:848
	s_wait_loadcnt_dscnt 0x501
	v_mul_f64_e32 v[93:94], v[71:72], v[101:102]
	v_mul_f64_e32 v[101:102], v[73:74], v[101:102]
	v_add_f64_e32 v[2:3], v[2:3], v[91:92]
	v_add_f64_e32 v[10:11], v[10:11], v[115:116]
	s_wait_loadcnt_dscnt 0x400
	v_mul_f64_e32 v[91:92], v[87:88], v[8:9]
	v_mul_f64_e32 v[95:96], v[89:90], v[8:9]
	v_fma_f64 v[93:94], v[73:74], v[99:100], v[93:94]
	v_fma_f64 v[97:98], v[71:72], v[99:100], -v[101:102]
	v_add_f64_e32 v[2:3], v[2:3], v[83:84]
	v_add_f64_e32 v[83:84], v[10:11], v[85:86]
	ds_load_b128 v[8:11], v1 offset:864
	ds_load_b128 v[71:74], v1 offset:880
	v_fma_f64 v[89:90], v[89:90], v[6:7], v[91:92]
	v_fma_f64 v[6:7], v[87:88], v[6:7], -v[95:96]
	s_wait_loadcnt_dscnt 0x301
	v_mul_f64_e32 v[85:86], v[8:9], v[109:110]
	v_mul_f64_e32 v[99:100], v[10:11], v[109:110]
	s_wait_loadcnt_dscnt 0x200
	v_mul_f64_e32 v[87:88], v[71:72], v[121:122]
	v_mul_f64_e32 v[91:92], v[73:74], v[121:122]
	v_add_f64_e32 v[2:3], v[2:3], v[97:98]
	v_add_f64_e32 v[83:84], v[83:84], v[93:94]
	v_fma_f64 v[10:11], v[10:11], v[107:108], v[85:86]
	v_fma_f64 v[85:86], v[8:9], v[107:108], -v[99:100]
	v_fma_f64 v[73:74], v[73:74], v[119:120], v[87:88]
	v_fma_f64 v[71:72], v[71:72], v[119:120], -v[91:92]
	v_add_f64_e32 v[93:94], v[2:3], v[6:7]
	v_add_f64_e32 v[83:84], v[83:84], v[89:90]
	ds_load_b128 v[6:9], v1 offset:896
	ds_load_b128 v[1:4], v1 offset:912
	s_wait_loadcnt_dscnt 0x101
	v_mul_f64_e32 v[89:90], v[6:7], v[77:78]
	v_mul_f64_e32 v[77:78], v[8:9], v[77:78]
	v_add_f64_e32 v[85:86], v[93:94], v[85:86]
	v_add_f64_e32 v[10:11], v[83:84], v[10:11]
	s_wait_loadcnt_dscnt 0x0
	v_mul_f64_e32 v[83:84], v[1:2], v[81:82]
	v_mul_f64_e32 v[81:82], v[3:4], v[81:82]
	v_fma_f64 v[8:9], v[8:9], v[75:76], v[89:90]
	v_fma_f64 v[6:7], v[6:7], v[75:76], -v[77:78]
	v_add_f64_e32 v[71:72], v[85:86], v[71:72]
	v_add_f64_e32 v[10:11], v[10:11], v[73:74]
	v_fma_f64 v[3:4], v[3:4], v[79:80], v[83:84]
	v_fma_f64 v[1:2], v[1:2], v[79:80], -v[81:82]
	s_delay_alu instid0(VALU_DEP_4) | instskip(NEXT) | instid1(VALU_DEP_4)
	v_add_f64_e32 v[6:7], v[71:72], v[6:7]
	v_add_f64_e32 v[8:9], v[10:11], v[8:9]
	s_delay_alu instid0(VALU_DEP_2) | instskip(NEXT) | instid1(VALU_DEP_2)
	v_add_f64_e32 v[1:2], v[6:7], v[1:2]
	v_add_f64_e32 v[3:4], v[8:9], v[3:4]
	s_delay_alu instid0(VALU_DEP_2) | instskip(NEXT) | instid1(VALU_DEP_2)
	v_add_f64_e64 v[1:2], v[111:112], -v[1:2]
	v_add_f64_e64 v[3:4], v[113:114], -v[3:4]
	scratch_store_b128 off, v[1:4], off offset:80
	v_cmpx_lt_u32_e32 3, v0
	s_cbranch_execz .LBB28_181
; %bb.180:
	scratch_load_b128 v[1:4], off, s5
	v_mov_b32_e32 v6, 0
	s_delay_alu instid0(VALU_DEP_1)
	v_dual_mov_b32 v7, v6 :: v_dual_mov_b32 v8, v6
	v_mov_b32_e32 v9, v6
	scratch_store_b128 off, v[6:9], off offset:64
	s_wait_loadcnt 0x0
	ds_store_b128 v5, v[1:4]
.LBB28_181:
	s_wait_alu 0xfffe
	s_or_b32 exec_lo, exec_lo, s0
	s_wait_storecnt_dscnt 0x0
	s_barrier_signal -1
	s_barrier_wait -1
	global_inv scope:SCOPE_SE
	s_clause 0x7
	scratch_load_b128 v[6:9], off, off offset:80
	scratch_load_b128 v[71:74], off, off offset:96
	;; [unrolled: 1-line block ×8, first 2 shown]
	v_mov_b32_e32 v1, 0
	s_mov_b32 s0, exec_lo
	ds_load_b128 v[99:102], v1 offset:528
	s_clause 0x1
	scratch_load_b128 v[103:106], off, off offset:208
	scratch_load_b128 v[107:110], off, off offset:64
	ds_load_b128 v[111:114], v1 offset:544
	ds_load_b128 v[119:122], v1 offset:576
	s_wait_loadcnt_dscnt 0x902
	v_mul_f64_e32 v[2:3], v[101:102], v[8:9]
	v_mul_f64_e32 v[115:116], v[99:100], v[8:9]
	scratch_load_b128 v[8:11], off, off offset:224
	v_fma_f64 v[2:3], v[99:100], v[6:7], -v[2:3]
	v_fma_f64 v[6:7], v[101:102], v[6:7], v[115:116]
	ds_load_b128 v[99:102], v1 offset:560
	s_wait_loadcnt_dscnt 0x902
	v_mul_f64_e32 v[123:124], v[111:112], v[73:74]
	v_mul_f64_e32 v[73:74], v[113:114], v[73:74]
	scratch_load_b128 v[115:118], off, off offset:240
	s_wait_loadcnt_dscnt 0x900
	v_mul_f64_e32 v[125:126], v[99:100], v[77:78]
	v_mul_f64_e32 v[77:78], v[101:102], v[77:78]
	v_add_f64_e32 v[2:3], 0, v[2:3]
	v_add_f64_e32 v[6:7], 0, v[6:7]
	v_fma_f64 v[113:114], v[113:114], v[71:72], v[123:124]
	v_fma_f64 v[111:112], v[111:112], v[71:72], -v[73:74]
	scratch_load_b128 v[71:74], off, off offset:256
	v_fma_f64 v[125:126], v[101:102], v[75:76], v[125:126]
	v_fma_f64 v[127:128], v[99:100], v[75:76], -v[77:78]
	ds_load_b128 v[75:78], v1 offset:592
	s_wait_loadcnt 0x9
	v_mul_f64_e32 v[123:124], v[119:120], v[81:82]
	v_mul_f64_e32 v[81:82], v[121:122], v[81:82]
	scratch_load_b128 v[99:102], off, off offset:272
	v_add_f64_e32 v[6:7], v[6:7], v[113:114]
	v_add_f64_e32 v[2:3], v[2:3], v[111:112]
	ds_load_b128 v[111:114], v1 offset:608
	s_wait_loadcnt_dscnt 0x901
	v_mul_f64_e32 v[129:130], v[75:76], v[85:86]
	v_mul_f64_e32 v[85:86], v[77:78], v[85:86]
	v_fma_f64 v[121:122], v[121:122], v[79:80], v[123:124]
	v_fma_f64 v[119:120], v[119:120], v[79:80], -v[81:82]
	scratch_load_b128 v[79:82], off, off offset:288
	v_add_f64_e32 v[6:7], v[6:7], v[125:126]
	v_add_f64_e32 v[2:3], v[2:3], v[127:128]
	v_fma_f64 v[125:126], v[77:78], v[83:84], v[129:130]
	v_fma_f64 v[127:128], v[75:76], v[83:84], -v[85:86]
	ds_load_b128 v[75:78], v1 offset:624
	s_wait_loadcnt_dscnt 0x901
	v_mul_f64_e32 v[123:124], v[111:112], v[89:90]
	v_mul_f64_e32 v[89:90], v[113:114], v[89:90]
	scratch_load_b128 v[83:86], off, off offset:304
	s_wait_loadcnt_dscnt 0x900
	v_mul_f64_e32 v[129:130], v[75:76], v[93:94]
	v_mul_f64_e32 v[93:94], v[77:78], v[93:94]
	v_add_f64_e32 v[6:7], v[6:7], v[121:122]
	v_add_f64_e32 v[2:3], v[2:3], v[119:120]
	ds_load_b128 v[119:122], v1 offset:640
	v_fma_f64 v[113:114], v[113:114], v[87:88], v[123:124]
	v_fma_f64 v[111:112], v[111:112], v[87:88], -v[89:90]
	scratch_load_b128 v[87:90], off, off offset:320
	v_add_f64_e32 v[6:7], v[6:7], v[125:126]
	v_add_f64_e32 v[2:3], v[2:3], v[127:128]
	v_fma_f64 v[125:126], v[77:78], v[91:92], v[129:130]
	v_fma_f64 v[127:128], v[75:76], v[91:92], -v[93:94]
	ds_load_b128 v[75:78], v1 offset:656
	s_wait_loadcnt_dscnt 0x901
	v_mul_f64_e32 v[123:124], v[119:120], v[97:98]
	v_mul_f64_e32 v[97:98], v[121:122], v[97:98]
	scratch_load_b128 v[91:94], off, off offset:336
	s_wait_loadcnt_dscnt 0x900
	v_mul_f64_e32 v[129:130], v[75:76], v[105:106]
	v_mul_f64_e32 v[105:106], v[77:78], v[105:106]
	v_add_f64_e32 v[6:7], v[6:7], v[113:114]
	v_add_f64_e32 v[2:3], v[2:3], v[111:112]
	ds_load_b128 v[111:114], v1 offset:672
	v_fma_f64 v[121:122], v[121:122], v[95:96], v[123:124]
	v_fma_f64 v[119:120], v[119:120], v[95:96], -v[97:98]
	scratch_load_b128 v[95:98], off, off offset:352
	v_add_f64_e32 v[6:7], v[6:7], v[125:126]
	v_add_f64_e32 v[2:3], v[2:3], v[127:128]
	v_fma_f64 v[125:126], v[77:78], v[103:104], v[129:130]
	v_fma_f64 v[127:128], v[75:76], v[103:104], -v[105:106]
	ds_load_b128 v[75:78], v1 offset:688
	scratch_load_b128 v[103:106], off, off offset:368
	s_wait_loadcnt_dscnt 0x901
	v_mul_f64_e32 v[123:124], v[111:112], v[10:11]
	v_mul_f64_e32 v[10:11], v[113:114], v[10:11]
	v_add_f64_e32 v[6:7], v[6:7], v[121:122]
	v_add_f64_e32 v[2:3], v[2:3], v[119:120]
	ds_load_b128 v[119:122], v1 offset:704
	v_fma_f64 v[113:114], v[113:114], v[8:9], v[123:124]
	v_fma_f64 v[10:11], v[111:112], v[8:9], -v[10:11]
	s_wait_loadcnt_dscnt 0x801
	v_mul_f64_e32 v[129:130], v[75:76], v[117:118]
	v_mul_f64_e32 v[117:118], v[77:78], v[117:118]
	v_add_f64_e32 v[111:112], v[6:7], v[125:126]
	v_add_f64_e32 v[2:3], v[2:3], v[127:128]
	scratch_load_b128 v[6:9], off, off offset:384
	v_fma_f64 v[77:78], v[77:78], v[115:116], v[129:130]
	v_fma_f64 v[127:128], v[75:76], v[115:116], -v[117:118]
	ds_load_b128 v[115:118], v1 offset:736
	s_wait_loadcnt_dscnt 0x801
	v_mul_f64_e32 v[123:124], v[119:120], v[73:74]
	v_mul_f64_e32 v[125:126], v[121:122], v[73:74]
	ds_load_b128 v[73:76], v1 offset:720
	v_add_f64_e32 v[2:3], v[2:3], v[10:11]
	v_add_f64_e32 v[10:11], v[111:112], v[113:114]
	scratch_load_b128 v[111:114], off, off offset:400
	s_wait_loadcnt_dscnt 0x800
	v_mul_f64_e32 v[129:130], v[73:74], v[101:102]
	v_mul_f64_e32 v[101:102], v[75:76], v[101:102]
	v_fma_f64 v[123:124], v[121:122], v[71:72], v[123:124]
	v_fma_f64 v[71:72], v[119:120], v[71:72], -v[125:126]
	scratch_load_b128 v[119:122], off, off offset:416
	v_add_f64_e32 v[2:3], v[2:3], v[127:128]
	v_add_f64_e32 v[10:11], v[10:11], v[77:78]
	s_wait_loadcnt 0x8
	v_mul_f64_e32 v[125:126], v[115:116], v[81:82]
	v_mul_f64_e32 v[81:82], v[117:118], v[81:82]
	v_fma_f64 v[127:128], v[75:76], v[99:100], v[129:130]
	v_fma_f64 v[129:130], v[73:74], v[99:100], -v[101:102]
	scratch_load_b128 v[75:78], off, off offset:432
	ds_load_b128 v[99:102], v1 offset:768
	v_add_f64_e32 v[2:3], v[2:3], v[71:72]
	v_add_f64_e32 v[10:11], v[10:11], v[123:124]
	ds_load_b128 v[71:74], v1 offset:752
	v_fma_f64 v[117:118], v[117:118], v[79:80], v[125:126]
	v_fma_f64 v[115:116], v[115:116], v[79:80], -v[81:82]
	scratch_load_b128 v[79:82], off, off offset:448
	s_wait_loadcnt_dscnt 0x900
	v_mul_f64_e32 v[123:124], v[71:72], v[85:86]
	v_mul_f64_e32 v[85:86], v[73:74], v[85:86]
	s_wait_loadcnt 0x8
	v_mul_f64_e32 v[125:126], v[99:100], v[89:90]
	v_mul_f64_e32 v[89:90], v[101:102], v[89:90]
	v_add_f64_e32 v[2:3], v[2:3], v[129:130]
	v_add_f64_e32 v[10:11], v[10:11], v[127:128]
	v_fma_f64 v[123:124], v[73:74], v[83:84], v[123:124]
	v_fma_f64 v[127:128], v[71:72], v[83:84], -v[85:86]
	ds_load_b128 v[71:74], v1 offset:784
	scratch_load_b128 v[83:86], off, off offset:464
	v_fma_f64 v[101:102], v[101:102], v[87:88], v[125:126]
	v_fma_f64 v[87:88], v[99:100], v[87:88], -v[89:90]
	v_add_f64_e32 v[2:3], v[2:3], v[115:116]
	v_add_f64_e32 v[10:11], v[10:11], v[117:118]
	ds_load_b128 v[115:118], v1 offset:800
	s_wait_loadcnt_dscnt 0x801
	v_mul_f64_e32 v[129:130], v[71:72], v[93:94]
	v_mul_f64_e32 v[93:94], v[73:74], v[93:94]
	s_wait_loadcnt_dscnt 0x700
	v_mul_f64_e32 v[99:100], v[115:116], v[97:98]
	v_mul_f64_e32 v[97:98], v[117:118], v[97:98]
	v_add_f64_e32 v[2:3], v[2:3], v[127:128]
	v_add_f64_e32 v[10:11], v[10:11], v[123:124]
	v_fma_f64 v[123:124], v[73:74], v[91:92], v[129:130]
	v_fma_f64 v[91:92], v[71:72], v[91:92], -v[93:94]
	v_fma_f64 v[99:100], v[117:118], v[95:96], v[99:100]
	v_fma_f64 v[95:96], v[115:116], v[95:96], -v[97:98]
	v_add_f64_e32 v[2:3], v[2:3], v[87:88]
	v_add_f64_e32 v[10:11], v[10:11], v[101:102]
	ds_load_b128 v[71:74], v1 offset:816
	ds_load_b128 v[87:90], v1 offset:832
	s_wait_loadcnt_dscnt 0x601
	v_mul_f64_e32 v[93:94], v[71:72], v[105:106]
	v_mul_f64_e32 v[101:102], v[73:74], v[105:106]
	v_add_f64_e32 v[2:3], v[2:3], v[91:92]
	v_add_f64_e32 v[10:11], v[10:11], v[123:124]
	s_wait_loadcnt_dscnt 0x500
	v_mul_f64_e32 v[91:92], v[87:88], v[8:9]
	v_mul_f64_e32 v[97:98], v[89:90], v[8:9]
	v_fma_f64 v[93:94], v[73:74], v[103:104], v[93:94]
	v_fma_f64 v[101:102], v[71:72], v[103:104], -v[101:102]
	v_add_f64_e32 v[2:3], v[2:3], v[95:96]
	v_add_f64_e32 v[95:96], v[10:11], v[99:100]
	ds_load_b128 v[8:11], v1 offset:848
	ds_load_b128 v[71:74], v1 offset:864
	v_fma_f64 v[89:90], v[89:90], v[6:7], v[91:92]
	v_fma_f64 v[6:7], v[87:88], v[6:7], -v[97:98]
	s_wait_loadcnt_dscnt 0x401
	v_mul_f64_e32 v[99:100], v[8:9], v[113:114]
	v_mul_f64_e32 v[103:104], v[10:11], v[113:114]
	s_wait_loadcnt_dscnt 0x300
	v_mul_f64_e32 v[91:92], v[71:72], v[121:122]
	v_add_f64_e32 v[2:3], v[2:3], v[101:102]
	v_add_f64_e32 v[87:88], v[95:96], v[93:94]
	v_mul_f64_e32 v[93:94], v[73:74], v[121:122]
	v_fma_f64 v[10:11], v[10:11], v[111:112], v[99:100]
	v_fma_f64 v[95:96], v[8:9], v[111:112], -v[103:104]
	v_fma_f64 v[73:74], v[73:74], v[119:120], v[91:92]
	v_add_f64_e32 v[2:3], v[2:3], v[6:7]
	v_add_f64_e32 v[97:98], v[87:88], v[89:90]
	ds_load_b128 v[6:9], v1 offset:880
	ds_load_b128 v[87:90], v1 offset:896
	v_fma_f64 v[71:72], v[71:72], v[119:120], -v[93:94]
	s_wait_loadcnt_dscnt 0x201
	v_mul_f64_e32 v[99:100], v[6:7], v[77:78]
	v_mul_f64_e32 v[77:78], v[8:9], v[77:78]
	s_wait_loadcnt_dscnt 0x100
	v_mul_f64_e32 v[91:92], v[87:88], v[81:82]
	v_mul_f64_e32 v[81:82], v[89:90], v[81:82]
	v_add_f64_e32 v[2:3], v[2:3], v[95:96]
	v_add_f64_e32 v[10:11], v[97:98], v[10:11]
	v_fma_f64 v[93:94], v[8:9], v[75:76], v[99:100]
	v_fma_f64 v[75:76], v[6:7], v[75:76], -v[77:78]
	ds_load_b128 v[6:9], v1 offset:912
	v_fma_f64 v[77:78], v[89:90], v[79:80], v[91:92]
	v_fma_f64 v[79:80], v[87:88], v[79:80], -v[81:82]
	v_add_f64_e32 v[2:3], v[2:3], v[71:72]
	v_add_f64_e32 v[10:11], v[10:11], v[73:74]
	s_wait_loadcnt_dscnt 0x0
	v_mul_f64_e32 v[71:72], v[6:7], v[85:86]
	v_mul_f64_e32 v[73:74], v[8:9], v[85:86]
	s_delay_alu instid0(VALU_DEP_4) | instskip(NEXT) | instid1(VALU_DEP_4)
	v_add_f64_e32 v[2:3], v[2:3], v[75:76]
	v_add_f64_e32 v[10:11], v[10:11], v[93:94]
	s_delay_alu instid0(VALU_DEP_4) | instskip(NEXT) | instid1(VALU_DEP_4)
	v_fma_f64 v[8:9], v[8:9], v[83:84], v[71:72]
	v_fma_f64 v[6:7], v[6:7], v[83:84], -v[73:74]
	s_delay_alu instid0(VALU_DEP_4) | instskip(NEXT) | instid1(VALU_DEP_4)
	v_add_f64_e32 v[2:3], v[2:3], v[79:80]
	v_add_f64_e32 v[10:11], v[10:11], v[77:78]
	s_delay_alu instid0(VALU_DEP_2) | instskip(NEXT) | instid1(VALU_DEP_2)
	v_add_f64_e32 v[2:3], v[2:3], v[6:7]
	v_add_f64_e32 v[8:9], v[10:11], v[8:9]
	s_delay_alu instid0(VALU_DEP_2) | instskip(NEXT) | instid1(VALU_DEP_2)
	v_add_f64_e64 v[6:7], v[107:108], -v[2:3]
	v_add_f64_e64 v[8:9], v[109:110], -v[8:9]
	scratch_store_b128 off, v[6:9], off offset:64
	v_cmpx_lt_u32_e32 2, v0
	s_cbranch_execz .LBB28_183
; %bb.182:
	scratch_load_b128 v[6:9], off, s8
	v_dual_mov_b32 v2, v1 :: v_dual_mov_b32 v3, v1
	v_mov_b32_e32 v4, v1
	scratch_store_b128 off, v[1:4], off offset:48
	s_wait_loadcnt 0x0
	ds_store_b128 v5, v[6:9]
.LBB28_183:
	s_wait_alu 0xfffe
	s_or_b32 exec_lo, exec_lo, s0
	s_wait_storecnt_dscnt 0x0
	s_barrier_signal -1
	s_barrier_wait -1
	global_inv scope:SCOPE_SE
	s_clause 0x8
	scratch_load_b128 v[6:9], off, off offset:64
	scratch_load_b128 v[71:74], off, off offset:80
	;; [unrolled: 1-line block ×9, first 2 shown]
	ds_load_b128 v[103:106], v1 offset:512
	ds_load_b128 v[107:110], v1 offset:528
	scratch_load_b128 v[111:114], off, off offset:48
	s_mov_b32 s0, exec_lo
	ds_load_b128 v[119:122], v1 offset:560
	s_wait_loadcnt_dscnt 0x902
	v_mul_f64_e32 v[2:3], v[105:106], v[8:9]
	v_mul_f64_e32 v[115:116], v[103:104], v[8:9]
	scratch_load_b128 v[8:11], off, off offset:208
	s_wait_loadcnt_dscnt 0x901
	v_mul_f64_e32 v[123:124], v[107:108], v[73:74]
	v_mul_f64_e32 v[73:74], v[109:110], v[73:74]
	v_fma_f64 v[2:3], v[103:104], v[6:7], -v[2:3]
	v_fma_f64 v[6:7], v[105:106], v[6:7], v[115:116]
	ds_load_b128 v[103:106], v1 offset:544
	scratch_load_b128 v[115:118], off, off offset:224
	v_fma_f64 v[109:110], v[109:110], v[71:72], v[123:124]
	v_fma_f64 v[107:108], v[107:108], v[71:72], -v[73:74]
	scratch_load_b128 v[71:74], off, off offset:240
	s_wait_loadcnt_dscnt 0x901
	v_mul_f64_e32 v[123:124], v[119:120], v[81:82]
	v_mul_f64_e32 v[81:82], v[121:122], v[81:82]
	s_wait_dscnt 0x0
	v_mul_f64_e32 v[125:126], v[103:104], v[77:78]
	v_mul_f64_e32 v[77:78], v[105:106], v[77:78]
	v_add_f64_e32 v[2:3], 0, v[2:3]
	v_add_f64_e32 v[6:7], 0, v[6:7]
	v_fma_f64 v[121:122], v[121:122], v[79:80], v[123:124]
	v_fma_f64 v[119:120], v[119:120], v[79:80], -v[81:82]
	scratch_load_b128 v[79:82], off, off offset:272
	v_fma_f64 v[125:126], v[105:106], v[75:76], v[125:126]
	v_fma_f64 v[127:128], v[103:104], v[75:76], -v[77:78]
	ds_load_b128 v[75:78], v1 offset:576
	scratch_load_b128 v[103:106], off, off offset:256
	v_add_f64_e32 v[2:3], v[2:3], v[107:108]
	v_add_f64_e32 v[6:7], v[6:7], v[109:110]
	ds_load_b128 v[107:110], v1 offset:592
	s_wait_loadcnt_dscnt 0xa01
	v_mul_f64_e32 v[129:130], v[75:76], v[85:86]
	v_mul_f64_e32 v[85:86], v[77:78], v[85:86]
	s_wait_loadcnt_dscnt 0x900
	v_mul_f64_e32 v[123:124], v[107:108], v[89:90]
	v_mul_f64_e32 v[89:90], v[109:110], v[89:90]
	v_add_f64_e32 v[2:3], v[2:3], v[127:128]
	v_add_f64_e32 v[6:7], v[6:7], v[125:126]
	v_fma_f64 v[125:126], v[77:78], v[83:84], v[129:130]
	v_fma_f64 v[127:128], v[75:76], v[83:84], -v[85:86]
	ds_load_b128 v[75:78], v1 offset:608
	scratch_load_b128 v[83:86], off, off offset:288
	v_fma_f64 v[109:110], v[109:110], v[87:88], v[123:124]
	v_fma_f64 v[107:108], v[107:108], v[87:88], -v[89:90]
	scratch_load_b128 v[87:90], off, off offset:304
	v_add_f64_e32 v[2:3], v[2:3], v[119:120]
	v_add_f64_e32 v[6:7], v[6:7], v[121:122]
	ds_load_b128 v[119:122], v1 offset:624
	s_wait_loadcnt_dscnt 0xa01
	v_mul_f64_e32 v[129:130], v[75:76], v[93:94]
	v_mul_f64_e32 v[93:94], v[77:78], v[93:94]
	s_wait_loadcnt_dscnt 0x900
	v_mul_f64_e32 v[123:124], v[119:120], v[97:98]
	v_mul_f64_e32 v[97:98], v[121:122], v[97:98]
	v_add_f64_e32 v[2:3], v[2:3], v[127:128]
	v_add_f64_e32 v[6:7], v[6:7], v[125:126]
	v_fma_f64 v[125:126], v[77:78], v[91:92], v[129:130]
	v_fma_f64 v[127:128], v[75:76], v[91:92], -v[93:94]
	ds_load_b128 v[75:78], v1 offset:640
	scratch_load_b128 v[91:94], off, off offset:320
	v_fma_f64 v[121:122], v[121:122], v[95:96], v[123:124]
	v_fma_f64 v[119:120], v[119:120], v[95:96], -v[97:98]
	scratch_load_b128 v[95:98], off, off offset:336
	v_add_f64_e32 v[2:3], v[2:3], v[107:108]
	v_add_f64_e32 v[6:7], v[6:7], v[109:110]
	ds_load_b128 v[107:110], v1 offset:656
	s_wait_loadcnt_dscnt 0xa01
	v_mul_f64_e32 v[129:130], v[75:76], v[101:102]
	v_mul_f64_e32 v[101:102], v[77:78], v[101:102]
	v_add_f64_e32 v[2:3], v[2:3], v[127:128]
	v_add_f64_e32 v[6:7], v[6:7], v[125:126]
	s_delay_alu instid0(VALU_DEP_4) | instskip(NEXT) | instid1(VALU_DEP_4)
	v_fma_f64 v[125:126], v[77:78], v[99:100], v[129:130]
	v_fma_f64 v[127:128], v[75:76], v[99:100], -v[101:102]
	ds_load_b128 v[75:78], v1 offset:672
	scratch_load_b128 v[99:102], off, off offset:352
	s_wait_loadcnt_dscnt 0x901
	v_mul_f64_e32 v[123:124], v[107:108], v[10:11]
	v_mul_f64_e32 v[10:11], v[109:110], v[10:11]
	v_add_f64_e32 v[2:3], v[2:3], v[119:120]
	v_add_f64_e32 v[6:7], v[6:7], v[121:122]
	ds_load_b128 v[119:122], v1 offset:688
	v_fma_f64 v[109:110], v[109:110], v[8:9], v[123:124]
	s_wait_loadcnt_dscnt 0x801
	v_mul_f64_e32 v[129:130], v[75:76], v[117:118]
	v_mul_f64_e32 v[117:118], v[77:78], v[117:118]
	v_fma_f64 v[10:11], v[107:108], v[8:9], -v[10:11]
	s_wait_loadcnt_dscnt 0x700
	v_mul_f64_e32 v[123:124], v[119:120], v[73:74]
	v_add_f64_e32 v[2:3], v[2:3], v[127:128]
	v_add_f64_e32 v[107:108], v[6:7], v[125:126]
	scratch_load_b128 v[6:9], off, off offset:368
	v_mul_f64_e32 v[125:126], v[121:122], v[73:74]
	v_fma_f64 v[77:78], v[77:78], v[115:116], v[129:130]
	v_fma_f64 v[127:128], v[75:76], v[115:116], -v[117:118]
	ds_load_b128 v[73:76], v1 offset:704
	ds_load_b128 v[115:118], v1 offset:720
	v_fma_f64 v[123:124], v[121:122], v[71:72], v[123:124]
	v_add_f64_e32 v[2:3], v[2:3], v[10:11]
	v_add_f64_e32 v[10:11], v[107:108], v[109:110]
	scratch_load_b128 v[107:110], off, off offset:384
	s_wait_loadcnt_dscnt 0x701
	v_mul_f64_e32 v[129:130], v[73:74], v[105:106]
	v_mul_f64_e32 v[105:106], v[75:76], v[105:106]
	v_fma_f64 v[71:72], v[119:120], v[71:72], -v[125:126]
	scratch_load_b128 v[119:122], off, off offset:400
	s_wait_dscnt 0x0
	v_mul_f64_e32 v[125:126], v[115:116], v[81:82]
	v_mul_f64_e32 v[81:82], v[117:118], v[81:82]
	v_add_f64_e32 v[2:3], v[2:3], v[127:128]
	v_add_f64_e32 v[10:11], v[10:11], v[77:78]
	v_fma_f64 v[127:128], v[75:76], v[103:104], v[129:130]
	v_fma_f64 v[129:130], v[73:74], v[103:104], -v[105:106]
	scratch_load_b128 v[75:78], off, off offset:416
	ds_load_b128 v[103:106], v1 offset:752
	v_fma_f64 v[117:118], v[117:118], v[79:80], v[125:126]
	v_fma_f64 v[115:116], v[115:116], v[79:80], -v[81:82]
	scratch_load_b128 v[79:82], off, off offset:432
	v_add_f64_e32 v[2:3], v[2:3], v[71:72]
	v_add_f64_e32 v[10:11], v[10:11], v[123:124]
	ds_load_b128 v[71:74], v1 offset:736
	s_wait_loadcnt_dscnt 0x801
	v_mul_f64_e32 v[125:126], v[103:104], v[89:90]
	v_mul_f64_e32 v[89:90], v[105:106], v[89:90]
	s_wait_dscnt 0x0
	v_mul_f64_e32 v[123:124], v[71:72], v[85:86]
	v_mul_f64_e32 v[85:86], v[73:74], v[85:86]
	v_add_f64_e32 v[2:3], v[2:3], v[129:130]
	v_add_f64_e32 v[10:11], v[10:11], v[127:128]
	v_fma_f64 v[105:106], v[105:106], v[87:88], v[125:126]
	v_fma_f64 v[103:104], v[103:104], v[87:88], -v[89:90]
	scratch_load_b128 v[87:90], off, off offset:464
	v_fma_f64 v[123:124], v[73:74], v[83:84], v[123:124]
	v_fma_f64 v[127:128], v[71:72], v[83:84], -v[85:86]
	ds_load_b128 v[71:74], v1 offset:768
	scratch_load_b128 v[83:86], off, off offset:448
	v_add_f64_e32 v[2:3], v[2:3], v[115:116]
	v_add_f64_e32 v[10:11], v[10:11], v[117:118]
	ds_load_b128 v[115:118], v1 offset:784
	s_wait_loadcnt_dscnt 0x901
	v_mul_f64_e32 v[129:130], v[71:72], v[93:94]
	v_mul_f64_e32 v[93:94], v[73:74], v[93:94]
	v_add_f64_e32 v[2:3], v[2:3], v[127:128]
	v_add_f64_e32 v[10:11], v[10:11], v[123:124]
	s_wait_loadcnt_dscnt 0x800
	v_mul_f64_e32 v[123:124], v[115:116], v[97:98]
	v_mul_f64_e32 v[97:98], v[117:118], v[97:98]
	v_fma_f64 v[125:126], v[73:74], v[91:92], v[129:130]
	v_fma_f64 v[127:128], v[71:72], v[91:92], -v[93:94]
	ds_load_b128 v[71:74], v1 offset:800
	ds_load_b128 v[91:94], v1 offset:816
	v_add_f64_e32 v[2:3], v[2:3], v[103:104]
	v_add_f64_e32 v[10:11], v[10:11], v[105:106]
	s_wait_loadcnt_dscnt 0x701
	v_mul_f64_e32 v[103:104], v[71:72], v[101:102]
	v_mul_f64_e32 v[101:102], v[73:74], v[101:102]
	v_fma_f64 v[105:106], v[117:118], v[95:96], v[123:124]
	v_fma_f64 v[95:96], v[115:116], v[95:96], -v[97:98]
	v_add_f64_e32 v[2:3], v[2:3], v[127:128]
	v_add_f64_e32 v[10:11], v[10:11], v[125:126]
	v_fma_f64 v[103:104], v[73:74], v[99:100], v[103:104]
	v_fma_f64 v[99:100], v[71:72], v[99:100], -v[101:102]
	s_wait_loadcnt_dscnt 0x600
	v_mul_f64_e32 v[97:98], v[91:92], v[8:9]
	v_mul_f64_e32 v[115:116], v[93:94], v[8:9]
	v_add_f64_e32 v[2:3], v[2:3], v[95:96]
	v_add_f64_e32 v[95:96], v[10:11], v[105:106]
	ds_load_b128 v[8:11], v1 offset:832
	ds_load_b128 v[71:74], v1 offset:848
	v_fma_f64 v[93:94], v[93:94], v[6:7], v[97:98]
	v_fma_f64 v[6:7], v[91:92], v[6:7], -v[115:116]
	s_wait_loadcnt_dscnt 0x501
	v_mul_f64_e32 v[101:102], v[8:9], v[109:110]
	v_mul_f64_e32 v[105:106], v[10:11], v[109:110]
	s_wait_loadcnt_dscnt 0x400
	v_mul_f64_e32 v[97:98], v[73:74], v[121:122]
	v_add_f64_e32 v[2:3], v[2:3], v[99:100]
	v_add_f64_e32 v[91:92], v[95:96], v[103:104]
	v_mul_f64_e32 v[95:96], v[71:72], v[121:122]
	v_fma_f64 v[10:11], v[10:11], v[107:108], v[101:102]
	v_fma_f64 v[99:100], v[8:9], v[107:108], -v[105:106]
	v_fma_f64 v[71:72], v[71:72], v[119:120], -v[97:98]
	v_add_f64_e32 v[2:3], v[2:3], v[6:7]
	v_add_f64_e32 v[101:102], v[91:92], v[93:94]
	ds_load_b128 v[6:9], v1 offset:864
	ds_load_b128 v[91:94], v1 offset:880
	v_fma_f64 v[73:74], v[73:74], v[119:120], v[95:96]
	s_wait_loadcnt_dscnt 0x301
	v_mul_f64_e32 v[103:104], v[6:7], v[77:78]
	v_mul_f64_e32 v[77:78], v[8:9], v[77:78]
	s_wait_loadcnt_dscnt 0x200
	v_mul_f64_e32 v[95:96], v[91:92], v[81:82]
	v_mul_f64_e32 v[81:82], v[93:94], v[81:82]
	v_add_f64_e32 v[2:3], v[2:3], v[99:100]
	v_add_f64_e32 v[10:11], v[101:102], v[10:11]
	v_fma_f64 v[97:98], v[8:9], v[75:76], v[103:104]
	v_fma_f64 v[75:76], v[6:7], v[75:76], -v[77:78]
	s_delay_alu instid0(VALU_DEP_4) | instskip(NEXT) | instid1(VALU_DEP_4)
	v_add_f64_e32 v[71:72], v[2:3], v[71:72]
	v_add_f64_e32 v[10:11], v[10:11], v[73:74]
	ds_load_b128 v[6:9], v1 offset:896
	ds_load_b128 v[1:4], v1 offset:912
	s_wait_loadcnt_dscnt 0x1
	v_mul_f64_e32 v[73:74], v[6:7], v[85:86]
	v_mul_f64_e32 v[77:78], v[8:9], v[85:86]
	v_fma_f64 v[85:86], v[93:94], v[79:80], v[95:96]
	v_fma_f64 v[79:80], v[91:92], v[79:80], -v[81:82]
	s_wait_dscnt 0x0
	v_mul_f64_e32 v[81:82], v[3:4], v[89:90]
	v_add_f64_e32 v[71:72], v[71:72], v[75:76]
	v_add_f64_e32 v[10:11], v[10:11], v[97:98]
	v_mul_f64_e32 v[75:76], v[1:2], v[89:90]
	v_fma_f64 v[8:9], v[8:9], v[83:84], v[73:74]
	v_fma_f64 v[6:7], v[6:7], v[83:84], -v[77:78]
	v_fma_f64 v[1:2], v[1:2], v[87:88], -v[81:82]
	v_add_f64_e32 v[71:72], v[71:72], v[79:80]
	v_add_f64_e32 v[10:11], v[10:11], v[85:86]
	v_fma_f64 v[3:4], v[3:4], v[87:88], v[75:76]
	s_delay_alu instid0(VALU_DEP_3) | instskip(NEXT) | instid1(VALU_DEP_3)
	v_add_f64_e32 v[6:7], v[71:72], v[6:7]
	v_add_f64_e32 v[8:9], v[10:11], v[8:9]
	s_delay_alu instid0(VALU_DEP_2) | instskip(NEXT) | instid1(VALU_DEP_2)
	v_add_f64_e32 v[1:2], v[6:7], v[1:2]
	v_add_f64_e32 v[3:4], v[8:9], v[3:4]
	s_delay_alu instid0(VALU_DEP_2) | instskip(NEXT) | instid1(VALU_DEP_2)
	v_add_f64_e64 v[1:2], v[111:112], -v[1:2]
	v_add_f64_e64 v[3:4], v[113:114], -v[3:4]
	scratch_store_b128 off, v[1:4], off offset:48
	v_cmpx_lt_u32_e32 1, v0
	s_cbranch_execz .LBB28_185
; %bb.184:
	scratch_load_b128 v[1:4], off, s9
	v_mov_b32_e32 v6, 0
	s_delay_alu instid0(VALU_DEP_1)
	v_dual_mov_b32 v7, v6 :: v_dual_mov_b32 v8, v6
	v_mov_b32_e32 v9, v6
	scratch_store_b128 off, v[6:9], off offset:32
	s_wait_loadcnt 0x0
	ds_store_b128 v5, v[1:4]
.LBB28_185:
	s_wait_alu 0xfffe
	s_or_b32 exec_lo, exec_lo, s0
	s_wait_storecnt_dscnt 0x0
	s_barrier_signal -1
	s_barrier_wait -1
	global_inv scope:SCOPE_SE
	s_clause 0x7
	scratch_load_b128 v[6:9], off, off offset:48
	scratch_load_b128 v[71:74], off, off offset:64
	;; [unrolled: 1-line block ×8, first 2 shown]
	v_mov_b32_e32 v1, 0
	s_mov_b32 s0, exec_lo
	ds_load_b128 v[99:102], v1 offset:496
	s_clause 0x1
	scratch_load_b128 v[103:106], off, off offset:176
	scratch_load_b128 v[107:110], off, off offset:32
	ds_load_b128 v[111:114], v1 offset:512
	ds_load_b128 v[119:122], v1 offset:544
	s_wait_loadcnt_dscnt 0x902
	v_mul_f64_e32 v[2:3], v[101:102], v[8:9]
	v_mul_f64_e32 v[115:116], v[99:100], v[8:9]
	scratch_load_b128 v[8:11], off, off offset:192
	v_fma_f64 v[2:3], v[99:100], v[6:7], -v[2:3]
	v_fma_f64 v[6:7], v[101:102], v[6:7], v[115:116]
	ds_load_b128 v[99:102], v1 offset:528
	s_wait_loadcnt_dscnt 0x902
	v_mul_f64_e32 v[123:124], v[111:112], v[73:74]
	v_mul_f64_e32 v[73:74], v[113:114], v[73:74]
	scratch_load_b128 v[115:118], off, off offset:208
	s_wait_loadcnt_dscnt 0x900
	v_mul_f64_e32 v[125:126], v[99:100], v[77:78]
	v_mul_f64_e32 v[77:78], v[101:102], v[77:78]
	v_add_f64_e32 v[2:3], 0, v[2:3]
	v_add_f64_e32 v[6:7], 0, v[6:7]
	v_fma_f64 v[113:114], v[113:114], v[71:72], v[123:124]
	v_fma_f64 v[111:112], v[111:112], v[71:72], -v[73:74]
	scratch_load_b128 v[71:74], off, off offset:224
	v_fma_f64 v[125:126], v[101:102], v[75:76], v[125:126]
	v_fma_f64 v[127:128], v[99:100], v[75:76], -v[77:78]
	ds_load_b128 v[75:78], v1 offset:560
	s_wait_loadcnt 0x9
	v_mul_f64_e32 v[123:124], v[119:120], v[81:82]
	v_mul_f64_e32 v[81:82], v[121:122], v[81:82]
	scratch_load_b128 v[99:102], off, off offset:240
	v_add_f64_e32 v[6:7], v[6:7], v[113:114]
	v_add_f64_e32 v[2:3], v[2:3], v[111:112]
	ds_load_b128 v[111:114], v1 offset:576
	s_wait_loadcnt_dscnt 0x901
	v_mul_f64_e32 v[129:130], v[75:76], v[85:86]
	v_mul_f64_e32 v[85:86], v[77:78], v[85:86]
	v_fma_f64 v[121:122], v[121:122], v[79:80], v[123:124]
	v_fma_f64 v[119:120], v[119:120], v[79:80], -v[81:82]
	scratch_load_b128 v[79:82], off, off offset:256
	v_add_f64_e32 v[6:7], v[6:7], v[125:126]
	v_add_f64_e32 v[2:3], v[2:3], v[127:128]
	v_fma_f64 v[125:126], v[77:78], v[83:84], v[129:130]
	v_fma_f64 v[127:128], v[75:76], v[83:84], -v[85:86]
	ds_load_b128 v[75:78], v1 offset:592
	s_wait_loadcnt_dscnt 0x901
	v_mul_f64_e32 v[123:124], v[111:112], v[89:90]
	v_mul_f64_e32 v[89:90], v[113:114], v[89:90]
	scratch_load_b128 v[83:86], off, off offset:272
	s_wait_loadcnt_dscnt 0x900
	v_mul_f64_e32 v[129:130], v[75:76], v[93:94]
	v_mul_f64_e32 v[93:94], v[77:78], v[93:94]
	v_add_f64_e32 v[6:7], v[6:7], v[121:122]
	v_add_f64_e32 v[2:3], v[2:3], v[119:120]
	ds_load_b128 v[119:122], v1 offset:608
	v_fma_f64 v[113:114], v[113:114], v[87:88], v[123:124]
	v_fma_f64 v[111:112], v[111:112], v[87:88], -v[89:90]
	scratch_load_b128 v[87:90], off, off offset:288
	v_add_f64_e32 v[6:7], v[6:7], v[125:126]
	v_add_f64_e32 v[2:3], v[2:3], v[127:128]
	v_fma_f64 v[125:126], v[77:78], v[91:92], v[129:130]
	v_fma_f64 v[127:128], v[75:76], v[91:92], -v[93:94]
	ds_load_b128 v[75:78], v1 offset:624
	s_wait_loadcnt_dscnt 0x901
	v_mul_f64_e32 v[123:124], v[119:120], v[97:98]
	v_mul_f64_e32 v[97:98], v[121:122], v[97:98]
	scratch_load_b128 v[91:94], off, off offset:304
	s_wait_loadcnt_dscnt 0x900
	v_mul_f64_e32 v[129:130], v[75:76], v[105:106]
	v_mul_f64_e32 v[105:106], v[77:78], v[105:106]
	v_add_f64_e32 v[6:7], v[6:7], v[113:114]
	v_add_f64_e32 v[2:3], v[2:3], v[111:112]
	ds_load_b128 v[111:114], v1 offset:640
	v_fma_f64 v[121:122], v[121:122], v[95:96], v[123:124]
	v_fma_f64 v[119:120], v[119:120], v[95:96], -v[97:98]
	scratch_load_b128 v[95:98], off, off offset:320
	v_add_f64_e32 v[6:7], v[6:7], v[125:126]
	v_add_f64_e32 v[2:3], v[2:3], v[127:128]
	v_fma_f64 v[125:126], v[77:78], v[103:104], v[129:130]
	v_fma_f64 v[127:128], v[75:76], v[103:104], -v[105:106]
	ds_load_b128 v[75:78], v1 offset:656
	scratch_load_b128 v[103:106], off, off offset:336
	s_wait_loadcnt_dscnt 0x901
	v_mul_f64_e32 v[123:124], v[111:112], v[10:11]
	v_mul_f64_e32 v[10:11], v[113:114], v[10:11]
	v_add_f64_e32 v[6:7], v[6:7], v[121:122]
	v_add_f64_e32 v[2:3], v[2:3], v[119:120]
	ds_load_b128 v[119:122], v1 offset:672
	v_fma_f64 v[113:114], v[113:114], v[8:9], v[123:124]
	v_fma_f64 v[10:11], v[111:112], v[8:9], -v[10:11]
	s_wait_loadcnt_dscnt 0x801
	v_mul_f64_e32 v[129:130], v[75:76], v[117:118]
	v_mul_f64_e32 v[117:118], v[77:78], v[117:118]
	v_add_f64_e32 v[111:112], v[6:7], v[125:126]
	v_add_f64_e32 v[2:3], v[2:3], v[127:128]
	scratch_load_b128 v[6:9], off, off offset:352
	v_fma_f64 v[77:78], v[77:78], v[115:116], v[129:130]
	v_fma_f64 v[127:128], v[75:76], v[115:116], -v[117:118]
	ds_load_b128 v[115:118], v1 offset:704
	s_wait_loadcnt_dscnt 0x801
	v_mul_f64_e32 v[123:124], v[119:120], v[73:74]
	v_mul_f64_e32 v[125:126], v[121:122], v[73:74]
	ds_load_b128 v[73:76], v1 offset:688
	v_add_f64_e32 v[2:3], v[2:3], v[10:11]
	v_add_f64_e32 v[10:11], v[111:112], v[113:114]
	scratch_load_b128 v[111:114], off, off offset:368
	s_wait_loadcnt_dscnt 0x800
	v_mul_f64_e32 v[129:130], v[73:74], v[101:102]
	v_mul_f64_e32 v[101:102], v[75:76], v[101:102]
	v_fma_f64 v[123:124], v[121:122], v[71:72], v[123:124]
	v_fma_f64 v[71:72], v[119:120], v[71:72], -v[125:126]
	scratch_load_b128 v[119:122], off, off offset:384
	v_add_f64_e32 v[2:3], v[2:3], v[127:128]
	v_add_f64_e32 v[10:11], v[10:11], v[77:78]
	s_wait_loadcnt 0x8
	v_mul_f64_e32 v[125:126], v[115:116], v[81:82]
	v_mul_f64_e32 v[81:82], v[117:118], v[81:82]
	v_fma_f64 v[127:128], v[75:76], v[99:100], v[129:130]
	v_fma_f64 v[129:130], v[73:74], v[99:100], -v[101:102]
	scratch_load_b128 v[75:78], off, off offset:400
	ds_load_b128 v[99:102], v1 offset:736
	v_add_f64_e32 v[2:3], v[2:3], v[71:72]
	v_add_f64_e32 v[10:11], v[10:11], v[123:124]
	ds_load_b128 v[71:74], v1 offset:720
	v_fma_f64 v[117:118], v[117:118], v[79:80], v[125:126]
	v_fma_f64 v[115:116], v[115:116], v[79:80], -v[81:82]
	scratch_load_b128 v[79:82], off, off offset:416
	s_wait_loadcnt_dscnt 0x900
	v_mul_f64_e32 v[123:124], v[71:72], v[85:86]
	v_mul_f64_e32 v[85:86], v[73:74], v[85:86]
	s_wait_loadcnt 0x8
	v_mul_f64_e32 v[125:126], v[99:100], v[89:90]
	v_mul_f64_e32 v[89:90], v[101:102], v[89:90]
	v_add_f64_e32 v[2:3], v[2:3], v[129:130]
	v_add_f64_e32 v[10:11], v[10:11], v[127:128]
	v_fma_f64 v[123:124], v[73:74], v[83:84], v[123:124]
	v_fma_f64 v[127:128], v[71:72], v[83:84], -v[85:86]
	ds_load_b128 v[71:74], v1 offset:752
	scratch_load_b128 v[83:86], off, off offset:432
	v_fma_f64 v[101:102], v[101:102], v[87:88], v[125:126]
	v_fma_f64 v[99:100], v[99:100], v[87:88], -v[89:90]
	scratch_load_b128 v[87:90], off, off offset:448
	v_add_f64_e32 v[2:3], v[2:3], v[115:116]
	v_add_f64_e32 v[10:11], v[10:11], v[117:118]
	ds_load_b128 v[115:118], v1 offset:768
	s_wait_loadcnt_dscnt 0x901
	v_mul_f64_e32 v[129:130], v[71:72], v[93:94]
	v_mul_f64_e32 v[93:94], v[73:74], v[93:94]
	s_wait_loadcnt_dscnt 0x800
	v_mul_f64_e32 v[125:126], v[117:118], v[97:98]
	v_add_f64_e32 v[2:3], v[2:3], v[127:128]
	v_add_f64_e32 v[10:11], v[10:11], v[123:124]
	v_mul_f64_e32 v[123:124], v[115:116], v[97:98]
	v_fma_f64 v[127:128], v[73:74], v[91:92], v[129:130]
	v_fma_f64 v[129:130], v[71:72], v[91:92], -v[93:94]
	ds_load_b128 v[71:74], v1 offset:784
	scratch_load_b128 v[91:94], off, off offset:464
	v_add_f64_e32 v[2:3], v[2:3], v[99:100]
	v_add_f64_e32 v[10:11], v[10:11], v[101:102]
	ds_load_b128 v[97:100], v1 offset:800
	s_wait_loadcnt_dscnt 0x801
	v_mul_f64_e32 v[101:102], v[71:72], v[105:106]
	v_mul_f64_e32 v[105:106], v[73:74], v[105:106]
	v_fma_f64 v[117:118], v[117:118], v[95:96], v[123:124]
	v_fma_f64 v[95:96], v[115:116], v[95:96], -v[125:126]
	v_add_f64_e32 v[2:3], v[2:3], v[129:130]
	v_add_f64_e32 v[10:11], v[10:11], v[127:128]
	v_fma_f64 v[101:102], v[73:74], v[103:104], v[101:102]
	v_fma_f64 v[103:104], v[71:72], v[103:104], -v[105:106]
	s_wait_loadcnt_dscnt 0x700
	v_mul_f64_e32 v[115:116], v[97:98], v[8:9]
	v_mul_f64_e32 v[123:124], v[99:100], v[8:9]
	v_add_f64_e32 v[2:3], v[2:3], v[95:96]
	v_add_f64_e32 v[95:96], v[10:11], v[117:118]
	ds_load_b128 v[8:11], v1 offset:816
	ds_load_b128 v[71:74], v1 offset:832
	v_fma_f64 v[99:100], v[99:100], v[6:7], v[115:116]
	v_fma_f64 v[6:7], v[97:98], v[6:7], -v[123:124]
	s_wait_loadcnt_dscnt 0x601
	v_mul_f64_e32 v[105:106], v[8:9], v[113:114]
	v_mul_f64_e32 v[113:114], v[10:11], v[113:114]
	v_add_f64_e32 v[2:3], v[2:3], v[103:104]
	v_add_f64_e32 v[95:96], v[95:96], v[101:102]
	s_wait_loadcnt_dscnt 0x500
	v_mul_f64_e32 v[101:102], v[71:72], v[121:122]
	v_mul_f64_e32 v[103:104], v[73:74], v[121:122]
	v_fma_f64 v[10:11], v[10:11], v[111:112], v[105:106]
	v_fma_f64 v[105:106], v[8:9], v[111:112], -v[113:114]
	v_add_f64_e32 v[2:3], v[2:3], v[6:7]
	v_add_f64_e32 v[99:100], v[95:96], v[99:100]
	ds_load_b128 v[6:9], v1 offset:848
	ds_load_b128 v[95:98], v1 offset:864
	v_fma_f64 v[73:74], v[73:74], v[119:120], v[101:102]
	v_fma_f64 v[71:72], v[71:72], v[119:120], -v[103:104]
	s_wait_loadcnt_dscnt 0x401
	v_mul_f64_e32 v[111:112], v[6:7], v[77:78]
	v_mul_f64_e32 v[77:78], v[8:9], v[77:78]
	v_add_f64_e32 v[2:3], v[2:3], v[105:106]
	v_add_f64_e32 v[10:11], v[99:100], v[10:11]
	s_wait_loadcnt_dscnt 0x300
	v_mul_f64_e32 v[99:100], v[95:96], v[81:82]
	v_mul_f64_e32 v[81:82], v[97:98], v[81:82]
	v_fma_f64 v[101:102], v[8:9], v[75:76], v[111:112]
	v_fma_f64 v[75:76], v[6:7], v[75:76], -v[77:78]
	v_add_f64_e32 v[2:3], v[2:3], v[71:72]
	v_add_f64_e32 v[10:11], v[10:11], v[73:74]
	ds_load_b128 v[6:9], v1 offset:880
	ds_load_b128 v[71:74], v1 offset:896
	v_fma_f64 v[97:98], v[97:98], v[79:80], v[99:100]
	v_fma_f64 v[79:80], v[95:96], v[79:80], -v[81:82]
	s_wait_loadcnt_dscnt 0x201
	v_mul_f64_e32 v[77:78], v[6:7], v[85:86]
	v_mul_f64_e32 v[85:86], v[8:9], v[85:86]
	s_wait_loadcnt_dscnt 0x100
	v_mul_f64_e32 v[81:82], v[73:74], v[89:90]
	v_add_f64_e32 v[2:3], v[2:3], v[75:76]
	v_add_f64_e32 v[10:11], v[10:11], v[101:102]
	v_mul_f64_e32 v[75:76], v[71:72], v[89:90]
	v_fma_f64 v[77:78], v[8:9], v[83:84], v[77:78]
	v_fma_f64 v[83:84], v[6:7], v[83:84], -v[85:86]
	ds_load_b128 v[6:9], v1 offset:912
	v_fma_f64 v[71:72], v[71:72], v[87:88], -v[81:82]
	v_add_f64_e32 v[2:3], v[2:3], v[79:80]
	v_add_f64_e32 v[10:11], v[10:11], v[97:98]
	v_fma_f64 v[73:74], v[73:74], v[87:88], v[75:76]
	s_wait_loadcnt_dscnt 0x0
	v_mul_f64_e32 v[79:80], v[6:7], v[93:94]
	v_mul_f64_e32 v[85:86], v[8:9], v[93:94]
	v_add_f64_e32 v[2:3], v[2:3], v[83:84]
	v_add_f64_e32 v[10:11], v[10:11], v[77:78]
	s_delay_alu instid0(VALU_DEP_4) | instskip(NEXT) | instid1(VALU_DEP_4)
	v_fma_f64 v[8:9], v[8:9], v[91:92], v[79:80]
	v_fma_f64 v[6:7], v[6:7], v[91:92], -v[85:86]
	s_delay_alu instid0(VALU_DEP_4) | instskip(NEXT) | instid1(VALU_DEP_4)
	v_add_f64_e32 v[2:3], v[2:3], v[71:72]
	v_add_f64_e32 v[10:11], v[10:11], v[73:74]
	s_delay_alu instid0(VALU_DEP_2) | instskip(NEXT) | instid1(VALU_DEP_2)
	v_add_f64_e32 v[2:3], v[2:3], v[6:7]
	v_add_f64_e32 v[8:9], v[10:11], v[8:9]
	s_delay_alu instid0(VALU_DEP_2) | instskip(NEXT) | instid1(VALU_DEP_2)
	v_add_f64_e64 v[6:7], v[107:108], -v[2:3]
	v_add_f64_e64 v[8:9], v[109:110], -v[8:9]
	scratch_store_b128 off, v[6:9], off offset:32
	v_cmpx_ne_u32_e32 0, v0
	s_cbranch_execz .LBB28_187
; %bb.186:
	scratch_load_b128 v[6:9], off, off offset:16
	v_dual_mov_b32 v2, v1 :: v_dual_mov_b32 v3, v1
	v_mov_b32_e32 v4, v1
	scratch_store_b128 off, v[1:4], off offset:16
	s_wait_loadcnt 0x0
	ds_store_b128 v5, v[6:9]
.LBB28_187:
	s_wait_alu 0xfffe
	s_or_b32 exec_lo, exec_lo, s0
	s_wait_storecnt_dscnt 0x0
	s_barrier_signal -1
	s_barrier_wait -1
	global_inv scope:SCOPE_SE
	s_clause 0x8
	scratch_load_b128 v[2:5], off, off offset:32
	scratch_load_b128 v[6:9], off, off offset:48
	;; [unrolled: 1-line block ×9, first 2 shown]
	ds_load_b128 v[99:102], v1 offset:480
	ds_load_b128 v[103:106], v1 offset:496
	s_clause 0x1
	scratch_load_b128 v[107:110], off, off offset:16
	scratch_load_b128 v[111:114], off, off offset:176
	s_and_b32 vcc_lo, exec_lo, s18
	s_wait_loadcnt_dscnt 0xa01
	v_mul_f64_e32 v[10:11], v[101:102], v[4:5]
	v_mul_f64_e32 v[4:5], v[99:100], v[4:5]
	s_wait_loadcnt_dscnt 0x900
	v_mul_f64_e32 v[115:116], v[103:104], v[8:9]
	v_mul_f64_e32 v[117:118], v[105:106], v[8:9]
	s_delay_alu instid0(VALU_DEP_4) | instskip(NEXT) | instid1(VALU_DEP_4)
	v_fma_f64 v[119:120], v[99:100], v[2:3], -v[10:11]
	v_fma_f64 v[121:122], v[101:102], v[2:3], v[4:5]
	ds_load_b128 v[2:5], v1 offset:512
	ds_load_b128 v[99:102], v1 offset:528
	scratch_load_b128 v[8:11], off, off offset:192
	v_fma_f64 v[115:116], v[105:106], v[6:7], v[115:116]
	v_fma_f64 v[6:7], v[103:104], v[6:7], -v[117:118]
	scratch_load_b128 v[103:106], off, off offset:208
	s_wait_loadcnt_dscnt 0xa01
	v_mul_f64_e32 v[123:124], v[2:3], v[73:74]
	v_mul_f64_e32 v[73:74], v[4:5], v[73:74]
	v_add_f64_e32 v[117:118], 0, v[119:120]
	v_add_f64_e32 v[119:120], 0, v[121:122]
	s_wait_loadcnt_dscnt 0x900
	v_mul_f64_e32 v[121:122], v[99:100], v[77:78]
	v_mul_f64_e32 v[77:78], v[101:102], v[77:78]
	v_fma_f64 v[123:124], v[4:5], v[71:72], v[123:124]
	v_fma_f64 v[125:126], v[2:3], v[71:72], -v[73:74]
	ds_load_b128 v[2:5], v1 offset:544
	scratch_load_b128 v[71:74], off, off offset:224
	v_add_f64_e32 v[6:7], v[117:118], v[6:7]
	v_add_f64_e32 v[119:120], v[119:120], v[115:116]
	ds_load_b128 v[115:118], v1 offset:560
	v_fma_f64 v[101:102], v[101:102], v[75:76], v[121:122]
	v_fma_f64 v[99:100], v[99:100], v[75:76], -v[77:78]
	scratch_load_b128 v[75:78], off, off offset:240
	s_wait_loadcnt_dscnt 0xa01
	v_mul_f64_e32 v[127:128], v[2:3], v[81:82]
	v_mul_f64_e32 v[81:82], v[4:5], v[81:82]
	s_wait_loadcnt_dscnt 0x900
	v_mul_f64_e32 v[121:122], v[115:116], v[85:86]
	v_mul_f64_e32 v[85:86], v[117:118], v[85:86]
	v_add_f64_e32 v[6:7], v[6:7], v[125:126]
	v_add_f64_e32 v[119:120], v[119:120], v[123:124]
	v_fma_f64 v[123:124], v[4:5], v[79:80], v[127:128]
	v_fma_f64 v[125:126], v[2:3], v[79:80], -v[81:82]
	ds_load_b128 v[2:5], v1 offset:576
	scratch_load_b128 v[79:82], off, off offset:256
	v_fma_f64 v[117:118], v[117:118], v[83:84], v[121:122]
	v_fma_f64 v[115:116], v[115:116], v[83:84], -v[85:86]
	scratch_load_b128 v[83:86], off, off offset:272
	v_add_f64_e32 v[6:7], v[6:7], v[99:100]
	v_add_f64_e32 v[119:120], v[119:120], v[101:102]
	ds_load_b128 v[99:102], v1 offset:592
	s_wait_loadcnt_dscnt 0xa01
	v_mul_f64_e32 v[127:128], v[2:3], v[89:90]
	v_mul_f64_e32 v[89:90], v[4:5], v[89:90]
	s_wait_loadcnt_dscnt 0x900
	v_mul_f64_e32 v[121:122], v[99:100], v[93:94]
	v_mul_f64_e32 v[93:94], v[101:102], v[93:94]
	v_add_f64_e32 v[6:7], v[6:7], v[125:126]
	v_add_f64_e32 v[119:120], v[119:120], v[123:124]
	v_fma_f64 v[123:124], v[4:5], v[87:88], v[127:128]
	v_fma_f64 v[125:126], v[2:3], v[87:88], -v[89:90]
	ds_load_b128 v[2:5], v1 offset:608
	scratch_load_b128 v[87:90], off, off offset:288
	v_fma_f64 v[101:102], v[101:102], v[91:92], v[121:122]
	v_fma_f64 v[99:100], v[99:100], v[91:92], -v[93:94]
	scratch_load_b128 v[91:94], off, off offset:304
	v_add_f64_e32 v[6:7], v[6:7], v[115:116]
	v_add_f64_e32 v[119:120], v[119:120], v[117:118]
	ds_load_b128 v[115:118], v1 offset:624
	;; [unrolled: 18-line block ×3, first 2 shown]
	s_wait_loadcnt_dscnt 0x901
	v_mul_f64_e32 v[127:128], v[2:3], v[10:11]
	v_mul_f64_e32 v[10:11], v[4:5], v[10:11]
	s_wait_loadcnt_dscnt 0x800
	v_mul_f64_e32 v[121:122], v[99:100], v[105:106]
	v_mul_f64_e32 v[105:106], v[101:102], v[105:106]
	v_add_f64_e32 v[6:7], v[6:7], v[125:126]
	v_add_f64_e32 v[119:120], v[119:120], v[123:124]
	v_fma_f64 v[123:124], v[4:5], v[8:9], v[127:128]
	v_fma_f64 v[10:11], v[2:3], v[8:9], -v[10:11]
	ds_load_b128 v[2:5], v1 offset:672
	v_fma_f64 v[121:122], v[101:102], v[103:104], v[121:122]
	v_fma_f64 v[103:104], v[99:100], v[103:104], -v[105:106]
	scratch_load_b128 v[99:102], off, off offset:368
	v_add_f64_e32 v[125:126], v[6:7], v[115:116]
	v_add_f64_e32 v[119:120], v[119:120], v[117:118]
	scratch_load_b128 v[6:9], off, off offset:352
	ds_load_b128 v[115:118], v1 offset:688
	s_wait_loadcnt_dscnt 0x901
	v_mul_f64_e32 v[127:128], v[2:3], v[73:74]
	v_mul_f64_e32 v[73:74], v[4:5], v[73:74]
	v_add_f64_e32 v[10:11], v[125:126], v[10:11]
	v_add_f64_e32 v[105:106], v[119:120], v[123:124]
	s_wait_loadcnt_dscnt 0x800
	v_mul_f64_e32 v[119:120], v[115:116], v[77:78]
	v_mul_f64_e32 v[77:78], v[117:118], v[77:78]
	v_fma_f64 v[123:124], v[4:5], v[71:72], v[127:128]
	v_fma_f64 v[125:126], v[2:3], v[71:72], -v[73:74]
	ds_load_b128 v[2:5], v1 offset:704
	scratch_load_b128 v[71:74], off, off offset:384
	v_add_f64_e32 v[10:11], v[10:11], v[103:104]
	v_add_f64_e32 v[121:122], v[105:106], v[121:122]
	ds_load_b128 v[103:106], v1 offset:720
	s_wait_loadcnt_dscnt 0x801
	v_mul_f64_e32 v[127:128], v[2:3], v[81:82]
	v_mul_f64_e32 v[81:82], v[4:5], v[81:82]
	v_fma_f64 v[117:118], v[117:118], v[75:76], v[119:120]
	v_fma_f64 v[115:116], v[115:116], v[75:76], -v[77:78]
	scratch_load_b128 v[75:78], off, off offset:400
	v_add_f64_e32 v[10:11], v[10:11], v[125:126]
	v_add_f64_e32 v[119:120], v[121:122], v[123:124]
	s_wait_loadcnt_dscnt 0x800
	v_mul_f64_e32 v[121:122], v[103:104], v[85:86]
	v_mul_f64_e32 v[85:86], v[105:106], v[85:86]
	v_fma_f64 v[123:124], v[4:5], v[79:80], v[127:128]
	v_fma_f64 v[125:126], v[2:3], v[79:80], -v[81:82]
	ds_load_b128 v[2:5], v1 offset:736
	scratch_load_b128 v[79:82], off, off offset:416
	v_add_f64_e32 v[10:11], v[10:11], v[115:116]
	v_add_f64_e32 v[119:120], v[119:120], v[117:118]
	ds_load_b128 v[115:118], v1 offset:752
	s_wait_loadcnt_dscnt 0x801
	v_mul_f64_e32 v[127:128], v[2:3], v[89:90]
	v_mul_f64_e32 v[89:90], v[4:5], v[89:90]
	v_fma_f64 v[105:106], v[105:106], v[83:84], v[121:122]
	v_fma_f64 v[103:104], v[103:104], v[83:84], -v[85:86]
	scratch_load_b128 v[83:86], off, off offset:432
	s_wait_loadcnt_dscnt 0x800
	v_mul_f64_e32 v[121:122], v[115:116], v[93:94]
	v_mul_f64_e32 v[93:94], v[117:118], v[93:94]
	v_add_f64_e32 v[10:11], v[10:11], v[125:126]
	v_add_f64_e32 v[119:120], v[119:120], v[123:124]
	v_fma_f64 v[123:124], v[4:5], v[87:88], v[127:128]
	v_fma_f64 v[125:126], v[2:3], v[87:88], -v[89:90]
	ds_load_b128 v[2:5], v1 offset:768
	scratch_load_b128 v[87:90], off, off offset:448
	v_fma_f64 v[117:118], v[117:118], v[91:92], v[121:122]
	v_fma_f64 v[115:116], v[115:116], v[91:92], -v[93:94]
	scratch_load_b128 v[91:94], off, off offset:464
	v_add_f64_e32 v[10:11], v[10:11], v[103:104]
	v_add_f64_e32 v[119:120], v[119:120], v[105:106]
	ds_load_b128 v[103:106], v1 offset:784
	s_wait_loadcnt_dscnt 0x901
	v_mul_f64_e32 v[127:128], v[2:3], v[97:98]
	v_mul_f64_e32 v[97:98], v[4:5], v[97:98]
	s_wait_loadcnt_dscnt 0x800
	v_mul_f64_e32 v[121:122], v[103:104], v[113:114]
	v_mul_f64_e32 v[113:114], v[105:106], v[113:114]
	v_add_f64_e32 v[10:11], v[10:11], v[125:126]
	v_add_f64_e32 v[119:120], v[119:120], v[123:124]
	v_fma_f64 v[123:124], v[4:5], v[95:96], v[127:128]
	v_fma_f64 v[125:126], v[2:3], v[95:96], -v[97:98]
	ds_load_b128 v[2:5], v1 offset:800
	ds_load_b128 v[95:98], v1 offset:816
	v_fma_f64 v[105:106], v[105:106], v[111:112], v[121:122]
	v_fma_f64 v[103:104], v[103:104], v[111:112], -v[113:114]
	v_add_f64_e32 v[10:11], v[10:11], v[115:116]
	v_add_f64_e32 v[115:116], v[119:120], v[117:118]
	s_wait_loadcnt_dscnt 0x700
	v_mul_f64_e32 v[113:114], v[95:96], v[101:102]
	v_mul_f64_e32 v[101:102], v[97:98], v[101:102]
	s_wait_loadcnt 0x6
	v_mul_f64_e32 v[117:118], v[2:3], v[8:9]
	v_mul_f64_e32 v[8:9], v[4:5], v[8:9]
	v_add_f64_e32 v[10:11], v[10:11], v[125:126]
	v_add_f64_e32 v[111:112], v[115:116], v[123:124]
	v_fma_f64 v[97:98], v[97:98], v[99:100], v[113:114]
	v_fma_f64 v[95:96], v[95:96], v[99:100], -v[101:102]
	v_fma_f64 v[115:116], v[4:5], v[6:7], v[117:118]
	v_fma_f64 v[117:118], v[2:3], v[6:7], -v[8:9]
	ds_load_b128 v[2:5], v1 offset:832
	ds_load_b128 v[6:9], v1 offset:848
	v_add_f64_e32 v[10:11], v[10:11], v[103:104]
	v_add_f64_e32 v[103:104], v[111:112], v[105:106]
	s_wait_loadcnt_dscnt 0x501
	v_mul_f64_e32 v[105:106], v[2:3], v[73:74]
	v_mul_f64_e32 v[73:74], v[4:5], v[73:74]
	s_wait_loadcnt_dscnt 0x400
	v_mul_f64_e32 v[101:102], v[6:7], v[77:78]
	v_mul_f64_e32 v[77:78], v[8:9], v[77:78]
	v_add_f64_e32 v[10:11], v[10:11], v[117:118]
	v_add_f64_e32 v[99:100], v[103:104], v[115:116]
	v_fma_f64 v[103:104], v[4:5], v[71:72], v[105:106]
	v_fma_f64 v[105:106], v[2:3], v[71:72], -v[73:74]
	ds_load_b128 v[2:5], v1 offset:864
	ds_load_b128 v[71:74], v1 offset:880
	v_fma_f64 v[8:9], v[8:9], v[75:76], v[101:102]
	v_fma_f64 v[6:7], v[6:7], v[75:76], -v[77:78]
	v_add_f64_e32 v[10:11], v[10:11], v[95:96]
	v_add_f64_e32 v[95:96], v[99:100], v[97:98]
	s_wait_loadcnt_dscnt 0x301
	v_mul_f64_e32 v[97:98], v[2:3], v[81:82]
	v_mul_f64_e32 v[81:82], v[4:5], v[81:82]
	s_wait_loadcnt_dscnt 0x200
	v_mul_f64_e32 v[77:78], v[71:72], v[85:86]
	v_mul_f64_e32 v[85:86], v[73:74], v[85:86]
	v_add_f64_e32 v[10:11], v[10:11], v[105:106]
	v_add_f64_e32 v[75:76], v[95:96], v[103:104]
	v_fma_f64 v[95:96], v[4:5], v[79:80], v[97:98]
	v_fma_f64 v[79:80], v[2:3], v[79:80], -v[81:82]
	v_fma_f64 v[73:74], v[73:74], v[83:84], v[77:78]
	v_fma_f64 v[71:72], v[71:72], v[83:84], -v[85:86]
	v_add_f64_e32 v[10:11], v[10:11], v[6:7]
	v_add_f64_e32 v[75:76], v[75:76], v[8:9]
	ds_load_b128 v[2:5], v1 offset:896
	ds_load_b128 v[6:9], v1 offset:912
	s_wait_loadcnt_dscnt 0x101
	v_mul_f64_e32 v[0:1], v[2:3], v[89:90]
	v_mul_f64_e32 v[81:82], v[4:5], v[89:90]
	s_wait_loadcnt_dscnt 0x0
	v_mul_f64_e32 v[77:78], v[6:7], v[93:94]
	v_add_f64_e32 v[10:11], v[10:11], v[79:80]
	v_add_f64_e32 v[75:76], v[75:76], v[95:96]
	v_mul_f64_e32 v[79:80], v[8:9], v[93:94]
	v_fma_f64 v[0:1], v[4:5], v[87:88], v[0:1]
	v_fma_f64 v[2:3], v[2:3], v[87:88], -v[81:82]
	v_fma_f64 v[8:9], v[8:9], v[91:92], v[77:78]
	v_add_f64_e32 v[4:5], v[10:11], v[71:72]
	v_add_f64_e32 v[10:11], v[75:76], v[73:74]
	v_fma_f64 v[6:7], v[6:7], v[91:92], -v[79:80]
	s_delay_alu instid0(VALU_DEP_3) | instskip(NEXT) | instid1(VALU_DEP_3)
	v_add_f64_e32 v[2:3], v[4:5], v[2:3]
	v_add_f64_e32 v[0:1], v[10:11], v[0:1]
	s_delay_alu instid0(VALU_DEP_2) | instskip(NEXT) | instid1(VALU_DEP_2)
	v_add_f64_e32 v[2:3], v[2:3], v[6:7]
	v_add_f64_e32 v[4:5], v[0:1], v[8:9]
	s_delay_alu instid0(VALU_DEP_2) | instskip(NEXT) | instid1(VALU_DEP_2)
	v_add_f64_e64 v[0:1], v[107:108], -v[2:3]
	v_add_f64_e64 v[2:3], v[109:110], -v[4:5]
	scratch_store_b128 off, v[0:3], off offset:16
	s_wait_alu 0xfffe
	s_cbranch_vccz .LBB28_244
; %bb.188:
	v_mov_b32_e32 v0, 0
	global_load_b32 v1, v0, s[2:3] offset:108
	s_wait_loadcnt 0x0
	v_cmp_ne_u32_e32 vcc_lo, 28, v1
	s_cbranch_vccz .LBB28_190
; %bb.189:
	v_lshlrev_b32_e32 v1, 4, v1
	s_delay_alu instid0(VALU_DEP_1)
	v_add_nc_u32_e32 v9, 16, v1
	s_clause 0x1
	scratch_load_b128 v[1:4], v9, off offset:-16
	scratch_load_b128 v[5:8], off, s25
	s_wait_loadcnt 0x1
	scratch_store_b128 off, v[1:4], s25
	s_wait_loadcnt 0x0
	scratch_store_b128 v9, v[5:8], off offset:-16
.LBB28_190:
	global_load_b32 v0, v0, s[2:3] offset:104
	s_wait_loadcnt 0x0
	v_cmp_eq_u32_e32 vcc_lo, 27, v0
	s_cbranch_vccnz .LBB28_192
; %bb.191:
	v_lshlrev_b32_e32 v0, 4, v0
	s_delay_alu instid0(VALU_DEP_1)
	v_add_nc_u32_e32 v8, 16, v0
	s_clause 0x1
	scratch_load_b128 v[0:3], v8, off offset:-16
	scratch_load_b128 v[4:7], off, s34
	s_wait_loadcnt 0x1
	scratch_store_b128 off, v[0:3], s34
	s_wait_loadcnt 0x0
	scratch_store_b128 v8, v[4:7], off offset:-16
.LBB28_192:
	v_mov_b32_e32 v0, 0
	global_load_b32 v1, v0, s[2:3] offset:100
	s_wait_loadcnt 0x0
	v_cmp_eq_u32_e32 vcc_lo, 26, v1
	s_cbranch_vccnz .LBB28_194
; %bb.193:
	v_lshlrev_b32_e32 v1, 4, v1
	s_delay_alu instid0(VALU_DEP_1)
	v_add_nc_u32_e32 v9, 16, v1
	s_clause 0x1
	scratch_load_b128 v[1:4], v9, off offset:-16
	scratch_load_b128 v[5:8], off, s20
	s_wait_loadcnt 0x1
	scratch_store_b128 off, v[1:4], s20
	s_wait_loadcnt 0x0
	scratch_store_b128 v9, v[5:8], off offset:-16
.LBB28_194:
	global_load_b32 v0, v0, s[2:3] offset:96
	s_wait_loadcnt 0x0
	v_cmp_eq_u32_e32 vcc_lo, 25, v0
	s_cbranch_vccnz .LBB28_196
; %bb.195:
	v_lshlrev_b32_e32 v0, 4, v0
	s_delay_alu instid0(VALU_DEP_1)
	v_add_nc_u32_e32 v8, 16, v0
	s_clause 0x1
	scratch_load_b128 v[0:3], v8, off offset:-16
	scratch_load_b128 v[4:7], off, s33
	s_wait_loadcnt 0x1
	scratch_store_b128 off, v[0:3], s33
	s_wait_loadcnt 0x0
	scratch_store_b128 v8, v[4:7], off offset:-16
.LBB28_196:
	v_mov_b32_e32 v0, 0
	global_load_b32 v1, v0, s[2:3] offset:92
	s_wait_loadcnt 0x0
	v_cmp_eq_u32_e32 vcc_lo, 24, v1
	s_cbranch_vccnz .LBB28_198
; %bb.197:
	v_lshlrev_b32_e32 v1, 4, v1
	s_delay_alu instid0(VALU_DEP_1)
	v_add_nc_u32_e32 v9, 16, v1
	s_clause 0x1
	scratch_load_b128 v[1:4], v9, off offset:-16
	scratch_load_b128 v[5:8], off, s19
	s_wait_loadcnt 0x1
	scratch_store_b128 off, v[1:4], s19
	s_wait_loadcnt 0x0
	scratch_store_b128 v9, v[5:8], off offset:-16
.LBB28_198:
	;; [unrolled: 33-line block ×13, first 2 shown]
	global_load_b32 v0, v0, s[2:3]
	s_wait_loadcnt 0x0
	v_cmp_eq_u32_e32 vcc_lo, 1, v0
	s_cbranch_vccnz .LBB28_244
; %bb.243:
	v_lshlrev_b32_e32 v0, 4, v0
	s_delay_alu instid0(VALU_DEP_1)
	v_add_nc_u32_e32 v8, 16, v0
	scratch_load_b128 v[0:3], v8, off offset:-16
	scratch_load_b128 v[4:7], off, off offset:16
	s_wait_loadcnt 0x1
	scratch_store_b128 off, v[0:3], off offset:16
	s_wait_loadcnt 0x0
	scratch_store_b128 v8, v[4:7], off offset:-16
.LBB28_244:
	scratch_load_b128 v[0:3], off, off offset:16
	s_clause 0x11
	scratch_load_b128 v[4:7], off, s9
	scratch_load_b128 v[8:11], off, s8
	;; [unrolled: 1-line block ×18, first 2 shown]
	s_wait_loadcnt 0x12
	global_store_b128 v[13:14], v[0:3], off
	s_clause 0x1
	scratch_load_b128 v[0:3], off, s15
	scratch_load_b128 v[135:138], off, s24
	s_wait_loadcnt 0x13
	global_store_b128 v[15:16], v[4:7], off
	s_clause 0x1
	scratch_load_b128 v[4:7], off, s14
	scratch_load_b128 v[12:15], off, s30
	s_wait_loadcnt 0x14
	global_store_b128 v[17:18], v[8:11], off
	s_clause 0x1
	scratch_load_b128 v[8:11], off, s19
	scratch_load_b128 v[139:142], off, s33
	s_wait_loadcnt 0x15
	global_store_b128 v[19:20], v[71:74], off
	s_wait_loadcnt 0x14
	global_store_b128 v[21:22], v[75:78], off
	s_clause 0x1
	scratch_load_b128 v[16:19], off, s20
	scratch_load_b128 v[71:74], off, s34
	s_wait_loadcnt 0x15
	global_store_b128 v[23:24], v[79:82], off
	s_clause 0x1
	scratch_load_b128 v[20:23], off, s25
	scratch_load_b128 v[75:78], off, s35
	s_wait_loadcnt 0x16
	global_store_b128 v[25:26], v[83:86], off
	s_wait_loadcnt 0x15
	global_store_b128 v[27:28], v[87:90], off
	;; [unrolled: 2-line block ×23, first 2 shown]
	s_nop 0
	s_sendmsg sendmsg(MSG_DEALLOC_VGPRS)
	s_endpgm
	.section	.rodata,"a",@progbits
	.p2align	6, 0x0
	.amdhsa_kernel _ZN9rocsolver6v33100L18getri_kernel_smallILi29E19rocblas_complex_numIdEPS3_EEvT1_iilPiilS6_bb
		.amdhsa_group_segment_fixed_size 936
		.amdhsa_private_segment_fixed_size 496
		.amdhsa_kernarg_size 60
		.amdhsa_user_sgpr_count 2
		.amdhsa_user_sgpr_dispatch_ptr 0
		.amdhsa_user_sgpr_queue_ptr 0
		.amdhsa_user_sgpr_kernarg_segment_ptr 1
		.amdhsa_user_sgpr_dispatch_id 0
		.amdhsa_user_sgpr_private_segment_size 0
		.amdhsa_wavefront_size32 1
		.amdhsa_uses_dynamic_stack 0
		.amdhsa_enable_private_segment 1
		.amdhsa_system_sgpr_workgroup_id_x 1
		.amdhsa_system_sgpr_workgroup_id_y 0
		.amdhsa_system_sgpr_workgroup_id_z 0
		.amdhsa_system_sgpr_workgroup_info 0
		.amdhsa_system_vgpr_workitem_id 0
		.amdhsa_next_free_vgpr 143
		.amdhsa_next_free_sgpr 41
		.amdhsa_reserve_vcc 1
		.amdhsa_float_round_mode_32 0
		.amdhsa_float_round_mode_16_64 0
		.amdhsa_float_denorm_mode_32 3
		.amdhsa_float_denorm_mode_16_64 3
		.amdhsa_fp16_overflow 0
		.amdhsa_workgroup_processor_mode 1
		.amdhsa_memory_ordered 1
		.amdhsa_forward_progress 1
		.amdhsa_inst_pref_size 255
		.amdhsa_round_robin_scheduling 0
		.amdhsa_exception_fp_ieee_invalid_op 0
		.amdhsa_exception_fp_denorm_src 0
		.amdhsa_exception_fp_ieee_div_zero 0
		.amdhsa_exception_fp_ieee_overflow 0
		.amdhsa_exception_fp_ieee_underflow 0
		.amdhsa_exception_fp_ieee_inexact 0
		.amdhsa_exception_int_div_zero 0
	.end_amdhsa_kernel
	.section	.text._ZN9rocsolver6v33100L18getri_kernel_smallILi29E19rocblas_complex_numIdEPS3_EEvT1_iilPiilS6_bb,"axG",@progbits,_ZN9rocsolver6v33100L18getri_kernel_smallILi29E19rocblas_complex_numIdEPS3_EEvT1_iilPiilS6_bb,comdat
.Lfunc_end28:
	.size	_ZN9rocsolver6v33100L18getri_kernel_smallILi29E19rocblas_complex_numIdEPS3_EEvT1_iilPiilS6_bb, .Lfunc_end28-_ZN9rocsolver6v33100L18getri_kernel_smallILi29E19rocblas_complex_numIdEPS3_EEvT1_iilPiilS6_bb
                                        ; -- End function
	.set _ZN9rocsolver6v33100L18getri_kernel_smallILi29E19rocblas_complex_numIdEPS3_EEvT1_iilPiilS6_bb.num_vgpr, 143
	.set _ZN9rocsolver6v33100L18getri_kernel_smallILi29E19rocblas_complex_numIdEPS3_EEvT1_iilPiilS6_bb.num_agpr, 0
	.set _ZN9rocsolver6v33100L18getri_kernel_smallILi29E19rocblas_complex_numIdEPS3_EEvT1_iilPiilS6_bb.numbered_sgpr, 41
	.set _ZN9rocsolver6v33100L18getri_kernel_smallILi29E19rocblas_complex_numIdEPS3_EEvT1_iilPiilS6_bb.num_named_barrier, 0
	.set _ZN9rocsolver6v33100L18getri_kernel_smallILi29E19rocblas_complex_numIdEPS3_EEvT1_iilPiilS6_bb.private_seg_size, 496
	.set _ZN9rocsolver6v33100L18getri_kernel_smallILi29E19rocblas_complex_numIdEPS3_EEvT1_iilPiilS6_bb.uses_vcc, 1
	.set _ZN9rocsolver6v33100L18getri_kernel_smallILi29E19rocblas_complex_numIdEPS3_EEvT1_iilPiilS6_bb.uses_flat_scratch, 1
	.set _ZN9rocsolver6v33100L18getri_kernel_smallILi29E19rocblas_complex_numIdEPS3_EEvT1_iilPiilS6_bb.has_dyn_sized_stack, 0
	.set _ZN9rocsolver6v33100L18getri_kernel_smallILi29E19rocblas_complex_numIdEPS3_EEvT1_iilPiilS6_bb.has_recursion, 0
	.set _ZN9rocsolver6v33100L18getri_kernel_smallILi29E19rocblas_complex_numIdEPS3_EEvT1_iilPiilS6_bb.has_indirect_call, 0
	.section	.AMDGPU.csdata,"",@progbits
; Kernel info:
; codeLenInByte = 42332
; TotalNumSgprs: 43
; NumVgprs: 143
; ScratchSize: 496
; MemoryBound: 0
; FloatMode: 240
; IeeeMode: 1
; LDSByteSize: 936 bytes/workgroup (compile time only)
; SGPRBlocks: 0
; VGPRBlocks: 17
; NumSGPRsForWavesPerEU: 43
; NumVGPRsForWavesPerEU: 143
; Occupancy: 10
; WaveLimiterHint : 1
; COMPUTE_PGM_RSRC2:SCRATCH_EN: 1
; COMPUTE_PGM_RSRC2:USER_SGPR: 2
; COMPUTE_PGM_RSRC2:TRAP_HANDLER: 0
; COMPUTE_PGM_RSRC2:TGID_X_EN: 1
; COMPUTE_PGM_RSRC2:TGID_Y_EN: 0
; COMPUTE_PGM_RSRC2:TGID_Z_EN: 0
; COMPUTE_PGM_RSRC2:TIDIG_COMP_CNT: 0
	.section	.text._ZN9rocsolver6v33100L18getri_kernel_smallILi30E19rocblas_complex_numIdEPS3_EEvT1_iilPiilS6_bb,"axG",@progbits,_ZN9rocsolver6v33100L18getri_kernel_smallILi30E19rocblas_complex_numIdEPS3_EEvT1_iilPiilS6_bb,comdat
	.globl	_ZN9rocsolver6v33100L18getri_kernel_smallILi30E19rocblas_complex_numIdEPS3_EEvT1_iilPiilS6_bb ; -- Begin function _ZN9rocsolver6v33100L18getri_kernel_smallILi30E19rocblas_complex_numIdEPS3_EEvT1_iilPiilS6_bb
	.p2align	8
	.type	_ZN9rocsolver6v33100L18getri_kernel_smallILi30E19rocblas_complex_numIdEPS3_EEvT1_iilPiilS6_bb,@function
_ZN9rocsolver6v33100L18getri_kernel_smallILi30E19rocblas_complex_numIdEPS3_EEvT1_iilPiilS6_bb: ; @_ZN9rocsolver6v33100L18getri_kernel_smallILi30E19rocblas_complex_numIdEPS3_EEvT1_iilPiilS6_bb
; %bb.0:
	s_mov_b32 s2, exec_lo
	v_cmpx_gt_u32_e32 30, v0
	s_cbranch_execz .LBB29_134
; %bb.1:
	s_clause 0x2
	s_load_b32 s2, s[0:1], 0x38
	s_load_b128 s[12:15], s[0:1], 0x10
	s_load_b128 s[4:7], s[0:1], 0x28
	s_mov_b32 s16, ttmp9
	s_wait_kmcnt 0x0
	s_bitcmp1_b32 s2, 8
	s_cselect_b32 s18, -1, 0
	s_bfe_u32 s2, s2, 0x10008
	s_ashr_i32 s17, ttmp9, 31
	s_cmp_eq_u32 s2, 0
                                        ; implicit-def: $sgpr2_sgpr3
	s_cbranch_scc1 .LBB29_3
; %bb.2:
	s_load_b32 s2, s[0:1], 0x20
	s_mul_u64 s[4:5], s[4:5], s[16:17]
	s_delay_alu instid0(SALU_CYCLE_1) | instskip(NEXT) | instid1(SALU_CYCLE_1)
	s_lshl_b64 s[4:5], s[4:5], 2
	s_add_nc_u64 s[4:5], s[14:15], s[4:5]
	s_wait_kmcnt 0x0
	s_ashr_i32 s3, s2, 31
	s_delay_alu instid0(SALU_CYCLE_1) | instskip(NEXT) | instid1(SALU_CYCLE_1)
	s_lshl_b64 s[2:3], s[2:3], 2
	s_add_nc_u64 s[2:3], s[4:5], s[2:3]
.LBB29_3:
	s_clause 0x1
	s_load_b128 s[8:11], s[0:1], 0x0
	s_load_b32 s39, s[0:1], 0x38
	s_mul_u64 s[0:1], s[12:13], s[16:17]
	v_lshlrev_b32_e32 v73, 4, v0
	s_lshl_b64 s[0:1], s[0:1], 4
	s_movk_i32 s12, 0xd0
	s_movk_i32 s13, 0xe0
	;; [unrolled: 1-line block ×3, first 2 shown]
	s_add_co_i32 s36, s12, 16
	s_movk_i32 s15, 0x100
	s_add_co_i32 s35, s13, 16
	s_add_co_i32 s31, s14, 16
	;; [unrolled: 1-line block ×3, first 2 shown]
	s_mov_b32 s22, 32
	s_mov_b32 s21, 48
	;; [unrolled: 1-line block ×3, first 2 shown]
	s_movk_i32 s19, 0x50
	s_wait_kmcnt 0x0
	v_add3_u32 v5, s11, s11, v0
	s_ashr_i32 s5, s10, 31
	s_mov_b32 s4, s10
	s_add_nc_u64 s[0:1], s[8:9], s[0:1]
	s_lshl_b64 s[4:5], s[4:5], 4
	v_add_nc_u32_e32 v7, s11, v5
	v_ashrrev_i32_e32 v6, 31, v5
	s_add_nc_u64 s[0:1], s[0:1], s[4:5]
	s_ashr_i32 s9, s11, 31
	v_add_co_u32 v13, s4, s0, v73
	v_add_nc_u32_e32 v9, s11, v7
	v_ashrrev_i32_e32 v8, 31, v7
	s_mov_b32 s8, s11
	v_lshlrev_b64_e32 v[5:6], 4, v[5:6]
	v_add_co_ci_u32_e64 v14, null, s1, 0, s4
	v_add_nc_u32_e32 v21, s11, v9
	v_ashrrev_i32_e32 v10, 31, v9
	s_lshl_b64 s[8:9], s[8:9], 4
	v_lshlrev_b64_e32 v[19:20], 4, v[7:8]
	v_add_co_u32 v15, vcc_lo, v13, s8
	v_ashrrev_i32_e32 v22, 31, v21
	v_add_nc_u32_e32 v25, s11, v21
	v_lshlrev_b64_e32 v[23:24], 4, v[9:10]
	v_add_co_ci_u32_e64 v16, null, s9, v14, vcc_lo
	v_add_co_u32 v17, vcc_lo, s0, v5
	v_lshlrev_b64_e32 v[27:28], 4, v[21:22]
	v_ashrrev_i32_e32 v26, 31, v25
	v_add_nc_u32_e32 v31, s11, v25
	s_wait_alu 0xfffd
	v_add_co_ci_u32_e64 v18, null, s1, v6, vcc_lo
	v_add_co_u32 v19, vcc_lo, s0, v19
	s_wait_alu 0xfffd
	v_add_co_ci_u32_e64 v20, null, s1, v20, vcc_lo
	v_add_co_u32 v21, vcc_lo, s0, v23
	s_wait_alu 0xfffd
	v_add_co_ci_u32_e64 v22, null, s1, v24, vcc_lo
	v_lshlrev_b64_e32 v[29:30], 4, v[25:26]
	v_add_co_u32 v23, vcc_lo, s0, v27
	v_add_nc_u32_e32 v27, s11, v31
	v_ashrrev_i32_e32 v32, 31, v31
	s_wait_alu 0xfffd
	v_add_co_ci_u32_e64 v24, null, s1, v28, vcc_lo
	v_add_co_u32 v25, vcc_lo, s0, v29
	v_ashrrev_i32_e32 v28, 31, v27
	v_add_nc_u32_e32 v33, s11, v27
	s_clause 0x2
	global_load_b128 v[1:4], v73, s[0:1]
	global_load_b128 v[5:8], v[15:16], off
	global_load_b128 v[9:12], v[17:18], off
	s_wait_alu 0xfffd
	v_add_co_ci_u32_e64 v26, null, s1, v30, vcc_lo
	s_clause 0x1
	global_load_b128 v[65:68], v[19:20], off
	global_load_b128 v[69:72], v[21:22], off
	v_lshlrev_b64_e32 v[29:30], 4, v[31:32]
	v_lshlrev_b64_e32 v[31:32], 4, v[27:28]
	v_add_nc_u32_e32 v35, s11, v33
	v_ashrrev_i32_e32 v34, 31, v33
	s_clause 0x1
	global_load_b128 v[74:77], v[23:24], off
	global_load_b128 v[78:81], v[25:26], off
	s_movk_i32 s4, 0x70
	v_add_co_u32 v27, vcc_lo, s0, v29
	v_ashrrev_i32_e32 v36, 31, v35
	s_wait_alu 0xfffd
	v_add_co_ci_u32_e64 v28, null, s1, v30, vcc_lo
	v_add_co_u32 v29, vcc_lo, s0, v31
	s_wait_alu 0xfffd
	v_add_co_ci_u32_e64 v30, null, s1, v32, vcc_lo
	v_lshlrev_b64_e32 v[31:32], 4, v[33:34]
	v_lshlrev_b64_e32 v[33:34], 4, v[35:36]
	s_clause 0x1
	global_load_b128 v[82:85], v[27:28], off
	global_load_b128 v[86:89], v[29:30], off
	v_add_nc_u32_e32 v35, s11, v35
	s_movk_i32 s5, 0x80
	s_movk_i32 s8, 0x90
	v_add_co_u32 v31, vcc_lo, s0, v31
	s_wait_alu 0xfffd
	v_add_co_ci_u32_e64 v32, null, s1, v32, vcc_lo
	v_add_co_u32 v33, vcc_lo, s0, v33
	s_wait_alu 0xfffd
	v_add_co_ci_u32_e64 v34, null, s1, v34, vcc_lo
	s_clause 0x1
	global_load_b128 v[90:93], v[31:32], off
	global_load_b128 v[94:97], v[33:34], off
	v_add_nc_u32_e32 v37, s11, v35
	v_ashrrev_i32_e32 v36, 31, v35
	s_wait_alu 0xfffe
	s_add_co_i32 s27, s4, 16
	s_movk_i32 s9, 0xa0
	s_movk_i32 s10, 0xb0
	v_add_nc_u32_e32 v39, s11, v37
	v_ashrrev_i32_e32 v38, 31, v37
	v_lshlrev_b64_e32 v[35:36], 4, v[35:36]
	s_add_co_i32 s26, s5, 16
	s_add_co_i32 s25, s8, 16
	v_add_nc_u32_e32 v41, s11, v39
	v_ashrrev_i32_e32 v40, 31, v39
	v_lshlrev_b64_e32 v[37:38], 4, v[37:38]
	v_add_co_u32 v35, vcc_lo, s0, v35
	s_delay_alu instid0(VALU_DEP_4)
	v_add_nc_u32_e32 v43, s11, v41
	v_ashrrev_i32_e32 v42, 31, v41
	v_lshlrev_b64_e32 v[39:40], 4, v[39:40]
	s_wait_alu 0xfffd
	v_add_co_ci_u32_e64 v36, null, s1, v36, vcc_lo
	v_add_nc_u32_e32 v45, s11, v43
	v_ashrrev_i32_e32 v44, 31, v43
	v_lshlrev_b64_e32 v[41:42], 4, v[41:42]
	v_add_co_u32 v37, vcc_lo, s0, v37
	s_delay_alu instid0(VALU_DEP_4)
	v_add_nc_u32_e32 v47, s11, v45
	v_ashrrev_i32_e32 v46, 31, v45
	v_lshlrev_b64_e32 v[43:44], 4, v[43:44]
	s_wait_alu 0xfffd
	v_add_co_ci_u32_e64 v38, null, s1, v38, vcc_lo
	v_add_nc_u32_e32 v49, s11, v47
	v_ashrrev_i32_e32 v48, 31, v47
	v_add_co_u32 v39, vcc_lo, s0, v39
	v_lshlrev_b64_e32 v[45:46], 4, v[45:46]
	s_delay_alu instid0(VALU_DEP_4)
	v_add_nc_u32_e32 v51, s11, v49
	v_ashrrev_i32_e32 v50, 31, v49
	s_wait_alu 0xfffd
	v_add_co_ci_u32_e64 v40, null, s1, v40, vcc_lo
	v_add_co_u32 v41, vcc_lo, s0, v41
	v_add_nc_u32_e32 v53, s11, v51
	v_ashrrev_i32_e32 v52, 31, v51
	v_lshlrev_b64_e32 v[47:48], 4, v[47:48]
	s_wait_alu 0xfffd
	v_add_co_ci_u32_e64 v42, null, s1, v42, vcc_lo
	v_add_nc_u32_e32 v55, s11, v53
	v_ashrrev_i32_e32 v54, 31, v53
	v_add_co_u32 v43, vcc_lo, s0, v43
	v_lshlrev_b64_e32 v[49:50], 4, v[49:50]
	s_delay_alu instid0(VALU_DEP_4)
	v_add_nc_u32_e32 v57, s11, v55
	v_ashrrev_i32_e32 v56, 31, v55
	s_wait_alu 0xfffd
	v_add_co_ci_u32_e64 v44, null, s1, v44, vcc_lo
	v_add_co_u32 v45, vcc_lo, s0, v45
	v_add_nc_u32_e32 v59, s11, v57
	v_lshlrev_b64_e32 v[51:52], 4, v[51:52]
	v_ashrrev_i32_e32 v58, 31, v57
	s_wait_alu 0xfffd
	v_add_co_ci_u32_e64 v46, null, s1, v46, vcc_lo
	v_add_nc_u32_e32 v61, s11, v59
	v_add_co_u32 v47, vcc_lo, s0, v47
	v_lshlrev_b64_e32 v[53:54], 4, v[53:54]
	s_wait_alu 0xfffd
	v_add_co_ci_u32_e64 v48, null, s1, v48, vcc_lo
	v_add_nc_u32_e32 v63, s11, v61
	v_add_co_u32 v49, vcc_lo, s0, v49
	v_lshlrev_b64_e32 v[55:56], 4, v[55:56]
	;; [unrolled: 5-line block ×3, first 2 shown]
	s_wait_alu 0xfffd
	v_add_co_ci_u32_e64 v52, null, s1, v52, vcc_lo
	v_add_co_u32 v53, vcc_lo, s0, v53
	v_add_nc_u32_e32 v142, s11, v138
	s_wait_alu 0xfffd
	v_add_co_ci_u32_e64 v54, null, s1, v54, vcc_lo
	v_add_co_u32 v55, vcc_lo, s0, v55
	v_ashrrev_i32_e32 v60, 31, v59
	s_wait_alu 0xfffd
	v_add_co_ci_u32_e64 v56, null, s1, v56, vcc_lo
	v_add_co_u32 v57, vcc_lo, s0, v57
	v_ashrrev_i32_e32 v62, 31, v61
	v_add_nc_u32_e32 v146, s11, v142
	s_wait_alu 0xfffd
	v_add_co_ci_u32_e64 v58, null, s1, v58, vcc_lo
	v_ashrrev_i32_e32 v64, 31, v63
	v_lshlrev_b64_e32 v[59:60], 4, v[59:60]
	s_clause 0x9
	global_load_b128 v[98:101], v[35:36], off
	global_load_b128 v[102:105], v[37:38], off
	;; [unrolled: 1-line block ×10, first 2 shown]
	v_ashrrev_i32_e32 v139, 31, v138
	v_lshlrev_b64_e32 v[61:62], 4, v[61:62]
	v_ashrrev_i32_e32 v143, 31, v142
	v_lshlrev_b64_e32 v[63:64], 4, v[63:64]
	v_ashrrev_i32_e32 v147, 31, v146
	v_add_co_u32 v59, vcc_lo, s0, v59
	v_lshlrev_b64_e32 v[144:145], 4, v[138:139]
	s_wait_alu 0xfffd
	v_add_co_ci_u32_e64 v60, null, s1, v60, vcc_lo
	v_add_co_u32 v61, vcc_lo, s0, v61
	s_wait_alu 0xfffd
	v_add_co_ci_u32_e64 v62, null, s1, v62, vcc_lo
	v_add_co_u32 v63, vcc_lo, s0, v63
	s_wait_alu 0xfffd
	v_add_co_ci_u32_e64 v64, null, s1, v64, vcc_lo
	s_wait_alu 0xfffe
	s_add_co_i32 s24, s9, 16
	s_add_co_i32 s23, s10, 16
	s_wait_loadcnt 0x14
	scratch_store_b128 off, v[1:4], off offset:16
	s_wait_loadcnt 0x13
	scratch_store_b128 off, v[5:8], off offset:32
	s_clause 0x1
	global_load_b128 v[1:4], v[55:56], off
	global_load_b128 v[5:8], v[57:58], off
	s_wait_loadcnt 0x14
	scratch_store_b128 off, v[9:12], off offset:48
	s_wait_loadcnt 0x13
	scratch_store_b128 off, v[65:68], off offset:64
	;; [unrolled: 2-line block ×3, first 2 shown]
	v_add_nc_u32_e32 v69, s11, v146
	v_lshlrev_b64_e32 v[67:68], 4, v[142:143]
	v_lshlrev_b64_e32 v[71:72], 4, v[146:147]
	v_add_co_u32 v65, vcc_lo, s0, v144
	s_delay_alu instid0(VALU_DEP_4) | instskip(SKIP_3) | instid1(VALU_DEP_3)
	v_ashrrev_i32_e32 v70, 31, v69
	s_wait_alu 0xfffd
	v_add_co_ci_u32_e64 v66, null, s1, v145, vcc_lo
	v_add_co_u32 v67, vcc_lo, s0, v67
	v_lshlrev_b64_e32 v[142:143], 4, v[69:70]
	s_wait_alu 0xfffd
	v_add_co_ci_u32_e64 v68, null, s1, v68, vcc_lo
	v_add_co_u32 v69, vcc_lo, s0, v71
	s_wait_alu 0xfffd
	v_add_co_ci_u32_e64 v70, null, s1, v72, vcc_lo
	v_add_co_u32 v71, vcc_lo, s0, v142
	s_wait_alu 0xfffd
	v_add_co_ci_u32_e64 v72, null, s1, v143, vcc_lo
	s_clause 0x1
	global_load_b128 v[9:12], v[59:60], off
	global_load_b128 v[138:141], v[61:62], off
	s_wait_loadcnt 0x13
	scratch_store_b128 off, v[74:77], off offset:96
	s_wait_loadcnt 0x12
	scratch_store_b128 off, v[78:81], off offset:112
	s_wait_loadcnt 0x11
	scratch_store_b128 off, v[82:85], off offset:128
	s_clause 0x1
	global_load_b128 v[74:77], v[63:64], off
	global_load_b128 v[78:81], v[65:66], off
	s_wait_loadcnt 0x12
	scratch_store_b128 off, v[86:89], off offset:144
	s_clause 0x1
	global_load_b128 v[82:85], v[67:68], off
	global_load_b128 v[86:89], v[69:70], off
	s_movk_i32 s0, 0x50
	s_movk_i32 s1, 0x60
	s_wait_loadcnt 0x13
	scratch_store_b128 off, v[90:93], off offset:160
	global_load_b128 v[90:93], v[71:72], off
	s_wait_alu 0xfffe
	s_add_co_i32 s29, s0, 16
	s_movk_i32 s0, 0x110
	s_add_co_i32 s28, s1, 16
	s_wait_alu 0xfffe
	s_add_co_i32 s30, s0, 16
	s_movk_i32 s0, 0x120
	s_movk_i32 s1, 0x130
	s_wait_alu 0xfffe
	s_add_co_i32 s34, s0, 16
	s_add_co_i32 s4, s1, 16
	s_movk_i32 s0, 0x140
	s_movk_i32 s1, 0x150
	s_wait_alu 0xfffe
	s_add_co_i32 s8, s0, 16
	s_add_co_i32 s5, s1, 16
	s_movk_i32 s0, 0x160
	s_movk_i32 s1, 0x170
	;; [unrolled: 1-line block ×3, first 2 shown]
	s_wait_alu 0xfffe
	s_add_co_i32 s10, s0, 16
	s_add_co_i32 s9, s1, 16
	s_movk_i32 s0, 0x180
	s_movk_i32 s1, 0x190
	s_add_co_i32 s37, s11, 16
	s_wait_alu 0xfffe
	s_add_co_i32 s12, s0, 16
	s_add_co_i32 s11, s1, 16
	s_movk_i32 s0, 0x1a0
	s_movk_i32 s1, 0x1b0
	s_wait_alu 0xfffe
	s_add_co_i32 s14, s0, 16
	s_add_co_i32 s13, s1, 16
	s_movk_i32 s0, 0x1c0
	s_movk_i32 s1, 0x1d0
	s_wait_alu 0xfffe
	s_add_co_i32 s15, s0, 16
	s_add_co_i32 s38, s1, 16
	s_mov_b32 s1, -1
	s_bitcmp0_b32 s39, 0
	s_wait_loadcnt 0x13
	scratch_store_b128 off, v[94:97], off offset:176
	s_wait_loadcnt 0x12
	scratch_store_b128 off, v[98:101], off offset:192
	;; [unrolled: 2-line block ×20, first 2 shown]
	s_cbranch_scc1 .LBB29_132
; %bb.4:
	v_cmp_eq_u32_e64 s0, 0, v0
	s_and_saveexec_b32 s1, s0
; %bb.5:
	v_mov_b32_e32 v1, 0
	ds_store_b32 v1, v1 offset:960
; %bb.6:
	s_wait_alu 0xfffe
	s_or_b32 exec_lo, exec_lo, s1
	s_wait_storecnt_dscnt 0x0
	s_barrier_signal -1
	s_barrier_wait -1
	global_inv scope:SCOPE_SE
	scratch_load_b128 v[1:4], v73, off offset:16
	s_wait_loadcnt 0x0
	v_cmp_eq_f64_e32 vcc_lo, 0, v[1:2]
	v_cmp_eq_f64_e64 s1, 0, v[3:4]
	s_and_b32 s1, vcc_lo, s1
	s_wait_alu 0xfffe
	s_and_saveexec_b32 s39, s1
	s_cbranch_execz .LBB29_10
; %bb.7:
	v_mov_b32_e32 v1, 0
	s_mov_b32 s40, 0
	ds_load_b32 v2, v1 offset:960
	s_wait_dscnt 0x0
	v_readfirstlane_b32 s1, v2
	v_add_nc_u32_e32 v2, 1, v0
	s_cmp_eq_u32 s1, 0
	s_delay_alu instid0(VALU_DEP_1) | instskip(SKIP_1) | instid1(SALU_CYCLE_1)
	v_cmp_gt_i32_e32 vcc_lo, s1, v2
	s_cselect_b32 s41, -1, 0
	s_or_b32 s41, s41, vcc_lo
	s_delay_alu instid0(SALU_CYCLE_1)
	s_and_b32 exec_lo, exec_lo, s41
	s_cbranch_execz .LBB29_10
; %bb.8:
	v_mov_b32_e32 v3, s1
.LBB29_9:                               ; =>This Inner Loop Header: Depth=1
	ds_cmpstore_rtn_b32 v3, v1, v2, v3 offset:960
	s_wait_dscnt 0x0
	v_cmp_ne_u32_e32 vcc_lo, 0, v3
	v_cmp_le_i32_e64 s1, v3, v2
	s_and_b32 s1, vcc_lo, s1
	s_wait_alu 0xfffe
	s_and_b32 s1, exec_lo, s1
	s_wait_alu 0xfffe
	s_or_b32 s40, s1, s40
	s_delay_alu instid0(SALU_CYCLE_1)
	s_and_not1_b32 exec_lo, exec_lo, s40
	s_cbranch_execnz .LBB29_9
.LBB29_10:
	s_or_b32 exec_lo, exec_lo, s39
	v_mov_b32_e32 v1, 0
	s_barrier_signal -1
	s_barrier_wait -1
	global_inv scope:SCOPE_SE
	ds_load_b32 v2, v1 offset:960
	s_and_saveexec_b32 s1, s0
	s_cbranch_execz .LBB29_12
; %bb.11:
	s_lshl_b64 s[40:41], s[16:17], 2
	s_delay_alu instid0(SALU_CYCLE_1)
	s_add_nc_u64 s[40:41], s[6:7], s[40:41]
	s_wait_dscnt 0x0
	global_store_b32 v1, v2, s[40:41]
.LBB29_12:
	s_wait_alu 0xfffe
	s_or_b32 exec_lo, exec_lo, s1
	s_wait_dscnt 0x0
	v_cmp_ne_u32_e32 vcc_lo, 0, v2
	s_mov_b32 s1, 0
	s_cbranch_vccnz .LBB29_132
; %bb.13:
	v_add_nc_u32_e32 v74, 16, v73
                                        ; implicit-def: $vgpr1_vgpr2
                                        ; implicit-def: $vgpr9_vgpr10
	scratch_load_b128 v[5:8], v74, off
	s_wait_loadcnt 0x0
	v_cmp_ngt_f64_e64 s1, |v[5:6]|, |v[7:8]|
	s_wait_alu 0xfffe
	s_and_saveexec_b32 s39, s1
	s_delay_alu instid0(SALU_CYCLE_1)
	s_xor_b32 s1, exec_lo, s39
	s_cbranch_execz .LBB29_15
; %bb.14:
	v_div_scale_f64 v[1:2], null, v[7:8], v[7:8], v[5:6]
	v_div_scale_f64 v[11:12], vcc_lo, v[5:6], v[7:8], v[5:6]
	s_delay_alu instid0(VALU_DEP_2) | instskip(NEXT) | instid1(TRANS32_DEP_1)
	v_rcp_f64_e32 v[3:4], v[1:2]
	v_fma_f64 v[9:10], -v[1:2], v[3:4], 1.0
	s_delay_alu instid0(VALU_DEP_1) | instskip(NEXT) | instid1(VALU_DEP_1)
	v_fma_f64 v[3:4], v[3:4], v[9:10], v[3:4]
	v_fma_f64 v[9:10], -v[1:2], v[3:4], 1.0
	s_delay_alu instid0(VALU_DEP_1) | instskip(NEXT) | instid1(VALU_DEP_1)
	v_fma_f64 v[3:4], v[3:4], v[9:10], v[3:4]
	v_mul_f64_e32 v[9:10], v[11:12], v[3:4]
	s_delay_alu instid0(VALU_DEP_1) | instskip(SKIP_1) | instid1(VALU_DEP_1)
	v_fma_f64 v[1:2], -v[1:2], v[9:10], v[11:12]
	s_wait_alu 0xfffd
	v_div_fmas_f64 v[1:2], v[1:2], v[3:4], v[9:10]
	s_delay_alu instid0(VALU_DEP_1) | instskip(NEXT) | instid1(VALU_DEP_1)
	v_div_fixup_f64 v[1:2], v[1:2], v[7:8], v[5:6]
	v_fma_f64 v[3:4], v[5:6], v[1:2], v[7:8]
	s_delay_alu instid0(VALU_DEP_1) | instskip(SKIP_1) | instid1(VALU_DEP_2)
	v_div_scale_f64 v[5:6], null, v[3:4], v[3:4], 1.0
	v_div_scale_f64 v[11:12], vcc_lo, 1.0, v[3:4], 1.0
	v_rcp_f64_e32 v[7:8], v[5:6]
	s_delay_alu instid0(TRANS32_DEP_1) | instskip(NEXT) | instid1(VALU_DEP_1)
	v_fma_f64 v[9:10], -v[5:6], v[7:8], 1.0
	v_fma_f64 v[7:8], v[7:8], v[9:10], v[7:8]
	s_delay_alu instid0(VALU_DEP_1) | instskip(NEXT) | instid1(VALU_DEP_1)
	v_fma_f64 v[9:10], -v[5:6], v[7:8], 1.0
	v_fma_f64 v[7:8], v[7:8], v[9:10], v[7:8]
	s_delay_alu instid0(VALU_DEP_1) | instskip(NEXT) | instid1(VALU_DEP_1)
	v_mul_f64_e32 v[9:10], v[11:12], v[7:8]
	v_fma_f64 v[5:6], -v[5:6], v[9:10], v[11:12]
	s_wait_alu 0xfffd
	s_delay_alu instid0(VALU_DEP_1) | instskip(NEXT) | instid1(VALU_DEP_1)
	v_div_fmas_f64 v[5:6], v[5:6], v[7:8], v[9:10]
	v_div_fixup_f64 v[3:4], v[5:6], v[3:4], 1.0
                                        ; implicit-def: $vgpr5_vgpr6
	s_delay_alu instid0(VALU_DEP_1) | instskip(SKIP_1) | instid1(VALU_DEP_2)
	v_mul_f64_e32 v[1:2], v[1:2], v[3:4]
	v_xor_b32_e32 v4, 0x80000000, v4
	v_xor_b32_e32 v10, 0x80000000, v2
	s_delay_alu instid0(VALU_DEP_3)
	v_mov_b32_e32 v9, v1
.LBB29_15:
	s_wait_alu 0xfffe
	s_and_not1_saveexec_b32 s1, s1
	s_cbranch_execz .LBB29_17
; %bb.16:
	v_div_scale_f64 v[1:2], null, v[5:6], v[5:6], v[7:8]
	v_div_scale_f64 v[11:12], vcc_lo, v[7:8], v[5:6], v[7:8]
	s_delay_alu instid0(VALU_DEP_2) | instskip(NEXT) | instid1(TRANS32_DEP_1)
	v_rcp_f64_e32 v[3:4], v[1:2]
	v_fma_f64 v[9:10], -v[1:2], v[3:4], 1.0
	s_delay_alu instid0(VALU_DEP_1) | instskip(NEXT) | instid1(VALU_DEP_1)
	v_fma_f64 v[3:4], v[3:4], v[9:10], v[3:4]
	v_fma_f64 v[9:10], -v[1:2], v[3:4], 1.0
	s_delay_alu instid0(VALU_DEP_1) | instskip(NEXT) | instid1(VALU_DEP_1)
	v_fma_f64 v[3:4], v[3:4], v[9:10], v[3:4]
	v_mul_f64_e32 v[9:10], v[11:12], v[3:4]
	s_delay_alu instid0(VALU_DEP_1) | instskip(SKIP_1) | instid1(VALU_DEP_1)
	v_fma_f64 v[1:2], -v[1:2], v[9:10], v[11:12]
	s_wait_alu 0xfffd
	v_div_fmas_f64 v[1:2], v[1:2], v[3:4], v[9:10]
	s_delay_alu instid0(VALU_DEP_1) | instskip(NEXT) | instid1(VALU_DEP_1)
	v_div_fixup_f64 v[3:4], v[1:2], v[5:6], v[7:8]
	v_fma_f64 v[1:2], v[7:8], v[3:4], v[5:6]
	s_delay_alu instid0(VALU_DEP_1) | instskip(NEXT) | instid1(VALU_DEP_1)
	v_div_scale_f64 v[5:6], null, v[1:2], v[1:2], 1.0
	v_rcp_f64_e32 v[7:8], v[5:6]
	s_delay_alu instid0(TRANS32_DEP_1) | instskip(NEXT) | instid1(VALU_DEP_1)
	v_fma_f64 v[9:10], -v[5:6], v[7:8], 1.0
	v_fma_f64 v[7:8], v[7:8], v[9:10], v[7:8]
	s_delay_alu instid0(VALU_DEP_1) | instskip(NEXT) | instid1(VALU_DEP_1)
	v_fma_f64 v[9:10], -v[5:6], v[7:8], 1.0
	v_fma_f64 v[7:8], v[7:8], v[9:10], v[7:8]
	v_div_scale_f64 v[9:10], vcc_lo, 1.0, v[1:2], 1.0
	s_delay_alu instid0(VALU_DEP_1) | instskip(NEXT) | instid1(VALU_DEP_1)
	v_mul_f64_e32 v[11:12], v[9:10], v[7:8]
	v_fma_f64 v[5:6], -v[5:6], v[11:12], v[9:10]
	s_wait_alu 0xfffd
	s_delay_alu instid0(VALU_DEP_1) | instskip(NEXT) | instid1(VALU_DEP_1)
	v_div_fmas_f64 v[5:6], v[5:6], v[7:8], v[11:12]
	v_div_fixup_f64 v[1:2], v[5:6], v[1:2], 1.0
	s_delay_alu instid0(VALU_DEP_1)
	v_mul_f64_e64 v[3:4], v[3:4], -v[1:2]
	v_xor_b32_e32 v10, 0x80000000, v2
	v_mov_b32_e32 v9, v1
.LBB29_17:
	s_wait_alu 0xfffe
	s_or_b32 exec_lo, exec_lo, s1
	scratch_store_b128 v74, v[1:4], off
	scratch_load_b128 v[75:78], off, s22
	v_xor_b32_e32 v12, 0x80000000, v4
	v_mov_b32_e32 v11, v3
	v_add_nc_u32_e32 v5, 0x1e0, v73
	ds_store_b128 v73, v[9:12]
	s_wait_loadcnt 0x0
	ds_store_b128 v73, v[75:78] offset:480
	s_wait_storecnt_dscnt 0x0
	s_barrier_signal -1
	s_barrier_wait -1
	global_inv scope:SCOPE_SE
	s_and_saveexec_b32 s1, s0
	s_cbranch_execz .LBB29_19
; %bb.18:
	scratch_load_b128 v[1:4], v74, off
	ds_load_b128 v[6:9], v5
	v_mov_b32_e32 v10, 0
	ds_load_b128 v[75:78], v10 offset:16
	s_wait_loadcnt_dscnt 0x1
	v_mul_f64_e32 v[10:11], v[6:7], v[3:4]
	v_mul_f64_e32 v[3:4], v[8:9], v[3:4]
	s_delay_alu instid0(VALU_DEP_2) | instskip(NEXT) | instid1(VALU_DEP_2)
	v_fma_f64 v[8:9], v[8:9], v[1:2], v[10:11]
	v_fma_f64 v[1:2], v[6:7], v[1:2], -v[3:4]
	s_delay_alu instid0(VALU_DEP_2) | instskip(NEXT) | instid1(VALU_DEP_2)
	v_add_f64_e32 v[3:4], 0, v[8:9]
	v_add_f64_e32 v[1:2], 0, v[1:2]
	s_wait_dscnt 0x0
	s_delay_alu instid0(VALU_DEP_2) | instskip(NEXT) | instid1(VALU_DEP_2)
	v_mul_f64_e32 v[6:7], v[3:4], v[77:78]
	v_mul_f64_e32 v[8:9], v[1:2], v[77:78]
	s_delay_alu instid0(VALU_DEP_2) | instskip(NEXT) | instid1(VALU_DEP_2)
	v_fma_f64 v[1:2], v[1:2], v[75:76], -v[6:7]
	v_fma_f64 v[3:4], v[3:4], v[75:76], v[8:9]
	scratch_store_b128 off, v[1:4], off offset:32
.LBB29_19:
	s_wait_alu 0xfffe
	s_or_b32 exec_lo, exec_lo, s1
	s_wait_loadcnt 0x0
	s_wait_storecnt 0x0
	s_barrier_signal -1
	s_barrier_wait -1
	global_inv scope:SCOPE_SE
	scratch_load_b128 v[1:4], off, s21
	s_mov_b32 s1, exec_lo
	s_wait_loadcnt 0x0
	ds_store_b128 v5, v[1:4]
	s_wait_dscnt 0x0
	s_barrier_signal -1
	s_barrier_wait -1
	global_inv scope:SCOPE_SE
	v_cmpx_gt_u32_e32 2, v0
	s_cbranch_execz .LBB29_23
; %bb.20:
	scratch_load_b128 v[1:4], v74, off
	ds_load_b128 v[6:9], v5
	s_wait_loadcnt_dscnt 0x0
	v_mul_f64_e32 v[10:11], v[8:9], v[3:4]
	v_mul_f64_e32 v[3:4], v[6:7], v[3:4]
	s_delay_alu instid0(VALU_DEP_2) | instskip(NEXT) | instid1(VALU_DEP_2)
	v_fma_f64 v[6:7], v[6:7], v[1:2], -v[10:11]
	v_fma_f64 v[3:4], v[8:9], v[1:2], v[3:4]
	s_delay_alu instid0(VALU_DEP_2) | instskip(NEXT) | instid1(VALU_DEP_2)
	v_add_f64_e32 v[1:2], 0, v[6:7]
	v_add_f64_e32 v[3:4], 0, v[3:4]
	s_and_saveexec_b32 s39, s0
	s_cbranch_execz .LBB29_22
; %bb.21:
	scratch_load_b128 v[6:9], off, off offset:32
	v_mov_b32_e32 v10, 0
	ds_load_b128 v[75:78], v10 offset:496
	s_wait_loadcnt_dscnt 0x0
	v_mul_f64_e32 v[10:11], v[75:76], v[8:9]
	v_mul_f64_e32 v[8:9], v[77:78], v[8:9]
	s_delay_alu instid0(VALU_DEP_2) | instskip(NEXT) | instid1(VALU_DEP_2)
	v_fma_f64 v[10:11], v[77:78], v[6:7], v[10:11]
	v_fma_f64 v[6:7], v[75:76], v[6:7], -v[8:9]
	s_delay_alu instid0(VALU_DEP_2) | instskip(NEXT) | instid1(VALU_DEP_2)
	v_add_f64_e32 v[3:4], v[3:4], v[10:11]
	v_add_f64_e32 v[1:2], v[1:2], v[6:7]
.LBB29_22:
	s_or_b32 exec_lo, exec_lo, s39
	v_mov_b32_e32 v6, 0
	ds_load_b128 v[6:9], v6 offset:32
	s_wait_dscnt 0x0
	v_mul_f64_e32 v[10:11], v[3:4], v[8:9]
	v_mul_f64_e32 v[8:9], v[1:2], v[8:9]
	s_delay_alu instid0(VALU_DEP_2) | instskip(NEXT) | instid1(VALU_DEP_2)
	v_fma_f64 v[1:2], v[1:2], v[6:7], -v[10:11]
	v_fma_f64 v[3:4], v[3:4], v[6:7], v[8:9]
	scratch_store_b128 off, v[1:4], off offset:48
.LBB29_23:
	s_wait_alu 0xfffe
	s_or_b32 exec_lo, exec_lo, s1
	s_wait_loadcnt 0x0
	s_wait_storecnt 0x0
	s_barrier_signal -1
	s_barrier_wait -1
	global_inv scope:SCOPE_SE
	scratch_load_b128 v[1:4], off, s20
	v_add_nc_u32_e32 v6, -1, v0
	s_mov_b32 s0, exec_lo
	s_wait_loadcnt 0x0
	ds_store_b128 v5, v[1:4]
	s_wait_dscnt 0x0
	s_barrier_signal -1
	s_barrier_wait -1
	global_inv scope:SCOPE_SE
	v_cmpx_gt_u32_e32 3, v0
	s_cbranch_execz .LBB29_27
; %bb.24:
	v_dual_mov_b32 v1, 0 :: v_dual_add_nc_u32 v8, 0x1e0, v73
	v_mov_b32_e32 v3, 0
	v_dual_mov_b32 v2, 0 :: v_dual_add_nc_u32 v7, -1, v0
	v_mov_b32_e32 v4, 0
	v_or_b32_e32 v9, 8, v74
	s_mov_b32 s1, 0
.LBB29_25:                              ; =>This Inner Loop Header: Depth=1
	scratch_load_b128 v[75:78], v9, off offset:-8
	ds_load_b128 v[79:82], v8
	v_add_nc_u32_e32 v7, 1, v7
	v_add_nc_u32_e32 v8, 16, v8
	v_add_nc_u32_e32 v9, 16, v9
	s_delay_alu instid0(VALU_DEP_3)
	v_cmp_lt_u32_e32 vcc_lo, 1, v7
	s_wait_alu 0xfffe
	s_or_b32 s1, vcc_lo, s1
	s_wait_loadcnt_dscnt 0x0
	v_mul_f64_e32 v[10:11], v[81:82], v[77:78]
	v_mul_f64_e32 v[77:78], v[79:80], v[77:78]
	s_delay_alu instid0(VALU_DEP_2) | instskip(NEXT) | instid1(VALU_DEP_2)
	v_fma_f64 v[10:11], v[79:80], v[75:76], -v[10:11]
	v_fma_f64 v[75:76], v[81:82], v[75:76], v[77:78]
	s_delay_alu instid0(VALU_DEP_2) | instskip(NEXT) | instid1(VALU_DEP_2)
	v_add_f64_e32 v[3:4], v[3:4], v[10:11]
	v_add_f64_e32 v[1:2], v[1:2], v[75:76]
	s_wait_alu 0xfffe
	s_and_not1_b32 exec_lo, exec_lo, s1
	s_cbranch_execnz .LBB29_25
; %bb.26:
	s_or_b32 exec_lo, exec_lo, s1
	v_mov_b32_e32 v7, 0
	ds_load_b128 v[7:10], v7 offset:48
	s_wait_dscnt 0x0
	v_mul_f64_e32 v[11:12], v[1:2], v[9:10]
	v_mul_f64_e32 v[75:76], v[3:4], v[9:10]
	s_delay_alu instid0(VALU_DEP_2) | instskip(NEXT) | instid1(VALU_DEP_2)
	v_fma_f64 v[9:10], v[3:4], v[7:8], -v[11:12]
	v_fma_f64 v[11:12], v[1:2], v[7:8], v[75:76]
	scratch_store_b128 off, v[9:12], off offset:64
.LBB29_27:
	s_wait_alu 0xfffe
	s_or_b32 exec_lo, exec_lo, s0
	s_wait_loadcnt 0x0
	s_wait_storecnt 0x0
	s_barrier_signal -1
	s_barrier_wait -1
	global_inv scope:SCOPE_SE
	scratch_load_b128 v[1:4], off, s19
	s_mov_b32 s0, exec_lo
	s_wait_loadcnt 0x0
	ds_store_b128 v5, v[1:4]
	s_wait_dscnt 0x0
	s_barrier_signal -1
	s_barrier_wait -1
	global_inv scope:SCOPE_SE
	v_cmpx_gt_u32_e32 4, v0
	s_cbranch_execz .LBB29_31
; %bb.28:
	v_dual_mov_b32 v1, 0 :: v_dual_add_nc_u32 v8, 0x1e0, v73
	v_mov_b32_e32 v3, 0
	v_dual_mov_b32 v2, 0 :: v_dual_add_nc_u32 v7, -1, v0
	v_mov_b32_e32 v4, 0
	v_or_b32_e32 v9, 8, v74
	s_mov_b32 s1, 0
.LBB29_29:                              ; =>This Inner Loop Header: Depth=1
	scratch_load_b128 v[75:78], v9, off offset:-8
	ds_load_b128 v[79:82], v8
	v_add_nc_u32_e32 v7, 1, v7
	v_add_nc_u32_e32 v8, 16, v8
	v_add_nc_u32_e32 v9, 16, v9
	s_delay_alu instid0(VALU_DEP_3)
	v_cmp_lt_u32_e32 vcc_lo, 2, v7
	s_wait_alu 0xfffe
	s_or_b32 s1, vcc_lo, s1
	s_wait_loadcnt_dscnt 0x0
	v_mul_f64_e32 v[10:11], v[81:82], v[77:78]
	v_mul_f64_e32 v[77:78], v[79:80], v[77:78]
	s_delay_alu instid0(VALU_DEP_2) | instskip(NEXT) | instid1(VALU_DEP_2)
	v_fma_f64 v[10:11], v[79:80], v[75:76], -v[10:11]
	v_fma_f64 v[75:76], v[81:82], v[75:76], v[77:78]
	s_delay_alu instid0(VALU_DEP_2) | instskip(NEXT) | instid1(VALU_DEP_2)
	v_add_f64_e32 v[3:4], v[3:4], v[10:11]
	v_add_f64_e32 v[1:2], v[1:2], v[75:76]
	s_wait_alu 0xfffe
	s_and_not1_b32 exec_lo, exec_lo, s1
	s_cbranch_execnz .LBB29_29
; %bb.30:
	s_or_b32 exec_lo, exec_lo, s1
	v_mov_b32_e32 v7, 0
	ds_load_b128 v[7:10], v7 offset:64
	s_wait_dscnt 0x0
	v_mul_f64_e32 v[11:12], v[1:2], v[9:10]
	v_mul_f64_e32 v[75:76], v[3:4], v[9:10]
	s_delay_alu instid0(VALU_DEP_2) | instskip(NEXT) | instid1(VALU_DEP_2)
	v_fma_f64 v[9:10], v[3:4], v[7:8], -v[11:12]
	v_fma_f64 v[11:12], v[1:2], v[7:8], v[75:76]
	scratch_store_b128 off, v[9:12], off offset:80
.LBB29_31:
	s_wait_alu 0xfffe
	s_or_b32 exec_lo, exec_lo, s0
	s_wait_loadcnt 0x0
	s_wait_storecnt 0x0
	s_barrier_signal -1
	s_barrier_wait -1
	global_inv scope:SCOPE_SE
	scratch_load_b128 v[1:4], off, s29
	;; [unrolled: 58-line block ×19, first 2 shown]
	s_mov_b32 s0, exec_lo
	s_wait_loadcnt 0x0
	ds_store_b128 v5, v[1:4]
	s_wait_dscnt 0x0
	s_barrier_signal -1
	s_barrier_wait -1
	global_inv scope:SCOPE_SE
	v_cmpx_gt_u32_e32 22, v0
	s_cbranch_execz .LBB29_103
; %bb.100:
	v_dual_mov_b32 v1, 0 :: v_dual_add_nc_u32 v8, 0x1e0, v73
	v_mov_b32_e32 v3, 0
	v_dual_mov_b32 v2, 0 :: v_dual_add_nc_u32 v7, -1, v0
	v_mov_b32_e32 v4, 0
	v_or_b32_e32 v9, 8, v74
	s_mov_b32 s1, 0
.LBB29_101:                             ; =>This Inner Loop Header: Depth=1
	scratch_load_b128 v[75:78], v9, off offset:-8
	ds_load_b128 v[79:82], v8
	v_add_nc_u32_e32 v7, 1, v7
	v_add_nc_u32_e32 v8, 16, v8
	v_add_nc_u32_e32 v9, 16, v9
	s_delay_alu instid0(VALU_DEP_3)
	v_cmp_lt_u32_e32 vcc_lo, 20, v7
	s_wait_alu 0xfffe
	s_or_b32 s1, vcc_lo, s1
	s_wait_loadcnt_dscnt 0x0
	v_mul_f64_e32 v[10:11], v[81:82], v[77:78]
	v_mul_f64_e32 v[77:78], v[79:80], v[77:78]
	s_delay_alu instid0(VALU_DEP_2) | instskip(NEXT) | instid1(VALU_DEP_2)
	v_fma_f64 v[10:11], v[79:80], v[75:76], -v[10:11]
	v_fma_f64 v[75:76], v[81:82], v[75:76], v[77:78]
	s_delay_alu instid0(VALU_DEP_2) | instskip(NEXT) | instid1(VALU_DEP_2)
	v_add_f64_e32 v[3:4], v[3:4], v[10:11]
	v_add_f64_e32 v[1:2], v[1:2], v[75:76]
	s_wait_alu 0xfffe
	s_and_not1_b32 exec_lo, exec_lo, s1
	s_cbranch_execnz .LBB29_101
; %bb.102:
	s_or_b32 exec_lo, exec_lo, s1
	v_mov_b32_e32 v7, 0
	ds_load_b128 v[7:10], v7 offset:352
	s_wait_dscnt 0x0
	v_mul_f64_e32 v[11:12], v[1:2], v[9:10]
	v_mul_f64_e32 v[75:76], v[3:4], v[9:10]
	s_delay_alu instid0(VALU_DEP_2) | instskip(NEXT) | instid1(VALU_DEP_2)
	v_fma_f64 v[9:10], v[3:4], v[7:8], -v[11:12]
	v_fma_f64 v[11:12], v[1:2], v[7:8], v[75:76]
	scratch_store_b128 off, v[9:12], off offset:368
.LBB29_103:
	s_wait_alu 0xfffe
	s_or_b32 exec_lo, exec_lo, s0
	s_wait_loadcnt 0x0
	s_wait_storecnt 0x0
	s_barrier_signal -1
	s_barrier_wait -1
	global_inv scope:SCOPE_SE
	scratch_load_b128 v[1:4], off, s9
	s_mov_b32 s0, exec_lo
	s_wait_loadcnt 0x0
	ds_store_b128 v5, v[1:4]
	s_wait_dscnt 0x0
	s_barrier_signal -1
	s_barrier_wait -1
	global_inv scope:SCOPE_SE
	v_cmpx_gt_u32_e32 23, v0
	s_cbranch_execz .LBB29_107
; %bb.104:
	v_dual_mov_b32 v1, 0 :: v_dual_add_nc_u32 v8, 0x1e0, v73
	v_mov_b32_e32 v3, 0
	v_dual_mov_b32 v2, 0 :: v_dual_add_nc_u32 v7, -1, v0
	v_mov_b32_e32 v4, 0
	v_or_b32_e32 v9, 8, v74
	s_mov_b32 s1, 0
.LBB29_105:                             ; =>This Inner Loop Header: Depth=1
	scratch_load_b128 v[75:78], v9, off offset:-8
	ds_load_b128 v[79:82], v8
	v_add_nc_u32_e32 v7, 1, v7
	v_add_nc_u32_e32 v8, 16, v8
	v_add_nc_u32_e32 v9, 16, v9
	s_delay_alu instid0(VALU_DEP_3)
	v_cmp_lt_u32_e32 vcc_lo, 21, v7
	s_wait_alu 0xfffe
	s_or_b32 s1, vcc_lo, s1
	s_wait_loadcnt_dscnt 0x0
	v_mul_f64_e32 v[10:11], v[81:82], v[77:78]
	v_mul_f64_e32 v[77:78], v[79:80], v[77:78]
	s_delay_alu instid0(VALU_DEP_2) | instskip(NEXT) | instid1(VALU_DEP_2)
	v_fma_f64 v[10:11], v[79:80], v[75:76], -v[10:11]
	v_fma_f64 v[75:76], v[81:82], v[75:76], v[77:78]
	s_delay_alu instid0(VALU_DEP_2) | instskip(NEXT) | instid1(VALU_DEP_2)
	v_add_f64_e32 v[3:4], v[3:4], v[10:11]
	v_add_f64_e32 v[1:2], v[1:2], v[75:76]
	s_wait_alu 0xfffe
	s_and_not1_b32 exec_lo, exec_lo, s1
	s_cbranch_execnz .LBB29_105
; %bb.106:
	s_or_b32 exec_lo, exec_lo, s1
	v_mov_b32_e32 v7, 0
	ds_load_b128 v[7:10], v7 offset:368
	s_wait_dscnt 0x0
	v_mul_f64_e32 v[11:12], v[1:2], v[9:10]
	v_mul_f64_e32 v[75:76], v[3:4], v[9:10]
	s_delay_alu instid0(VALU_DEP_2) | instskip(NEXT) | instid1(VALU_DEP_2)
	v_fma_f64 v[9:10], v[3:4], v[7:8], -v[11:12]
	v_fma_f64 v[11:12], v[1:2], v[7:8], v[75:76]
	scratch_store_b128 off, v[9:12], off offset:384
.LBB29_107:
	s_wait_alu 0xfffe
	s_or_b32 exec_lo, exec_lo, s0
	s_wait_loadcnt 0x0
	s_wait_storecnt 0x0
	s_barrier_signal -1
	s_barrier_wait -1
	global_inv scope:SCOPE_SE
	scratch_load_b128 v[1:4], off, s12
	;; [unrolled: 58-line block ×7, first 2 shown]
	s_mov_b32 s0, exec_lo
	s_wait_loadcnt 0x0
	ds_store_b128 v5, v[1:4]
	s_wait_dscnt 0x0
	s_barrier_signal -1
	s_barrier_wait -1
	global_inv scope:SCOPE_SE
	v_cmpx_ne_u32_e32 29, v0
	s_cbranch_execz .LBB29_131
; %bb.128:
	v_mov_b32_e32 v1, 0
	v_dual_mov_b32 v2, 0 :: v_dual_mov_b32 v3, 0
	v_mov_b32_e32 v4, 0
	v_or_b32_e32 v7, 8, v74
	s_mov_b32 s1, 0
.LBB29_129:                             ; =>This Inner Loop Header: Depth=1
	scratch_load_b128 v[8:11], v7, off offset:-8
	ds_load_b128 v[73:76], v5
	v_add_nc_u32_e32 v6, 1, v6
	v_add_nc_u32_e32 v5, 16, v5
	v_add_nc_u32_e32 v7, 16, v7
	s_delay_alu instid0(VALU_DEP_3)
	v_cmp_lt_u32_e32 vcc_lo, 27, v6
	s_wait_alu 0xfffe
	s_or_b32 s1, vcc_lo, s1
	s_wait_loadcnt_dscnt 0x0
	v_mul_f64_e32 v[77:78], v[75:76], v[10:11]
	v_mul_f64_e32 v[10:11], v[73:74], v[10:11]
	s_delay_alu instid0(VALU_DEP_2) | instskip(NEXT) | instid1(VALU_DEP_2)
	v_fma_f64 v[73:74], v[73:74], v[8:9], -v[77:78]
	v_fma_f64 v[8:9], v[75:76], v[8:9], v[10:11]
	s_delay_alu instid0(VALU_DEP_2) | instskip(NEXT) | instid1(VALU_DEP_2)
	v_add_f64_e32 v[3:4], v[3:4], v[73:74]
	v_add_f64_e32 v[1:2], v[1:2], v[8:9]
	s_wait_alu 0xfffe
	s_and_not1_b32 exec_lo, exec_lo, s1
	s_cbranch_execnz .LBB29_129
; %bb.130:
	s_or_b32 exec_lo, exec_lo, s1
	v_mov_b32_e32 v5, 0
	ds_load_b128 v[5:8], v5 offset:464
	s_wait_dscnt 0x0
	v_mul_f64_e32 v[9:10], v[1:2], v[7:8]
	v_mul_f64_e32 v[7:8], v[3:4], v[7:8]
	s_delay_alu instid0(VALU_DEP_2) | instskip(NEXT) | instid1(VALU_DEP_2)
	v_fma_f64 v[3:4], v[3:4], v[5:6], -v[9:10]
	v_fma_f64 v[5:6], v[1:2], v[5:6], v[7:8]
	scratch_store_b128 off, v[3:6], off offset:480
.LBB29_131:
	s_wait_alu 0xfffe
	s_or_b32 exec_lo, exec_lo, s0
	s_mov_b32 s1, -1
	s_wait_loadcnt 0x0
	s_wait_storecnt 0x0
	s_barrier_signal -1
	s_barrier_wait -1
	global_inv scope:SCOPE_SE
.LBB29_132:
	s_wait_alu 0xfffe
	s_and_b32 vcc_lo, exec_lo, s1
	s_wait_alu 0xfffe
	s_cbranch_vccz .LBB29_134
; %bb.133:
	v_mov_b32_e32 v1, 0
	s_lshl_b64 s[0:1], s[16:17], 2
	s_wait_alu 0xfffe
	s_add_nc_u64 s[0:1], s[6:7], s[0:1]
	global_load_b32 v1, v1, s[0:1]
	s_wait_loadcnt 0x0
	v_cmp_ne_u32_e32 vcc_lo, 0, v1
	s_cbranch_vccz .LBB29_135
.LBB29_134:
	s_nop 0
	s_sendmsg sendmsg(MSG_DEALLOC_VGPRS)
	s_endpgm
.LBB29_135:
	v_lshl_add_u32 v5, v0, 4, 0x1e0
	s_mov_b32 s0, exec_lo
	v_cmpx_eq_u32_e32 29, v0
	s_cbranch_execz .LBB29_137
; %bb.136:
	scratch_load_b128 v[1:4], off, s15
	v_mov_b32_e32 v6, 0
	s_delay_alu instid0(VALU_DEP_1)
	v_dual_mov_b32 v7, v6 :: v_dual_mov_b32 v8, v6
	v_mov_b32_e32 v9, v6
	scratch_store_b128 off, v[6:9], off offset:464
	s_wait_loadcnt 0x0
	ds_store_b128 v5, v[1:4]
.LBB29_137:
	s_wait_alu 0xfffe
	s_or_b32 exec_lo, exec_lo, s0
	s_wait_storecnt_dscnt 0x0
	s_barrier_signal -1
	s_barrier_wait -1
	global_inv scope:SCOPE_SE
	s_clause 0x1
	scratch_load_b128 v[6:9], off, off offset:480
	scratch_load_b128 v[73:76], off, off offset:464
	v_mov_b32_e32 v1, 0
	s_mov_b32 s0, exec_lo
	ds_load_b128 v[77:80], v1 offset:944
	s_wait_loadcnt_dscnt 0x100
	v_mul_f64_e32 v[2:3], v[79:80], v[8:9]
	v_mul_f64_e32 v[8:9], v[77:78], v[8:9]
	s_delay_alu instid0(VALU_DEP_2) | instskip(NEXT) | instid1(VALU_DEP_2)
	v_fma_f64 v[2:3], v[77:78], v[6:7], -v[2:3]
	v_fma_f64 v[6:7], v[79:80], v[6:7], v[8:9]
	s_delay_alu instid0(VALU_DEP_2) | instskip(NEXT) | instid1(VALU_DEP_2)
	v_add_f64_e32 v[2:3], 0, v[2:3]
	v_add_f64_e32 v[8:9], 0, v[6:7]
	s_wait_loadcnt 0x0
	s_delay_alu instid0(VALU_DEP_2) | instskip(NEXT) | instid1(VALU_DEP_2)
	v_add_f64_e64 v[6:7], v[73:74], -v[2:3]
	v_add_f64_e64 v[8:9], v[75:76], -v[8:9]
	scratch_store_b128 off, v[6:9], off offset:464
	v_cmpx_lt_u32_e32 27, v0
	s_cbranch_execz .LBB29_139
; %bb.138:
	scratch_load_b128 v[6:9], off, s13
	v_dual_mov_b32 v2, v1 :: v_dual_mov_b32 v3, v1
	v_mov_b32_e32 v4, v1
	scratch_store_b128 off, v[1:4], off offset:448
	s_wait_loadcnt 0x0
	ds_store_b128 v5, v[6:9]
.LBB29_139:
	s_wait_alu 0xfffe
	s_or_b32 exec_lo, exec_lo, s0
	s_wait_storecnt_dscnt 0x0
	s_barrier_signal -1
	s_barrier_wait -1
	global_inv scope:SCOPE_SE
	s_clause 0x2
	scratch_load_b128 v[6:9], off, off offset:464
	scratch_load_b128 v[73:76], off, off offset:480
	;; [unrolled: 1-line block ×3, first 2 shown]
	ds_load_b128 v[81:84], v1 offset:928
	ds_load_b128 v[1:4], v1 offset:944
	s_mov_b32 s0, exec_lo
	s_wait_loadcnt_dscnt 0x201
	v_mul_f64_e32 v[10:11], v[83:84], v[8:9]
	v_mul_f64_e32 v[8:9], v[81:82], v[8:9]
	s_wait_loadcnt_dscnt 0x100
	v_mul_f64_e32 v[85:86], v[1:2], v[75:76]
	v_mul_f64_e32 v[75:76], v[3:4], v[75:76]
	s_delay_alu instid0(VALU_DEP_4) | instskip(NEXT) | instid1(VALU_DEP_4)
	v_fma_f64 v[10:11], v[81:82], v[6:7], -v[10:11]
	v_fma_f64 v[6:7], v[83:84], v[6:7], v[8:9]
	s_delay_alu instid0(VALU_DEP_4) | instskip(NEXT) | instid1(VALU_DEP_4)
	v_fma_f64 v[3:4], v[3:4], v[73:74], v[85:86]
	v_fma_f64 v[1:2], v[1:2], v[73:74], -v[75:76]
	s_delay_alu instid0(VALU_DEP_4) | instskip(NEXT) | instid1(VALU_DEP_4)
	v_add_f64_e32 v[8:9], 0, v[10:11]
	v_add_f64_e32 v[6:7], 0, v[6:7]
	s_delay_alu instid0(VALU_DEP_2) | instskip(NEXT) | instid1(VALU_DEP_2)
	v_add_f64_e32 v[1:2], v[8:9], v[1:2]
	v_add_f64_e32 v[3:4], v[6:7], v[3:4]
	s_wait_loadcnt 0x0
	s_delay_alu instid0(VALU_DEP_2) | instskip(NEXT) | instid1(VALU_DEP_2)
	v_add_f64_e64 v[1:2], v[77:78], -v[1:2]
	v_add_f64_e64 v[3:4], v[79:80], -v[3:4]
	scratch_store_b128 off, v[1:4], off offset:448
	v_cmpx_lt_u32_e32 26, v0
	s_cbranch_execz .LBB29_141
; %bb.140:
	scratch_load_b128 v[1:4], off, s14
	v_mov_b32_e32 v6, 0
	s_delay_alu instid0(VALU_DEP_1)
	v_dual_mov_b32 v7, v6 :: v_dual_mov_b32 v8, v6
	v_mov_b32_e32 v9, v6
	scratch_store_b128 off, v[6:9], off offset:432
	s_wait_loadcnt 0x0
	ds_store_b128 v5, v[1:4]
.LBB29_141:
	s_wait_alu 0xfffe
	s_or_b32 exec_lo, exec_lo, s0
	s_wait_storecnt_dscnt 0x0
	s_barrier_signal -1
	s_barrier_wait -1
	global_inv scope:SCOPE_SE
	s_clause 0x3
	scratch_load_b128 v[6:9], off, off offset:448
	scratch_load_b128 v[73:76], off, off offset:464
	scratch_load_b128 v[77:80], off, off offset:480
	scratch_load_b128 v[81:84], off, off offset:432
	v_mov_b32_e32 v1, 0
	ds_load_b128 v[85:88], v1 offset:912
	ds_load_b128 v[89:92], v1 offset:928
	s_mov_b32 s0, exec_lo
	s_wait_loadcnt_dscnt 0x301
	v_mul_f64_e32 v[2:3], v[87:88], v[8:9]
	v_mul_f64_e32 v[8:9], v[85:86], v[8:9]
	s_wait_loadcnt_dscnt 0x200
	v_mul_f64_e32 v[10:11], v[89:90], v[75:76]
	v_mul_f64_e32 v[75:76], v[91:92], v[75:76]
	s_delay_alu instid0(VALU_DEP_4) | instskip(NEXT) | instid1(VALU_DEP_4)
	v_fma_f64 v[2:3], v[85:86], v[6:7], -v[2:3]
	v_fma_f64 v[85:86], v[87:88], v[6:7], v[8:9]
	ds_load_b128 v[6:9], v1 offset:944
	v_fma_f64 v[10:11], v[91:92], v[73:74], v[10:11]
	v_fma_f64 v[73:74], v[89:90], v[73:74], -v[75:76]
	s_wait_loadcnt_dscnt 0x100
	v_mul_f64_e32 v[87:88], v[6:7], v[79:80]
	v_mul_f64_e32 v[79:80], v[8:9], v[79:80]
	v_add_f64_e32 v[2:3], 0, v[2:3]
	v_add_f64_e32 v[75:76], 0, v[85:86]
	s_delay_alu instid0(VALU_DEP_4) | instskip(NEXT) | instid1(VALU_DEP_4)
	v_fma_f64 v[8:9], v[8:9], v[77:78], v[87:88]
	v_fma_f64 v[6:7], v[6:7], v[77:78], -v[79:80]
	s_delay_alu instid0(VALU_DEP_4) | instskip(NEXT) | instid1(VALU_DEP_4)
	v_add_f64_e32 v[2:3], v[2:3], v[73:74]
	v_add_f64_e32 v[10:11], v[75:76], v[10:11]
	s_delay_alu instid0(VALU_DEP_2) | instskip(NEXT) | instid1(VALU_DEP_2)
	v_add_f64_e32 v[2:3], v[2:3], v[6:7]
	v_add_f64_e32 v[8:9], v[10:11], v[8:9]
	s_wait_loadcnt 0x0
	s_delay_alu instid0(VALU_DEP_2) | instskip(NEXT) | instid1(VALU_DEP_2)
	v_add_f64_e64 v[6:7], v[81:82], -v[2:3]
	v_add_f64_e64 v[8:9], v[83:84], -v[8:9]
	scratch_store_b128 off, v[6:9], off offset:432
	v_cmpx_lt_u32_e32 25, v0
	s_cbranch_execz .LBB29_143
; %bb.142:
	scratch_load_b128 v[6:9], off, s11
	v_dual_mov_b32 v2, v1 :: v_dual_mov_b32 v3, v1
	v_mov_b32_e32 v4, v1
	scratch_store_b128 off, v[1:4], off offset:416
	s_wait_loadcnt 0x0
	ds_store_b128 v5, v[6:9]
.LBB29_143:
	s_wait_alu 0xfffe
	s_or_b32 exec_lo, exec_lo, s0
	s_wait_storecnt_dscnt 0x0
	s_barrier_signal -1
	s_barrier_wait -1
	global_inv scope:SCOPE_SE
	s_clause 0x4
	scratch_load_b128 v[6:9], off, off offset:432
	scratch_load_b128 v[73:76], off, off offset:448
	;; [unrolled: 1-line block ×5, first 2 shown]
	ds_load_b128 v[89:92], v1 offset:896
	ds_load_b128 v[93:96], v1 offset:912
	s_mov_b32 s0, exec_lo
	s_wait_loadcnt_dscnt 0x401
	v_mul_f64_e32 v[2:3], v[91:92], v[8:9]
	v_mul_f64_e32 v[8:9], v[89:90], v[8:9]
	s_wait_loadcnt_dscnt 0x300
	v_mul_f64_e32 v[10:11], v[93:94], v[75:76]
	v_mul_f64_e32 v[75:76], v[95:96], v[75:76]
	s_delay_alu instid0(VALU_DEP_4) | instskip(NEXT) | instid1(VALU_DEP_4)
	v_fma_f64 v[89:90], v[89:90], v[6:7], -v[2:3]
	v_fma_f64 v[91:92], v[91:92], v[6:7], v[8:9]
	ds_load_b128 v[6:9], v1 offset:928
	ds_load_b128 v[1:4], v1 offset:944
	v_fma_f64 v[10:11], v[95:96], v[73:74], v[10:11]
	v_fma_f64 v[73:74], v[93:94], v[73:74], -v[75:76]
	s_wait_loadcnt_dscnt 0x201
	v_mul_f64_e32 v[97:98], v[6:7], v[79:80]
	v_mul_f64_e32 v[79:80], v[8:9], v[79:80]
	v_add_f64_e32 v[75:76], 0, v[89:90]
	v_add_f64_e32 v[89:90], 0, v[91:92]
	s_wait_loadcnt_dscnt 0x100
	v_mul_f64_e32 v[91:92], v[1:2], v[83:84]
	v_mul_f64_e32 v[83:84], v[3:4], v[83:84]
	v_fma_f64 v[8:9], v[8:9], v[77:78], v[97:98]
	v_fma_f64 v[6:7], v[6:7], v[77:78], -v[79:80]
	v_add_f64_e32 v[73:74], v[75:76], v[73:74]
	v_add_f64_e32 v[10:11], v[89:90], v[10:11]
	v_fma_f64 v[3:4], v[3:4], v[81:82], v[91:92]
	v_fma_f64 v[1:2], v[1:2], v[81:82], -v[83:84]
	s_delay_alu instid0(VALU_DEP_4) | instskip(NEXT) | instid1(VALU_DEP_4)
	v_add_f64_e32 v[6:7], v[73:74], v[6:7]
	v_add_f64_e32 v[8:9], v[10:11], v[8:9]
	s_delay_alu instid0(VALU_DEP_2) | instskip(NEXT) | instid1(VALU_DEP_2)
	v_add_f64_e32 v[1:2], v[6:7], v[1:2]
	v_add_f64_e32 v[3:4], v[8:9], v[3:4]
	s_wait_loadcnt 0x0
	s_delay_alu instid0(VALU_DEP_2) | instskip(NEXT) | instid1(VALU_DEP_2)
	v_add_f64_e64 v[1:2], v[85:86], -v[1:2]
	v_add_f64_e64 v[3:4], v[87:88], -v[3:4]
	scratch_store_b128 off, v[1:4], off offset:416
	v_cmpx_lt_u32_e32 24, v0
	s_cbranch_execz .LBB29_145
; %bb.144:
	scratch_load_b128 v[1:4], off, s12
	v_mov_b32_e32 v6, 0
	s_delay_alu instid0(VALU_DEP_1)
	v_dual_mov_b32 v7, v6 :: v_dual_mov_b32 v8, v6
	v_mov_b32_e32 v9, v6
	scratch_store_b128 off, v[6:9], off offset:400
	s_wait_loadcnt 0x0
	ds_store_b128 v5, v[1:4]
.LBB29_145:
	s_wait_alu 0xfffe
	s_or_b32 exec_lo, exec_lo, s0
	s_wait_storecnt_dscnt 0x0
	s_barrier_signal -1
	s_barrier_wait -1
	global_inv scope:SCOPE_SE
	s_clause 0x5
	scratch_load_b128 v[6:9], off, off offset:416
	scratch_load_b128 v[73:76], off, off offset:432
	;; [unrolled: 1-line block ×6, first 2 shown]
	v_mov_b32_e32 v1, 0
	ds_load_b128 v[93:96], v1 offset:880
	ds_load_b128 v[97:100], v1 offset:896
	s_mov_b32 s0, exec_lo
	s_wait_loadcnt_dscnt 0x501
	v_mul_f64_e32 v[2:3], v[95:96], v[8:9]
	v_mul_f64_e32 v[8:9], v[93:94], v[8:9]
	s_wait_loadcnt_dscnt 0x400
	v_mul_f64_e32 v[10:11], v[97:98], v[75:76]
	v_mul_f64_e32 v[75:76], v[99:100], v[75:76]
	s_delay_alu instid0(VALU_DEP_4) | instskip(NEXT) | instid1(VALU_DEP_4)
	v_fma_f64 v[2:3], v[93:94], v[6:7], -v[2:3]
	v_fma_f64 v[101:102], v[95:96], v[6:7], v[8:9]
	ds_load_b128 v[6:9], v1 offset:912
	ds_load_b128 v[93:96], v1 offset:928
	v_fma_f64 v[10:11], v[99:100], v[73:74], v[10:11]
	v_fma_f64 v[73:74], v[97:98], v[73:74], -v[75:76]
	s_wait_loadcnt_dscnt 0x301
	v_mul_f64_e32 v[103:104], v[6:7], v[79:80]
	v_mul_f64_e32 v[79:80], v[8:9], v[79:80]
	s_wait_loadcnt_dscnt 0x200
	v_mul_f64_e32 v[97:98], v[93:94], v[83:84]
	v_mul_f64_e32 v[83:84], v[95:96], v[83:84]
	v_add_f64_e32 v[2:3], 0, v[2:3]
	v_add_f64_e32 v[75:76], 0, v[101:102]
	v_fma_f64 v[99:100], v[8:9], v[77:78], v[103:104]
	v_fma_f64 v[77:78], v[6:7], v[77:78], -v[79:80]
	ds_load_b128 v[6:9], v1 offset:944
	v_fma_f64 v[79:80], v[95:96], v[81:82], v[97:98]
	v_fma_f64 v[81:82], v[93:94], v[81:82], -v[83:84]
	v_add_f64_e32 v[2:3], v[2:3], v[73:74]
	v_add_f64_e32 v[10:11], v[75:76], v[10:11]
	s_wait_loadcnt_dscnt 0x100
	v_mul_f64_e32 v[73:74], v[6:7], v[87:88]
	v_mul_f64_e32 v[75:76], v[8:9], v[87:88]
	s_delay_alu instid0(VALU_DEP_4) | instskip(NEXT) | instid1(VALU_DEP_4)
	v_add_f64_e32 v[2:3], v[2:3], v[77:78]
	v_add_f64_e32 v[10:11], v[10:11], v[99:100]
	s_delay_alu instid0(VALU_DEP_4) | instskip(NEXT) | instid1(VALU_DEP_4)
	v_fma_f64 v[8:9], v[8:9], v[85:86], v[73:74]
	v_fma_f64 v[6:7], v[6:7], v[85:86], -v[75:76]
	s_delay_alu instid0(VALU_DEP_4) | instskip(NEXT) | instid1(VALU_DEP_4)
	v_add_f64_e32 v[2:3], v[2:3], v[81:82]
	v_add_f64_e32 v[10:11], v[10:11], v[79:80]
	s_delay_alu instid0(VALU_DEP_2) | instskip(NEXT) | instid1(VALU_DEP_2)
	v_add_f64_e32 v[2:3], v[2:3], v[6:7]
	v_add_f64_e32 v[8:9], v[10:11], v[8:9]
	s_wait_loadcnt 0x0
	s_delay_alu instid0(VALU_DEP_2) | instskip(NEXT) | instid1(VALU_DEP_2)
	v_add_f64_e64 v[6:7], v[89:90], -v[2:3]
	v_add_f64_e64 v[8:9], v[91:92], -v[8:9]
	scratch_store_b128 off, v[6:9], off offset:400
	v_cmpx_lt_u32_e32 23, v0
	s_cbranch_execz .LBB29_147
; %bb.146:
	scratch_load_b128 v[6:9], off, s9
	v_dual_mov_b32 v2, v1 :: v_dual_mov_b32 v3, v1
	v_mov_b32_e32 v4, v1
	scratch_store_b128 off, v[1:4], off offset:384
	s_wait_loadcnt 0x0
	ds_store_b128 v5, v[6:9]
.LBB29_147:
	s_wait_alu 0xfffe
	s_or_b32 exec_lo, exec_lo, s0
	s_wait_storecnt_dscnt 0x0
	s_barrier_signal -1
	s_barrier_wait -1
	global_inv scope:SCOPE_SE
	s_clause 0x5
	scratch_load_b128 v[6:9], off, off offset:400
	scratch_load_b128 v[73:76], off, off offset:416
	;; [unrolled: 1-line block ×6, first 2 shown]
	ds_load_b128 v[93:96], v1 offset:864
	ds_load_b128 v[101:104], v1 offset:880
	scratch_load_b128 v[97:100], off, off offset:384
	s_mov_b32 s0, exec_lo
	s_wait_loadcnt_dscnt 0x601
	v_mul_f64_e32 v[2:3], v[95:96], v[8:9]
	v_mul_f64_e32 v[8:9], v[93:94], v[8:9]
	s_wait_loadcnt_dscnt 0x500
	v_mul_f64_e32 v[10:11], v[101:102], v[75:76]
	v_mul_f64_e32 v[75:76], v[103:104], v[75:76]
	s_delay_alu instid0(VALU_DEP_4) | instskip(NEXT) | instid1(VALU_DEP_4)
	v_fma_f64 v[2:3], v[93:94], v[6:7], -v[2:3]
	v_fma_f64 v[105:106], v[95:96], v[6:7], v[8:9]
	ds_load_b128 v[6:9], v1 offset:896
	ds_load_b128 v[93:96], v1 offset:912
	v_fma_f64 v[10:11], v[103:104], v[73:74], v[10:11]
	v_fma_f64 v[73:74], v[101:102], v[73:74], -v[75:76]
	s_wait_loadcnt_dscnt 0x401
	v_mul_f64_e32 v[107:108], v[6:7], v[79:80]
	v_mul_f64_e32 v[79:80], v[8:9], v[79:80]
	s_wait_loadcnt_dscnt 0x300
	v_mul_f64_e32 v[101:102], v[93:94], v[83:84]
	v_mul_f64_e32 v[83:84], v[95:96], v[83:84]
	v_add_f64_e32 v[2:3], 0, v[2:3]
	v_add_f64_e32 v[75:76], 0, v[105:106]
	v_fma_f64 v[103:104], v[8:9], v[77:78], v[107:108]
	v_fma_f64 v[77:78], v[6:7], v[77:78], -v[79:80]
	s_delay_alu instid0(VALU_DEP_4) | instskip(NEXT) | instid1(VALU_DEP_4)
	v_add_f64_e32 v[73:74], v[2:3], v[73:74]
	v_add_f64_e32 v[10:11], v[75:76], v[10:11]
	ds_load_b128 v[6:9], v1 offset:928
	ds_load_b128 v[1:4], v1 offset:944
	s_wait_loadcnt_dscnt 0x201
	v_mul_f64_e32 v[75:76], v[6:7], v[87:88]
	v_mul_f64_e32 v[79:80], v[8:9], v[87:88]
	v_fma_f64 v[87:88], v[95:96], v[81:82], v[101:102]
	v_fma_f64 v[81:82], v[93:94], v[81:82], -v[83:84]
	s_wait_loadcnt_dscnt 0x100
	v_mul_f64_e32 v[83:84], v[3:4], v[91:92]
	v_add_f64_e32 v[73:74], v[73:74], v[77:78]
	v_add_f64_e32 v[10:11], v[10:11], v[103:104]
	v_mul_f64_e32 v[77:78], v[1:2], v[91:92]
	v_fma_f64 v[8:9], v[8:9], v[85:86], v[75:76]
	v_fma_f64 v[6:7], v[6:7], v[85:86], -v[79:80]
	v_fma_f64 v[1:2], v[1:2], v[89:90], -v[83:84]
	v_add_f64_e32 v[73:74], v[73:74], v[81:82]
	v_add_f64_e32 v[10:11], v[10:11], v[87:88]
	v_fma_f64 v[3:4], v[3:4], v[89:90], v[77:78]
	s_delay_alu instid0(VALU_DEP_3) | instskip(NEXT) | instid1(VALU_DEP_3)
	v_add_f64_e32 v[6:7], v[73:74], v[6:7]
	v_add_f64_e32 v[8:9], v[10:11], v[8:9]
	s_delay_alu instid0(VALU_DEP_2) | instskip(NEXT) | instid1(VALU_DEP_2)
	v_add_f64_e32 v[1:2], v[6:7], v[1:2]
	v_add_f64_e32 v[3:4], v[8:9], v[3:4]
	s_wait_loadcnt 0x0
	s_delay_alu instid0(VALU_DEP_2) | instskip(NEXT) | instid1(VALU_DEP_2)
	v_add_f64_e64 v[1:2], v[97:98], -v[1:2]
	v_add_f64_e64 v[3:4], v[99:100], -v[3:4]
	scratch_store_b128 off, v[1:4], off offset:384
	v_cmpx_lt_u32_e32 22, v0
	s_cbranch_execz .LBB29_149
; %bb.148:
	scratch_load_b128 v[1:4], off, s10
	v_mov_b32_e32 v6, 0
	s_delay_alu instid0(VALU_DEP_1)
	v_dual_mov_b32 v7, v6 :: v_dual_mov_b32 v8, v6
	v_mov_b32_e32 v9, v6
	scratch_store_b128 off, v[6:9], off offset:368
	s_wait_loadcnt 0x0
	ds_store_b128 v5, v[1:4]
.LBB29_149:
	s_wait_alu 0xfffe
	s_or_b32 exec_lo, exec_lo, s0
	s_wait_storecnt_dscnt 0x0
	s_barrier_signal -1
	s_barrier_wait -1
	global_inv scope:SCOPE_SE
	s_clause 0x6
	scratch_load_b128 v[6:9], off, off offset:384
	scratch_load_b128 v[73:76], off, off offset:400
	;; [unrolled: 1-line block ×7, first 2 shown]
	v_mov_b32_e32 v1, 0
	scratch_load_b128 v[101:104], off, off offset:368
	s_mov_b32 s0, exec_lo
	ds_load_b128 v[97:100], v1 offset:848
	ds_load_b128 v[105:108], v1 offset:864
	s_wait_loadcnt_dscnt 0x701
	v_mul_f64_e32 v[2:3], v[99:100], v[8:9]
	v_mul_f64_e32 v[8:9], v[97:98], v[8:9]
	s_wait_loadcnt_dscnt 0x600
	v_mul_f64_e32 v[10:11], v[105:106], v[75:76]
	v_mul_f64_e32 v[75:76], v[107:108], v[75:76]
	s_delay_alu instid0(VALU_DEP_4) | instskip(NEXT) | instid1(VALU_DEP_4)
	v_fma_f64 v[2:3], v[97:98], v[6:7], -v[2:3]
	v_fma_f64 v[109:110], v[99:100], v[6:7], v[8:9]
	ds_load_b128 v[6:9], v1 offset:880
	ds_load_b128 v[97:100], v1 offset:896
	v_fma_f64 v[10:11], v[107:108], v[73:74], v[10:11]
	v_fma_f64 v[73:74], v[105:106], v[73:74], -v[75:76]
	s_wait_loadcnt_dscnt 0x501
	v_mul_f64_e32 v[111:112], v[6:7], v[79:80]
	v_mul_f64_e32 v[79:80], v[8:9], v[79:80]
	s_wait_loadcnt_dscnt 0x400
	v_mul_f64_e32 v[105:106], v[97:98], v[83:84]
	v_mul_f64_e32 v[83:84], v[99:100], v[83:84]
	v_add_f64_e32 v[2:3], 0, v[2:3]
	v_add_f64_e32 v[75:76], 0, v[109:110]
	v_fma_f64 v[107:108], v[8:9], v[77:78], v[111:112]
	v_fma_f64 v[77:78], v[6:7], v[77:78], -v[79:80]
	v_fma_f64 v[99:100], v[99:100], v[81:82], v[105:106]
	v_fma_f64 v[81:82], v[97:98], v[81:82], -v[83:84]
	v_add_f64_e32 v[2:3], v[2:3], v[73:74]
	v_add_f64_e32 v[10:11], v[75:76], v[10:11]
	ds_load_b128 v[6:9], v1 offset:912
	ds_load_b128 v[73:76], v1 offset:928
	s_wait_loadcnt_dscnt 0x301
	v_mul_f64_e32 v[79:80], v[6:7], v[87:88]
	v_mul_f64_e32 v[87:88], v[8:9], v[87:88]
	s_wait_loadcnt_dscnt 0x200
	v_mul_f64_e32 v[83:84], v[75:76], v[91:92]
	v_add_f64_e32 v[2:3], v[2:3], v[77:78]
	v_add_f64_e32 v[10:11], v[10:11], v[107:108]
	v_mul_f64_e32 v[77:78], v[73:74], v[91:92]
	v_fma_f64 v[79:80], v[8:9], v[85:86], v[79:80]
	v_fma_f64 v[85:86], v[6:7], v[85:86], -v[87:88]
	ds_load_b128 v[6:9], v1 offset:944
	v_fma_f64 v[73:74], v[73:74], v[89:90], -v[83:84]
	v_add_f64_e32 v[2:3], v[2:3], v[81:82]
	v_add_f64_e32 v[10:11], v[10:11], v[99:100]
	v_fma_f64 v[75:76], v[75:76], v[89:90], v[77:78]
	s_wait_loadcnt_dscnt 0x100
	v_mul_f64_e32 v[81:82], v[6:7], v[95:96]
	v_mul_f64_e32 v[87:88], v[8:9], v[95:96]
	v_add_f64_e32 v[2:3], v[2:3], v[85:86]
	v_add_f64_e32 v[10:11], v[10:11], v[79:80]
	s_delay_alu instid0(VALU_DEP_4) | instskip(NEXT) | instid1(VALU_DEP_4)
	v_fma_f64 v[8:9], v[8:9], v[93:94], v[81:82]
	v_fma_f64 v[6:7], v[6:7], v[93:94], -v[87:88]
	s_delay_alu instid0(VALU_DEP_4) | instskip(NEXT) | instid1(VALU_DEP_4)
	v_add_f64_e32 v[2:3], v[2:3], v[73:74]
	v_add_f64_e32 v[10:11], v[10:11], v[75:76]
	s_delay_alu instid0(VALU_DEP_2) | instskip(NEXT) | instid1(VALU_DEP_2)
	v_add_f64_e32 v[2:3], v[2:3], v[6:7]
	v_add_f64_e32 v[8:9], v[10:11], v[8:9]
	s_wait_loadcnt 0x0
	s_delay_alu instid0(VALU_DEP_2) | instskip(NEXT) | instid1(VALU_DEP_2)
	v_add_f64_e64 v[6:7], v[101:102], -v[2:3]
	v_add_f64_e64 v[8:9], v[103:104], -v[8:9]
	scratch_store_b128 off, v[6:9], off offset:368
	v_cmpx_lt_u32_e32 21, v0
	s_cbranch_execz .LBB29_151
; %bb.150:
	scratch_load_b128 v[6:9], off, s5
	v_dual_mov_b32 v2, v1 :: v_dual_mov_b32 v3, v1
	v_mov_b32_e32 v4, v1
	scratch_store_b128 off, v[1:4], off offset:352
	s_wait_loadcnt 0x0
	ds_store_b128 v5, v[6:9]
.LBB29_151:
	s_wait_alu 0xfffe
	s_or_b32 exec_lo, exec_lo, s0
	s_wait_storecnt_dscnt 0x0
	s_barrier_signal -1
	s_barrier_wait -1
	global_inv scope:SCOPE_SE
	s_clause 0x7
	scratch_load_b128 v[6:9], off, off offset:368
	scratch_load_b128 v[73:76], off, off offset:384
	;; [unrolled: 1-line block ×8, first 2 shown]
	ds_load_b128 v[101:104], v1 offset:832
	ds_load_b128 v[105:108], v1 offset:848
	scratch_load_b128 v[109:112], off, off offset:352
	s_mov_b32 s0, exec_lo
	s_wait_loadcnt_dscnt 0x801
	v_mul_f64_e32 v[2:3], v[103:104], v[8:9]
	v_mul_f64_e32 v[8:9], v[101:102], v[8:9]
	s_wait_loadcnt_dscnt 0x700
	v_mul_f64_e32 v[10:11], v[105:106], v[75:76]
	v_mul_f64_e32 v[75:76], v[107:108], v[75:76]
	s_delay_alu instid0(VALU_DEP_4) | instskip(NEXT) | instid1(VALU_DEP_4)
	v_fma_f64 v[2:3], v[101:102], v[6:7], -v[2:3]
	v_fma_f64 v[113:114], v[103:104], v[6:7], v[8:9]
	ds_load_b128 v[6:9], v1 offset:864
	ds_load_b128 v[101:104], v1 offset:880
	v_fma_f64 v[10:11], v[107:108], v[73:74], v[10:11]
	v_fma_f64 v[73:74], v[105:106], v[73:74], -v[75:76]
	s_wait_loadcnt_dscnt 0x601
	v_mul_f64_e32 v[115:116], v[6:7], v[79:80]
	v_mul_f64_e32 v[79:80], v[8:9], v[79:80]
	s_wait_loadcnt_dscnt 0x500
	v_mul_f64_e32 v[105:106], v[101:102], v[83:84]
	v_mul_f64_e32 v[83:84], v[103:104], v[83:84]
	v_add_f64_e32 v[2:3], 0, v[2:3]
	v_add_f64_e32 v[75:76], 0, v[113:114]
	v_fma_f64 v[107:108], v[8:9], v[77:78], v[115:116]
	v_fma_f64 v[77:78], v[6:7], v[77:78], -v[79:80]
	v_fma_f64 v[103:104], v[103:104], v[81:82], v[105:106]
	v_fma_f64 v[81:82], v[101:102], v[81:82], -v[83:84]
	v_add_f64_e32 v[2:3], v[2:3], v[73:74]
	v_add_f64_e32 v[10:11], v[75:76], v[10:11]
	ds_load_b128 v[6:9], v1 offset:896
	ds_load_b128 v[73:76], v1 offset:912
	s_wait_loadcnt_dscnt 0x401
	v_mul_f64_e32 v[79:80], v[6:7], v[87:88]
	v_mul_f64_e32 v[87:88], v[8:9], v[87:88]
	s_wait_loadcnt_dscnt 0x300
	v_mul_f64_e32 v[83:84], v[75:76], v[91:92]
	v_add_f64_e32 v[2:3], v[2:3], v[77:78]
	v_add_f64_e32 v[10:11], v[10:11], v[107:108]
	v_mul_f64_e32 v[77:78], v[73:74], v[91:92]
	v_fma_f64 v[79:80], v[8:9], v[85:86], v[79:80]
	v_fma_f64 v[85:86], v[6:7], v[85:86], -v[87:88]
	v_fma_f64 v[73:74], v[73:74], v[89:90], -v[83:84]
	v_add_f64_e32 v[81:82], v[2:3], v[81:82]
	v_add_f64_e32 v[10:11], v[10:11], v[103:104]
	ds_load_b128 v[6:9], v1 offset:928
	ds_load_b128 v[1:4], v1 offset:944
	v_fma_f64 v[75:76], v[75:76], v[89:90], v[77:78]
	s_wait_loadcnt_dscnt 0x201
	v_mul_f64_e32 v[87:88], v[6:7], v[95:96]
	v_mul_f64_e32 v[91:92], v[8:9], v[95:96]
	v_add_f64_e32 v[77:78], v[81:82], v[85:86]
	v_add_f64_e32 v[10:11], v[10:11], v[79:80]
	s_wait_loadcnt_dscnt 0x100
	v_mul_f64_e32 v[79:80], v[1:2], v[99:100]
	v_mul_f64_e32 v[81:82], v[3:4], v[99:100]
	v_fma_f64 v[8:9], v[8:9], v[93:94], v[87:88]
	v_fma_f64 v[6:7], v[6:7], v[93:94], -v[91:92]
	v_add_f64_e32 v[73:74], v[77:78], v[73:74]
	v_add_f64_e32 v[10:11], v[10:11], v[75:76]
	v_fma_f64 v[3:4], v[3:4], v[97:98], v[79:80]
	v_fma_f64 v[1:2], v[1:2], v[97:98], -v[81:82]
	s_delay_alu instid0(VALU_DEP_4) | instskip(NEXT) | instid1(VALU_DEP_4)
	v_add_f64_e32 v[6:7], v[73:74], v[6:7]
	v_add_f64_e32 v[8:9], v[10:11], v[8:9]
	s_delay_alu instid0(VALU_DEP_2) | instskip(NEXT) | instid1(VALU_DEP_2)
	v_add_f64_e32 v[1:2], v[6:7], v[1:2]
	v_add_f64_e32 v[3:4], v[8:9], v[3:4]
	s_wait_loadcnt 0x0
	s_delay_alu instid0(VALU_DEP_2) | instskip(NEXT) | instid1(VALU_DEP_2)
	v_add_f64_e64 v[1:2], v[109:110], -v[1:2]
	v_add_f64_e64 v[3:4], v[111:112], -v[3:4]
	scratch_store_b128 off, v[1:4], off offset:352
	v_cmpx_lt_u32_e32 20, v0
	s_cbranch_execz .LBB29_153
; %bb.152:
	scratch_load_b128 v[1:4], off, s8
	v_mov_b32_e32 v6, 0
	s_delay_alu instid0(VALU_DEP_1)
	v_dual_mov_b32 v7, v6 :: v_dual_mov_b32 v8, v6
	v_mov_b32_e32 v9, v6
	scratch_store_b128 off, v[6:9], off offset:336
	s_wait_loadcnt 0x0
	ds_store_b128 v5, v[1:4]
.LBB29_153:
	s_wait_alu 0xfffe
	s_or_b32 exec_lo, exec_lo, s0
	s_wait_storecnt_dscnt 0x0
	s_barrier_signal -1
	s_barrier_wait -1
	global_inv scope:SCOPE_SE
	s_clause 0x7
	scratch_load_b128 v[6:9], off, off offset:352
	scratch_load_b128 v[73:76], off, off offset:368
	;; [unrolled: 1-line block ×8, first 2 shown]
	v_mov_b32_e32 v1, 0
	scratch_load_b128 v[105:108], off, off offset:480
	s_mov_b32 s0, exec_lo
	ds_load_b128 v[101:104], v1 offset:816
	s_wait_loadcnt_dscnt 0x800
	v_mul_f64_e32 v[2:3], v[103:104], v[8:9]
	v_mul_f64_e32 v[109:110], v[101:102], v[8:9]
	ds_load_b128 v[8:11], v1 offset:832
	v_fma_f64 v[2:3], v[101:102], v[6:7], -v[2:3]
	v_fma_f64 v[6:7], v[103:104], v[6:7], v[109:110]
	ds_load_b128 v[101:104], v1 offset:848
	s_wait_loadcnt_dscnt 0x701
	v_mul_f64_e32 v[111:112], v[8:9], v[75:76]
	v_mul_f64_e32 v[75:76], v[10:11], v[75:76]
	s_wait_loadcnt_dscnt 0x600
	v_mul_f64_e32 v[109:110], v[101:102], v[79:80]
	v_mul_f64_e32 v[79:80], v[103:104], v[79:80]
	v_add_f64_e32 v[2:3], 0, v[2:3]
	v_add_f64_e32 v[113:114], 0, v[6:7]
	v_fma_f64 v[10:11], v[10:11], v[73:74], v[111:112]
	v_fma_f64 v[111:112], v[8:9], v[73:74], -v[75:76]
	ds_load_b128 v[6:9], v1 offset:864
	scratch_load_b128 v[73:76], off, off offset:336
	v_fma_f64 v[103:104], v[103:104], v[77:78], v[109:110]
	v_fma_f64 v[101:102], v[101:102], v[77:78], -v[79:80]
	ds_load_b128 v[77:80], v1 offset:880
	s_wait_loadcnt_dscnt 0x601
	v_mul_f64_e32 v[115:116], v[6:7], v[83:84]
	v_mul_f64_e32 v[83:84], v[8:9], v[83:84]
	v_add_f64_e32 v[10:11], v[113:114], v[10:11]
	v_add_f64_e32 v[2:3], v[2:3], v[111:112]
	s_wait_loadcnt_dscnt 0x500
	v_mul_f64_e32 v[109:110], v[77:78], v[87:88]
	v_mul_f64_e32 v[87:88], v[79:80], v[87:88]
	v_fma_f64 v[111:112], v[8:9], v[81:82], v[115:116]
	v_fma_f64 v[81:82], v[6:7], v[81:82], -v[83:84]
	ds_load_b128 v[6:9], v1 offset:896
	v_add_f64_e32 v[10:11], v[10:11], v[103:104]
	v_add_f64_e32 v[2:3], v[2:3], v[101:102]
	v_fma_f64 v[101:102], v[79:80], v[85:86], v[109:110]
	v_fma_f64 v[85:86], v[77:78], v[85:86], -v[87:88]
	ds_load_b128 v[77:80], v1 offset:912
	s_wait_loadcnt_dscnt 0x401
	v_mul_f64_e32 v[83:84], v[6:7], v[91:92]
	v_mul_f64_e32 v[91:92], v[8:9], v[91:92]
	s_wait_loadcnt_dscnt 0x300
	v_mul_f64_e32 v[87:88], v[79:80], v[95:96]
	v_add_f64_e32 v[10:11], v[10:11], v[111:112]
	v_add_f64_e32 v[2:3], v[2:3], v[81:82]
	v_mul_f64_e32 v[81:82], v[77:78], v[95:96]
	v_fma_f64 v[83:84], v[8:9], v[89:90], v[83:84]
	v_fma_f64 v[89:90], v[6:7], v[89:90], -v[91:92]
	ds_load_b128 v[6:9], v1 offset:928
	v_fma_f64 v[87:88], v[77:78], v[93:94], -v[87:88]
	v_add_f64_e32 v[10:11], v[10:11], v[101:102]
	v_add_f64_e32 v[2:3], v[2:3], v[85:86]
	v_fma_f64 v[81:82], v[79:80], v[93:94], v[81:82]
	ds_load_b128 v[77:80], v1 offset:944
	s_wait_loadcnt_dscnt 0x201
	v_mul_f64_e32 v[85:86], v[6:7], v[99:100]
	v_mul_f64_e32 v[91:92], v[8:9], v[99:100]
	v_add_f64_e32 v[10:11], v[10:11], v[83:84]
	v_add_f64_e32 v[2:3], v[2:3], v[89:90]
	s_wait_loadcnt_dscnt 0x100
	v_mul_f64_e32 v[83:84], v[77:78], v[107:108]
	v_mul_f64_e32 v[89:90], v[79:80], v[107:108]
	v_fma_f64 v[8:9], v[8:9], v[97:98], v[85:86]
	v_fma_f64 v[6:7], v[6:7], v[97:98], -v[91:92]
	v_add_f64_e32 v[10:11], v[10:11], v[81:82]
	v_add_f64_e32 v[2:3], v[2:3], v[87:88]
	v_fma_f64 v[79:80], v[79:80], v[105:106], v[83:84]
	v_fma_f64 v[77:78], v[77:78], v[105:106], -v[89:90]
	s_delay_alu instid0(VALU_DEP_3) | instskip(SKIP_1) | instid1(VALU_DEP_2)
	v_add_f64_e32 v[2:3], v[2:3], v[6:7]
	v_add_f64_e32 v[6:7], v[10:11], v[8:9]
	;; [unrolled: 1-line block ×3, first 2 shown]
	s_delay_alu instid0(VALU_DEP_2) | instskip(SKIP_1) | instid1(VALU_DEP_2)
	v_add_f64_e32 v[8:9], v[6:7], v[79:80]
	s_wait_loadcnt 0x0
	v_add_f64_e64 v[6:7], v[73:74], -v[2:3]
	s_delay_alu instid0(VALU_DEP_2)
	v_add_f64_e64 v[8:9], v[75:76], -v[8:9]
	scratch_store_b128 off, v[6:9], off offset:336
	v_cmpx_lt_u32_e32 19, v0
	s_cbranch_execz .LBB29_155
; %bb.154:
	scratch_load_b128 v[6:9], off, s4
	v_dual_mov_b32 v2, v1 :: v_dual_mov_b32 v3, v1
	v_mov_b32_e32 v4, v1
	scratch_store_b128 off, v[1:4], off offset:320
	s_wait_loadcnt 0x0
	ds_store_b128 v5, v[6:9]
.LBB29_155:
	s_wait_alu 0xfffe
	s_or_b32 exec_lo, exec_lo, s0
	s_wait_storecnt_dscnt 0x0
	s_barrier_signal -1
	s_barrier_wait -1
	global_inv scope:SCOPE_SE
	s_clause 0x7
	scratch_load_b128 v[6:9], off, off offset:336
	scratch_load_b128 v[73:76], off, off offset:352
	;; [unrolled: 1-line block ×8, first 2 shown]
	ds_load_b128 v[101:104], v1 offset:800
	s_clause 0x1
	scratch_load_b128 v[105:108], off, off offset:464
	scratch_load_b128 v[109:112], off, off offset:480
	s_mov_b32 s0, exec_lo
	s_wait_loadcnt_dscnt 0x900
	v_mul_f64_e32 v[2:3], v[103:104], v[8:9]
	v_mul_f64_e32 v[113:114], v[101:102], v[8:9]
	ds_load_b128 v[8:11], v1 offset:816
	v_fma_f64 v[2:3], v[101:102], v[6:7], -v[2:3]
	v_fma_f64 v[6:7], v[103:104], v[6:7], v[113:114]
	ds_load_b128 v[101:104], v1 offset:832
	s_wait_loadcnt_dscnt 0x801
	v_mul_f64_e32 v[115:116], v[8:9], v[75:76]
	v_mul_f64_e32 v[75:76], v[10:11], v[75:76]
	s_wait_loadcnt_dscnt 0x700
	v_mul_f64_e32 v[113:114], v[101:102], v[79:80]
	v_mul_f64_e32 v[79:80], v[103:104], v[79:80]
	v_add_f64_e32 v[2:3], 0, v[2:3]
	v_fma_f64 v[10:11], v[10:11], v[73:74], v[115:116]
	v_fma_f64 v[73:74], v[8:9], v[73:74], -v[75:76]
	v_add_f64_e32 v[75:76], 0, v[6:7]
	ds_load_b128 v[6:9], v1 offset:848
	v_fma_f64 v[103:104], v[103:104], v[77:78], v[113:114]
	v_fma_f64 v[101:102], v[101:102], v[77:78], -v[79:80]
	scratch_load_b128 v[77:80], off, off offset:320
	v_add_f64_e32 v[2:3], v[2:3], v[73:74]
	v_add_f64_e32 v[10:11], v[75:76], v[10:11]
	ds_load_b128 v[73:76], v1 offset:864
	s_wait_loadcnt_dscnt 0x701
	v_mul_f64_e32 v[115:116], v[6:7], v[83:84]
	v_mul_f64_e32 v[83:84], v[8:9], v[83:84]
	s_wait_loadcnt_dscnt 0x600
	v_mul_f64_e32 v[113:114], v[73:74], v[87:88]
	v_mul_f64_e32 v[87:88], v[75:76], v[87:88]
	v_add_f64_e32 v[2:3], v[2:3], v[101:102]
	v_add_f64_e32 v[10:11], v[10:11], v[103:104]
	v_fma_f64 v[115:116], v[8:9], v[81:82], v[115:116]
	v_fma_f64 v[81:82], v[6:7], v[81:82], -v[83:84]
	ds_load_b128 v[6:9], v1 offset:880
	v_fma_f64 v[101:102], v[75:76], v[85:86], v[113:114]
	v_fma_f64 v[85:86], v[73:74], v[85:86], -v[87:88]
	ds_load_b128 v[73:76], v1 offset:896
	s_wait_loadcnt_dscnt 0x501
	v_mul_f64_e32 v[83:84], v[6:7], v[91:92]
	v_mul_f64_e32 v[91:92], v[8:9], v[91:92]
	v_add_f64_e32 v[10:11], v[10:11], v[115:116]
	v_add_f64_e32 v[2:3], v[2:3], v[81:82]
	s_wait_loadcnt_dscnt 0x400
	v_mul_f64_e32 v[81:82], v[73:74], v[95:96]
	v_mul_f64_e32 v[87:88], v[75:76], v[95:96]
	v_fma_f64 v[83:84], v[8:9], v[89:90], v[83:84]
	v_fma_f64 v[89:90], v[6:7], v[89:90], -v[91:92]
	ds_load_b128 v[6:9], v1 offset:912
	v_add_f64_e32 v[10:11], v[10:11], v[101:102]
	v_add_f64_e32 v[2:3], v[2:3], v[85:86]
	v_fma_f64 v[81:82], v[75:76], v[93:94], v[81:82]
	v_fma_f64 v[87:88], v[73:74], v[93:94], -v[87:88]
	ds_load_b128 v[73:76], v1 offset:928
	s_wait_loadcnt_dscnt 0x301
	v_mul_f64_e32 v[85:86], v[6:7], v[99:100]
	v_mul_f64_e32 v[91:92], v[8:9], v[99:100]
	v_add_f64_e32 v[10:11], v[10:11], v[83:84]
	v_add_f64_e32 v[2:3], v[2:3], v[89:90]
	s_wait_loadcnt_dscnt 0x200
	v_mul_f64_e32 v[83:84], v[73:74], v[107:108]
	v_mul_f64_e32 v[89:90], v[75:76], v[107:108]
	v_fma_f64 v[8:9], v[8:9], v[97:98], v[85:86]
	v_fma_f64 v[6:7], v[6:7], v[97:98], -v[91:92]
	v_add_f64_e32 v[10:11], v[10:11], v[81:82]
	v_add_f64_e32 v[85:86], v[2:3], v[87:88]
	ds_load_b128 v[1:4], v1 offset:944
	v_fma_f64 v[75:76], v[75:76], v[105:106], v[83:84]
	v_fma_f64 v[73:74], v[73:74], v[105:106], -v[89:90]
	s_wait_loadcnt_dscnt 0x100
	v_mul_f64_e32 v[81:82], v[1:2], v[111:112]
	v_mul_f64_e32 v[87:88], v[3:4], v[111:112]
	v_add_f64_e32 v[8:9], v[10:11], v[8:9]
	v_add_f64_e32 v[6:7], v[85:86], v[6:7]
	s_delay_alu instid0(VALU_DEP_4) | instskip(NEXT) | instid1(VALU_DEP_4)
	v_fma_f64 v[3:4], v[3:4], v[109:110], v[81:82]
	v_fma_f64 v[1:2], v[1:2], v[109:110], -v[87:88]
	s_delay_alu instid0(VALU_DEP_4) | instskip(NEXT) | instid1(VALU_DEP_4)
	v_add_f64_e32 v[8:9], v[8:9], v[75:76]
	v_add_f64_e32 v[6:7], v[6:7], v[73:74]
	s_delay_alu instid0(VALU_DEP_2) | instskip(NEXT) | instid1(VALU_DEP_2)
	v_add_f64_e32 v[3:4], v[8:9], v[3:4]
	v_add_f64_e32 v[1:2], v[6:7], v[1:2]
	s_wait_loadcnt 0x0
	s_delay_alu instid0(VALU_DEP_2) | instskip(NEXT) | instid1(VALU_DEP_2)
	v_add_f64_e64 v[3:4], v[79:80], -v[3:4]
	v_add_f64_e64 v[1:2], v[77:78], -v[1:2]
	scratch_store_b128 off, v[1:4], off offset:320
	v_cmpx_lt_u32_e32 18, v0
	s_cbranch_execz .LBB29_157
; %bb.156:
	scratch_load_b128 v[1:4], off, s34
	v_mov_b32_e32 v6, 0
	s_delay_alu instid0(VALU_DEP_1)
	v_dual_mov_b32 v7, v6 :: v_dual_mov_b32 v8, v6
	v_mov_b32_e32 v9, v6
	scratch_store_b128 off, v[6:9], off offset:304
	s_wait_loadcnt 0x0
	ds_store_b128 v5, v[1:4]
.LBB29_157:
	s_wait_alu 0xfffe
	s_or_b32 exec_lo, exec_lo, s0
	s_wait_storecnt_dscnt 0x0
	s_barrier_signal -1
	s_barrier_wait -1
	global_inv scope:SCOPE_SE
	s_clause 0x7
	scratch_load_b128 v[6:9], off, off offset:320
	scratch_load_b128 v[73:76], off, off offset:336
	;; [unrolled: 1-line block ×8, first 2 shown]
	v_mov_b32_e32 v1, 0
	s_clause 0x1
	scratch_load_b128 v[105:108], off, off offset:448
	scratch_load_b128 v[109:112], off, off offset:464
	s_mov_b32 s0, exec_lo
	ds_load_b128 v[101:104], v1 offset:784
	s_wait_loadcnt_dscnt 0x900
	v_mul_f64_e32 v[2:3], v[103:104], v[8:9]
	v_mul_f64_e32 v[113:114], v[101:102], v[8:9]
	ds_load_b128 v[8:11], v1 offset:800
	v_fma_f64 v[2:3], v[101:102], v[6:7], -v[2:3]
	v_fma_f64 v[6:7], v[103:104], v[6:7], v[113:114]
	ds_load_b128 v[101:104], v1 offset:816
	s_wait_loadcnt_dscnt 0x801
	v_mul_f64_e32 v[117:118], v[8:9], v[75:76]
	v_mul_f64_e32 v[75:76], v[10:11], v[75:76]
	scratch_load_b128 v[113:116], off, off offset:480
	s_wait_loadcnt_dscnt 0x800
	v_mul_f64_e32 v[119:120], v[101:102], v[79:80]
	v_mul_f64_e32 v[79:80], v[103:104], v[79:80]
	v_add_f64_e32 v[2:3], 0, v[2:3]
	v_fma_f64 v[10:11], v[10:11], v[73:74], v[117:118]
	v_fma_f64 v[73:74], v[8:9], v[73:74], -v[75:76]
	v_add_f64_e32 v[75:76], 0, v[6:7]
	ds_load_b128 v[6:9], v1 offset:832
	v_fma_f64 v[103:104], v[103:104], v[77:78], v[119:120]
	v_fma_f64 v[77:78], v[101:102], v[77:78], -v[79:80]
	v_add_f64_e32 v[2:3], v[2:3], v[73:74]
	v_add_f64_e32 v[10:11], v[75:76], v[10:11]
	ds_load_b128 v[73:76], v1 offset:848
	s_wait_loadcnt_dscnt 0x701
	v_mul_f64_e32 v[117:118], v[6:7], v[83:84]
	v_mul_f64_e32 v[83:84], v[8:9], v[83:84]
	s_wait_loadcnt_dscnt 0x600
	v_mul_f64_e32 v[101:102], v[73:74], v[87:88]
	v_mul_f64_e32 v[87:88], v[75:76], v[87:88]
	v_add_f64_e32 v[2:3], v[2:3], v[77:78]
	v_add_f64_e32 v[10:11], v[10:11], v[103:104]
	scratch_load_b128 v[77:80], off, off offset:304
	v_fma_f64 v[117:118], v[8:9], v[81:82], v[117:118]
	v_fma_f64 v[81:82], v[6:7], v[81:82], -v[83:84]
	ds_load_b128 v[6:9], v1 offset:864
	v_fma_f64 v[101:102], v[75:76], v[85:86], v[101:102]
	v_fma_f64 v[85:86], v[73:74], v[85:86], -v[87:88]
	ds_load_b128 v[73:76], v1 offset:880
	s_wait_loadcnt_dscnt 0x601
	v_mul_f64_e32 v[83:84], v[6:7], v[91:92]
	v_mul_f64_e32 v[91:92], v[8:9], v[91:92]
	v_add_f64_e32 v[10:11], v[10:11], v[117:118]
	v_add_f64_e32 v[2:3], v[2:3], v[81:82]
	s_wait_loadcnt_dscnt 0x500
	v_mul_f64_e32 v[81:82], v[73:74], v[95:96]
	v_mul_f64_e32 v[87:88], v[75:76], v[95:96]
	v_fma_f64 v[83:84], v[8:9], v[89:90], v[83:84]
	v_fma_f64 v[89:90], v[6:7], v[89:90], -v[91:92]
	ds_load_b128 v[6:9], v1 offset:896
	v_add_f64_e32 v[10:11], v[10:11], v[101:102]
	v_add_f64_e32 v[2:3], v[2:3], v[85:86]
	v_fma_f64 v[81:82], v[75:76], v[93:94], v[81:82]
	v_fma_f64 v[87:88], v[73:74], v[93:94], -v[87:88]
	ds_load_b128 v[73:76], v1 offset:912
	s_wait_loadcnt_dscnt 0x401
	v_mul_f64_e32 v[85:86], v[6:7], v[99:100]
	v_mul_f64_e32 v[91:92], v[8:9], v[99:100]
	v_add_f64_e32 v[10:11], v[10:11], v[83:84]
	v_add_f64_e32 v[2:3], v[2:3], v[89:90]
	s_wait_loadcnt_dscnt 0x300
	v_mul_f64_e32 v[83:84], v[73:74], v[107:108]
	v_mul_f64_e32 v[89:90], v[75:76], v[107:108]
	v_fma_f64 v[85:86], v[8:9], v[97:98], v[85:86]
	v_fma_f64 v[91:92], v[6:7], v[97:98], -v[91:92]
	ds_load_b128 v[6:9], v1 offset:928
	v_add_f64_e32 v[10:11], v[10:11], v[81:82]
	v_add_f64_e32 v[2:3], v[2:3], v[87:88]
	v_fma_f64 v[83:84], v[75:76], v[105:106], v[83:84]
	v_fma_f64 v[89:90], v[73:74], v[105:106], -v[89:90]
	ds_load_b128 v[73:76], v1 offset:944
	s_wait_loadcnt_dscnt 0x201
	v_mul_f64_e32 v[81:82], v[6:7], v[111:112]
	v_mul_f64_e32 v[87:88], v[8:9], v[111:112]
	v_add_f64_e32 v[10:11], v[10:11], v[85:86]
	v_add_f64_e32 v[2:3], v[2:3], v[91:92]
	s_delay_alu instid0(VALU_DEP_4) | instskip(NEXT) | instid1(VALU_DEP_4)
	v_fma_f64 v[8:9], v[8:9], v[109:110], v[81:82]
	v_fma_f64 v[6:7], v[6:7], v[109:110], -v[87:88]
	s_wait_loadcnt_dscnt 0x100
	v_mul_f64_e32 v[85:86], v[73:74], v[115:116]
	v_mul_f64_e32 v[91:92], v[75:76], v[115:116]
	v_add_f64_e32 v[10:11], v[10:11], v[83:84]
	v_add_f64_e32 v[2:3], v[2:3], v[89:90]
	s_delay_alu instid0(VALU_DEP_4) | instskip(NEXT) | instid1(VALU_DEP_4)
	v_fma_f64 v[75:76], v[75:76], v[113:114], v[85:86]
	v_fma_f64 v[73:74], v[73:74], v[113:114], -v[91:92]
	s_delay_alu instid0(VALU_DEP_3) | instskip(SKIP_1) | instid1(VALU_DEP_2)
	v_add_f64_e32 v[2:3], v[2:3], v[6:7]
	v_add_f64_e32 v[6:7], v[10:11], v[8:9]
	;; [unrolled: 1-line block ×3, first 2 shown]
	s_delay_alu instid0(VALU_DEP_2) | instskip(SKIP_1) | instid1(VALU_DEP_2)
	v_add_f64_e32 v[8:9], v[6:7], v[75:76]
	s_wait_loadcnt 0x0
	v_add_f64_e64 v[6:7], v[77:78], -v[2:3]
	s_delay_alu instid0(VALU_DEP_2)
	v_add_f64_e64 v[8:9], v[79:80], -v[8:9]
	scratch_store_b128 off, v[6:9], off offset:304
	v_cmpx_lt_u32_e32 17, v0
	s_cbranch_execz .LBB29_159
; %bb.158:
	scratch_load_b128 v[6:9], off, s30
	v_dual_mov_b32 v2, v1 :: v_dual_mov_b32 v3, v1
	v_mov_b32_e32 v4, v1
	scratch_store_b128 off, v[1:4], off offset:288
	s_wait_loadcnt 0x0
	ds_store_b128 v5, v[6:9]
.LBB29_159:
	s_wait_alu 0xfffe
	s_or_b32 exec_lo, exec_lo, s0
	s_wait_storecnt_dscnt 0x0
	s_barrier_signal -1
	s_barrier_wait -1
	global_inv scope:SCOPE_SE
	s_clause 0x8
	scratch_load_b128 v[6:9], off, off offset:304
	scratch_load_b128 v[73:76], off, off offset:320
	scratch_load_b128 v[77:80], off, off offset:336
	scratch_load_b128 v[81:84], off, off offset:352
	scratch_load_b128 v[85:88], off, off offset:368
	scratch_load_b128 v[89:92], off, off offset:384
	scratch_load_b128 v[93:96], off, off offset:400
	scratch_load_b128 v[97:100], off, off offset:416
	scratch_load_b128 v[101:104], off, off offset:432
	ds_load_b128 v[105:108], v1 offset:768
	ds_load_b128 v[109:112], v1 offset:784
	scratch_load_b128 v[113:116], off, off offset:288
	s_mov_b32 s0, exec_lo
	ds_load_b128 v[121:124], v1 offset:816
	s_wait_loadcnt_dscnt 0x902
	v_mul_f64_e32 v[2:3], v[107:108], v[8:9]
	v_mul_f64_e32 v[117:118], v[105:106], v[8:9]
	scratch_load_b128 v[8:11], off, off offset:448
	s_wait_loadcnt_dscnt 0x901
	v_mul_f64_e32 v[125:126], v[109:110], v[75:76]
	v_mul_f64_e32 v[75:76], v[111:112], v[75:76]
	v_fma_f64 v[2:3], v[105:106], v[6:7], -v[2:3]
	v_fma_f64 v[6:7], v[107:108], v[6:7], v[117:118]
	ds_load_b128 v[105:108], v1 offset:800
	scratch_load_b128 v[117:120], off, off offset:464
	v_fma_f64 v[111:112], v[111:112], v[73:74], v[125:126]
	v_fma_f64 v[109:110], v[109:110], v[73:74], -v[75:76]
	scratch_load_b128 v[73:76], off, off offset:480
	s_wait_loadcnt_dscnt 0x901
	v_mul_f64_e32 v[125:126], v[121:122], v[83:84]
	v_mul_f64_e32 v[83:84], v[123:124], v[83:84]
	s_wait_dscnt 0x0
	v_mul_f64_e32 v[127:128], v[105:106], v[79:80]
	v_mul_f64_e32 v[79:80], v[107:108], v[79:80]
	v_add_f64_e32 v[2:3], 0, v[2:3]
	v_add_f64_e32 v[6:7], 0, v[6:7]
	s_delay_alu instid0(VALU_DEP_4) | instskip(NEXT) | instid1(VALU_DEP_4)
	v_fma_f64 v[127:128], v[107:108], v[77:78], v[127:128]
	v_fma_f64 v[129:130], v[105:106], v[77:78], -v[79:80]
	ds_load_b128 v[77:80], v1 offset:832
	ds_load_b128 v[105:108], v1 offset:848
	v_add_f64_e32 v[2:3], v[2:3], v[109:110]
	v_add_f64_e32 v[6:7], v[6:7], v[111:112]
	v_fma_f64 v[111:112], v[123:124], v[81:82], v[125:126]
	v_fma_f64 v[81:82], v[121:122], v[81:82], -v[83:84]
	s_wait_loadcnt_dscnt 0x801
	v_mul_f64_e32 v[109:110], v[77:78], v[87:88]
	v_mul_f64_e32 v[87:88], v[79:80], v[87:88]
	s_wait_loadcnt_dscnt 0x700
	v_mul_f64_e32 v[121:122], v[105:106], v[91:92]
	v_mul_f64_e32 v[91:92], v[107:108], v[91:92]
	v_add_f64_e32 v[2:3], v[2:3], v[129:130]
	v_add_f64_e32 v[6:7], v[6:7], v[127:128]
	v_fma_f64 v[109:110], v[79:80], v[85:86], v[109:110]
	v_fma_f64 v[85:86], v[77:78], v[85:86], -v[87:88]
	v_fma_f64 v[107:108], v[107:108], v[89:90], v[121:122]
	v_fma_f64 v[89:90], v[105:106], v[89:90], -v[91:92]
	v_add_f64_e32 v[2:3], v[2:3], v[81:82]
	v_add_f64_e32 v[6:7], v[6:7], v[111:112]
	ds_load_b128 v[77:80], v1 offset:864
	ds_load_b128 v[81:84], v1 offset:880
	s_wait_loadcnt_dscnt 0x601
	v_mul_f64_e32 v[87:88], v[77:78], v[95:96]
	v_mul_f64_e32 v[95:96], v[79:80], v[95:96]
	s_wait_loadcnt_dscnt 0x500
	v_mul_f64_e32 v[91:92], v[81:82], v[99:100]
	v_mul_f64_e32 v[99:100], v[83:84], v[99:100]
	v_add_f64_e32 v[2:3], v[2:3], v[85:86]
	v_add_f64_e32 v[6:7], v[6:7], v[109:110]
	v_fma_f64 v[105:106], v[79:80], v[93:94], v[87:88]
	v_fma_f64 v[93:94], v[77:78], v[93:94], -v[95:96]
	ds_load_b128 v[77:80], v1 offset:896
	ds_load_b128 v[85:88], v1 offset:912
	v_fma_f64 v[83:84], v[83:84], v[97:98], v[91:92]
	v_fma_f64 v[81:82], v[81:82], v[97:98], -v[99:100]
	v_add_f64_e32 v[2:3], v[2:3], v[89:90]
	v_add_f64_e32 v[6:7], v[6:7], v[107:108]
	s_wait_loadcnt_dscnt 0x401
	v_mul_f64_e32 v[89:90], v[77:78], v[103:104]
	v_mul_f64_e32 v[95:96], v[79:80], v[103:104]
	s_delay_alu instid0(VALU_DEP_4) | instskip(NEXT) | instid1(VALU_DEP_4)
	v_add_f64_e32 v[2:3], v[2:3], v[93:94]
	v_add_f64_e32 v[6:7], v[6:7], v[105:106]
	s_delay_alu instid0(VALU_DEP_4) | instskip(NEXT) | instid1(VALU_DEP_4)
	v_fma_f64 v[89:90], v[79:80], v[101:102], v[89:90]
	v_fma_f64 v[93:94], v[77:78], v[101:102], -v[95:96]
	s_wait_loadcnt_dscnt 0x200
	v_mul_f64_e32 v[91:92], v[85:86], v[10:11]
	v_mul_f64_e32 v[10:11], v[87:88], v[10:11]
	v_add_f64_e32 v[81:82], v[2:3], v[81:82]
	v_add_f64_e32 v[6:7], v[6:7], v[83:84]
	ds_load_b128 v[77:80], v1 offset:928
	ds_load_b128 v[1:4], v1 offset:944
	v_fma_f64 v[87:88], v[87:88], v[8:9], v[91:92]
	v_fma_f64 v[8:9], v[85:86], v[8:9], -v[10:11]
	s_wait_loadcnt_dscnt 0x101
	v_mul_f64_e32 v[83:84], v[77:78], v[119:120]
	v_mul_f64_e32 v[95:96], v[79:80], v[119:120]
	v_add_f64_e32 v[10:11], v[81:82], v[93:94]
	v_add_f64_e32 v[6:7], v[6:7], v[89:90]
	s_wait_loadcnt_dscnt 0x0
	v_mul_f64_e32 v[81:82], v[1:2], v[75:76]
	v_mul_f64_e32 v[75:76], v[3:4], v[75:76]
	v_fma_f64 v[79:80], v[79:80], v[117:118], v[83:84]
	v_fma_f64 v[77:78], v[77:78], v[117:118], -v[95:96]
	v_add_f64_e32 v[8:9], v[10:11], v[8:9]
	v_add_f64_e32 v[6:7], v[6:7], v[87:88]
	v_fma_f64 v[3:4], v[3:4], v[73:74], v[81:82]
	v_fma_f64 v[1:2], v[1:2], v[73:74], -v[75:76]
	s_delay_alu instid0(VALU_DEP_4) | instskip(NEXT) | instid1(VALU_DEP_4)
	v_add_f64_e32 v[8:9], v[8:9], v[77:78]
	v_add_f64_e32 v[6:7], v[6:7], v[79:80]
	s_delay_alu instid0(VALU_DEP_2) | instskip(NEXT) | instid1(VALU_DEP_2)
	v_add_f64_e32 v[1:2], v[8:9], v[1:2]
	v_add_f64_e32 v[3:4], v[6:7], v[3:4]
	s_delay_alu instid0(VALU_DEP_2) | instskip(NEXT) | instid1(VALU_DEP_2)
	v_add_f64_e64 v[1:2], v[113:114], -v[1:2]
	v_add_f64_e64 v[3:4], v[115:116], -v[3:4]
	scratch_store_b128 off, v[1:4], off offset:288
	v_cmpx_lt_u32_e32 16, v0
	s_cbranch_execz .LBB29_161
; %bb.160:
	scratch_load_b128 v[1:4], off, s33
	v_mov_b32_e32 v6, 0
	s_delay_alu instid0(VALU_DEP_1)
	v_dual_mov_b32 v7, v6 :: v_dual_mov_b32 v8, v6
	v_mov_b32_e32 v9, v6
	scratch_store_b128 off, v[6:9], off offset:272
	s_wait_loadcnt 0x0
	ds_store_b128 v5, v[1:4]
.LBB29_161:
	s_wait_alu 0xfffe
	s_or_b32 exec_lo, exec_lo, s0
	s_wait_storecnt_dscnt 0x0
	s_barrier_signal -1
	s_barrier_wait -1
	global_inv scope:SCOPE_SE
	s_clause 0x7
	scratch_load_b128 v[6:9], off, off offset:288
	scratch_load_b128 v[73:76], off, off offset:304
	;; [unrolled: 1-line block ×8, first 2 shown]
	v_mov_b32_e32 v1, 0
	s_mov_b32 s0, exec_lo
	ds_load_b128 v[101:104], v1 offset:752
	s_clause 0x1
	scratch_load_b128 v[105:108], off, off offset:416
	scratch_load_b128 v[109:112], off, off offset:272
	ds_load_b128 v[113:116], v1 offset:768
	ds_load_b128 v[121:124], v1 offset:800
	s_wait_loadcnt_dscnt 0x902
	v_mul_f64_e32 v[2:3], v[103:104], v[8:9]
	v_mul_f64_e32 v[117:118], v[101:102], v[8:9]
	scratch_load_b128 v[8:11], off, off offset:432
	v_fma_f64 v[2:3], v[101:102], v[6:7], -v[2:3]
	v_fma_f64 v[6:7], v[103:104], v[6:7], v[117:118]
	ds_load_b128 v[101:104], v1 offset:784
	s_wait_loadcnt_dscnt 0x902
	v_mul_f64_e32 v[125:126], v[113:114], v[75:76]
	v_mul_f64_e32 v[75:76], v[115:116], v[75:76]
	scratch_load_b128 v[117:120], off, off offset:448
	s_wait_loadcnt_dscnt 0x900
	v_mul_f64_e32 v[127:128], v[101:102], v[79:80]
	v_mul_f64_e32 v[79:80], v[103:104], v[79:80]
	v_add_f64_e32 v[2:3], 0, v[2:3]
	v_add_f64_e32 v[6:7], 0, v[6:7]
	v_fma_f64 v[115:116], v[115:116], v[73:74], v[125:126]
	v_fma_f64 v[113:114], v[113:114], v[73:74], -v[75:76]
	scratch_load_b128 v[73:76], off, off offset:464
	v_fma_f64 v[127:128], v[103:104], v[77:78], v[127:128]
	v_fma_f64 v[129:130], v[101:102], v[77:78], -v[79:80]
	ds_load_b128 v[77:80], v1 offset:816
	s_wait_loadcnt 0x9
	v_mul_f64_e32 v[125:126], v[121:122], v[83:84]
	v_mul_f64_e32 v[83:84], v[123:124], v[83:84]
	scratch_load_b128 v[101:104], off, off offset:480
	v_add_f64_e32 v[6:7], v[6:7], v[115:116]
	v_add_f64_e32 v[2:3], v[2:3], v[113:114]
	ds_load_b128 v[113:116], v1 offset:832
	s_wait_loadcnt_dscnt 0x901
	v_mul_f64_e32 v[131:132], v[77:78], v[87:88]
	v_mul_f64_e32 v[87:88], v[79:80], v[87:88]
	v_fma_f64 v[123:124], v[123:124], v[81:82], v[125:126]
	v_fma_f64 v[81:82], v[121:122], v[81:82], -v[83:84]
	s_wait_loadcnt_dscnt 0x800
	v_mul_f64_e32 v[121:122], v[113:114], v[91:92]
	v_mul_f64_e32 v[91:92], v[115:116], v[91:92]
	v_add_f64_e32 v[6:7], v[6:7], v[127:128]
	v_add_f64_e32 v[2:3], v[2:3], v[129:130]
	v_fma_f64 v[125:126], v[79:80], v[85:86], v[131:132]
	v_fma_f64 v[85:86], v[77:78], v[85:86], -v[87:88]
	v_fma_f64 v[115:116], v[115:116], v[89:90], v[121:122]
	v_fma_f64 v[89:90], v[113:114], v[89:90], -v[91:92]
	v_add_f64_e32 v[6:7], v[6:7], v[123:124]
	v_add_f64_e32 v[2:3], v[2:3], v[81:82]
	ds_load_b128 v[77:80], v1 offset:848
	ds_load_b128 v[81:84], v1 offset:864
	s_wait_loadcnt_dscnt 0x701
	v_mul_f64_e32 v[87:88], v[77:78], v[95:96]
	v_mul_f64_e32 v[95:96], v[79:80], v[95:96]
	s_wait_loadcnt_dscnt 0x600
	v_mul_f64_e32 v[91:92], v[81:82], v[99:100]
	v_mul_f64_e32 v[99:100], v[83:84], v[99:100]
	v_add_f64_e32 v[6:7], v[6:7], v[125:126]
	v_add_f64_e32 v[2:3], v[2:3], v[85:86]
	v_fma_f64 v[113:114], v[79:80], v[93:94], v[87:88]
	v_fma_f64 v[93:94], v[77:78], v[93:94], -v[95:96]
	ds_load_b128 v[77:80], v1 offset:880
	ds_load_b128 v[85:88], v1 offset:896
	v_fma_f64 v[83:84], v[83:84], v[97:98], v[91:92]
	v_fma_f64 v[81:82], v[81:82], v[97:98], -v[99:100]
	v_add_f64_e32 v[6:7], v[6:7], v[115:116]
	v_add_f64_e32 v[2:3], v[2:3], v[89:90]
	s_wait_loadcnt_dscnt 0x501
	v_mul_f64_e32 v[89:90], v[77:78], v[107:108]
	v_mul_f64_e32 v[95:96], v[79:80], v[107:108]
	s_delay_alu instid0(VALU_DEP_4) | instskip(NEXT) | instid1(VALU_DEP_4)
	v_add_f64_e32 v[6:7], v[6:7], v[113:114]
	v_add_f64_e32 v[2:3], v[2:3], v[93:94]
	s_delay_alu instid0(VALU_DEP_4) | instskip(NEXT) | instid1(VALU_DEP_4)
	v_fma_f64 v[89:90], v[79:80], v[105:106], v[89:90]
	v_fma_f64 v[93:94], v[77:78], v[105:106], -v[95:96]
	s_wait_loadcnt_dscnt 0x300
	v_mul_f64_e32 v[91:92], v[85:86], v[10:11]
	v_mul_f64_e32 v[10:11], v[87:88], v[10:11]
	v_add_f64_e32 v[6:7], v[6:7], v[83:84]
	v_add_f64_e32 v[2:3], v[2:3], v[81:82]
	ds_load_b128 v[77:80], v1 offset:912
	ds_load_b128 v[81:84], v1 offset:928
	v_fma_f64 v[87:88], v[87:88], v[8:9], v[91:92]
	v_fma_f64 v[8:9], v[85:86], v[8:9], -v[10:11]
	s_wait_loadcnt_dscnt 0x201
	v_mul_f64_e32 v[95:96], v[77:78], v[119:120]
	v_mul_f64_e32 v[97:98], v[79:80], v[119:120]
	v_add_f64_e32 v[6:7], v[6:7], v[89:90]
	v_add_f64_e32 v[2:3], v[2:3], v[93:94]
	s_wait_loadcnt_dscnt 0x100
	v_mul_f64_e32 v[10:11], v[81:82], v[75:76]
	v_mul_f64_e32 v[75:76], v[83:84], v[75:76]
	v_fma_f64 v[79:80], v[79:80], v[117:118], v[95:96]
	v_fma_f64 v[77:78], v[77:78], v[117:118], -v[97:98]
	v_add_f64_e32 v[85:86], v[6:7], v[87:88]
	v_add_f64_e32 v[2:3], v[2:3], v[8:9]
	ds_load_b128 v[6:9], v1 offset:944
	v_fma_f64 v[10:11], v[83:84], v[73:74], v[10:11]
	v_fma_f64 v[73:74], v[81:82], v[73:74], -v[75:76]
	s_wait_loadcnt_dscnt 0x0
	v_mul_f64_e32 v[87:88], v[6:7], v[103:104]
	v_mul_f64_e32 v[89:90], v[8:9], v[103:104]
	v_add_f64_e32 v[75:76], v[85:86], v[79:80]
	v_add_f64_e32 v[2:3], v[2:3], v[77:78]
	s_delay_alu instid0(VALU_DEP_4) | instskip(NEXT) | instid1(VALU_DEP_4)
	v_fma_f64 v[8:9], v[8:9], v[101:102], v[87:88]
	v_fma_f64 v[6:7], v[6:7], v[101:102], -v[89:90]
	s_delay_alu instid0(VALU_DEP_4) | instskip(NEXT) | instid1(VALU_DEP_4)
	v_add_f64_e32 v[10:11], v[75:76], v[10:11]
	v_add_f64_e32 v[2:3], v[2:3], v[73:74]
	s_delay_alu instid0(VALU_DEP_2) | instskip(NEXT) | instid1(VALU_DEP_2)
	v_add_f64_e32 v[8:9], v[10:11], v[8:9]
	v_add_f64_e32 v[2:3], v[2:3], v[6:7]
	s_delay_alu instid0(VALU_DEP_2) | instskip(NEXT) | instid1(VALU_DEP_2)
	v_add_f64_e64 v[8:9], v[111:112], -v[8:9]
	v_add_f64_e64 v[6:7], v[109:110], -v[2:3]
	scratch_store_b128 off, v[6:9], off offset:272
	v_cmpx_lt_u32_e32 15, v0
	s_cbranch_execz .LBB29_163
; %bb.162:
	scratch_load_b128 v[6:9], off, s31
	v_dual_mov_b32 v2, v1 :: v_dual_mov_b32 v3, v1
	v_mov_b32_e32 v4, v1
	scratch_store_b128 off, v[1:4], off offset:256
	s_wait_loadcnt 0x0
	ds_store_b128 v5, v[6:9]
.LBB29_163:
	s_wait_alu 0xfffe
	s_or_b32 exec_lo, exec_lo, s0
	s_wait_storecnt_dscnt 0x0
	s_barrier_signal -1
	s_barrier_wait -1
	global_inv scope:SCOPE_SE
	s_clause 0x8
	scratch_load_b128 v[6:9], off, off offset:272
	scratch_load_b128 v[73:76], off, off offset:288
	;; [unrolled: 1-line block ×9, first 2 shown]
	ds_load_b128 v[105:108], v1 offset:736
	ds_load_b128 v[109:112], v1 offset:752
	scratch_load_b128 v[113:116], off, off offset:256
	s_mov_b32 s0, exec_lo
	ds_load_b128 v[121:124], v1 offset:784
	s_wait_loadcnt_dscnt 0x902
	v_mul_f64_e32 v[2:3], v[107:108], v[8:9]
	v_mul_f64_e32 v[117:118], v[105:106], v[8:9]
	scratch_load_b128 v[8:11], off, off offset:416
	s_wait_loadcnt_dscnt 0x901
	v_mul_f64_e32 v[125:126], v[109:110], v[75:76]
	v_mul_f64_e32 v[75:76], v[111:112], v[75:76]
	v_fma_f64 v[2:3], v[105:106], v[6:7], -v[2:3]
	v_fma_f64 v[6:7], v[107:108], v[6:7], v[117:118]
	ds_load_b128 v[105:108], v1 offset:768
	scratch_load_b128 v[117:120], off, off offset:432
	v_fma_f64 v[111:112], v[111:112], v[73:74], v[125:126]
	v_fma_f64 v[109:110], v[109:110], v[73:74], -v[75:76]
	scratch_load_b128 v[73:76], off, off offset:448
	s_wait_loadcnt_dscnt 0x901
	v_mul_f64_e32 v[125:126], v[121:122], v[83:84]
	v_mul_f64_e32 v[83:84], v[123:124], v[83:84]
	s_wait_dscnt 0x0
	v_mul_f64_e32 v[127:128], v[105:106], v[79:80]
	v_mul_f64_e32 v[79:80], v[107:108], v[79:80]
	v_add_f64_e32 v[2:3], 0, v[2:3]
	v_add_f64_e32 v[6:7], 0, v[6:7]
	v_fma_f64 v[123:124], v[123:124], v[81:82], v[125:126]
	v_fma_f64 v[121:122], v[121:122], v[81:82], -v[83:84]
	scratch_load_b128 v[81:84], off, off offset:480
	v_fma_f64 v[127:128], v[107:108], v[77:78], v[127:128]
	v_fma_f64 v[129:130], v[105:106], v[77:78], -v[79:80]
	ds_load_b128 v[77:80], v1 offset:800
	scratch_load_b128 v[105:108], off, off offset:464
	v_add_f64_e32 v[2:3], v[2:3], v[109:110]
	v_add_f64_e32 v[6:7], v[6:7], v[111:112]
	ds_load_b128 v[109:112], v1 offset:816
	s_wait_loadcnt_dscnt 0xa01
	v_mul_f64_e32 v[131:132], v[77:78], v[87:88]
	v_mul_f64_e32 v[87:88], v[79:80], v[87:88]
	s_wait_loadcnt_dscnt 0x900
	v_mul_f64_e32 v[125:126], v[109:110], v[91:92]
	v_mul_f64_e32 v[91:92], v[111:112], v[91:92]
	v_add_f64_e32 v[2:3], v[2:3], v[129:130]
	v_add_f64_e32 v[6:7], v[6:7], v[127:128]
	v_fma_f64 v[127:128], v[79:80], v[85:86], v[131:132]
	v_fma_f64 v[129:130], v[77:78], v[85:86], -v[87:88]
	ds_load_b128 v[77:80], v1 offset:832
	ds_load_b128 v[85:88], v1 offset:848
	v_fma_f64 v[111:112], v[111:112], v[89:90], v[125:126]
	v_fma_f64 v[89:90], v[109:110], v[89:90], -v[91:92]
	s_wait_loadcnt_dscnt 0x700
	v_mul_f64_e32 v[109:110], v[85:86], v[99:100]
	v_mul_f64_e32 v[99:100], v[87:88], v[99:100]
	v_add_f64_e32 v[2:3], v[2:3], v[121:122]
	v_add_f64_e32 v[6:7], v[6:7], v[123:124]
	v_mul_f64_e32 v[121:122], v[77:78], v[95:96]
	v_mul_f64_e32 v[95:96], v[79:80], v[95:96]
	v_fma_f64 v[87:88], v[87:88], v[97:98], v[109:110]
	v_fma_f64 v[85:86], v[85:86], v[97:98], -v[99:100]
	v_add_f64_e32 v[2:3], v[2:3], v[129:130]
	v_add_f64_e32 v[6:7], v[6:7], v[127:128]
	v_fma_f64 v[121:122], v[79:80], v[93:94], v[121:122]
	v_fma_f64 v[93:94], v[77:78], v[93:94], -v[95:96]
	s_delay_alu instid0(VALU_DEP_4) | instskip(NEXT) | instid1(VALU_DEP_4)
	v_add_f64_e32 v[2:3], v[2:3], v[89:90]
	v_add_f64_e32 v[6:7], v[6:7], v[111:112]
	ds_load_b128 v[77:80], v1 offset:864
	ds_load_b128 v[89:92], v1 offset:880
	s_wait_loadcnt_dscnt 0x601
	v_mul_f64_e32 v[95:96], v[77:78], v[103:104]
	v_mul_f64_e32 v[103:104], v[79:80], v[103:104]
	v_add_f64_e32 v[2:3], v[2:3], v[93:94]
	v_add_f64_e32 v[6:7], v[6:7], v[121:122]
	s_wait_loadcnt_dscnt 0x400
	v_mul_f64_e32 v[93:94], v[89:90], v[10:11]
	v_mul_f64_e32 v[10:11], v[91:92], v[10:11]
	v_fma_f64 v[95:96], v[79:80], v[101:102], v[95:96]
	v_fma_f64 v[97:98], v[77:78], v[101:102], -v[103:104]
	v_add_f64_e32 v[2:3], v[2:3], v[85:86]
	v_add_f64_e32 v[6:7], v[6:7], v[87:88]
	ds_load_b128 v[77:80], v1 offset:896
	ds_load_b128 v[85:88], v1 offset:912
	v_fma_f64 v[91:92], v[91:92], v[8:9], v[93:94]
	v_fma_f64 v[8:9], v[89:90], v[8:9], -v[10:11]
	s_wait_loadcnt_dscnt 0x301
	v_mul_f64_e32 v[99:100], v[77:78], v[119:120]
	v_mul_f64_e32 v[101:102], v[79:80], v[119:120]
	s_wait_loadcnt_dscnt 0x200
	v_mul_f64_e32 v[10:11], v[85:86], v[75:76]
	v_mul_f64_e32 v[75:76], v[87:88], v[75:76]
	v_add_f64_e32 v[2:3], v[2:3], v[97:98]
	v_add_f64_e32 v[6:7], v[6:7], v[95:96]
	v_fma_f64 v[79:80], v[79:80], v[117:118], v[99:100]
	v_fma_f64 v[77:78], v[77:78], v[117:118], -v[101:102]
	v_fma_f64 v[10:11], v[87:88], v[73:74], v[10:11]
	v_fma_f64 v[73:74], v[85:86], v[73:74], -v[75:76]
	v_add_f64_e32 v[89:90], v[2:3], v[8:9]
	v_add_f64_e32 v[91:92], v[6:7], v[91:92]
	ds_load_b128 v[6:9], v1 offset:928
	ds_load_b128 v[1:4], v1 offset:944
	s_wait_loadcnt_dscnt 0x1
	v_mul_f64_e32 v[93:94], v[6:7], v[107:108]
	v_mul_f64_e32 v[95:96], v[8:9], v[107:108]
	v_add_f64_e32 v[75:76], v[89:90], v[77:78]
	v_add_f64_e32 v[77:78], v[91:92], v[79:80]
	s_wait_dscnt 0x0
	v_mul_f64_e32 v[79:80], v[1:2], v[83:84]
	v_mul_f64_e32 v[83:84], v[3:4], v[83:84]
	v_fma_f64 v[8:9], v[8:9], v[105:106], v[93:94]
	v_fma_f64 v[6:7], v[6:7], v[105:106], -v[95:96]
	v_add_f64_e32 v[73:74], v[75:76], v[73:74]
	v_add_f64_e32 v[10:11], v[77:78], v[10:11]
	v_fma_f64 v[3:4], v[3:4], v[81:82], v[79:80]
	v_fma_f64 v[1:2], v[1:2], v[81:82], -v[83:84]
	s_delay_alu instid0(VALU_DEP_4) | instskip(NEXT) | instid1(VALU_DEP_4)
	v_add_f64_e32 v[6:7], v[73:74], v[6:7]
	v_add_f64_e32 v[8:9], v[10:11], v[8:9]
	s_delay_alu instid0(VALU_DEP_2) | instskip(NEXT) | instid1(VALU_DEP_2)
	v_add_f64_e32 v[1:2], v[6:7], v[1:2]
	v_add_f64_e32 v[3:4], v[8:9], v[3:4]
	s_delay_alu instid0(VALU_DEP_2) | instskip(NEXT) | instid1(VALU_DEP_2)
	v_add_f64_e64 v[1:2], v[113:114], -v[1:2]
	v_add_f64_e64 v[3:4], v[115:116], -v[3:4]
	scratch_store_b128 off, v[1:4], off offset:256
	v_cmpx_lt_u32_e32 14, v0
	s_cbranch_execz .LBB29_165
; %bb.164:
	scratch_load_b128 v[1:4], off, s35
	v_mov_b32_e32 v6, 0
	s_delay_alu instid0(VALU_DEP_1)
	v_dual_mov_b32 v7, v6 :: v_dual_mov_b32 v8, v6
	v_mov_b32_e32 v9, v6
	scratch_store_b128 off, v[6:9], off offset:240
	s_wait_loadcnt 0x0
	ds_store_b128 v5, v[1:4]
.LBB29_165:
	s_wait_alu 0xfffe
	s_or_b32 exec_lo, exec_lo, s0
	s_wait_storecnt_dscnt 0x0
	s_barrier_signal -1
	s_barrier_wait -1
	global_inv scope:SCOPE_SE
	s_clause 0x7
	scratch_load_b128 v[6:9], off, off offset:256
	scratch_load_b128 v[73:76], off, off offset:272
	;; [unrolled: 1-line block ×8, first 2 shown]
	v_mov_b32_e32 v1, 0
	s_mov_b32 s0, exec_lo
	ds_load_b128 v[101:104], v1 offset:720
	s_clause 0x1
	scratch_load_b128 v[105:108], off, off offset:384
	scratch_load_b128 v[109:112], off, off offset:240
	ds_load_b128 v[113:116], v1 offset:736
	ds_load_b128 v[121:124], v1 offset:768
	s_wait_loadcnt_dscnt 0x902
	v_mul_f64_e32 v[2:3], v[103:104], v[8:9]
	v_mul_f64_e32 v[117:118], v[101:102], v[8:9]
	scratch_load_b128 v[8:11], off, off offset:400
	v_fma_f64 v[2:3], v[101:102], v[6:7], -v[2:3]
	v_fma_f64 v[6:7], v[103:104], v[6:7], v[117:118]
	ds_load_b128 v[101:104], v1 offset:752
	s_wait_loadcnt_dscnt 0x902
	v_mul_f64_e32 v[125:126], v[113:114], v[75:76]
	v_mul_f64_e32 v[75:76], v[115:116], v[75:76]
	scratch_load_b128 v[117:120], off, off offset:416
	s_wait_loadcnt_dscnt 0x900
	v_mul_f64_e32 v[127:128], v[101:102], v[79:80]
	v_mul_f64_e32 v[79:80], v[103:104], v[79:80]
	v_add_f64_e32 v[2:3], 0, v[2:3]
	v_add_f64_e32 v[6:7], 0, v[6:7]
	v_fma_f64 v[115:116], v[115:116], v[73:74], v[125:126]
	v_fma_f64 v[113:114], v[113:114], v[73:74], -v[75:76]
	scratch_load_b128 v[73:76], off, off offset:432
	v_fma_f64 v[127:128], v[103:104], v[77:78], v[127:128]
	v_fma_f64 v[129:130], v[101:102], v[77:78], -v[79:80]
	ds_load_b128 v[77:80], v1 offset:784
	s_wait_loadcnt 0x9
	v_mul_f64_e32 v[125:126], v[121:122], v[83:84]
	v_mul_f64_e32 v[83:84], v[123:124], v[83:84]
	scratch_load_b128 v[101:104], off, off offset:448
	v_add_f64_e32 v[6:7], v[6:7], v[115:116]
	v_add_f64_e32 v[2:3], v[2:3], v[113:114]
	ds_load_b128 v[113:116], v1 offset:800
	s_wait_loadcnt_dscnt 0x901
	v_mul_f64_e32 v[131:132], v[77:78], v[87:88]
	v_mul_f64_e32 v[87:88], v[79:80], v[87:88]
	v_fma_f64 v[123:124], v[123:124], v[81:82], v[125:126]
	v_fma_f64 v[121:122], v[121:122], v[81:82], -v[83:84]
	scratch_load_b128 v[81:84], off, off offset:464
	v_add_f64_e32 v[6:7], v[6:7], v[127:128]
	v_add_f64_e32 v[2:3], v[2:3], v[129:130]
	v_fma_f64 v[127:128], v[79:80], v[85:86], v[131:132]
	v_fma_f64 v[129:130], v[77:78], v[85:86], -v[87:88]
	ds_load_b128 v[77:80], v1 offset:816
	s_wait_loadcnt_dscnt 0x901
	v_mul_f64_e32 v[125:126], v[113:114], v[91:92]
	v_mul_f64_e32 v[91:92], v[115:116], v[91:92]
	scratch_load_b128 v[85:88], off, off offset:480
	s_wait_loadcnt_dscnt 0x900
	v_mul_f64_e32 v[131:132], v[77:78], v[95:96]
	v_mul_f64_e32 v[95:96], v[79:80], v[95:96]
	v_add_f64_e32 v[6:7], v[6:7], v[123:124]
	v_add_f64_e32 v[2:3], v[2:3], v[121:122]
	ds_load_b128 v[121:124], v1 offset:832
	v_fma_f64 v[115:116], v[115:116], v[89:90], v[125:126]
	v_fma_f64 v[89:90], v[113:114], v[89:90], -v[91:92]
	s_wait_loadcnt_dscnt 0x800
	v_mul_f64_e32 v[113:114], v[121:122], v[99:100]
	v_mul_f64_e32 v[99:100], v[123:124], v[99:100]
	v_fma_f64 v[125:126], v[79:80], v[93:94], v[131:132]
	v_fma_f64 v[93:94], v[77:78], v[93:94], -v[95:96]
	v_add_f64_e32 v[6:7], v[6:7], v[127:128]
	v_add_f64_e32 v[2:3], v[2:3], v[129:130]
	v_fma_f64 v[113:114], v[123:124], v[97:98], v[113:114]
	v_fma_f64 v[97:98], v[121:122], v[97:98], -v[99:100]
	s_delay_alu instid0(VALU_DEP_4) | instskip(NEXT) | instid1(VALU_DEP_4)
	v_add_f64_e32 v[6:7], v[6:7], v[115:116]
	v_add_f64_e32 v[2:3], v[2:3], v[89:90]
	ds_load_b128 v[77:80], v1 offset:848
	ds_load_b128 v[89:92], v1 offset:864
	s_wait_loadcnt_dscnt 0x701
	v_mul_f64_e32 v[95:96], v[77:78], v[107:108]
	v_mul_f64_e32 v[107:108], v[79:80], v[107:108]
	v_add_f64_e32 v[6:7], v[6:7], v[125:126]
	v_add_f64_e32 v[2:3], v[2:3], v[93:94]
	s_wait_loadcnt_dscnt 0x500
	v_mul_f64_e32 v[99:100], v[89:90], v[10:11]
	v_mul_f64_e32 v[10:11], v[91:92], v[10:11]
	v_fma_f64 v[115:116], v[79:80], v[105:106], v[95:96]
	v_fma_f64 v[105:106], v[77:78], v[105:106], -v[107:108]
	ds_load_b128 v[77:80], v1 offset:880
	ds_load_b128 v[93:96], v1 offset:896
	v_add_f64_e32 v[6:7], v[6:7], v[113:114]
	v_add_f64_e32 v[2:3], v[2:3], v[97:98]
	v_fma_f64 v[91:92], v[91:92], v[8:9], v[99:100]
	v_fma_f64 v[8:9], v[89:90], v[8:9], -v[10:11]
	s_wait_loadcnt_dscnt 0x401
	v_mul_f64_e32 v[97:98], v[77:78], v[119:120]
	v_mul_f64_e32 v[107:108], v[79:80], v[119:120]
	v_add_f64_e32 v[6:7], v[6:7], v[115:116]
	v_add_f64_e32 v[2:3], v[2:3], v[105:106]
	s_wait_loadcnt_dscnt 0x300
	v_mul_f64_e32 v[10:11], v[93:94], v[75:76]
	v_mul_f64_e32 v[89:90], v[95:96], v[75:76]
	v_fma_f64 v[79:80], v[79:80], v[117:118], v[97:98]
	v_fma_f64 v[97:98], v[77:78], v[117:118], -v[107:108]
	v_add_f64_e32 v[91:92], v[6:7], v[91:92]
	v_add_f64_e32 v[2:3], v[2:3], v[8:9]
	ds_load_b128 v[6:9], v1 offset:912
	ds_load_b128 v[75:78], v1 offset:928
	v_fma_f64 v[10:11], v[95:96], v[73:74], v[10:11]
	v_fma_f64 v[73:74], v[93:94], v[73:74], -v[89:90]
	s_wait_loadcnt_dscnt 0x201
	v_mul_f64_e32 v[99:100], v[6:7], v[103:104]
	v_mul_f64_e32 v[103:104], v[8:9], v[103:104]
	v_add_f64_e32 v[79:80], v[91:92], v[79:80]
	v_add_f64_e32 v[2:3], v[2:3], v[97:98]
	s_wait_loadcnt_dscnt 0x100
	v_mul_f64_e32 v[89:90], v[75:76], v[83:84]
	v_mul_f64_e32 v[83:84], v[77:78], v[83:84]
	v_fma_f64 v[91:92], v[8:9], v[101:102], v[99:100]
	v_fma_f64 v[93:94], v[6:7], v[101:102], -v[103:104]
	ds_load_b128 v[6:9], v1 offset:944
	v_add_f64_e32 v[10:11], v[79:80], v[10:11]
	v_add_f64_e32 v[2:3], v[2:3], v[73:74]
	v_fma_f64 v[77:78], v[77:78], v[81:82], v[89:90]
	v_fma_f64 v[75:76], v[75:76], v[81:82], -v[83:84]
	s_wait_loadcnt_dscnt 0x0
	v_mul_f64_e32 v[73:74], v[6:7], v[87:88]
	v_mul_f64_e32 v[79:80], v[8:9], v[87:88]
	v_add_f64_e32 v[10:11], v[10:11], v[91:92]
	v_add_f64_e32 v[2:3], v[2:3], v[93:94]
	s_delay_alu instid0(VALU_DEP_4) | instskip(NEXT) | instid1(VALU_DEP_4)
	v_fma_f64 v[8:9], v[8:9], v[85:86], v[73:74]
	v_fma_f64 v[6:7], v[6:7], v[85:86], -v[79:80]
	s_delay_alu instid0(VALU_DEP_4) | instskip(NEXT) | instid1(VALU_DEP_4)
	v_add_f64_e32 v[10:11], v[10:11], v[77:78]
	v_add_f64_e32 v[2:3], v[2:3], v[75:76]
	s_delay_alu instid0(VALU_DEP_2) | instskip(NEXT) | instid1(VALU_DEP_2)
	v_add_f64_e32 v[8:9], v[10:11], v[8:9]
	v_add_f64_e32 v[2:3], v[2:3], v[6:7]
	s_delay_alu instid0(VALU_DEP_2) | instskip(NEXT) | instid1(VALU_DEP_2)
	v_add_f64_e64 v[8:9], v[111:112], -v[8:9]
	v_add_f64_e64 v[6:7], v[109:110], -v[2:3]
	scratch_store_b128 off, v[6:9], off offset:240
	v_cmpx_lt_u32_e32 13, v0
	s_cbranch_execz .LBB29_167
; %bb.166:
	scratch_load_b128 v[6:9], off, s36
	v_dual_mov_b32 v2, v1 :: v_dual_mov_b32 v3, v1
	v_mov_b32_e32 v4, v1
	scratch_store_b128 off, v[1:4], off offset:224
	s_wait_loadcnt 0x0
	ds_store_b128 v5, v[6:9]
.LBB29_167:
	s_wait_alu 0xfffe
	s_or_b32 exec_lo, exec_lo, s0
	s_wait_storecnt_dscnt 0x0
	s_barrier_signal -1
	s_barrier_wait -1
	global_inv scope:SCOPE_SE
	s_clause 0x8
	scratch_load_b128 v[6:9], off, off offset:240
	scratch_load_b128 v[73:76], off, off offset:256
	;; [unrolled: 1-line block ×9, first 2 shown]
	ds_load_b128 v[105:108], v1 offset:704
	ds_load_b128 v[109:112], v1 offset:720
	scratch_load_b128 v[113:116], off, off offset:224
	s_mov_b32 s0, exec_lo
	ds_load_b128 v[121:124], v1 offset:752
	s_wait_loadcnt_dscnt 0x902
	v_mul_f64_e32 v[2:3], v[107:108], v[8:9]
	v_mul_f64_e32 v[117:118], v[105:106], v[8:9]
	scratch_load_b128 v[8:11], off, off offset:384
	s_wait_loadcnt_dscnt 0x901
	v_mul_f64_e32 v[125:126], v[109:110], v[75:76]
	v_mul_f64_e32 v[75:76], v[111:112], v[75:76]
	v_fma_f64 v[2:3], v[105:106], v[6:7], -v[2:3]
	v_fma_f64 v[6:7], v[107:108], v[6:7], v[117:118]
	ds_load_b128 v[105:108], v1 offset:736
	scratch_load_b128 v[117:120], off, off offset:400
	v_fma_f64 v[111:112], v[111:112], v[73:74], v[125:126]
	v_fma_f64 v[109:110], v[109:110], v[73:74], -v[75:76]
	scratch_load_b128 v[73:76], off, off offset:416
	s_wait_loadcnt_dscnt 0x901
	v_mul_f64_e32 v[125:126], v[121:122], v[83:84]
	v_mul_f64_e32 v[83:84], v[123:124], v[83:84]
	s_wait_dscnt 0x0
	v_mul_f64_e32 v[127:128], v[105:106], v[79:80]
	v_mul_f64_e32 v[79:80], v[107:108], v[79:80]
	v_add_f64_e32 v[2:3], 0, v[2:3]
	v_add_f64_e32 v[6:7], 0, v[6:7]
	v_fma_f64 v[123:124], v[123:124], v[81:82], v[125:126]
	v_fma_f64 v[121:122], v[121:122], v[81:82], -v[83:84]
	scratch_load_b128 v[81:84], off, off offset:448
	v_fma_f64 v[127:128], v[107:108], v[77:78], v[127:128]
	v_fma_f64 v[129:130], v[105:106], v[77:78], -v[79:80]
	ds_load_b128 v[77:80], v1 offset:768
	scratch_load_b128 v[105:108], off, off offset:432
	v_add_f64_e32 v[2:3], v[2:3], v[109:110]
	v_add_f64_e32 v[6:7], v[6:7], v[111:112]
	ds_load_b128 v[109:112], v1 offset:784
	s_wait_loadcnt_dscnt 0xa01
	v_mul_f64_e32 v[131:132], v[77:78], v[87:88]
	v_mul_f64_e32 v[87:88], v[79:80], v[87:88]
	s_wait_loadcnt_dscnt 0x900
	v_mul_f64_e32 v[125:126], v[109:110], v[91:92]
	v_mul_f64_e32 v[91:92], v[111:112], v[91:92]
	v_add_f64_e32 v[2:3], v[2:3], v[129:130]
	v_add_f64_e32 v[6:7], v[6:7], v[127:128]
	v_fma_f64 v[127:128], v[79:80], v[85:86], v[131:132]
	v_fma_f64 v[129:130], v[77:78], v[85:86], -v[87:88]
	ds_load_b128 v[77:80], v1 offset:800
	scratch_load_b128 v[85:88], off, off offset:464
	v_fma_f64 v[111:112], v[111:112], v[89:90], v[125:126]
	v_fma_f64 v[109:110], v[109:110], v[89:90], -v[91:92]
	scratch_load_b128 v[89:92], off, off offset:480
	v_add_f64_e32 v[2:3], v[2:3], v[121:122]
	v_add_f64_e32 v[6:7], v[6:7], v[123:124]
	ds_load_b128 v[121:124], v1 offset:816
	s_wait_loadcnt_dscnt 0xa01
	v_mul_f64_e32 v[131:132], v[77:78], v[95:96]
	v_mul_f64_e32 v[95:96], v[79:80], v[95:96]
	s_wait_loadcnt_dscnt 0x900
	v_mul_f64_e32 v[125:126], v[121:122], v[99:100]
	v_mul_f64_e32 v[99:100], v[123:124], v[99:100]
	v_add_f64_e32 v[2:3], v[2:3], v[129:130]
	v_add_f64_e32 v[6:7], v[6:7], v[127:128]
	v_fma_f64 v[127:128], v[79:80], v[93:94], v[131:132]
	v_fma_f64 v[129:130], v[77:78], v[93:94], -v[95:96]
	ds_load_b128 v[77:80], v1 offset:832
	ds_load_b128 v[93:96], v1 offset:848
	v_add_f64_e32 v[2:3], v[2:3], v[109:110]
	v_add_f64_e32 v[6:7], v[6:7], v[111:112]
	s_wait_loadcnt_dscnt 0x801
	v_mul_f64_e32 v[109:110], v[77:78], v[103:104]
	v_mul_f64_e32 v[103:104], v[79:80], v[103:104]
	v_fma_f64 v[111:112], v[123:124], v[97:98], v[125:126]
	v_fma_f64 v[97:98], v[121:122], v[97:98], -v[99:100]
	v_add_f64_e32 v[2:3], v[2:3], v[129:130]
	v_add_f64_e32 v[6:7], v[6:7], v[127:128]
	v_fma_f64 v[109:110], v[79:80], v[101:102], v[109:110]
	v_fma_f64 v[101:102], v[77:78], v[101:102], -v[103:104]
	s_wait_loadcnt_dscnt 0x600
	v_mul_f64_e32 v[121:122], v[93:94], v[10:11]
	v_mul_f64_e32 v[10:11], v[95:96], v[10:11]
	v_add_f64_e32 v[2:3], v[2:3], v[97:98]
	v_add_f64_e32 v[6:7], v[6:7], v[111:112]
	ds_load_b128 v[77:80], v1 offset:864
	ds_load_b128 v[97:100], v1 offset:880
	v_fma_f64 v[95:96], v[95:96], v[8:9], v[121:122]
	v_fma_f64 v[8:9], v[93:94], v[8:9], -v[10:11]
	s_wait_loadcnt_dscnt 0x501
	v_mul_f64_e32 v[103:104], v[77:78], v[119:120]
	v_mul_f64_e32 v[111:112], v[79:80], v[119:120]
	s_wait_loadcnt_dscnt 0x400
	v_mul_f64_e32 v[10:11], v[97:98], v[75:76]
	v_mul_f64_e32 v[93:94], v[99:100], v[75:76]
	v_add_f64_e32 v[2:3], v[2:3], v[101:102]
	v_add_f64_e32 v[6:7], v[6:7], v[109:110]
	v_fma_f64 v[79:80], v[79:80], v[117:118], v[103:104]
	v_fma_f64 v[101:102], v[77:78], v[117:118], -v[111:112]
	v_fma_f64 v[10:11], v[99:100], v[73:74], v[10:11]
	v_fma_f64 v[73:74], v[97:98], v[73:74], -v[93:94]
	v_add_f64_e32 v[2:3], v[2:3], v[8:9]
	v_add_f64_e32 v[95:96], v[6:7], v[95:96]
	ds_load_b128 v[6:9], v1 offset:896
	ds_load_b128 v[75:78], v1 offset:912
	s_wait_loadcnt_dscnt 0x201
	v_mul_f64_e32 v[103:104], v[6:7], v[107:108]
	v_mul_f64_e32 v[107:108], v[8:9], v[107:108]
	s_wait_dscnt 0x0
	v_mul_f64_e32 v[93:94], v[75:76], v[83:84]
	v_mul_f64_e32 v[83:84], v[77:78], v[83:84]
	v_add_f64_e32 v[2:3], v[2:3], v[101:102]
	v_add_f64_e32 v[79:80], v[95:96], v[79:80]
	v_fma_f64 v[95:96], v[8:9], v[105:106], v[103:104]
	v_fma_f64 v[97:98], v[6:7], v[105:106], -v[107:108]
	v_fma_f64 v[77:78], v[77:78], v[81:82], v[93:94]
	v_fma_f64 v[75:76], v[75:76], v[81:82], -v[83:84]
	v_add_f64_e32 v[73:74], v[2:3], v[73:74]
	v_add_f64_e32 v[10:11], v[79:80], v[10:11]
	ds_load_b128 v[6:9], v1 offset:928
	ds_load_b128 v[1:4], v1 offset:944
	s_wait_loadcnt_dscnt 0x101
	v_mul_f64_e32 v[79:80], v[6:7], v[87:88]
	v_mul_f64_e32 v[87:88], v[8:9], v[87:88]
	s_wait_loadcnt_dscnt 0x0
	v_mul_f64_e32 v[81:82], v[1:2], v[91:92]
	v_mul_f64_e32 v[83:84], v[3:4], v[91:92]
	v_add_f64_e32 v[73:74], v[73:74], v[97:98]
	v_add_f64_e32 v[10:11], v[10:11], v[95:96]
	v_fma_f64 v[8:9], v[8:9], v[85:86], v[79:80]
	v_fma_f64 v[6:7], v[6:7], v[85:86], -v[87:88]
	v_fma_f64 v[3:4], v[3:4], v[89:90], v[81:82]
	v_fma_f64 v[1:2], v[1:2], v[89:90], -v[83:84]
	v_add_f64_e32 v[73:74], v[73:74], v[75:76]
	v_add_f64_e32 v[10:11], v[10:11], v[77:78]
	s_delay_alu instid0(VALU_DEP_2) | instskip(NEXT) | instid1(VALU_DEP_2)
	v_add_f64_e32 v[6:7], v[73:74], v[6:7]
	v_add_f64_e32 v[8:9], v[10:11], v[8:9]
	s_delay_alu instid0(VALU_DEP_2) | instskip(NEXT) | instid1(VALU_DEP_2)
	;; [unrolled: 3-line block ×3, first 2 shown]
	v_add_f64_e64 v[1:2], v[113:114], -v[1:2]
	v_add_f64_e64 v[3:4], v[115:116], -v[3:4]
	scratch_store_b128 off, v[1:4], off offset:224
	v_cmpx_lt_u32_e32 12, v0
	s_cbranch_execz .LBB29_169
; %bb.168:
	scratch_load_b128 v[1:4], off, s37
	v_mov_b32_e32 v6, 0
	s_delay_alu instid0(VALU_DEP_1)
	v_dual_mov_b32 v7, v6 :: v_dual_mov_b32 v8, v6
	v_mov_b32_e32 v9, v6
	scratch_store_b128 off, v[6:9], off offset:208
	s_wait_loadcnt 0x0
	ds_store_b128 v5, v[1:4]
.LBB29_169:
	s_wait_alu 0xfffe
	s_or_b32 exec_lo, exec_lo, s0
	s_wait_storecnt_dscnt 0x0
	s_barrier_signal -1
	s_barrier_wait -1
	global_inv scope:SCOPE_SE
	s_clause 0x7
	scratch_load_b128 v[6:9], off, off offset:224
	scratch_load_b128 v[73:76], off, off offset:240
	;; [unrolled: 1-line block ×8, first 2 shown]
	v_mov_b32_e32 v1, 0
	s_mov_b32 s0, exec_lo
	ds_load_b128 v[101:104], v1 offset:688
	s_clause 0x1
	scratch_load_b128 v[105:108], off, off offset:352
	scratch_load_b128 v[109:112], off, off offset:208
	ds_load_b128 v[113:116], v1 offset:704
	ds_load_b128 v[121:124], v1 offset:736
	s_wait_loadcnt_dscnt 0x902
	v_mul_f64_e32 v[2:3], v[103:104], v[8:9]
	v_mul_f64_e32 v[117:118], v[101:102], v[8:9]
	scratch_load_b128 v[8:11], off, off offset:368
	v_fma_f64 v[2:3], v[101:102], v[6:7], -v[2:3]
	v_fma_f64 v[6:7], v[103:104], v[6:7], v[117:118]
	ds_load_b128 v[101:104], v1 offset:720
	s_wait_loadcnt_dscnt 0x902
	v_mul_f64_e32 v[125:126], v[113:114], v[75:76]
	v_mul_f64_e32 v[75:76], v[115:116], v[75:76]
	scratch_load_b128 v[117:120], off, off offset:384
	s_wait_loadcnt_dscnt 0x900
	v_mul_f64_e32 v[127:128], v[101:102], v[79:80]
	v_mul_f64_e32 v[79:80], v[103:104], v[79:80]
	v_add_f64_e32 v[2:3], 0, v[2:3]
	v_add_f64_e32 v[6:7], 0, v[6:7]
	v_fma_f64 v[115:116], v[115:116], v[73:74], v[125:126]
	v_fma_f64 v[113:114], v[113:114], v[73:74], -v[75:76]
	scratch_load_b128 v[73:76], off, off offset:400
	v_fma_f64 v[127:128], v[103:104], v[77:78], v[127:128]
	v_fma_f64 v[129:130], v[101:102], v[77:78], -v[79:80]
	ds_load_b128 v[77:80], v1 offset:752
	s_wait_loadcnt 0x9
	v_mul_f64_e32 v[125:126], v[121:122], v[83:84]
	v_mul_f64_e32 v[83:84], v[123:124], v[83:84]
	scratch_load_b128 v[101:104], off, off offset:416
	v_add_f64_e32 v[6:7], v[6:7], v[115:116]
	v_add_f64_e32 v[2:3], v[2:3], v[113:114]
	ds_load_b128 v[113:116], v1 offset:768
	s_wait_loadcnt_dscnt 0x901
	v_mul_f64_e32 v[131:132], v[77:78], v[87:88]
	v_mul_f64_e32 v[87:88], v[79:80], v[87:88]
	v_fma_f64 v[123:124], v[123:124], v[81:82], v[125:126]
	v_fma_f64 v[121:122], v[121:122], v[81:82], -v[83:84]
	scratch_load_b128 v[81:84], off, off offset:432
	v_add_f64_e32 v[6:7], v[6:7], v[127:128]
	v_add_f64_e32 v[2:3], v[2:3], v[129:130]
	v_fma_f64 v[127:128], v[79:80], v[85:86], v[131:132]
	v_fma_f64 v[129:130], v[77:78], v[85:86], -v[87:88]
	ds_load_b128 v[77:80], v1 offset:784
	s_wait_loadcnt_dscnt 0x901
	v_mul_f64_e32 v[125:126], v[113:114], v[91:92]
	v_mul_f64_e32 v[91:92], v[115:116], v[91:92]
	scratch_load_b128 v[85:88], off, off offset:448
	s_wait_loadcnt_dscnt 0x900
	v_mul_f64_e32 v[131:132], v[77:78], v[95:96]
	v_mul_f64_e32 v[95:96], v[79:80], v[95:96]
	v_add_f64_e32 v[6:7], v[6:7], v[123:124]
	v_add_f64_e32 v[2:3], v[2:3], v[121:122]
	ds_load_b128 v[121:124], v1 offset:800
	v_fma_f64 v[115:116], v[115:116], v[89:90], v[125:126]
	v_fma_f64 v[113:114], v[113:114], v[89:90], -v[91:92]
	scratch_load_b128 v[89:92], off, off offset:464
	v_add_f64_e32 v[6:7], v[6:7], v[127:128]
	v_add_f64_e32 v[2:3], v[2:3], v[129:130]
	v_fma_f64 v[127:128], v[79:80], v[93:94], v[131:132]
	v_fma_f64 v[129:130], v[77:78], v[93:94], -v[95:96]
	ds_load_b128 v[77:80], v1 offset:816
	s_wait_loadcnt_dscnt 0x901
	v_mul_f64_e32 v[125:126], v[121:122], v[99:100]
	v_mul_f64_e32 v[99:100], v[123:124], v[99:100]
	scratch_load_b128 v[93:96], off, off offset:480
	s_wait_loadcnt_dscnt 0x900
	v_mul_f64_e32 v[131:132], v[77:78], v[107:108]
	v_mul_f64_e32 v[107:108], v[79:80], v[107:108]
	v_add_f64_e32 v[6:7], v[6:7], v[115:116]
	v_add_f64_e32 v[2:3], v[2:3], v[113:114]
	ds_load_b128 v[113:116], v1 offset:832
	v_fma_f64 v[123:124], v[123:124], v[97:98], v[125:126]
	v_fma_f64 v[97:98], v[121:122], v[97:98], -v[99:100]
	v_fma_f64 v[125:126], v[79:80], v[105:106], v[131:132]
	v_fma_f64 v[105:106], v[77:78], v[105:106], -v[107:108]
	v_add_f64_e32 v[6:7], v[6:7], v[127:128]
	v_add_f64_e32 v[2:3], v[2:3], v[129:130]
	s_wait_loadcnt_dscnt 0x700
	v_mul_f64_e32 v[121:122], v[113:114], v[10:11]
	v_mul_f64_e32 v[10:11], v[115:116], v[10:11]
	s_delay_alu instid0(VALU_DEP_4) | instskip(NEXT) | instid1(VALU_DEP_4)
	v_add_f64_e32 v[6:7], v[6:7], v[123:124]
	v_add_f64_e32 v[2:3], v[2:3], v[97:98]
	ds_load_b128 v[77:80], v1 offset:848
	ds_load_b128 v[97:100], v1 offset:864
	v_fma_f64 v[115:116], v[115:116], v[8:9], v[121:122]
	v_fma_f64 v[8:9], v[113:114], v[8:9], -v[10:11]
	s_wait_loadcnt_dscnt 0x601
	v_mul_f64_e32 v[107:108], v[77:78], v[119:120]
	v_mul_f64_e32 v[119:120], v[79:80], v[119:120]
	v_add_f64_e32 v[6:7], v[6:7], v[125:126]
	v_add_f64_e32 v[2:3], v[2:3], v[105:106]
	s_wait_loadcnt_dscnt 0x500
	v_mul_f64_e32 v[10:11], v[97:98], v[75:76]
	v_mul_f64_e32 v[105:106], v[99:100], v[75:76]
	v_fma_f64 v[79:80], v[79:80], v[117:118], v[107:108]
	v_fma_f64 v[107:108], v[77:78], v[117:118], -v[119:120]
	v_add_f64_e32 v[113:114], v[6:7], v[115:116]
	v_add_f64_e32 v[2:3], v[2:3], v[8:9]
	ds_load_b128 v[6:9], v1 offset:880
	ds_load_b128 v[75:78], v1 offset:896
	v_fma_f64 v[10:11], v[99:100], v[73:74], v[10:11]
	v_fma_f64 v[73:74], v[97:98], v[73:74], -v[105:106]
	s_wait_loadcnt_dscnt 0x401
	v_mul_f64_e32 v[115:116], v[6:7], v[103:104]
	v_mul_f64_e32 v[103:104], v[8:9], v[103:104]
	v_add_f64_e32 v[79:80], v[113:114], v[79:80]
	v_add_f64_e32 v[2:3], v[2:3], v[107:108]
	s_wait_loadcnt_dscnt 0x300
	v_mul_f64_e32 v[105:106], v[75:76], v[83:84]
	v_mul_f64_e32 v[83:84], v[77:78], v[83:84]
	v_fma_f64 v[107:108], v[8:9], v[101:102], v[115:116]
	v_fma_f64 v[101:102], v[6:7], v[101:102], -v[103:104]
	ds_load_b128 v[6:9], v1 offset:912
	ds_load_b128 v[97:100], v1 offset:928
	v_add_f64_e32 v[10:11], v[79:80], v[10:11]
	v_add_f64_e32 v[2:3], v[2:3], v[73:74]
	v_fma_f64 v[77:78], v[77:78], v[81:82], v[105:106]
	v_fma_f64 v[75:76], v[75:76], v[81:82], -v[83:84]
	s_wait_loadcnt_dscnt 0x201
	v_mul_f64_e32 v[73:74], v[6:7], v[87:88]
	v_mul_f64_e32 v[79:80], v[8:9], v[87:88]
	s_wait_loadcnt_dscnt 0x100
	v_mul_f64_e32 v[81:82], v[97:98], v[91:92]
	v_mul_f64_e32 v[83:84], v[99:100], v[91:92]
	v_add_f64_e32 v[10:11], v[10:11], v[107:108]
	v_add_f64_e32 v[2:3], v[2:3], v[101:102]
	v_fma_f64 v[73:74], v[8:9], v[85:86], v[73:74]
	v_fma_f64 v[79:80], v[6:7], v[85:86], -v[79:80]
	ds_load_b128 v[6:9], v1 offset:944
	v_fma_f64 v[81:82], v[99:100], v[89:90], v[81:82]
	v_fma_f64 v[83:84], v[97:98], v[89:90], -v[83:84]
	v_add_f64_e32 v[10:11], v[10:11], v[77:78]
	v_add_f64_e32 v[2:3], v[2:3], v[75:76]
	s_wait_loadcnt_dscnt 0x0
	v_mul_f64_e32 v[75:76], v[6:7], v[95:96]
	v_mul_f64_e32 v[77:78], v[8:9], v[95:96]
	s_delay_alu instid0(VALU_DEP_4) | instskip(NEXT) | instid1(VALU_DEP_4)
	v_add_f64_e32 v[10:11], v[10:11], v[73:74]
	v_add_f64_e32 v[2:3], v[2:3], v[79:80]
	s_delay_alu instid0(VALU_DEP_4) | instskip(NEXT) | instid1(VALU_DEP_4)
	v_fma_f64 v[8:9], v[8:9], v[93:94], v[75:76]
	v_fma_f64 v[6:7], v[6:7], v[93:94], -v[77:78]
	s_delay_alu instid0(VALU_DEP_4) | instskip(NEXT) | instid1(VALU_DEP_4)
	v_add_f64_e32 v[10:11], v[10:11], v[81:82]
	v_add_f64_e32 v[2:3], v[2:3], v[83:84]
	s_delay_alu instid0(VALU_DEP_2) | instskip(NEXT) | instid1(VALU_DEP_2)
	v_add_f64_e32 v[8:9], v[10:11], v[8:9]
	v_add_f64_e32 v[2:3], v[2:3], v[6:7]
	s_delay_alu instid0(VALU_DEP_2) | instskip(NEXT) | instid1(VALU_DEP_2)
	v_add_f64_e64 v[8:9], v[111:112], -v[8:9]
	v_add_f64_e64 v[6:7], v[109:110], -v[2:3]
	scratch_store_b128 off, v[6:9], off offset:208
	v_cmpx_lt_u32_e32 11, v0
	s_cbranch_execz .LBB29_171
; %bb.170:
	scratch_load_b128 v[6:9], off, s23
	v_dual_mov_b32 v2, v1 :: v_dual_mov_b32 v3, v1
	v_mov_b32_e32 v4, v1
	scratch_store_b128 off, v[1:4], off offset:192
	s_wait_loadcnt 0x0
	ds_store_b128 v5, v[6:9]
.LBB29_171:
	s_wait_alu 0xfffe
	s_or_b32 exec_lo, exec_lo, s0
	s_wait_storecnt_dscnt 0x0
	s_barrier_signal -1
	s_barrier_wait -1
	global_inv scope:SCOPE_SE
	s_clause 0x8
	scratch_load_b128 v[6:9], off, off offset:208
	scratch_load_b128 v[73:76], off, off offset:224
	;; [unrolled: 1-line block ×9, first 2 shown]
	ds_load_b128 v[105:108], v1 offset:672
	ds_load_b128 v[109:112], v1 offset:688
	scratch_load_b128 v[113:116], off, off offset:192
	s_mov_b32 s0, exec_lo
	ds_load_b128 v[121:124], v1 offset:720
	s_wait_loadcnt_dscnt 0x902
	v_mul_f64_e32 v[2:3], v[107:108], v[8:9]
	v_mul_f64_e32 v[117:118], v[105:106], v[8:9]
	scratch_load_b128 v[8:11], off, off offset:352
	s_wait_loadcnt_dscnt 0x901
	v_mul_f64_e32 v[125:126], v[109:110], v[75:76]
	v_mul_f64_e32 v[75:76], v[111:112], v[75:76]
	v_fma_f64 v[2:3], v[105:106], v[6:7], -v[2:3]
	v_fma_f64 v[6:7], v[107:108], v[6:7], v[117:118]
	ds_load_b128 v[105:108], v1 offset:704
	scratch_load_b128 v[117:120], off, off offset:368
	v_fma_f64 v[111:112], v[111:112], v[73:74], v[125:126]
	v_fma_f64 v[109:110], v[109:110], v[73:74], -v[75:76]
	scratch_load_b128 v[73:76], off, off offset:384
	s_wait_loadcnt_dscnt 0x901
	v_mul_f64_e32 v[125:126], v[121:122], v[83:84]
	v_mul_f64_e32 v[83:84], v[123:124], v[83:84]
	s_wait_dscnt 0x0
	v_mul_f64_e32 v[127:128], v[105:106], v[79:80]
	v_mul_f64_e32 v[79:80], v[107:108], v[79:80]
	v_add_f64_e32 v[2:3], 0, v[2:3]
	v_add_f64_e32 v[6:7], 0, v[6:7]
	v_fma_f64 v[123:124], v[123:124], v[81:82], v[125:126]
	v_fma_f64 v[121:122], v[121:122], v[81:82], -v[83:84]
	scratch_load_b128 v[81:84], off, off offset:416
	v_fma_f64 v[127:128], v[107:108], v[77:78], v[127:128]
	v_fma_f64 v[129:130], v[105:106], v[77:78], -v[79:80]
	ds_load_b128 v[77:80], v1 offset:736
	scratch_load_b128 v[105:108], off, off offset:400
	v_add_f64_e32 v[2:3], v[2:3], v[109:110]
	v_add_f64_e32 v[6:7], v[6:7], v[111:112]
	ds_load_b128 v[109:112], v1 offset:752
	s_wait_loadcnt_dscnt 0xa01
	v_mul_f64_e32 v[131:132], v[77:78], v[87:88]
	v_mul_f64_e32 v[87:88], v[79:80], v[87:88]
	s_wait_loadcnt_dscnt 0x900
	v_mul_f64_e32 v[125:126], v[109:110], v[91:92]
	v_mul_f64_e32 v[91:92], v[111:112], v[91:92]
	v_add_f64_e32 v[2:3], v[2:3], v[129:130]
	v_add_f64_e32 v[6:7], v[6:7], v[127:128]
	v_fma_f64 v[127:128], v[79:80], v[85:86], v[131:132]
	v_fma_f64 v[129:130], v[77:78], v[85:86], -v[87:88]
	ds_load_b128 v[77:80], v1 offset:768
	scratch_load_b128 v[85:88], off, off offset:432
	v_fma_f64 v[111:112], v[111:112], v[89:90], v[125:126]
	v_fma_f64 v[109:110], v[109:110], v[89:90], -v[91:92]
	scratch_load_b128 v[89:92], off, off offset:448
	v_add_f64_e32 v[2:3], v[2:3], v[121:122]
	v_add_f64_e32 v[6:7], v[6:7], v[123:124]
	ds_load_b128 v[121:124], v1 offset:784
	s_wait_loadcnt_dscnt 0xa01
	v_mul_f64_e32 v[131:132], v[77:78], v[95:96]
	v_mul_f64_e32 v[95:96], v[79:80], v[95:96]
	s_wait_loadcnt_dscnt 0x900
	v_mul_f64_e32 v[125:126], v[121:122], v[99:100]
	v_mul_f64_e32 v[99:100], v[123:124], v[99:100]
	v_add_f64_e32 v[2:3], v[2:3], v[129:130]
	v_add_f64_e32 v[6:7], v[6:7], v[127:128]
	v_fma_f64 v[127:128], v[79:80], v[93:94], v[131:132]
	v_fma_f64 v[129:130], v[77:78], v[93:94], -v[95:96]
	ds_load_b128 v[77:80], v1 offset:800
	scratch_load_b128 v[93:96], off, off offset:464
	v_fma_f64 v[123:124], v[123:124], v[97:98], v[125:126]
	v_fma_f64 v[121:122], v[121:122], v[97:98], -v[99:100]
	scratch_load_b128 v[97:100], off, off offset:480
	v_add_f64_e32 v[2:3], v[2:3], v[109:110]
	v_add_f64_e32 v[6:7], v[6:7], v[111:112]
	ds_load_b128 v[109:112], v1 offset:816
	s_wait_loadcnt_dscnt 0xa01
	v_mul_f64_e32 v[131:132], v[77:78], v[103:104]
	v_mul_f64_e32 v[103:104], v[79:80], v[103:104]
	v_add_f64_e32 v[2:3], v[2:3], v[129:130]
	v_add_f64_e32 v[6:7], v[6:7], v[127:128]
	s_delay_alu instid0(VALU_DEP_4) | instskip(NEXT) | instid1(VALU_DEP_4)
	v_fma_f64 v[127:128], v[79:80], v[101:102], v[131:132]
	v_fma_f64 v[129:130], v[77:78], v[101:102], -v[103:104]
	ds_load_b128 v[77:80], v1 offset:832
	ds_load_b128 v[101:104], v1 offset:848
	s_wait_loadcnt_dscnt 0x802
	v_mul_f64_e32 v[125:126], v[109:110], v[10:11]
	v_mul_f64_e32 v[10:11], v[111:112], v[10:11]
	v_add_f64_e32 v[2:3], v[2:3], v[121:122]
	v_add_f64_e32 v[6:7], v[6:7], v[123:124]
	s_delay_alu instid0(VALU_DEP_4)
	v_fma_f64 v[111:112], v[111:112], v[8:9], v[125:126]
	s_wait_loadcnt_dscnt 0x701
	v_mul_f64_e32 v[121:122], v[77:78], v[119:120]
	v_mul_f64_e32 v[119:120], v[79:80], v[119:120]
	v_fma_f64 v[8:9], v[109:110], v[8:9], -v[10:11]
	s_wait_loadcnt_dscnt 0x600
	v_mul_f64_e32 v[10:11], v[101:102], v[75:76]
	v_mul_f64_e32 v[109:110], v[103:104], v[75:76]
	v_add_f64_e32 v[2:3], v[2:3], v[129:130]
	v_add_f64_e32 v[6:7], v[6:7], v[127:128]
	v_fma_f64 v[79:80], v[79:80], v[117:118], v[121:122]
	v_fma_f64 v[117:118], v[77:78], v[117:118], -v[119:120]
	v_fma_f64 v[10:11], v[103:104], v[73:74], v[10:11]
	v_fma_f64 v[73:74], v[101:102], v[73:74], -v[109:110]
	v_add_f64_e32 v[2:3], v[2:3], v[8:9]
	v_add_f64_e32 v[111:112], v[6:7], v[111:112]
	ds_load_b128 v[6:9], v1 offset:864
	ds_load_b128 v[75:78], v1 offset:880
	s_wait_loadcnt_dscnt 0x401
	v_mul_f64_e32 v[119:120], v[6:7], v[107:108]
	v_mul_f64_e32 v[107:108], v[8:9], v[107:108]
	s_wait_dscnt 0x0
	v_mul_f64_e32 v[109:110], v[75:76], v[83:84]
	v_mul_f64_e32 v[83:84], v[77:78], v[83:84]
	v_add_f64_e32 v[2:3], v[2:3], v[117:118]
	v_add_f64_e32 v[79:80], v[111:112], v[79:80]
	v_fma_f64 v[111:112], v[8:9], v[105:106], v[119:120]
	v_fma_f64 v[105:106], v[6:7], v[105:106], -v[107:108]
	ds_load_b128 v[6:9], v1 offset:896
	ds_load_b128 v[101:104], v1 offset:912
	v_fma_f64 v[77:78], v[77:78], v[81:82], v[109:110]
	v_fma_f64 v[75:76], v[75:76], v[81:82], -v[83:84]
	v_add_f64_e32 v[2:3], v[2:3], v[73:74]
	v_add_f64_e32 v[10:11], v[79:80], v[10:11]
	s_wait_loadcnt_dscnt 0x301
	v_mul_f64_e32 v[73:74], v[6:7], v[87:88]
	v_mul_f64_e32 v[79:80], v[8:9], v[87:88]
	s_wait_loadcnt_dscnt 0x200
	v_mul_f64_e32 v[81:82], v[101:102], v[91:92]
	v_mul_f64_e32 v[83:84], v[103:104], v[91:92]
	v_add_f64_e32 v[2:3], v[2:3], v[105:106]
	v_add_f64_e32 v[10:11], v[10:11], v[111:112]
	v_fma_f64 v[73:74], v[8:9], v[85:86], v[73:74]
	v_fma_f64 v[79:80], v[6:7], v[85:86], -v[79:80]
	v_fma_f64 v[81:82], v[103:104], v[89:90], v[81:82]
	v_fma_f64 v[83:84], v[101:102], v[89:90], -v[83:84]
	v_add_f64_e32 v[75:76], v[2:3], v[75:76]
	v_add_f64_e32 v[10:11], v[10:11], v[77:78]
	ds_load_b128 v[6:9], v1 offset:928
	ds_load_b128 v[1:4], v1 offset:944
	s_wait_loadcnt_dscnt 0x101
	v_mul_f64_e32 v[77:78], v[6:7], v[95:96]
	v_mul_f64_e32 v[85:86], v[8:9], v[95:96]
	v_add_f64_e32 v[75:76], v[75:76], v[79:80]
	v_add_f64_e32 v[10:11], v[10:11], v[73:74]
	s_wait_loadcnt_dscnt 0x0
	v_mul_f64_e32 v[73:74], v[1:2], v[99:100]
	v_mul_f64_e32 v[79:80], v[3:4], v[99:100]
	v_fma_f64 v[8:9], v[8:9], v[93:94], v[77:78]
	v_fma_f64 v[6:7], v[6:7], v[93:94], -v[85:86]
	v_add_f64_e32 v[75:76], v[75:76], v[83:84]
	v_add_f64_e32 v[10:11], v[10:11], v[81:82]
	v_fma_f64 v[3:4], v[3:4], v[97:98], v[73:74]
	v_fma_f64 v[1:2], v[1:2], v[97:98], -v[79:80]
	s_delay_alu instid0(VALU_DEP_4) | instskip(NEXT) | instid1(VALU_DEP_4)
	v_add_f64_e32 v[6:7], v[75:76], v[6:7]
	v_add_f64_e32 v[8:9], v[10:11], v[8:9]
	s_delay_alu instid0(VALU_DEP_2) | instskip(NEXT) | instid1(VALU_DEP_2)
	v_add_f64_e32 v[1:2], v[6:7], v[1:2]
	v_add_f64_e32 v[3:4], v[8:9], v[3:4]
	s_delay_alu instid0(VALU_DEP_2) | instskip(NEXT) | instid1(VALU_DEP_2)
	v_add_f64_e64 v[1:2], v[113:114], -v[1:2]
	v_add_f64_e64 v[3:4], v[115:116], -v[3:4]
	scratch_store_b128 off, v[1:4], off offset:192
	v_cmpx_lt_u32_e32 10, v0
	s_cbranch_execz .LBB29_173
; %bb.172:
	scratch_load_b128 v[1:4], off, s24
	v_mov_b32_e32 v6, 0
	s_delay_alu instid0(VALU_DEP_1)
	v_dual_mov_b32 v7, v6 :: v_dual_mov_b32 v8, v6
	v_mov_b32_e32 v9, v6
	scratch_store_b128 off, v[6:9], off offset:176
	s_wait_loadcnt 0x0
	ds_store_b128 v5, v[1:4]
.LBB29_173:
	s_wait_alu 0xfffe
	s_or_b32 exec_lo, exec_lo, s0
	s_wait_storecnt_dscnt 0x0
	s_barrier_signal -1
	s_barrier_wait -1
	global_inv scope:SCOPE_SE
	s_clause 0x7
	scratch_load_b128 v[6:9], off, off offset:192
	scratch_load_b128 v[73:76], off, off offset:208
	;; [unrolled: 1-line block ×8, first 2 shown]
	v_mov_b32_e32 v1, 0
	s_mov_b32 s0, exec_lo
	ds_load_b128 v[101:104], v1 offset:656
	s_clause 0x1
	scratch_load_b128 v[105:108], off, off offset:320
	scratch_load_b128 v[109:112], off, off offset:176
	ds_load_b128 v[113:116], v1 offset:672
	ds_load_b128 v[121:124], v1 offset:704
	s_wait_loadcnt_dscnt 0x902
	v_mul_f64_e32 v[2:3], v[103:104], v[8:9]
	v_mul_f64_e32 v[117:118], v[101:102], v[8:9]
	scratch_load_b128 v[8:11], off, off offset:336
	v_fma_f64 v[2:3], v[101:102], v[6:7], -v[2:3]
	v_fma_f64 v[6:7], v[103:104], v[6:7], v[117:118]
	ds_load_b128 v[101:104], v1 offset:688
	s_wait_loadcnt_dscnt 0x902
	v_mul_f64_e32 v[125:126], v[113:114], v[75:76]
	v_mul_f64_e32 v[75:76], v[115:116], v[75:76]
	scratch_load_b128 v[117:120], off, off offset:352
	s_wait_loadcnt_dscnt 0x900
	v_mul_f64_e32 v[127:128], v[101:102], v[79:80]
	v_mul_f64_e32 v[79:80], v[103:104], v[79:80]
	v_add_f64_e32 v[2:3], 0, v[2:3]
	v_add_f64_e32 v[6:7], 0, v[6:7]
	v_fma_f64 v[115:116], v[115:116], v[73:74], v[125:126]
	v_fma_f64 v[113:114], v[113:114], v[73:74], -v[75:76]
	scratch_load_b128 v[73:76], off, off offset:368
	v_fma_f64 v[127:128], v[103:104], v[77:78], v[127:128]
	v_fma_f64 v[129:130], v[101:102], v[77:78], -v[79:80]
	ds_load_b128 v[77:80], v1 offset:720
	s_wait_loadcnt 0x9
	v_mul_f64_e32 v[125:126], v[121:122], v[83:84]
	v_mul_f64_e32 v[83:84], v[123:124], v[83:84]
	scratch_load_b128 v[101:104], off, off offset:384
	v_add_f64_e32 v[6:7], v[6:7], v[115:116]
	v_add_f64_e32 v[2:3], v[2:3], v[113:114]
	ds_load_b128 v[113:116], v1 offset:736
	s_wait_loadcnt_dscnt 0x901
	v_mul_f64_e32 v[131:132], v[77:78], v[87:88]
	v_mul_f64_e32 v[87:88], v[79:80], v[87:88]
	v_fma_f64 v[123:124], v[123:124], v[81:82], v[125:126]
	v_fma_f64 v[121:122], v[121:122], v[81:82], -v[83:84]
	scratch_load_b128 v[81:84], off, off offset:400
	v_add_f64_e32 v[6:7], v[6:7], v[127:128]
	v_add_f64_e32 v[2:3], v[2:3], v[129:130]
	v_fma_f64 v[127:128], v[79:80], v[85:86], v[131:132]
	v_fma_f64 v[129:130], v[77:78], v[85:86], -v[87:88]
	ds_load_b128 v[77:80], v1 offset:752
	s_wait_loadcnt_dscnt 0x901
	v_mul_f64_e32 v[125:126], v[113:114], v[91:92]
	v_mul_f64_e32 v[91:92], v[115:116], v[91:92]
	scratch_load_b128 v[85:88], off, off offset:416
	s_wait_loadcnt_dscnt 0x900
	v_mul_f64_e32 v[131:132], v[77:78], v[95:96]
	v_mul_f64_e32 v[95:96], v[79:80], v[95:96]
	v_add_f64_e32 v[6:7], v[6:7], v[123:124]
	v_add_f64_e32 v[2:3], v[2:3], v[121:122]
	ds_load_b128 v[121:124], v1 offset:768
	v_fma_f64 v[115:116], v[115:116], v[89:90], v[125:126]
	v_fma_f64 v[113:114], v[113:114], v[89:90], -v[91:92]
	scratch_load_b128 v[89:92], off, off offset:432
	v_add_f64_e32 v[6:7], v[6:7], v[127:128]
	v_add_f64_e32 v[2:3], v[2:3], v[129:130]
	v_fma_f64 v[127:128], v[79:80], v[93:94], v[131:132]
	v_fma_f64 v[129:130], v[77:78], v[93:94], -v[95:96]
	ds_load_b128 v[77:80], v1 offset:784
	s_wait_loadcnt_dscnt 0x901
	v_mul_f64_e32 v[125:126], v[121:122], v[99:100]
	v_mul_f64_e32 v[99:100], v[123:124], v[99:100]
	scratch_load_b128 v[93:96], off, off offset:448
	s_wait_loadcnt_dscnt 0x900
	v_mul_f64_e32 v[131:132], v[77:78], v[107:108]
	v_mul_f64_e32 v[107:108], v[79:80], v[107:108]
	v_add_f64_e32 v[6:7], v[6:7], v[115:116]
	v_add_f64_e32 v[2:3], v[2:3], v[113:114]
	ds_load_b128 v[113:116], v1 offset:800
	v_fma_f64 v[123:124], v[123:124], v[97:98], v[125:126]
	v_fma_f64 v[121:122], v[121:122], v[97:98], -v[99:100]
	scratch_load_b128 v[97:100], off, off offset:464
	v_add_f64_e32 v[6:7], v[6:7], v[127:128]
	v_add_f64_e32 v[2:3], v[2:3], v[129:130]
	v_fma_f64 v[127:128], v[79:80], v[105:106], v[131:132]
	v_fma_f64 v[129:130], v[77:78], v[105:106], -v[107:108]
	ds_load_b128 v[77:80], v1 offset:816
	scratch_load_b128 v[105:108], off, off offset:480
	s_wait_loadcnt_dscnt 0x901
	v_mul_f64_e32 v[125:126], v[113:114], v[10:11]
	v_mul_f64_e32 v[10:11], v[115:116], v[10:11]
	v_add_f64_e32 v[6:7], v[6:7], v[123:124]
	v_add_f64_e32 v[2:3], v[2:3], v[121:122]
	ds_load_b128 v[121:124], v1 offset:832
	v_fma_f64 v[115:116], v[115:116], v[8:9], v[125:126]
	v_fma_f64 v[8:9], v[113:114], v[8:9], -v[10:11]
	s_wait_loadcnt_dscnt 0x801
	v_mul_f64_e32 v[131:132], v[77:78], v[119:120]
	v_mul_f64_e32 v[119:120], v[79:80], v[119:120]
	v_add_f64_e32 v[6:7], v[6:7], v[127:128]
	v_add_f64_e32 v[2:3], v[2:3], v[129:130]
	s_wait_loadcnt_dscnt 0x700
	v_mul_f64_e32 v[10:11], v[121:122], v[75:76]
	v_mul_f64_e32 v[113:114], v[123:124], v[75:76]
	v_fma_f64 v[79:80], v[79:80], v[117:118], v[131:132]
	v_fma_f64 v[117:118], v[77:78], v[117:118], -v[119:120]
	v_add_f64_e32 v[115:116], v[6:7], v[115:116]
	v_add_f64_e32 v[2:3], v[2:3], v[8:9]
	ds_load_b128 v[6:9], v1 offset:848
	ds_load_b128 v[75:78], v1 offset:864
	v_fma_f64 v[10:11], v[123:124], v[73:74], v[10:11]
	v_fma_f64 v[73:74], v[121:122], v[73:74], -v[113:114]
	s_wait_loadcnt_dscnt 0x601
	v_mul_f64_e32 v[119:120], v[6:7], v[103:104]
	v_mul_f64_e32 v[103:104], v[8:9], v[103:104]
	v_add_f64_e32 v[79:80], v[115:116], v[79:80]
	v_add_f64_e32 v[2:3], v[2:3], v[117:118]
	s_wait_loadcnt_dscnt 0x500
	v_mul_f64_e32 v[113:114], v[75:76], v[83:84]
	v_mul_f64_e32 v[83:84], v[77:78], v[83:84]
	v_fma_f64 v[115:116], v[8:9], v[101:102], v[119:120]
	v_fma_f64 v[117:118], v[6:7], v[101:102], -v[103:104]
	ds_load_b128 v[6:9], v1 offset:880
	ds_load_b128 v[101:104], v1 offset:896
	v_add_f64_e32 v[10:11], v[79:80], v[10:11]
	v_add_f64_e32 v[2:3], v[2:3], v[73:74]
	v_fma_f64 v[77:78], v[77:78], v[81:82], v[113:114]
	v_fma_f64 v[75:76], v[75:76], v[81:82], -v[83:84]
	s_wait_loadcnt_dscnt 0x401
	v_mul_f64_e32 v[73:74], v[6:7], v[87:88]
	v_mul_f64_e32 v[79:80], v[8:9], v[87:88]
	s_wait_loadcnt_dscnt 0x300
	v_mul_f64_e32 v[81:82], v[101:102], v[91:92]
	v_mul_f64_e32 v[83:84], v[103:104], v[91:92]
	v_add_f64_e32 v[10:11], v[10:11], v[115:116]
	v_add_f64_e32 v[2:3], v[2:3], v[117:118]
	v_fma_f64 v[87:88], v[8:9], v[85:86], v[73:74]
	v_fma_f64 v[79:80], v[6:7], v[85:86], -v[79:80]
	v_fma_f64 v[81:82], v[103:104], v[89:90], v[81:82]
	v_fma_f64 v[83:84], v[101:102], v[89:90], -v[83:84]
	v_add_f64_e32 v[10:11], v[10:11], v[77:78]
	v_add_f64_e32 v[2:3], v[2:3], v[75:76]
	ds_load_b128 v[6:9], v1 offset:912
	ds_load_b128 v[73:76], v1 offset:928
	s_wait_loadcnt_dscnt 0x201
	v_mul_f64_e32 v[77:78], v[6:7], v[95:96]
	v_mul_f64_e32 v[85:86], v[8:9], v[95:96]
	v_add_f64_e32 v[10:11], v[10:11], v[87:88]
	v_add_f64_e32 v[2:3], v[2:3], v[79:80]
	s_wait_loadcnt_dscnt 0x100
	v_mul_f64_e32 v[79:80], v[73:74], v[99:100]
	v_mul_f64_e32 v[87:88], v[75:76], v[99:100]
	v_fma_f64 v[77:78], v[8:9], v[93:94], v[77:78]
	v_fma_f64 v[85:86], v[6:7], v[93:94], -v[85:86]
	ds_load_b128 v[6:9], v1 offset:944
	v_add_f64_e32 v[10:11], v[10:11], v[81:82]
	v_add_f64_e32 v[2:3], v[2:3], v[83:84]
	v_fma_f64 v[75:76], v[75:76], v[97:98], v[79:80]
	v_fma_f64 v[73:74], v[73:74], v[97:98], -v[87:88]
	s_wait_loadcnt_dscnt 0x0
	v_mul_f64_e32 v[81:82], v[6:7], v[107:108]
	v_mul_f64_e32 v[83:84], v[8:9], v[107:108]
	v_add_f64_e32 v[10:11], v[10:11], v[77:78]
	v_add_f64_e32 v[2:3], v[2:3], v[85:86]
	s_delay_alu instid0(VALU_DEP_4) | instskip(NEXT) | instid1(VALU_DEP_4)
	v_fma_f64 v[8:9], v[8:9], v[105:106], v[81:82]
	v_fma_f64 v[6:7], v[6:7], v[105:106], -v[83:84]
	s_delay_alu instid0(VALU_DEP_4) | instskip(NEXT) | instid1(VALU_DEP_4)
	v_add_f64_e32 v[10:11], v[10:11], v[75:76]
	v_add_f64_e32 v[2:3], v[2:3], v[73:74]
	s_delay_alu instid0(VALU_DEP_2) | instskip(NEXT) | instid1(VALU_DEP_2)
	v_add_f64_e32 v[8:9], v[10:11], v[8:9]
	v_add_f64_e32 v[2:3], v[2:3], v[6:7]
	s_delay_alu instid0(VALU_DEP_2) | instskip(NEXT) | instid1(VALU_DEP_2)
	v_add_f64_e64 v[8:9], v[111:112], -v[8:9]
	v_add_f64_e64 v[6:7], v[109:110], -v[2:3]
	scratch_store_b128 off, v[6:9], off offset:176
	v_cmpx_lt_u32_e32 9, v0
	s_cbranch_execz .LBB29_175
; %bb.174:
	scratch_load_b128 v[6:9], off, s25
	v_dual_mov_b32 v2, v1 :: v_dual_mov_b32 v3, v1
	v_mov_b32_e32 v4, v1
	scratch_store_b128 off, v[1:4], off offset:160
	s_wait_loadcnt 0x0
	ds_store_b128 v5, v[6:9]
.LBB29_175:
	s_wait_alu 0xfffe
	s_or_b32 exec_lo, exec_lo, s0
	s_wait_storecnt_dscnt 0x0
	s_barrier_signal -1
	s_barrier_wait -1
	global_inv scope:SCOPE_SE
	s_clause 0x8
	scratch_load_b128 v[6:9], off, off offset:176
	scratch_load_b128 v[73:76], off, off offset:192
	;; [unrolled: 1-line block ×9, first 2 shown]
	ds_load_b128 v[105:108], v1 offset:640
	ds_load_b128 v[109:112], v1 offset:656
	scratch_load_b128 v[113:116], off, off offset:160
	s_mov_b32 s0, exec_lo
	ds_load_b128 v[121:124], v1 offset:688
	s_wait_loadcnt_dscnt 0x902
	v_mul_f64_e32 v[2:3], v[107:108], v[8:9]
	v_mul_f64_e32 v[117:118], v[105:106], v[8:9]
	scratch_load_b128 v[8:11], off, off offset:320
	s_wait_loadcnt_dscnt 0x901
	v_mul_f64_e32 v[125:126], v[109:110], v[75:76]
	v_mul_f64_e32 v[75:76], v[111:112], v[75:76]
	v_fma_f64 v[2:3], v[105:106], v[6:7], -v[2:3]
	v_fma_f64 v[6:7], v[107:108], v[6:7], v[117:118]
	ds_load_b128 v[105:108], v1 offset:672
	scratch_load_b128 v[117:120], off, off offset:336
	v_fma_f64 v[111:112], v[111:112], v[73:74], v[125:126]
	v_fma_f64 v[109:110], v[109:110], v[73:74], -v[75:76]
	scratch_load_b128 v[73:76], off, off offset:352
	s_wait_loadcnt_dscnt 0x901
	v_mul_f64_e32 v[125:126], v[121:122], v[83:84]
	v_mul_f64_e32 v[83:84], v[123:124], v[83:84]
	s_wait_dscnt 0x0
	v_mul_f64_e32 v[127:128], v[105:106], v[79:80]
	v_mul_f64_e32 v[79:80], v[107:108], v[79:80]
	v_add_f64_e32 v[2:3], 0, v[2:3]
	v_add_f64_e32 v[6:7], 0, v[6:7]
	v_fma_f64 v[123:124], v[123:124], v[81:82], v[125:126]
	v_fma_f64 v[121:122], v[121:122], v[81:82], -v[83:84]
	scratch_load_b128 v[81:84], off, off offset:384
	v_fma_f64 v[127:128], v[107:108], v[77:78], v[127:128]
	v_fma_f64 v[129:130], v[105:106], v[77:78], -v[79:80]
	ds_load_b128 v[77:80], v1 offset:704
	scratch_load_b128 v[105:108], off, off offset:368
	v_add_f64_e32 v[2:3], v[2:3], v[109:110]
	v_add_f64_e32 v[6:7], v[6:7], v[111:112]
	ds_load_b128 v[109:112], v1 offset:720
	s_wait_loadcnt_dscnt 0xa01
	v_mul_f64_e32 v[131:132], v[77:78], v[87:88]
	v_mul_f64_e32 v[87:88], v[79:80], v[87:88]
	s_wait_loadcnt_dscnt 0x900
	v_mul_f64_e32 v[125:126], v[109:110], v[91:92]
	v_mul_f64_e32 v[91:92], v[111:112], v[91:92]
	v_add_f64_e32 v[2:3], v[2:3], v[129:130]
	v_add_f64_e32 v[6:7], v[6:7], v[127:128]
	v_fma_f64 v[127:128], v[79:80], v[85:86], v[131:132]
	v_fma_f64 v[129:130], v[77:78], v[85:86], -v[87:88]
	ds_load_b128 v[77:80], v1 offset:736
	scratch_load_b128 v[85:88], off, off offset:400
	v_fma_f64 v[111:112], v[111:112], v[89:90], v[125:126]
	v_fma_f64 v[109:110], v[109:110], v[89:90], -v[91:92]
	scratch_load_b128 v[89:92], off, off offset:416
	v_add_f64_e32 v[2:3], v[2:3], v[121:122]
	v_add_f64_e32 v[6:7], v[6:7], v[123:124]
	ds_load_b128 v[121:124], v1 offset:752
	s_wait_loadcnt_dscnt 0xa01
	v_mul_f64_e32 v[131:132], v[77:78], v[95:96]
	v_mul_f64_e32 v[95:96], v[79:80], v[95:96]
	s_wait_loadcnt_dscnt 0x900
	v_mul_f64_e32 v[125:126], v[121:122], v[99:100]
	v_mul_f64_e32 v[99:100], v[123:124], v[99:100]
	v_add_f64_e32 v[2:3], v[2:3], v[129:130]
	v_add_f64_e32 v[6:7], v[6:7], v[127:128]
	v_fma_f64 v[127:128], v[79:80], v[93:94], v[131:132]
	v_fma_f64 v[129:130], v[77:78], v[93:94], -v[95:96]
	ds_load_b128 v[77:80], v1 offset:768
	scratch_load_b128 v[93:96], off, off offset:432
	v_fma_f64 v[123:124], v[123:124], v[97:98], v[125:126]
	v_fma_f64 v[121:122], v[121:122], v[97:98], -v[99:100]
	scratch_load_b128 v[97:100], off, off offset:448
	v_add_f64_e32 v[2:3], v[2:3], v[109:110]
	v_add_f64_e32 v[6:7], v[6:7], v[111:112]
	ds_load_b128 v[109:112], v1 offset:784
	s_wait_loadcnt_dscnt 0xa01
	v_mul_f64_e32 v[131:132], v[77:78], v[103:104]
	v_mul_f64_e32 v[103:104], v[79:80], v[103:104]
	v_add_f64_e32 v[2:3], v[2:3], v[129:130]
	v_add_f64_e32 v[6:7], v[6:7], v[127:128]
	s_delay_alu instid0(VALU_DEP_4) | instskip(NEXT) | instid1(VALU_DEP_4)
	v_fma_f64 v[127:128], v[79:80], v[101:102], v[131:132]
	v_fma_f64 v[129:130], v[77:78], v[101:102], -v[103:104]
	ds_load_b128 v[77:80], v1 offset:800
	scratch_load_b128 v[101:104], off, off offset:464
	s_wait_loadcnt_dscnt 0x901
	v_mul_f64_e32 v[125:126], v[109:110], v[10:11]
	v_mul_f64_e32 v[10:11], v[111:112], v[10:11]
	v_add_f64_e32 v[2:3], v[2:3], v[121:122]
	v_add_f64_e32 v[6:7], v[6:7], v[123:124]
	ds_load_b128 v[121:124], v1 offset:816
	v_fma_f64 v[111:112], v[111:112], v[8:9], v[125:126]
	s_wait_loadcnt_dscnt 0x801
	v_mul_f64_e32 v[131:132], v[77:78], v[119:120]
	v_mul_f64_e32 v[119:120], v[79:80], v[119:120]
	v_fma_f64 v[10:11], v[109:110], v[8:9], -v[10:11]
	s_wait_loadcnt_dscnt 0x700
	v_mul_f64_e32 v[125:126], v[121:122], v[75:76]
	v_add_f64_e32 v[2:3], v[2:3], v[129:130]
	v_add_f64_e32 v[109:110], v[6:7], v[127:128]
	scratch_load_b128 v[6:9], off, off offset:480
	v_mul_f64_e32 v[127:128], v[123:124], v[75:76]
	v_fma_f64 v[79:80], v[79:80], v[117:118], v[131:132]
	v_fma_f64 v[117:118], v[77:78], v[117:118], -v[119:120]
	v_fma_f64 v[123:124], v[123:124], v[73:74], v[125:126]
	v_add_f64_e32 v[2:3], v[2:3], v[10:11]
	v_add_f64_e32 v[10:11], v[109:110], v[111:112]
	ds_load_b128 v[75:78], v1 offset:832
	ds_load_b128 v[109:112], v1 offset:848
	v_fma_f64 v[73:74], v[121:122], v[73:74], -v[127:128]
	s_wait_loadcnt_dscnt 0x601
	v_mul_f64_e32 v[119:120], v[75:76], v[107:108]
	v_mul_f64_e32 v[107:108], v[77:78], v[107:108]
	v_add_f64_e32 v[2:3], v[2:3], v[117:118]
	v_add_f64_e32 v[10:11], v[10:11], v[79:80]
	s_wait_dscnt 0x0
	v_mul_f64_e32 v[117:118], v[109:110], v[83:84]
	v_mul_f64_e32 v[83:84], v[111:112], v[83:84]
	v_fma_f64 v[119:120], v[77:78], v[105:106], v[119:120]
	v_fma_f64 v[105:106], v[75:76], v[105:106], -v[107:108]
	v_add_f64_e32 v[2:3], v[2:3], v[73:74]
	v_add_f64_e32 v[10:11], v[10:11], v[123:124]
	ds_load_b128 v[73:76], v1 offset:864
	ds_load_b128 v[77:80], v1 offset:880
	v_fma_f64 v[111:112], v[111:112], v[81:82], v[117:118]
	v_fma_f64 v[81:82], v[109:110], v[81:82], -v[83:84]
	s_wait_loadcnt_dscnt 0x501
	v_mul_f64_e32 v[107:108], v[73:74], v[87:88]
	v_mul_f64_e32 v[87:88], v[75:76], v[87:88]
	v_add_f64_e32 v[2:3], v[2:3], v[105:106]
	v_add_f64_e32 v[10:11], v[10:11], v[119:120]
	s_wait_loadcnt_dscnt 0x400
	v_mul_f64_e32 v[105:106], v[77:78], v[91:92]
	v_mul_f64_e32 v[91:92], v[79:80], v[91:92]
	v_fma_f64 v[107:108], v[75:76], v[85:86], v[107:108]
	v_fma_f64 v[85:86], v[73:74], v[85:86], -v[87:88]
	v_add_f64_e32 v[2:3], v[2:3], v[81:82]
	v_add_f64_e32 v[10:11], v[10:11], v[111:112]
	ds_load_b128 v[73:76], v1 offset:896
	ds_load_b128 v[81:84], v1 offset:912
	v_fma_f64 v[79:80], v[79:80], v[89:90], v[105:106]
	v_fma_f64 v[77:78], v[77:78], v[89:90], -v[91:92]
	s_wait_loadcnt_dscnt 0x301
	v_mul_f64_e32 v[87:88], v[73:74], v[95:96]
	v_mul_f64_e32 v[95:96], v[75:76], v[95:96]
	s_wait_loadcnt_dscnt 0x200
	v_mul_f64_e32 v[89:90], v[83:84], v[99:100]
	v_add_f64_e32 v[2:3], v[2:3], v[85:86]
	v_add_f64_e32 v[10:11], v[10:11], v[107:108]
	v_mul_f64_e32 v[85:86], v[81:82], v[99:100]
	v_fma_f64 v[87:88], v[75:76], v[93:94], v[87:88]
	v_fma_f64 v[91:92], v[73:74], v[93:94], -v[95:96]
	v_fma_f64 v[81:82], v[81:82], v[97:98], -v[89:90]
	v_add_f64_e32 v[77:78], v[2:3], v[77:78]
	v_add_f64_e32 v[10:11], v[10:11], v[79:80]
	ds_load_b128 v[73:76], v1 offset:928
	ds_load_b128 v[1:4], v1 offset:944
	v_fma_f64 v[83:84], v[83:84], v[97:98], v[85:86]
	s_wait_loadcnt_dscnt 0x101
	v_mul_f64_e32 v[79:80], v[73:74], v[103:104]
	v_mul_f64_e32 v[93:94], v[75:76], v[103:104]
	v_add_f64_e32 v[77:78], v[77:78], v[91:92]
	v_add_f64_e32 v[10:11], v[10:11], v[87:88]
	s_wait_loadcnt_dscnt 0x0
	v_mul_f64_e32 v[85:86], v[1:2], v[8:9]
	v_mul_f64_e32 v[8:9], v[3:4], v[8:9]
	v_fma_f64 v[75:76], v[75:76], v[101:102], v[79:80]
	v_fma_f64 v[73:74], v[73:74], v[101:102], -v[93:94]
	v_add_f64_e32 v[77:78], v[77:78], v[81:82]
	v_add_f64_e32 v[10:11], v[10:11], v[83:84]
	v_fma_f64 v[3:4], v[3:4], v[6:7], v[85:86]
	v_fma_f64 v[1:2], v[1:2], v[6:7], -v[8:9]
	s_delay_alu instid0(VALU_DEP_4) | instskip(NEXT) | instid1(VALU_DEP_4)
	v_add_f64_e32 v[6:7], v[77:78], v[73:74]
	v_add_f64_e32 v[8:9], v[10:11], v[75:76]
	s_delay_alu instid0(VALU_DEP_2) | instskip(NEXT) | instid1(VALU_DEP_2)
	v_add_f64_e32 v[1:2], v[6:7], v[1:2]
	v_add_f64_e32 v[3:4], v[8:9], v[3:4]
	s_delay_alu instid0(VALU_DEP_2) | instskip(NEXT) | instid1(VALU_DEP_2)
	v_add_f64_e64 v[1:2], v[113:114], -v[1:2]
	v_add_f64_e64 v[3:4], v[115:116], -v[3:4]
	scratch_store_b128 off, v[1:4], off offset:160
	v_cmpx_lt_u32_e32 8, v0
	s_cbranch_execz .LBB29_177
; %bb.176:
	scratch_load_b128 v[1:4], off, s26
	v_mov_b32_e32 v6, 0
	s_delay_alu instid0(VALU_DEP_1)
	v_dual_mov_b32 v7, v6 :: v_dual_mov_b32 v8, v6
	v_mov_b32_e32 v9, v6
	scratch_store_b128 off, v[6:9], off offset:144
	s_wait_loadcnt 0x0
	ds_store_b128 v5, v[1:4]
.LBB29_177:
	s_wait_alu 0xfffe
	s_or_b32 exec_lo, exec_lo, s0
	s_wait_storecnt_dscnt 0x0
	s_barrier_signal -1
	s_barrier_wait -1
	global_inv scope:SCOPE_SE
	s_clause 0x7
	scratch_load_b128 v[6:9], off, off offset:160
	scratch_load_b128 v[73:76], off, off offset:176
	scratch_load_b128 v[77:80], off, off offset:192
	scratch_load_b128 v[81:84], off, off offset:208
	scratch_load_b128 v[85:88], off, off offset:224
	scratch_load_b128 v[89:92], off, off offset:240
	scratch_load_b128 v[93:96], off, off offset:256
	scratch_load_b128 v[97:100], off, off offset:272
	v_mov_b32_e32 v1, 0
	s_mov_b32 s0, exec_lo
	ds_load_b128 v[101:104], v1 offset:624
	s_clause 0x1
	scratch_load_b128 v[105:108], off, off offset:288
	scratch_load_b128 v[109:112], off, off offset:144
	ds_load_b128 v[113:116], v1 offset:640
	ds_load_b128 v[121:124], v1 offset:672
	s_wait_loadcnt_dscnt 0x902
	v_mul_f64_e32 v[2:3], v[103:104], v[8:9]
	v_mul_f64_e32 v[117:118], v[101:102], v[8:9]
	scratch_load_b128 v[8:11], off, off offset:304
	v_fma_f64 v[2:3], v[101:102], v[6:7], -v[2:3]
	v_fma_f64 v[6:7], v[103:104], v[6:7], v[117:118]
	ds_load_b128 v[101:104], v1 offset:656
	s_wait_loadcnt_dscnt 0x902
	v_mul_f64_e32 v[125:126], v[113:114], v[75:76]
	v_mul_f64_e32 v[75:76], v[115:116], v[75:76]
	scratch_load_b128 v[117:120], off, off offset:320
	s_wait_loadcnt_dscnt 0x900
	v_mul_f64_e32 v[127:128], v[101:102], v[79:80]
	v_mul_f64_e32 v[79:80], v[103:104], v[79:80]
	v_add_f64_e32 v[2:3], 0, v[2:3]
	v_add_f64_e32 v[6:7], 0, v[6:7]
	v_fma_f64 v[115:116], v[115:116], v[73:74], v[125:126]
	v_fma_f64 v[113:114], v[113:114], v[73:74], -v[75:76]
	scratch_load_b128 v[73:76], off, off offset:336
	v_fma_f64 v[127:128], v[103:104], v[77:78], v[127:128]
	v_fma_f64 v[129:130], v[101:102], v[77:78], -v[79:80]
	ds_load_b128 v[77:80], v1 offset:688
	s_wait_loadcnt 0x9
	v_mul_f64_e32 v[125:126], v[121:122], v[83:84]
	v_mul_f64_e32 v[83:84], v[123:124], v[83:84]
	scratch_load_b128 v[101:104], off, off offset:352
	v_add_f64_e32 v[6:7], v[6:7], v[115:116]
	v_add_f64_e32 v[2:3], v[2:3], v[113:114]
	ds_load_b128 v[113:116], v1 offset:704
	s_wait_loadcnt_dscnt 0x901
	v_mul_f64_e32 v[131:132], v[77:78], v[87:88]
	v_mul_f64_e32 v[87:88], v[79:80], v[87:88]
	v_fma_f64 v[123:124], v[123:124], v[81:82], v[125:126]
	v_fma_f64 v[121:122], v[121:122], v[81:82], -v[83:84]
	scratch_load_b128 v[81:84], off, off offset:368
	v_add_f64_e32 v[6:7], v[6:7], v[127:128]
	v_add_f64_e32 v[2:3], v[2:3], v[129:130]
	v_fma_f64 v[127:128], v[79:80], v[85:86], v[131:132]
	v_fma_f64 v[129:130], v[77:78], v[85:86], -v[87:88]
	ds_load_b128 v[77:80], v1 offset:720
	s_wait_loadcnt_dscnt 0x901
	v_mul_f64_e32 v[125:126], v[113:114], v[91:92]
	v_mul_f64_e32 v[91:92], v[115:116], v[91:92]
	scratch_load_b128 v[85:88], off, off offset:384
	s_wait_loadcnt_dscnt 0x900
	v_mul_f64_e32 v[131:132], v[77:78], v[95:96]
	v_mul_f64_e32 v[95:96], v[79:80], v[95:96]
	v_add_f64_e32 v[6:7], v[6:7], v[123:124]
	v_add_f64_e32 v[2:3], v[2:3], v[121:122]
	ds_load_b128 v[121:124], v1 offset:736
	v_fma_f64 v[115:116], v[115:116], v[89:90], v[125:126]
	v_fma_f64 v[113:114], v[113:114], v[89:90], -v[91:92]
	scratch_load_b128 v[89:92], off, off offset:400
	v_add_f64_e32 v[6:7], v[6:7], v[127:128]
	v_add_f64_e32 v[2:3], v[2:3], v[129:130]
	v_fma_f64 v[127:128], v[79:80], v[93:94], v[131:132]
	v_fma_f64 v[129:130], v[77:78], v[93:94], -v[95:96]
	ds_load_b128 v[77:80], v1 offset:752
	s_wait_loadcnt_dscnt 0x901
	v_mul_f64_e32 v[125:126], v[121:122], v[99:100]
	v_mul_f64_e32 v[99:100], v[123:124], v[99:100]
	scratch_load_b128 v[93:96], off, off offset:416
	s_wait_loadcnt_dscnt 0x900
	v_mul_f64_e32 v[131:132], v[77:78], v[107:108]
	v_mul_f64_e32 v[107:108], v[79:80], v[107:108]
	v_add_f64_e32 v[6:7], v[6:7], v[115:116]
	v_add_f64_e32 v[2:3], v[2:3], v[113:114]
	ds_load_b128 v[113:116], v1 offset:768
	v_fma_f64 v[123:124], v[123:124], v[97:98], v[125:126]
	v_fma_f64 v[121:122], v[121:122], v[97:98], -v[99:100]
	scratch_load_b128 v[97:100], off, off offset:432
	v_add_f64_e32 v[6:7], v[6:7], v[127:128]
	v_add_f64_e32 v[2:3], v[2:3], v[129:130]
	v_fma_f64 v[127:128], v[79:80], v[105:106], v[131:132]
	v_fma_f64 v[129:130], v[77:78], v[105:106], -v[107:108]
	ds_load_b128 v[77:80], v1 offset:784
	scratch_load_b128 v[105:108], off, off offset:448
	s_wait_loadcnt_dscnt 0x901
	v_mul_f64_e32 v[125:126], v[113:114], v[10:11]
	v_mul_f64_e32 v[10:11], v[115:116], v[10:11]
	v_add_f64_e32 v[6:7], v[6:7], v[123:124]
	v_add_f64_e32 v[2:3], v[2:3], v[121:122]
	ds_load_b128 v[121:124], v1 offset:800
	v_fma_f64 v[115:116], v[115:116], v[8:9], v[125:126]
	v_fma_f64 v[10:11], v[113:114], v[8:9], -v[10:11]
	s_wait_loadcnt_dscnt 0x801
	v_mul_f64_e32 v[131:132], v[77:78], v[119:120]
	v_mul_f64_e32 v[119:120], v[79:80], v[119:120]
	v_add_f64_e32 v[113:114], v[6:7], v[127:128]
	v_add_f64_e32 v[2:3], v[2:3], v[129:130]
	scratch_load_b128 v[6:9], off, off offset:464
	v_fma_f64 v[79:80], v[79:80], v[117:118], v[131:132]
	v_fma_f64 v[129:130], v[77:78], v[117:118], -v[119:120]
	ds_load_b128 v[117:120], v1 offset:832
	s_wait_loadcnt_dscnt 0x801
	v_mul_f64_e32 v[125:126], v[121:122], v[75:76]
	v_mul_f64_e32 v[127:128], v[123:124], v[75:76]
	ds_load_b128 v[75:78], v1 offset:816
	v_add_f64_e32 v[2:3], v[2:3], v[10:11]
	v_add_f64_e32 v[10:11], v[113:114], v[115:116]
	scratch_load_b128 v[113:116], off, off offset:480
	s_wait_loadcnt_dscnt 0x800
	v_mul_f64_e32 v[131:132], v[75:76], v[103:104]
	v_mul_f64_e32 v[103:104], v[77:78], v[103:104]
	v_fma_f64 v[123:124], v[123:124], v[73:74], v[125:126]
	v_fma_f64 v[73:74], v[121:122], v[73:74], -v[127:128]
	v_add_f64_e32 v[2:3], v[2:3], v[129:130]
	v_add_f64_e32 v[10:11], v[10:11], v[79:80]
	s_wait_loadcnt 0x7
	v_mul_f64_e32 v[121:122], v[117:118], v[83:84]
	v_mul_f64_e32 v[83:84], v[119:120], v[83:84]
	v_fma_f64 v[125:126], v[77:78], v[101:102], v[131:132]
	v_fma_f64 v[101:102], v[75:76], v[101:102], -v[103:104]
	v_add_f64_e32 v[2:3], v[2:3], v[73:74]
	v_add_f64_e32 v[10:11], v[10:11], v[123:124]
	ds_load_b128 v[73:76], v1 offset:848
	ds_load_b128 v[77:80], v1 offset:864
	v_fma_f64 v[119:120], v[119:120], v[81:82], v[121:122]
	v_fma_f64 v[81:82], v[117:118], v[81:82], -v[83:84]
	s_wait_loadcnt_dscnt 0x601
	v_mul_f64_e32 v[103:104], v[73:74], v[87:88]
	v_mul_f64_e32 v[87:88], v[75:76], v[87:88]
	v_add_f64_e32 v[2:3], v[2:3], v[101:102]
	v_add_f64_e32 v[10:11], v[10:11], v[125:126]
	s_wait_loadcnt_dscnt 0x500
	v_mul_f64_e32 v[101:102], v[77:78], v[91:92]
	v_mul_f64_e32 v[91:92], v[79:80], v[91:92]
	v_fma_f64 v[103:104], v[75:76], v[85:86], v[103:104]
	v_fma_f64 v[85:86], v[73:74], v[85:86], -v[87:88]
	v_add_f64_e32 v[2:3], v[2:3], v[81:82]
	v_add_f64_e32 v[10:11], v[10:11], v[119:120]
	ds_load_b128 v[73:76], v1 offset:880
	ds_load_b128 v[81:84], v1 offset:896
	v_fma_f64 v[79:80], v[79:80], v[89:90], v[101:102]
	v_fma_f64 v[77:78], v[77:78], v[89:90], -v[91:92]
	s_wait_loadcnt_dscnt 0x401
	v_mul_f64_e32 v[87:88], v[73:74], v[95:96]
	v_mul_f64_e32 v[95:96], v[75:76], v[95:96]
	s_wait_loadcnt_dscnt 0x300
	v_mul_f64_e32 v[89:90], v[83:84], v[99:100]
	v_add_f64_e32 v[2:3], v[2:3], v[85:86]
	v_add_f64_e32 v[10:11], v[10:11], v[103:104]
	v_mul_f64_e32 v[85:86], v[81:82], v[99:100]
	v_fma_f64 v[87:88], v[75:76], v[93:94], v[87:88]
	v_fma_f64 v[91:92], v[73:74], v[93:94], -v[95:96]
	v_fma_f64 v[81:82], v[81:82], v[97:98], -v[89:90]
	v_add_f64_e32 v[2:3], v[2:3], v[77:78]
	v_add_f64_e32 v[10:11], v[10:11], v[79:80]
	ds_load_b128 v[73:76], v1 offset:912
	ds_load_b128 v[77:80], v1 offset:928
	v_fma_f64 v[83:84], v[83:84], v[97:98], v[85:86]
	s_wait_loadcnt_dscnt 0x201
	v_mul_f64_e32 v[93:94], v[73:74], v[107:108]
	v_mul_f64_e32 v[95:96], v[75:76], v[107:108]
	v_add_f64_e32 v[2:3], v[2:3], v[91:92]
	v_add_f64_e32 v[10:11], v[10:11], v[87:88]
	s_wait_loadcnt_dscnt 0x100
	v_mul_f64_e32 v[85:86], v[77:78], v[8:9]
	v_mul_f64_e32 v[87:88], v[79:80], v[8:9]
	v_fma_f64 v[75:76], v[75:76], v[105:106], v[93:94]
	v_fma_f64 v[73:74], v[73:74], v[105:106], -v[95:96]
	v_add_f64_e32 v[2:3], v[2:3], v[81:82]
	v_add_f64_e32 v[81:82], v[10:11], v[83:84]
	ds_load_b128 v[8:11], v1 offset:944
	v_fma_f64 v[79:80], v[79:80], v[6:7], v[85:86]
	v_fma_f64 v[6:7], v[77:78], v[6:7], -v[87:88]
	s_wait_loadcnt_dscnt 0x0
	v_mul_f64_e32 v[83:84], v[8:9], v[115:116]
	v_mul_f64_e32 v[89:90], v[10:11], v[115:116]
	v_add_f64_e32 v[2:3], v[2:3], v[73:74]
	v_add_f64_e32 v[73:74], v[81:82], v[75:76]
	s_delay_alu instid0(VALU_DEP_4) | instskip(NEXT) | instid1(VALU_DEP_4)
	v_fma_f64 v[10:11], v[10:11], v[113:114], v[83:84]
	v_fma_f64 v[8:9], v[8:9], v[113:114], -v[89:90]
	s_delay_alu instid0(VALU_DEP_4) | instskip(NEXT) | instid1(VALU_DEP_4)
	v_add_f64_e32 v[2:3], v[2:3], v[6:7]
	v_add_f64_e32 v[6:7], v[73:74], v[79:80]
	s_delay_alu instid0(VALU_DEP_2) | instskip(NEXT) | instid1(VALU_DEP_2)
	v_add_f64_e32 v[2:3], v[2:3], v[8:9]
	v_add_f64_e32 v[8:9], v[6:7], v[10:11]
	s_delay_alu instid0(VALU_DEP_2) | instskip(NEXT) | instid1(VALU_DEP_2)
	v_add_f64_e64 v[6:7], v[109:110], -v[2:3]
	v_add_f64_e64 v[8:9], v[111:112], -v[8:9]
	scratch_store_b128 off, v[6:9], off offset:144
	v_cmpx_lt_u32_e32 7, v0
	s_cbranch_execz .LBB29_179
; %bb.178:
	scratch_load_b128 v[6:9], off, s27
	v_dual_mov_b32 v2, v1 :: v_dual_mov_b32 v3, v1
	v_mov_b32_e32 v4, v1
	scratch_store_b128 off, v[1:4], off offset:128
	s_wait_loadcnt 0x0
	ds_store_b128 v5, v[6:9]
.LBB29_179:
	s_wait_alu 0xfffe
	s_or_b32 exec_lo, exec_lo, s0
	s_wait_storecnt_dscnt 0x0
	s_barrier_signal -1
	s_barrier_wait -1
	global_inv scope:SCOPE_SE
	s_clause 0x8
	scratch_load_b128 v[6:9], off, off offset:144
	scratch_load_b128 v[73:76], off, off offset:160
	;; [unrolled: 1-line block ×9, first 2 shown]
	ds_load_b128 v[105:108], v1 offset:608
	ds_load_b128 v[109:112], v1 offset:624
	scratch_load_b128 v[113:116], off, off offset:128
	s_mov_b32 s0, exec_lo
	ds_load_b128 v[121:124], v1 offset:656
	s_wait_loadcnt_dscnt 0x902
	v_mul_f64_e32 v[2:3], v[107:108], v[8:9]
	v_mul_f64_e32 v[117:118], v[105:106], v[8:9]
	scratch_load_b128 v[8:11], off, off offset:288
	s_wait_loadcnt_dscnt 0x901
	v_mul_f64_e32 v[125:126], v[109:110], v[75:76]
	v_mul_f64_e32 v[75:76], v[111:112], v[75:76]
	v_fma_f64 v[2:3], v[105:106], v[6:7], -v[2:3]
	v_fma_f64 v[6:7], v[107:108], v[6:7], v[117:118]
	ds_load_b128 v[105:108], v1 offset:640
	scratch_load_b128 v[117:120], off, off offset:304
	v_fma_f64 v[111:112], v[111:112], v[73:74], v[125:126]
	v_fma_f64 v[109:110], v[109:110], v[73:74], -v[75:76]
	scratch_load_b128 v[73:76], off, off offset:320
	s_wait_loadcnt_dscnt 0x901
	v_mul_f64_e32 v[125:126], v[121:122], v[83:84]
	v_mul_f64_e32 v[83:84], v[123:124], v[83:84]
	s_wait_dscnt 0x0
	v_mul_f64_e32 v[127:128], v[105:106], v[79:80]
	v_mul_f64_e32 v[79:80], v[107:108], v[79:80]
	v_add_f64_e32 v[2:3], 0, v[2:3]
	v_add_f64_e32 v[6:7], 0, v[6:7]
	v_fma_f64 v[123:124], v[123:124], v[81:82], v[125:126]
	v_fma_f64 v[121:122], v[121:122], v[81:82], -v[83:84]
	scratch_load_b128 v[81:84], off, off offset:352
	v_fma_f64 v[127:128], v[107:108], v[77:78], v[127:128]
	v_fma_f64 v[129:130], v[105:106], v[77:78], -v[79:80]
	ds_load_b128 v[77:80], v1 offset:672
	scratch_load_b128 v[105:108], off, off offset:336
	v_add_f64_e32 v[2:3], v[2:3], v[109:110]
	v_add_f64_e32 v[6:7], v[6:7], v[111:112]
	ds_load_b128 v[109:112], v1 offset:688
	s_wait_loadcnt_dscnt 0xa01
	v_mul_f64_e32 v[131:132], v[77:78], v[87:88]
	v_mul_f64_e32 v[87:88], v[79:80], v[87:88]
	s_wait_loadcnt_dscnt 0x900
	v_mul_f64_e32 v[125:126], v[109:110], v[91:92]
	v_mul_f64_e32 v[91:92], v[111:112], v[91:92]
	v_add_f64_e32 v[2:3], v[2:3], v[129:130]
	v_add_f64_e32 v[6:7], v[6:7], v[127:128]
	v_fma_f64 v[127:128], v[79:80], v[85:86], v[131:132]
	v_fma_f64 v[129:130], v[77:78], v[85:86], -v[87:88]
	ds_load_b128 v[77:80], v1 offset:704
	scratch_load_b128 v[85:88], off, off offset:368
	v_fma_f64 v[111:112], v[111:112], v[89:90], v[125:126]
	v_fma_f64 v[109:110], v[109:110], v[89:90], -v[91:92]
	scratch_load_b128 v[89:92], off, off offset:384
	v_add_f64_e32 v[2:3], v[2:3], v[121:122]
	v_add_f64_e32 v[6:7], v[6:7], v[123:124]
	ds_load_b128 v[121:124], v1 offset:720
	s_wait_loadcnt_dscnt 0xa01
	v_mul_f64_e32 v[131:132], v[77:78], v[95:96]
	v_mul_f64_e32 v[95:96], v[79:80], v[95:96]
	s_wait_loadcnt_dscnt 0x900
	v_mul_f64_e32 v[125:126], v[121:122], v[99:100]
	v_mul_f64_e32 v[99:100], v[123:124], v[99:100]
	v_add_f64_e32 v[2:3], v[2:3], v[129:130]
	v_add_f64_e32 v[6:7], v[6:7], v[127:128]
	v_fma_f64 v[127:128], v[79:80], v[93:94], v[131:132]
	v_fma_f64 v[129:130], v[77:78], v[93:94], -v[95:96]
	ds_load_b128 v[77:80], v1 offset:736
	scratch_load_b128 v[93:96], off, off offset:400
	v_fma_f64 v[123:124], v[123:124], v[97:98], v[125:126]
	v_fma_f64 v[121:122], v[121:122], v[97:98], -v[99:100]
	scratch_load_b128 v[97:100], off, off offset:416
	v_add_f64_e32 v[2:3], v[2:3], v[109:110]
	v_add_f64_e32 v[6:7], v[6:7], v[111:112]
	ds_load_b128 v[109:112], v1 offset:752
	s_wait_loadcnt_dscnt 0xa01
	v_mul_f64_e32 v[131:132], v[77:78], v[103:104]
	v_mul_f64_e32 v[103:104], v[79:80], v[103:104]
	v_add_f64_e32 v[2:3], v[2:3], v[129:130]
	v_add_f64_e32 v[6:7], v[6:7], v[127:128]
	s_delay_alu instid0(VALU_DEP_4) | instskip(NEXT) | instid1(VALU_DEP_4)
	v_fma_f64 v[127:128], v[79:80], v[101:102], v[131:132]
	v_fma_f64 v[129:130], v[77:78], v[101:102], -v[103:104]
	ds_load_b128 v[77:80], v1 offset:768
	scratch_load_b128 v[101:104], off, off offset:432
	s_wait_loadcnt_dscnt 0x901
	v_mul_f64_e32 v[125:126], v[109:110], v[10:11]
	v_mul_f64_e32 v[10:11], v[111:112], v[10:11]
	v_add_f64_e32 v[2:3], v[2:3], v[121:122]
	v_add_f64_e32 v[6:7], v[6:7], v[123:124]
	ds_load_b128 v[121:124], v1 offset:784
	v_fma_f64 v[111:112], v[111:112], v[8:9], v[125:126]
	s_wait_loadcnt_dscnt 0x801
	v_mul_f64_e32 v[131:132], v[77:78], v[119:120]
	v_mul_f64_e32 v[119:120], v[79:80], v[119:120]
	v_fma_f64 v[10:11], v[109:110], v[8:9], -v[10:11]
	s_wait_loadcnt_dscnt 0x700
	v_mul_f64_e32 v[125:126], v[121:122], v[75:76]
	v_add_f64_e32 v[2:3], v[2:3], v[129:130]
	v_add_f64_e32 v[109:110], v[6:7], v[127:128]
	scratch_load_b128 v[6:9], off, off offset:448
	v_mul_f64_e32 v[127:128], v[123:124], v[75:76]
	v_fma_f64 v[79:80], v[79:80], v[117:118], v[131:132]
	v_fma_f64 v[129:130], v[77:78], v[117:118], -v[119:120]
	ds_load_b128 v[75:78], v1 offset:800
	ds_load_b128 v[117:120], v1 offset:816
	v_fma_f64 v[125:126], v[123:124], v[73:74], v[125:126]
	v_add_f64_e32 v[2:3], v[2:3], v[10:11]
	v_add_f64_e32 v[10:11], v[109:110], v[111:112]
	scratch_load_b128 v[109:112], off, off offset:464
	s_wait_loadcnt_dscnt 0x701
	v_mul_f64_e32 v[131:132], v[75:76], v[107:108]
	v_mul_f64_e32 v[107:108], v[77:78], v[107:108]
	v_fma_f64 v[73:74], v[121:122], v[73:74], -v[127:128]
	scratch_load_b128 v[121:124], off, off offset:480
	s_wait_dscnt 0x0
	v_mul_f64_e32 v[127:128], v[117:118], v[83:84]
	v_mul_f64_e32 v[83:84], v[119:120], v[83:84]
	v_add_f64_e32 v[2:3], v[2:3], v[129:130]
	v_add_f64_e32 v[10:11], v[10:11], v[79:80]
	v_fma_f64 v[129:130], v[77:78], v[105:106], v[131:132]
	v_fma_f64 v[105:106], v[75:76], v[105:106], -v[107:108]
	v_fma_f64 v[119:120], v[119:120], v[81:82], v[127:128]
	v_fma_f64 v[81:82], v[117:118], v[81:82], -v[83:84]
	v_add_f64_e32 v[2:3], v[2:3], v[73:74]
	v_add_f64_e32 v[10:11], v[10:11], v[125:126]
	ds_load_b128 v[73:76], v1 offset:832
	ds_load_b128 v[77:80], v1 offset:848
	s_wait_loadcnt_dscnt 0x701
	v_mul_f64_e32 v[107:108], v[73:74], v[87:88]
	v_mul_f64_e32 v[87:88], v[75:76], v[87:88]
	v_add_f64_e32 v[2:3], v[2:3], v[105:106]
	v_add_f64_e32 v[10:11], v[10:11], v[129:130]
	s_wait_loadcnt_dscnt 0x600
	v_mul_f64_e32 v[105:106], v[77:78], v[91:92]
	v_mul_f64_e32 v[91:92], v[79:80], v[91:92]
	v_fma_f64 v[107:108], v[75:76], v[85:86], v[107:108]
	v_fma_f64 v[85:86], v[73:74], v[85:86], -v[87:88]
	v_add_f64_e32 v[2:3], v[2:3], v[81:82]
	v_add_f64_e32 v[10:11], v[10:11], v[119:120]
	ds_load_b128 v[73:76], v1 offset:864
	ds_load_b128 v[81:84], v1 offset:880
	v_fma_f64 v[79:80], v[79:80], v[89:90], v[105:106]
	v_fma_f64 v[77:78], v[77:78], v[89:90], -v[91:92]
	s_wait_loadcnt_dscnt 0x501
	v_mul_f64_e32 v[87:88], v[73:74], v[95:96]
	v_mul_f64_e32 v[95:96], v[75:76], v[95:96]
	s_wait_loadcnt_dscnt 0x400
	v_mul_f64_e32 v[89:90], v[83:84], v[99:100]
	v_add_f64_e32 v[2:3], v[2:3], v[85:86]
	v_add_f64_e32 v[10:11], v[10:11], v[107:108]
	v_mul_f64_e32 v[85:86], v[81:82], v[99:100]
	v_fma_f64 v[87:88], v[75:76], v[93:94], v[87:88]
	v_fma_f64 v[91:92], v[73:74], v[93:94], -v[95:96]
	v_fma_f64 v[81:82], v[81:82], v[97:98], -v[89:90]
	v_add_f64_e32 v[2:3], v[2:3], v[77:78]
	v_add_f64_e32 v[10:11], v[10:11], v[79:80]
	ds_load_b128 v[73:76], v1 offset:896
	ds_load_b128 v[77:80], v1 offset:912
	v_fma_f64 v[83:84], v[83:84], v[97:98], v[85:86]
	s_wait_loadcnt_dscnt 0x301
	v_mul_f64_e32 v[93:94], v[73:74], v[103:104]
	v_mul_f64_e32 v[95:96], v[75:76], v[103:104]
	v_add_f64_e32 v[2:3], v[2:3], v[91:92]
	v_add_f64_e32 v[10:11], v[10:11], v[87:88]
	s_wait_loadcnt_dscnt 0x200
	v_mul_f64_e32 v[85:86], v[77:78], v[8:9]
	v_mul_f64_e32 v[87:88], v[79:80], v[8:9]
	v_fma_f64 v[75:76], v[75:76], v[101:102], v[93:94]
	v_fma_f64 v[73:74], v[73:74], v[101:102], -v[95:96]
	v_add_f64_e32 v[81:82], v[2:3], v[81:82]
	v_add_f64_e32 v[83:84], v[10:11], v[83:84]
	ds_load_b128 v[8:11], v1 offset:928
	ds_load_b128 v[1:4], v1 offset:944
	v_fma_f64 v[79:80], v[79:80], v[6:7], v[85:86]
	v_fma_f64 v[6:7], v[77:78], v[6:7], -v[87:88]
	s_wait_loadcnt_dscnt 0x101
	v_mul_f64_e32 v[89:90], v[8:9], v[111:112]
	v_mul_f64_e32 v[91:92], v[10:11], v[111:112]
	s_wait_loadcnt_dscnt 0x0
	v_mul_f64_e32 v[77:78], v[1:2], v[123:124]
	v_add_f64_e32 v[73:74], v[81:82], v[73:74]
	v_add_f64_e32 v[75:76], v[83:84], v[75:76]
	v_mul_f64_e32 v[81:82], v[3:4], v[123:124]
	v_fma_f64 v[10:11], v[10:11], v[109:110], v[89:90]
	v_fma_f64 v[8:9], v[8:9], v[109:110], -v[91:92]
	v_fma_f64 v[3:4], v[3:4], v[121:122], v[77:78]
	v_add_f64_e32 v[6:7], v[73:74], v[6:7]
	v_add_f64_e32 v[73:74], v[75:76], v[79:80]
	v_fma_f64 v[1:2], v[1:2], v[121:122], -v[81:82]
	s_delay_alu instid0(VALU_DEP_3) | instskip(NEXT) | instid1(VALU_DEP_3)
	v_add_f64_e32 v[6:7], v[6:7], v[8:9]
	v_add_f64_e32 v[8:9], v[73:74], v[10:11]
	s_delay_alu instid0(VALU_DEP_2) | instskip(NEXT) | instid1(VALU_DEP_2)
	v_add_f64_e32 v[1:2], v[6:7], v[1:2]
	v_add_f64_e32 v[3:4], v[8:9], v[3:4]
	s_delay_alu instid0(VALU_DEP_2) | instskip(NEXT) | instid1(VALU_DEP_2)
	v_add_f64_e64 v[1:2], v[113:114], -v[1:2]
	v_add_f64_e64 v[3:4], v[115:116], -v[3:4]
	scratch_store_b128 off, v[1:4], off offset:128
	v_cmpx_lt_u32_e32 6, v0
	s_cbranch_execz .LBB29_181
; %bb.180:
	scratch_load_b128 v[1:4], off, s28
	v_mov_b32_e32 v6, 0
	s_delay_alu instid0(VALU_DEP_1)
	v_dual_mov_b32 v7, v6 :: v_dual_mov_b32 v8, v6
	v_mov_b32_e32 v9, v6
	scratch_store_b128 off, v[6:9], off offset:112
	s_wait_loadcnt 0x0
	ds_store_b128 v5, v[1:4]
.LBB29_181:
	s_wait_alu 0xfffe
	s_or_b32 exec_lo, exec_lo, s0
	s_wait_storecnt_dscnt 0x0
	s_barrier_signal -1
	s_barrier_wait -1
	global_inv scope:SCOPE_SE
	s_clause 0x7
	scratch_load_b128 v[6:9], off, off offset:128
	scratch_load_b128 v[73:76], off, off offset:144
	scratch_load_b128 v[77:80], off, off offset:160
	scratch_load_b128 v[81:84], off, off offset:176
	scratch_load_b128 v[85:88], off, off offset:192
	scratch_load_b128 v[89:92], off, off offset:208
	scratch_load_b128 v[93:96], off, off offset:224
	scratch_load_b128 v[97:100], off, off offset:240
	v_mov_b32_e32 v1, 0
	s_mov_b32 s0, exec_lo
	ds_load_b128 v[101:104], v1 offset:592
	s_clause 0x1
	scratch_load_b128 v[105:108], off, off offset:256
	scratch_load_b128 v[109:112], off, off offset:112
	ds_load_b128 v[113:116], v1 offset:608
	ds_load_b128 v[121:124], v1 offset:640
	s_wait_loadcnt_dscnt 0x902
	v_mul_f64_e32 v[2:3], v[103:104], v[8:9]
	v_mul_f64_e32 v[117:118], v[101:102], v[8:9]
	scratch_load_b128 v[8:11], off, off offset:272
	v_fma_f64 v[2:3], v[101:102], v[6:7], -v[2:3]
	v_fma_f64 v[6:7], v[103:104], v[6:7], v[117:118]
	ds_load_b128 v[101:104], v1 offset:624
	s_wait_loadcnt_dscnt 0x902
	v_mul_f64_e32 v[125:126], v[113:114], v[75:76]
	v_mul_f64_e32 v[75:76], v[115:116], v[75:76]
	scratch_load_b128 v[117:120], off, off offset:288
	s_wait_loadcnt_dscnt 0x900
	v_mul_f64_e32 v[127:128], v[101:102], v[79:80]
	v_mul_f64_e32 v[79:80], v[103:104], v[79:80]
	v_add_f64_e32 v[2:3], 0, v[2:3]
	v_add_f64_e32 v[6:7], 0, v[6:7]
	v_fma_f64 v[115:116], v[115:116], v[73:74], v[125:126]
	v_fma_f64 v[113:114], v[113:114], v[73:74], -v[75:76]
	scratch_load_b128 v[73:76], off, off offset:304
	v_fma_f64 v[127:128], v[103:104], v[77:78], v[127:128]
	v_fma_f64 v[129:130], v[101:102], v[77:78], -v[79:80]
	ds_load_b128 v[77:80], v1 offset:656
	s_wait_loadcnt 0x9
	v_mul_f64_e32 v[125:126], v[121:122], v[83:84]
	v_mul_f64_e32 v[83:84], v[123:124], v[83:84]
	scratch_load_b128 v[101:104], off, off offset:320
	v_add_f64_e32 v[6:7], v[6:7], v[115:116]
	v_add_f64_e32 v[2:3], v[2:3], v[113:114]
	ds_load_b128 v[113:116], v1 offset:672
	s_wait_loadcnt_dscnt 0x901
	v_mul_f64_e32 v[131:132], v[77:78], v[87:88]
	v_mul_f64_e32 v[87:88], v[79:80], v[87:88]
	v_fma_f64 v[123:124], v[123:124], v[81:82], v[125:126]
	v_fma_f64 v[121:122], v[121:122], v[81:82], -v[83:84]
	scratch_load_b128 v[81:84], off, off offset:336
	v_add_f64_e32 v[6:7], v[6:7], v[127:128]
	v_add_f64_e32 v[2:3], v[2:3], v[129:130]
	v_fma_f64 v[127:128], v[79:80], v[85:86], v[131:132]
	v_fma_f64 v[129:130], v[77:78], v[85:86], -v[87:88]
	ds_load_b128 v[77:80], v1 offset:688
	s_wait_loadcnt_dscnt 0x901
	v_mul_f64_e32 v[125:126], v[113:114], v[91:92]
	v_mul_f64_e32 v[91:92], v[115:116], v[91:92]
	scratch_load_b128 v[85:88], off, off offset:352
	s_wait_loadcnt_dscnt 0x900
	v_mul_f64_e32 v[131:132], v[77:78], v[95:96]
	v_mul_f64_e32 v[95:96], v[79:80], v[95:96]
	v_add_f64_e32 v[6:7], v[6:7], v[123:124]
	v_add_f64_e32 v[2:3], v[2:3], v[121:122]
	ds_load_b128 v[121:124], v1 offset:704
	v_fma_f64 v[115:116], v[115:116], v[89:90], v[125:126]
	v_fma_f64 v[113:114], v[113:114], v[89:90], -v[91:92]
	scratch_load_b128 v[89:92], off, off offset:368
	v_add_f64_e32 v[6:7], v[6:7], v[127:128]
	v_add_f64_e32 v[2:3], v[2:3], v[129:130]
	v_fma_f64 v[127:128], v[79:80], v[93:94], v[131:132]
	v_fma_f64 v[129:130], v[77:78], v[93:94], -v[95:96]
	ds_load_b128 v[77:80], v1 offset:720
	s_wait_loadcnt_dscnt 0x901
	v_mul_f64_e32 v[125:126], v[121:122], v[99:100]
	v_mul_f64_e32 v[99:100], v[123:124], v[99:100]
	scratch_load_b128 v[93:96], off, off offset:384
	s_wait_loadcnt_dscnt 0x900
	v_mul_f64_e32 v[131:132], v[77:78], v[107:108]
	v_mul_f64_e32 v[107:108], v[79:80], v[107:108]
	v_add_f64_e32 v[6:7], v[6:7], v[115:116]
	v_add_f64_e32 v[2:3], v[2:3], v[113:114]
	ds_load_b128 v[113:116], v1 offset:736
	v_fma_f64 v[123:124], v[123:124], v[97:98], v[125:126]
	v_fma_f64 v[121:122], v[121:122], v[97:98], -v[99:100]
	scratch_load_b128 v[97:100], off, off offset:400
	v_add_f64_e32 v[6:7], v[6:7], v[127:128]
	v_add_f64_e32 v[2:3], v[2:3], v[129:130]
	v_fma_f64 v[127:128], v[79:80], v[105:106], v[131:132]
	v_fma_f64 v[129:130], v[77:78], v[105:106], -v[107:108]
	ds_load_b128 v[77:80], v1 offset:752
	scratch_load_b128 v[105:108], off, off offset:416
	s_wait_loadcnt_dscnt 0x901
	v_mul_f64_e32 v[125:126], v[113:114], v[10:11]
	v_mul_f64_e32 v[10:11], v[115:116], v[10:11]
	v_add_f64_e32 v[6:7], v[6:7], v[123:124]
	v_add_f64_e32 v[2:3], v[2:3], v[121:122]
	ds_load_b128 v[121:124], v1 offset:768
	v_fma_f64 v[115:116], v[115:116], v[8:9], v[125:126]
	v_fma_f64 v[10:11], v[113:114], v[8:9], -v[10:11]
	s_wait_loadcnt_dscnt 0x801
	v_mul_f64_e32 v[131:132], v[77:78], v[119:120]
	v_mul_f64_e32 v[119:120], v[79:80], v[119:120]
	v_add_f64_e32 v[113:114], v[6:7], v[127:128]
	v_add_f64_e32 v[2:3], v[2:3], v[129:130]
	scratch_load_b128 v[6:9], off, off offset:432
	v_fma_f64 v[79:80], v[79:80], v[117:118], v[131:132]
	v_fma_f64 v[129:130], v[77:78], v[117:118], -v[119:120]
	ds_load_b128 v[117:120], v1 offset:800
	s_wait_loadcnt_dscnt 0x801
	v_mul_f64_e32 v[125:126], v[121:122], v[75:76]
	v_mul_f64_e32 v[127:128], v[123:124], v[75:76]
	ds_load_b128 v[75:78], v1 offset:784
	v_add_f64_e32 v[2:3], v[2:3], v[10:11]
	v_add_f64_e32 v[10:11], v[113:114], v[115:116]
	scratch_load_b128 v[113:116], off, off offset:448
	s_wait_loadcnt_dscnt 0x800
	v_mul_f64_e32 v[131:132], v[75:76], v[103:104]
	v_mul_f64_e32 v[103:104], v[77:78], v[103:104]
	v_fma_f64 v[125:126], v[123:124], v[73:74], v[125:126]
	v_fma_f64 v[73:74], v[121:122], v[73:74], -v[127:128]
	scratch_load_b128 v[121:124], off, off offset:464
	v_add_f64_e32 v[2:3], v[2:3], v[129:130]
	v_add_f64_e32 v[10:11], v[10:11], v[79:80]
	s_wait_loadcnt 0x8
	v_mul_f64_e32 v[127:128], v[117:118], v[83:84]
	v_mul_f64_e32 v[83:84], v[119:120], v[83:84]
	v_fma_f64 v[129:130], v[77:78], v[101:102], v[131:132]
	v_fma_f64 v[131:132], v[75:76], v[101:102], -v[103:104]
	scratch_load_b128 v[77:80], off, off offset:480
	ds_load_b128 v[101:104], v1 offset:832
	v_add_f64_e32 v[2:3], v[2:3], v[73:74]
	v_add_f64_e32 v[10:11], v[10:11], v[125:126]
	ds_load_b128 v[73:76], v1 offset:816
	v_fma_f64 v[119:120], v[119:120], v[81:82], v[127:128]
	v_fma_f64 v[81:82], v[117:118], v[81:82], -v[83:84]
	s_wait_loadcnt_dscnt 0x800
	v_mul_f64_e32 v[125:126], v[73:74], v[87:88]
	v_mul_f64_e32 v[87:88], v[75:76], v[87:88]
	s_wait_loadcnt 0x7
	v_mul_f64_e32 v[117:118], v[101:102], v[91:92]
	v_mul_f64_e32 v[91:92], v[103:104], v[91:92]
	v_add_f64_e32 v[2:3], v[2:3], v[131:132]
	v_add_f64_e32 v[10:11], v[10:11], v[129:130]
	v_fma_f64 v[125:126], v[75:76], v[85:86], v[125:126]
	v_fma_f64 v[85:86], v[73:74], v[85:86], -v[87:88]
	v_fma_f64 v[103:104], v[103:104], v[89:90], v[117:118]
	v_fma_f64 v[89:90], v[101:102], v[89:90], -v[91:92]
	v_add_f64_e32 v[2:3], v[2:3], v[81:82]
	v_add_f64_e32 v[10:11], v[10:11], v[119:120]
	ds_load_b128 v[73:76], v1 offset:848
	ds_load_b128 v[81:84], v1 offset:864
	s_wait_loadcnt_dscnt 0x601
	v_mul_f64_e32 v[87:88], v[73:74], v[95:96]
	v_mul_f64_e32 v[95:96], v[75:76], v[95:96]
	s_wait_loadcnt_dscnt 0x500
	v_mul_f64_e32 v[91:92], v[81:82], v[99:100]
	v_mul_f64_e32 v[99:100], v[83:84], v[99:100]
	v_add_f64_e32 v[2:3], v[2:3], v[85:86]
	v_add_f64_e32 v[10:11], v[10:11], v[125:126]
	v_fma_f64 v[101:102], v[75:76], v[93:94], v[87:88]
	v_fma_f64 v[93:94], v[73:74], v[93:94], -v[95:96]
	ds_load_b128 v[73:76], v1 offset:880
	ds_load_b128 v[85:88], v1 offset:896
	v_fma_f64 v[83:84], v[83:84], v[97:98], v[91:92]
	v_fma_f64 v[81:82], v[81:82], v[97:98], -v[99:100]
	v_add_f64_e32 v[2:3], v[2:3], v[89:90]
	v_add_f64_e32 v[10:11], v[10:11], v[103:104]
	s_wait_loadcnt_dscnt 0x401
	v_mul_f64_e32 v[89:90], v[73:74], v[107:108]
	v_mul_f64_e32 v[95:96], v[75:76], v[107:108]
	s_delay_alu instid0(VALU_DEP_4) | instskip(NEXT) | instid1(VALU_DEP_4)
	v_add_f64_e32 v[2:3], v[2:3], v[93:94]
	v_add_f64_e32 v[10:11], v[10:11], v[101:102]
	s_delay_alu instid0(VALU_DEP_4) | instskip(NEXT) | instid1(VALU_DEP_4)
	v_fma_f64 v[89:90], v[75:76], v[105:106], v[89:90]
	v_fma_f64 v[95:96], v[73:74], v[105:106], -v[95:96]
	s_wait_loadcnt_dscnt 0x300
	v_mul_f64_e32 v[91:92], v[85:86], v[8:9]
	v_mul_f64_e32 v[93:94], v[87:88], v[8:9]
	v_add_f64_e32 v[2:3], v[2:3], v[81:82]
	v_add_f64_e32 v[81:82], v[10:11], v[83:84]
	ds_load_b128 v[8:11], v1 offset:912
	ds_load_b128 v[73:76], v1 offset:928
	v_fma_f64 v[87:88], v[87:88], v[6:7], v[91:92]
	v_fma_f64 v[6:7], v[85:86], v[6:7], -v[93:94]
	s_wait_loadcnt_dscnt 0x201
	v_mul_f64_e32 v[83:84], v[8:9], v[115:116]
	v_mul_f64_e32 v[97:98], v[10:11], v[115:116]
	s_wait_loadcnt_dscnt 0x100
	v_mul_f64_e32 v[85:86], v[73:74], v[123:124]
	v_add_f64_e32 v[2:3], v[2:3], v[95:96]
	v_add_f64_e32 v[81:82], v[81:82], v[89:90]
	v_mul_f64_e32 v[89:90], v[75:76], v[123:124]
	v_fma_f64 v[10:11], v[10:11], v[113:114], v[83:84]
	v_fma_f64 v[83:84], v[8:9], v[113:114], -v[97:98]
	v_fma_f64 v[75:76], v[75:76], v[121:122], v[85:86]
	v_add_f64_e32 v[2:3], v[2:3], v[6:7]
	v_add_f64_e32 v[81:82], v[81:82], v[87:88]
	ds_load_b128 v[6:9], v1 offset:944
	v_fma_f64 v[73:74], v[73:74], v[121:122], -v[89:90]
	s_wait_loadcnt_dscnt 0x0
	v_mul_f64_e32 v[87:88], v[6:7], v[79:80]
	v_mul_f64_e32 v[79:80], v[8:9], v[79:80]
	v_add_f64_e32 v[2:3], v[2:3], v[83:84]
	v_add_f64_e32 v[10:11], v[81:82], v[10:11]
	s_delay_alu instid0(VALU_DEP_4) | instskip(NEXT) | instid1(VALU_DEP_4)
	v_fma_f64 v[8:9], v[8:9], v[77:78], v[87:88]
	v_fma_f64 v[6:7], v[6:7], v[77:78], -v[79:80]
	s_delay_alu instid0(VALU_DEP_4) | instskip(NEXT) | instid1(VALU_DEP_4)
	v_add_f64_e32 v[2:3], v[2:3], v[73:74]
	v_add_f64_e32 v[10:11], v[10:11], v[75:76]
	s_delay_alu instid0(VALU_DEP_2) | instskip(NEXT) | instid1(VALU_DEP_2)
	v_add_f64_e32 v[2:3], v[2:3], v[6:7]
	v_add_f64_e32 v[8:9], v[10:11], v[8:9]
	s_delay_alu instid0(VALU_DEP_2) | instskip(NEXT) | instid1(VALU_DEP_2)
	v_add_f64_e64 v[6:7], v[109:110], -v[2:3]
	v_add_f64_e64 v[8:9], v[111:112], -v[8:9]
	scratch_store_b128 off, v[6:9], off offset:112
	v_cmpx_lt_u32_e32 5, v0
	s_cbranch_execz .LBB29_183
; %bb.182:
	scratch_load_b128 v[6:9], off, s29
	v_dual_mov_b32 v2, v1 :: v_dual_mov_b32 v3, v1
	v_mov_b32_e32 v4, v1
	scratch_store_b128 off, v[1:4], off offset:96
	s_wait_loadcnt 0x0
	ds_store_b128 v5, v[6:9]
.LBB29_183:
	s_wait_alu 0xfffe
	s_or_b32 exec_lo, exec_lo, s0
	s_wait_storecnt_dscnt 0x0
	s_barrier_signal -1
	s_barrier_wait -1
	global_inv scope:SCOPE_SE
	s_clause 0x8
	scratch_load_b128 v[6:9], off, off offset:112
	scratch_load_b128 v[73:76], off, off offset:128
	;; [unrolled: 1-line block ×9, first 2 shown]
	ds_load_b128 v[105:108], v1 offset:576
	ds_load_b128 v[109:112], v1 offset:592
	scratch_load_b128 v[113:116], off, off offset:96
	s_mov_b32 s0, exec_lo
	ds_load_b128 v[121:124], v1 offset:624
	s_wait_loadcnt_dscnt 0x902
	v_mul_f64_e32 v[2:3], v[107:108], v[8:9]
	v_mul_f64_e32 v[117:118], v[105:106], v[8:9]
	scratch_load_b128 v[8:11], off, off offset:256
	s_wait_loadcnt_dscnt 0x901
	v_mul_f64_e32 v[125:126], v[109:110], v[75:76]
	v_mul_f64_e32 v[75:76], v[111:112], v[75:76]
	v_fma_f64 v[2:3], v[105:106], v[6:7], -v[2:3]
	v_fma_f64 v[6:7], v[107:108], v[6:7], v[117:118]
	ds_load_b128 v[105:108], v1 offset:608
	scratch_load_b128 v[117:120], off, off offset:272
	v_fma_f64 v[111:112], v[111:112], v[73:74], v[125:126]
	v_fma_f64 v[109:110], v[109:110], v[73:74], -v[75:76]
	scratch_load_b128 v[73:76], off, off offset:288
	s_wait_loadcnt_dscnt 0x901
	v_mul_f64_e32 v[125:126], v[121:122], v[83:84]
	v_mul_f64_e32 v[83:84], v[123:124], v[83:84]
	s_wait_dscnt 0x0
	v_mul_f64_e32 v[127:128], v[105:106], v[79:80]
	v_mul_f64_e32 v[79:80], v[107:108], v[79:80]
	v_add_f64_e32 v[2:3], 0, v[2:3]
	v_add_f64_e32 v[6:7], 0, v[6:7]
	v_fma_f64 v[123:124], v[123:124], v[81:82], v[125:126]
	v_fma_f64 v[121:122], v[121:122], v[81:82], -v[83:84]
	scratch_load_b128 v[81:84], off, off offset:320
	v_fma_f64 v[127:128], v[107:108], v[77:78], v[127:128]
	v_fma_f64 v[129:130], v[105:106], v[77:78], -v[79:80]
	ds_load_b128 v[77:80], v1 offset:640
	scratch_load_b128 v[105:108], off, off offset:304
	v_add_f64_e32 v[2:3], v[2:3], v[109:110]
	v_add_f64_e32 v[6:7], v[6:7], v[111:112]
	ds_load_b128 v[109:112], v1 offset:656
	s_wait_loadcnt_dscnt 0xa01
	v_mul_f64_e32 v[131:132], v[77:78], v[87:88]
	v_mul_f64_e32 v[87:88], v[79:80], v[87:88]
	s_wait_loadcnt_dscnt 0x900
	v_mul_f64_e32 v[125:126], v[109:110], v[91:92]
	v_mul_f64_e32 v[91:92], v[111:112], v[91:92]
	v_add_f64_e32 v[2:3], v[2:3], v[129:130]
	v_add_f64_e32 v[6:7], v[6:7], v[127:128]
	v_fma_f64 v[127:128], v[79:80], v[85:86], v[131:132]
	v_fma_f64 v[129:130], v[77:78], v[85:86], -v[87:88]
	ds_load_b128 v[77:80], v1 offset:672
	scratch_load_b128 v[85:88], off, off offset:336
	v_fma_f64 v[111:112], v[111:112], v[89:90], v[125:126]
	v_fma_f64 v[109:110], v[109:110], v[89:90], -v[91:92]
	scratch_load_b128 v[89:92], off, off offset:352
	v_add_f64_e32 v[2:3], v[2:3], v[121:122]
	v_add_f64_e32 v[6:7], v[6:7], v[123:124]
	ds_load_b128 v[121:124], v1 offset:688
	s_wait_loadcnt_dscnt 0xa01
	v_mul_f64_e32 v[131:132], v[77:78], v[95:96]
	v_mul_f64_e32 v[95:96], v[79:80], v[95:96]
	s_wait_loadcnt_dscnt 0x900
	v_mul_f64_e32 v[125:126], v[121:122], v[99:100]
	v_mul_f64_e32 v[99:100], v[123:124], v[99:100]
	v_add_f64_e32 v[2:3], v[2:3], v[129:130]
	v_add_f64_e32 v[6:7], v[6:7], v[127:128]
	v_fma_f64 v[127:128], v[79:80], v[93:94], v[131:132]
	v_fma_f64 v[129:130], v[77:78], v[93:94], -v[95:96]
	ds_load_b128 v[77:80], v1 offset:704
	scratch_load_b128 v[93:96], off, off offset:368
	v_fma_f64 v[123:124], v[123:124], v[97:98], v[125:126]
	v_fma_f64 v[121:122], v[121:122], v[97:98], -v[99:100]
	scratch_load_b128 v[97:100], off, off offset:384
	v_add_f64_e32 v[2:3], v[2:3], v[109:110]
	v_add_f64_e32 v[6:7], v[6:7], v[111:112]
	ds_load_b128 v[109:112], v1 offset:720
	s_wait_loadcnt_dscnt 0xa01
	v_mul_f64_e32 v[131:132], v[77:78], v[103:104]
	v_mul_f64_e32 v[103:104], v[79:80], v[103:104]
	v_add_f64_e32 v[2:3], v[2:3], v[129:130]
	v_add_f64_e32 v[6:7], v[6:7], v[127:128]
	s_delay_alu instid0(VALU_DEP_4) | instskip(NEXT) | instid1(VALU_DEP_4)
	v_fma_f64 v[127:128], v[79:80], v[101:102], v[131:132]
	v_fma_f64 v[129:130], v[77:78], v[101:102], -v[103:104]
	ds_load_b128 v[77:80], v1 offset:736
	scratch_load_b128 v[101:104], off, off offset:400
	s_wait_loadcnt_dscnt 0x901
	v_mul_f64_e32 v[125:126], v[109:110], v[10:11]
	v_mul_f64_e32 v[10:11], v[111:112], v[10:11]
	v_add_f64_e32 v[2:3], v[2:3], v[121:122]
	v_add_f64_e32 v[6:7], v[6:7], v[123:124]
	ds_load_b128 v[121:124], v1 offset:752
	v_fma_f64 v[111:112], v[111:112], v[8:9], v[125:126]
	s_wait_loadcnt_dscnt 0x801
	v_mul_f64_e32 v[131:132], v[77:78], v[119:120]
	v_mul_f64_e32 v[119:120], v[79:80], v[119:120]
	v_fma_f64 v[10:11], v[109:110], v[8:9], -v[10:11]
	s_wait_loadcnt_dscnt 0x700
	v_mul_f64_e32 v[125:126], v[121:122], v[75:76]
	v_add_f64_e32 v[2:3], v[2:3], v[129:130]
	v_add_f64_e32 v[109:110], v[6:7], v[127:128]
	scratch_load_b128 v[6:9], off, off offset:416
	v_mul_f64_e32 v[127:128], v[123:124], v[75:76]
	v_fma_f64 v[79:80], v[79:80], v[117:118], v[131:132]
	v_fma_f64 v[129:130], v[77:78], v[117:118], -v[119:120]
	ds_load_b128 v[75:78], v1 offset:768
	ds_load_b128 v[117:120], v1 offset:784
	v_fma_f64 v[125:126], v[123:124], v[73:74], v[125:126]
	v_add_f64_e32 v[2:3], v[2:3], v[10:11]
	v_add_f64_e32 v[10:11], v[109:110], v[111:112]
	scratch_load_b128 v[109:112], off, off offset:432
	s_wait_loadcnt_dscnt 0x701
	v_mul_f64_e32 v[131:132], v[75:76], v[107:108]
	v_mul_f64_e32 v[107:108], v[77:78], v[107:108]
	v_fma_f64 v[73:74], v[121:122], v[73:74], -v[127:128]
	scratch_load_b128 v[121:124], off, off offset:448
	s_wait_dscnt 0x0
	v_mul_f64_e32 v[127:128], v[117:118], v[83:84]
	v_mul_f64_e32 v[83:84], v[119:120], v[83:84]
	v_add_f64_e32 v[2:3], v[2:3], v[129:130]
	v_add_f64_e32 v[10:11], v[10:11], v[79:80]
	v_fma_f64 v[129:130], v[77:78], v[105:106], v[131:132]
	v_fma_f64 v[131:132], v[75:76], v[105:106], -v[107:108]
	scratch_load_b128 v[77:80], off, off offset:464
	ds_load_b128 v[105:108], v1 offset:816
	v_fma_f64 v[119:120], v[119:120], v[81:82], v[127:128]
	v_fma_f64 v[117:118], v[117:118], v[81:82], -v[83:84]
	scratch_load_b128 v[81:84], off, off offset:480
	v_add_f64_e32 v[2:3], v[2:3], v[73:74]
	v_add_f64_e32 v[10:11], v[10:11], v[125:126]
	ds_load_b128 v[73:76], v1 offset:800
	s_wait_loadcnt_dscnt 0x801
	v_mul_f64_e32 v[127:128], v[105:106], v[91:92]
	v_mul_f64_e32 v[91:92], v[107:108], v[91:92]
	s_wait_dscnt 0x0
	v_mul_f64_e32 v[125:126], v[73:74], v[87:88]
	v_mul_f64_e32 v[87:88], v[75:76], v[87:88]
	v_add_f64_e32 v[2:3], v[2:3], v[131:132]
	v_add_f64_e32 v[10:11], v[10:11], v[129:130]
	v_fma_f64 v[107:108], v[107:108], v[89:90], v[127:128]
	v_fma_f64 v[89:90], v[105:106], v[89:90], -v[91:92]
	v_fma_f64 v[125:126], v[75:76], v[85:86], v[125:126]
	v_fma_f64 v[129:130], v[73:74], v[85:86], -v[87:88]
	ds_load_b128 v[73:76], v1 offset:832
	ds_load_b128 v[85:88], v1 offset:848
	v_add_f64_e32 v[2:3], v[2:3], v[117:118]
	v_add_f64_e32 v[10:11], v[10:11], v[119:120]
	s_wait_loadcnt_dscnt 0x701
	v_mul_f64_e32 v[117:118], v[73:74], v[95:96]
	v_mul_f64_e32 v[95:96], v[75:76], v[95:96]
	s_wait_loadcnt_dscnt 0x600
	v_mul_f64_e32 v[105:106], v[85:86], v[99:100]
	v_mul_f64_e32 v[99:100], v[87:88], v[99:100]
	v_add_f64_e32 v[2:3], v[2:3], v[129:130]
	v_add_f64_e32 v[10:11], v[10:11], v[125:126]
	v_fma_f64 v[117:118], v[75:76], v[93:94], v[117:118]
	v_fma_f64 v[93:94], v[73:74], v[93:94], -v[95:96]
	v_fma_f64 v[87:88], v[87:88], v[97:98], v[105:106]
	v_fma_f64 v[85:86], v[85:86], v[97:98], -v[99:100]
	v_add_f64_e32 v[2:3], v[2:3], v[89:90]
	v_add_f64_e32 v[10:11], v[10:11], v[107:108]
	ds_load_b128 v[73:76], v1 offset:864
	ds_load_b128 v[89:92], v1 offset:880
	s_wait_loadcnt_dscnt 0x501
	v_mul_f64_e32 v[95:96], v[73:74], v[103:104]
	v_mul_f64_e32 v[103:104], v[75:76], v[103:104]
	v_add_f64_e32 v[2:3], v[2:3], v[93:94]
	v_add_f64_e32 v[10:11], v[10:11], v[117:118]
	s_wait_loadcnt_dscnt 0x400
	v_mul_f64_e32 v[93:94], v[89:90], v[8:9]
	v_mul_f64_e32 v[97:98], v[91:92], v[8:9]
	v_fma_f64 v[95:96], v[75:76], v[101:102], v[95:96]
	v_fma_f64 v[99:100], v[73:74], v[101:102], -v[103:104]
	v_add_f64_e32 v[2:3], v[2:3], v[85:86]
	v_add_f64_e32 v[85:86], v[10:11], v[87:88]
	ds_load_b128 v[8:11], v1 offset:896
	ds_load_b128 v[73:76], v1 offset:912
	v_fma_f64 v[91:92], v[91:92], v[6:7], v[93:94]
	v_fma_f64 v[6:7], v[89:90], v[6:7], -v[97:98]
	s_wait_loadcnt_dscnt 0x301
	v_mul_f64_e32 v[87:88], v[8:9], v[111:112]
	v_mul_f64_e32 v[101:102], v[10:11], v[111:112]
	s_wait_loadcnt_dscnt 0x200
	v_mul_f64_e32 v[89:90], v[73:74], v[123:124]
	v_mul_f64_e32 v[93:94], v[75:76], v[123:124]
	v_add_f64_e32 v[2:3], v[2:3], v[99:100]
	v_add_f64_e32 v[85:86], v[85:86], v[95:96]
	v_fma_f64 v[10:11], v[10:11], v[109:110], v[87:88]
	v_fma_f64 v[87:88], v[8:9], v[109:110], -v[101:102]
	v_fma_f64 v[75:76], v[75:76], v[121:122], v[89:90]
	v_fma_f64 v[73:74], v[73:74], v[121:122], -v[93:94]
	v_add_f64_e32 v[95:96], v[2:3], v[6:7]
	v_add_f64_e32 v[85:86], v[85:86], v[91:92]
	ds_load_b128 v[6:9], v1 offset:928
	ds_load_b128 v[1:4], v1 offset:944
	s_wait_loadcnt_dscnt 0x101
	v_mul_f64_e32 v[91:92], v[6:7], v[79:80]
	v_mul_f64_e32 v[79:80], v[8:9], v[79:80]
	v_add_f64_e32 v[87:88], v[95:96], v[87:88]
	v_add_f64_e32 v[10:11], v[85:86], v[10:11]
	s_wait_loadcnt_dscnt 0x0
	v_mul_f64_e32 v[85:86], v[1:2], v[83:84]
	v_mul_f64_e32 v[83:84], v[3:4], v[83:84]
	v_fma_f64 v[8:9], v[8:9], v[77:78], v[91:92]
	v_fma_f64 v[6:7], v[6:7], v[77:78], -v[79:80]
	v_add_f64_e32 v[73:74], v[87:88], v[73:74]
	v_add_f64_e32 v[10:11], v[10:11], v[75:76]
	v_fma_f64 v[3:4], v[3:4], v[81:82], v[85:86]
	v_fma_f64 v[1:2], v[1:2], v[81:82], -v[83:84]
	s_delay_alu instid0(VALU_DEP_4) | instskip(NEXT) | instid1(VALU_DEP_4)
	v_add_f64_e32 v[6:7], v[73:74], v[6:7]
	v_add_f64_e32 v[8:9], v[10:11], v[8:9]
	s_delay_alu instid0(VALU_DEP_2) | instskip(NEXT) | instid1(VALU_DEP_2)
	v_add_f64_e32 v[1:2], v[6:7], v[1:2]
	v_add_f64_e32 v[3:4], v[8:9], v[3:4]
	s_delay_alu instid0(VALU_DEP_2) | instskip(NEXT) | instid1(VALU_DEP_2)
	v_add_f64_e64 v[1:2], v[113:114], -v[1:2]
	v_add_f64_e64 v[3:4], v[115:116], -v[3:4]
	scratch_store_b128 off, v[1:4], off offset:96
	v_cmpx_lt_u32_e32 4, v0
	s_cbranch_execz .LBB29_185
; %bb.184:
	scratch_load_b128 v[1:4], off, s19
	v_mov_b32_e32 v6, 0
	s_delay_alu instid0(VALU_DEP_1)
	v_dual_mov_b32 v7, v6 :: v_dual_mov_b32 v8, v6
	v_mov_b32_e32 v9, v6
	scratch_store_b128 off, v[6:9], off offset:80
	s_wait_loadcnt 0x0
	ds_store_b128 v5, v[1:4]
.LBB29_185:
	s_wait_alu 0xfffe
	s_or_b32 exec_lo, exec_lo, s0
	s_wait_storecnt_dscnt 0x0
	s_barrier_signal -1
	s_barrier_wait -1
	global_inv scope:SCOPE_SE
	s_clause 0x7
	scratch_load_b128 v[6:9], off, off offset:96
	scratch_load_b128 v[73:76], off, off offset:112
	;; [unrolled: 1-line block ×8, first 2 shown]
	v_mov_b32_e32 v1, 0
	s_mov_b32 s0, exec_lo
	ds_load_b128 v[101:104], v1 offset:560
	s_clause 0x1
	scratch_load_b128 v[105:108], off, off offset:224
	scratch_load_b128 v[109:112], off, off offset:80
	ds_load_b128 v[113:116], v1 offset:576
	ds_load_b128 v[121:124], v1 offset:608
	s_wait_loadcnt_dscnt 0x902
	v_mul_f64_e32 v[2:3], v[103:104], v[8:9]
	v_mul_f64_e32 v[117:118], v[101:102], v[8:9]
	scratch_load_b128 v[8:11], off, off offset:240
	v_fma_f64 v[2:3], v[101:102], v[6:7], -v[2:3]
	v_fma_f64 v[6:7], v[103:104], v[6:7], v[117:118]
	ds_load_b128 v[101:104], v1 offset:592
	s_wait_loadcnt_dscnt 0x902
	v_mul_f64_e32 v[125:126], v[113:114], v[75:76]
	v_mul_f64_e32 v[75:76], v[115:116], v[75:76]
	scratch_load_b128 v[117:120], off, off offset:256
	s_wait_loadcnt_dscnt 0x900
	v_mul_f64_e32 v[127:128], v[101:102], v[79:80]
	v_mul_f64_e32 v[79:80], v[103:104], v[79:80]
	v_add_f64_e32 v[2:3], 0, v[2:3]
	v_add_f64_e32 v[6:7], 0, v[6:7]
	v_fma_f64 v[115:116], v[115:116], v[73:74], v[125:126]
	v_fma_f64 v[113:114], v[113:114], v[73:74], -v[75:76]
	scratch_load_b128 v[73:76], off, off offset:272
	v_fma_f64 v[127:128], v[103:104], v[77:78], v[127:128]
	v_fma_f64 v[129:130], v[101:102], v[77:78], -v[79:80]
	ds_load_b128 v[77:80], v1 offset:624
	s_wait_loadcnt 0x9
	v_mul_f64_e32 v[125:126], v[121:122], v[83:84]
	v_mul_f64_e32 v[83:84], v[123:124], v[83:84]
	scratch_load_b128 v[101:104], off, off offset:288
	v_add_f64_e32 v[6:7], v[6:7], v[115:116]
	v_add_f64_e32 v[2:3], v[2:3], v[113:114]
	ds_load_b128 v[113:116], v1 offset:640
	s_wait_loadcnt_dscnt 0x901
	v_mul_f64_e32 v[131:132], v[77:78], v[87:88]
	v_mul_f64_e32 v[87:88], v[79:80], v[87:88]
	v_fma_f64 v[123:124], v[123:124], v[81:82], v[125:126]
	v_fma_f64 v[121:122], v[121:122], v[81:82], -v[83:84]
	scratch_load_b128 v[81:84], off, off offset:304
	v_add_f64_e32 v[6:7], v[6:7], v[127:128]
	v_add_f64_e32 v[2:3], v[2:3], v[129:130]
	v_fma_f64 v[127:128], v[79:80], v[85:86], v[131:132]
	v_fma_f64 v[129:130], v[77:78], v[85:86], -v[87:88]
	ds_load_b128 v[77:80], v1 offset:656
	s_wait_loadcnt_dscnt 0x901
	v_mul_f64_e32 v[125:126], v[113:114], v[91:92]
	v_mul_f64_e32 v[91:92], v[115:116], v[91:92]
	scratch_load_b128 v[85:88], off, off offset:320
	s_wait_loadcnt_dscnt 0x900
	v_mul_f64_e32 v[131:132], v[77:78], v[95:96]
	v_mul_f64_e32 v[95:96], v[79:80], v[95:96]
	v_add_f64_e32 v[6:7], v[6:7], v[123:124]
	v_add_f64_e32 v[2:3], v[2:3], v[121:122]
	ds_load_b128 v[121:124], v1 offset:672
	v_fma_f64 v[115:116], v[115:116], v[89:90], v[125:126]
	v_fma_f64 v[113:114], v[113:114], v[89:90], -v[91:92]
	scratch_load_b128 v[89:92], off, off offset:336
	v_add_f64_e32 v[6:7], v[6:7], v[127:128]
	v_add_f64_e32 v[2:3], v[2:3], v[129:130]
	v_fma_f64 v[127:128], v[79:80], v[93:94], v[131:132]
	v_fma_f64 v[129:130], v[77:78], v[93:94], -v[95:96]
	ds_load_b128 v[77:80], v1 offset:688
	s_wait_loadcnt_dscnt 0x901
	v_mul_f64_e32 v[125:126], v[121:122], v[99:100]
	v_mul_f64_e32 v[99:100], v[123:124], v[99:100]
	scratch_load_b128 v[93:96], off, off offset:352
	s_wait_loadcnt_dscnt 0x900
	v_mul_f64_e32 v[131:132], v[77:78], v[107:108]
	v_mul_f64_e32 v[107:108], v[79:80], v[107:108]
	v_add_f64_e32 v[6:7], v[6:7], v[115:116]
	v_add_f64_e32 v[2:3], v[2:3], v[113:114]
	ds_load_b128 v[113:116], v1 offset:704
	v_fma_f64 v[123:124], v[123:124], v[97:98], v[125:126]
	v_fma_f64 v[121:122], v[121:122], v[97:98], -v[99:100]
	scratch_load_b128 v[97:100], off, off offset:368
	v_add_f64_e32 v[6:7], v[6:7], v[127:128]
	v_add_f64_e32 v[2:3], v[2:3], v[129:130]
	v_fma_f64 v[127:128], v[79:80], v[105:106], v[131:132]
	v_fma_f64 v[129:130], v[77:78], v[105:106], -v[107:108]
	ds_load_b128 v[77:80], v1 offset:720
	scratch_load_b128 v[105:108], off, off offset:384
	s_wait_loadcnt_dscnt 0x901
	v_mul_f64_e32 v[125:126], v[113:114], v[10:11]
	v_mul_f64_e32 v[10:11], v[115:116], v[10:11]
	v_add_f64_e32 v[6:7], v[6:7], v[123:124]
	v_add_f64_e32 v[2:3], v[2:3], v[121:122]
	ds_load_b128 v[121:124], v1 offset:736
	v_fma_f64 v[115:116], v[115:116], v[8:9], v[125:126]
	v_fma_f64 v[10:11], v[113:114], v[8:9], -v[10:11]
	s_wait_loadcnt_dscnt 0x801
	v_mul_f64_e32 v[131:132], v[77:78], v[119:120]
	v_mul_f64_e32 v[119:120], v[79:80], v[119:120]
	v_add_f64_e32 v[113:114], v[6:7], v[127:128]
	v_add_f64_e32 v[2:3], v[2:3], v[129:130]
	scratch_load_b128 v[6:9], off, off offset:400
	v_fma_f64 v[79:80], v[79:80], v[117:118], v[131:132]
	v_fma_f64 v[129:130], v[77:78], v[117:118], -v[119:120]
	ds_load_b128 v[117:120], v1 offset:768
	s_wait_loadcnt_dscnt 0x801
	v_mul_f64_e32 v[125:126], v[121:122], v[75:76]
	v_mul_f64_e32 v[127:128], v[123:124], v[75:76]
	ds_load_b128 v[75:78], v1 offset:752
	v_add_f64_e32 v[2:3], v[2:3], v[10:11]
	v_add_f64_e32 v[10:11], v[113:114], v[115:116]
	scratch_load_b128 v[113:116], off, off offset:416
	s_wait_loadcnt_dscnt 0x800
	v_mul_f64_e32 v[131:132], v[75:76], v[103:104]
	v_mul_f64_e32 v[103:104], v[77:78], v[103:104]
	v_fma_f64 v[125:126], v[123:124], v[73:74], v[125:126]
	v_fma_f64 v[73:74], v[121:122], v[73:74], -v[127:128]
	scratch_load_b128 v[121:124], off, off offset:432
	v_add_f64_e32 v[2:3], v[2:3], v[129:130]
	v_add_f64_e32 v[10:11], v[10:11], v[79:80]
	s_wait_loadcnt 0x8
	v_mul_f64_e32 v[127:128], v[117:118], v[83:84]
	v_mul_f64_e32 v[83:84], v[119:120], v[83:84]
	v_fma_f64 v[129:130], v[77:78], v[101:102], v[131:132]
	v_fma_f64 v[131:132], v[75:76], v[101:102], -v[103:104]
	scratch_load_b128 v[77:80], off, off offset:448
	ds_load_b128 v[101:104], v1 offset:800
	v_add_f64_e32 v[2:3], v[2:3], v[73:74]
	v_add_f64_e32 v[10:11], v[10:11], v[125:126]
	ds_load_b128 v[73:76], v1 offset:784
	v_fma_f64 v[119:120], v[119:120], v[81:82], v[127:128]
	v_fma_f64 v[117:118], v[117:118], v[81:82], -v[83:84]
	scratch_load_b128 v[81:84], off, off offset:464
	s_wait_loadcnt_dscnt 0x900
	v_mul_f64_e32 v[125:126], v[73:74], v[87:88]
	v_mul_f64_e32 v[87:88], v[75:76], v[87:88]
	s_wait_loadcnt 0x8
	v_mul_f64_e32 v[127:128], v[101:102], v[91:92]
	v_mul_f64_e32 v[91:92], v[103:104], v[91:92]
	v_add_f64_e32 v[2:3], v[2:3], v[131:132]
	v_add_f64_e32 v[10:11], v[10:11], v[129:130]
	v_fma_f64 v[125:126], v[75:76], v[85:86], v[125:126]
	v_fma_f64 v[129:130], v[73:74], v[85:86], -v[87:88]
	ds_load_b128 v[73:76], v1 offset:816
	scratch_load_b128 v[85:88], off, off offset:480
	v_fma_f64 v[103:104], v[103:104], v[89:90], v[127:128]
	v_fma_f64 v[89:90], v[101:102], v[89:90], -v[91:92]
	v_add_f64_e32 v[2:3], v[2:3], v[117:118]
	v_add_f64_e32 v[10:11], v[10:11], v[119:120]
	ds_load_b128 v[117:120], v1 offset:832
	s_wait_loadcnt_dscnt 0x801
	v_mul_f64_e32 v[131:132], v[73:74], v[95:96]
	v_mul_f64_e32 v[95:96], v[75:76], v[95:96]
	s_wait_loadcnt_dscnt 0x700
	v_mul_f64_e32 v[101:102], v[117:118], v[99:100]
	v_mul_f64_e32 v[99:100], v[119:120], v[99:100]
	v_add_f64_e32 v[2:3], v[2:3], v[129:130]
	v_add_f64_e32 v[10:11], v[10:11], v[125:126]
	v_fma_f64 v[125:126], v[75:76], v[93:94], v[131:132]
	v_fma_f64 v[93:94], v[73:74], v[93:94], -v[95:96]
	v_fma_f64 v[101:102], v[119:120], v[97:98], v[101:102]
	v_fma_f64 v[97:98], v[117:118], v[97:98], -v[99:100]
	v_add_f64_e32 v[2:3], v[2:3], v[89:90]
	v_add_f64_e32 v[10:11], v[10:11], v[103:104]
	ds_load_b128 v[73:76], v1 offset:848
	ds_load_b128 v[89:92], v1 offset:864
	s_wait_loadcnt_dscnt 0x601
	v_mul_f64_e32 v[95:96], v[73:74], v[107:108]
	v_mul_f64_e32 v[103:104], v[75:76], v[107:108]
	v_add_f64_e32 v[2:3], v[2:3], v[93:94]
	v_add_f64_e32 v[10:11], v[10:11], v[125:126]
	s_wait_loadcnt_dscnt 0x500
	v_mul_f64_e32 v[93:94], v[89:90], v[8:9]
	v_mul_f64_e32 v[99:100], v[91:92], v[8:9]
	v_fma_f64 v[95:96], v[75:76], v[105:106], v[95:96]
	v_fma_f64 v[103:104], v[73:74], v[105:106], -v[103:104]
	v_add_f64_e32 v[2:3], v[2:3], v[97:98]
	v_add_f64_e32 v[97:98], v[10:11], v[101:102]
	ds_load_b128 v[8:11], v1 offset:880
	ds_load_b128 v[73:76], v1 offset:896
	v_fma_f64 v[91:92], v[91:92], v[6:7], v[93:94]
	v_fma_f64 v[6:7], v[89:90], v[6:7], -v[99:100]
	s_wait_loadcnt_dscnt 0x401
	v_mul_f64_e32 v[101:102], v[8:9], v[115:116]
	v_mul_f64_e32 v[105:106], v[10:11], v[115:116]
	s_wait_loadcnt_dscnt 0x300
	v_mul_f64_e32 v[93:94], v[73:74], v[123:124]
	v_add_f64_e32 v[2:3], v[2:3], v[103:104]
	v_add_f64_e32 v[89:90], v[97:98], v[95:96]
	v_mul_f64_e32 v[95:96], v[75:76], v[123:124]
	v_fma_f64 v[10:11], v[10:11], v[113:114], v[101:102]
	v_fma_f64 v[97:98], v[8:9], v[113:114], -v[105:106]
	v_fma_f64 v[75:76], v[75:76], v[121:122], v[93:94]
	v_add_f64_e32 v[2:3], v[2:3], v[6:7]
	v_add_f64_e32 v[99:100], v[89:90], v[91:92]
	ds_load_b128 v[6:9], v1 offset:912
	ds_load_b128 v[89:92], v1 offset:928
	v_fma_f64 v[73:74], v[73:74], v[121:122], -v[95:96]
	s_wait_loadcnt_dscnt 0x201
	v_mul_f64_e32 v[101:102], v[6:7], v[79:80]
	v_mul_f64_e32 v[79:80], v[8:9], v[79:80]
	s_wait_loadcnt_dscnt 0x100
	v_mul_f64_e32 v[93:94], v[89:90], v[83:84]
	v_mul_f64_e32 v[83:84], v[91:92], v[83:84]
	v_add_f64_e32 v[2:3], v[2:3], v[97:98]
	v_add_f64_e32 v[10:11], v[99:100], v[10:11]
	v_fma_f64 v[95:96], v[8:9], v[77:78], v[101:102]
	v_fma_f64 v[77:78], v[6:7], v[77:78], -v[79:80]
	ds_load_b128 v[6:9], v1 offset:944
	v_fma_f64 v[79:80], v[91:92], v[81:82], v[93:94]
	v_fma_f64 v[81:82], v[89:90], v[81:82], -v[83:84]
	v_add_f64_e32 v[2:3], v[2:3], v[73:74]
	v_add_f64_e32 v[10:11], v[10:11], v[75:76]
	s_wait_loadcnt_dscnt 0x0
	v_mul_f64_e32 v[73:74], v[6:7], v[87:88]
	v_mul_f64_e32 v[75:76], v[8:9], v[87:88]
	s_delay_alu instid0(VALU_DEP_4) | instskip(NEXT) | instid1(VALU_DEP_4)
	v_add_f64_e32 v[2:3], v[2:3], v[77:78]
	v_add_f64_e32 v[10:11], v[10:11], v[95:96]
	s_delay_alu instid0(VALU_DEP_4) | instskip(NEXT) | instid1(VALU_DEP_4)
	v_fma_f64 v[8:9], v[8:9], v[85:86], v[73:74]
	v_fma_f64 v[6:7], v[6:7], v[85:86], -v[75:76]
	s_delay_alu instid0(VALU_DEP_4) | instskip(NEXT) | instid1(VALU_DEP_4)
	v_add_f64_e32 v[2:3], v[2:3], v[81:82]
	v_add_f64_e32 v[10:11], v[10:11], v[79:80]
	s_delay_alu instid0(VALU_DEP_2) | instskip(NEXT) | instid1(VALU_DEP_2)
	v_add_f64_e32 v[2:3], v[2:3], v[6:7]
	v_add_f64_e32 v[8:9], v[10:11], v[8:9]
	s_delay_alu instid0(VALU_DEP_2) | instskip(NEXT) | instid1(VALU_DEP_2)
	v_add_f64_e64 v[6:7], v[109:110], -v[2:3]
	v_add_f64_e64 v[8:9], v[111:112], -v[8:9]
	scratch_store_b128 off, v[6:9], off offset:80
	v_cmpx_lt_u32_e32 3, v0
	s_cbranch_execz .LBB29_187
; %bb.186:
	scratch_load_b128 v[6:9], off, s20
	v_dual_mov_b32 v2, v1 :: v_dual_mov_b32 v3, v1
	v_mov_b32_e32 v4, v1
	scratch_store_b128 off, v[1:4], off offset:64
	s_wait_loadcnt 0x0
	ds_store_b128 v5, v[6:9]
.LBB29_187:
	s_wait_alu 0xfffe
	s_or_b32 exec_lo, exec_lo, s0
	s_wait_storecnt_dscnt 0x0
	s_barrier_signal -1
	s_barrier_wait -1
	global_inv scope:SCOPE_SE
	s_clause 0x8
	scratch_load_b128 v[6:9], off, off offset:80
	scratch_load_b128 v[73:76], off, off offset:96
	;; [unrolled: 1-line block ×9, first 2 shown]
	ds_load_b128 v[105:108], v1 offset:544
	ds_load_b128 v[109:112], v1 offset:560
	scratch_load_b128 v[113:116], off, off offset:64
	s_mov_b32 s0, exec_lo
	ds_load_b128 v[121:124], v1 offset:592
	s_wait_loadcnt_dscnt 0x902
	v_mul_f64_e32 v[2:3], v[107:108], v[8:9]
	v_mul_f64_e32 v[117:118], v[105:106], v[8:9]
	scratch_load_b128 v[8:11], off, off offset:224
	s_wait_loadcnt_dscnt 0x901
	v_mul_f64_e32 v[125:126], v[109:110], v[75:76]
	v_mul_f64_e32 v[75:76], v[111:112], v[75:76]
	v_fma_f64 v[2:3], v[105:106], v[6:7], -v[2:3]
	v_fma_f64 v[6:7], v[107:108], v[6:7], v[117:118]
	ds_load_b128 v[105:108], v1 offset:576
	scratch_load_b128 v[117:120], off, off offset:240
	v_fma_f64 v[111:112], v[111:112], v[73:74], v[125:126]
	v_fma_f64 v[109:110], v[109:110], v[73:74], -v[75:76]
	scratch_load_b128 v[73:76], off, off offset:256
	s_wait_loadcnt_dscnt 0x901
	v_mul_f64_e32 v[125:126], v[121:122], v[83:84]
	v_mul_f64_e32 v[83:84], v[123:124], v[83:84]
	s_wait_dscnt 0x0
	v_mul_f64_e32 v[127:128], v[105:106], v[79:80]
	v_mul_f64_e32 v[79:80], v[107:108], v[79:80]
	v_add_f64_e32 v[2:3], 0, v[2:3]
	v_add_f64_e32 v[6:7], 0, v[6:7]
	v_fma_f64 v[123:124], v[123:124], v[81:82], v[125:126]
	v_fma_f64 v[121:122], v[121:122], v[81:82], -v[83:84]
	scratch_load_b128 v[81:84], off, off offset:288
	v_fma_f64 v[127:128], v[107:108], v[77:78], v[127:128]
	v_fma_f64 v[129:130], v[105:106], v[77:78], -v[79:80]
	ds_load_b128 v[77:80], v1 offset:608
	scratch_load_b128 v[105:108], off, off offset:272
	v_add_f64_e32 v[2:3], v[2:3], v[109:110]
	v_add_f64_e32 v[6:7], v[6:7], v[111:112]
	ds_load_b128 v[109:112], v1 offset:624
	s_wait_loadcnt_dscnt 0xa01
	v_mul_f64_e32 v[131:132], v[77:78], v[87:88]
	v_mul_f64_e32 v[87:88], v[79:80], v[87:88]
	s_wait_loadcnt_dscnt 0x900
	v_mul_f64_e32 v[125:126], v[109:110], v[91:92]
	v_mul_f64_e32 v[91:92], v[111:112], v[91:92]
	v_add_f64_e32 v[2:3], v[2:3], v[129:130]
	v_add_f64_e32 v[6:7], v[6:7], v[127:128]
	v_fma_f64 v[127:128], v[79:80], v[85:86], v[131:132]
	v_fma_f64 v[129:130], v[77:78], v[85:86], -v[87:88]
	ds_load_b128 v[77:80], v1 offset:640
	scratch_load_b128 v[85:88], off, off offset:304
	v_fma_f64 v[111:112], v[111:112], v[89:90], v[125:126]
	v_fma_f64 v[109:110], v[109:110], v[89:90], -v[91:92]
	scratch_load_b128 v[89:92], off, off offset:320
	v_add_f64_e32 v[2:3], v[2:3], v[121:122]
	v_add_f64_e32 v[6:7], v[6:7], v[123:124]
	ds_load_b128 v[121:124], v1 offset:656
	s_wait_loadcnt_dscnt 0xa01
	v_mul_f64_e32 v[131:132], v[77:78], v[95:96]
	v_mul_f64_e32 v[95:96], v[79:80], v[95:96]
	s_wait_loadcnt_dscnt 0x900
	v_mul_f64_e32 v[125:126], v[121:122], v[99:100]
	v_mul_f64_e32 v[99:100], v[123:124], v[99:100]
	v_add_f64_e32 v[2:3], v[2:3], v[129:130]
	v_add_f64_e32 v[6:7], v[6:7], v[127:128]
	v_fma_f64 v[127:128], v[79:80], v[93:94], v[131:132]
	v_fma_f64 v[129:130], v[77:78], v[93:94], -v[95:96]
	ds_load_b128 v[77:80], v1 offset:672
	scratch_load_b128 v[93:96], off, off offset:336
	v_fma_f64 v[123:124], v[123:124], v[97:98], v[125:126]
	v_fma_f64 v[121:122], v[121:122], v[97:98], -v[99:100]
	scratch_load_b128 v[97:100], off, off offset:352
	v_add_f64_e32 v[2:3], v[2:3], v[109:110]
	v_add_f64_e32 v[6:7], v[6:7], v[111:112]
	ds_load_b128 v[109:112], v1 offset:688
	s_wait_loadcnt_dscnt 0xa01
	v_mul_f64_e32 v[131:132], v[77:78], v[103:104]
	v_mul_f64_e32 v[103:104], v[79:80], v[103:104]
	v_add_f64_e32 v[2:3], v[2:3], v[129:130]
	v_add_f64_e32 v[6:7], v[6:7], v[127:128]
	s_delay_alu instid0(VALU_DEP_4) | instskip(NEXT) | instid1(VALU_DEP_4)
	v_fma_f64 v[127:128], v[79:80], v[101:102], v[131:132]
	v_fma_f64 v[129:130], v[77:78], v[101:102], -v[103:104]
	ds_load_b128 v[77:80], v1 offset:704
	scratch_load_b128 v[101:104], off, off offset:368
	s_wait_loadcnt_dscnt 0x901
	v_mul_f64_e32 v[125:126], v[109:110], v[10:11]
	v_mul_f64_e32 v[10:11], v[111:112], v[10:11]
	v_add_f64_e32 v[2:3], v[2:3], v[121:122]
	v_add_f64_e32 v[6:7], v[6:7], v[123:124]
	ds_load_b128 v[121:124], v1 offset:720
	v_fma_f64 v[111:112], v[111:112], v[8:9], v[125:126]
	s_wait_loadcnt_dscnt 0x801
	v_mul_f64_e32 v[131:132], v[77:78], v[119:120]
	v_mul_f64_e32 v[119:120], v[79:80], v[119:120]
	v_fma_f64 v[10:11], v[109:110], v[8:9], -v[10:11]
	s_wait_loadcnt_dscnt 0x700
	v_mul_f64_e32 v[125:126], v[121:122], v[75:76]
	v_add_f64_e32 v[2:3], v[2:3], v[129:130]
	v_add_f64_e32 v[109:110], v[6:7], v[127:128]
	scratch_load_b128 v[6:9], off, off offset:384
	v_mul_f64_e32 v[127:128], v[123:124], v[75:76]
	v_fma_f64 v[79:80], v[79:80], v[117:118], v[131:132]
	v_fma_f64 v[129:130], v[77:78], v[117:118], -v[119:120]
	ds_load_b128 v[75:78], v1 offset:736
	ds_load_b128 v[117:120], v1 offset:752
	v_fma_f64 v[125:126], v[123:124], v[73:74], v[125:126]
	v_add_f64_e32 v[2:3], v[2:3], v[10:11]
	v_add_f64_e32 v[10:11], v[109:110], v[111:112]
	scratch_load_b128 v[109:112], off, off offset:400
	s_wait_loadcnt_dscnt 0x701
	v_mul_f64_e32 v[131:132], v[75:76], v[107:108]
	v_mul_f64_e32 v[107:108], v[77:78], v[107:108]
	v_fma_f64 v[73:74], v[121:122], v[73:74], -v[127:128]
	scratch_load_b128 v[121:124], off, off offset:416
	s_wait_dscnt 0x0
	v_mul_f64_e32 v[127:128], v[117:118], v[83:84]
	v_mul_f64_e32 v[83:84], v[119:120], v[83:84]
	v_add_f64_e32 v[2:3], v[2:3], v[129:130]
	v_add_f64_e32 v[10:11], v[10:11], v[79:80]
	v_fma_f64 v[129:130], v[77:78], v[105:106], v[131:132]
	v_fma_f64 v[131:132], v[75:76], v[105:106], -v[107:108]
	scratch_load_b128 v[77:80], off, off offset:432
	ds_load_b128 v[105:108], v1 offset:784
	v_fma_f64 v[119:120], v[119:120], v[81:82], v[127:128]
	v_fma_f64 v[117:118], v[117:118], v[81:82], -v[83:84]
	scratch_load_b128 v[81:84], off, off offset:448
	v_add_f64_e32 v[2:3], v[2:3], v[73:74]
	v_add_f64_e32 v[10:11], v[10:11], v[125:126]
	ds_load_b128 v[73:76], v1 offset:768
	s_wait_loadcnt_dscnt 0x801
	v_mul_f64_e32 v[127:128], v[105:106], v[91:92]
	v_mul_f64_e32 v[91:92], v[107:108], v[91:92]
	s_wait_dscnt 0x0
	v_mul_f64_e32 v[125:126], v[73:74], v[87:88]
	v_mul_f64_e32 v[87:88], v[75:76], v[87:88]
	v_add_f64_e32 v[2:3], v[2:3], v[131:132]
	v_add_f64_e32 v[10:11], v[10:11], v[129:130]
	v_fma_f64 v[107:108], v[107:108], v[89:90], v[127:128]
	v_fma_f64 v[105:106], v[105:106], v[89:90], -v[91:92]
	scratch_load_b128 v[89:92], off, off offset:480
	v_fma_f64 v[125:126], v[75:76], v[85:86], v[125:126]
	v_fma_f64 v[129:130], v[73:74], v[85:86], -v[87:88]
	ds_load_b128 v[73:76], v1 offset:800
	scratch_load_b128 v[85:88], off, off offset:464
	v_add_f64_e32 v[2:3], v[2:3], v[117:118]
	v_add_f64_e32 v[10:11], v[10:11], v[119:120]
	ds_load_b128 v[117:120], v1 offset:816
	s_wait_loadcnt_dscnt 0x901
	v_mul_f64_e32 v[131:132], v[73:74], v[95:96]
	v_mul_f64_e32 v[95:96], v[75:76], v[95:96]
	v_add_f64_e32 v[2:3], v[2:3], v[129:130]
	v_add_f64_e32 v[10:11], v[10:11], v[125:126]
	s_wait_loadcnt_dscnt 0x800
	v_mul_f64_e32 v[125:126], v[117:118], v[99:100]
	v_mul_f64_e32 v[99:100], v[119:120], v[99:100]
	v_fma_f64 v[127:128], v[75:76], v[93:94], v[131:132]
	v_fma_f64 v[129:130], v[73:74], v[93:94], -v[95:96]
	ds_load_b128 v[73:76], v1 offset:832
	ds_load_b128 v[93:96], v1 offset:848
	v_add_f64_e32 v[2:3], v[2:3], v[105:106]
	v_add_f64_e32 v[10:11], v[10:11], v[107:108]
	s_wait_loadcnt_dscnt 0x701
	v_mul_f64_e32 v[105:106], v[73:74], v[103:104]
	v_mul_f64_e32 v[103:104], v[75:76], v[103:104]
	v_fma_f64 v[107:108], v[119:120], v[97:98], v[125:126]
	v_fma_f64 v[97:98], v[117:118], v[97:98], -v[99:100]
	v_add_f64_e32 v[2:3], v[2:3], v[129:130]
	v_add_f64_e32 v[10:11], v[10:11], v[127:128]
	v_fma_f64 v[105:106], v[75:76], v[101:102], v[105:106]
	v_fma_f64 v[101:102], v[73:74], v[101:102], -v[103:104]
	s_wait_loadcnt_dscnt 0x600
	v_mul_f64_e32 v[99:100], v[93:94], v[8:9]
	v_mul_f64_e32 v[117:118], v[95:96], v[8:9]
	v_add_f64_e32 v[2:3], v[2:3], v[97:98]
	v_add_f64_e32 v[97:98], v[10:11], v[107:108]
	ds_load_b128 v[8:11], v1 offset:864
	ds_load_b128 v[73:76], v1 offset:880
	v_fma_f64 v[95:96], v[95:96], v[6:7], v[99:100]
	v_fma_f64 v[6:7], v[93:94], v[6:7], -v[117:118]
	s_wait_loadcnt_dscnt 0x501
	v_mul_f64_e32 v[103:104], v[8:9], v[111:112]
	v_mul_f64_e32 v[107:108], v[10:11], v[111:112]
	s_wait_loadcnt_dscnt 0x400
	v_mul_f64_e32 v[99:100], v[75:76], v[123:124]
	v_add_f64_e32 v[2:3], v[2:3], v[101:102]
	v_add_f64_e32 v[93:94], v[97:98], v[105:106]
	v_mul_f64_e32 v[97:98], v[73:74], v[123:124]
	v_fma_f64 v[10:11], v[10:11], v[109:110], v[103:104]
	v_fma_f64 v[101:102], v[8:9], v[109:110], -v[107:108]
	v_fma_f64 v[73:74], v[73:74], v[121:122], -v[99:100]
	v_add_f64_e32 v[2:3], v[2:3], v[6:7]
	v_add_f64_e32 v[103:104], v[93:94], v[95:96]
	ds_load_b128 v[6:9], v1 offset:896
	ds_load_b128 v[93:96], v1 offset:912
	v_fma_f64 v[75:76], v[75:76], v[121:122], v[97:98]
	s_wait_loadcnt_dscnt 0x301
	v_mul_f64_e32 v[105:106], v[6:7], v[79:80]
	v_mul_f64_e32 v[79:80], v[8:9], v[79:80]
	s_wait_loadcnt_dscnt 0x200
	v_mul_f64_e32 v[97:98], v[93:94], v[83:84]
	v_mul_f64_e32 v[83:84], v[95:96], v[83:84]
	v_add_f64_e32 v[2:3], v[2:3], v[101:102]
	v_add_f64_e32 v[10:11], v[103:104], v[10:11]
	v_fma_f64 v[99:100], v[8:9], v[77:78], v[105:106]
	v_fma_f64 v[77:78], v[6:7], v[77:78], -v[79:80]
	s_delay_alu instid0(VALU_DEP_4) | instskip(NEXT) | instid1(VALU_DEP_4)
	v_add_f64_e32 v[73:74], v[2:3], v[73:74]
	v_add_f64_e32 v[10:11], v[10:11], v[75:76]
	ds_load_b128 v[6:9], v1 offset:928
	ds_load_b128 v[1:4], v1 offset:944
	s_wait_loadcnt_dscnt 0x1
	v_mul_f64_e32 v[75:76], v[6:7], v[87:88]
	v_mul_f64_e32 v[79:80], v[8:9], v[87:88]
	v_fma_f64 v[87:88], v[95:96], v[81:82], v[97:98]
	v_fma_f64 v[81:82], v[93:94], v[81:82], -v[83:84]
	s_wait_dscnt 0x0
	v_mul_f64_e32 v[83:84], v[3:4], v[91:92]
	v_add_f64_e32 v[73:74], v[73:74], v[77:78]
	v_add_f64_e32 v[10:11], v[10:11], v[99:100]
	v_mul_f64_e32 v[77:78], v[1:2], v[91:92]
	v_fma_f64 v[8:9], v[8:9], v[85:86], v[75:76]
	v_fma_f64 v[6:7], v[6:7], v[85:86], -v[79:80]
	v_fma_f64 v[1:2], v[1:2], v[89:90], -v[83:84]
	v_add_f64_e32 v[73:74], v[73:74], v[81:82]
	v_add_f64_e32 v[10:11], v[10:11], v[87:88]
	v_fma_f64 v[3:4], v[3:4], v[89:90], v[77:78]
	s_delay_alu instid0(VALU_DEP_3) | instskip(NEXT) | instid1(VALU_DEP_3)
	v_add_f64_e32 v[6:7], v[73:74], v[6:7]
	v_add_f64_e32 v[8:9], v[10:11], v[8:9]
	s_delay_alu instid0(VALU_DEP_2) | instskip(NEXT) | instid1(VALU_DEP_2)
	v_add_f64_e32 v[1:2], v[6:7], v[1:2]
	v_add_f64_e32 v[3:4], v[8:9], v[3:4]
	s_delay_alu instid0(VALU_DEP_2) | instskip(NEXT) | instid1(VALU_DEP_2)
	v_add_f64_e64 v[1:2], v[113:114], -v[1:2]
	v_add_f64_e64 v[3:4], v[115:116], -v[3:4]
	scratch_store_b128 off, v[1:4], off offset:64
	v_cmpx_lt_u32_e32 2, v0
	s_cbranch_execz .LBB29_189
; %bb.188:
	scratch_load_b128 v[1:4], off, s21
	v_mov_b32_e32 v6, 0
	s_delay_alu instid0(VALU_DEP_1)
	v_dual_mov_b32 v7, v6 :: v_dual_mov_b32 v8, v6
	v_mov_b32_e32 v9, v6
	scratch_store_b128 off, v[6:9], off offset:48
	s_wait_loadcnt 0x0
	ds_store_b128 v5, v[1:4]
.LBB29_189:
	s_wait_alu 0xfffe
	s_or_b32 exec_lo, exec_lo, s0
	s_wait_storecnt_dscnt 0x0
	s_barrier_signal -1
	s_barrier_wait -1
	global_inv scope:SCOPE_SE
	s_clause 0x7
	scratch_load_b128 v[6:9], off, off offset:64
	scratch_load_b128 v[73:76], off, off offset:80
	;; [unrolled: 1-line block ×8, first 2 shown]
	v_mov_b32_e32 v1, 0
	s_mov_b32 s0, exec_lo
	ds_load_b128 v[101:104], v1 offset:528
	s_clause 0x1
	scratch_load_b128 v[105:108], off, off offset:192
	scratch_load_b128 v[109:112], off, off offset:48
	ds_load_b128 v[113:116], v1 offset:544
	ds_load_b128 v[121:124], v1 offset:576
	s_wait_loadcnt_dscnt 0x902
	v_mul_f64_e32 v[2:3], v[103:104], v[8:9]
	v_mul_f64_e32 v[117:118], v[101:102], v[8:9]
	scratch_load_b128 v[8:11], off, off offset:208
	v_fma_f64 v[2:3], v[101:102], v[6:7], -v[2:3]
	v_fma_f64 v[6:7], v[103:104], v[6:7], v[117:118]
	ds_load_b128 v[101:104], v1 offset:560
	s_wait_loadcnt_dscnt 0x902
	v_mul_f64_e32 v[125:126], v[113:114], v[75:76]
	v_mul_f64_e32 v[75:76], v[115:116], v[75:76]
	scratch_load_b128 v[117:120], off, off offset:224
	s_wait_loadcnt_dscnt 0x900
	v_mul_f64_e32 v[127:128], v[101:102], v[79:80]
	v_mul_f64_e32 v[79:80], v[103:104], v[79:80]
	v_add_f64_e32 v[2:3], 0, v[2:3]
	v_add_f64_e32 v[6:7], 0, v[6:7]
	v_fma_f64 v[115:116], v[115:116], v[73:74], v[125:126]
	v_fma_f64 v[113:114], v[113:114], v[73:74], -v[75:76]
	scratch_load_b128 v[73:76], off, off offset:240
	v_fma_f64 v[127:128], v[103:104], v[77:78], v[127:128]
	v_fma_f64 v[129:130], v[101:102], v[77:78], -v[79:80]
	ds_load_b128 v[77:80], v1 offset:592
	s_wait_loadcnt 0x9
	v_mul_f64_e32 v[125:126], v[121:122], v[83:84]
	v_mul_f64_e32 v[83:84], v[123:124], v[83:84]
	scratch_load_b128 v[101:104], off, off offset:256
	v_add_f64_e32 v[6:7], v[6:7], v[115:116]
	v_add_f64_e32 v[2:3], v[2:3], v[113:114]
	ds_load_b128 v[113:116], v1 offset:608
	s_wait_loadcnt_dscnt 0x901
	v_mul_f64_e32 v[131:132], v[77:78], v[87:88]
	v_mul_f64_e32 v[87:88], v[79:80], v[87:88]
	v_fma_f64 v[123:124], v[123:124], v[81:82], v[125:126]
	v_fma_f64 v[121:122], v[121:122], v[81:82], -v[83:84]
	scratch_load_b128 v[81:84], off, off offset:272
	v_add_f64_e32 v[6:7], v[6:7], v[127:128]
	v_add_f64_e32 v[2:3], v[2:3], v[129:130]
	v_fma_f64 v[127:128], v[79:80], v[85:86], v[131:132]
	v_fma_f64 v[129:130], v[77:78], v[85:86], -v[87:88]
	ds_load_b128 v[77:80], v1 offset:624
	s_wait_loadcnt_dscnt 0x901
	v_mul_f64_e32 v[125:126], v[113:114], v[91:92]
	v_mul_f64_e32 v[91:92], v[115:116], v[91:92]
	scratch_load_b128 v[85:88], off, off offset:288
	s_wait_loadcnt_dscnt 0x900
	v_mul_f64_e32 v[131:132], v[77:78], v[95:96]
	v_mul_f64_e32 v[95:96], v[79:80], v[95:96]
	v_add_f64_e32 v[6:7], v[6:7], v[123:124]
	v_add_f64_e32 v[2:3], v[2:3], v[121:122]
	ds_load_b128 v[121:124], v1 offset:640
	v_fma_f64 v[115:116], v[115:116], v[89:90], v[125:126]
	v_fma_f64 v[113:114], v[113:114], v[89:90], -v[91:92]
	scratch_load_b128 v[89:92], off, off offset:304
	v_add_f64_e32 v[6:7], v[6:7], v[127:128]
	v_add_f64_e32 v[2:3], v[2:3], v[129:130]
	v_fma_f64 v[127:128], v[79:80], v[93:94], v[131:132]
	v_fma_f64 v[129:130], v[77:78], v[93:94], -v[95:96]
	ds_load_b128 v[77:80], v1 offset:656
	s_wait_loadcnt_dscnt 0x901
	v_mul_f64_e32 v[125:126], v[121:122], v[99:100]
	v_mul_f64_e32 v[99:100], v[123:124], v[99:100]
	scratch_load_b128 v[93:96], off, off offset:320
	s_wait_loadcnt_dscnt 0x900
	v_mul_f64_e32 v[131:132], v[77:78], v[107:108]
	v_mul_f64_e32 v[107:108], v[79:80], v[107:108]
	v_add_f64_e32 v[6:7], v[6:7], v[115:116]
	v_add_f64_e32 v[2:3], v[2:3], v[113:114]
	ds_load_b128 v[113:116], v1 offset:672
	v_fma_f64 v[123:124], v[123:124], v[97:98], v[125:126]
	v_fma_f64 v[121:122], v[121:122], v[97:98], -v[99:100]
	scratch_load_b128 v[97:100], off, off offset:336
	v_add_f64_e32 v[6:7], v[6:7], v[127:128]
	v_add_f64_e32 v[2:3], v[2:3], v[129:130]
	v_fma_f64 v[127:128], v[79:80], v[105:106], v[131:132]
	v_fma_f64 v[129:130], v[77:78], v[105:106], -v[107:108]
	ds_load_b128 v[77:80], v1 offset:688
	scratch_load_b128 v[105:108], off, off offset:352
	s_wait_loadcnt_dscnt 0x901
	v_mul_f64_e32 v[125:126], v[113:114], v[10:11]
	v_mul_f64_e32 v[10:11], v[115:116], v[10:11]
	v_add_f64_e32 v[6:7], v[6:7], v[123:124]
	v_add_f64_e32 v[2:3], v[2:3], v[121:122]
	ds_load_b128 v[121:124], v1 offset:704
	v_fma_f64 v[115:116], v[115:116], v[8:9], v[125:126]
	v_fma_f64 v[10:11], v[113:114], v[8:9], -v[10:11]
	s_wait_loadcnt_dscnt 0x801
	v_mul_f64_e32 v[131:132], v[77:78], v[119:120]
	v_mul_f64_e32 v[119:120], v[79:80], v[119:120]
	v_add_f64_e32 v[113:114], v[6:7], v[127:128]
	v_add_f64_e32 v[2:3], v[2:3], v[129:130]
	scratch_load_b128 v[6:9], off, off offset:368
	v_fma_f64 v[79:80], v[79:80], v[117:118], v[131:132]
	v_fma_f64 v[129:130], v[77:78], v[117:118], -v[119:120]
	ds_load_b128 v[117:120], v1 offset:736
	s_wait_loadcnt_dscnt 0x801
	v_mul_f64_e32 v[125:126], v[121:122], v[75:76]
	v_mul_f64_e32 v[127:128], v[123:124], v[75:76]
	ds_load_b128 v[75:78], v1 offset:720
	v_add_f64_e32 v[2:3], v[2:3], v[10:11]
	v_add_f64_e32 v[10:11], v[113:114], v[115:116]
	scratch_load_b128 v[113:116], off, off offset:384
	s_wait_loadcnt_dscnt 0x800
	v_mul_f64_e32 v[131:132], v[75:76], v[103:104]
	v_mul_f64_e32 v[103:104], v[77:78], v[103:104]
	v_fma_f64 v[125:126], v[123:124], v[73:74], v[125:126]
	v_fma_f64 v[73:74], v[121:122], v[73:74], -v[127:128]
	scratch_load_b128 v[121:124], off, off offset:400
	v_add_f64_e32 v[2:3], v[2:3], v[129:130]
	v_add_f64_e32 v[10:11], v[10:11], v[79:80]
	s_wait_loadcnt 0x8
	v_mul_f64_e32 v[127:128], v[117:118], v[83:84]
	v_mul_f64_e32 v[83:84], v[119:120], v[83:84]
	v_fma_f64 v[129:130], v[77:78], v[101:102], v[131:132]
	v_fma_f64 v[131:132], v[75:76], v[101:102], -v[103:104]
	scratch_load_b128 v[77:80], off, off offset:416
	ds_load_b128 v[101:104], v1 offset:768
	v_add_f64_e32 v[2:3], v[2:3], v[73:74]
	v_add_f64_e32 v[10:11], v[10:11], v[125:126]
	ds_load_b128 v[73:76], v1 offset:752
	v_fma_f64 v[119:120], v[119:120], v[81:82], v[127:128]
	v_fma_f64 v[117:118], v[117:118], v[81:82], -v[83:84]
	scratch_load_b128 v[81:84], off, off offset:432
	s_wait_loadcnt_dscnt 0x900
	v_mul_f64_e32 v[125:126], v[73:74], v[87:88]
	v_mul_f64_e32 v[87:88], v[75:76], v[87:88]
	s_wait_loadcnt 0x8
	v_mul_f64_e32 v[127:128], v[101:102], v[91:92]
	v_mul_f64_e32 v[91:92], v[103:104], v[91:92]
	v_add_f64_e32 v[2:3], v[2:3], v[131:132]
	v_add_f64_e32 v[10:11], v[10:11], v[129:130]
	v_fma_f64 v[125:126], v[75:76], v[85:86], v[125:126]
	v_fma_f64 v[129:130], v[73:74], v[85:86], -v[87:88]
	ds_load_b128 v[73:76], v1 offset:784
	scratch_load_b128 v[85:88], off, off offset:448
	v_fma_f64 v[103:104], v[103:104], v[89:90], v[127:128]
	v_fma_f64 v[101:102], v[101:102], v[89:90], -v[91:92]
	scratch_load_b128 v[89:92], off, off offset:464
	v_add_f64_e32 v[2:3], v[2:3], v[117:118]
	v_add_f64_e32 v[10:11], v[10:11], v[119:120]
	ds_load_b128 v[117:120], v1 offset:800
	s_wait_loadcnt_dscnt 0x901
	v_mul_f64_e32 v[131:132], v[73:74], v[95:96]
	v_mul_f64_e32 v[95:96], v[75:76], v[95:96]
	s_wait_loadcnt_dscnt 0x800
	v_mul_f64_e32 v[127:128], v[119:120], v[99:100]
	v_add_f64_e32 v[2:3], v[2:3], v[129:130]
	v_add_f64_e32 v[10:11], v[10:11], v[125:126]
	v_mul_f64_e32 v[125:126], v[117:118], v[99:100]
	v_fma_f64 v[129:130], v[75:76], v[93:94], v[131:132]
	v_fma_f64 v[131:132], v[73:74], v[93:94], -v[95:96]
	ds_load_b128 v[73:76], v1 offset:816
	scratch_load_b128 v[93:96], off, off offset:480
	v_add_f64_e32 v[2:3], v[2:3], v[101:102]
	v_add_f64_e32 v[10:11], v[10:11], v[103:104]
	ds_load_b128 v[99:102], v1 offset:832
	s_wait_loadcnt_dscnt 0x801
	v_mul_f64_e32 v[103:104], v[73:74], v[107:108]
	v_mul_f64_e32 v[107:108], v[75:76], v[107:108]
	v_fma_f64 v[119:120], v[119:120], v[97:98], v[125:126]
	v_fma_f64 v[97:98], v[117:118], v[97:98], -v[127:128]
	v_add_f64_e32 v[2:3], v[2:3], v[131:132]
	v_add_f64_e32 v[10:11], v[10:11], v[129:130]
	v_fma_f64 v[103:104], v[75:76], v[105:106], v[103:104]
	v_fma_f64 v[105:106], v[73:74], v[105:106], -v[107:108]
	s_wait_loadcnt_dscnt 0x700
	v_mul_f64_e32 v[117:118], v[99:100], v[8:9]
	v_mul_f64_e32 v[125:126], v[101:102], v[8:9]
	v_add_f64_e32 v[2:3], v[2:3], v[97:98]
	v_add_f64_e32 v[97:98], v[10:11], v[119:120]
	ds_load_b128 v[8:11], v1 offset:848
	ds_load_b128 v[73:76], v1 offset:864
	v_fma_f64 v[101:102], v[101:102], v[6:7], v[117:118]
	v_fma_f64 v[6:7], v[99:100], v[6:7], -v[125:126]
	s_wait_loadcnt_dscnt 0x601
	v_mul_f64_e32 v[107:108], v[8:9], v[115:116]
	v_mul_f64_e32 v[115:116], v[10:11], v[115:116]
	v_add_f64_e32 v[2:3], v[2:3], v[105:106]
	v_add_f64_e32 v[97:98], v[97:98], v[103:104]
	s_wait_loadcnt_dscnt 0x500
	v_mul_f64_e32 v[103:104], v[73:74], v[123:124]
	v_mul_f64_e32 v[105:106], v[75:76], v[123:124]
	v_fma_f64 v[10:11], v[10:11], v[113:114], v[107:108]
	v_fma_f64 v[107:108], v[8:9], v[113:114], -v[115:116]
	v_add_f64_e32 v[2:3], v[2:3], v[6:7]
	v_add_f64_e32 v[101:102], v[97:98], v[101:102]
	ds_load_b128 v[6:9], v1 offset:880
	ds_load_b128 v[97:100], v1 offset:896
	v_fma_f64 v[75:76], v[75:76], v[121:122], v[103:104]
	v_fma_f64 v[73:74], v[73:74], v[121:122], -v[105:106]
	s_wait_loadcnt_dscnt 0x401
	v_mul_f64_e32 v[113:114], v[6:7], v[79:80]
	v_mul_f64_e32 v[79:80], v[8:9], v[79:80]
	v_add_f64_e32 v[2:3], v[2:3], v[107:108]
	v_add_f64_e32 v[10:11], v[101:102], v[10:11]
	s_wait_loadcnt_dscnt 0x300
	v_mul_f64_e32 v[101:102], v[97:98], v[83:84]
	v_mul_f64_e32 v[83:84], v[99:100], v[83:84]
	v_fma_f64 v[103:104], v[8:9], v[77:78], v[113:114]
	v_fma_f64 v[77:78], v[6:7], v[77:78], -v[79:80]
	v_add_f64_e32 v[2:3], v[2:3], v[73:74]
	v_add_f64_e32 v[10:11], v[10:11], v[75:76]
	ds_load_b128 v[6:9], v1 offset:912
	ds_load_b128 v[73:76], v1 offset:928
	v_fma_f64 v[99:100], v[99:100], v[81:82], v[101:102]
	v_fma_f64 v[81:82], v[97:98], v[81:82], -v[83:84]
	s_wait_loadcnt_dscnt 0x201
	v_mul_f64_e32 v[79:80], v[6:7], v[87:88]
	v_mul_f64_e32 v[87:88], v[8:9], v[87:88]
	s_wait_loadcnt_dscnt 0x100
	v_mul_f64_e32 v[83:84], v[75:76], v[91:92]
	v_add_f64_e32 v[2:3], v[2:3], v[77:78]
	v_add_f64_e32 v[10:11], v[10:11], v[103:104]
	v_mul_f64_e32 v[77:78], v[73:74], v[91:92]
	v_fma_f64 v[79:80], v[8:9], v[85:86], v[79:80]
	v_fma_f64 v[85:86], v[6:7], v[85:86], -v[87:88]
	ds_load_b128 v[6:9], v1 offset:944
	v_fma_f64 v[73:74], v[73:74], v[89:90], -v[83:84]
	v_add_f64_e32 v[2:3], v[2:3], v[81:82]
	v_add_f64_e32 v[10:11], v[10:11], v[99:100]
	v_fma_f64 v[75:76], v[75:76], v[89:90], v[77:78]
	s_wait_loadcnt_dscnt 0x0
	v_mul_f64_e32 v[81:82], v[6:7], v[95:96]
	v_mul_f64_e32 v[87:88], v[8:9], v[95:96]
	v_add_f64_e32 v[2:3], v[2:3], v[85:86]
	v_add_f64_e32 v[10:11], v[10:11], v[79:80]
	s_delay_alu instid0(VALU_DEP_4) | instskip(NEXT) | instid1(VALU_DEP_4)
	v_fma_f64 v[8:9], v[8:9], v[93:94], v[81:82]
	v_fma_f64 v[6:7], v[6:7], v[93:94], -v[87:88]
	s_delay_alu instid0(VALU_DEP_4) | instskip(NEXT) | instid1(VALU_DEP_4)
	v_add_f64_e32 v[2:3], v[2:3], v[73:74]
	v_add_f64_e32 v[10:11], v[10:11], v[75:76]
	s_delay_alu instid0(VALU_DEP_2) | instskip(NEXT) | instid1(VALU_DEP_2)
	v_add_f64_e32 v[2:3], v[2:3], v[6:7]
	v_add_f64_e32 v[8:9], v[10:11], v[8:9]
	s_delay_alu instid0(VALU_DEP_2) | instskip(NEXT) | instid1(VALU_DEP_2)
	v_add_f64_e64 v[6:7], v[109:110], -v[2:3]
	v_add_f64_e64 v[8:9], v[111:112], -v[8:9]
	scratch_store_b128 off, v[6:9], off offset:48
	v_cmpx_lt_u32_e32 1, v0
	s_cbranch_execz .LBB29_191
; %bb.190:
	scratch_load_b128 v[6:9], off, s22
	v_dual_mov_b32 v2, v1 :: v_dual_mov_b32 v3, v1
	v_mov_b32_e32 v4, v1
	scratch_store_b128 off, v[1:4], off offset:32
	s_wait_loadcnt 0x0
	ds_store_b128 v5, v[6:9]
.LBB29_191:
	s_wait_alu 0xfffe
	s_or_b32 exec_lo, exec_lo, s0
	s_wait_storecnt_dscnt 0x0
	s_barrier_signal -1
	s_barrier_wait -1
	global_inv scope:SCOPE_SE
	s_clause 0x8
	scratch_load_b128 v[6:9], off, off offset:48
	scratch_load_b128 v[73:76], off, off offset:64
	;; [unrolled: 1-line block ×9, first 2 shown]
	ds_load_b128 v[105:108], v1 offset:512
	ds_load_b128 v[109:112], v1 offset:528
	scratch_load_b128 v[113:116], off, off offset:32
	s_mov_b32 s0, exec_lo
	ds_load_b128 v[121:124], v1 offset:560
	s_wait_loadcnt_dscnt 0x902
	v_mul_f64_e32 v[2:3], v[107:108], v[8:9]
	v_mul_f64_e32 v[117:118], v[105:106], v[8:9]
	scratch_load_b128 v[8:11], off, off offset:192
	s_wait_loadcnt_dscnt 0x901
	v_mul_f64_e32 v[125:126], v[109:110], v[75:76]
	v_mul_f64_e32 v[75:76], v[111:112], v[75:76]
	v_fma_f64 v[2:3], v[105:106], v[6:7], -v[2:3]
	v_fma_f64 v[6:7], v[107:108], v[6:7], v[117:118]
	ds_load_b128 v[105:108], v1 offset:544
	scratch_load_b128 v[117:120], off, off offset:208
	v_fma_f64 v[111:112], v[111:112], v[73:74], v[125:126]
	v_fma_f64 v[109:110], v[109:110], v[73:74], -v[75:76]
	scratch_load_b128 v[73:76], off, off offset:224
	s_wait_loadcnt_dscnt 0x901
	v_mul_f64_e32 v[125:126], v[121:122], v[83:84]
	v_mul_f64_e32 v[83:84], v[123:124], v[83:84]
	s_wait_dscnt 0x0
	v_mul_f64_e32 v[127:128], v[105:106], v[79:80]
	v_mul_f64_e32 v[79:80], v[107:108], v[79:80]
	v_add_f64_e32 v[2:3], 0, v[2:3]
	v_add_f64_e32 v[6:7], 0, v[6:7]
	v_fma_f64 v[123:124], v[123:124], v[81:82], v[125:126]
	v_fma_f64 v[121:122], v[121:122], v[81:82], -v[83:84]
	scratch_load_b128 v[81:84], off, off offset:256
	v_fma_f64 v[127:128], v[107:108], v[77:78], v[127:128]
	v_fma_f64 v[129:130], v[105:106], v[77:78], -v[79:80]
	ds_load_b128 v[77:80], v1 offset:576
	scratch_load_b128 v[105:108], off, off offset:240
	v_add_f64_e32 v[2:3], v[2:3], v[109:110]
	v_add_f64_e32 v[6:7], v[6:7], v[111:112]
	ds_load_b128 v[109:112], v1 offset:592
	s_wait_loadcnt_dscnt 0xa01
	v_mul_f64_e32 v[131:132], v[77:78], v[87:88]
	v_mul_f64_e32 v[87:88], v[79:80], v[87:88]
	s_wait_loadcnt_dscnt 0x900
	v_mul_f64_e32 v[125:126], v[109:110], v[91:92]
	v_mul_f64_e32 v[91:92], v[111:112], v[91:92]
	v_add_f64_e32 v[2:3], v[2:3], v[129:130]
	v_add_f64_e32 v[6:7], v[6:7], v[127:128]
	v_fma_f64 v[127:128], v[79:80], v[85:86], v[131:132]
	v_fma_f64 v[129:130], v[77:78], v[85:86], -v[87:88]
	ds_load_b128 v[77:80], v1 offset:608
	scratch_load_b128 v[85:88], off, off offset:272
	v_fma_f64 v[111:112], v[111:112], v[89:90], v[125:126]
	v_fma_f64 v[109:110], v[109:110], v[89:90], -v[91:92]
	scratch_load_b128 v[89:92], off, off offset:288
	v_add_f64_e32 v[2:3], v[2:3], v[121:122]
	v_add_f64_e32 v[6:7], v[6:7], v[123:124]
	ds_load_b128 v[121:124], v1 offset:624
	s_wait_loadcnt_dscnt 0xa01
	v_mul_f64_e32 v[131:132], v[77:78], v[95:96]
	v_mul_f64_e32 v[95:96], v[79:80], v[95:96]
	s_wait_loadcnt_dscnt 0x900
	v_mul_f64_e32 v[125:126], v[121:122], v[99:100]
	v_mul_f64_e32 v[99:100], v[123:124], v[99:100]
	v_add_f64_e32 v[2:3], v[2:3], v[129:130]
	v_add_f64_e32 v[6:7], v[6:7], v[127:128]
	v_fma_f64 v[127:128], v[79:80], v[93:94], v[131:132]
	v_fma_f64 v[129:130], v[77:78], v[93:94], -v[95:96]
	ds_load_b128 v[77:80], v1 offset:640
	scratch_load_b128 v[93:96], off, off offset:304
	v_fma_f64 v[123:124], v[123:124], v[97:98], v[125:126]
	v_fma_f64 v[121:122], v[121:122], v[97:98], -v[99:100]
	scratch_load_b128 v[97:100], off, off offset:320
	v_add_f64_e32 v[2:3], v[2:3], v[109:110]
	v_add_f64_e32 v[6:7], v[6:7], v[111:112]
	ds_load_b128 v[109:112], v1 offset:656
	s_wait_loadcnt_dscnt 0xa01
	v_mul_f64_e32 v[131:132], v[77:78], v[103:104]
	v_mul_f64_e32 v[103:104], v[79:80], v[103:104]
	v_add_f64_e32 v[2:3], v[2:3], v[129:130]
	v_add_f64_e32 v[6:7], v[6:7], v[127:128]
	s_delay_alu instid0(VALU_DEP_4) | instskip(NEXT) | instid1(VALU_DEP_4)
	v_fma_f64 v[127:128], v[79:80], v[101:102], v[131:132]
	v_fma_f64 v[129:130], v[77:78], v[101:102], -v[103:104]
	ds_load_b128 v[77:80], v1 offset:672
	scratch_load_b128 v[101:104], off, off offset:336
	s_wait_loadcnt_dscnt 0x901
	v_mul_f64_e32 v[125:126], v[109:110], v[10:11]
	v_mul_f64_e32 v[10:11], v[111:112], v[10:11]
	v_add_f64_e32 v[2:3], v[2:3], v[121:122]
	v_add_f64_e32 v[6:7], v[6:7], v[123:124]
	ds_load_b128 v[121:124], v1 offset:688
	v_fma_f64 v[111:112], v[111:112], v[8:9], v[125:126]
	s_wait_loadcnt_dscnt 0x801
	v_mul_f64_e32 v[131:132], v[77:78], v[119:120]
	v_mul_f64_e32 v[119:120], v[79:80], v[119:120]
	v_fma_f64 v[10:11], v[109:110], v[8:9], -v[10:11]
	s_wait_loadcnt_dscnt 0x700
	v_mul_f64_e32 v[125:126], v[121:122], v[75:76]
	v_add_f64_e32 v[2:3], v[2:3], v[129:130]
	v_add_f64_e32 v[109:110], v[6:7], v[127:128]
	scratch_load_b128 v[6:9], off, off offset:352
	v_mul_f64_e32 v[127:128], v[123:124], v[75:76]
	v_fma_f64 v[79:80], v[79:80], v[117:118], v[131:132]
	v_fma_f64 v[129:130], v[77:78], v[117:118], -v[119:120]
	ds_load_b128 v[75:78], v1 offset:704
	ds_load_b128 v[117:120], v1 offset:720
	v_fma_f64 v[125:126], v[123:124], v[73:74], v[125:126]
	v_add_f64_e32 v[2:3], v[2:3], v[10:11]
	v_add_f64_e32 v[10:11], v[109:110], v[111:112]
	scratch_load_b128 v[109:112], off, off offset:368
	s_wait_loadcnt_dscnt 0x701
	v_mul_f64_e32 v[131:132], v[75:76], v[107:108]
	v_mul_f64_e32 v[107:108], v[77:78], v[107:108]
	v_fma_f64 v[73:74], v[121:122], v[73:74], -v[127:128]
	scratch_load_b128 v[121:124], off, off offset:384
	s_wait_dscnt 0x0
	v_mul_f64_e32 v[127:128], v[117:118], v[83:84]
	v_mul_f64_e32 v[83:84], v[119:120], v[83:84]
	v_add_f64_e32 v[2:3], v[2:3], v[129:130]
	v_add_f64_e32 v[10:11], v[10:11], v[79:80]
	v_fma_f64 v[129:130], v[77:78], v[105:106], v[131:132]
	v_fma_f64 v[131:132], v[75:76], v[105:106], -v[107:108]
	scratch_load_b128 v[77:80], off, off offset:400
	ds_load_b128 v[105:108], v1 offset:752
	v_fma_f64 v[119:120], v[119:120], v[81:82], v[127:128]
	v_fma_f64 v[117:118], v[117:118], v[81:82], -v[83:84]
	scratch_load_b128 v[81:84], off, off offset:416
	v_add_f64_e32 v[2:3], v[2:3], v[73:74]
	v_add_f64_e32 v[10:11], v[10:11], v[125:126]
	ds_load_b128 v[73:76], v1 offset:736
	s_wait_loadcnt_dscnt 0x801
	v_mul_f64_e32 v[127:128], v[105:106], v[91:92]
	v_mul_f64_e32 v[91:92], v[107:108], v[91:92]
	s_wait_dscnt 0x0
	v_mul_f64_e32 v[125:126], v[73:74], v[87:88]
	v_mul_f64_e32 v[87:88], v[75:76], v[87:88]
	v_add_f64_e32 v[2:3], v[2:3], v[131:132]
	v_add_f64_e32 v[10:11], v[10:11], v[129:130]
	v_fma_f64 v[107:108], v[107:108], v[89:90], v[127:128]
	v_fma_f64 v[105:106], v[105:106], v[89:90], -v[91:92]
	scratch_load_b128 v[89:92], off, off offset:448
	v_fma_f64 v[125:126], v[75:76], v[85:86], v[125:126]
	v_fma_f64 v[129:130], v[73:74], v[85:86], -v[87:88]
	ds_load_b128 v[73:76], v1 offset:768
	scratch_load_b128 v[85:88], off, off offset:432
	v_add_f64_e32 v[2:3], v[2:3], v[117:118]
	v_add_f64_e32 v[10:11], v[10:11], v[119:120]
	ds_load_b128 v[117:120], v1 offset:784
	s_wait_loadcnt_dscnt 0x901
	v_mul_f64_e32 v[131:132], v[73:74], v[95:96]
	v_mul_f64_e32 v[95:96], v[75:76], v[95:96]
	v_add_f64_e32 v[2:3], v[2:3], v[129:130]
	v_add_f64_e32 v[10:11], v[10:11], v[125:126]
	s_wait_loadcnt_dscnt 0x800
	v_mul_f64_e32 v[125:126], v[117:118], v[99:100]
	v_mul_f64_e32 v[99:100], v[119:120], v[99:100]
	v_fma_f64 v[127:128], v[75:76], v[93:94], v[131:132]
	v_fma_f64 v[129:130], v[73:74], v[93:94], -v[95:96]
	ds_load_b128 v[73:76], v1 offset:800
	scratch_load_b128 v[93:96], off, off offset:464
	v_add_f64_e32 v[2:3], v[2:3], v[105:106]
	v_add_f64_e32 v[10:11], v[10:11], v[107:108]
	ds_load_b128 v[105:108], v1 offset:816
	s_wait_loadcnt_dscnt 0x801
	v_mul_f64_e32 v[131:132], v[73:74], v[103:104]
	v_mul_f64_e32 v[103:104], v[75:76], v[103:104]
	v_fma_f64 v[119:120], v[119:120], v[97:98], v[125:126]
	v_fma_f64 v[117:118], v[117:118], v[97:98], -v[99:100]
	scratch_load_b128 v[97:100], off, off offset:480
	v_add_f64_e32 v[2:3], v[2:3], v[129:130]
	v_add_f64_e32 v[10:11], v[10:11], v[127:128]
	v_fma_f64 v[129:130], v[75:76], v[101:102], v[131:132]
	v_fma_f64 v[101:102], v[73:74], v[101:102], -v[103:104]
	s_wait_loadcnt_dscnt 0x800
	v_mul_f64_e32 v[125:126], v[105:106], v[8:9]
	v_mul_f64_e32 v[127:128], v[107:108], v[8:9]
	v_add_f64_e32 v[2:3], v[2:3], v[117:118]
	v_add_f64_e32 v[103:104], v[10:11], v[119:120]
	ds_load_b128 v[8:11], v1 offset:832
	ds_load_b128 v[73:76], v1 offset:848
	v_fma_f64 v[107:108], v[107:108], v[6:7], v[125:126]
	v_fma_f64 v[6:7], v[105:106], v[6:7], -v[127:128]
	s_wait_loadcnt_dscnt 0x701
	v_mul_f64_e32 v[117:118], v[8:9], v[111:112]
	v_mul_f64_e32 v[111:112], v[10:11], v[111:112]
	s_wait_loadcnt_dscnt 0x600
	v_mul_f64_e32 v[105:106], v[73:74], v[123:124]
	v_mul_f64_e32 v[119:120], v[75:76], v[123:124]
	v_add_f64_e32 v[2:3], v[2:3], v[101:102]
	v_add_f64_e32 v[101:102], v[103:104], v[129:130]
	v_fma_f64 v[10:11], v[10:11], v[109:110], v[117:118]
	v_fma_f64 v[109:110], v[8:9], v[109:110], -v[111:112]
	v_fma_f64 v[75:76], v[75:76], v[121:122], v[105:106]
	v_fma_f64 v[73:74], v[73:74], v[121:122], -v[119:120]
	v_add_f64_e32 v[2:3], v[2:3], v[6:7]
	v_add_f64_e32 v[107:108], v[101:102], v[107:108]
	ds_load_b128 v[6:9], v1 offset:864
	ds_load_b128 v[101:104], v1 offset:880
	s_wait_loadcnt_dscnt 0x501
	v_mul_f64_e32 v[111:112], v[6:7], v[79:80]
	v_mul_f64_e32 v[79:80], v[8:9], v[79:80]
	s_wait_loadcnt_dscnt 0x400
	v_mul_f64_e32 v[105:106], v[101:102], v[83:84]
	v_mul_f64_e32 v[83:84], v[103:104], v[83:84]
	v_add_f64_e32 v[2:3], v[2:3], v[109:110]
	v_add_f64_e32 v[10:11], v[107:108], v[10:11]
	v_fma_f64 v[107:108], v[8:9], v[77:78], v[111:112]
	v_fma_f64 v[77:78], v[6:7], v[77:78], -v[79:80]
	v_fma_f64 v[103:104], v[103:104], v[81:82], v[105:106]
	v_fma_f64 v[81:82], v[101:102], v[81:82], -v[83:84]
	v_add_f64_e32 v[2:3], v[2:3], v[73:74]
	v_add_f64_e32 v[10:11], v[10:11], v[75:76]
	ds_load_b128 v[6:9], v1 offset:896
	ds_load_b128 v[73:76], v1 offset:912
	s_wait_loadcnt_dscnt 0x201
	v_mul_f64_e32 v[79:80], v[6:7], v[87:88]
	v_mul_f64_e32 v[87:88], v[8:9], v[87:88]
	s_wait_dscnt 0x0
	v_mul_f64_e32 v[83:84], v[75:76], v[91:92]
	v_add_f64_e32 v[2:3], v[2:3], v[77:78]
	v_add_f64_e32 v[10:11], v[10:11], v[107:108]
	v_mul_f64_e32 v[77:78], v[73:74], v[91:92]
	v_fma_f64 v[79:80], v[8:9], v[85:86], v[79:80]
	v_fma_f64 v[85:86], v[6:7], v[85:86], -v[87:88]
	v_fma_f64 v[73:74], v[73:74], v[89:90], -v[83:84]
	v_add_f64_e32 v[81:82], v[2:3], v[81:82]
	v_add_f64_e32 v[10:11], v[10:11], v[103:104]
	ds_load_b128 v[6:9], v1 offset:928
	ds_load_b128 v[1:4], v1 offset:944
	v_fma_f64 v[75:76], v[75:76], v[89:90], v[77:78]
	s_wait_loadcnt_dscnt 0x101
	v_mul_f64_e32 v[87:88], v[6:7], v[95:96]
	v_mul_f64_e32 v[91:92], v[8:9], v[95:96]
	v_add_f64_e32 v[77:78], v[81:82], v[85:86]
	v_add_f64_e32 v[10:11], v[10:11], v[79:80]
	s_wait_loadcnt_dscnt 0x0
	v_mul_f64_e32 v[79:80], v[1:2], v[99:100]
	v_mul_f64_e32 v[81:82], v[3:4], v[99:100]
	v_fma_f64 v[8:9], v[8:9], v[93:94], v[87:88]
	v_fma_f64 v[6:7], v[6:7], v[93:94], -v[91:92]
	v_add_f64_e32 v[73:74], v[77:78], v[73:74]
	v_add_f64_e32 v[10:11], v[10:11], v[75:76]
	v_fma_f64 v[3:4], v[3:4], v[97:98], v[79:80]
	v_fma_f64 v[1:2], v[1:2], v[97:98], -v[81:82]
	s_delay_alu instid0(VALU_DEP_4) | instskip(NEXT) | instid1(VALU_DEP_4)
	v_add_f64_e32 v[6:7], v[73:74], v[6:7]
	v_add_f64_e32 v[8:9], v[10:11], v[8:9]
	s_delay_alu instid0(VALU_DEP_2) | instskip(NEXT) | instid1(VALU_DEP_2)
	v_add_f64_e32 v[1:2], v[6:7], v[1:2]
	v_add_f64_e32 v[3:4], v[8:9], v[3:4]
	s_delay_alu instid0(VALU_DEP_2) | instskip(NEXT) | instid1(VALU_DEP_2)
	v_add_f64_e64 v[1:2], v[113:114], -v[1:2]
	v_add_f64_e64 v[3:4], v[115:116], -v[3:4]
	scratch_store_b128 off, v[1:4], off offset:32
	v_cmpx_ne_u32_e32 0, v0
	s_cbranch_execz .LBB29_193
; %bb.192:
	scratch_load_b128 v[0:3], off, off offset:16
	v_mov_b32_e32 v6, 0
	s_delay_alu instid0(VALU_DEP_1)
	v_dual_mov_b32 v7, v6 :: v_dual_mov_b32 v8, v6
	v_mov_b32_e32 v9, v6
	scratch_store_b128 off, v[6:9], off offset:16
	s_wait_loadcnt 0x0
	ds_store_b128 v5, v[0:3]
.LBB29_193:
	s_wait_alu 0xfffe
	s_or_b32 exec_lo, exec_lo, s0
	s_wait_storecnt_dscnt 0x0
	s_barrier_signal -1
	s_barrier_wait -1
	global_inv scope:SCOPE_SE
	s_clause 0x7
	scratch_load_b128 v[1:4], off, off offset:32
	scratch_load_b128 v[5:8], off, off offset:48
	;; [unrolled: 1-line block ×8, first 2 shown]
	v_mov_b32_e32 v0, 0
	s_and_b32 vcc_lo, exec_lo, s18
	ds_load_b128 v[93:96], v0 offset:496
	s_clause 0x1
	scratch_load_b128 v[97:100], off, off offset:160
	scratch_load_b128 v[101:104], off, off offset:16
	ds_load_b128 v[105:108], v0 offset:512
	scratch_load_b128 v[109:112], off, off offset:176
	s_wait_loadcnt_dscnt 0xa01
	v_mul_f64_e32 v[113:114], v[95:96], v[3:4]
	v_mul_f64_e32 v[3:4], v[93:94], v[3:4]
	s_delay_alu instid0(VALU_DEP_2) | instskip(NEXT) | instid1(VALU_DEP_2)
	v_fma_f64 v[119:120], v[93:94], v[1:2], -v[113:114]
	v_fma_f64 v[121:122], v[95:96], v[1:2], v[3:4]
	ds_load_b128 v[1:4], v0 offset:528
	s_wait_loadcnt_dscnt 0x901
	v_mul_f64_e32 v[117:118], v[105:106], v[7:8]
	v_mul_f64_e32 v[7:8], v[107:108], v[7:8]
	scratch_load_b128 v[93:96], off, off offset:192
	ds_load_b128 v[113:116], v0 offset:544
	s_wait_loadcnt_dscnt 0x901
	v_mul_f64_e32 v[123:124], v[1:2], v[11:12]
	v_mul_f64_e32 v[11:12], v[3:4], v[11:12]
	v_fma_f64 v[107:108], v[107:108], v[5:6], v[117:118]
	v_fma_f64 v[105:106], v[105:106], v[5:6], -v[7:8]
	v_add_f64_e32 v[117:118], 0, v[119:120]
	v_add_f64_e32 v[119:120], 0, v[121:122]
	scratch_load_b128 v[5:8], off, off offset:208
	v_fma_f64 v[123:124], v[3:4], v[9:10], v[123:124]
	v_fma_f64 v[125:126], v[1:2], v[9:10], -v[11:12]
	ds_load_b128 v[1:4], v0 offset:560
	s_wait_loadcnt_dscnt 0x901
	v_mul_f64_e32 v[121:122], v[113:114], v[75:76]
	v_mul_f64_e32 v[75:76], v[115:116], v[75:76]
	scratch_load_b128 v[9:12], off, off offset:224
	v_add_f64_e32 v[117:118], v[117:118], v[105:106]
	v_add_f64_e32 v[119:120], v[119:120], v[107:108]
	s_wait_loadcnt_dscnt 0x900
	v_mul_f64_e32 v[127:128], v[1:2], v[79:80]
	v_mul_f64_e32 v[79:80], v[3:4], v[79:80]
	ds_load_b128 v[105:108], v0 offset:576
	v_fma_f64 v[115:116], v[115:116], v[73:74], v[121:122]
	v_fma_f64 v[113:114], v[113:114], v[73:74], -v[75:76]
	scratch_load_b128 v[73:76], off, off offset:240
	v_add_f64_e32 v[117:118], v[117:118], v[125:126]
	v_add_f64_e32 v[119:120], v[119:120], v[123:124]
	v_fma_f64 v[123:124], v[3:4], v[77:78], v[127:128]
	v_fma_f64 v[125:126], v[1:2], v[77:78], -v[79:80]
	ds_load_b128 v[1:4], v0 offset:592
	s_wait_loadcnt_dscnt 0x901
	v_mul_f64_e32 v[121:122], v[105:106], v[83:84]
	v_mul_f64_e32 v[83:84], v[107:108], v[83:84]
	scratch_load_b128 v[77:80], off, off offset:256
	s_wait_loadcnt_dscnt 0x900
	v_mul_f64_e32 v[127:128], v[1:2], v[87:88]
	v_mul_f64_e32 v[87:88], v[3:4], v[87:88]
	v_add_f64_e32 v[117:118], v[117:118], v[113:114]
	v_add_f64_e32 v[119:120], v[119:120], v[115:116]
	ds_load_b128 v[113:116], v0 offset:608
	v_fma_f64 v[107:108], v[107:108], v[81:82], v[121:122]
	v_fma_f64 v[105:106], v[105:106], v[81:82], -v[83:84]
	scratch_load_b128 v[81:84], off, off offset:272
	v_add_f64_e32 v[117:118], v[117:118], v[125:126]
	v_add_f64_e32 v[119:120], v[119:120], v[123:124]
	v_fma_f64 v[123:124], v[3:4], v[85:86], v[127:128]
	v_fma_f64 v[125:126], v[1:2], v[85:86], -v[87:88]
	ds_load_b128 v[1:4], v0 offset:624
	s_wait_loadcnt_dscnt 0x901
	v_mul_f64_e32 v[121:122], v[113:114], v[91:92]
	v_mul_f64_e32 v[91:92], v[115:116], v[91:92]
	scratch_load_b128 v[85:88], off, off offset:288
	s_wait_loadcnt_dscnt 0x900
	v_mul_f64_e32 v[127:128], v[1:2], v[99:100]
	v_mul_f64_e32 v[99:100], v[3:4], v[99:100]
	v_add_f64_e32 v[117:118], v[117:118], v[105:106]
	v_add_f64_e32 v[119:120], v[119:120], v[107:108]
	ds_load_b128 v[105:108], v0 offset:640
	v_fma_f64 v[115:116], v[115:116], v[89:90], v[121:122]
	v_fma_f64 v[113:114], v[113:114], v[89:90], -v[91:92]
	scratch_load_b128 v[89:92], off, off offset:304
	v_add_f64_e32 v[117:118], v[117:118], v[125:126]
	v_add_f64_e32 v[119:120], v[119:120], v[123:124]
	v_fma_f64 v[125:126], v[3:4], v[97:98], v[127:128]
	v_fma_f64 v[127:128], v[1:2], v[97:98], -v[99:100]
	ds_load_b128 v[1:4], v0 offset:656
	s_wait_loadcnt_dscnt 0x801
	v_mul_f64_e32 v[121:122], v[105:106], v[111:112]
	v_mul_f64_e32 v[123:124], v[107:108], v[111:112]
	scratch_load_b128 v[97:100], off, off offset:320
	v_add_f64_e32 v[117:118], v[117:118], v[113:114]
	v_add_f64_e32 v[115:116], v[119:120], v[115:116]
	ds_load_b128 v[111:114], v0 offset:672
	v_fma_f64 v[121:122], v[107:108], v[109:110], v[121:122]
	v_fma_f64 v[109:110], v[105:106], v[109:110], -v[123:124]
	scratch_load_b128 v[105:108], off, off offset:336
	s_wait_loadcnt_dscnt 0x901
	v_mul_f64_e32 v[119:120], v[1:2], v[95:96]
	v_mul_f64_e32 v[95:96], v[3:4], v[95:96]
	v_add_f64_e32 v[117:118], v[117:118], v[127:128]
	v_add_f64_e32 v[115:116], v[115:116], v[125:126]
	s_delay_alu instid0(VALU_DEP_4) | instskip(NEXT) | instid1(VALU_DEP_4)
	v_fma_f64 v[119:120], v[3:4], v[93:94], v[119:120]
	v_fma_f64 v[125:126], v[1:2], v[93:94], -v[95:96]
	ds_load_b128 v[1:4], v0 offset:688
	s_wait_loadcnt_dscnt 0x801
	v_mul_f64_e32 v[123:124], v[111:112], v[7:8]
	v_mul_f64_e32 v[7:8], v[113:114], v[7:8]
	scratch_load_b128 v[93:96], off, off offset:352
	s_wait_loadcnt_dscnt 0x800
	v_mul_f64_e32 v[127:128], v[1:2], v[11:12]
	v_add_f64_e32 v[109:110], v[117:118], v[109:110]
	v_add_f64_e32 v[121:122], v[115:116], v[121:122]
	v_mul_f64_e32 v[11:12], v[3:4], v[11:12]
	ds_load_b128 v[115:118], v0 offset:704
	v_fma_f64 v[113:114], v[113:114], v[5:6], v[123:124]
	v_fma_f64 v[111:112], v[111:112], v[5:6], -v[7:8]
	scratch_load_b128 v[5:8], off, off offset:368
	v_fma_f64 v[123:124], v[3:4], v[9:10], v[127:128]
	v_add_f64_e32 v[109:110], v[109:110], v[125:126]
	v_add_f64_e32 v[119:120], v[121:122], v[119:120]
	v_fma_f64 v[125:126], v[1:2], v[9:10], -v[11:12]
	ds_load_b128 v[1:4], v0 offset:720
	s_wait_loadcnt_dscnt 0x801
	v_mul_f64_e32 v[121:122], v[115:116], v[75:76]
	v_mul_f64_e32 v[75:76], v[117:118], v[75:76]
	scratch_load_b128 v[9:12], off, off offset:384
	v_add_f64_e32 v[127:128], v[109:110], v[111:112]
	v_add_f64_e32 v[113:114], v[119:120], v[113:114]
	s_wait_loadcnt_dscnt 0x800
	v_mul_f64_e32 v[119:120], v[1:2], v[79:80]
	v_mul_f64_e32 v[79:80], v[3:4], v[79:80]
	v_fma_f64 v[117:118], v[117:118], v[73:74], v[121:122]
	v_fma_f64 v[115:116], v[115:116], v[73:74], -v[75:76]
	ds_load_b128 v[109:112], v0 offset:736
	scratch_load_b128 v[73:76], off, off offset:400
	v_add_f64_e32 v[121:122], v[127:128], v[125:126]
	v_add_f64_e32 v[113:114], v[113:114], v[123:124]
	v_fma_f64 v[119:120], v[3:4], v[77:78], v[119:120]
	v_fma_f64 v[125:126], v[1:2], v[77:78], -v[79:80]
	ds_load_b128 v[1:4], v0 offset:752
	s_wait_loadcnt_dscnt 0x801
	v_mul_f64_e32 v[123:124], v[109:110], v[83:84]
	v_mul_f64_e32 v[83:84], v[111:112], v[83:84]
	scratch_load_b128 v[77:80], off, off offset:416
	s_wait_loadcnt_dscnt 0x800
	v_mul_f64_e32 v[127:128], v[1:2], v[87:88]
	v_mul_f64_e32 v[87:88], v[3:4], v[87:88]
	v_add_f64_e32 v[121:122], v[121:122], v[115:116]
	v_add_f64_e32 v[117:118], v[113:114], v[117:118]
	ds_load_b128 v[113:116], v0 offset:768
	v_fma_f64 v[111:112], v[111:112], v[81:82], v[123:124]
	v_fma_f64 v[109:110], v[109:110], v[81:82], -v[83:84]
	scratch_load_b128 v[81:84], off, off offset:432
	v_fma_f64 v[123:124], v[3:4], v[85:86], v[127:128]
	v_add_f64_e32 v[121:122], v[121:122], v[125:126]
	v_add_f64_e32 v[117:118], v[117:118], v[119:120]
	v_fma_f64 v[125:126], v[1:2], v[85:86], -v[87:88]
	ds_load_b128 v[1:4], v0 offset:784
	s_wait_loadcnt_dscnt 0x801
	v_mul_f64_e32 v[119:120], v[113:114], v[91:92]
	v_mul_f64_e32 v[91:92], v[115:116], v[91:92]
	scratch_load_b128 v[85:88], off, off offset:448
	s_wait_loadcnt_dscnt 0x800
	v_mul_f64_e32 v[127:128], v[1:2], v[99:100]
	v_mul_f64_e32 v[99:100], v[3:4], v[99:100]
	v_add_f64_e32 v[121:122], v[121:122], v[109:110]
	v_add_f64_e32 v[117:118], v[117:118], v[111:112]
	ds_load_b128 v[109:112], v0 offset:800
	v_fma_f64 v[115:116], v[115:116], v[89:90], v[119:120]
	v_fma_f64 v[113:114], v[113:114], v[89:90], -v[91:92]
	scratch_load_b128 v[89:92], off, off offset:464
	v_add_f64_e32 v[119:120], v[121:122], v[125:126]
	v_add_f64_e32 v[117:118], v[117:118], v[123:124]
	v_fma_f64 v[123:124], v[3:4], v[97:98], v[127:128]
	v_fma_f64 v[125:126], v[1:2], v[97:98], -v[99:100]
	ds_load_b128 v[1:4], v0 offset:816
	s_wait_loadcnt_dscnt 0x801
	v_mul_f64_e32 v[121:122], v[109:110], v[107:108]
	v_mul_f64_e32 v[107:108], v[111:112], v[107:108]
	scratch_load_b128 v[97:100], off, off offset:480
	s_wait_loadcnt_dscnt 0x800
	v_mul_f64_e32 v[127:128], v[1:2], v[95:96]
	v_mul_f64_e32 v[95:96], v[3:4], v[95:96]
	v_add_f64_e32 v[119:120], v[119:120], v[113:114]
	v_add_f64_e32 v[117:118], v[117:118], v[115:116]
	ds_load_b128 v[113:116], v0 offset:832
	v_fma_f64 v[111:112], v[111:112], v[105:106], v[121:122]
	v_fma_f64 v[105:106], v[109:110], v[105:106], -v[107:108]
	v_fma_f64 v[121:122], v[1:2], v[93:94], -v[95:96]
	v_add_f64_e32 v[107:108], v[119:120], v[125:126]
	v_add_f64_e32 v[109:110], v[117:118], v[123:124]
	s_wait_loadcnt_dscnt 0x700
	v_mul_f64_e32 v[117:118], v[113:114], v[7:8]
	v_mul_f64_e32 v[7:8], v[115:116], v[7:8]
	v_fma_f64 v[119:120], v[3:4], v[93:94], v[127:128]
	ds_load_b128 v[1:4], v0 offset:848
	ds_load_b128 v[93:96], v0 offset:864
	v_add_f64_e32 v[105:106], v[107:108], v[105:106]
	v_add_f64_e32 v[107:108], v[109:110], v[111:112]
	s_wait_loadcnt_dscnt 0x601
	v_mul_f64_e32 v[109:110], v[1:2], v[11:12]
	v_mul_f64_e32 v[11:12], v[3:4], v[11:12]
	v_fma_f64 v[111:112], v[115:116], v[5:6], v[117:118]
	v_fma_f64 v[5:6], v[113:114], v[5:6], -v[7:8]
	v_add_f64_e32 v[7:8], v[105:106], v[121:122]
	v_add_f64_e32 v[105:106], v[107:108], v[119:120]
	s_wait_loadcnt_dscnt 0x500
	v_mul_f64_e32 v[107:108], v[93:94], v[75:76]
	v_mul_f64_e32 v[75:76], v[95:96], v[75:76]
	v_fma_f64 v[109:110], v[3:4], v[9:10], v[109:110]
	v_fma_f64 v[9:10], v[1:2], v[9:10], -v[11:12]
	v_add_f64_e32 v[11:12], v[7:8], v[5:6]
	v_add_f64_e32 v[105:106], v[105:106], v[111:112]
	ds_load_b128 v[1:4], v0 offset:880
	ds_load_b128 v[5:8], v0 offset:896
	v_fma_f64 v[95:96], v[95:96], v[73:74], v[107:108]
	v_fma_f64 v[73:74], v[93:94], v[73:74], -v[75:76]
	s_wait_loadcnt_dscnt 0x401
	v_mul_f64_e32 v[111:112], v[1:2], v[79:80]
	v_mul_f64_e32 v[79:80], v[3:4], v[79:80]
	s_wait_loadcnt_dscnt 0x300
	v_mul_f64_e32 v[75:76], v[5:6], v[83:84]
	v_mul_f64_e32 v[83:84], v[7:8], v[83:84]
	v_add_f64_e32 v[9:10], v[11:12], v[9:10]
	v_add_f64_e32 v[11:12], v[105:106], v[109:110]
	v_fma_f64 v[93:94], v[3:4], v[77:78], v[111:112]
	v_fma_f64 v[77:78], v[1:2], v[77:78], -v[79:80]
	v_fma_f64 v[7:8], v[7:8], v[81:82], v[75:76]
	v_fma_f64 v[5:6], v[5:6], v[81:82], -v[83:84]
	v_add_f64_e32 v[73:74], v[9:10], v[73:74]
	v_add_f64_e32 v[79:80], v[11:12], v[95:96]
	ds_load_b128 v[1:4], v0 offset:912
	ds_load_b128 v[9:12], v0 offset:928
	s_wait_loadcnt_dscnt 0x201
	v_mul_f64_e32 v[95:96], v[1:2], v[87:88]
	v_mul_f64_e32 v[87:88], v[3:4], v[87:88]
	v_add_f64_e32 v[73:74], v[73:74], v[77:78]
	v_add_f64_e32 v[75:76], v[79:80], v[93:94]
	s_wait_loadcnt_dscnt 0x100
	v_mul_f64_e32 v[77:78], v[9:10], v[91:92]
	v_mul_f64_e32 v[79:80], v[11:12], v[91:92]
	v_fma_f64 v[81:82], v[3:4], v[85:86], v[95:96]
	v_fma_f64 v[83:84], v[1:2], v[85:86], -v[87:88]
	ds_load_b128 v[1:4], v0 offset:944
	v_add_f64_e32 v[5:6], v[73:74], v[5:6]
	v_add_f64_e32 v[7:8], v[75:76], v[7:8]
	v_fma_f64 v[11:12], v[11:12], v[89:90], v[77:78]
	v_fma_f64 v[9:10], v[9:10], v[89:90], -v[79:80]
	s_wait_loadcnt_dscnt 0x0
	v_mul_f64_e32 v[73:74], v[1:2], v[99:100]
	v_mul_f64_e32 v[75:76], v[3:4], v[99:100]
	v_add_f64_e32 v[5:6], v[5:6], v[83:84]
	v_add_f64_e32 v[7:8], v[7:8], v[81:82]
	s_delay_alu instid0(VALU_DEP_4) | instskip(NEXT) | instid1(VALU_DEP_4)
	v_fma_f64 v[3:4], v[3:4], v[97:98], v[73:74]
	v_fma_f64 v[1:2], v[1:2], v[97:98], -v[75:76]
	s_delay_alu instid0(VALU_DEP_4) | instskip(NEXT) | instid1(VALU_DEP_4)
	v_add_f64_e32 v[5:6], v[5:6], v[9:10]
	v_add_f64_e32 v[7:8], v[7:8], v[11:12]
	s_delay_alu instid0(VALU_DEP_2) | instskip(NEXT) | instid1(VALU_DEP_2)
	v_add_f64_e32 v[1:2], v[5:6], v[1:2]
	v_add_f64_e32 v[3:4], v[7:8], v[3:4]
	s_delay_alu instid0(VALU_DEP_2) | instskip(NEXT) | instid1(VALU_DEP_2)
	v_add_f64_e64 v[1:2], v[101:102], -v[1:2]
	v_add_f64_e64 v[3:4], v[103:104], -v[3:4]
	scratch_store_b128 off, v[1:4], off offset:16
	s_wait_alu 0xfffe
	s_cbranch_vccz .LBB29_252
; %bb.194:
	global_load_b32 v0, v0, s[2:3] offset:112
	s_wait_loadcnt 0x0
	v_cmp_ne_u32_e32 vcc_lo, 29, v0
	s_cbranch_vccz .LBB29_196
; %bb.195:
	v_lshlrev_b32_e32 v0, 4, v0
	s_delay_alu instid0(VALU_DEP_1)
	v_add_nc_u32_e32 v8, 16, v0
	s_clause 0x1
	scratch_load_b128 v[0:3], v8, off offset:-16
	scratch_load_b128 v[4:7], off, s15
	s_wait_loadcnt 0x1
	scratch_store_b128 off, v[0:3], s15
	s_wait_loadcnt 0x0
	scratch_store_b128 v8, v[4:7], off offset:-16
.LBB29_196:
	v_mov_b32_e32 v0, 0
	global_load_b32 v1, v0, s[2:3] offset:108
	s_wait_loadcnt 0x0
	v_cmp_eq_u32_e32 vcc_lo, 28, v1
	s_cbranch_vccnz .LBB29_198
; %bb.197:
	v_lshlrev_b32_e32 v1, 4, v1
	s_delay_alu instid0(VALU_DEP_1)
	v_add_nc_u32_e32 v9, 16, v1
	s_clause 0x1
	scratch_load_b128 v[1:4], v9, off offset:-16
	scratch_load_b128 v[5:8], off, s13
	s_wait_loadcnt 0x1
	scratch_store_b128 off, v[1:4], s13
	s_wait_loadcnt 0x0
	scratch_store_b128 v9, v[5:8], off offset:-16
.LBB29_198:
	global_load_b32 v0, v0, s[2:3] offset:104
	s_wait_loadcnt 0x0
	v_cmp_eq_u32_e32 vcc_lo, 27, v0
	s_cbranch_vccnz .LBB29_200
; %bb.199:
	v_lshlrev_b32_e32 v0, 4, v0
	s_delay_alu instid0(VALU_DEP_1)
	v_add_nc_u32_e32 v8, 16, v0
	s_clause 0x1
	scratch_load_b128 v[0:3], v8, off offset:-16
	scratch_load_b128 v[4:7], off, s14
	s_wait_loadcnt 0x1
	scratch_store_b128 off, v[0:3], s14
	s_wait_loadcnt 0x0
	scratch_store_b128 v8, v[4:7], off offset:-16
.LBB29_200:
	v_mov_b32_e32 v0, 0
	global_load_b32 v1, v0, s[2:3] offset:100
	s_wait_loadcnt 0x0
	v_cmp_eq_u32_e32 vcc_lo, 26, v1
	s_cbranch_vccnz .LBB29_202
; %bb.201:
	v_lshlrev_b32_e32 v1, 4, v1
	s_delay_alu instid0(VALU_DEP_1)
	v_add_nc_u32_e32 v9, 16, v1
	s_clause 0x1
	scratch_load_b128 v[1:4], v9, off offset:-16
	scratch_load_b128 v[5:8], off, s11
	s_wait_loadcnt 0x1
	scratch_store_b128 off, v[1:4], s11
	s_wait_loadcnt 0x0
	scratch_store_b128 v9, v[5:8], off offset:-16
.LBB29_202:
	global_load_b32 v0, v0, s[2:3] offset:96
	s_wait_loadcnt 0x0
	v_cmp_eq_u32_e32 vcc_lo, 25, v0
	s_cbranch_vccnz .LBB29_204
; %bb.203:
	v_lshlrev_b32_e32 v0, 4, v0
	s_delay_alu instid0(VALU_DEP_1)
	v_add_nc_u32_e32 v8, 16, v0
	s_clause 0x1
	scratch_load_b128 v[0:3], v8, off offset:-16
	scratch_load_b128 v[4:7], off, s12
	s_wait_loadcnt 0x1
	scratch_store_b128 off, v[0:3], s12
	s_wait_loadcnt 0x0
	scratch_store_b128 v8, v[4:7], off offset:-16
.LBB29_204:
	;; [unrolled: 33-line block ×13, first 2 shown]
	v_mov_b32_e32 v0, 0
	global_load_b32 v1, v0, s[2:3] offset:4
	s_wait_loadcnt 0x0
	v_cmp_eq_u32_e32 vcc_lo, 2, v1
	s_cbranch_vccnz .LBB29_250
; %bb.249:
	v_lshlrev_b32_e32 v1, 4, v1
	s_delay_alu instid0(VALU_DEP_1)
	v_add_nc_u32_e32 v9, 16, v1
	s_clause 0x1
	scratch_load_b128 v[1:4], v9, off offset:-16
	scratch_load_b128 v[5:8], off, s22
	s_wait_loadcnt 0x1
	scratch_store_b128 off, v[1:4], s22
	s_wait_loadcnt 0x0
	scratch_store_b128 v9, v[5:8], off offset:-16
.LBB29_250:
	global_load_b32 v0, v0, s[2:3]
	s_wait_loadcnt 0x0
	v_cmp_eq_u32_e32 vcc_lo, 1, v0
	s_cbranch_vccnz .LBB29_252
; %bb.251:
	v_lshlrev_b32_e32 v0, 4, v0
	s_delay_alu instid0(VALU_DEP_1)
	v_add_nc_u32_e32 v8, 16, v0
	scratch_load_b128 v[0:3], v8, off offset:-16
	scratch_load_b128 v[4:7], off, off offset:16
	s_wait_loadcnt 0x1
	scratch_store_b128 off, v[0:3], off offset:16
	s_wait_loadcnt 0x0
	scratch_store_b128 v8, v[4:7], off offset:-16
.LBB29_252:
	scratch_load_b128 v[0:3], off, off offset:16
	s_clause 0x12
	scratch_load_b128 v[4:7], off, s22
	scratch_load_b128 v[8:11], off, s21
	;; [unrolled: 1-line block ×19, first 2 shown]
	s_wait_loadcnt 0x13
	global_store_b128 v[13:14], v[0:3], off
	s_wait_loadcnt 0x12
	global_store_b128 v[15:16], v[4:7], off
	s_clause 0x1
	scratch_load_b128 v[0:3], off, s4
	scratch_load_b128 v[4:7], off, s8
	s_wait_loadcnt 0x13
	global_store_b128 v[17:18], v[8:11], off
	s_clause 0x1
	scratch_load_b128 v[8:11], off, s5
	scratch_load_b128 v[12:15], off, s10
	;; [unrolled: 5-line block ×3, first 2 shown]
	s_wait_loadcnt 0x15
	global_store_b128 v[21:22], v[77:80], off
	s_wait_loadcnt 0x14
	global_store_b128 v[23:24], v[81:84], off
	s_clause 0x1
	scratch_load_b128 v[20:23], off, s11
	scratch_load_b128 v[77:80], off, s14
	s_wait_loadcnt 0x15
	global_store_b128 v[25:26], v[85:88], off
	s_clause 0x1
	scratch_load_b128 v[81:84], off, s13
	scratch_load_b128 v[85:88], off, s15
	s_wait_loadcnt 0x16
	global_store_b128 v[27:28], v[89:92], off
	s_wait_loadcnt 0x15
	global_store_b128 v[29:30], v[93:96], off
	;; [unrolled: 2-line block ×21, first 2 shown]
	s_wait_loadcnt 0x0
	s_clause 0x1
	global_store_b128 v[69:70], v[85:88], off
	global_store_b128 v[71:72], v[137:140], off
	s_nop 0
	s_sendmsg sendmsg(MSG_DEALLOC_VGPRS)
	s_endpgm
	.section	.rodata,"a",@progbits
	.p2align	6, 0x0
	.amdhsa_kernel _ZN9rocsolver6v33100L18getri_kernel_smallILi30E19rocblas_complex_numIdEPS3_EEvT1_iilPiilS6_bb
		.amdhsa_group_segment_fixed_size 968
		.amdhsa_private_segment_fixed_size 512
		.amdhsa_kernarg_size 60
		.amdhsa_user_sgpr_count 2
		.amdhsa_user_sgpr_dispatch_ptr 0
		.amdhsa_user_sgpr_queue_ptr 0
		.amdhsa_user_sgpr_kernarg_segment_ptr 1
		.amdhsa_user_sgpr_dispatch_id 0
		.amdhsa_user_sgpr_private_segment_size 0
		.amdhsa_wavefront_size32 1
		.amdhsa_uses_dynamic_stack 0
		.amdhsa_enable_private_segment 1
		.amdhsa_system_sgpr_workgroup_id_x 1
		.amdhsa_system_sgpr_workgroup_id_y 0
		.amdhsa_system_sgpr_workgroup_id_z 0
		.amdhsa_system_sgpr_workgroup_info 0
		.amdhsa_system_vgpr_workitem_id 0
		.amdhsa_next_free_vgpr 148
		.amdhsa_next_free_sgpr 42
		.amdhsa_reserve_vcc 1
		.amdhsa_float_round_mode_32 0
		.amdhsa_float_round_mode_16_64 0
		.amdhsa_float_denorm_mode_32 3
		.amdhsa_float_denorm_mode_16_64 3
		.amdhsa_fp16_overflow 0
		.amdhsa_workgroup_processor_mode 1
		.amdhsa_memory_ordered 1
		.amdhsa_forward_progress 1
		.amdhsa_inst_pref_size 255
		.amdhsa_round_robin_scheduling 0
		.amdhsa_exception_fp_ieee_invalid_op 0
		.amdhsa_exception_fp_denorm_src 0
		.amdhsa_exception_fp_ieee_div_zero 0
		.amdhsa_exception_fp_ieee_overflow 0
		.amdhsa_exception_fp_ieee_underflow 0
		.amdhsa_exception_fp_ieee_inexact 0
		.amdhsa_exception_int_div_zero 0
	.end_amdhsa_kernel
	.section	.text._ZN9rocsolver6v33100L18getri_kernel_smallILi30E19rocblas_complex_numIdEPS3_EEvT1_iilPiilS6_bb,"axG",@progbits,_ZN9rocsolver6v33100L18getri_kernel_smallILi30E19rocblas_complex_numIdEPS3_EEvT1_iilPiilS6_bb,comdat
.Lfunc_end29:
	.size	_ZN9rocsolver6v33100L18getri_kernel_smallILi30E19rocblas_complex_numIdEPS3_EEvT1_iilPiilS6_bb, .Lfunc_end29-_ZN9rocsolver6v33100L18getri_kernel_smallILi30E19rocblas_complex_numIdEPS3_EEvT1_iilPiilS6_bb
                                        ; -- End function
	.set _ZN9rocsolver6v33100L18getri_kernel_smallILi30E19rocblas_complex_numIdEPS3_EEvT1_iilPiilS6_bb.num_vgpr, 148
	.set _ZN9rocsolver6v33100L18getri_kernel_smallILi30E19rocblas_complex_numIdEPS3_EEvT1_iilPiilS6_bb.num_agpr, 0
	.set _ZN9rocsolver6v33100L18getri_kernel_smallILi30E19rocblas_complex_numIdEPS3_EEvT1_iilPiilS6_bb.numbered_sgpr, 42
	.set _ZN9rocsolver6v33100L18getri_kernel_smallILi30E19rocblas_complex_numIdEPS3_EEvT1_iilPiilS6_bb.num_named_barrier, 0
	.set _ZN9rocsolver6v33100L18getri_kernel_smallILi30E19rocblas_complex_numIdEPS3_EEvT1_iilPiilS6_bb.private_seg_size, 512
	.set _ZN9rocsolver6v33100L18getri_kernel_smallILi30E19rocblas_complex_numIdEPS3_EEvT1_iilPiilS6_bb.uses_vcc, 1
	.set _ZN9rocsolver6v33100L18getri_kernel_smallILi30E19rocblas_complex_numIdEPS3_EEvT1_iilPiilS6_bb.uses_flat_scratch, 1
	.set _ZN9rocsolver6v33100L18getri_kernel_smallILi30E19rocblas_complex_numIdEPS3_EEvT1_iilPiilS6_bb.has_dyn_sized_stack, 0
	.set _ZN9rocsolver6v33100L18getri_kernel_smallILi30E19rocblas_complex_numIdEPS3_EEvT1_iilPiilS6_bb.has_recursion, 0
	.set _ZN9rocsolver6v33100L18getri_kernel_smallILi30E19rocblas_complex_numIdEPS3_EEvT1_iilPiilS6_bb.has_indirect_call, 0
	.section	.AMDGPU.csdata,"",@progbits
; Kernel info:
; codeLenInByte = 44608
; TotalNumSgprs: 44
; NumVgprs: 148
; ScratchSize: 512
; MemoryBound: 0
; FloatMode: 240
; IeeeMode: 1
; LDSByteSize: 968 bytes/workgroup (compile time only)
; SGPRBlocks: 0
; VGPRBlocks: 18
; NumSGPRsForWavesPerEU: 44
; NumVGPRsForWavesPerEU: 148
; Occupancy: 9
; WaveLimiterHint : 1
; COMPUTE_PGM_RSRC2:SCRATCH_EN: 1
; COMPUTE_PGM_RSRC2:USER_SGPR: 2
; COMPUTE_PGM_RSRC2:TRAP_HANDLER: 0
; COMPUTE_PGM_RSRC2:TGID_X_EN: 1
; COMPUTE_PGM_RSRC2:TGID_Y_EN: 0
; COMPUTE_PGM_RSRC2:TGID_Z_EN: 0
; COMPUTE_PGM_RSRC2:TIDIG_COMP_CNT: 0
	.section	.text._ZN9rocsolver6v33100L18getri_kernel_smallILi31E19rocblas_complex_numIdEPS3_EEvT1_iilPiilS6_bb,"axG",@progbits,_ZN9rocsolver6v33100L18getri_kernel_smallILi31E19rocblas_complex_numIdEPS3_EEvT1_iilPiilS6_bb,comdat
	.globl	_ZN9rocsolver6v33100L18getri_kernel_smallILi31E19rocblas_complex_numIdEPS3_EEvT1_iilPiilS6_bb ; -- Begin function _ZN9rocsolver6v33100L18getri_kernel_smallILi31E19rocblas_complex_numIdEPS3_EEvT1_iilPiilS6_bb
	.p2align	8
	.type	_ZN9rocsolver6v33100L18getri_kernel_smallILi31E19rocblas_complex_numIdEPS3_EEvT1_iilPiilS6_bb,@function
_ZN9rocsolver6v33100L18getri_kernel_smallILi31E19rocblas_complex_numIdEPS3_EEvT1_iilPiilS6_bb: ; @_ZN9rocsolver6v33100L18getri_kernel_smallILi31E19rocblas_complex_numIdEPS3_EEvT1_iilPiilS6_bb
; %bb.0:
	s_mov_b32 s2, exec_lo
	v_cmpx_gt_u32_e32 31, v0
	s_cbranch_execz .LBB30_138
; %bb.1:
	s_clause 0x2
	s_load_b32 s2, s[0:1], 0x38
	s_load_b128 s[12:15], s[0:1], 0x10
	s_load_b128 s[4:7], s[0:1], 0x28
	s_mov_b32 s16, ttmp9
	s_wait_kmcnt 0x0
	s_bitcmp1_b32 s2, 8
	s_cselect_b32 s18, -1, 0
	s_bfe_u32 s2, s2, 0x10008
	s_ashr_i32 s17, ttmp9, 31
	s_cmp_eq_u32 s2, 0
                                        ; implicit-def: $sgpr2_sgpr3
	s_cbranch_scc1 .LBB30_3
; %bb.2:
	s_load_b32 s2, s[0:1], 0x20
	s_mul_u64 s[4:5], s[4:5], s[16:17]
	s_delay_alu instid0(SALU_CYCLE_1) | instskip(NEXT) | instid1(SALU_CYCLE_1)
	s_lshl_b64 s[4:5], s[4:5], 2
	s_add_nc_u64 s[4:5], s[14:15], s[4:5]
	s_wait_kmcnt 0x0
	s_ashr_i32 s3, s2, 31
	s_delay_alu instid0(SALU_CYCLE_1) | instskip(NEXT) | instid1(SALU_CYCLE_1)
	s_lshl_b64 s[2:3], s[2:3], 2
	s_add_nc_u64 s[2:3], s[4:5], s[2:3]
.LBB30_3:
	s_clause 0x1
	s_load_b128 s[8:11], s[0:1], 0x0
	s_load_b32 s40, s[0:1], 0x38
	s_mul_u64 s[0:1], s[12:13], s[16:17]
	v_lshlrev_b32_e32 v75, 4, v0
	s_lshl_b64 s[0:1], s[0:1], 4
	s_movk_i32 s26, 0x100
	s_movk_i32 s12, 0x90
	;; [unrolled: 1-line block ×6, first 2 shown]
	s_add_co_i32 s22, s12, 16
	s_add_co_i32 s12, s23, 16
	;; [unrolled: 1-line block ×3, first 2 shown]
	s_movk_i32 s13, 0xa0
	s_movk_i32 s21, 0xd0
	s_add_co_i32 s15, s14, 16
	s_add_co_i32 s14, s20, 16
	s_movk_i32 s24, 0xf0
	s_add_co_i32 s19, s13, 16
	s_wait_kmcnt 0x0
	v_add3_u32 v5, s11, s11, v0
	s_ashr_i32 s5, s10, 31
	s_mov_b32 s4, s10
	s_add_nc_u64 s[0:1], s[8:9], s[0:1]
	s_lshl_b64 s[4:5], s[4:5], 4
	v_add_nc_u32_e32 v7, s11, v5
	v_ashrrev_i32_e32 v6, 31, v5
	s_add_nc_u64 s[0:1], s[0:1], s[4:5]
	s_ashr_i32 s9, s11, 31
	v_add_co_u32 v13, s4, s0, v75
	v_add_nc_u32_e32 v9, s11, v7
	v_ashrrev_i32_e32 v8, 31, v7
	s_mov_b32 s8, s11
	v_lshlrev_b64_e32 v[5:6], 4, v[5:6]
	v_add_co_ci_u32_e64 v14, null, s1, 0, s4
	v_add_nc_u32_e32 v21, s11, v9
	v_ashrrev_i32_e32 v10, 31, v9
	s_lshl_b64 s[8:9], s[8:9], 4
	v_lshlrev_b64_e32 v[19:20], 4, v[7:8]
	v_add_co_u32 v15, vcc_lo, v13, s8
	v_add_nc_u32_e32 v25, s11, v21
	v_ashrrev_i32_e32 v22, 31, v21
	v_lshlrev_b64_e32 v[23:24], 4, v[9:10]
	v_add_co_ci_u32_e64 v16, null, s9, v14, vcc_lo
	s_delay_alu instid0(VALU_DEP_4)
	v_add_nc_u32_e32 v29, s11, v25
	v_add_co_u32 v17, vcc_lo, s0, v5
	v_lshlrev_b64_e32 v[27:28], 4, v[21:22]
	s_wait_alu 0xfffd
	v_add_co_ci_u32_e64 v18, null, s1, v6, vcc_lo
	v_add_co_u32 v19, vcc_lo, s0, v19
	v_ashrrev_i32_e32 v30, 31, v29
	v_add_nc_u32_e32 v31, s11, v29
	s_wait_alu 0xfffd
	v_add_co_ci_u32_e64 v20, null, s1, v20, vcc_lo
	v_add_co_u32 v21, vcc_lo, s0, v23
	s_wait_alu 0xfffd
	v_add_co_ci_u32_e64 v22, null, s1, v24, vcc_lo
	v_add_co_u32 v23, vcc_lo, s0, v27
	s_wait_alu 0xfffd
	v_add_co_ci_u32_e64 v24, null, s1, v28, vcc_lo
	v_lshlrev_b64_e32 v[27:28], 4, v[29:30]
	v_add_nc_u32_e32 v29, s11, v31
	v_ashrrev_i32_e32 v26, 31, v25
	v_ashrrev_i32_e32 v32, 31, v31
	s_clause 0x2
	global_load_b128 v[1:4], v75, s[0:1]
	global_load_b128 v[9:12], v[15:16], off
	global_load_b128 v[5:8], v[17:18], off
	v_add_nc_u32_e32 v33, s11, v29
	v_lshlrev_b64_e32 v[25:26], 4, v[25:26]
	v_ashrrev_i32_e32 v30, 31, v29
	v_lshlrev_b64_e32 v[31:32], 4, v[31:32]
	s_clause 0x1
	global_load_b128 v[76:79], v[19:20], off
	global_load_b128 v[80:83], v[21:22], off
	v_add_nc_u32_e32 v37, s11, v33
	v_ashrrev_i32_e32 v34, 31, v33
	v_add_co_u32 v25, vcc_lo, s0, v25
	v_lshlrev_b64_e32 v[35:36], 4, v[29:30]
	s_wait_alu 0xfffd
	v_add_co_ci_u32_e64 v26, null, s1, v26, vcc_lo
	v_add_co_u32 v27, vcc_lo, s0, v27
	v_ashrrev_i32_e32 v38, 31, v37
	s_wait_alu 0xfffd
	v_add_co_ci_u32_e64 v28, null, s1, v28, vcc_lo
	v_add_co_u32 v29, vcc_lo, s0, v31
	s_wait_alu 0xfffd
	v_add_co_ci_u32_e64 v30, null, s1, v32, vcc_lo
	v_lshlrev_b64_e32 v[33:34], 4, v[33:34]
	v_add_co_u32 v31, vcc_lo, s0, v35
	s_wait_alu 0xfffd
	v_add_co_ci_u32_e64 v32, null, s1, v36, vcc_lo
	v_lshlrev_b64_e32 v[35:36], 4, v[37:38]
	s_delay_alu instid0(VALU_DEP_4)
	v_add_co_u32 v33, vcc_lo, s0, v33
	s_wait_alu 0xfffd
	v_add_co_ci_u32_e64 v34, null, s1, v34, vcc_lo
	s_clause 0x1
	global_load_b128 v[84:87], v[23:24], off
	global_load_b128 v[88:91], v[25:26], off
	v_add_co_u32 v35, vcc_lo, s0, v35
	s_wait_alu 0xfffd
	v_add_co_ci_u32_e64 v36, null, s1, v36, vcc_lo
	s_clause 0x4
	global_load_b128 v[92:95], v[27:28], off
	global_load_b128 v[96:99], v[29:30], off
	;; [unrolled: 1-line block ×5, first 2 shown]
	v_add_nc_u32_e32 v37, s11, v37
	s_movk_i32 s8, 0x70
	s_movk_i32 s10, 0x80
	s_wait_alu 0xfffe
	s_add_co_i32 s28, s8, 16
	s_add_co_i32 s8, s26, 16
	v_add_nc_u32_e32 v39, s11, v37
	v_ashrrev_i32_e32 v38, 31, v37
	s_add_co_i32 s13, s21, 16
	s_add_co_i32 s25, s10, 16
	;; [unrolled: 1-line block ×3, first 2 shown]
	v_add_nc_u32_e32 v41, s11, v39
	v_ashrrev_i32_e32 v40, 31, v39
	v_lshlrev_b64_e32 v[37:38], 4, v[37:38]
	s_mov_b32 s9, 48
	s_mov_b32 s5, 64
	v_add_nc_u32_e32 v43, s11, v41
	v_ashrrev_i32_e32 v42, 31, v41
	v_lshlrev_b64_e32 v[39:40], 4, v[39:40]
	v_add_co_u32 v37, vcc_lo, s0, v37
	s_delay_alu instid0(VALU_DEP_4)
	v_add_nc_u32_e32 v45, s11, v43
	v_ashrrev_i32_e32 v44, 31, v43
	v_lshlrev_b64_e32 v[41:42], 4, v[41:42]
	s_wait_alu 0xfffd
	v_add_co_ci_u32_e64 v38, null, s1, v38, vcc_lo
	v_add_nc_u32_e32 v47, s11, v45
	v_ashrrev_i32_e32 v46, 31, v45
	v_lshlrev_b64_e32 v[43:44], 4, v[43:44]
	v_add_co_u32 v39, vcc_lo, s0, v39
	s_delay_alu instid0(VALU_DEP_4)
	v_add_nc_u32_e32 v49, s11, v47
	v_ashrrev_i32_e32 v48, 31, v47
	v_lshlrev_b64_e32 v[45:46], 4, v[45:46]
	s_wait_alu 0xfffd
	v_add_co_ci_u32_e64 v40, null, s1, v40, vcc_lo
	v_add_nc_u32_e32 v51, s11, v49
	v_ashrrev_i32_e32 v50, 31, v49
	v_add_co_u32 v41, vcc_lo, s0, v41
	v_lshlrev_b64_e32 v[47:48], 4, v[47:48]
	s_delay_alu instid0(VALU_DEP_4)
	v_add_nc_u32_e32 v53, s11, v51
	v_ashrrev_i32_e32 v52, 31, v51
	s_wait_alu 0xfffd
	v_add_co_ci_u32_e64 v42, null, s1, v42, vcc_lo
	v_add_co_u32 v43, vcc_lo, s0, v43
	v_add_nc_u32_e32 v55, s11, v53
	v_ashrrev_i32_e32 v54, 31, v53
	v_lshlrev_b64_e32 v[49:50], 4, v[49:50]
	s_wait_alu 0xfffd
	v_add_co_ci_u32_e64 v44, null, s1, v44, vcc_lo
	v_add_nc_u32_e32 v57, s11, v55
	v_ashrrev_i32_e32 v56, 31, v55
	v_add_co_u32 v45, vcc_lo, s0, v45
	v_lshlrev_b64_e32 v[51:52], 4, v[51:52]
	s_delay_alu instid0(VALU_DEP_4)
	v_add_nc_u32_e32 v59, s11, v57
	v_ashrrev_i32_e32 v58, 31, v57
	s_wait_alu 0xfffd
	v_add_co_ci_u32_e64 v46, null, s1, v46, vcc_lo
	v_add_co_u32 v47, vcc_lo, s0, v47
	v_add_nc_u32_e32 v61, s11, v59
	v_lshlrev_b64_e32 v[53:54], 4, v[53:54]
	v_ashrrev_i32_e32 v60, 31, v59
	s_wait_alu 0xfffd
	v_add_co_ci_u32_e64 v48, null, s1, v48, vcc_lo
	v_add_nc_u32_e32 v63, s11, v61
	v_add_co_u32 v49, vcc_lo, s0, v49
	v_lshlrev_b64_e32 v[55:56], 4, v[55:56]
	v_ashrrev_i32_e32 v62, 31, v61
	s_delay_alu instid0(VALU_DEP_4) | instskip(SKIP_3) | instid1(VALU_DEP_3)
	v_add_nc_u32_e32 v65, s11, v63
	s_wait_alu 0xfffd
	v_add_co_ci_u32_e64 v50, null, s1, v50, vcc_lo
	v_add_co_u32 v51, vcc_lo, s0, v51
	v_add_nc_u32_e32 v67, s11, v65
	v_lshlrev_b64_e32 v[57:58], 4, v[57:58]
	v_ashrrev_i32_e32 v64, 31, v63
	s_wait_alu 0xfffd
	v_add_co_ci_u32_e64 v52, null, s1, v52, vcc_lo
	v_add_nc_u32_e32 v69, s11, v67
	v_add_co_u32 v53, vcc_lo, s0, v53
	v_lshlrev_b64_e32 v[59:60], 4, v[59:60]
	v_ashrrev_i32_e32 v66, 31, v65
	s_delay_alu instid0(VALU_DEP_4)
	v_add_nc_u32_e32 v71, s11, v69
	s_wait_alu 0xfffd
	v_add_co_ci_u32_e64 v54, null, s1, v54, vcc_lo
	v_add_co_u32 v55, vcc_lo, s0, v55
	v_lshlrev_b64_e32 v[61:62], 4, v[61:62]
	v_ashrrev_i32_e32 v68, 31, v67
	s_wait_alu 0xfffd
	v_add_co_ci_u32_e64 v56, null, s1, v56, vcc_lo
	v_add_co_u32 v57, vcc_lo, s0, v57
	v_lshlrev_b64_e32 v[63:64], 4, v[63:64]
	v_add_nc_u32_e32 v73, s11, v71
	v_ashrrev_i32_e32 v70, 31, v69
	s_wait_alu 0xfffd
	v_add_co_ci_u32_e64 v58, null, s1, v58, vcc_lo
	v_add_co_u32 v59, vcc_lo, s0, v59
	v_lshlrev_b64_e32 v[65:66], 4, v[65:66]
	v_ashrrev_i32_e32 v72, 31, v71
	s_wait_alu 0xfffd
	v_add_co_ci_u32_e64 v60, null, s1, v60, vcc_lo
	v_add_co_u32 v61, vcc_lo, s0, v61
	v_lshlrev_b64_e32 v[67:68], 4, v[67:68]
	;; [unrolled: 5-line block ×3, first 2 shown]
	s_wait_alu 0xfffd
	v_add_co_ci_u32_e64 v64, null, s1, v64, vcc_lo
	v_add_co_u32 v65, vcc_lo, s0, v65
	v_lshlrev_b64_e32 v[71:72], 4, v[71:72]
	s_wait_alu 0xfffd
	v_add_co_ci_u32_e64 v66, null, s1, v66, vcc_lo
	v_add_co_u32 v67, vcc_lo, s0, v67
	v_lshlrev_b64_e32 v[73:74], 4, v[73:74]
	s_wait_alu 0xfffd
	v_add_co_ci_u32_e64 v68, null, s1, v68, vcc_lo
	v_add_co_u32 v69, vcc_lo, s0, v69
	s_wait_alu 0xfffd
	v_add_co_ci_u32_e64 v70, null, s1, v70, vcc_lo
	v_add_co_u32 v71, vcc_lo, s0, v71
	;; [unrolled: 3-line block ×3, first 2 shown]
	s_wait_alu 0xfffd
	v_add_co_ci_u32_e64 v74, null, s1, v74, vcc_lo
	s_clause 0x6
	global_load_b128 v[112:115], v[37:38], off
	global_load_b128 v[116:119], v[39:40], off
	;; [unrolled: 1-line block ×7, first 2 shown]
	s_movk_i32 s0, 0x50
	s_movk_i32 s1, 0x60
	s_wait_alu 0xfffe
	s_add_co_i32 s36, s0, 16
	s_movk_i32 s0, 0x120
	s_add_co_i32 s34, s1, 16
	s_movk_i32 s1, 0x130
	s_wait_alu 0xfffe
	s_add_co_i32 s39, s0, 16
	s_movk_i32 s0, 0x140
	s_add_co_i32 s35, s1, 16
	;; [unrolled: 5-line block ×7, first 2 shown]
	s_wait_alu 0xfffe
	s_add_co_i32 s33, s0, 16
	s_mov_b32 s11, 32
	s_movk_i32 s4, 0x50
	s_bitcmp0_b32 s40, 0
	s_mov_b32 s1, -1
	s_wait_loadcnt 0x12
	scratch_store_b128 off, v[1:4], off offset:16
	s_wait_loadcnt 0x11
	scratch_store_b128 off, v[9:12], off offset:32
	s_clause 0x1
	global_load_b128 v[1:4], v[51:52], off
	global_load_b128 v[9:12], v[53:54], off
	s_wait_loadcnt 0x12
	scratch_store_b128 off, v[5:8], off offset:48
	s_wait_loadcnt 0x11
	scratch_store_b128 off, v[76:79], off offset:64
	s_clause 0x1
	global_load_b128 v[5:8], v[55:56], off
	global_load_b128 v[76:79], v[57:58], off
	s_wait_loadcnt 0x12
	scratch_store_b128 off, v[80:83], off offset:80
	global_load_b128 v[80:83], v[59:60], off
	s_wait_loadcnt 0x12
	scratch_store_b128 off, v[84:87], off offset:96
	;; [unrolled: 3-line block ×5, first 2 shown]
	s_wait_loadcnt 0x11
	scratch_store_b128 off, v[100:103], off offset:160
	s_clause 0x1
	global_load_b128 v[96:99], v[67:68], off
	global_load_b128 v[100:103], v[69:70], off
	s_wait_loadcnt 0x12
	scratch_store_b128 off, v[104:107], off offset:176
	s_wait_loadcnt 0x11
	scratch_store_b128 off, v[108:111], off offset:192
	s_clause 0x1
	global_load_b128 v[104:107], v[71:72], off
	global_load_b128 v[108:111], v[73:74], off
	s_wait_loadcnt 0x12
	scratch_store_b128 off, v[112:115], off offset:208
	s_wait_loadcnt 0x11
	scratch_store_b128 off, v[116:119], off offset:224
	;; [unrolled: 2-line block ×19, first 2 shown]
	s_cbranch_scc1 .LBB30_136
; %bb.4:
	v_cmp_eq_u32_e64 s0, 0, v0
	s_and_saveexec_b32 s1, s0
; %bb.5:
	v_mov_b32_e32 v1, 0
	ds_store_b32 v1, v1 offset:992
; %bb.6:
	s_wait_alu 0xfffe
	s_or_b32 exec_lo, exec_lo, s1
	s_wait_storecnt_dscnt 0x0
	s_barrier_signal -1
	s_barrier_wait -1
	global_inv scope:SCOPE_SE
	scratch_load_b128 v[1:4], v75, off offset:16
	s_wait_loadcnt 0x0
	v_cmp_eq_f64_e32 vcc_lo, 0, v[1:2]
	v_cmp_eq_f64_e64 s1, 0, v[3:4]
	s_and_b32 s1, vcc_lo, s1
	s_wait_alu 0xfffe
	s_and_saveexec_b32 s40, s1
	s_cbranch_execz .LBB30_10
; %bb.7:
	v_mov_b32_e32 v1, 0
	s_mov_b32 s41, 0
	ds_load_b32 v2, v1 offset:992
	s_wait_dscnt 0x0
	v_readfirstlane_b32 s1, v2
	v_add_nc_u32_e32 v2, 1, v0
	s_cmp_eq_u32 s1, 0
	s_delay_alu instid0(VALU_DEP_1) | instskip(SKIP_1) | instid1(SALU_CYCLE_1)
	v_cmp_gt_i32_e32 vcc_lo, s1, v2
	s_cselect_b32 s42, -1, 0
	s_or_b32 s42, s42, vcc_lo
	s_delay_alu instid0(SALU_CYCLE_1)
	s_and_b32 exec_lo, exec_lo, s42
	s_cbranch_execz .LBB30_10
; %bb.8:
	v_mov_b32_e32 v3, s1
.LBB30_9:                               ; =>This Inner Loop Header: Depth=1
	ds_cmpstore_rtn_b32 v3, v1, v2, v3 offset:992
	s_wait_dscnt 0x0
	v_cmp_ne_u32_e32 vcc_lo, 0, v3
	v_cmp_le_i32_e64 s1, v3, v2
	s_and_b32 s1, vcc_lo, s1
	s_wait_alu 0xfffe
	s_and_b32 s1, exec_lo, s1
	s_wait_alu 0xfffe
	s_or_b32 s41, s1, s41
	s_delay_alu instid0(SALU_CYCLE_1)
	s_and_not1_b32 exec_lo, exec_lo, s41
	s_cbranch_execnz .LBB30_9
.LBB30_10:
	s_or_b32 exec_lo, exec_lo, s40
	v_mov_b32_e32 v1, 0
	s_barrier_signal -1
	s_barrier_wait -1
	global_inv scope:SCOPE_SE
	ds_load_b32 v2, v1 offset:992
	s_and_saveexec_b32 s1, s0
	s_cbranch_execz .LBB30_12
; %bb.11:
	s_lshl_b64 s[40:41], s[16:17], 2
	s_delay_alu instid0(SALU_CYCLE_1)
	s_add_nc_u64 s[40:41], s[6:7], s[40:41]
	s_wait_dscnt 0x0
	global_store_b32 v1, v2, s[40:41]
.LBB30_12:
	s_wait_alu 0xfffe
	s_or_b32 exec_lo, exec_lo, s1
	s_wait_dscnt 0x0
	v_cmp_ne_u32_e32 vcc_lo, 0, v2
	s_mov_b32 s1, 0
	s_cbranch_vccnz .LBB30_136
; %bb.13:
	v_add_nc_u32_e32 v76, 16, v75
                                        ; implicit-def: $vgpr1_vgpr2
                                        ; implicit-def: $vgpr9_vgpr10
	scratch_load_b128 v[5:8], v76, off
	s_wait_loadcnt 0x0
	v_cmp_ngt_f64_e64 s1, |v[5:6]|, |v[7:8]|
	s_wait_alu 0xfffe
	s_and_saveexec_b32 s40, s1
	s_delay_alu instid0(SALU_CYCLE_1)
	s_xor_b32 s1, exec_lo, s40
	s_cbranch_execz .LBB30_15
; %bb.14:
	v_div_scale_f64 v[1:2], null, v[7:8], v[7:8], v[5:6]
	v_div_scale_f64 v[11:12], vcc_lo, v[5:6], v[7:8], v[5:6]
	s_delay_alu instid0(VALU_DEP_2) | instskip(NEXT) | instid1(TRANS32_DEP_1)
	v_rcp_f64_e32 v[3:4], v[1:2]
	v_fma_f64 v[9:10], -v[1:2], v[3:4], 1.0
	s_delay_alu instid0(VALU_DEP_1) | instskip(NEXT) | instid1(VALU_DEP_1)
	v_fma_f64 v[3:4], v[3:4], v[9:10], v[3:4]
	v_fma_f64 v[9:10], -v[1:2], v[3:4], 1.0
	s_delay_alu instid0(VALU_DEP_1) | instskip(NEXT) | instid1(VALU_DEP_1)
	v_fma_f64 v[3:4], v[3:4], v[9:10], v[3:4]
	v_mul_f64_e32 v[9:10], v[11:12], v[3:4]
	s_delay_alu instid0(VALU_DEP_1) | instskip(SKIP_1) | instid1(VALU_DEP_1)
	v_fma_f64 v[1:2], -v[1:2], v[9:10], v[11:12]
	s_wait_alu 0xfffd
	v_div_fmas_f64 v[1:2], v[1:2], v[3:4], v[9:10]
	s_delay_alu instid0(VALU_DEP_1) | instskip(NEXT) | instid1(VALU_DEP_1)
	v_div_fixup_f64 v[1:2], v[1:2], v[7:8], v[5:6]
	v_fma_f64 v[3:4], v[5:6], v[1:2], v[7:8]
	s_delay_alu instid0(VALU_DEP_1) | instskip(SKIP_1) | instid1(VALU_DEP_2)
	v_div_scale_f64 v[5:6], null, v[3:4], v[3:4], 1.0
	v_div_scale_f64 v[11:12], vcc_lo, 1.0, v[3:4], 1.0
	v_rcp_f64_e32 v[7:8], v[5:6]
	s_delay_alu instid0(TRANS32_DEP_1) | instskip(NEXT) | instid1(VALU_DEP_1)
	v_fma_f64 v[9:10], -v[5:6], v[7:8], 1.0
	v_fma_f64 v[7:8], v[7:8], v[9:10], v[7:8]
	s_delay_alu instid0(VALU_DEP_1) | instskip(NEXT) | instid1(VALU_DEP_1)
	v_fma_f64 v[9:10], -v[5:6], v[7:8], 1.0
	v_fma_f64 v[7:8], v[7:8], v[9:10], v[7:8]
	s_delay_alu instid0(VALU_DEP_1) | instskip(NEXT) | instid1(VALU_DEP_1)
	v_mul_f64_e32 v[9:10], v[11:12], v[7:8]
	v_fma_f64 v[5:6], -v[5:6], v[9:10], v[11:12]
	s_wait_alu 0xfffd
	s_delay_alu instid0(VALU_DEP_1) | instskip(NEXT) | instid1(VALU_DEP_1)
	v_div_fmas_f64 v[5:6], v[5:6], v[7:8], v[9:10]
	v_div_fixup_f64 v[3:4], v[5:6], v[3:4], 1.0
                                        ; implicit-def: $vgpr5_vgpr6
	s_delay_alu instid0(VALU_DEP_1) | instskip(SKIP_1) | instid1(VALU_DEP_2)
	v_mul_f64_e32 v[1:2], v[1:2], v[3:4]
	v_xor_b32_e32 v4, 0x80000000, v4
	v_xor_b32_e32 v10, 0x80000000, v2
	s_delay_alu instid0(VALU_DEP_3)
	v_mov_b32_e32 v9, v1
.LBB30_15:
	s_wait_alu 0xfffe
	s_and_not1_saveexec_b32 s1, s1
	s_cbranch_execz .LBB30_17
; %bb.16:
	v_div_scale_f64 v[1:2], null, v[5:6], v[5:6], v[7:8]
	v_div_scale_f64 v[11:12], vcc_lo, v[7:8], v[5:6], v[7:8]
	s_delay_alu instid0(VALU_DEP_2) | instskip(NEXT) | instid1(TRANS32_DEP_1)
	v_rcp_f64_e32 v[3:4], v[1:2]
	v_fma_f64 v[9:10], -v[1:2], v[3:4], 1.0
	s_delay_alu instid0(VALU_DEP_1) | instskip(NEXT) | instid1(VALU_DEP_1)
	v_fma_f64 v[3:4], v[3:4], v[9:10], v[3:4]
	v_fma_f64 v[9:10], -v[1:2], v[3:4], 1.0
	s_delay_alu instid0(VALU_DEP_1) | instskip(NEXT) | instid1(VALU_DEP_1)
	v_fma_f64 v[3:4], v[3:4], v[9:10], v[3:4]
	v_mul_f64_e32 v[9:10], v[11:12], v[3:4]
	s_delay_alu instid0(VALU_DEP_1) | instskip(SKIP_1) | instid1(VALU_DEP_1)
	v_fma_f64 v[1:2], -v[1:2], v[9:10], v[11:12]
	s_wait_alu 0xfffd
	v_div_fmas_f64 v[1:2], v[1:2], v[3:4], v[9:10]
	s_delay_alu instid0(VALU_DEP_1) | instskip(NEXT) | instid1(VALU_DEP_1)
	v_div_fixup_f64 v[3:4], v[1:2], v[5:6], v[7:8]
	v_fma_f64 v[1:2], v[7:8], v[3:4], v[5:6]
	s_delay_alu instid0(VALU_DEP_1) | instskip(NEXT) | instid1(VALU_DEP_1)
	v_div_scale_f64 v[5:6], null, v[1:2], v[1:2], 1.0
	v_rcp_f64_e32 v[7:8], v[5:6]
	s_delay_alu instid0(TRANS32_DEP_1) | instskip(NEXT) | instid1(VALU_DEP_1)
	v_fma_f64 v[9:10], -v[5:6], v[7:8], 1.0
	v_fma_f64 v[7:8], v[7:8], v[9:10], v[7:8]
	s_delay_alu instid0(VALU_DEP_1) | instskip(NEXT) | instid1(VALU_DEP_1)
	v_fma_f64 v[9:10], -v[5:6], v[7:8], 1.0
	v_fma_f64 v[7:8], v[7:8], v[9:10], v[7:8]
	v_div_scale_f64 v[9:10], vcc_lo, 1.0, v[1:2], 1.0
	s_delay_alu instid0(VALU_DEP_1) | instskip(NEXT) | instid1(VALU_DEP_1)
	v_mul_f64_e32 v[11:12], v[9:10], v[7:8]
	v_fma_f64 v[5:6], -v[5:6], v[11:12], v[9:10]
	s_wait_alu 0xfffd
	s_delay_alu instid0(VALU_DEP_1) | instskip(NEXT) | instid1(VALU_DEP_1)
	v_div_fmas_f64 v[5:6], v[5:6], v[7:8], v[11:12]
	v_div_fixup_f64 v[1:2], v[5:6], v[1:2], 1.0
	s_delay_alu instid0(VALU_DEP_1)
	v_mul_f64_e64 v[3:4], v[3:4], -v[1:2]
	v_xor_b32_e32 v10, 0x80000000, v2
	v_mov_b32_e32 v9, v1
.LBB30_17:
	s_wait_alu 0xfffe
	s_or_b32 exec_lo, exec_lo, s1
	scratch_store_b128 v76, v[1:4], off
	scratch_load_b128 v[77:80], off, s11
	v_xor_b32_e32 v12, 0x80000000, v4
	v_mov_b32_e32 v11, v3
	v_add_nc_u32_e32 v5, 0x1f0, v75
	ds_store_b128 v75, v[9:12]
	s_wait_loadcnt 0x0
	ds_store_b128 v75, v[77:80] offset:496
	s_wait_storecnt_dscnt 0x0
	s_barrier_signal -1
	s_barrier_wait -1
	global_inv scope:SCOPE_SE
	s_and_saveexec_b32 s1, s0
	s_cbranch_execz .LBB30_19
; %bb.18:
	scratch_load_b128 v[1:4], v76, off
	ds_load_b128 v[6:9], v5
	v_mov_b32_e32 v10, 0
	ds_load_b128 v[77:80], v10 offset:16
	s_wait_loadcnt_dscnt 0x1
	v_mul_f64_e32 v[10:11], v[6:7], v[3:4]
	v_mul_f64_e32 v[3:4], v[8:9], v[3:4]
	s_delay_alu instid0(VALU_DEP_2) | instskip(NEXT) | instid1(VALU_DEP_2)
	v_fma_f64 v[8:9], v[8:9], v[1:2], v[10:11]
	v_fma_f64 v[1:2], v[6:7], v[1:2], -v[3:4]
	s_delay_alu instid0(VALU_DEP_2) | instskip(NEXT) | instid1(VALU_DEP_2)
	v_add_f64_e32 v[3:4], 0, v[8:9]
	v_add_f64_e32 v[1:2], 0, v[1:2]
	s_wait_dscnt 0x0
	s_delay_alu instid0(VALU_DEP_2) | instskip(NEXT) | instid1(VALU_DEP_2)
	v_mul_f64_e32 v[6:7], v[3:4], v[79:80]
	v_mul_f64_e32 v[8:9], v[1:2], v[79:80]
	s_delay_alu instid0(VALU_DEP_2) | instskip(NEXT) | instid1(VALU_DEP_2)
	v_fma_f64 v[1:2], v[1:2], v[77:78], -v[6:7]
	v_fma_f64 v[3:4], v[3:4], v[77:78], v[8:9]
	scratch_store_b128 off, v[1:4], off offset:32
.LBB30_19:
	s_wait_alu 0xfffe
	s_or_b32 exec_lo, exec_lo, s1
	s_wait_loadcnt 0x0
	s_wait_storecnt 0x0
	s_barrier_signal -1
	s_barrier_wait -1
	global_inv scope:SCOPE_SE
	scratch_load_b128 v[1:4], off, s9
	s_mov_b32 s1, exec_lo
	s_wait_loadcnt 0x0
	ds_store_b128 v5, v[1:4]
	s_wait_dscnt 0x0
	s_barrier_signal -1
	s_barrier_wait -1
	global_inv scope:SCOPE_SE
	v_cmpx_gt_u32_e32 2, v0
	s_cbranch_execz .LBB30_23
; %bb.20:
	scratch_load_b128 v[1:4], v76, off
	ds_load_b128 v[6:9], v5
	s_wait_loadcnt_dscnt 0x0
	v_mul_f64_e32 v[10:11], v[8:9], v[3:4]
	v_mul_f64_e32 v[3:4], v[6:7], v[3:4]
	s_delay_alu instid0(VALU_DEP_2) | instskip(NEXT) | instid1(VALU_DEP_2)
	v_fma_f64 v[6:7], v[6:7], v[1:2], -v[10:11]
	v_fma_f64 v[3:4], v[8:9], v[1:2], v[3:4]
	s_delay_alu instid0(VALU_DEP_2) | instskip(NEXT) | instid1(VALU_DEP_2)
	v_add_f64_e32 v[1:2], 0, v[6:7]
	v_add_f64_e32 v[3:4], 0, v[3:4]
	s_and_saveexec_b32 s40, s0
	s_cbranch_execz .LBB30_22
; %bb.21:
	scratch_load_b128 v[6:9], off, off offset:32
	v_mov_b32_e32 v10, 0
	ds_load_b128 v[77:80], v10 offset:512
	s_wait_loadcnt_dscnt 0x0
	v_mul_f64_e32 v[10:11], v[77:78], v[8:9]
	v_mul_f64_e32 v[8:9], v[79:80], v[8:9]
	s_delay_alu instid0(VALU_DEP_2) | instskip(NEXT) | instid1(VALU_DEP_2)
	v_fma_f64 v[10:11], v[79:80], v[6:7], v[10:11]
	v_fma_f64 v[6:7], v[77:78], v[6:7], -v[8:9]
	s_delay_alu instid0(VALU_DEP_2) | instskip(NEXT) | instid1(VALU_DEP_2)
	v_add_f64_e32 v[3:4], v[3:4], v[10:11]
	v_add_f64_e32 v[1:2], v[1:2], v[6:7]
.LBB30_22:
	s_or_b32 exec_lo, exec_lo, s40
	v_mov_b32_e32 v6, 0
	ds_load_b128 v[6:9], v6 offset:32
	s_wait_dscnt 0x0
	v_mul_f64_e32 v[10:11], v[3:4], v[8:9]
	v_mul_f64_e32 v[8:9], v[1:2], v[8:9]
	s_delay_alu instid0(VALU_DEP_2) | instskip(NEXT) | instid1(VALU_DEP_2)
	v_fma_f64 v[1:2], v[1:2], v[6:7], -v[10:11]
	v_fma_f64 v[3:4], v[3:4], v[6:7], v[8:9]
	scratch_store_b128 off, v[1:4], off offset:48
.LBB30_23:
	s_wait_alu 0xfffe
	s_or_b32 exec_lo, exec_lo, s1
	s_wait_loadcnt 0x0
	s_wait_storecnt 0x0
	s_barrier_signal -1
	s_barrier_wait -1
	global_inv scope:SCOPE_SE
	scratch_load_b128 v[1:4], off, s5
	v_add_nc_u32_e32 v6, -1, v0
	s_mov_b32 s0, exec_lo
	s_wait_loadcnt 0x0
	ds_store_b128 v5, v[1:4]
	s_wait_dscnt 0x0
	s_barrier_signal -1
	s_barrier_wait -1
	global_inv scope:SCOPE_SE
	v_cmpx_gt_u32_e32 3, v0
	s_cbranch_execz .LBB30_27
; %bb.24:
	v_dual_mov_b32 v1, 0 :: v_dual_add_nc_u32 v8, 0x1f0, v75
	v_mov_b32_e32 v3, 0
	v_dual_mov_b32 v2, 0 :: v_dual_add_nc_u32 v7, -1, v0
	v_mov_b32_e32 v4, 0
	v_or_b32_e32 v9, 8, v76
	s_mov_b32 s1, 0
.LBB30_25:                              ; =>This Inner Loop Header: Depth=1
	scratch_load_b128 v[77:80], v9, off offset:-8
	ds_load_b128 v[81:84], v8
	v_add_nc_u32_e32 v7, 1, v7
	v_add_nc_u32_e32 v8, 16, v8
	v_add_nc_u32_e32 v9, 16, v9
	s_delay_alu instid0(VALU_DEP_3)
	v_cmp_lt_u32_e32 vcc_lo, 1, v7
	s_wait_alu 0xfffe
	s_or_b32 s1, vcc_lo, s1
	s_wait_loadcnt_dscnt 0x0
	v_mul_f64_e32 v[10:11], v[83:84], v[79:80]
	v_mul_f64_e32 v[79:80], v[81:82], v[79:80]
	s_delay_alu instid0(VALU_DEP_2) | instskip(NEXT) | instid1(VALU_DEP_2)
	v_fma_f64 v[10:11], v[81:82], v[77:78], -v[10:11]
	v_fma_f64 v[77:78], v[83:84], v[77:78], v[79:80]
	s_delay_alu instid0(VALU_DEP_2) | instskip(NEXT) | instid1(VALU_DEP_2)
	v_add_f64_e32 v[3:4], v[3:4], v[10:11]
	v_add_f64_e32 v[1:2], v[1:2], v[77:78]
	s_wait_alu 0xfffe
	s_and_not1_b32 exec_lo, exec_lo, s1
	s_cbranch_execnz .LBB30_25
; %bb.26:
	s_or_b32 exec_lo, exec_lo, s1
	v_mov_b32_e32 v7, 0
	ds_load_b128 v[7:10], v7 offset:48
	s_wait_dscnt 0x0
	v_mul_f64_e32 v[11:12], v[1:2], v[9:10]
	v_mul_f64_e32 v[77:78], v[3:4], v[9:10]
	s_delay_alu instid0(VALU_DEP_2) | instskip(NEXT) | instid1(VALU_DEP_2)
	v_fma_f64 v[9:10], v[3:4], v[7:8], -v[11:12]
	v_fma_f64 v[11:12], v[1:2], v[7:8], v[77:78]
	scratch_store_b128 off, v[9:12], off offset:64
.LBB30_27:
	s_wait_alu 0xfffe
	s_or_b32 exec_lo, exec_lo, s0
	s_wait_loadcnt 0x0
	s_wait_storecnt 0x0
	s_barrier_signal -1
	s_barrier_wait -1
	global_inv scope:SCOPE_SE
	scratch_load_b128 v[1:4], off, s4
	s_mov_b32 s0, exec_lo
	s_wait_loadcnt 0x0
	ds_store_b128 v5, v[1:4]
	s_wait_dscnt 0x0
	s_barrier_signal -1
	s_barrier_wait -1
	global_inv scope:SCOPE_SE
	v_cmpx_gt_u32_e32 4, v0
	s_cbranch_execz .LBB30_31
; %bb.28:
	v_dual_mov_b32 v1, 0 :: v_dual_add_nc_u32 v8, 0x1f0, v75
	v_mov_b32_e32 v3, 0
	v_dual_mov_b32 v2, 0 :: v_dual_add_nc_u32 v7, -1, v0
	v_mov_b32_e32 v4, 0
	v_or_b32_e32 v9, 8, v76
	s_mov_b32 s1, 0
.LBB30_29:                              ; =>This Inner Loop Header: Depth=1
	scratch_load_b128 v[77:80], v9, off offset:-8
	ds_load_b128 v[81:84], v8
	v_add_nc_u32_e32 v7, 1, v7
	v_add_nc_u32_e32 v8, 16, v8
	v_add_nc_u32_e32 v9, 16, v9
	s_delay_alu instid0(VALU_DEP_3)
	v_cmp_lt_u32_e32 vcc_lo, 2, v7
	s_wait_alu 0xfffe
	s_or_b32 s1, vcc_lo, s1
	s_wait_loadcnt_dscnt 0x0
	v_mul_f64_e32 v[10:11], v[83:84], v[79:80]
	v_mul_f64_e32 v[79:80], v[81:82], v[79:80]
	s_delay_alu instid0(VALU_DEP_2) | instskip(NEXT) | instid1(VALU_DEP_2)
	v_fma_f64 v[10:11], v[81:82], v[77:78], -v[10:11]
	v_fma_f64 v[77:78], v[83:84], v[77:78], v[79:80]
	s_delay_alu instid0(VALU_DEP_2) | instskip(NEXT) | instid1(VALU_DEP_2)
	v_add_f64_e32 v[3:4], v[3:4], v[10:11]
	v_add_f64_e32 v[1:2], v[1:2], v[77:78]
	s_wait_alu 0xfffe
	s_and_not1_b32 exec_lo, exec_lo, s1
	s_cbranch_execnz .LBB30_29
; %bb.30:
	s_or_b32 exec_lo, exec_lo, s1
	v_mov_b32_e32 v7, 0
	ds_load_b128 v[7:10], v7 offset:64
	s_wait_dscnt 0x0
	v_mul_f64_e32 v[11:12], v[1:2], v[9:10]
	v_mul_f64_e32 v[77:78], v[3:4], v[9:10]
	s_delay_alu instid0(VALU_DEP_2) | instskip(NEXT) | instid1(VALU_DEP_2)
	v_fma_f64 v[9:10], v[3:4], v[7:8], -v[11:12]
	v_fma_f64 v[11:12], v[1:2], v[7:8], v[77:78]
	scratch_store_b128 off, v[9:12], off offset:80
.LBB30_31:
	s_wait_alu 0xfffe
	s_or_b32 exec_lo, exec_lo, s0
	s_wait_loadcnt 0x0
	s_wait_storecnt 0x0
	s_barrier_signal -1
	s_barrier_wait -1
	global_inv scope:SCOPE_SE
	scratch_load_b128 v[1:4], off, s36
	;; [unrolled: 58-line block ×19, first 2 shown]
	s_mov_b32 s0, exec_lo
	s_wait_loadcnt 0x0
	ds_store_b128 v5, v[1:4]
	s_wait_dscnt 0x0
	s_barrier_signal -1
	s_barrier_wait -1
	global_inv scope:SCOPE_SE
	v_cmpx_gt_u32_e32 22, v0
	s_cbranch_execz .LBB30_103
; %bb.100:
	v_dual_mov_b32 v1, 0 :: v_dual_add_nc_u32 v8, 0x1f0, v75
	v_mov_b32_e32 v3, 0
	v_dual_mov_b32 v2, 0 :: v_dual_add_nc_u32 v7, -1, v0
	v_mov_b32_e32 v4, 0
	v_or_b32_e32 v9, 8, v76
	s_mov_b32 s1, 0
.LBB30_101:                             ; =>This Inner Loop Header: Depth=1
	scratch_load_b128 v[77:80], v9, off offset:-8
	ds_load_b128 v[81:84], v8
	v_add_nc_u32_e32 v7, 1, v7
	v_add_nc_u32_e32 v8, 16, v8
	v_add_nc_u32_e32 v9, 16, v9
	s_delay_alu instid0(VALU_DEP_3)
	v_cmp_lt_u32_e32 vcc_lo, 20, v7
	s_wait_alu 0xfffe
	s_or_b32 s1, vcc_lo, s1
	s_wait_loadcnt_dscnt 0x0
	v_mul_f64_e32 v[10:11], v[83:84], v[79:80]
	v_mul_f64_e32 v[79:80], v[81:82], v[79:80]
	s_delay_alu instid0(VALU_DEP_2) | instskip(NEXT) | instid1(VALU_DEP_2)
	v_fma_f64 v[10:11], v[81:82], v[77:78], -v[10:11]
	v_fma_f64 v[77:78], v[83:84], v[77:78], v[79:80]
	s_delay_alu instid0(VALU_DEP_2) | instskip(NEXT) | instid1(VALU_DEP_2)
	v_add_f64_e32 v[3:4], v[3:4], v[10:11]
	v_add_f64_e32 v[1:2], v[1:2], v[77:78]
	s_wait_alu 0xfffe
	s_and_not1_b32 exec_lo, exec_lo, s1
	s_cbranch_execnz .LBB30_101
; %bb.102:
	s_or_b32 exec_lo, exec_lo, s1
	v_mov_b32_e32 v7, 0
	ds_load_b128 v[7:10], v7 offset:352
	s_wait_dscnt 0x0
	v_mul_f64_e32 v[11:12], v[1:2], v[9:10]
	v_mul_f64_e32 v[77:78], v[3:4], v[9:10]
	s_delay_alu instid0(VALU_DEP_2) | instskip(NEXT) | instid1(VALU_DEP_2)
	v_fma_f64 v[9:10], v[3:4], v[7:8], -v[11:12]
	v_fma_f64 v[11:12], v[1:2], v[7:8], v[77:78]
	scratch_store_b128 off, v[9:12], off offset:368
.LBB30_103:
	s_wait_alu 0xfffe
	s_or_b32 exec_lo, exec_lo, s0
	s_wait_loadcnt 0x0
	s_wait_storecnt 0x0
	s_barrier_signal -1
	s_barrier_wait -1
	global_inv scope:SCOPE_SE
	scratch_load_b128 v[1:4], off, s23
	s_mov_b32 s0, exec_lo
	s_wait_loadcnt 0x0
	ds_store_b128 v5, v[1:4]
	s_wait_dscnt 0x0
	s_barrier_signal -1
	s_barrier_wait -1
	global_inv scope:SCOPE_SE
	v_cmpx_gt_u32_e32 23, v0
	s_cbranch_execz .LBB30_107
; %bb.104:
	v_dual_mov_b32 v1, 0 :: v_dual_add_nc_u32 v8, 0x1f0, v75
	v_mov_b32_e32 v3, 0
	v_dual_mov_b32 v2, 0 :: v_dual_add_nc_u32 v7, -1, v0
	v_mov_b32_e32 v4, 0
	v_or_b32_e32 v9, 8, v76
	s_mov_b32 s1, 0
.LBB30_105:                             ; =>This Inner Loop Header: Depth=1
	scratch_load_b128 v[77:80], v9, off offset:-8
	ds_load_b128 v[81:84], v8
	v_add_nc_u32_e32 v7, 1, v7
	v_add_nc_u32_e32 v8, 16, v8
	v_add_nc_u32_e32 v9, 16, v9
	s_delay_alu instid0(VALU_DEP_3)
	v_cmp_lt_u32_e32 vcc_lo, 21, v7
	s_wait_alu 0xfffe
	s_or_b32 s1, vcc_lo, s1
	s_wait_loadcnt_dscnt 0x0
	v_mul_f64_e32 v[10:11], v[83:84], v[79:80]
	v_mul_f64_e32 v[79:80], v[81:82], v[79:80]
	s_delay_alu instid0(VALU_DEP_2) | instskip(NEXT) | instid1(VALU_DEP_2)
	v_fma_f64 v[10:11], v[81:82], v[77:78], -v[10:11]
	v_fma_f64 v[77:78], v[83:84], v[77:78], v[79:80]
	s_delay_alu instid0(VALU_DEP_2) | instskip(NEXT) | instid1(VALU_DEP_2)
	v_add_f64_e32 v[3:4], v[3:4], v[10:11]
	v_add_f64_e32 v[1:2], v[1:2], v[77:78]
	s_wait_alu 0xfffe
	s_and_not1_b32 exec_lo, exec_lo, s1
	s_cbranch_execnz .LBB30_105
; %bb.106:
	s_or_b32 exec_lo, exec_lo, s1
	v_mov_b32_e32 v7, 0
	ds_load_b128 v[7:10], v7 offset:368
	s_wait_dscnt 0x0
	v_mul_f64_e32 v[11:12], v[1:2], v[9:10]
	v_mul_f64_e32 v[77:78], v[3:4], v[9:10]
	s_delay_alu instid0(VALU_DEP_2) | instskip(NEXT) | instid1(VALU_DEP_2)
	v_fma_f64 v[9:10], v[3:4], v[7:8], -v[11:12]
	v_fma_f64 v[11:12], v[1:2], v[7:8], v[77:78]
	scratch_store_b128 off, v[9:12], off offset:384
.LBB30_107:
	s_wait_alu 0xfffe
	s_or_b32 exec_lo, exec_lo, s0
	s_wait_loadcnt 0x0
	s_wait_storecnt 0x0
	s_barrier_signal -1
	s_barrier_wait -1
	global_inv scope:SCOPE_SE
	scratch_load_b128 v[1:4], off, s27
	;; [unrolled: 58-line block ×8, first 2 shown]
	s_mov_b32 s0, exec_lo
	s_wait_loadcnt 0x0
	ds_store_b128 v5, v[1:4]
	s_wait_dscnt 0x0
	s_barrier_signal -1
	s_barrier_wait -1
	global_inv scope:SCOPE_SE
	v_cmpx_ne_u32_e32 30, v0
	s_cbranch_execz .LBB30_135
; %bb.132:
	v_mov_b32_e32 v1, 0
	v_dual_mov_b32 v2, 0 :: v_dual_mov_b32 v3, 0
	v_mov_b32_e32 v4, 0
	v_or_b32_e32 v7, 8, v76
	s_mov_b32 s1, 0
.LBB30_133:                             ; =>This Inner Loop Header: Depth=1
	scratch_load_b128 v[8:11], v7, off offset:-8
	ds_load_b128 v[75:78], v5
	v_add_nc_u32_e32 v6, 1, v6
	v_add_nc_u32_e32 v5, 16, v5
	;; [unrolled: 1-line block ×3, first 2 shown]
	s_delay_alu instid0(VALU_DEP_3)
	v_cmp_lt_u32_e32 vcc_lo, 28, v6
	s_wait_alu 0xfffe
	s_or_b32 s1, vcc_lo, s1
	s_wait_loadcnt_dscnt 0x0
	v_mul_f64_e32 v[79:80], v[77:78], v[10:11]
	v_mul_f64_e32 v[10:11], v[75:76], v[10:11]
	s_delay_alu instid0(VALU_DEP_2) | instskip(NEXT) | instid1(VALU_DEP_2)
	v_fma_f64 v[75:76], v[75:76], v[8:9], -v[79:80]
	v_fma_f64 v[8:9], v[77:78], v[8:9], v[10:11]
	s_delay_alu instid0(VALU_DEP_2) | instskip(NEXT) | instid1(VALU_DEP_2)
	v_add_f64_e32 v[3:4], v[3:4], v[75:76]
	v_add_f64_e32 v[1:2], v[1:2], v[8:9]
	s_wait_alu 0xfffe
	s_and_not1_b32 exec_lo, exec_lo, s1
	s_cbranch_execnz .LBB30_133
; %bb.134:
	s_or_b32 exec_lo, exec_lo, s1
	v_mov_b32_e32 v5, 0
	ds_load_b128 v[5:8], v5 offset:480
	s_wait_dscnt 0x0
	v_mul_f64_e32 v[9:10], v[1:2], v[7:8]
	v_mul_f64_e32 v[7:8], v[3:4], v[7:8]
	s_delay_alu instid0(VALU_DEP_2) | instskip(NEXT) | instid1(VALU_DEP_2)
	v_fma_f64 v[3:4], v[3:4], v[5:6], -v[9:10]
	v_fma_f64 v[5:6], v[1:2], v[5:6], v[7:8]
	scratch_store_b128 off, v[3:6], off offset:496
.LBB30_135:
	s_wait_alu 0xfffe
	s_or_b32 exec_lo, exec_lo, s0
	s_mov_b32 s1, -1
	s_wait_loadcnt 0x0
	s_wait_storecnt 0x0
	s_barrier_signal -1
	s_barrier_wait -1
	global_inv scope:SCOPE_SE
.LBB30_136:
	s_wait_alu 0xfffe
	s_and_b32 vcc_lo, exec_lo, s1
	s_wait_alu 0xfffe
	s_cbranch_vccz .LBB30_138
; %bb.137:
	v_mov_b32_e32 v1, 0
	s_lshl_b64 s[0:1], s[16:17], 2
	s_wait_alu 0xfffe
	s_add_nc_u64 s[0:1], s[6:7], s[0:1]
	global_load_b32 v1, v1, s[0:1]
	s_wait_loadcnt 0x0
	v_cmp_ne_u32_e32 vcc_lo, 0, v1
	s_cbranch_vccz .LBB30_139
.LBB30_138:
	s_nop 0
	s_sendmsg sendmsg(MSG_DEALLOC_VGPRS)
	s_endpgm
.LBB30_139:
	v_lshl_add_u32 v5, v0, 4, 0x1f0
	s_mov_b32 s0, exec_lo
	v_cmpx_eq_u32_e32 30, v0
	s_cbranch_execz .LBB30_141
; %bb.140:
	scratch_load_b128 v[1:4], off, s24
	v_mov_b32_e32 v6, 0
	s_delay_alu instid0(VALU_DEP_1)
	v_dual_mov_b32 v7, v6 :: v_dual_mov_b32 v8, v6
	v_mov_b32_e32 v9, v6
	scratch_store_b128 off, v[6:9], off offset:480
	s_wait_loadcnt 0x0
	ds_store_b128 v5, v[1:4]
.LBB30_141:
	s_wait_alu 0xfffe
	s_or_b32 exec_lo, exec_lo, s0
	s_wait_storecnt_dscnt 0x0
	s_barrier_signal -1
	s_barrier_wait -1
	global_inv scope:SCOPE_SE
	s_clause 0x1
	scratch_load_b128 v[6:9], off, off offset:496
	scratch_load_b128 v[75:78], off, off offset:480
	v_mov_b32_e32 v1, 0
	s_mov_b32 s0, exec_lo
	ds_load_b128 v[79:82], v1 offset:976
	s_wait_loadcnt_dscnt 0x100
	v_mul_f64_e32 v[2:3], v[81:82], v[8:9]
	v_mul_f64_e32 v[8:9], v[79:80], v[8:9]
	s_delay_alu instid0(VALU_DEP_2) | instskip(NEXT) | instid1(VALU_DEP_2)
	v_fma_f64 v[2:3], v[79:80], v[6:7], -v[2:3]
	v_fma_f64 v[6:7], v[81:82], v[6:7], v[8:9]
	s_delay_alu instid0(VALU_DEP_2) | instskip(NEXT) | instid1(VALU_DEP_2)
	v_add_f64_e32 v[2:3], 0, v[2:3]
	v_add_f64_e32 v[8:9], 0, v[6:7]
	s_wait_loadcnt 0x0
	s_delay_alu instid0(VALU_DEP_2) | instskip(NEXT) | instid1(VALU_DEP_2)
	v_add_f64_e64 v[6:7], v[75:76], -v[2:3]
	v_add_f64_e64 v[8:9], v[77:78], -v[8:9]
	scratch_store_b128 off, v[6:9], off offset:480
	v_cmpx_lt_u32_e32 28, v0
	s_cbranch_execz .LBB30_143
; %bb.142:
	scratch_load_b128 v[6:9], off, s31
	v_dual_mov_b32 v2, v1 :: v_dual_mov_b32 v3, v1
	v_mov_b32_e32 v4, v1
	scratch_store_b128 off, v[1:4], off offset:464
	s_wait_loadcnt 0x0
	ds_store_b128 v5, v[6:9]
.LBB30_143:
	s_wait_alu 0xfffe
	s_or_b32 exec_lo, exec_lo, s0
	s_wait_storecnt_dscnt 0x0
	s_barrier_signal -1
	s_barrier_wait -1
	global_inv scope:SCOPE_SE
	s_clause 0x2
	scratch_load_b128 v[6:9], off, off offset:480
	scratch_load_b128 v[75:78], off, off offset:496
	scratch_load_b128 v[79:82], off, off offset:464
	ds_load_b128 v[83:86], v1 offset:960
	ds_load_b128 v[1:4], v1 offset:976
	s_mov_b32 s0, exec_lo
	s_wait_loadcnt_dscnt 0x201
	v_mul_f64_e32 v[10:11], v[85:86], v[8:9]
	v_mul_f64_e32 v[8:9], v[83:84], v[8:9]
	s_wait_loadcnt_dscnt 0x100
	v_mul_f64_e32 v[87:88], v[1:2], v[77:78]
	v_mul_f64_e32 v[77:78], v[3:4], v[77:78]
	s_delay_alu instid0(VALU_DEP_4) | instskip(NEXT) | instid1(VALU_DEP_4)
	v_fma_f64 v[10:11], v[83:84], v[6:7], -v[10:11]
	v_fma_f64 v[6:7], v[85:86], v[6:7], v[8:9]
	s_delay_alu instid0(VALU_DEP_4) | instskip(NEXT) | instid1(VALU_DEP_4)
	v_fma_f64 v[3:4], v[3:4], v[75:76], v[87:88]
	v_fma_f64 v[1:2], v[1:2], v[75:76], -v[77:78]
	s_delay_alu instid0(VALU_DEP_4) | instskip(NEXT) | instid1(VALU_DEP_4)
	v_add_f64_e32 v[8:9], 0, v[10:11]
	v_add_f64_e32 v[6:7], 0, v[6:7]
	s_delay_alu instid0(VALU_DEP_2) | instskip(NEXT) | instid1(VALU_DEP_2)
	v_add_f64_e32 v[1:2], v[8:9], v[1:2]
	v_add_f64_e32 v[3:4], v[6:7], v[3:4]
	s_wait_loadcnt 0x0
	s_delay_alu instid0(VALU_DEP_2) | instskip(NEXT) | instid1(VALU_DEP_2)
	v_add_f64_e64 v[1:2], v[79:80], -v[1:2]
	v_add_f64_e64 v[3:4], v[81:82], -v[3:4]
	scratch_store_b128 off, v[1:4], off offset:464
	v_cmpx_lt_u32_e32 27, v0
	s_cbranch_execz .LBB30_145
; %bb.144:
	scratch_load_b128 v[1:4], off, s21
	v_mov_b32_e32 v6, 0
	s_delay_alu instid0(VALU_DEP_1)
	v_dual_mov_b32 v7, v6 :: v_dual_mov_b32 v8, v6
	v_mov_b32_e32 v9, v6
	scratch_store_b128 off, v[6:9], off offset:448
	s_wait_loadcnt 0x0
	ds_store_b128 v5, v[1:4]
.LBB30_145:
	s_wait_alu 0xfffe
	s_or_b32 exec_lo, exec_lo, s0
	s_wait_storecnt_dscnt 0x0
	s_barrier_signal -1
	s_barrier_wait -1
	global_inv scope:SCOPE_SE
	s_clause 0x3
	scratch_load_b128 v[6:9], off, off offset:464
	scratch_load_b128 v[75:78], off, off offset:480
	;; [unrolled: 1-line block ×4, first 2 shown]
	v_mov_b32_e32 v1, 0
	ds_load_b128 v[87:90], v1 offset:944
	ds_load_b128 v[91:94], v1 offset:960
	s_mov_b32 s0, exec_lo
	s_wait_loadcnt_dscnt 0x301
	v_mul_f64_e32 v[2:3], v[89:90], v[8:9]
	v_mul_f64_e32 v[8:9], v[87:88], v[8:9]
	s_wait_loadcnt_dscnt 0x200
	v_mul_f64_e32 v[10:11], v[91:92], v[77:78]
	v_mul_f64_e32 v[77:78], v[93:94], v[77:78]
	s_delay_alu instid0(VALU_DEP_4) | instskip(NEXT) | instid1(VALU_DEP_4)
	v_fma_f64 v[2:3], v[87:88], v[6:7], -v[2:3]
	v_fma_f64 v[87:88], v[89:90], v[6:7], v[8:9]
	ds_load_b128 v[6:9], v1 offset:976
	v_fma_f64 v[10:11], v[93:94], v[75:76], v[10:11]
	v_fma_f64 v[75:76], v[91:92], v[75:76], -v[77:78]
	s_wait_loadcnt_dscnt 0x100
	v_mul_f64_e32 v[89:90], v[6:7], v[81:82]
	v_mul_f64_e32 v[81:82], v[8:9], v[81:82]
	v_add_f64_e32 v[2:3], 0, v[2:3]
	v_add_f64_e32 v[77:78], 0, v[87:88]
	s_delay_alu instid0(VALU_DEP_4) | instskip(NEXT) | instid1(VALU_DEP_4)
	v_fma_f64 v[8:9], v[8:9], v[79:80], v[89:90]
	v_fma_f64 v[6:7], v[6:7], v[79:80], -v[81:82]
	s_delay_alu instid0(VALU_DEP_4) | instskip(NEXT) | instid1(VALU_DEP_4)
	v_add_f64_e32 v[2:3], v[2:3], v[75:76]
	v_add_f64_e32 v[10:11], v[77:78], v[10:11]
	s_delay_alu instid0(VALU_DEP_2) | instskip(NEXT) | instid1(VALU_DEP_2)
	v_add_f64_e32 v[2:3], v[2:3], v[6:7]
	v_add_f64_e32 v[8:9], v[10:11], v[8:9]
	s_wait_loadcnt 0x0
	s_delay_alu instid0(VALU_DEP_2) | instskip(NEXT) | instid1(VALU_DEP_2)
	v_add_f64_e64 v[6:7], v[83:84], -v[2:3]
	v_add_f64_e64 v[8:9], v[85:86], -v[8:9]
	scratch_store_b128 off, v[6:9], off offset:448
	v_cmpx_lt_u32_e32 26, v0
	s_cbranch_execz .LBB30_147
; %bb.146:
	scratch_load_b128 v[6:9], off, s30
	v_dual_mov_b32 v2, v1 :: v_dual_mov_b32 v3, v1
	v_mov_b32_e32 v4, v1
	scratch_store_b128 off, v[1:4], off offset:432
	s_wait_loadcnt 0x0
	ds_store_b128 v5, v[6:9]
.LBB30_147:
	s_wait_alu 0xfffe
	s_or_b32 exec_lo, exec_lo, s0
	s_wait_storecnt_dscnt 0x0
	s_barrier_signal -1
	s_barrier_wait -1
	global_inv scope:SCOPE_SE
	s_clause 0x4
	scratch_load_b128 v[6:9], off, off offset:448
	scratch_load_b128 v[75:78], off, off offset:464
	;; [unrolled: 1-line block ×5, first 2 shown]
	ds_load_b128 v[91:94], v1 offset:928
	ds_load_b128 v[95:98], v1 offset:944
	s_mov_b32 s0, exec_lo
	s_wait_loadcnt_dscnt 0x401
	v_mul_f64_e32 v[2:3], v[93:94], v[8:9]
	v_mul_f64_e32 v[8:9], v[91:92], v[8:9]
	s_wait_loadcnt_dscnt 0x300
	v_mul_f64_e32 v[10:11], v[95:96], v[77:78]
	v_mul_f64_e32 v[77:78], v[97:98], v[77:78]
	s_delay_alu instid0(VALU_DEP_4) | instskip(NEXT) | instid1(VALU_DEP_4)
	v_fma_f64 v[91:92], v[91:92], v[6:7], -v[2:3]
	v_fma_f64 v[93:94], v[93:94], v[6:7], v[8:9]
	ds_load_b128 v[6:9], v1 offset:960
	ds_load_b128 v[1:4], v1 offset:976
	v_fma_f64 v[10:11], v[97:98], v[75:76], v[10:11]
	v_fma_f64 v[75:76], v[95:96], v[75:76], -v[77:78]
	s_wait_loadcnt_dscnt 0x201
	v_mul_f64_e32 v[99:100], v[6:7], v[81:82]
	v_mul_f64_e32 v[81:82], v[8:9], v[81:82]
	v_add_f64_e32 v[77:78], 0, v[91:92]
	v_add_f64_e32 v[91:92], 0, v[93:94]
	s_wait_loadcnt_dscnt 0x100
	v_mul_f64_e32 v[93:94], v[1:2], v[85:86]
	v_mul_f64_e32 v[85:86], v[3:4], v[85:86]
	v_fma_f64 v[8:9], v[8:9], v[79:80], v[99:100]
	v_fma_f64 v[6:7], v[6:7], v[79:80], -v[81:82]
	v_add_f64_e32 v[75:76], v[77:78], v[75:76]
	v_add_f64_e32 v[10:11], v[91:92], v[10:11]
	v_fma_f64 v[3:4], v[3:4], v[83:84], v[93:94]
	v_fma_f64 v[1:2], v[1:2], v[83:84], -v[85:86]
	s_delay_alu instid0(VALU_DEP_4) | instskip(NEXT) | instid1(VALU_DEP_4)
	v_add_f64_e32 v[6:7], v[75:76], v[6:7]
	v_add_f64_e32 v[8:9], v[10:11], v[8:9]
	s_delay_alu instid0(VALU_DEP_2) | instskip(NEXT) | instid1(VALU_DEP_2)
	v_add_f64_e32 v[1:2], v[6:7], v[1:2]
	v_add_f64_e32 v[3:4], v[8:9], v[3:4]
	s_wait_loadcnt 0x0
	s_delay_alu instid0(VALU_DEP_2) | instskip(NEXT) | instid1(VALU_DEP_2)
	v_add_f64_e64 v[1:2], v[87:88], -v[1:2]
	v_add_f64_e64 v[3:4], v[89:90], -v[3:4]
	scratch_store_b128 off, v[1:4], off offset:432
	v_cmpx_lt_u32_e32 25, v0
	s_cbranch_execz .LBB30_149
; %bb.148:
	scratch_load_b128 v[1:4], off, s20
	v_mov_b32_e32 v6, 0
	s_delay_alu instid0(VALU_DEP_1)
	v_dual_mov_b32 v7, v6 :: v_dual_mov_b32 v8, v6
	v_mov_b32_e32 v9, v6
	scratch_store_b128 off, v[6:9], off offset:416
	s_wait_loadcnt 0x0
	ds_store_b128 v5, v[1:4]
.LBB30_149:
	s_wait_alu 0xfffe
	s_or_b32 exec_lo, exec_lo, s0
	s_wait_storecnt_dscnt 0x0
	s_barrier_signal -1
	s_barrier_wait -1
	global_inv scope:SCOPE_SE
	s_clause 0x5
	scratch_load_b128 v[6:9], off, off offset:432
	scratch_load_b128 v[75:78], off, off offset:448
	;; [unrolled: 1-line block ×6, first 2 shown]
	v_mov_b32_e32 v1, 0
	ds_load_b128 v[95:98], v1 offset:912
	ds_load_b128 v[99:102], v1 offset:928
	s_mov_b32 s0, exec_lo
	s_wait_loadcnt_dscnt 0x501
	v_mul_f64_e32 v[2:3], v[97:98], v[8:9]
	v_mul_f64_e32 v[8:9], v[95:96], v[8:9]
	s_wait_loadcnt_dscnt 0x400
	v_mul_f64_e32 v[10:11], v[99:100], v[77:78]
	v_mul_f64_e32 v[77:78], v[101:102], v[77:78]
	s_delay_alu instid0(VALU_DEP_4) | instskip(NEXT) | instid1(VALU_DEP_4)
	v_fma_f64 v[2:3], v[95:96], v[6:7], -v[2:3]
	v_fma_f64 v[103:104], v[97:98], v[6:7], v[8:9]
	ds_load_b128 v[6:9], v1 offset:944
	ds_load_b128 v[95:98], v1 offset:960
	v_fma_f64 v[10:11], v[101:102], v[75:76], v[10:11]
	v_fma_f64 v[75:76], v[99:100], v[75:76], -v[77:78]
	s_wait_loadcnt_dscnt 0x301
	v_mul_f64_e32 v[105:106], v[6:7], v[81:82]
	v_mul_f64_e32 v[81:82], v[8:9], v[81:82]
	s_wait_loadcnt_dscnt 0x200
	v_mul_f64_e32 v[99:100], v[95:96], v[85:86]
	v_mul_f64_e32 v[85:86], v[97:98], v[85:86]
	v_add_f64_e32 v[2:3], 0, v[2:3]
	v_add_f64_e32 v[77:78], 0, v[103:104]
	v_fma_f64 v[101:102], v[8:9], v[79:80], v[105:106]
	v_fma_f64 v[79:80], v[6:7], v[79:80], -v[81:82]
	ds_load_b128 v[6:9], v1 offset:976
	v_fma_f64 v[81:82], v[97:98], v[83:84], v[99:100]
	v_fma_f64 v[83:84], v[95:96], v[83:84], -v[85:86]
	v_add_f64_e32 v[2:3], v[2:3], v[75:76]
	v_add_f64_e32 v[10:11], v[77:78], v[10:11]
	s_wait_loadcnt_dscnt 0x100
	v_mul_f64_e32 v[75:76], v[6:7], v[89:90]
	v_mul_f64_e32 v[77:78], v[8:9], v[89:90]
	s_delay_alu instid0(VALU_DEP_4) | instskip(NEXT) | instid1(VALU_DEP_4)
	v_add_f64_e32 v[2:3], v[2:3], v[79:80]
	v_add_f64_e32 v[10:11], v[10:11], v[101:102]
	s_delay_alu instid0(VALU_DEP_4) | instskip(NEXT) | instid1(VALU_DEP_4)
	v_fma_f64 v[8:9], v[8:9], v[87:88], v[75:76]
	v_fma_f64 v[6:7], v[6:7], v[87:88], -v[77:78]
	s_delay_alu instid0(VALU_DEP_4) | instskip(NEXT) | instid1(VALU_DEP_4)
	v_add_f64_e32 v[2:3], v[2:3], v[83:84]
	v_add_f64_e32 v[10:11], v[10:11], v[81:82]
	s_delay_alu instid0(VALU_DEP_2) | instskip(NEXT) | instid1(VALU_DEP_2)
	v_add_f64_e32 v[2:3], v[2:3], v[6:7]
	v_add_f64_e32 v[8:9], v[10:11], v[8:9]
	s_wait_loadcnt 0x0
	s_delay_alu instid0(VALU_DEP_2) | instskip(NEXT) | instid1(VALU_DEP_2)
	v_add_f64_e64 v[6:7], v[91:92], -v[2:3]
	v_add_f64_e64 v[8:9], v[93:94], -v[8:9]
	scratch_store_b128 off, v[6:9], off offset:416
	v_cmpx_lt_u32_e32 24, v0
	s_cbranch_execz .LBB30_151
; %bb.150:
	scratch_load_b128 v[6:9], off, s27
	v_dual_mov_b32 v2, v1 :: v_dual_mov_b32 v3, v1
	v_mov_b32_e32 v4, v1
	scratch_store_b128 off, v[1:4], off offset:400
	s_wait_loadcnt 0x0
	ds_store_b128 v5, v[6:9]
.LBB30_151:
	s_wait_alu 0xfffe
	s_or_b32 exec_lo, exec_lo, s0
	s_wait_storecnt_dscnt 0x0
	s_barrier_signal -1
	s_barrier_wait -1
	global_inv scope:SCOPE_SE
	s_clause 0x5
	scratch_load_b128 v[6:9], off, off offset:416
	scratch_load_b128 v[75:78], off, off offset:432
	;; [unrolled: 1-line block ×6, first 2 shown]
	ds_load_b128 v[95:98], v1 offset:896
	ds_load_b128 v[103:106], v1 offset:912
	scratch_load_b128 v[99:102], off, off offset:400
	s_mov_b32 s0, exec_lo
	s_wait_loadcnt_dscnt 0x601
	v_mul_f64_e32 v[2:3], v[97:98], v[8:9]
	v_mul_f64_e32 v[8:9], v[95:96], v[8:9]
	s_wait_loadcnt_dscnt 0x500
	v_mul_f64_e32 v[10:11], v[103:104], v[77:78]
	v_mul_f64_e32 v[77:78], v[105:106], v[77:78]
	s_delay_alu instid0(VALU_DEP_4) | instskip(NEXT) | instid1(VALU_DEP_4)
	v_fma_f64 v[2:3], v[95:96], v[6:7], -v[2:3]
	v_fma_f64 v[107:108], v[97:98], v[6:7], v[8:9]
	ds_load_b128 v[6:9], v1 offset:928
	ds_load_b128 v[95:98], v1 offset:944
	v_fma_f64 v[10:11], v[105:106], v[75:76], v[10:11]
	v_fma_f64 v[75:76], v[103:104], v[75:76], -v[77:78]
	s_wait_loadcnt_dscnt 0x401
	v_mul_f64_e32 v[109:110], v[6:7], v[81:82]
	v_mul_f64_e32 v[81:82], v[8:9], v[81:82]
	s_wait_loadcnt_dscnt 0x300
	v_mul_f64_e32 v[103:104], v[95:96], v[85:86]
	v_mul_f64_e32 v[85:86], v[97:98], v[85:86]
	v_add_f64_e32 v[2:3], 0, v[2:3]
	v_add_f64_e32 v[77:78], 0, v[107:108]
	v_fma_f64 v[105:106], v[8:9], v[79:80], v[109:110]
	v_fma_f64 v[79:80], v[6:7], v[79:80], -v[81:82]
	s_delay_alu instid0(VALU_DEP_4) | instskip(NEXT) | instid1(VALU_DEP_4)
	v_add_f64_e32 v[75:76], v[2:3], v[75:76]
	v_add_f64_e32 v[10:11], v[77:78], v[10:11]
	ds_load_b128 v[6:9], v1 offset:960
	ds_load_b128 v[1:4], v1 offset:976
	s_wait_loadcnt_dscnt 0x201
	v_mul_f64_e32 v[77:78], v[6:7], v[89:90]
	v_mul_f64_e32 v[81:82], v[8:9], v[89:90]
	v_fma_f64 v[89:90], v[97:98], v[83:84], v[103:104]
	v_fma_f64 v[83:84], v[95:96], v[83:84], -v[85:86]
	s_wait_loadcnt_dscnt 0x100
	v_mul_f64_e32 v[85:86], v[3:4], v[93:94]
	v_add_f64_e32 v[75:76], v[75:76], v[79:80]
	v_add_f64_e32 v[10:11], v[10:11], v[105:106]
	v_mul_f64_e32 v[79:80], v[1:2], v[93:94]
	v_fma_f64 v[8:9], v[8:9], v[87:88], v[77:78]
	v_fma_f64 v[6:7], v[6:7], v[87:88], -v[81:82]
	v_fma_f64 v[1:2], v[1:2], v[91:92], -v[85:86]
	v_add_f64_e32 v[75:76], v[75:76], v[83:84]
	v_add_f64_e32 v[10:11], v[10:11], v[89:90]
	v_fma_f64 v[3:4], v[3:4], v[91:92], v[79:80]
	s_delay_alu instid0(VALU_DEP_3) | instskip(NEXT) | instid1(VALU_DEP_3)
	v_add_f64_e32 v[6:7], v[75:76], v[6:7]
	v_add_f64_e32 v[8:9], v[10:11], v[8:9]
	s_delay_alu instid0(VALU_DEP_2) | instskip(NEXT) | instid1(VALU_DEP_2)
	v_add_f64_e32 v[1:2], v[6:7], v[1:2]
	v_add_f64_e32 v[3:4], v[8:9], v[3:4]
	s_wait_loadcnt 0x0
	s_delay_alu instid0(VALU_DEP_2) | instskip(NEXT) | instid1(VALU_DEP_2)
	v_add_f64_e64 v[1:2], v[99:100], -v[1:2]
	v_add_f64_e64 v[3:4], v[101:102], -v[3:4]
	scratch_store_b128 off, v[1:4], off offset:400
	v_cmpx_lt_u32_e32 23, v0
	s_cbranch_execz .LBB30_153
; %bb.152:
	scratch_load_b128 v[1:4], off, s23
	v_mov_b32_e32 v6, 0
	s_delay_alu instid0(VALU_DEP_1)
	v_dual_mov_b32 v7, v6 :: v_dual_mov_b32 v8, v6
	v_mov_b32_e32 v9, v6
	scratch_store_b128 off, v[6:9], off offset:384
	s_wait_loadcnt 0x0
	ds_store_b128 v5, v[1:4]
.LBB30_153:
	s_wait_alu 0xfffe
	s_or_b32 exec_lo, exec_lo, s0
	s_wait_storecnt_dscnt 0x0
	s_barrier_signal -1
	s_barrier_wait -1
	global_inv scope:SCOPE_SE
	s_clause 0x6
	scratch_load_b128 v[6:9], off, off offset:400
	scratch_load_b128 v[75:78], off, off offset:416
	;; [unrolled: 1-line block ×7, first 2 shown]
	v_mov_b32_e32 v1, 0
	scratch_load_b128 v[103:106], off, off offset:384
	s_mov_b32 s0, exec_lo
	ds_load_b128 v[99:102], v1 offset:880
	ds_load_b128 v[107:110], v1 offset:896
	s_wait_loadcnt_dscnt 0x701
	v_mul_f64_e32 v[2:3], v[101:102], v[8:9]
	v_mul_f64_e32 v[8:9], v[99:100], v[8:9]
	s_wait_loadcnt_dscnt 0x600
	v_mul_f64_e32 v[10:11], v[107:108], v[77:78]
	v_mul_f64_e32 v[77:78], v[109:110], v[77:78]
	s_delay_alu instid0(VALU_DEP_4) | instskip(NEXT) | instid1(VALU_DEP_4)
	v_fma_f64 v[2:3], v[99:100], v[6:7], -v[2:3]
	v_fma_f64 v[111:112], v[101:102], v[6:7], v[8:9]
	ds_load_b128 v[6:9], v1 offset:912
	ds_load_b128 v[99:102], v1 offset:928
	v_fma_f64 v[10:11], v[109:110], v[75:76], v[10:11]
	v_fma_f64 v[75:76], v[107:108], v[75:76], -v[77:78]
	s_wait_loadcnt_dscnt 0x501
	v_mul_f64_e32 v[113:114], v[6:7], v[81:82]
	v_mul_f64_e32 v[81:82], v[8:9], v[81:82]
	s_wait_loadcnt_dscnt 0x400
	v_mul_f64_e32 v[107:108], v[99:100], v[85:86]
	v_mul_f64_e32 v[85:86], v[101:102], v[85:86]
	v_add_f64_e32 v[2:3], 0, v[2:3]
	v_add_f64_e32 v[77:78], 0, v[111:112]
	v_fma_f64 v[109:110], v[8:9], v[79:80], v[113:114]
	v_fma_f64 v[79:80], v[6:7], v[79:80], -v[81:82]
	v_fma_f64 v[101:102], v[101:102], v[83:84], v[107:108]
	v_fma_f64 v[83:84], v[99:100], v[83:84], -v[85:86]
	v_add_f64_e32 v[2:3], v[2:3], v[75:76]
	v_add_f64_e32 v[10:11], v[77:78], v[10:11]
	ds_load_b128 v[6:9], v1 offset:944
	ds_load_b128 v[75:78], v1 offset:960
	s_wait_loadcnt_dscnt 0x301
	v_mul_f64_e32 v[81:82], v[6:7], v[89:90]
	v_mul_f64_e32 v[89:90], v[8:9], v[89:90]
	s_wait_loadcnt_dscnt 0x200
	v_mul_f64_e32 v[85:86], v[77:78], v[93:94]
	v_add_f64_e32 v[2:3], v[2:3], v[79:80]
	v_add_f64_e32 v[10:11], v[10:11], v[109:110]
	v_mul_f64_e32 v[79:80], v[75:76], v[93:94]
	v_fma_f64 v[81:82], v[8:9], v[87:88], v[81:82]
	v_fma_f64 v[87:88], v[6:7], v[87:88], -v[89:90]
	ds_load_b128 v[6:9], v1 offset:976
	v_fma_f64 v[75:76], v[75:76], v[91:92], -v[85:86]
	v_add_f64_e32 v[2:3], v[2:3], v[83:84]
	v_add_f64_e32 v[10:11], v[10:11], v[101:102]
	v_fma_f64 v[77:78], v[77:78], v[91:92], v[79:80]
	s_wait_loadcnt_dscnt 0x100
	v_mul_f64_e32 v[83:84], v[6:7], v[97:98]
	v_mul_f64_e32 v[89:90], v[8:9], v[97:98]
	v_add_f64_e32 v[2:3], v[2:3], v[87:88]
	v_add_f64_e32 v[10:11], v[10:11], v[81:82]
	s_delay_alu instid0(VALU_DEP_4) | instskip(NEXT) | instid1(VALU_DEP_4)
	v_fma_f64 v[8:9], v[8:9], v[95:96], v[83:84]
	v_fma_f64 v[6:7], v[6:7], v[95:96], -v[89:90]
	s_delay_alu instid0(VALU_DEP_4) | instskip(NEXT) | instid1(VALU_DEP_4)
	v_add_f64_e32 v[2:3], v[2:3], v[75:76]
	v_add_f64_e32 v[10:11], v[10:11], v[77:78]
	s_delay_alu instid0(VALU_DEP_2) | instskip(NEXT) | instid1(VALU_DEP_2)
	v_add_f64_e32 v[2:3], v[2:3], v[6:7]
	v_add_f64_e32 v[8:9], v[10:11], v[8:9]
	s_wait_loadcnt 0x0
	s_delay_alu instid0(VALU_DEP_2) | instskip(NEXT) | instid1(VALU_DEP_2)
	v_add_f64_e64 v[6:7], v[103:104], -v[2:3]
	v_add_f64_e64 v[8:9], v[105:106], -v[8:9]
	scratch_store_b128 off, v[6:9], off offset:384
	v_cmpx_lt_u32_e32 22, v0
	s_cbranch_execz .LBB30_155
; %bb.154:
	scratch_load_b128 v[6:9], off, s29
	v_dual_mov_b32 v2, v1 :: v_dual_mov_b32 v3, v1
	v_mov_b32_e32 v4, v1
	scratch_store_b128 off, v[1:4], off offset:368
	s_wait_loadcnt 0x0
	ds_store_b128 v5, v[6:9]
.LBB30_155:
	s_wait_alu 0xfffe
	s_or_b32 exec_lo, exec_lo, s0
	s_wait_storecnt_dscnt 0x0
	s_barrier_signal -1
	s_barrier_wait -1
	global_inv scope:SCOPE_SE
	s_clause 0x7
	scratch_load_b128 v[6:9], off, off offset:384
	scratch_load_b128 v[75:78], off, off offset:400
	;; [unrolled: 1-line block ×8, first 2 shown]
	ds_load_b128 v[103:106], v1 offset:864
	ds_load_b128 v[107:110], v1 offset:880
	scratch_load_b128 v[111:114], off, off offset:368
	s_mov_b32 s0, exec_lo
	s_wait_loadcnt_dscnt 0x801
	v_mul_f64_e32 v[2:3], v[105:106], v[8:9]
	v_mul_f64_e32 v[8:9], v[103:104], v[8:9]
	s_wait_loadcnt_dscnt 0x700
	v_mul_f64_e32 v[10:11], v[107:108], v[77:78]
	v_mul_f64_e32 v[77:78], v[109:110], v[77:78]
	s_delay_alu instid0(VALU_DEP_4) | instskip(NEXT) | instid1(VALU_DEP_4)
	v_fma_f64 v[2:3], v[103:104], v[6:7], -v[2:3]
	v_fma_f64 v[115:116], v[105:106], v[6:7], v[8:9]
	ds_load_b128 v[6:9], v1 offset:896
	ds_load_b128 v[103:106], v1 offset:912
	v_fma_f64 v[10:11], v[109:110], v[75:76], v[10:11]
	v_fma_f64 v[75:76], v[107:108], v[75:76], -v[77:78]
	s_wait_loadcnt_dscnt 0x601
	v_mul_f64_e32 v[117:118], v[6:7], v[81:82]
	v_mul_f64_e32 v[81:82], v[8:9], v[81:82]
	s_wait_loadcnt_dscnt 0x500
	v_mul_f64_e32 v[107:108], v[103:104], v[85:86]
	v_mul_f64_e32 v[85:86], v[105:106], v[85:86]
	v_add_f64_e32 v[2:3], 0, v[2:3]
	v_add_f64_e32 v[77:78], 0, v[115:116]
	v_fma_f64 v[109:110], v[8:9], v[79:80], v[117:118]
	v_fma_f64 v[79:80], v[6:7], v[79:80], -v[81:82]
	v_fma_f64 v[105:106], v[105:106], v[83:84], v[107:108]
	v_fma_f64 v[83:84], v[103:104], v[83:84], -v[85:86]
	v_add_f64_e32 v[2:3], v[2:3], v[75:76]
	v_add_f64_e32 v[10:11], v[77:78], v[10:11]
	ds_load_b128 v[6:9], v1 offset:928
	ds_load_b128 v[75:78], v1 offset:944
	s_wait_loadcnt_dscnt 0x401
	v_mul_f64_e32 v[81:82], v[6:7], v[89:90]
	v_mul_f64_e32 v[89:90], v[8:9], v[89:90]
	s_wait_loadcnt_dscnt 0x300
	v_mul_f64_e32 v[85:86], v[77:78], v[93:94]
	v_add_f64_e32 v[2:3], v[2:3], v[79:80]
	v_add_f64_e32 v[10:11], v[10:11], v[109:110]
	v_mul_f64_e32 v[79:80], v[75:76], v[93:94]
	v_fma_f64 v[81:82], v[8:9], v[87:88], v[81:82]
	v_fma_f64 v[87:88], v[6:7], v[87:88], -v[89:90]
	v_fma_f64 v[75:76], v[75:76], v[91:92], -v[85:86]
	v_add_f64_e32 v[83:84], v[2:3], v[83:84]
	v_add_f64_e32 v[10:11], v[10:11], v[105:106]
	ds_load_b128 v[6:9], v1 offset:960
	ds_load_b128 v[1:4], v1 offset:976
	v_fma_f64 v[77:78], v[77:78], v[91:92], v[79:80]
	s_wait_loadcnt_dscnt 0x201
	v_mul_f64_e32 v[89:90], v[6:7], v[97:98]
	v_mul_f64_e32 v[93:94], v[8:9], v[97:98]
	v_add_f64_e32 v[79:80], v[83:84], v[87:88]
	v_add_f64_e32 v[10:11], v[10:11], v[81:82]
	s_wait_loadcnt_dscnt 0x100
	v_mul_f64_e32 v[81:82], v[1:2], v[101:102]
	v_mul_f64_e32 v[83:84], v[3:4], v[101:102]
	v_fma_f64 v[8:9], v[8:9], v[95:96], v[89:90]
	v_fma_f64 v[6:7], v[6:7], v[95:96], -v[93:94]
	v_add_f64_e32 v[75:76], v[79:80], v[75:76]
	v_add_f64_e32 v[10:11], v[10:11], v[77:78]
	v_fma_f64 v[3:4], v[3:4], v[99:100], v[81:82]
	v_fma_f64 v[1:2], v[1:2], v[99:100], -v[83:84]
	s_delay_alu instid0(VALU_DEP_4) | instskip(NEXT) | instid1(VALU_DEP_4)
	v_add_f64_e32 v[6:7], v[75:76], v[6:7]
	v_add_f64_e32 v[8:9], v[10:11], v[8:9]
	s_delay_alu instid0(VALU_DEP_2) | instskip(NEXT) | instid1(VALU_DEP_2)
	v_add_f64_e32 v[1:2], v[6:7], v[1:2]
	v_add_f64_e32 v[3:4], v[8:9], v[3:4]
	s_wait_loadcnt 0x0
	s_delay_alu instid0(VALU_DEP_2) | instskip(NEXT) | instid1(VALU_DEP_2)
	v_add_f64_e64 v[1:2], v[111:112], -v[1:2]
	v_add_f64_e64 v[3:4], v[113:114], -v[3:4]
	scratch_store_b128 off, v[1:4], off offset:368
	v_cmpx_lt_u32_e32 21, v0
	s_cbranch_execz .LBB30_157
; %bb.156:
	scratch_load_b128 v[1:4], off, s26
	v_mov_b32_e32 v6, 0
	s_delay_alu instid0(VALU_DEP_1)
	v_dual_mov_b32 v7, v6 :: v_dual_mov_b32 v8, v6
	v_mov_b32_e32 v9, v6
	scratch_store_b128 off, v[6:9], off offset:352
	s_wait_loadcnt 0x0
	ds_store_b128 v5, v[1:4]
.LBB30_157:
	s_wait_alu 0xfffe
	s_or_b32 exec_lo, exec_lo, s0
	s_wait_storecnt_dscnt 0x0
	s_barrier_signal -1
	s_barrier_wait -1
	global_inv scope:SCOPE_SE
	s_clause 0x7
	scratch_load_b128 v[6:9], off, off offset:368
	scratch_load_b128 v[75:78], off, off offset:384
	;; [unrolled: 1-line block ×8, first 2 shown]
	v_mov_b32_e32 v1, 0
	scratch_load_b128 v[107:110], off, off offset:496
	s_mov_b32 s0, exec_lo
	ds_load_b128 v[103:106], v1 offset:848
	s_wait_loadcnt_dscnt 0x800
	v_mul_f64_e32 v[2:3], v[105:106], v[8:9]
	v_mul_f64_e32 v[111:112], v[103:104], v[8:9]
	ds_load_b128 v[8:11], v1 offset:864
	v_fma_f64 v[2:3], v[103:104], v[6:7], -v[2:3]
	v_fma_f64 v[6:7], v[105:106], v[6:7], v[111:112]
	ds_load_b128 v[103:106], v1 offset:880
	s_wait_loadcnt_dscnt 0x701
	v_mul_f64_e32 v[113:114], v[8:9], v[77:78]
	v_mul_f64_e32 v[77:78], v[10:11], v[77:78]
	s_wait_loadcnt_dscnt 0x600
	v_mul_f64_e32 v[111:112], v[103:104], v[81:82]
	v_mul_f64_e32 v[81:82], v[105:106], v[81:82]
	v_add_f64_e32 v[2:3], 0, v[2:3]
	v_add_f64_e32 v[115:116], 0, v[6:7]
	v_fma_f64 v[10:11], v[10:11], v[75:76], v[113:114]
	v_fma_f64 v[113:114], v[8:9], v[75:76], -v[77:78]
	ds_load_b128 v[6:9], v1 offset:896
	scratch_load_b128 v[75:78], off, off offset:352
	v_fma_f64 v[105:106], v[105:106], v[79:80], v[111:112]
	v_fma_f64 v[103:104], v[103:104], v[79:80], -v[81:82]
	ds_load_b128 v[79:82], v1 offset:912
	s_wait_loadcnt_dscnt 0x601
	v_mul_f64_e32 v[117:118], v[6:7], v[85:86]
	v_mul_f64_e32 v[85:86], v[8:9], v[85:86]
	v_add_f64_e32 v[10:11], v[115:116], v[10:11]
	v_add_f64_e32 v[2:3], v[2:3], v[113:114]
	s_wait_loadcnt_dscnt 0x500
	v_mul_f64_e32 v[111:112], v[79:80], v[89:90]
	v_mul_f64_e32 v[89:90], v[81:82], v[89:90]
	v_fma_f64 v[113:114], v[8:9], v[83:84], v[117:118]
	v_fma_f64 v[83:84], v[6:7], v[83:84], -v[85:86]
	ds_load_b128 v[6:9], v1 offset:928
	v_add_f64_e32 v[10:11], v[10:11], v[105:106]
	v_add_f64_e32 v[2:3], v[2:3], v[103:104]
	v_fma_f64 v[103:104], v[81:82], v[87:88], v[111:112]
	v_fma_f64 v[87:88], v[79:80], v[87:88], -v[89:90]
	ds_load_b128 v[79:82], v1 offset:944
	s_wait_loadcnt_dscnt 0x401
	v_mul_f64_e32 v[85:86], v[6:7], v[93:94]
	v_mul_f64_e32 v[93:94], v[8:9], v[93:94]
	s_wait_loadcnt_dscnt 0x300
	v_mul_f64_e32 v[89:90], v[81:82], v[97:98]
	v_add_f64_e32 v[10:11], v[10:11], v[113:114]
	v_add_f64_e32 v[2:3], v[2:3], v[83:84]
	v_mul_f64_e32 v[83:84], v[79:80], v[97:98]
	v_fma_f64 v[85:86], v[8:9], v[91:92], v[85:86]
	v_fma_f64 v[91:92], v[6:7], v[91:92], -v[93:94]
	ds_load_b128 v[6:9], v1 offset:960
	v_fma_f64 v[89:90], v[79:80], v[95:96], -v[89:90]
	v_add_f64_e32 v[10:11], v[10:11], v[103:104]
	v_add_f64_e32 v[2:3], v[2:3], v[87:88]
	v_fma_f64 v[83:84], v[81:82], v[95:96], v[83:84]
	ds_load_b128 v[79:82], v1 offset:976
	s_wait_loadcnt_dscnt 0x201
	v_mul_f64_e32 v[87:88], v[6:7], v[101:102]
	v_mul_f64_e32 v[93:94], v[8:9], v[101:102]
	v_add_f64_e32 v[10:11], v[10:11], v[85:86]
	v_add_f64_e32 v[2:3], v[2:3], v[91:92]
	s_wait_loadcnt_dscnt 0x100
	v_mul_f64_e32 v[85:86], v[79:80], v[109:110]
	v_mul_f64_e32 v[91:92], v[81:82], v[109:110]
	v_fma_f64 v[8:9], v[8:9], v[99:100], v[87:88]
	v_fma_f64 v[6:7], v[6:7], v[99:100], -v[93:94]
	v_add_f64_e32 v[10:11], v[10:11], v[83:84]
	v_add_f64_e32 v[2:3], v[2:3], v[89:90]
	v_fma_f64 v[81:82], v[81:82], v[107:108], v[85:86]
	v_fma_f64 v[79:80], v[79:80], v[107:108], -v[91:92]
	s_delay_alu instid0(VALU_DEP_3) | instskip(SKIP_1) | instid1(VALU_DEP_2)
	v_add_f64_e32 v[2:3], v[2:3], v[6:7]
	v_add_f64_e32 v[6:7], v[10:11], v[8:9]
	;; [unrolled: 1-line block ×3, first 2 shown]
	s_delay_alu instid0(VALU_DEP_2) | instskip(SKIP_1) | instid1(VALU_DEP_2)
	v_add_f64_e32 v[8:9], v[6:7], v[81:82]
	s_wait_loadcnt 0x0
	v_add_f64_e64 v[6:7], v[75:76], -v[2:3]
	s_delay_alu instid0(VALU_DEP_2)
	v_add_f64_e64 v[8:9], v[77:78], -v[8:9]
	scratch_store_b128 off, v[6:9], off offset:352
	v_cmpx_lt_u32_e32 20, v0
	s_cbranch_execz .LBB30_159
; %bb.158:
	scratch_load_b128 v[6:9], off, s38
	v_dual_mov_b32 v2, v1 :: v_dual_mov_b32 v3, v1
	v_mov_b32_e32 v4, v1
	scratch_store_b128 off, v[1:4], off offset:336
	s_wait_loadcnt 0x0
	ds_store_b128 v5, v[6:9]
.LBB30_159:
	s_wait_alu 0xfffe
	s_or_b32 exec_lo, exec_lo, s0
	s_wait_storecnt_dscnt 0x0
	s_barrier_signal -1
	s_barrier_wait -1
	global_inv scope:SCOPE_SE
	s_clause 0x7
	scratch_load_b128 v[6:9], off, off offset:352
	scratch_load_b128 v[75:78], off, off offset:368
	;; [unrolled: 1-line block ×8, first 2 shown]
	ds_load_b128 v[103:106], v1 offset:832
	s_clause 0x1
	scratch_load_b128 v[107:110], off, off offset:480
	scratch_load_b128 v[111:114], off, off offset:496
	s_mov_b32 s0, exec_lo
	s_wait_loadcnt_dscnt 0x900
	v_mul_f64_e32 v[2:3], v[105:106], v[8:9]
	v_mul_f64_e32 v[115:116], v[103:104], v[8:9]
	ds_load_b128 v[8:11], v1 offset:848
	v_fma_f64 v[2:3], v[103:104], v[6:7], -v[2:3]
	v_fma_f64 v[6:7], v[105:106], v[6:7], v[115:116]
	ds_load_b128 v[103:106], v1 offset:864
	s_wait_loadcnt_dscnt 0x801
	v_mul_f64_e32 v[117:118], v[8:9], v[77:78]
	v_mul_f64_e32 v[77:78], v[10:11], v[77:78]
	s_wait_loadcnt_dscnt 0x700
	v_mul_f64_e32 v[115:116], v[103:104], v[81:82]
	v_mul_f64_e32 v[81:82], v[105:106], v[81:82]
	v_add_f64_e32 v[2:3], 0, v[2:3]
	v_fma_f64 v[10:11], v[10:11], v[75:76], v[117:118]
	v_fma_f64 v[75:76], v[8:9], v[75:76], -v[77:78]
	v_add_f64_e32 v[77:78], 0, v[6:7]
	ds_load_b128 v[6:9], v1 offset:880
	v_fma_f64 v[105:106], v[105:106], v[79:80], v[115:116]
	v_fma_f64 v[103:104], v[103:104], v[79:80], -v[81:82]
	scratch_load_b128 v[79:82], off, off offset:336
	v_add_f64_e32 v[2:3], v[2:3], v[75:76]
	v_add_f64_e32 v[10:11], v[77:78], v[10:11]
	ds_load_b128 v[75:78], v1 offset:896
	s_wait_loadcnt_dscnt 0x701
	v_mul_f64_e32 v[117:118], v[6:7], v[85:86]
	v_mul_f64_e32 v[85:86], v[8:9], v[85:86]
	s_wait_loadcnt_dscnt 0x600
	v_mul_f64_e32 v[115:116], v[75:76], v[89:90]
	v_mul_f64_e32 v[89:90], v[77:78], v[89:90]
	v_add_f64_e32 v[2:3], v[2:3], v[103:104]
	v_add_f64_e32 v[10:11], v[10:11], v[105:106]
	v_fma_f64 v[117:118], v[8:9], v[83:84], v[117:118]
	v_fma_f64 v[83:84], v[6:7], v[83:84], -v[85:86]
	ds_load_b128 v[6:9], v1 offset:912
	v_fma_f64 v[103:104], v[77:78], v[87:88], v[115:116]
	v_fma_f64 v[87:88], v[75:76], v[87:88], -v[89:90]
	ds_load_b128 v[75:78], v1 offset:928
	s_wait_loadcnt_dscnt 0x501
	v_mul_f64_e32 v[85:86], v[6:7], v[93:94]
	v_mul_f64_e32 v[93:94], v[8:9], v[93:94]
	v_add_f64_e32 v[10:11], v[10:11], v[117:118]
	v_add_f64_e32 v[2:3], v[2:3], v[83:84]
	s_wait_loadcnt_dscnt 0x400
	v_mul_f64_e32 v[83:84], v[75:76], v[97:98]
	v_mul_f64_e32 v[89:90], v[77:78], v[97:98]
	v_fma_f64 v[85:86], v[8:9], v[91:92], v[85:86]
	v_fma_f64 v[91:92], v[6:7], v[91:92], -v[93:94]
	ds_load_b128 v[6:9], v1 offset:944
	v_add_f64_e32 v[10:11], v[10:11], v[103:104]
	v_add_f64_e32 v[2:3], v[2:3], v[87:88]
	v_fma_f64 v[83:84], v[77:78], v[95:96], v[83:84]
	v_fma_f64 v[89:90], v[75:76], v[95:96], -v[89:90]
	ds_load_b128 v[75:78], v1 offset:960
	s_wait_loadcnt_dscnt 0x301
	v_mul_f64_e32 v[87:88], v[6:7], v[101:102]
	v_mul_f64_e32 v[93:94], v[8:9], v[101:102]
	v_add_f64_e32 v[10:11], v[10:11], v[85:86]
	v_add_f64_e32 v[2:3], v[2:3], v[91:92]
	s_wait_loadcnt_dscnt 0x200
	v_mul_f64_e32 v[85:86], v[75:76], v[109:110]
	v_mul_f64_e32 v[91:92], v[77:78], v[109:110]
	v_fma_f64 v[8:9], v[8:9], v[99:100], v[87:88]
	v_fma_f64 v[6:7], v[6:7], v[99:100], -v[93:94]
	v_add_f64_e32 v[10:11], v[10:11], v[83:84]
	v_add_f64_e32 v[87:88], v[2:3], v[89:90]
	ds_load_b128 v[1:4], v1 offset:976
	v_fma_f64 v[77:78], v[77:78], v[107:108], v[85:86]
	v_fma_f64 v[75:76], v[75:76], v[107:108], -v[91:92]
	s_wait_loadcnt_dscnt 0x100
	v_mul_f64_e32 v[83:84], v[1:2], v[113:114]
	v_mul_f64_e32 v[89:90], v[3:4], v[113:114]
	v_add_f64_e32 v[8:9], v[10:11], v[8:9]
	v_add_f64_e32 v[6:7], v[87:88], v[6:7]
	s_delay_alu instid0(VALU_DEP_4) | instskip(NEXT) | instid1(VALU_DEP_4)
	v_fma_f64 v[3:4], v[3:4], v[111:112], v[83:84]
	v_fma_f64 v[1:2], v[1:2], v[111:112], -v[89:90]
	s_delay_alu instid0(VALU_DEP_4) | instskip(NEXT) | instid1(VALU_DEP_4)
	v_add_f64_e32 v[8:9], v[8:9], v[77:78]
	v_add_f64_e32 v[6:7], v[6:7], v[75:76]
	s_delay_alu instid0(VALU_DEP_2) | instskip(NEXT) | instid1(VALU_DEP_2)
	v_add_f64_e32 v[3:4], v[8:9], v[3:4]
	v_add_f64_e32 v[1:2], v[6:7], v[1:2]
	s_wait_loadcnt 0x0
	s_delay_alu instid0(VALU_DEP_2) | instskip(NEXT) | instid1(VALU_DEP_2)
	v_add_f64_e64 v[3:4], v[81:82], -v[3:4]
	v_add_f64_e64 v[1:2], v[79:80], -v[1:2]
	scratch_store_b128 off, v[1:4], off offset:336
	v_cmpx_lt_u32_e32 19, v0
	s_cbranch_execz .LBB30_161
; %bb.160:
	scratch_load_b128 v[1:4], off, s35
	v_mov_b32_e32 v6, 0
	s_delay_alu instid0(VALU_DEP_1)
	v_dual_mov_b32 v7, v6 :: v_dual_mov_b32 v8, v6
	v_mov_b32_e32 v9, v6
	scratch_store_b128 off, v[6:9], off offset:320
	s_wait_loadcnt 0x0
	ds_store_b128 v5, v[1:4]
.LBB30_161:
	s_wait_alu 0xfffe
	s_or_b32 exec_lo, exec_lo, s0
	s_wait_storecnt_dscnt 0x0
	s_barrier_signal -1
	s_barrier_wait -1
	global_inv scope:SCOPE_SE
	s_clause 0x7
	scratch_load_b128 v[6:9], off, off offset:336
	scratch_load_b128 v[75:78], off, off offset:352
	;; [unrolled: 1-line block ×8, first 2 shown]
	v_mov_b32_e32 v1, 0
	s_clause 0x1
	scratch_load_b128 v[107:110], off, off offset:464
	scratch_load_b128 v[111:114], off, off offset:480
	s_mov_b32 s0, exec_lo
	ds_load_b128 v[103:106], v1 offset:816
	s_wait_loadcnt_dscnt 0x900
	v_mul_f64_e32 v[2:3], v[105:106], v[8:9]
	v_mul_f64_e32 v[115:116], v[103:104], v[8:9]
	ds_load_b128 v[8:11], v1 offset:832
	v_fma_f64 v[2:3], v[103:104], v[6:7], -v[2:3]
	v_fma_f64 v[6:7], v[105:106], v[6:7], v[115:116]
	ds_load_b128 v[103:106], v1 offset:848
	s_wait_loadcnt_dscnt 0x801
	v_mul_f64_e32 v[119:120], v[8:9], v[77:78]
	v_mul_f64_e32 v[77:78], v[10:11], v[77:78]
	scratch_load_b128 v[115:118], off, off offset:496
	s_wait_loadcnt_dscnt 0x800
	v_mul_f64_e32 v[121:122], v[103:104], v[81:82]
	v_mul_f64_e32 v[81:82], v[105:106], v[81:82]
	v_add_f64_e32 v[2:3], 0, v[2:3]
	v_fma_f64 v[10:11], v[10:11], v[75:76], v[119:120]
	v_fma_f64 v[75:76], v[8:9], v[75:76], -v[77:78]
	v_add_f64_e32 v[77:78], 0, v[6:7]
	ds_load_b128 v[6:9], v1 offset:864
	v_fma_f64 v[105:106], v[105:106], v[79:80], v[121:122]
	v_fma_f64 v[79:80], v[103:104], v[79:80], -v[81:82]
	v_add_f64_e32 v[2:3], v[2:3], v[75:76]
	v_add_f64_e32 v[10:11], v[77:78], v[10:11]
	ds_load_b128 v[75:78], v1 offset:880
	s_wait_loadcnt_dscnt 0x701
	v_mul_f64_e32 v[119:120], v[6:7], v[85:86]
	v_mul_f64_e32 v[85:86], v[8:9], v[85:86]
	s_wait_loadcnt_dscnt 0x600
	v_mul_f64_e32 v[103:104], v[75:76], v[89:90]
	v_mul_f64_e32 v[89:90], v[77:78], v[89:90]
	v_add_f64_e32 v[2:3], v[2:3], v[79:80]
	v_add_f64_e32 v[10:11], v[10:11], v[105:106]
	scratch_load_b128 v[79:82], off, off offset:320
	v_fma_f64 v[119:120], v[8:9], v[83:84], v[119:120]
	v_fma_f64 v[83:84], v[6:7], v[83:84], -v[85:86]
	ds_load_b128 v[6:9], v1 offset:896
	v_fma_f64 v[103:104], v[77:78], v[87:88], v[103:104]
	v_fma_f64 v[87:88], v[75:76], v[87:88], -v[89:90]
	ds_load_b128 v[75:78], v1 offset:912
	s_wait_loadcnt_dscnt 0x601
	v_mul_f64_e32 v[85:86], v[6:7], v[93:94]
	v_mul_f64_e32 v[93:94], v[8:9], v[93:94]
	v_add_f64_e32 v[10:11], v[10:11], v[119:120]
	v_add_f64_e32 v[2:3], v[2:3], v[83:84]
	s_wait_loadcnt_dscnt 0x500
	v_mul_f64_e32 v[83:84], v[75:76], v[97:98]
	v_mul_f64_e32 v[89:90], v[77:78], v[97:98]
	v_fma_f64 v[85:86], v[8:9], v[91:92], v[85:86]
	v_fma_f64 v[91:92], v[6:7], v[91:92], -v[93:94]
	ds_load_b128 v[6:9], v1 offset:928
	v_add_f64_e32 v[10:11], v[10:11], v[103:104]
	v_add_f64_e32 v[2:3], v[2:3], v[87:88]
	v_fma_f64 v[83:84], v[77:78], v[95:96], v[83:84]
	v_fma_f64 v[89:90], v[75:76], v[95:96], -v[89:90]
	ds_load_b128 v[75:78], v1 offset:944
	s_wait_loadcnt_dscnt 0x401
	v_mul_f64_e32 v[87:88], v[6:7], v[101:102]
	v_mul_f64_e32 v[93:94], v[8:9], v[101:102]
	v_add_f64_e32 v[10:11], v[10:11], v[85:86]
	v_add_f64_e32 v[2:3], v[2:3], v[91:92]
	s_wait_loadcnt_dscnt 0x300
	v_mul_f64_e32 v[85:86], v[75:76], v[109:110]
	v_mul_f64_e32 v[91:92], v[77:78], v[109:110]
	v_fma_f64 v[87:88], v[8:9], v[99:100], v[87:88]
	v_fma_f64 v[93:94], v[6:7], v[99:100], -v[93:94]
	ds_load_b128 v[6:9], v1 offset:960
	v_add_f64_e32 v[10:11], v[10:11], v[83:84]
	v_add_f64_e32 v[2:3], v[2:3], v[89:90]
	v_fma_f64 v[85:86], v[77:78], v[107:108], v[85:86]
	v_fma_f64 v[91:92], v[75:76], v[107:108], -v[91:92]
	ds_load_b128 v[75:78], v1 offset:976
	s_wait_loadcnt_dscnt 0x201
	v_mul_f64_e32 v[83:84], v[6:7], v[113:114]
	v_mul_f64_e32 v[89:90], v[8:9], v[113:114]
	v_add_f64_e32 v[10:11], v[10:11], v[87:88]
	v_add_f64_e32 v[2:3], v[2:3], v[93:94]
	s_delay_alu instid0(VALU_DEP_4) | instskip(NEXT) | instid1(VALU_DEP_4)
	v_fma_f64 v[8:9], v[8:9], v[111:112], v[83:84]
	v_fma_f64 v[6:7], v[6:7], v[111:112], -v[89:90]
	s_wait_loadcnt_dscnt 0x100
	v_mul_f64_e32 v[87:88], v[75:76], v[117:118]
	v_mul_f64_e32 v[93:94], v[77:78], v[117:118]
	v_add_f64_e32 v[10:11], v[10:11], v[85:86]
	v_add_f64_e32 v[2:3], v[2:3], v[91:92]
	s_delay_alu instid0(VALU_DEP_4) | instskip(NEXT) | instid1(VALU_DEP_4)
	v_fma_f64 v[77:78], v[77:78], v[115:116], v[87:88]
	v_fma_f64 v[75:76], v[75:76], v[115:116], -v[93:94]
	s_delay_alu instid0(VALU_DEP_3) | instskip(SKIP_1) | instid1(VALU_DEP_2)
	v_add_f64_e32 v[2:3], v[2:3], v[6:7]
	v_add_f64_e32 v[6:7], v[10:11], v[8:9]
	;; [unrolled: 1-line block ×3, first 2 shown]
	s_delay_alu instid0(VALU_DEP_2) | instskip(SKIP_1) | instid1(VALU_DEP_2)
	v_add_f64_e32 v[8:9], v[6:7], v[77:78]
	s_wait_loadcnt 0x0
	v_add_f64_e64 v[6:7], v[79:80], -v[2:3]
	s_delay_alu instid0(VALU_DEP_2)
	v_add_f64_e64 v[8:9], v[81:82], -v[8:9]
	scratch_store_b128 off, v[6:9], off offset:320
	v_cmpx_lt_u32_e32 18, v0
	s_cbranch_execz .LBB30_163
; %bb.162:
	scratch_load_b128 v[6:9], off, s39
	v_dual_mov_b32 v2, v1 :: v_dual_mov_b32 v3, v1
	v_mov_b32_e32 v4, v1
	scratch_store_b128 off, v[1:4], off offset:304
	s_wait_loadcnt 0x0
	ds_store_b128 v5, v[6:9]
.LBB30_163:
	s_wait_alu 0xfffe
	s_or_b32 exec_lo, exec_lo, s0
	s_wait_storecnt_dscnt 0x0
	s_barrier_signal -1
	s_barrier_wait -1
	global_inv scope:SCOPE_SE
	s_clause 0x8
	scratch_load_b128 v[6:9], off, off offset:320
	scratch_load_b128 v[75:78], off, off offset:336
	;; [unrolled: 1-line block ×9, first 2 shown]
	ds_load_b128 v[107:110], v1 offset:800
	ds_load_b128 v[111:114], v1 offset:816
	scratch_load_b128 v[115:118], off, off offset:304
	s_mov_b32 s0, exec_lo
	ds_load_b128 v[123:126], v1 offset:848
	s_wait_loadcnt_dscnt 0x902
	v_mul_f64_e32 v[2:3], v[109:110], v[8:9]
	v_mul_f64_e32 v[119:120], v[107:108], v[8:9]
	scratch_load_b128 v[8:11], off, off offset:464
	s_wait_loadcnt_dscnt 0x901
	v_mul_f64_e32 v[127:128], v[111:112], v[77:78]
	v_mul_f64_e32 v[77:78], v[113:114], v[77:78]
	v_fma_f64 v[2:3], v[107:108], v[6:7], -v[2:3]
	v_fma_f64 v[6:7], v[109:110], v[6:7], v[119:120]
	ds_load_b128 v[107:110], v1 offset:832
	scratch_load_b128 v[119:122], off, off offset:480
	v_fma_f64 v[113:114], v[113:114], v[75:76], v[127:128]
	v_fma_f64 v[111:112], v[111:112], v[75:76], -v[77:78]
	scratch_load_b128 v[75:78], off, off offset:496
	s_wait_loadcnt_dscnt 0x901
	v_mul_f64_e32 v[127:128], v[123:124], v[85:86]
	v_mul_f64_e32 v[85:86], v[125:126], v[85:86]
	s_wait_dscnt 0x0
	v_mul_f64_e32 v[129:130], v[107:108], v[81:82]
	v_mul_f64_e32 v[81:82], v[109:110], v[81:82]
	v_add_f64_e32 v[2:3], 0, v[2:3]
	v_add_f64_e32 v[6:7], 0, v[6:7]
	s_delay_alu instid0(VALU_DEP_4) | instskip(NEXT) | instid1(VALU_DEP_4)
	v_fma_f64 v[129:130], v[109:110], v[79:80], v[129:130]
	v_fma_f64 v[131:132], v[107:108], v[79:80], -v[81:82]
	ds_load_b128 v[79:82], v1 offset:864
	ds_load_b128 v[107:110], v1 offset:880
	v_add_f64_e32 v[2:3], v[2:3], v[111:112]
	v_add_f64_e32 v[6:7], v[6:7], v[113:114]
	v_fma_f64 v[113:114], v[125:126], v[83:84], v[127:128]
	v_fma_f64 v[83:84], v[123:124], v[83:84], -v[85:86]
	s_wait_loadcnt_dscnt 0x801
	v_mul_f64_e32 v[111:112], v[79:80], v[89:90]
	v_mul_f64_e32 v[89:90], v[81:82], v[89:90]
	s_wait_loadcnt_dscnt 0x700
	v_mul_f64_e32 v[123:124], v[107:108], v[93:94]
	v_mul_f64_e32 v[93:94], v[109:110], v[93:94]
	v_add_f64_e32 v[2:3], v[2:3], v[131:132]
	v_add_f64_e32 v[6:7], v[6:7], v[129:130]
	v_fma_f64 v[111:112], v[81:82], v[87:88], v[111:112]
	v_fma_f64 v[87:88], v[79:80], v[87:88], -v[89:90]
	v_fma_f64 v[109:110], v[109:110], v[91:92], v[123:124]
	v_fma_f64 v[91:92], v[107:108], v[91:92], -v[93:94]
	v_add_f64_e32 v[2:3], v[2:3], v[83:84]
	v_add_f64_e32 v[6:7], v[6:7], v[113:114]
	ds_load_b128 v[79:82], v1 offset:896
	ds_load_b128 v[83:86], v1 offset:912
	s_wait_loadcnt_dscnt 0x601
	v_mul_f64_e32 v[89:90], v[79:80], v[97:98]
	v_mul_f64_e32 v[97:98], v[81:82], v[97:98]
	s_wait_loadcnt_dscnt 0x500
	v_mul_f64_e32 v[93:94], v[83:84], v[101:102]
	v_mul_f64_e32 v[101:102], v[85:86], v[101:102]
	v_add_f64_e32 v[2:3], v[2:3], v[87:88]
	v_add_f64_e32 v[6:7], v[6:7], v[111:112]
	v_fma_f64 v[107:108], v[81:82], v[95:96], v[89:90]
	v_fma_f64 v[95:96], v[79:80], v[95:96], -v[97:98]
	ds_load_b128 v[79:82], v1 offset:928
	ds_load_b128 v[87:90], v1 offset:944
	v_fma_f64 v[85:86], v[85:86], v[99:100], v[93:94]
	v_fma_f64 v[83:84], v[83:84], v[99:100], -v[101:102]
	v_add_f64_e32 v[2:3], v[2:3], v[91:92]
	v_add_f64_e32 v[6:7], v[6:7], v[109:110]
	s_wait_loadcnt_dscnt 0x401
	v_mul_f64_e32 v[91:92], v[79:80], v[105:106]
	v_mul_f64_e32 v[97:98], v[81:82], v[105:106]
	s_delay_alu instid0(VALU_DEP_4) | instskip(NEXT) | instid1(VALU_DEP_4)
	v_add_f64_e32 v[2:3], v[2:3], v[95:96]
	v_add_f64_e32 v[6:7], v[6:7], v[107:108]
	s_delay_alu instid0(VALU_DEP_4) | instskip(NEXT) | instid1(VALU_DEP_4)
	v_fma_f64 v[91:92], v[81:82], v[103:104], v[91:92]
	v_fma_f64 v[95:96], v[79:80], v[103:104], -v[97:98]
	s_wait_loadcnt_dscnt 0x200
	v_mul_f64_e32 v[93:94], v[87:88], v[10:11]
	v_mul_f64_e32 v[10:11], v[89:90], v[10:11]
	v_add_f64_e32 v[83:84], v[2:3], v[83:84]
	v_add_f64_e32 v[6:7], v[6:7], v[85:86]
	ds_load_b128 v[79:82], v1 offset:960
	ds_load_b128 v[1:4], v1 offset:976
	v_fma_f64 v[89:90], v[89:90], v[8:9], v[93:94]
	v_fma_f64 v[8:9], v[87:88], v[8:9], -v[10:11]
	s_wait_loadcnt_dscnt 0x101
	v_mul_f64_e32 v[85:86], v[79:80], v[121:122]
	v_mul_f64_e32 v[97:98], v[81:82], v[121:122]
	v_add_f64_e32 v[10:11], v[83:84], v[95:96]
	v_add_f64_e32 v[6:7], v[6:7], v[91:92]
	s_wait_loadcnt_dscnt 0x0
	v_mul_f64_e32 v[83:84], v[1:2], v[77:78]
	v_mul_f64_e32 v[77:78], v[3:4], v[77:78]
	v_fma_f64 v[81:82], v[81:82], v[119:120], v[85:86]
	v_fma_f64 v[79:80], v[79:80], v[119:120], -v[97:98]
	v_add_f64_e32 v[8:9], v[10:11], v[8:9]
	v_add_f64_e32 v[6:7], v[6:7], v[89:90]
	v_fma_f64 v[3:4], v[3:4], v[75:76], v[83:84]
	v_fma_f64 v[1:2], v[1:2], v[75:76], -v[77:78]
	s_delay_alu instid0(VALU_DEP_4) | instskip(NEXT) | instid1(VALU_DEP_4)
	v_add_f64_e32 v[8:9], v[8:9], v[79:80]
	v_add_f64_e32 v[6:7], v[6:7], v[81:82]
	s_delay_alu instid0(VALU_DEP_2) | instskip(NEXT) | instid1(VALU_DEP_2)
	v_add_f64_e32 v[1:2], v[8:9], v[1:2]
	v_add_f64_e32 v[3:4], v[6:7], v[3:4]
	s_delay_alu instid0(VALU_DEP_2) | instskip(NEXT) | instid1(VALU_DEP_2)
	v_add_f64_e64 v[1:2], v[115:116], -v[1:2]
	v_add_f64_e64 v[3:4], v[117:118], -v[3:4]
	scratch_store_b128 off, v[1:4], off offset:304
	v_cmpx_lt_u32_e32 17, v0
	s_cbranch_execz .LBB30_165
; %bb.164:
	scratch_load_b128 v[1:4], off, s37
	v_mov_b32_e32 v6, 0
	s_delay_alu instid0(VALU_DEP_1)
	v_dual_mov_b32 v7, v6 :: v_dual_mov_b32 v8, v6
	v_mov_b32_e32 v9, v6
	scratch_store_b128 off, v[6:9], off offset:288
	s_wait_loadcnt 0x0
	ds_store_b128 v5, v[1:4]
.LBB30_165:
	s_wait_alu 0xfffe
	s_or_b32 exec_lo, exec_lo, s0
	s_wait_storecnt_dscnt 0x0
	s_barrier_signal -1
	s_barrier_wait -1
	global_inv scope:SCOPE_SE
	s_clause 0x7
	scratch_load_b128 v[6:9], off, off offset:304
	scratch_load_b128 v[75:78], off, off offset:320
	;; [unrolled: 1-line block ×8, first 2 shown]
	v_mov_b32_e32 v1, 0
	s_mov_b32 s0, exec_lo
	ds_load_b128 v[103:106], v1 offset:784
	s_clause 0x1
	scratch_load_b128 v[107:110], off, off offset:432
	scratch_load_b128 v[111:114], off, off offset:288
	ds_load_b128 v[115:118], v1 offset:800
	ds_load_b128 v[123:126], v1 offset:832
	s_wait_loadcnt_dscnt 0x902
	v_mul_f64_e32 v[2:3], v[105:106], v[8:9]
	v_mul_f64_e32 v[119:120], v[103:104], v[8:9]
	scratch_load_b128 v[8:11], off, off offset:448
	v_fma_f64 v[2:3], v[103:104], v[6:7], -v[2:3]
	v_fma_f64 v[6:7], v[105:106], v[6:7], v[119:120]
	ds_load_b128 v[103:106], v1 offset:816
	s_wait_loadcnt_dscnt 0x902
	v_mul_f64_e32 v[127:128], v[115:116], v[77:78]
	v_mul_f64_e32 v[77:78], v[117:118], v[77:78]
	scratch_load_b128 v[119:122], off, off offset:464
	s_wait_loadcnt_dscnt 0x900
	v_mul_f64_e32 v[129:130], v[103:104], v[81:82]
	v_mul_f64_e32 v[81:82], v[105:106], v[81:82]
	v_add_f64_e32 v[2:3], 0, v[2:3]
	v_add_f64_e32 v[6:7], 0, v[6:7]
	v_fma_f64 v[117:118], v[117:118], v[75:76], v[127:128]
	v_fma_f64 v[115:116], v[115:116], v[75:76], -v[77:78]
	scratch_load_b128 v[75:78], off, off offset:480
	v_fma_f64 v[129:130], v[105:106], v[79:80], v[129:130]
	v_fma_f64 v[131:132], v[103:104], v[79:80], -v[81:82]
	ds_load_b128 v[79:82], v1 offset:848
	s_wait_loadcnt 0x9
	v_mul_f64_e32 v[127:128], v[123:124], v[85:86]
	v_mul_f64_e32 v[85:86], v[125:126], v[85:86]
	scratch_load_b128 v[103:106], off, off offset:496
	v_add_f64_e32 v[6:7], v[6:7], v[117:118]
	v_add_f64_e32 v[2:3], v[2:3], v[115:116]
	ds_load_b128 v[115:118], v1 offset:864
	s_wait_loadcnt_dscnt 0x901
	v_mul_f64_e32 v[133:134], v[79:80], v[89:90]
	v_mul_f64_e32 v[89:90], v[81:82], v[89:90]
	v_fma_f64 v[125:126], v[125:126], v[83:84], v[127:128]
	v_fma_f64 v[83:84], v[123:124], v[83:84], -v[85:86]
	s_wait_loadcnt_dscnt 0x800
	v_mul_f64_e32 v[123:124], v[115:116], v[93:94]
	v_mul_f64_e32 v[93:94], v[117:118], v[93:94]
	v_add_f64_e32 v[6:7], v[6:7], v[129:130]
	v_add_f64_e32 v[2:3], v[2:3], v[131:132]
	v_fma_f64 v[127:128], v[81:82], v[87:88], v[133:134]
	v_fma_f64 v[87:88], v[79:80], v[87:88], -v[89:90]
	v_fma_f64 v[117:118], v[117:118], v[91:92], v[123:124]
	v_fma_f64 v[91:92], v[115:116], v[91:92], -v[93:94]
	v_add_f64_e32 v[6:7], v[6:7], v[125:126]
	v_add_f64_e32 v[2:3], v[2:3], v[83:84]
	ds_load_b128 v[79:82], v1 offset:880
	ds_load_b128 v[83:86], v1 offset:896
	s_wait_loadcnt_dscnt 0x701
	v_mul_f64_e32 v[89:90], v[79:80], v[97:98]
	v_mul_f64_e32 v[97:98], v[81:82], v[97:98]
	s_wait_loadcnt_dscnt 0x600
	v_mul_f64_e32 v[93:94], v[83:84], v[101:102]
	v_mul_f64_e32 v[101:102], v[85:86], v[101:102]
	v_add_f64_e32 v[6:7], v[6:7], v[127:128]
	v_add_f64_e32 v[2:3], v[2:3], v[87:88]
	v_fma_f64 v[115:116], v[81:82], v[95:96], v[89:90]
	v_fma_f64 v[95:96], v[79:80], v[95:96], -v[97:98]
	ds_load_b128 v[79:82], v1 offset:912
	ds_load_b128 v[87:90], v1 offset:928
	v_fma_f64 v[85:86], v[85:86], v[99:100], v[93:94]
	v_fma_f64 v[83:84], v[83:84], v[99:100], -v[101:102]
	v_add_f64_e32 v[6:7], v[6:7], v[117:118]
	v_add_f64_e32 v[2:3], v[2:3], v[91:92]
	s_wait_loadcnt_dscnt 0x501
	v_mul_f64_e32 v[91:92], v[79:80], v[109:110]
	v_mul_f64_e32 v[97:98], v[81:82], v[109:110]
	s_delay_alu instid0(VALU_DEP_4) | instskip(NEXT) | instid1(VALU_DEP_4)
	v_add_f64_e32 v[6:7], v[6:7], v[115:116]
	v_add_f64_e32 v[2:3], v[2:3], v[95:96]
	s_delay_alu instid0(VALU_DEP_4) | instskip(NEXT) | instid1(VALU_DEP_4)
	v_fma_f64 v[91:92], v[81:82], v[107:108], v[91:92]
	v_fma_f64 v[95:96], v[79:80], v[107:108], -v[97:98]
	s_wait_loadcnt_dscnt 0x300
	v_mul_f64_e32 v[93:94], v[87:88], v[10:11]
	v_mul_f64_e32 v[10:11], v[89:90], v[10:11]
	v_add_f64_e32 v[6:7], v[6:7], v[85:86]
	v_add_f64_e32 v[2:3], v[2:3], v[83:84]
	ds_load_b128 v[79:82], v1 offset:944
	ds_load_b128 v[83:86], v1 offset:960
	v_fma_f64 v[89:90], v[89:90], v[8:9], v[93:94]
	v_fma_f64 v[8:9], v[87:88], v[8:9], -v[10:11]
	s_wait_loadcnt_dscnt 0x201
	v_mul_f64_e32 v[97:98], v[79:80], v[121:122]
	v_mul_f64_e32 v[99:100], v[81:82], v[121:122]
	v_add_f64_e32 v[6:7], v[6:7], v[91:92]
	v_add_f64_e32 v[2:3], v[2:3], v[95:96]
	s_wait_loadcnt_dscnt 0x100
	v_mul_f64_e32 v[10:11], v[83:84], v[77:78]
	v_mul_f64_e32 v[77:78], v[85:86], v[77:78]
	v_fma_f64 v[81:82], v[81:82], v[119:120], v[97:98]
	v_fma_f64 v[79:80], v[79:80], v[119:120], -v[99:100]
	v_add_f64_e32 v[87:88], v[6:7], v[89:90]
	v_add_f64_e32 v[2:3], v[2:3], v[8:9]
	ds_load_b128 v[6:9], v1 offset:976
	v_fma_f64 v[10:11], v[85:86], v[75:76], v[10:11]
	v_fma_f64 v[75:76], v[83:84], v[75:76], -v[77:78]
	s_wait_loadcnt_dscnt 0x0
	v_mul_f64_e32 v[89:90], v[6:7], v[105:106]
	v_mul_f64_e32 v[91:92], v[8:9], v[105:106]
	v_add_f64_e32 v[77:78], v[87:88], v[81:82]
	v_add_f64_e32 v[2:3], v[2:3], v[79:80]
	s_delay_alu instid0(VALU_DEP_4) | instskip(NEXT) | instid1(VALU_DEP_4)
	v_fma_f64 v[8:9], v[8:9], v[103:104], v[89:90]
	v_fma_f64 v[6:7], v[6:7], v[103:104], -v[91:92]
	s_delay_alu instid0(VALU_DEP_4) | instskip(NEXT) | instid1(VALU_DEP_4)
	v_add_f64_e32 v[10:11], v[77:78], v[10:11]
	v_add_f64_e32 v[2:3], v[2:3], v[75:76]
	s_delay_alu instid0(VALU_DEP_2) | instskip(NEXT) | instid1(VALU_DEP_2)
	v_add_f64_e32 v[8:9], v[10:11], v[8:9]
	v_add_f64_e32 v[2:3], v[2:3], v[6:7]
	s_delay_alu instid0(VALU_DEP_2) | instskip(NEXT) | instid1(VALU_DEP_2)
	v_add_f64_e64 v[8:9], v[113:114], -v[8:9]
	v_add_f64_e64 v[6:7], v[111:112], -v[2:3]
	scratch_store_b128 off, v[6:9], off offset:288
	v_cmpx_lt_u32_e32 16, v0
	s_cbranch_execz .LBB30_167
; %bb.166:
	scratch_load_b128 v[6:9], off, s8
	v_dual_mov_b32 v2, v1 :: v_dual_mov_b32 v3, v1
	v_mov_b32_e32 v4, v1
	scratch_store_b128 off, v[1:4], off offset:272
	s_wait_loadcnt 0x0
	ds_store_b128 v5, v[6:9]
.LBB30_167:
	s_wait_alu 0xfffe
	s_or_b32 exec_lo, exec_lo, s0
	s_wait_storecnt_dscnt 0x0
	s_barrier_signal -1
	s_barrier_wait -1
	global_inv scope:SCOPE_SE
	s_clause 0x8
	scratch_load_b128 v[6:9], off, off offset:288
	scratch_load_b128 v[75:78], off, off offset:304
	;; [unrolled: 1-line block ×9, first 2 shown]
	ds_load_b128 v[107:110], v1 offset:768
	ds_load_b128 v[111:114], v1 offset:784
	scratch_load_b128 v[115:118], off, off offset:272
	s_mov_b32 s0, exec_lo
	ds_load_b128 v[123:126], v1 offset:816
	s_wait_loadcnt_dscnt 0x902
	v_mul_f64_e32 v[2:3], v[109:110], v[8:9]
	v_mul_f64_e32 v[119:120], v[107:108], v[8:9]
	scratch_load_b128 v[8:11], off, off offset:432
	s_wait_loadcnt_dscnt 0x901
	v_mul_f64_e32 v[127:128], v[111:112], v[77:78]
	v_mul_f64_e32 v[77:78], v[113:114], v[77:78]
	v_fma_f64 v[2:3], v[107:108], v[6:7], -v[2:3]
	v_fma_f64 v[6:7], v[109:110], v[6:7], v[119:120]
	ds_load_b128 v[107:110], v1 offset:800
	scratch_load_b128 v[119:122], off, off offset:448
	v_fma_f64 v[113:114], v[113:114], v[75:76], v[127:128]
	v_fma_f64 v[111:112], v[111:112], v[75:76], -v[77:78]
	scratch_load_b128 v[75:78], off, off offset:464
	s_wait_loadcnt_dscnt 0x901
	v_mul_f64_e32 v[127:128], v[123:124], v[85:86]
	v_mul_f64_e32 v[85:86], v[125:126], v[85:86]
	s_wait_dscnt 0x0
	v_mul_f64_e32 v[129:130], v[107:108], v[81:82]
	v_mul_f64_e32 v[81:82], v[109:110], v[81:82]
	v_add_f64_e32 v[2:3], 0, v[2:3]
	v_add_f64_e32 v[6:7], 0, v[6:7]
	v_fma_f64 v[125:126], v[125:126], v[83:84], v[127:128]
	v_fma_f64 v[123:124], v[123:124], v[83:84], -v[85:86]
	scratch_load_b128 v[83:86], off, off offset:496
	v_fma_f64 v[129:130], v[109:110], v[79:80], v[129:130]
	v_fma_f64 v[131:132], v[107:108], v[79:80], -v[81:82]
	ds_load_b128 v[79:82], v1 offset:832
	scratch_load_b128 v[107:110], off, off offset:480
	v_add_f64_e32 v[2:3], v[2:3], v[111:112]
	v_add_f64_e32 v[6:7], v[6:7], v[113:114]
	ds_load_b128 v[111:114], v1 offset:848
	s_wait_loadcnt_dscnt 0xa01
	v_mul_f64_e32 v[133:134], v[79:80], v[89:90]
	v_mul_f64_e32 v[89:90], v[81:82], v[89:90]
	s_wait_loadcnt_dscnt 0x900
	v_mul_f64_e32 v[127:128], v[111:112], v[93:94]
	v_mul_f64_e32 v[93:94], v[113:114], v[93:94]
	v_add_f64_e32 v[2:3], v[2:3], v[131:132]
	v_add_f64_e32 v[6:7], v[6:7], v[129:130]
	v_fma_f64 v[129:130], v[81:82], v[87:88], v[133:134]
	v_fma_f64 v[131:132], v[79:80], v[87:88], -v[89:90]
	ds_load_b128 v[79:82], v1 offset:864
	ds_load_b128 v[87:90], v1 offset:880
	v_fma_f64 v[113:114], v[113:114], v[91:92], v[127:128]
	v_fma_f64 v[91:92], v[111:112], v[91:92], -v[93:94]
	s_wait_loadcnt_dscnt 0x700
	v_mul_f64_e32 v[111:112], v[87:88], v[101:102]
	v_mul_f64_e32 v[101:102], v[89:90], v[101:102]
	v_add_f64_e32 v[2:3], v[2:3], v[123:124]
	v_add_f64_e32 v[6:7], v[6:7], v[125:126]
	v_mul_f64_e32 v[123:124], v[79:80], v[97:98]
	v_mul_f64_e32 v[97:98], v[81:82], v[97:98]
	v_fma_f64 v[89:90], v[89:90], v[99:100], v[111:112]
	v_fma_f64 v[87:88], v[87:88], v[99:100], -v[101:102]
	v_add_f64_e32 v[2:3], v[2:3], v[131:132]
	v_add_f64_e32 v[6:7], v[6:7], v[129:130]
	v_fma_f64 v[123:124], v[81:82], v[95:96], v[123:124]
	v_fma_f64 v[95:96], v[79:80], v[95:96], -v[97:98]
	s_delay_alu instid0(VALU_DEP_4) | instskip(NEXT) | instid1(VALU_DEP_4)
	v_add_f64_e32 v[2:3], v[2:3], v[91:92]
	v_add_f64_e32 v[6:7], v[6:7], v[113:114]
	ds_load_b128 v[79:82], v1 offset:896
	ds_load_b128 v[91:94], v1 offset:912
	s_wait_loadcnt_dscnt 0x601
	v_mul_f64_e32 v[97:98], v[79:80], v[105:106]
	v_mul_f64_e32 v[105:106], v[81:82], v[105:106]
	v_add_f64_e32 v[2:3], v[2:3], v[95:96]
	v_add_f64_e32 v[6:7], v[6:7], v[123:124]
	s_wait_loadcnt_dscnt 0x400
	v_mul_f64_e32 v[95:96], v[91:92], v[10:11]
	v_mul_f64_e32 v[10:11], v[93:94], v[10:11]
	v_fma_f64 v[97:98], v[81:82], v[103:104], v[97:98]
	v_fma_f64 v[99:100], v[79:80], v[103:104], -v[105:106]
	v_add_f64_e32 v[2:3], v[2:3], v[87:88]
	v_add_f64_e32 v[6:7], v[6:7], v[89:90]
	ds_load_b128 v[79:82], v1 offset:928
	ds_load_b128 v[87:90], v1 offset:944
	v_fma_f64 v[93:94], v[93:94], v[8:9], v[95:96]
	v_fma_f64 v[8:9], v[91:92], v[8:9], -v[10:11]
	s_wait_loadcnt_dscnt 0x301
	v_mul_f64_e32 v[101:102], v[79:80], v[121:122]
	v_mul_f64_e32 v[103:104], v[81:82], v[121:122]
	s_wait_loadcnt_dscnt 0x200
	v_mul_f64_e32 v[10:11], v[87:88], v[77:78]
	v_mul_f64_e32 v[77:78], v[89:90], v[77:78]
	v_add_f64_e32 v[2:3], v[2:3], v[99:100]
	v_add_f64_e32 v[6:7], v[6:7], v[97:98]
	v_fma_f64 v[81:82], v[81:82], v[119:120], v[101:102]
	v_fma_f64 v[79:80], v[79:80], v[119:120], -v[103:104]
	v_fma_f64 v[10:11], v[89:90], v[75:76], v[10:11]
	v_fma_f64 v[75:76], v[87:88], v[75:76], -v[77:78]
	v_add_f64_e32 v[91:92], v[2:3], v[8:9]
	v_add_f64_e32 v[93:94], v[6:7], v[93:94]
	ds_load_b128 v[6:9], v1 offset:960
	ds_load_b128 v[1:4], v1 offset:976
	s_wait_loadcnt_dscnt 0x1
	v_mul_f64_e32 v[95:96], v[6:7], v[109:110]
	v_mul_f64_e32 v[97:98], v[8:9], v[109:110]
	v_add_f64_e32 v[77:78], v[91:92], v[79:80]
	v_add_f64_e32 v[79:80], v[93:94], v[81:82]
	s_wait_dscnt 0x0
	v_mul_f64_e32 v[81:82], v[1:2], v[85:86]
	v_mul_f64_e32 v[85:86], v[3:4], v[85:86]
	v_fma_f64 v[8:9], v[8:9], v[107:108], v[95:96]
	v_fma_f64 v[6:7], v[6:7], v[107:108], -v[97:98]
	v_add_f64_e32 v[75:76], v[77:78], v[75:76]
	v_add_f64_e32 v[10:11], v[79:80], v[10:11]
	v_fma_f64 v[3:4], v[3:4], v[83:84], v[81:82]
	v_fma_f64 v[1:2], v[1:2], v[83:84], -v[85:86]
	s_delay_alu instid0(VALU_DEP_4) | instskip(NEXT) | instid1(VALU_DEP_4)
	v_add_f64_e32 v[6:7], v[75:76], v[6:7]
	v_add_f64_e32 v[8:9], v[10:11], v[8:9]
	s_delay_alu instid0(VALU_DEP_2) | instskip(NEXT) | instid1(VALU_DEP_2)
	v_add_f64_e32 v[1:2], v[6:7], v[1:2]
	v_add_f64_e32 v[3:4], v[8:9], v[3:4]
	s_delay_alu instid0(VALU_DEP_2) | instskip(NEXT) | instid1(VALU_DEP_2)
	v_add_f64_e64 v[1:2], v[115:116], -v[1:2]
	v_add_f64_e64 v[3:4], v[117:118], -v[3:4]
	scratch_store_b128 off, v[1:4], off offset:272
	v_cmpx_lt_u32_e32 15, v0
	s_cbranch_execz .LBB30_169
; %bb.168:
	scratch_load_b128 v[1:4], off, s10
	v_mov_b32_e32 v6, 0
	s_delay_alu instid0(VALU_DEP_1)
	v_dual_mov_b32 v7, v6 :: v_dual_mov_b32 v8, v6
	v_mov_b32_e32 v9, v6
	scratch_store_b128 off, v[6:9], off offset:256
	s_wait_loadcnt 0x0
	ds_store_b128 v5, v[1:4]
.LBB30_169:
	s_wait_alu 0xfffe
	s_or_b32 exec_lo, exec_lo, s0
	s_wait_storecnt_dscnt 0x0
	s_barrier_signal -1
	s_barrier_wait -1
	global_inv scope:SCOPE_SE
	s_clause 0x7
	scratch_load_b128 v[6:9], off, off offset:272
	scratch_load_b128 v[75:78], off, off offset:288
	scratch_load_b128 v[79:82], off, off offset:304
	scratch_load_b128 v[83:86], off, off offset:320
	scratch_load_b128 v[87:90], off, off offset:336
	scratch_load_b128 v[91:94], off, off offset:352
	scratch_load_b128 v[95:98], off, off offset:368
	scratch_load_b128 v[99:102], off, off offset:384
	v_mov_b32_e32 v1, 0
	s_mov_b32 s0, exec_lo
	ds_load_b128 v[103:106], v1 offset:752
	s_clause 0x1
	scratch_load_b128 v[107:110], off, off offset:400
	scratch_load_b128 v[111:114], off, off offset:256
	ds_load_b128 v[115:118], v1 offset:768
	ds_load_b128 v[123:126], v1 offset:800
	s_wait_loadcnt_dscnt 0x902
	v_mul_f64_e32 v[2:3], v[105:106], v[8:9]
	v_mul_f64_e32 v[119:120], v[103:104], v[8:9]
	scratch_load_b128 v[8:11], off, off offset:416
	v_fma_f64 v[2:3], v[103:104], v[6:7], -v[2:3]
	v_fma_f64 v[6:7], v[105:106], v[6:7], v[119:120]
	ds_load_b128 v[103:106], v1 offset:784
	s_wait_loadcnt_dscnt 0x902
	v_mul_f64_e32 v[127:128], v[115:116], v[77:78]
	v_mul_f64_e32 v[77:78], v[117:118], v[77:78]
	scratch_load_b128 v[119:122], off, off offset:432
	s_wait_loadcnt_dscnt 0x900
	v_mul_f64_e32 v[129:130], v[103:104], v[81:82]
	v_mul_f64_e32 v[81:82], v[105:106], v[81:82]
	v_add_f64_e32 v[2:3], 0, v[2:3]
	v_add_f64_e32 v[6:7], 0, v[6:7]
	v_fma_f64 v[117:118], v[117:118], v[75:76], v[127:128]
	v_fma_f64 v[115:116], v[115:116], v[75:76], -v[77:78]
	scratch_load_b128 v[75:78], off, off offset:448
	v_fma_f64 v[129:130], v[105:106], v[79:80], v[129:130]
	v_fma_f64 v[131:132], v[103:104], v[79:80], -v[81:82]
	ds_load_b128 v[79:82], v1 offset:816
	s_wait_loadcnt 0x9
	v_mul_f64_e32 v[127:128], v[123:124], v[85:86]
	v_mul_f64_e32 v[85:86], v[125:126], v[85:86]
	scratch_load_b128 v[103:106], off, off offset:464
	v_add_f64_e32 v[6:7], v[6:7], v[117:118]
	v_add_f64_e32 v[2:3], v[2:3], v[115:116]
	ds_load_b128 v[115:118], v1 offset:832
	s_wait_loadcnt_dscnt 0x901
	v_mul_f64_e32 v[133:134], v[79:80], v[89:90]
	v_mul_f64_e32 v[89:90], v[81:82], v[89:90]
	v_fma_f64 v[125:126], v[125:126], v[83:84], v[127:128]
	v_fma_f64 v[123:124], v[123:124], v[83:84], -v[85:86]
	scratch_load_b128 v[83:86], off, off offset:480
	v_add_f64_e32 v[6:7], v[6:7], v[129:130]
	v_add_f64_e32 v[2:3], v[2:3], v[131:132]
	v_fma_f64 v[129:130], v[81:82], v[87:88], v[133:134]
	v_fma_f64 v[131:132], v[79:80], v[87:88], -v[89:90]
	ds_load_b128 v[79:82], v1 offset:848
	s_wait_loadcnt_dscnt 0x901
	v_mul_f64_e32 v[127:128], v[115:116], v[93:94]
	v_mul_f64_e32 v[93:94], v[117:118], v[93:94]
	scratch_load_b128 v[87:90], off, off offset:496
	s_wait_loadcnt_dscnt 0x900
	v_mul_f64_e32 v[133:134], v[79:80], v[97:98]
	v_mul_f64_e32 v[97:98], v[81:82], v[97:98]
	v_add_f64_e32 v[6:7], v[6:7], v[125:126]
	v_add_f64_e32 v[2:3], v[2:3], v[123:124]
	ds_load_b128 v[123:126], v1 offset:864
	v_fma_f64 v[117:118], v[117:118], v[91:92], v[127:128]
	v_fma_f64 v[91:92], v[115:116], v[91:92], -v[93:94]
	s_wait_loadcnt_dscnt 0x800
	v_mul_f64_e32 v[115:116], v[123:124], v[101:102]
	v_mul_f64_e32 v[101:102], v[125:126], v[101:102]
	v_fma_f64 v[127:128], v[81:82], v[95:96], v[133:134]
	v_fma_f64 v[95:96], v[79:80], v[95:96], -v[97:98]
	v_add_f64_e32 v[6:7], v[6:7], v[129:130]
	v_add_f64_e32 v[2:3], v[2:3], v[131:132]
	v_fma_f64 v[115:116], v[125:126], v[99:100], v[115:116]
	v_fma_f64 v[99:100], v[123:124], v[99:100], -v[101:102]
	s_delay_alu instid0(VALU_DEP_4) | instskip(NEXT) | instid1(VALU_DEP_4)
	v_add_f64_e32 v[6:7], v[6:7], v[117:118]
	v_add_f64_e32 v[2:3], v[2:3], v[91:92]
	ds_load_b128 v[79:82], v1 offset:880
	ds_load_b128 v[91:94], v1 offset:896
	s_wait_loadcnt_dscnt 0x701
	v_mul_f64_e32 v[97:98], v[79:80], v[109:110]
	v_mul_f64_e32 v[109:110], v[81:82], v[109:110]
	v_add_f64_e32 v[6:7], v[6:7], v[127:128]
	v_add_f64_e32 v[2:3], v[2:3], v[95:96]
	s_wait_loadcnt_dscnt 0x500
	v_mul_f64_e32 v[101:102], v[91:92], v[10:11]
	v_mul_f64_e32 v[10:11], v[93:94], v[10:11]
	v_fma_f64 v[117:118], v[81:82], v[107:108], v[97:98]
	v_fma_f64 v[107:108], v[79:80], v[107:108], -v[109:110]
	ds_load_b128 v[79:82], v1 offset:912
	ds_load_b128 v[95:98], v1 offset:928
	v_add_f64_e32 v[6:7], v[6:7], v[115:116]
	v_add_f64_e32 v[2:3], v[2:3], v[99:100]
	v_fma_f64 v[93:94], v[93:94], v[8:9], v[101:102]
	v_fma_f64 v[8:9], v[91:92], v[8:9], -v[10:11]
	s_wait_loadcnt_dscnt 0x401
	v_mul_f64_e32 v[99:100], v[79:80], v[121:122]
	v_mul_f64_e32 v[109:110], v[81:82], v[121:122]
	v_add_f64_e32 v[6:7], v[6:7], v[117:118]
	v_add_f64_e32 v[2:3], v[2:3], v[107:108]
	s_wait_loadcnt_dscnt 0x300
	v_mul_f64_e32 v[10:11], v[95:96], v[77:78]
	v_mul_f64_e32 v[91:92], v[97:98], v[77:78]
	v_fma_f64 v[81:82], v[81:82], v[119:120], v[99:100]
	v_fma_f64 v[99:100], v[79:80], v[119:120], -v[109:110]
	v_add_f64_e32 v[93:94], v[6:7], v[93:94]
	v_add_f64_e32 v[2:3], v[2:3], v[8:9]
	ds_load_b128 v[6:9], v1 offset:944
	ds_load_b128 v[77:80], v1 offset:960
	v_fma_f64 v[10:11], v[97:98], v[75:76], v[10:11]
	v_fma_f64 v[75:76], v[95:96], v[75:76], -v[91:92]
	s_wait_loadcnt_dscnt 0x201
	v_mul_f64_e32 v[101:102], v[6:7], v[105:106]
	v_mul_f64_e32 v[105:106], v[8:9], v[105:106]
	v_add_f64_e32 v[81:82], v[93:94], v[81:82]
	v_add_f64_e32 v[2:3], v[2:3], v[99:100]
	s_wait_loadcnt_dscnt 0x100
	v_mul_f64_e32 v[91:92], v[77:78], v[85:86]
	v_mul_f64_e32 v[85:86], v[79:80], v[85:86]
	v_fma_f64 v[93:94], v[8:9], v[103:104], v[101:102]
	v_fma_f64 v[95:96], v[6:7], v[103:104], -v[105:106]
	ds_load_b128 v[6:9], v1 offset:976
	v_add_f64_e32 v[10:11], v[81:82], v[10:11]
	v_add_f64_e32 v[2:3], v[2:3], v[75:76]
	v_fma_f64 v[79:80], v[79:80], v[83:84], v[91:92]
	v_fma_f64 v[77:78], v[77:78], v[83:84], -v[85:86]
	s_wait_loadcnt_dscnt 0x0
	v_mul_f64_e32 v[75:76], v[6:7], v[89:90]
	v_mul_f64_e32 v[81:82], v[8:9], v[89:90]
	v_add_f64_e32 v[10:11], v[10:11], v[93:94]
	v_add_f64_e32 v[2:3], v[2:3], v[95:96]
	s_delay_alu instid0(VALU_DEP_4) | instskip(NEXT) | instid1(VALU_DEP_4)
	v_fma_f64 v[8:9], v[8:9], v[87:88], v[75:76]
	v_fma_f64 v[6:7], v[6:7], v[87:88], -v[81:82]
	s_delay_alu instid0(VALU_DEP_4) | instskip(NEXT) | instid1(VALU_DEP_4)
	v_add_f64_e32 v[10:11], v[10:11], v[79:80]
	v_add_f64_e32 v[2:3], v[2:3], v[77:78]
	s_delay_alu instid0(VALU_DEP_2) | instskip(NEXT) | instid1(VALU_DEP_2)
	v_add_f64_e32 v[8:9], v[10:11], v[8:9]
	v_add_f64_e32 v[2:3], v[2:3], v[6:7]
	s_delay_alu instid0(VALU_DEP_2) | instskip(NEXT) | instid1(VALU_DEP_2)
	v_add_f64_e64 v[8:9], v[113:114], -v[8:9]
	v_add_f64_e64 v[6:7], v[111:112], -v[2:3]
	scratch_store_b128 off, v[6:9], off offset:256
	v_cmpx_lt_u32_e32 14, v0
	s_cbranch_execz .LBB30_171
; %bb.170:
	scratch_load_b128 v[6:9], off, s12
	v_dual_mov_b32 v2, v1 :: v_dual_mov_b32 v3, v1
	v_mov_b32_e32 v4, v1
	scratch_store_b128 off, v[1:4], off offset:240
	s_wait_loadcnt 0x0
	ds_store_b128 v5, v[6:9]
.LBB30_171:
	s_wait_alu 0xfffe
	s_or_b32 exec_lo, exec_lo, s0
	s_wait_storecnt_dscnt 0x0
	s_barrier_signal -1
	s_barrier_wait -1
	global_inv scope:SCOPE_SE
	s_clause 0x8
	scratch_load_b128 v[6:9], off, off offset:256
	scratch_load_b128 v[75:78], off, off offset:272
	;; [unrolled: 1-line block ×9, first 2 shown]
	ds_load_b128 v[107:110], v1 offset:736
	ds_load_b128 v[111:114], v1 offset:752
	scratch_load_b128 v[115:118], off, off offset:240
	s_mov_b32 s0, exec_lo
	ds_load_b128 v[123:126], v1 offset:784
	s_wait_loadcnt_dscnt 0x902
	v_mul_f64_e32 v[2:3], v[109:110], v[8:9]
	v_mul_f64_e32 v[119:120], v[107:108], v[8:9]
	scratch_load_b128 v[8:11], off, off offset:400
	s_wait_loadcnt_dscnt 0x901
	v_mul_f64_e32 v[127:128], v[111:112], v[77:78]
	v_mul_f64_e32 v[77:78], v[113:114], v[77:78]
	v_fma_f64 v[2:3], v[107:108], v[6:7], -v[2:3]
	v_fma_f64 v[6:7], v[109:110], v[6:7], v[119:120]
	ds_load_b128 v[107:110], v1 offset:768
	scratch_load_b128 v[119:122], off, off offset:416
	v_fma_f64 v[113:114], v[113:114], v[75:76], v[127:128]
	v_fma_f64 v[111:112], v[111:112], v[75:76], -v[77:78]
	scratch_load_b128 v[75:78], off, off offset:432
	s_wait_loadcnt_dscnt 0x901
	v_mul_f64_e32 v[127:128], v[123:124], v[85:86]
	v_mul_f64_e32 v[85:86], v[125:126], v[85:86]
	s_wait_dscnt 0x0
	v_mul_f64_e32 v[129:130], v[107:108], v[81:82]
	v_mul_f64_e32 v[81:82], v[109:110], v[81:82]
	v_add_f64_e32 v[2:3], 0, v[2:3]
	v_add_f64_e32 v[6:7], 0, v[6:7]
	v_fma_f64 v[125:126], v[125:126], v[83:84], v[127:128]
	v_fma_f64 v[123:124], v[123:124], v[83:84], -v[85:86]
	scratch_load_b128 v[83:86], off, off offset:464
	v_fma_f64 v[129:130], v[109:110], v[79:80], v[129:130]
	v_fma_f64 v[131:132], v[107:108], v[79:80], -v[81:82]
	ds_load_b128 v[79:82], v1 offset:800
	scratch_load_b128 v[107:110], off, off offset:448
	v_add_f64_e32 v[2:3], v[2:3], v[111:112]
	v_add_f64_e32 v[6:7], v[6:7], v[113:114]
	ds_load_b128 v[111:114], v1 offset:816
	s_wait_loadcnt_dscnt 0xa01
	v_mul_f64_e32 v[133:134], v[79:80], v[89:90]
	v_mul_f64_e32 v[89:90], v[81:82], v[89:90]
	s_wait_loadcnt_dscnt 0x900
	v_mul_f64_e32 v[127:128], v[111:112], v[93:94]
	v_mul_f64_e32 v[93:94], v[113:114], v[93:94]
	v_add_f64_e32 v[2:3], v[2:3], v[131:132]
	v_add_f64_e32 v[6:7], v[6:7], v[129:130]
	v_fma_f64 v[129:130], v[81:82], v[87:88], v[133:134]
	v_fma_f64 v[131:132], v[79:80], v[87:88], -v[89:90]
	ds_load_b128 v[79:82], v1 offset:832
	scratch_load_b128 v[87:90], off, off offset:480
	v_fma_f64 v[113:114], v[113:114], v[91:92], v[127:128]
	v_fma_f64 v[111:112], v[111:112], v[91:92], -v[93:94]
	scratch_load_b128 v[91:94], off, off offset:496
	v_add_f64_e32 v[2:3], v[2:3], v[123:124]
	v_add_f64_e32 v[6:7], v[6:7], v[125:126]
	ds_load_b128 v[123:126], v1 offset:848
	s_wait_loadcnt_dscnt 0xa01
	v_mul_f64_e32 v[133:134], v[79:80], v[97:98]
	v_mul_f64_e32 v[97:98], v[81:82], v[97:98]
	s_wait_loadcnt_dscnt 0x900
	v_mul_f64_e32 v[127:128], v[123:124], v[101:102]
	v_mul_f64_e32 v[101:102], v[125:126], v[101:102]
	v_add_f64_e32 v[2:3], v[2:3], v[131:132]
	v_add_f64_e32 v[6:7], v[6:7], v[129:130]
	v_fma_f64 v[129:130], v[81:82], v[95:96], v[133:134]
	v_fma_f64 v[131:132], v[79:80], v[95:96], -v[97:98]
	ds_load_b128 v[79:82], v1 offset:864
	ds_load_b128 v[95:98], v1 offset:880
	v_add_f64_e32 v[2:3], v[2:3], v[111:112]
	v_add_f64_e32 v[6:7], v[6:7], v[113:114]
	s_wait_loadcnt_dscnt 0x801
	v_mul_f64_e32 v[111:112], v[79:80], v[105:106]
	v_mul_f64_e32 v[105:106], v[81:82], v[105:106]
	v_fma_f64 v[113:114], v[125:126], v[99:100], v[127:128]
	v_fma_f64 v[99:100], v[123:124], v[99:100], -v[101:102]
	v_add_f64_e32 v[2:3], v[2:3], v[131:132]
	v_add_f64_e32 v[6:7], v[6:7], v[129:130]
	v_fma_f64 v[111:112], v[81:82], v[103:104], v[111:112]
	v_fma_f64 v[103:104], v[79:80], v[103:104], -v[105:106]
	s_wait_loadcnt_dscnt 0x600
	v_mul_f64_e32 v[123:124], v[95:96], v[10:11]
	v_mul_f64_e32 v[10:11], v[97:98], v[10:11]
	v_add_f64_e32 v[2:3], v[2:3], v[99:100]
	v_add_f64_e32 v[6:7], v[6:7], v[113:114]
	ds_load_b128 v[79:82], v1 offset:896
	ds_load_b128 v[99:102], v1 offset:912
	v_fma_f64 v[97:98], v[97:98], v[8:9], v[123:124]
	v_fma_f64 v[8:9], v[95:96], v[8:9], -v[10:11]
	s_wait_loadcnt_dscnt 0x501
	v_mul_f64_e32 v[105:106], v[79:80], v[121:122]
	v_mul_f64_e32 v[113:114], v[81:82], v[121:122]
	s_wait_loadcnt_dscnt 0x400
	v_mul_f64_e32 v[10:11], v[99:100], v[77:78]
	v_mul_f64_e32 v[95:96], v[101:102], v[77:78]
	v_add_f64_e32 v[2:3], v[2:3], v[103:104]
	v_add_f64_e32 v[6:7], v[6:7], v[111:112]
	v_fma_f64 v[81:82], v[81:82], v[119:120], v[105:106]
	v_fma_f64 v[103:104], v[79:80], v[119:120], -v[113:114]
	v_fma_f64 v[10:11], v[101:102], v[75:76], v[10:11]
	v_fma_f64 v[75:76], v[99:100], v[75:76], -v[95:96]
	v_add_f64_e32 v[2:3], v[2:3], v[8:9]
	v_add_f64_e32 v[97:98], v[6:7], v[97:98]
	ds_load_b128 v[6:9], v1 offset:928
	ds_load_b128 v[77:80], v1 offset:944
	s_wait_loadcnt_dscnt 0x201
	v_mul_f64_e32 v[105:106], v[6:7], v[109:110]
	v_mul_f64_e32 v[109:110], v[8:9], v[109:110]
	s_wait_dscnt 0x0
	v_mul_f64_e32 v[95:96], v[77:78], v[85:86]
	v_mul_f64_e32 v[85:86], v[79:80], v[85:86]
	v_add_f64_e32 v[2:3], v[2:3], v[103:104]
	v_add_f64_e32 v[81:82], v[97:98], v[81:82]
	v_fma_f64 v[97:98], v[8:9], v[107:108], v[105:106]
	v_fma_f64 v[99:100], v[6:7], v[107:108], -v[109:110]
	v_fma_f64 v[79:80], v[79:80], v[83:84], v[95:96]
	v_fma_f64 v[77:78], v[77:78], v[83:84], -v[85:86]
	v_add_f64_e32 v[75:76], v[2:3], v[75:76]
	v_add_f64_e32 v[10:11], v[81:82], v[10:11]
	ds_load_b128 v[6:9], v1 offset:960
	ds_load_b128 v[1:4], v1 offset:976
	s_wait_loadcnt_dscnt 0x101
	v_mul_f64_e32 v[81:82], v[6:7], v[89:90]
	v_mul_f64_e32 v[89:90], v[8:9], v[89:90]
	s_wait_loadcnt_dscnt 0x0
	v_mul_f64_e32 v[83:84], v[1:2], v[93:94]
	v_mul_f64_e32 v[85:86], v[3:4], v[93:94]
	v_add_f64_e32 v[75:76], v[75:76], v[99:100]
	v_add_f64_e32 v[10:11], v[10:11], v[97:98]
	v_fma_f64 v[8:9], v[8:9], v[87:88], v[81:82]
	v_fma_f64 v[6:7], v[6:7], v[87:88], -v[89:90]
	v_fma_f64 v[3:4], v[3:4], v[91:92], v[83:84]
	v_fma_f64 v[1:2], v[1:2], v[91:92], -v[85:86]
	v_add_f64_e32 v[75:76], v[75:76], v[77:78]
	v_add_f64_e32 v[10:11], v[10:11], v[79:80]
	s_delay_alu instid0(VALU_DEP_2) | instskip(NEXT) | instid1(VALU_DEP_2)
	v_add_f64_e32 v[6:7], v[75:76], v[6:7]
	v_add_f64_e32 v[8:9], v[10:11], v[8:9]
	s_delay_alu instid0(VALU_DEP_2) | instskip(NEXT) | instid1(VALU_DEP_2)
	;; [unrolled: 3-line block ×3, first 2 shown]
	v_add_f64_e64 v[1:2], v[115:116], -v[1:2]
	v_add_f64_e64 v[3:4], v[117:118], -v[3:4]
	scratch_store_b128 off, v[1:4], off offset:240
	v_cmpx_lt_u32_e32 13, v0
	s_cbranch_execz .LBB30_173
; %bb.172:
	scratch_load_b128 v[1:4], off, s13
	v_mov_b32_e32 v6, 0
	s_delay_alu instid0(VALU_DEP_1)
	v_dual_mov_b32 v7, v6 :: v_dual_mov_b32 v8, v6
	v_mov_b32_e32 v9, v6
	scratch_store_b128 off, v[6:9], off offset:224
	s_wait_loadcnt 0x0
	ds_store_b128 v5, v[1:4]
.LBB30_173:
	s_wait_alu 0xfffe
	s_or_b32 exec_lo, exec_lo, s0
	s_wait_storecnt_dscnt 0x0
	s_barrier_signal -1
	s_barrier_wait -1
	global_inv scope:SCOPE_SE
	s_clause 0x7
	scratch_load_b128 v[6:9], off, off offset:240
	scratch_load_b128 v[75:78], off, off offset:256
	;; [unrolled: 1-line block ×8, first 2 shown]
	v_mov_b32_e32 v1, 0
	s_mov_b32 s0, exec_lo
	ds_load_b128 v[103:106], v1 offset:720
	s_clause 0x1
	scratch_load_b128 v[107:110], off, off offset:368
	scratch_load_b128 v[111:114], off, off offset:224
	ds_load_b128 v[115:118], v1 offset:736
	ds_load_b128 v[123:126], v1 offset:768
	s_wait_loadcnt_dscnt 0x902
	v_mul_f64_e32 v[2:3], v[105:106], v[8:9]
	v_mul_f64_e32 v[119:120], v[103:104], v[8:9]
	scratch_load_b128 v[8:11], off, off offset:384
	v_fma_f64 v[2:3], v[103:104], v[6:7], -v[2:3]
	v_fma_f64 v[6:7], v[105:106], v[6:7], v[119:120]
	ds_load_b128 v[103:106], v1 offset:752
	s_wait_loadcnt_dscnt 0x902
	v_mul_f64_e32 v[127:128], v[115:116], v[77:78]
	v_mul_f64_e32 v[77:78], v[117:118], v[77:78]
	scratch_load_b128 v[119:122], off, off offset:400
	s_wait_loadcnt_dscnt 0x900
	v_mul_f64_e32 v[129:130], v[103:104], v[81:82]
	v_mul_f64_e32 v[81:82], v[105:106], v[81:82]
	v_add_f64_e32 v[2:3], 0, v[2:3]
	v_add_f64_e32 v[6:7], 0, v[6:7]
	v_fma_f64 v[117:118], v[117:118], v[75:76], v[127:128]
	v_fma_f64 v[115:116], v[115:116], v[75:76], -v[77:78]
	scratch_load_b128 v[75:78], off, off offset:416
	v_fma_f64 v[129:130], v[105:106], v[79:80], v[129:130]
	v_fma_f64 v[131:132], v[103:104], v[79:80], -v[81:82]
	ds_load_b128 v[79:82], v1 offset:784
	s_wait_loadcnt 0x9
	v_mul_f64_e32 v[127:128], v[123:124], v[85:86]
	v_mul_f64_e32 v[85:86], v[125:126], v[85:86]
	scratch_load_b128 v[103:106], off, off offset:432
	v_add_f64_e32 v[6:7], v[6:7], v[117:118]
	v_add_f64_e32 v[2:3], v[2:3], v[115:116]
	ds_load_b128 v[115:118], v1 offset:800
	s_wait_loadcnt_dscnt 0x901
	v_mul_f64_e32 v[133:134], v[79:80], v[89:90]
	v_mul_f64_e32 v[89:90], v[81:82], v[89:90]
	v_fma_f64 v[125:126], v[125:126], v[83:84], v[127:128]
	v_fma_f64 v[123:124], v[123:124], v[83:84], -v[85:86]
	scratch_load_b128 v[83:86], off, off offset:448
	v_add_f64_e32 v[6:7], v[6:7], v[129:130]
	v_add_f64_e32 v[2:3], v[2:3], v[131:132]
	v_fma_f64 v[129:130], v[81:82], v[87:88], v[133:134]
	v_fma_f64 v[131:132], v[79:80], v[87:88], -v[89:90]
	ds_load_b128 v[79:82], v1 offset:816
	s_wait_loadcnt_dscnt 0x901
	v_mul_f64_e32 v[127:128], v[115:116], v[93:94]
	v_mul_f64_e32 v[93:94], v[117:118], v[93:94]
	scratch_load_b128 v[87:90], off, off offset:464
	s_wait_loadcnt_dscnt 0x900
	v_mul_f64_e32 v[133:134], v[79:80], v[97:98]
	v_mul_f64_e32 v[97:98], v[81:82], v[97:98]
	v_add_f64_e32 v[6:7], v[6:7], v[125:126]
	v_add_f64_e32 v[2:3], v[2:3], v[123:124]
	ds_load_b128 v[123:126], v1 offset:832
	v_fma_f64 v[117:118], v[117:118], v[91:92], v[127:128]
	v_fma_f64 v[115:116], v[115:116], v[91:92], -v[93:94]
	scratch_load_b128 v[91:94], off, off offset:480
	v_add_f64_e32 v[6:7], v[6:7], v[129:130]
	v_add_f64_e32 v[2:3], v[2:3], v[131:132]
	v_fma_f64 v[129:130], v[81:82], v[95:96], v[133:134]
	v_fma_f64 v[131:132], v[79:80], v[95:96], -v[97:98]
	ds_load_b128 v[79:82], v1 offset:848
	s_wait_loadcnt_dscnt 0x901
	v_mul_f64_e32 v[127:128], v[123:124], v[101:102]
	v_mul_f64_e32 v[101:102], v[125:126], v[101:102]
	scratch_load_b128 v[95:98], off, off offset:496
	s_wait_loadcnt_dscnt 0x900
	v_mul_f64_e32 v[133:134], v[79:80], v[109:110]
	v_mul_f64_e32 v[109:110], v[81:82], v[109:110]
	v_add_f64_e32 v[6:7], v[6:7], v[117:118]
	v_add_f64_e32 v[2:3], v[2:3], v[115:116]
	ds_load_b128 v[115:118], v1 offset:864
	v_fma_f64 v[125:126], v[125:126], v[99:100], v[127:128]
	v_fma_f64 v[99:100], v[123:124], v[99:100], -v[101:102]
	v_fma_f64 v[127:128], v[81:82], v[107:108], v[133:134]
	v_fma_f64 v[107:108], v[79:80], v[107:108], -v[109:110]
	v_add_f64_e32 v[6:7], v[6:7], v[129:130]
	v_add_f64_e32 v[2:3], v[2:3], v[131:132]
	s_wait_loadcnt_dscnt 0x700
	v_mul_f64_e32 v[123:124], v[115:116], v[10:11]
	v_mul_f64_e32 v[10:11], v[117:118], v[10:11]
	s_delay_alu instid0(VALU_DEP_4) | instskip(NEXT) | instid1(VALU_DEP_4)
	v_add_f64_e32 v[6:7], v[6:7], v[125:126]
	v_add_f64_e32 v[2:3], v[2:3], v[99:100]
	ds_load_b128 v[79:82], v1 offset:880
	ds_load_b128 v[99:102], v1 offset:896
	v_fma_f64 v[117:118], v[117:118], v[8:9], v[123:124]
	v_fma_f64 v[8:9], v[115:116], v[8:9], -v[10:11]
	s_wait_loadcnt_dscnt 0x601
	v_mul_f64_e32 v[109:110], v[79:80], v[121:122]
	v_mul_f64_e32 v[121:122], v[81:82], v[121:122]
	v_add_f64_e32 v[6:7], v[6:7], v[127:128]
	v_add_f64_e32 v[2:3], v[2:3], v[107:108]
	s_wait_loadcnt_dscnt 0x500
	v_mul_f64_e32 v[10:11], v[99:100], v[77:78]
	v_mul_f64_e32 v[107:108], v[101:102], v[77:78]
	v_fma_f64 v[81:82], v[81:82], v[119:120], v[109:110]
	v_fma_f64 v[109:110], v[79:80], v[119:120], -v[121:122]
	v_add_f64_e32 v[115:116], v[6:7], v[117:118]
	v_add_f64_e32 v[2:3], v[2:3], v[8:9]
	ds_load_b128 v[6:9], v1 offset:912
	ds_load_b128 v[77:80], v1 offset:928
	v_fma_f64 v[10:11], v[101:102], v[75:76], v[10:11]
	v_fma_f64 v[75:76], v[99:100], v[75:76], -v[107:108]
	s_wait_loadcnt_dscnt 0x401
	v_mul_f64_e32 v[117:118], v[6:7], v[105:106]
	v_mul_f64_e32 v[105:106], v[8:9], v[105:106]
	v_add_f64_e32 v[81:82], v[115:116], v[81:82]
	v_add_f64_e32 v[2:3], v[2:3], v[109:110]
	s_wait_loadcnt_dscnt 0x300
	v_mul_f64_e32 v[107:108], v[77:78], v[85:86]
	v_mul_f64_e32 v[85:86], v[79:80], v[85:86]
	v_fma_f64 v[109:110], v[8:9], v[103:104], v[117:118]
	v_fma_f64 v[103:104], v[6:7], v[103:104], -v[105:106]
	ds_load_b128 v[6:9], v1 offset:944
	ds_load_b128 v[99:102], v1 offset:960
	v_add_f64_e32 v[10:11], v[81:82], v[10:11]
	v_add_f64_e32 v[2:3], v[2:3], v[75:76]
	v_fma_f64 v[79:80], v[79:80], v[83:84], v[107:108]
	v_fma_f64 v[77:78], v[77:78], v[83:84], -v[85:86]
	s_wait_loadcnt_dscnt 0x201
	v_mul_f64_e32 v[75:76], v[6:7], v[89:90]
	v_mul_f64_e32 v[81:82], v[8:9], v[89:90]
	s_wait_loadcnt_dscnt 0x100
	v_mul_f64_e32 v[83:84], v[99:100], v[93:94]
	v_mul_f64_e32 v[85:86], v[101:102], v[93:94]
	v_add_f64_e32 v[10:11], v[10:11], v[109:110]
	v_add_f64_e32 v[2:3], v[2:3], v[103:104]
	v_fma_f64 v[75:76], v[8:9], v[87:88], v[75:76]
	v_fma_f64 v[81:82], v[6:7], v[87:88], -v[81:82]
	ds_load_b128 v[6:9], v1 offset:976
	v_fma_f64 v[83:84], v[101:102], v[91:92], v[83:84]
	v_fma_f64 v[85:86], v[99:100], v[91:92], -v[85:86]
	v_add_f64_e32 v[10:11], v[10:11], v[79:80]
	v_add_f64_e32 v[2:3], v[2:3], v[77:78]
	s_wait_loadcnt_dscnt 0x0
	v_mul_f64_e32 v[77:78], v[6:7], v[97:98]
	v_mul_f64_e32 v[79:80], v[8:9], v[97:98]
	s_delay_alu instid0(VALU_DEP_4) | instskip(NEXT) | instid1(VALU_DEP_4)
	v_add_f64_e32 v[10:11], v[10:11], v[75:76]
	v_add_f64_e32 v[2:3], v[2:3], v[81:82]
	s_delay_alu instid0(VALU_DEP_4) | instskip(NEXT) | instid1(VALU_DEP_4)
	v_fma_f64 v[8:9], v[8:9], v[95:96], v[77:78]
	v_fma_f64 v[6:7], v[6:7], v[95:96], -v[79:80]
	s_delay_alu instid0(VALU_DEP_4) | instskip(NEXT) | instid1(VALU_DEP_4)
	v_add_f64_e32 v[10:11], v[10:11], v[83:84]
	v_add_f64_e32 v[2:3], v[2:3], v[85:86]
	s_delay_alu instid0(VALU_DEP_2) | instskip(NEXT) | instid1(VALU_DEP_2)
	v_add_f64_e32 v[8:9], v[10:11], v[8:9]
	v_add_f64_e32 v[2:3], v[2:3], v[6:7]
	s_delay_alu instid0(VALU_DEP_2) | instskip(NEXT) | instid1(VALU_DEP_2)
	v_add_f64_e64 v[8:9], v[113:114], -v[8:9]
	v_add_f64_e64 v[6:7], v[111:112], -v[2:3]
	scratch_store_b128 off, v[6:9], off offset:224
	v_cmpx_lt_u32_e32 12, v0
	s_cbranch_execz .LBB30_175
; %bb.174:
	scratch_load_b128 v[6:9], off, s14
	v_dual_mov_b32 v2, v1 :: v_dual_mov_b32 v3, v1
	v_mov_b32_e32 v4, v1
	scratch_store_b128 off, v[1:4], off offset:208
	s_wait_loadcnt 0x0
	ds_store_b128 v5, v[6:9]
.LBB30_175:
	s_wait_alu 0xfffe
	s_or_b32 exec_lo, exec_lo, s0
	s_wait_storecnt_dscnt 0x0
	s_barrier_signal -1
	s_barrier_wait -1
	global_inv scope:SCOPE_SE
	s_clause 0x8
	scratch_load_b128 v[6:9], off, off offset:224
	scratch_load_b128 v[75:78], off, off offset:240
	;; [unrolled: 1-line block ×9, first 2 shown]
	ds_load_b128 v[107:110], v1 offset:704
	ds_load_b128 v[111:114], v1 offset:720
	scratch_load_b128 v[115:118], off, off offset:208
	s_mov_b32 s0, exec_lo
	ds_load_b128 v[123:126], v1 offset:752
	s_wait_loadcnt_dscnt 0x902
	v_mul_f64_e32 v[2:3], v[109:110], v[8:9]
	v_mul_f64_e32 v[119:120], v[107:108], v[8:9]
	scratch_load_b128 v[8:11], off, off offset:368
	s_wait_loadcnt_dscnt 0x901
	v_mul_f64_e32 v[127:128], v[111:112], v[77:78]
	v_mul_f64_e32 v[77:78], v[113:114], v[77:78]
	v_fma_f64 v[2:3], v[107:108], v[6:7], -v[2:3]
	v_fma_f64 v[6:7], v[109:110], v[6:7], v[119:120]
	ds_load_b128 v[107:110], v1 offset:736
	scratch_load_b128 v[119:122], off, off offset:384
	v_fma_f64 v[113:114], v[113:114], v[75:76], v[127:128]
	v_fma_f64 v[111:112], v[111:112], v[75:76], -v[77:78]
	scratch_load_b128 v[75:78], off, off offset:400
	s_wait_loadcnt_dscnt 0x901
	v_mul_f64_e32 v[127:128], v[123:124], v[85:86]
	v_mul_f64_e32 v[85:86], v[125:126], v[85:86]
	s_wait_dscnt 0x0
	v_mul_f64_e32 v[129:130], v[107:108], v[81:82]
	v_mul_f64_e32 v[81:82], v[109:110], v[81:82]
	v_add_f64_e32 v[2:3], 0, v[2:3]
	v_add_f64_e32 v[6:7], 0, v[6:7]
	v_fma_f64 v[125:126], v[125:126], v[83:84], v[127:128]
	v_fma_f64 v[123:124], v[123:124], v[83:84], -v[85:86]
	scratch_load_b128 v[83:86], off, off offset:432
	v_fma_f64 v[129:130], v[109:110], v[79:80], v[129:130]
	v_fma_f64 v[131:132], v[107:108], v[79:80], -v[81:82]
	ds_load_b128 v[79:82], v1 offset:768
	scratch_load_b128 v[107:110], off, off offset:416
	v_add_f64_e32 v[2:3], v[2:3], v[111:112]
	v_add_f64_e32 v[6:7], v[6:7], v[113:114]
	ds_load_b128 v[111:114], v1 offset:784
	s_wait_loadcnt_dscnt 0xa01
	v_mul_f64_e32 v[133:134], v[79:80], v[89:90]
	v_mul_f64_e32 v[89:90], v[81:82], v[89:90]
	s_wait_loadcnt_dscnt 0x900
	v_mul_f64_e32 v[127:128], v[111:112], v[93:94]
	v_mul_f64_e32 v[93:94], v[113:114], v[93:94]
	v_add_f64_e32 v[2:3], v[2:3], v[131:132]
	v_add_f64_e32 v[6:7], v[6:7], v[129:130]
	v_fma_f64 v[129:130], v[81:82], v[87:88], v[133:134]
	v_fma_f64 v[131:132], v[79:80], v[87:88], -v[89:90]
	ds_load_b128 v[79:82], v1 offset:800
	scratch_load_b128 v[87:90], off, off offset:448
	v_fma_f64 v[113:114], v[113:114], v[91:92], v[127:128]
	v_fma_f64 v[111:112], v[111:112], v[91:92], -v[93:94]
	scratch_load_b128 v[91:94], off, off offset:464
	v_add_f64_e32 v[2:3], v[2:3], v[123:124]
	v_add_f64_e32 v[6:7], v[6:7], v[125:126]
	ds_load_b128 v[123:126], v1 offset:816
	s_wait_loadcnt_dscnt 0xa01
	v_mul_f64_e32 v[133:134], v[79:80], v[97:98]
	v_mul_f64_e32 v[97:98], v[81:82], v[97:98]
	s_wait_loadcnt_dscnt 0x900
	v_mul_f64_e32 v[127:128], v[123:124], v[101:102]
	v_mul_f64_e32 v[101:102], v[125:126], v[101:102]
	v_add_f64_e32 v[2:3], v[2:3], v[131:132]
	v_add_f64_e32 v[6:7], v[6:7], v[129:130]
	v_fma_f64 v[129:130], v[81:82], v[95:96], v[133:134]
	v_fma_f64 v[131:132], v[79:80], v[95:96], -v[97:98]
	ds_load_b128 v[79:82], v1 offset:832
	scratch_load_b128 v[95:98], off, off offset:480
	v_fma_f64 v[125:126], v[125:126], v[99:100], v[127:128]
	v_fma_f64 v[123:124], v[123:124], v[99:100], -v[101:102]
	scratch_load_b128 v[99:102], off, off offset:496
	v_add_f64_e32 v[2:3], v[2:3], v[111:112]
	v_add_f64_e32 v[6:7], v[6:7], v[113:114]
	ds_load_b128 v[111:114], v1 offset:848
	s_wait_loadcnt_dscnt 0xa01
	v_mul_f64_e32 v[133:134], v[79:80], v[105:106]
	v_mul_f64_e32 v[105:106], v[81:82], v[105:106]
	v_add_f64_e32 v[2:3], v[2:3], v[131:132]
	v_add_f64_e32 v[6:7], v[6:7], v[129:130]
	s_delay_alu instid0(VALU_DEP_4) | instskip(NEXT) | instid1(VALU_DEP_4)
	v_fma_f64 v[129:130], v[81:82], v[103:104], v[133:134]
	v_fma_f64 v[131:132], v[79:80], v[103:104], -v[105:106]
	ds_load_b128 v[79:82], v1 offset:864
	ds_load_b128 v[103:106], v1 offset:880
	s_wait_loadcnt_dscnt 0x802
	v_mul_f64_e32 v[127:128], v[111:112], v[10:11]
	v_mul_f64_e32 v[10:11], v[113:114], v[10:11]
	v_add_f64_e32 v[2:3], v[2:3], v[123:124]
	v_add_f64_e32 v[6:7], v[6:7], v[125:126]
	s_delay_alu instid0(VALU_DEP_4)
	v_fma_f64 v[113:114], v[113:114], v[8:9], v[127:128]
	s_wait_loadcnt_dscnt 0x701
	v_mul_f64_e32 v[123:124], v[79:80], v[121:122]
	v_mul_f64_e32 v[121:122], v[81:82], v[121:122]
	v_fma_f64 v[8:9], v[111:112], v[8:9], -v[10:11]
	s_wait_loadcnt_dscnt 0x600
	v_mul_f64_e32 v[10:11], v[103:104], v[77:78]
	v_mul_f64_e32 v[111:112], v[105:106], v[77:78]
	v_add_f64_e32 v[2:3], v[2:3], v[131:132]
	v_add_f64_e32 v[6:7], v[6:7], v[129:130]
	v_fma_f64 v[81:82], v[81:82], v[119:120], v[123:124]
	v_fma_f64 v[119:120], v[79:80], v[119:120], -v[121:122]
	v_fma_f64 v[10:11], v[105:106], v[75:76], v[10:11]
	v_fma_f64 v[75:76], v[103:104], v[75:76], -v[111:112]
	v_add_f64_e32 v[2:3], v[2:3], v[8:9]
	v_add_f64_e32 v[113:114], v[6:7], v[113:114]
	ds_load_b128 v[6:9], v1 offset:896
	ds_load_b128 v[77:80], v1 offset:912
	s_wait_loadcnt_dscnt 0x401
	v_mul_f64_e32 v[121:122], v[6:7], v[109:110]
	v_mul_f64_e32 v[109:110], v[8:9], v[109:110]
	s_wait_dscnt 0x0
	v_mul_f64_e32 v[111:112], v[77:78], v[85:86]
	v_mul_f64_e32 v[85:86], v[79:80], v[85:86]
	v_add_f64_e32 v[2:3], v[2:3], v[119:120]
	v_add_f64_e32 v[81:82], v[113:114], v[81:82]
	v_fma_f64 v[113:114], v[8:9], v[107:108], v[121:122]
	v_fma_f64 v[107:108], v[6:7], v[107:108], -v[109:110]
	ds_load_b128 v[6:9], v1 offset:928
	ds_load_b128 v[103:106], v1 offset:944
	v_fma_f64 v[79:80], v[79:80], v[83:84], v[111:112]
	v_fma_f64 v[77:78], v[77:78], v[83:84], -v[85:86]
	v_add_f64_e32 v[2:3], v[2:3], v[75:76]
	v_add_f64_e32 v[10:11], v[81:82], v[10:11]
	s_wait_loadcnt_dscnt 0x301
	v_mul_f64_e32 v[75:76], v[6:7], v[89:90]
	v_mul_f64_e32 v[81:82], v[8:9], v[89:90]
	s_wait_loadcnt_dscnt 0x200
	v_mul_f64_e32 v[83:84], v[103:104], v[93:94]
	v_mul_f64_e32 v[85:86], v[105:106], v[93:94]
	v_add_f64_e32 v[2:3], v[2:3], v[107:108]
	v_add_f64_e32 v[10:11], v[10:11], v[113:114]
	v_fma_f64 v[75:76], v[8:9], v[87:88], v[75:76]
	v_fma_f64 v[81:82], v[6:7], v[87:88], -v[81:82]
	v_fma_f64 v[83:84], v[105:106], v[91:92], v[83:84]
	v_fma_f64 v[85:86], v[103:104], v[91:92], -v[85:86]
	v_add_f64_e32 v[77:78], v[2:3], v[77:78]
	v_add_f64_e32 v[10:11], v[10:11], v[79:80]
	ds_load_b128 v[6:9], v1 offset:960
	ds_load_b128 v[1:4], v1 offset:976
	s_wait_loadcnt_dscnt 0x101
	v_mul_f64_e32 v[79:80], v[6:7], v[97:98]
	v_mul_f64_e32 v[87:88], v[8:9], v[97:98]
	v_add_f64_e32 v[77:78], v[77:78], v[81:82]
	v_add_f64_e32 v[10:11], v[10:11], v[75:76]
	s_wait_loadcnt_dscnt 0x0
	v_mul_f64_e32 v[75:76], v[1:2], v[101:102]
	v_mul_f64_e32 v[81:82], v[3:4], v[101:102]
	v_fma_f64 v[8:9], v[8:9], v[95:96], v[79:80]
	v_fma_f64 v[6:7], v[6:7], v[95:96], -v[87:88]
	v_add_f64_e32 v[77:78], v[77:78], v[85:86]
	v_add_f64_e32 v[10:11], v[10:11], v[83:84]
	v_fma_f64 v[3:4], v[3:4], v[99:100], v[75:76]
	v_fma_f64 v[1:2], v[1:2], v[99:100], -v[81:82]
	s_delay_alu instid0(VALU_DEP_4) | instskip(NEXT) | instid1(VALU_DEP_4)
	v_add_f64_e32 v[6:7], v[77:78], v[6:7]
	v_add_f64_e32 v[8:9], v[10:11], v[8:9]
	s_delay_alu instid0(VALU_DEP_2) | instskip(NEXT) | instid1(VALU_DEP_2)
	v_add_f64_e32 v[1:2], v[6:7], v[1:2]
	v_add_f64_e32 v[3:4], v[8:9], v[3:4]
	s_delay_alu instid0(VALU_DEP_2) | instskip(NEXT) | instid1(VALU_DEP_2)
	v_add_f64_e64 v[1:2], v[115:116], -v[1:2]
	v_add_f64_e64 v[3:4], v[117:118], -v[3:4]
	scratch_store_b128 off, v[1:4], off offset:208
	v_cmpx_lt_u32_e32 11, v0
	s_cbranch_execz .LBB30_177
; %bb.176:
	scratch_load_b128 v[1:4], off, s15
	v_mov_b32_e32 v6, 0
	s_delay_alu instid0(VALU_DEP_1)
	v_dual_mov_b32 v7, v6 :: v_dual_mov_b32 v8, v6
	v_mov_b32_e32 v9, v6
	scratch_store_b128 off, v[6:9], off offset:192
	s_wait_loadcnt 0x0
	ds_store_b128 v5, v[1:4]
.LBB30_177:
	s_wait_alu 0xfffe
	s_or_b32 exec_lo, exec_lo, s0
	s_wait_storecnt_dscnt 0x0
	s_barrier_signal -1
	s_barrier_wait -1
	global_inv scope:SCOPE_SE
	s_clause 0x7
	scratch_load_b128 v[6:9], off, off offset:208
	scratch_load_b128 v[75:78], off, off offset:224
	;; [unrolled: 1-line block ×8, first 2 shown]
	v_mov_b32_e32 v1, 0
	s_mov_b32 s0, exec_lo
	ds_load_b128 v[103:106], v1 offset:688
	s_clause 0x1
	scratch_load_b128 v[107:110], off, off offset:336
	scratch_load_b128 v[111:114], off, off offset:192
	ds_load_b128 v[115:118], v1 offset:704
	ds_load_b128 v[123:126], v1 offset:736
	s_wait_loadcnt_dscnt 0x902
	v_mul_f64_e32 v[2:3], v[105:106], v[8:9]
	v_mul_f64_e32 v[119:120], v[103:104], v[8:9]
	scratch_load_b128 v[8:11], off, off offset:352
	v_fma_f64 v[2:3], v[103:104], v[6:7], -v[2:3]
	v_fma_f64 v[6:7], v[105:106], v[6:7], v[119:120]
	ds_load_b128 v[103:106], v1 offset:720
	s_wait_loadcnt_dscnt 0x902
	v_mul_f64_e32 v[127:128], v[115:116], v[77:78]
	v_mul_f64_e32 v[77:78], v[117:118], v[77:78]
	scratch_load_b128 v[119:122], off, off offset:368
	s_wait_loadcnt_dscnt 0x900
	v_mul_f64_e32 v[129:130], v[103:104], v[81:82]
	v_mul_f64_e32 v[81:82], v[105:106], v[81:82]
	v_add_f64_e32 v[2:3], 0, v[2:3]
	v_add_f64_e32 v[6:7], 0, v[6:7]
	v_fma_f64 v[117:118], v[117:118], v[75:76], v[127:128]
	v_fma_f64 v[115:116], v[115:116], v[75:76], -v[77:78]
	scratch_load_b128 v[75:78], off, off offset:384
	v_fma_f64 v[129:130], v[105:106], v[79:80], v[129:130]
	v_fma_f64 v[131:132], v[103:104], v[79:80], -v[81:82]
	ds_load_b128 v[79:82], v1 offset:752
	s_wait_loadcnt 0x9
	v_mul_f64_e32 v[127:128], v[123:124], v[85:86]
	v_mul_f64_e32 v[85:86], v[125:126], v[85:86]
	scratch_load_b128 v[103:106], off, off offset:400
	v_add_f64_e32 v[6:7], v[6:7], v[117:118]
	v_add_f64_e32 v[2:3], v[2:3], v[115:116]
	ds_load_b128 v[115:118], v1 offset:768
	s_wait_loadcnt_dscnt 0x901
	v_mul_f64_e32 v[133:134], v[79:80], v[89:90]
	v_mul_f64_e32 v[89:90], v[81:82], v[89:90]
	v_fma_f64 v[125:126], v[125:126], v[83:84], v[127:128]
	v_fma_f64 v[123:124], v[123:124], v[83:84], -v[85:86]
	scratch_load_b128 v[83:86], off, off offset:416
	v_add_f64_e32 v[6:7], v[6:7], v[129:130]
	v_add_f64_e32 v[2:3], v[2:3], v[131:132]
	v_fma_f64 v[129:130], v[81:82], v[87:88], v[133:134]
	v_fma_f64 v[131:132], v[79:80], v[87:88], -v[89:90]
	ds_load_b128 v[79:82], v1 offset:784
	s_wait_loadcnt_dscnt 0x901
	v_mul_f64_e32 v[127:128], v[115:116], v[93:94]
	v_mul_f64_e32 v[93:94], v[117:118], v[93:94]
	scratch_load_b128 v[87:90], off, off offset:432
	s_wait_loadcnt_dscnt 0x900
	v_mul_f64_e32 v[133:134], v[79:80], v[97:98]
	v_mul_f64_e32 v[97:98], v[81:82], v[97:98]
	v_add_f64_e32 v[6:7], v[6:7], v[125:126]
	v_add_f64_e32 v[2:3], v[2:3], v[123:124]
	ds_load_b128 v[123:126], v1 offset:800
	v_fma_f64 v[117:118], v[117:118], v[91:92], v[127:128]
	v_fma_f64 v[115:116], v[115:116], v[91:92], -v[93:94]
	scratch_load_b128 v[91:94], off, off offset:448
	v_add_f64_e32 v[6:7], v[6:7], v[129:130]
	v_add_f64_e32 v[2:3], v[2:3], v[131:132]
	v_fma_f64 v[129:130], v[81:82], v[95:96], v[133:134]
	v_fma_f64 v[131:132], v[79:80], v[95:96], -v[97:98]
	ds_load_b128 v[79:82], v1 offset:816
	s_wait_loadcnt_dscnt 0x901
	v_mul_f64_e32 v[127:128], v[123:124], v[101:102]
	v_mul_f64_e32 v[101:102], v[125:126], v[101:102]
	scratch_load_b128 v[95:98], off, off offset:464
	s_wait_loadcnt_dscnt 0x900
	v_mul_f64_e32 v[133:134], v[79:80], v[109:110]
	v_mul_f64_e32 v[109:110], v[81:82], v[109:110]
	v_add_f64_e32 v[6:7], v[6:7], v[117:118]
	v_add_f64_e32 v[2:3], v[2:3], v[115:116]
	ds_load_b128 v[115:118], v1 offset:832
	v_fma_f64 v[125:126], v[125:126], v[99:100], v[127:128]
	v_fma_f64 v[123:124], v[123:124], v[99:100], -v[101:102]
	scratch_load_b128 v[99:102], off, off offset:480
	v_add_f64_e32 v[6:7], v[6:7], v[129:130]
	v_add_f64_e32 v[2:3], v[2:3], v[131:132]
	v_fma_f64 v[129:130], v[81:82], v[107:108], v[133:134]
	v_fma_f64 v[131:132], v[79:80], v[107:108], -v[109:110]
	ds_load_b128 v[79:82], v1 offset:848
	scratch_load_b128 v[107:110], off, off offset:496
	s_wait_loadcnt_dscnt 0x901
	v_mul_f64_e32 v[127:128], v[115:116], v[10:11]
	v_mul_f64_e32 v[10:11], v[117:118], v[10:11]
	v_add_f64_e32 v[6:7], v[6:7], v[125:126]
	v_add_f64_e32 v[2:3], v[2:3], v[123:124]
	ds_load_b128 v[123:126], v1 offset:864
	v_fma_f64 v[117:118], v[117:118], v[8:9], v[127:128]
	v_fma_f64 v[8:9], v[115:116], v[8:9], -v[10:11]
	s_wait_loadcnt_dscnt 0x801
	v_mul_f64_e32 v[133:134], v[79:80], v[121:122]
	v_mul_f64_e32 v[121:122], v[81:82], v[121:122]
	v_add_f64_e32 v[6:7], v[6:7], v[129:130]
	v_add_f64_e32 v[2:3], v[2:3], v[131:132]
	s_wait_loadcnt_dscnt 0x700
	v_mul_f64_e32 v[10:11], v[123:124], v[77:78]
	v_mul_f64_e32 v[115:116], v[125:126], v[77:78]
	v_fma_f64 v[81:82], v[81:82], v[119:120], v[133:134]
	v_fma_f64 v[119:120], v[79:80], v[119:120], -v[121:122]
	v_add_f64_e32 v[117:118], v[6:7], v[117:118]
	v_add_f64_e32 v[2:3], v[2:3], v[8:9]
	ds_load_b128 v[6:9], v1 offset:880
	ds_load_b128 v[77:80], v1 offset:896
	v_fma_f64 v[10:11], v[125:126], v[75:76], v[10:11]
	v_fma_f64 v[75:76], v[123:124], v[75:76], -v[115:116]
	s_wait_loadcnt_dscnt 0x601
	v_mul_f64_e32 v[121:122], v[6:7], v[105:106]
	v_mul_f64_e32 v[105:106], v[8:9], v[105:106]
	v_add_f64_e32 v[81:82], v[117:118], v[81:82]
	v_add_f64_e32 v[2:3], v[2:3], v[119:120]
	s_wait_loadcnt_dscnt 0x500
	v_mul_f64_e32 v[115:116], v[77:78], v[85:86]
	v_mul_f64_e32 v[85:86], v[79:80], v[85:86]
	v_fma_f64 v[117:118], v[8:9], v[103:104], v[121:122]
	v_fma_f64 v[119:120], v[6:7], v[103:104], -v[105:106]
	ds_load_b128 v[6:9], v1 offset:912
	ds_load_b128 v[103:106], v1 offset:928
	v_add_f64_e32 v[10:11], v[81:82], v[10:11]
	v_add_f64_e32 v[2:3], v[2:3], v[75:76]
	v_fma_f64 v[79:80], v[79:80], v[83:84], v[115:116]
	v_fma_f64 v[77:78], v[77:78], v[83:84], -v[85:86]
	s_wait_loadcnt_dscnt 0x401
	v_mul_f64_e32 v[75:76], v[6:7], v[89:90]
	v_mul_f64_e32 v[81:82], v[8:9], v[89:90]
	s_wait_loadcnt_dscnt 0x300
	v_mul_f64_e32 v[83:84], v[103:104], v[93:94]
	v_mul_f64_e32 v[85:86], v[105:106], v[93:94]
	v_add_f64_e32 v[10:11], v[10:11], v[117:118]
	v_add_f64_e32 v[2:3], v[2:3], v[119:120]
	v_fma_f64 v[89:90], v[8:9], v[87:88], v[75:76]
	v_fma_f64 v[81:82], v[6:7], v[87:88], -v[81:82]
	v_fma_f64 v[83:84], v[105:106], v[91:92], v[83:84]
	v_fma_f64 v[85:86], v[103:104], v[91:92], -v[85:86]
	v_add_f64_e32 v[10:11], v[10:11], v[79:80]
	v_add_f64_e32 v[2:3], v[2:3], v[77:78]
	ds_load_b128 v[6:9], v1 offset:944
	ds_load_b128 v[75:78], v1 offset:960
	s_wait_loadcnt_dscnt 0x201
	v_mul_f64_e32 v[79:80], v[6:7], v[97:98]
	v_mul_f64_e32 v[87:88], v[8:9], v[97:98]
	v_add_f64_e32 v[10:11], v[10:11], v[89:90]
	v_add_f64_e32 v[2:3], v[2:3], v[81:82]
	s_wait_loadcnt_dscnt 0x100
	v_mul_f64_e32 v[81:82], v[75:76], v[101:102]
	v_mul_f64_e32 v[89:90], v[77:78], v[101:102]
	v_fma_f64 v[79:80], v[8:9], v[95:96], v[79:80]
	v_fma_f64 v[87:88], v[6:7], v[95:96], -v[87:88]
	ds_load_b128 v[6:9], v1 offset:976
	v_add_f64_e32 v[10:11], v[10:11], v[83:84]
	v_add_f64_e32 v[2:3], v[2:3], v[85:86]
	v_fma_f64 v[77:78], v[77:78], v[99:100], v[81:82]
	v_fma_f64 v[75:76], v[75:76], v[99:100], -v[89:90]
	s_wait_loadcnt_dscnt 0x0
	v_mul_f64_e32 v[83:84], v[6:7], v[109:110]
	v_mul_f64_e32 v[85:86], v[8:9], v[109:110]
	v_add_f64_e32 v[10:11], v[10:11], v[79:80]
	v_add_f64_e32 v[2:3], v[2:3], v[87:88]
	s_delay_alu instid0(VALU_DEP_4) | instskip(NEXT) | instid1(VALU_DEP_4)
	v_fma_f64 v[8:9], v[8:9], v[107:108], v[83:84]
	v_fma_f64 v[6:7], v[6:7], v[107:108], -v[85:86]
	s_delay_alu instid0(VALU_DEP_4) | instskip(NEXT) | instid1(VALU_DEP_4)
	v_add_f64_e32 v[10:11], v[10:11], v[77:78]
	v_add_f64_e32 v[2:3], v[2:3], v[75:76]
	s_delay_alu instid0(VALU_DEP_2) | instskip(NEXT) | instid1(VALU_DEP_2)
	v_add_f64_e32 v[8:9], v[10:11], v[8:9]
	v_add_f64_e32 v[2:3], v[2:3], v[6:7]
	s_delay_alu instid0(VALU_DEP_2) | instskip(NEXT) | instid1(VALU_DEP_2)
	v_add_f64_e64 v[8:9], v[113:114], -v[8:9]
	v_add_f64_e64 v[6:7], v[111:112], -v[2:3]
	scratch_store_b128 off, v[6:9], off offset:192
	v_cmpx_lt_u32_e32 10, v0
	s_cbranch_execz .LBB30_179
; %bb.178:
	scratch_load_b128 v[6:9], off, s19
	v_dual_mov_b32 v2, v1 :: v_dual_mov_b32 v3, v1
	v_mov_b32_e32 v4, v1
	scratch_store_b128 off, v[1:4], off offset:176
	s_wait_loadcnt 0x0
	ds_store_b128 v5, v[6:9]
.LBB30_179:
	s_wait_alu 0xfffe
	s_or_b32 exec_lo, exec_lo, s0
	s_wait_storecnt_dscnt 0x0
	s_barrier_signal -1
	s_barrier_wait -1
	global_inv scope:SCOPE_SE
	s_clause 0x8
	scratch_load_b128 v[6:9], off, off offset:192
	scratch_load_b128 v[75:78], off, off offset:208
	;; [unrolled: 1-line block ×9, first 2 shown]
	ds_load_b128 v[107:110], v1 offset:672
	ds_load_b128 v[111:114], v1 offset:688
	scratch_load_b128 v[115:118], off, off offset:176
	s_mov_b32 s0, exec_lo
	ds_load_b128 v[123:126], v1 offset:720
	s_wait_loadcnt_dscnt 0x902
	v_mul_f64_e32 v[2:3], v[109:110], v[8:9]
	v_mul_f64_e32 v[119:120], v[107:108], v[8:9]
	scratch_load_b128 v[8:11], off, off offset:336
	s_wait_loadcnt_dscnt 0x901
	v_mul_f64_e32 v[127:128], v[111:112], v[77:78]
	v_mul_f64_e32 v[77:78], v[113:114], v[77:78]
	v_fma_f64 v[2:3], v[107:108], v[6:7], -v[2:3]
	v_fma_f64 v[6:7], v[109:110], v[6:7], v[119:120]
	ds_load_b128 v[107:110], v1 offset:704
	scratch_load_b128 v[119:122], off, off offset:352
	v_fma_f64 v[113:114], v[113:114], v[75:76], v[127:128]
	v_fma_f64 v[111:112], v[111:112], v[75:76], -v[77:78]
	scratch_load_b128 v[75:78], off, off offset:368
	s_wait_loadcnt_dscnt 0x901
	v_mul_f64_e32 v[127:128], v[123:124], v[85:86]
	v_mul_f64_e32 v[85:86], v[125:126], v[85:86]
	s_wait_dscnt 0x0
	v_mul_f64_e32 v[129:130], v[107:108], v[81:82]
	v_mul_f64_e32 v[81:82], v[109:110], v[81:82]
	v_add_f64_e32 v[2:3], 0, v[2:3]
	v_add_f64_e32 v[6:7], 0, v[6:7]
	v_fma_f64 v[125:126], v[125:126], v[83:84], v[127:128]
	v_fma_f64 v[123:124], v[123:124], v[83:84], -v[85:86]
	scratch_load_b128 v[83:86], off, off offset:400
	v_fma_f64 v[129:130], v[109:110], v[79:80], v[129:130]
	v_fma_f64 v[131:132], v[107:108], v[79:80], -v[81:82]
	ds_load_b128 v[79:82], v1 offset:736
	scratch_load_b128 v[107:110], off, off offset:384
	v_add_f64_e32 v[2:3], v[2:3], v[111:112]
	v_add_f64_e32 v[6:7], v[6:7], v[113:114]
	ds_load_b128 v[111:114], v1 offset:752
	s_wait_loadcnt_dscnt 0xa01
	v_mul_f64_e32 v[133:134], v[79:80], v[89:90]
	v_mul_f64_e32 v[89:90], v[81:82], v[89:90]
	s_wait_loadcnt_dscnt 0x900
	v_mul_f64_e32 v[127:128], v[111:112], v[93:94]
	v_mul_f64_e32 v[93:94], v[113:114], v[93:94]
	v_add_f64_e32 v[2:3], v[2:3], v[131:132]
	v_add_f64_e32 v[6:7], v[6:7], v[129:130]
	v_fma_f64 v[129:130], v[81:82], v[87:88], v[133:134]
	v_fma_f64 v[131:132], v[79:80], v[87:88], -v[89:90]
	ds_load_b128 v[79:82], v1 offset:768
	scratch_load_b128 v[87:90], off, off offset:416
	v_fma_f64 v[113:114], v[113:114], v[91:92], v[127:128]
	v_fma_f64 v[111:112], v[111:112], v[91:92], -v[93:94]
	scratch_load_b128 v[91:94], off, off offset:432
	v_add_f64_e32 v[2:3], v[2:3], v[123:124]
	v_add_f64_e32 v[6:7], v[6:7], v[125:126]
	ds_load_b128 v[123:126], v1 offset:784
	s_wait_loadcnt_dscnt 0xa01
	v_mul_f64_e32 v[133:134], v[79:80], v[97:98]
	v_mul_f64_e32 v[97:98], v[81:82], v[97:98]
	s_wait_loadcnt_dscnt 0x900
	v_mul_f64_e32 v[127:128], v[123:124], v[101:102]
	v_mul_f64_e32 v[101:102], v[125:126], v[101:102]
	v_add_f64_e32 v[2:3], v[2:3], v[131:132]
	v_add_f64_e32 v[6:7], v[6:7], v[129:130]
	v_fma_f64 v[129:130], v[81:82], v[95:96], v[133:134]
	v_fma_f64 v[131:132], v[79:80], v[95:96], -v[97:98]
	ds_load_b128 v[79:82], v1 offset:800
	scratch_load_b128 v[95:98], off, off offset:448
	v_fma_f64 v[125:126], v[125:126], v[99:100], v[127:128]
	v_fma_f64 v[123:124], v[123:124], v[99:100], -v[101:102]
	scratch_load_b128 v[99:102], off, off offset:464
	v_add_f64_e32 v[2:3], v[2:3], v[111:112]
	v_add_f64_e32 v[6:7], v[6:7], v[113:114]
	ds_load_b128 v[111:114], v1 offset:816
	s_wait_loadcnt_dscnt 0xa01
	v_mul_f64_e32 v[133:134], v[79:80], v[105:106]
	v_mul_f64_e32 v[105:106], v[81:82], v[105:106]
	v_add_f64_e32 v[2:3], v[2:3], v[131:132]
	v_add_f64_e32 v[6:7], v[6:7], v[129:130]
	s_delay_alu instid0(VALU_DEP_4) | instskip(NEXT) | instid1(VALU_DEP_4)
	v_fma_f64 v[129:130], v[81:82], v[103:104], v[133:134]
	v_fma_f64 v[131:132], v[79:80], v[103:104], -v[105:106]
	ds_load_b128 v[79:82], v1 offset:832
	scratch_load_b128 v[103:106], off, off offset:480
	s_wait_loadcnt_dscnt 0x901
	v_mul_f64_e32 v[127:128], v[111:112], v[10:11]
	v_mul_f64_e32 v[10:11], v[113:114], v[10:11]
	v_add_f64_e32 v[2:3], v[2:3], v[123:124]
	v_add_f64_e32 v[6:7], v[6:7], v[125:126]
	ds_load_b128 v[123:126], v1 offset:848
	v_fma_f64 v[113:114], v[113:114], v[8:9], v[127:128]
	s_wait_loadcnt_dscnt 0x801
	v_mul_f64_e32 v[133:134], v[79:80], v[121:122]
	v_mul_f64_e32 v[121:122], v[81:82], v[121:122]
	v_fma_f64 v[10:11], v[111:112], v[8:9], -v[10:11]
	s_wait_loadcnt_dscnt 0x700
	v_mul_f64_e32 v[127:128], v[123:124], v[77:78]
	v_add_f64_e32 v[2:3], v[2:3], v[131:132]
	v_add_f64_e32 v[111:112], v[6:7], v[129:130]
	scratch_load_b128 v[6:9], off, off offset:496
	v_mul_f64_e32 v[129:130], v[125:126], v[77:78]
	v_fma_f64 v[81:82], v[81:82], v[119:120], v[133:134]
	v_fma_f64 v[119:120], v[79:80], v[119:120], -v[121:122]
	v_fma_f64 v[125:126], v[125:126], v[75:76], v[127:128]
	v_add_f64_e32 v[2:3], v[2:3], v[10:11]
	v_add_f64_e32 v[10:11], v[111:112], v[113:114]
	ds_load_b128 v[77:80], v1 offset:864
	ds_load_b128 v[111:114], v1 offset:880
	v_fma_f64 v[75:76], v[123:124], v[75:76], -v[129:130]
	s_wait_loadcnt_dscnt 0x601
	v_mul_f64_e32 v[121:122], v[77:78], v[109:110]
	v_mul_f64_e32 v[109:110], v[79:80], v[109:110]
	v_add_f64_e32 v[2:3], v[2:3], v[119:120]
	v_add_f64_e32 v[10:11], v[10:11], v[81:82]
	s_wait_dscnt 0x0
	v_mul_f64_e32 v[119:120], v[111:112], v[85:86]
	v_mul_f64_e32 v[85:86], v[113:114], v[85:86]
	v_fma_f64 v[121:122], v[79:80], v[107:108], v[121:122]
	v_fma_f64 v[107:108], v[77:78], v[107:108], -v[109:110]
	v_add_f64_e32 v[2:3], v[2:3], v[75:76]
	v_add_f64_e32 v[10:11], v[10:11], v[125:126]
	ds_load_b128 v[75:78], v1 offset:896
	ds_load_b128 v[79:82], v1 offset:912
	v_fma_f64 v[113:114], v[113:114], v[83:84], v[119:120]
	v_fma_f64 v[83:84], v[111:112], v[83:84], -v[85:86]
	s_wait_loadcnt_dscnt 0x501
	v_mul_f64_e32 v[109:110], v[75:76], v[89:90]
	v_mul_f64_e32 v[89:90], v[77:78], v[89:90]
	v_add_f64_e32 v[2:3], v[2:3], v[107:108]
	v_add_f64_e32 v[10:11], v[10:11], v[121:122]
	s_wait_loadcnt_dscnt 0x400
	v_mul_f64_e32 v[107:108], v[79:80], v[93:94]
	v_mul_f64_e32 v[93:94], v[81:82], v[93:94]
	v_fma_f64 v[109:110], v[77:78], v[87:88], v[109:110]
	v_fma_f64 v[87:88], v[75:76], v[87:88], -v[89:90]
	v_add_f64_e32 v[2:3], v[2:3], v[83:84]
	v_add_f64_e32 v[10:11], v[10:11], v[113:114]
	ds_load_b128 v[75:78], v1 offset:928
	ds_load_b128 v[83:86], v1 offset:944
	v_fma_f64 v[81:82], v[81:82], v[91:92], v[107:108]
	v_fma_f64 v[79:80], v[79:80], v[91:92], -v[93:94]
	s_wait_loadcnt_dscnt 0x301
	v_mul_f64_e32 v[89:90], v[75:76], v[97:98]
	v_mul_f64_e32 v[97:98], v[77:78], v[97:98]
	s_wait_loadcnt_dscnt 0x200
	v_mul_f64_e32 v[91:92], v[85:86], v[101:102]
	v_add_f64_e32 v[2:3], v[2:3], v[87:88]
	v_add_f64_e32 v[10:11], v[10:11], v[109:110]
	v_mul_f64_e32 v[87:88], v[83:84], v[101:102]
	v_fma_f64 v[89:90], v[77:78], v[95:96], v[89:90]
	v_fma_f64 v[93:94], v[75:76], v[95:96], -v[97:98]
	v_fma_f64 v[83:84], v[83:84], v[99:100], -v[91:92]
	v_add_f64_e32 v[79:80], v[2:3], v[79:80]
	v_add_f64_e32 v[10:11], v[10:11], v[81:82]
	ds_load_b128 v[75:78], v1 offset:960
	ds_load_b128 v[1:4], v1 offset:976
	v_fma_f64 v[85:86], v[85:86], v[99:100], v[87:88]
	s_wait_loadcnt_dscnt 0x101
	v_mul_f64_e32 v[81:82], v[75:76], v[105:106]
	v_mul_f64_e32 v[95:96], v[77:78], v[105:106]
	v_add_f64_e32 v[79:80], v[79:80], v[93:94]
	v_add_f64_e32 v[10:11], v[10:11], v[89:90]
	s_wait_loadcnt_dscnt 0x0
	v_mul_f64_e32 v[87:88], v[1:2], v[8:9]
	v_mul_f64_e32 v[8:9], v[3:4], v[8:9]
	v_fma_f64 v[77:78], v[77:78], v[103:104], v[81:82]
	v_fma_f64 v[75:76], v[75:76], v[103:104], -v[95:96]
	v_add_f64_e32 v[79:80], v[79:80], v[83:84]
	v_add_f64_e32 v[10:11], v[10:11], v[85:86]
	v_fma_f64 v[3:4], v[3:4], v[6:7], v[87:88]
	v_fma_f64 v[1:2], v[1:2], v[6:7], -v[8:9]
	s_delay_alu instid0(VALU_DEP_4) | instskip(NEXT) | instid1(VALU_DEP_4)
	v_add_f64_e32 v[6:7], v[79:80], v[75:76]
	v_add_f64_e32 v[8:9], v[10:11], v[77:78]
	s_delay_alu instid0(VALU_DEP_2) | instskip(NEXT) | instid1(VALU_DEP_2)
	v_add_f64_e32 v[1:2], v[6:7], v[1:2]
	v_add_f64_e32 v[3:4], v[8:9], v[3:4]
	s_delay_alu instid0(VALU_DEP_2) | instskip(NEXT) | instid1(VALU_DEP_2)
	v_add_f64_e64 v[1:2], v[115:116], -v[1:2]
	v_add_f64_e64 v[3:4], v[117:118], -v[3:4]
	scratch_store_b128 off, v[1:4], off offset:176
	v_cmpx_lt_u32_e32 9, v0
	s_cbranch_execz .LBB30_181
; %bb.180:
	scratch_load_b128 v[1:4], off, s22
	v_mov_b32_e32 v6, 0
	s_delay_alu instid0(VALU_DEP_1)
	v_dual_mov_b32 v7, v6 :: v_dual_mov_b32 v8, v6
	v_mov_b32_e32 v9, v6
	scratch_store_b128 off, v[6:9], off offset:160
	s_wait_loadcnt 0x0
	ds_store_b128 v5, v[1:4]
.LBB30_181:
	s_wait_alu 0xfffe
	s_or_b32 exec_lo, exec_lo, s0
	s_wait_storecnt_dscnt 0x0
	s_barrier_signal -1
	s_barrier_wait -1
	global_inv scope:SCOPE_SE
	s_clause 0x7
	scratch_load_b128 v[6:9], off, off offset:176
	scratch_load_b128 v[75:78], off, off offset:192
	;; [unrolled: 1-line block ×8, first 2 shown]
	v_mov_b32_e32 v1, 0
	s_mov_b32 s0, exec_lo
	ds_load_b128 v[103:106], v1 offset:656
	s_clause 0x1
	scratch_load_b128 v[107:110], off, off offset:304
	scratch_load_b128 v[111:114], off, off offset:160
	ds_load_b128 v[115:118], v1 offset:672
	ds_load_b128 v[123:126], v1 offset:704
	s_wait_loadcnt_dscnt 0x902
	v_mul_f64_e32 v[2:3], v[105:106], v[8:9]
	v_mul_f64_e32 v[119:120], v[103:104], v[8:9]
	scratch_load_b128 v[8:11], off, off offset:320
	v_fma_f64 v[2:3], v[103:104], v[6:7], -v[2:3]
	v_fma_f64 v[6:7], v[105:106], v[6:7], v[119:120]
	ds_load_b128 v[103:106], v1 offset:688
	s_wait_loadcnt_dscnt 0x902
	v_mul_f64_e32 v[127:128], v[115:116], v[77:78]
	v_mul_f64_e32 v[77:78], v[117:118], v[77:78]
	scratch_load_b128 v[119:122], off, off offset:336
	s_wait_loadcnt_dscnt 0x900
	v_mul_f64_e32 v[129:130], v[103:104], v[81:82]
	v_mul_f64_e32 v[81:82], v[105:106], v[81:82]
	v_add_f64_e32 v[2:3], 0, v[2:3]
	v_add_f64_e32 v[6:7], 0, v[6:7]
	v_fma_f64 v[117:118], v[117:118], v[75:76], v[127:128]
	v_fma_f64 v[115:116], v[115:116], v[75:76], -v[77:78]
	scratch_load_b128 v[75:78], off, off offset:352
	v_fma_f64 v[129:130], v[105:106], v[79:80], v[129:130]
	v_fma_f64 v[131:132], v[103:104], v[79:80], -v[81:82]
	ds_load_b128 v[79:82], v1 offset:720
	s_wait_loadcnt 0x9
	v_mul_f64_e32 v[127:128], v[123:124], v[85:86]
	v_mul_f64_e32 v[85:86], v[125:126], v[85:86]
	scratch_load_b128 v[103:106], off, off offset:368
	v_add_f64_e32 v[6:7], v[6:7], v[117:118]
	v_add_f64_e32 v[2:3], v[2:3], v[115:116]
	ds_load_b128 v[115:118], v1 offset:736
	s_wait_loadcnt_dscnt 0x901
	v_mul_f64_e32 v[133:134], v[79:80], v[89:90]
	v_mul_f64_e32 v[89:90], v[81:82], v[89:90]
	v_fma_f64 v[125:126], v[125:126], v[83:84], v[127:128]
	v_fma_f64 v[123:124], v[123:124], v[83:84], -v[85:86]
	scratch_load_b128 v[83:86], off, off offset:384
	v_add_f64_e32 v[6:7], v[6:7], v[129:130]
	v_add_f64_e32 v[2:3], v[2:3], v[131:132]
	v_fma_f64 v[129:130], v[81:82], v[87:88], v[133:134]
	v_fma_f64 v[131:132], v[79:80], v[87:88], -v[89:90]
	ds_load_b128 v[79:82], v1 offset:752
	s_wait_loadcnt_dscnt 0x901
	v_mul_f64_e32 v[127:128], v[115:116], v[93:94]
	v_mul_f64_e32 v[93:94], v[117:118], v[93:94]
	scratch_load_b128 v[87:90], off, off offset:400
	s_wait_loadcnt_dscnt 0x900
	v_mul_f64_e32 v[133:134], v[79:80], v[97:98]
	v_mul_f64_e32 v[97:98], v[81:82], v[97:98]
	v_add_f64_e32 v[6:7], v[6:7], v[125:126]
	v_add_f64_e32 v[2:3], v[2:3], v[123:124]
	ds_load_b128 v[123:126], v1 offset:768
	v_fma_f64 v[117:118], v[117:118], v[91:92], v[127:128]
	v_fma_f64 v[115:116], v[115:116], v[91:92], -v[93:94]
	scratch_load_b128 v[91:94], off, off offset:416
	v_add_f64_e32 v[6:7], v[6:7], v[129:130]
	v_add_f64_e32 v[2:3], v[2:3], v[131:132]
	v_fma_f64 v[129:130], v[81:82], v[95:96], v[133:134]
	v_fma_f64 v[131:132], v[79:80], v[95:96], -v[97:98]
	ds_load_b128 v[79:82], v1 offset:784
	s_wait_loadcnt_dscnt 0x901
	v_mul_f64_e32 v[127:128], v[123:124], v[101:102]
	v_mul_f64_e32 v[101:102], v[125:126], v[101:102]
	scratch_load_b128 v[95:98], off, off offset:432
	s_wait_loadcnt_dscnt 0x900
	v_mul_f64_e32 v[133:134], v[79:80], v[109:110]
	v_mul_f64_e32 v[109:110], v[81:82], v[109:110]
	v_add_f64_e32 v[6:7], v[6:7], v[117:118]
	v_add_f64_e32 v[2:3], v[2:3], v[115:116]
	ds_load_b128 v[115:118], v1 offset:800
	v_fma_f64 v[125:126], v[125:126], v[99:100], v[127:128]
	v_fma_f64 v[123:124], v[123:124], v[99:100], -v[101:102]
	scratch_load_b128 v[99:102], off, off offset:448
	v_add_f64_e32 v[6:7], v[6:7], v[129:130]
	v_add_f64_e32 v[2:3], v[2:3], v[131:132]
	v_fma_f64 v[129:130], v[81:82], v[107:108], v[133:134]
	v_fma_f64 v[131:132], v[79:80], v[107:108], -v[109:110]
	ds_load_b128 v[79:82], v1 offset:816
	scratch_load_b128 v[107:110], off, off offset:464
	s_wait_loadcnt_dscnt 0x901
	v_mul_f64_e32 v[127:128], v[115:116], v[10:11]
	v_mul_f64_e32 v[10:11], v[117:118], v[10:11]
	v_add_f64_e32 v[6:7], v[6:7], v[125:126]
	v_add_f64_e32 v[2:3], v[2:3], v[123:124]
	ds_load_b128 v[123:126], v1 offset:832
	v_fma_f64 v[117:118], v[117:118], v[8:9], v[127:128]
	v_fma_f64 v[10:11], v[115:116], v[8:9], -v[10:11]
	s_wait_loadcnt_dscnt 0x801
	v_mul_f64_e32 v[133:134], v[79:80], v[121:122]
	v_mul_f64_e32 v[121:122], v[81:82], v[121:122]
	v_add_f64_e32 v[115:116], v[6:7], v[129:130]
	v_add_f64_e32 v[2:3], v[2:3], v[131:132]
	scratch_load_b128 v[6:9], off, off offset:480
	v_fma_f64 v[81:82], v[81:82], v[119:120], v[133:134]
	v_fma_f64 v[131:132], v[79:80], v[119:120], -v[121:122]
	ds_load_b128 v[119:122], v1 offset:864
	s_wait_loadcnt_dscnt 0x801
	v_mul_f64_e32 v[127:128], v[123:124], v[77:78]
	v_mul_f64_e32 v[129:130], v[125:126], v[77:78]
	ds_load_b128 v[77:80], v1 offset:848
	v_add_f64_e32 v[2:3], v[2:3], v[10:11]
	v_add_f64_e32 v[10:11], v[115:116], v[117:118]
	scratch_load_b128 v[115:118], off, off offset:496
	s_wait_loadcnt_dscnt 0x800
	v_mul_f64_e32 v[133:134], v[77:78], v[105:106]
	v_mul_f64_e32 v[105:106], v[79:80], v[105:106]
	v_fma_f64 v[125:126], v[125:126], v[75:76], v[127:128]
	v_fma_f64 v[75:76], v[123:124], v[75:76], -v[129:130]
	v_add_f64_e32 v[2:3], v[2:3], v[131:132]
	v_add_f64_e32 v[10:11], v[10:11], v[81:82]
	s_wait_loadcnt 0x7
	v_mul_f64_e32 v[123:124], v[119:120], v[85:86]
	v_mul_f64_e32 v[85:86], v[121:122], v[85:86]
	v_fma_f64 v[127:128], v[79:80], v[103:104], v[133:134]
	v_fma_f64 v[103:104], v[77:78], v[103:104], -v[105:106]
	v_add_f64_e32 v[2:3], v[2:3], v[75:76]
	v_add_f64_e32 v[10:11], v[10:11], v[125:126]
	ds_load_b128 v[75:78], v1 offset:880
	ds_load_b128 v[79:82], v1 offset:896
	v_fma_f64 v[121:122], v[121:122], v[83:84], v[123:124]
	v_fma_f64 v[83:84], v[119:120], v[83:84], -v[85:86]
	s_wait_loadcnt_dscnt 0x601
	v_mul_f64_e32 v[105:106], v[75:76], v[89:90]
	v_mul_f64_e32 v[89:90], v[77:78], v[89:90]
	v_add_f64_e32 v[2:3], v[2:3], v[103:104]
	v_add_f64_e32 v[10:11], v[10:11], v[127:128]
	s_wait_loadcnt_dscnt 0x500
	v_mul_f64_e32 v[103:104], v[79:80], v[93:94]
	v_mul_f64_e32 v[93:94], v[81:82], v[93:94]
	v_fma_f64 v[105:106], v[77:78], v[87:88], v[105:106]
	v_fma_f64 v[87:88], v[75:76], v[87:88], -v[89:90]
	v_add_f64_e32 v[2:3], v[2:3], v[83:84]
	v_add_f64_e32 v[10:11], v[10:11], v[121:122]
	ds_load_b128 v[75:78], v1 offset:912
	ds_load_b128 v[83:86], v1 offset:928
	v_fma_f64 v[81:82], v[81:82], v[91:92], v[103:104]
	v_fma_f64 v[79:80], v[79:80], v[91:92], -v[93:94]
	s_wait_loadcnt_dscnt 0x401
	v_mul_f64_e32 v[89:90], v[75:76], v[97:98]
	v_mul_f64_e32 v[97:98], v[77:78], v[97:98]
	s_wait_loadcnt_dscnt 0x300
	v_mul_f64_e32 v[91:92], v[85:86], v[101:102]
	v_add_f64_e32 v[2:3], v[2:3], v[87:88]
	v_add_f64_e32 v[10:11], v[10:11], v[105:106]
	v_mul_f64_e32 v[87:88], v[83:84], v[101:102]
	v_fma_f64 v[89:90], v[77:78], v[95:96], v[89:90]
	v_fma_f64 v[93:94], v[75:76], v[95:96], -v[97:98]
	v_fma_f64 v[83:84], v[83:84], v[99:100], -v[91:92]
	v_add_f64_e32 v[2:3], v[2:3], v[79:80]
	v_add_f64_e32 v[10:11], v[10:11], v[81:82]
	ds_load_b128 v[75:78], v1 offset:944
	ds_load_b128 v[79:82], v1 offset:960
	v_fma_f64 v[85:86], v[85:86], v[99:100], v[87:88]
	s_wait_loadcnt_dscnt 0x201
	v_mul_f64_e32 v[95:96], v[75:76], v[109:110]
	v_mul_f64_e32 v[97:98], v[77:78], v[109:110]
	v_add_f64_e32 v[2:3], v[2:3], v[93:94]
	v_add_f64_e32 v[10:11], v[10:11], v[89:90]
	s_wait_loadcnt_dscnt 0x100
	v_mul_f64_e32 v[87:88], v[79:80], v[8:9]
	v_mul_f64_e32 v[89:90], v[81:82], v[8:9]
	v_fma_f64 v[77:78], v[77:78], v[107:108], v[95:96]
	v_fma_f64 v[75:76], v[75:76], v[107:108], -v[97:98]
	v_add_f64_e32 v[2:3], v[2:3], v[83:84]
	v_add_f64_e32 v[83:84], v[10:11], v[85:86]
	ds_load_b128 v[8:11], v1 offset:976
	v_fma_f64 v[81:82], v[81:82], v[6:7], v[87:88]
	v_fma_f64 v[6:7], v[79:80], v[6:7], -v[89:90]
	s_wait_loadcnt_dscnt 0x0
	v_mul_f64_e32 v[85:86], v[8:9], v[117:118]
	v_mul_f64_e32 v[91:92], v[10:11], v[117:118]
	v_add_f64_e32 v[2:3], v[2:3], v[75:76]
	v_add_f64_e32 v[75:76], v[83:84], v[77:78]
	s_delay_alu instid0(VALU_DEP_4) | instskip(NEXT) | instid1(VALU_DEP_4)
	v_fma_f64 v[10:11], v[10:11], v[115:116], v[85:86]
	v_fma_f64 v[8:9], v[8:9], v[115:116], -v[91:92]
	s_delay_alu instid0(VALU_DEP_4) | instskip(NEXT) | instid1(VALU_DEP_4)
	v_add_f64_e32 v[2:3], v[2:3], v[6:7]
	v_add_f64_e32 v[6:7], v[75:76], v[81:82]
	s_delay_alu instid0(VALU_DEP_2) | instskip(NEXT) | instid1(VALU_DEP_2)
	v_add_f64_e32 v[2:3], v[2:3], v[8:9]
	v_add_f64_e32 v[8:9], v[6:7], v[10:11]
	s_delay_alu instid0(VALU_DEP_2) | instskip(NEXT) | instid1(VALU_DEP_2)
	v_add_f64_e64 v[6:7], v[111:112], -v[2:3]
	v_add_f64_e64 v[8:9], v[113:114], -v[8:9]
	scratch_store_b128 off, v[6:9], off offset:160
	v_cmpx_lt_u32_e32 8, v0
	s_cbranch_execz .LBB30_183
; %bb.182:
	scratch_load_b128 v[6:9], off, s25
	v_dual_mov_b32 v2, v1 :: v_dual_mov_b32 v3, v1
	v_mov_b32_e32 v4, v1
	scratch_store_b128 off, v[1:4], off offset:144
	s_wait_loadcnt 0x0
	ds_store_b128 v5, v[6:9]
.LBB30_183:
	s_wait_alu 0xfffe
	s_or_b32 exec_lo, exec_lo, s0
	s_wait_storecnt_dscnt 0x0
	s_barrier_signal -1
	s_barrier_wait -1
	global_inv scope:SCOPE_SE
	s_clause 0x8
	scratch_load_b128 v[6:9], off, off offset:160
	scratch_load_b128 v[75:78], off, off offset:176
	;; [unrolled: 1-line block ×9, first 2 shown]
	ds_load_b128 v[107:110], v1 offset:640
	ds_load_b128 v[111:114], v1 offset:656
	scratch_load_b128 v[115:118], off, off offset:144
	s_mov_b32 s0, exec_lo
	ds_load_b128 v[123:126], v1 offset:688
	s_wait_loadcnt_dscnt 0x902
	v_mul_f64_e32 v[2:3], v[109:110], v[8:9]
	v_mul_f64_e32 v[119:120], v[107:108], v[8:9]
	scratch_load_b128 v[8:11], off, off offset:304
	s_wait_loadcnt_dscnt 0x901
	v_mul_f64_e32 v[127:128], v[111:112], v[77:78]
	v_mul_f64_e32 v[77:78], v[113:114], v[77:78]
	v_fma_f64 v[2:3], v[107:108], v[6:7], -v[2:3]
	v_fma_f64 v[6:7], v[109:110], v[6:7], v[119:120]
	ds_load_b128 v[107:110], v1 offset:672
	scratch_load_b128 v[119:122], off, off offset:320
	v_fma_f64 v[113:114], v[113:114], v[75:76], v[127:128]
	v_fma_f64 v[111:112], v[111:112], v[75:76], -v[77:78]
	scratch_load_b128 v[75:78], off, off offset:336
	s_wait_loadcnt_dscnt 0x901
	v_mul_f64_e32 v[127:128], v[123:124], v[85:86]
	v_mul_f64_e32 v[85:86], v[125:126], v[85:86]
	s_wait_dscnt 0x0
	v_mul_f64_e32 v[129:130], v[107:108], v[81:82]
	v_mul_f64_e32 v[81:82], v[109:110], v[81:82]
	v_add_f64_e32 v[2:3], 0, v[2:3]
	v_add_f64_e32 v[6:7], 0, v[6:7]
	v_fma_f64 v[125:126], v[125:126], v[83:84], v[127:128]
	v_fma_f64 v[123:124], v[123:124], v[83:84], -v[85:86]
	scratch_load_b128 v[83:86], off, off offset:368
	v_fma_f64 v[129:130], v[109:110], v[79:80], v[129:130]
	v_fma_f64 v[131:132], v[107:108], v[79:80], -v[81:82]
	ds_load_b128 v[79:82], v1 offset:704
	scratch_load_b128 v[107:110], off, off offset:352
	v_add_f64_e32 v[2:3], v[2:3], v[111:112]
	v_add_f64_e32 v[6:7], v[6:7], v[113:114]
	ds_load_b128 v[111:114], v1 offset:720
	s_wait_loadcnt_dscnt 0xa01
	v_mul_f64_e32 v[133:134], v[79:80], v[89:90]
	v_mul_f64_e32 v[89:90], v[81:82], v[89:90]
	s_wait_loadcnt_dscnt 0x900
	v_mul_f64_e32 v[127:128], v[111:112], v[93:94]
	v_mul_f64_e32 v[93:94], v[113:114], v[93:94]
	v_add_f64_e32 v[2:3], v[2:3], v[131:132]
	v_add_f64_e32 v[6:7], v[6:7], v[129:130]
	v_fma_f64 v[129:130], v[81:82], v[87:88], v[133:134]
	v_fma_f64 v[131:132], v[79:80], v[87:88], -v[89:90]
	ds_load_b128 v[79:82], v1 offset:736
	scratch_load_b128 v[87:90], off, off offset:384
	v_fma_f64 v[113:114], v[113:114], v[91:92], v[127:128]
	v_fma_f64 v[111:112], v[111:112], v[91:92], -v[93:94]
	scratch_load_b128 v[91:94], off, off offset:400
	v_add_f64_e32 v[2:3], v[2:3], v[123:124]
	v_add_f64_e32 v[6:7], v[6:7], v[125:126]
	ds_load_b128 v[123:126], v1 offset:752
	s_wait_loadcnt_dscnt 0xa01
	v_mul_f64_e32 v[133:134], v[79:80], v[97:98]
	v_mul_f64_e32 v[97:98], v[81:82], v[97:98]
	s_wait_loadcnt_dscnt 0x900
	v_mul_f64_e32 v[127:128], v[123:124], v[101:102]
	v_mul_f64_e32 v[101:102], v[125:126], v[101:102]
	v_add_f64_e32 v[2:3], v[2:3], v[131:132]
	v_add_f64_e32 v[6:7], v[6:7], v[129:130]
	v_fma_f64 v[129:130], v[81:82], v[95:96], v[133:134]
	v_fma_f64 v[131:132], v[79:80], v[95:96], -v[97:98]
	ds_load_b128 v[79:82], v1 offset:768
	scratch_load_b128 v[95:98], off, off offset:416
	v_fma_f64 v[125:126], v[125:126], v[99:100], v[127:128]
	v_fma_f64 v[123:124], v[123:124], v[99:100], -v[101:102]
	scratch_load_b128 v[99:102], off, off offset:432
	v_add_f64_e32 v[2:3], v[2:3], v[111:112]
	v_add_f64_e32 v[6:7], v[6:7], v[113:114]
	ds_load_b128 v[111:114], v1 offset:784
	s_wait_loadcnt_dscnt 0xa01
	v_mul_f64_e32 v[133:134], v[79:80], v[105:106]
	v_mul_f64_e32 v[105:106], v[81:82], v[105:106]
	v_add_f64_e32 v[2:3], v[2:3], v[131:132]
	v_add_f64_e32 v[6:7], v[6:7], v[129:130]
	s_delay_alu instid0(VALU_DEP_4) | instskip(NEXT) | instid1(VALU_DEP_4)
	v_fma_f64 v[129:130], v[81:82], v[103:104], v[133:134]
	v_fma_f64 v[131:132], v[79:80], v[103:104], -v[105:106]
	ds_load_b128 v[79:82], v1 offset:800
	scratch_load_b128 v[103:106], off, off offset:448
	s_wait_loadcnt_dscnt 0x901
	v_mul_f64_e32 v[127:128], v[111:112], v[10:11]
	v_mul_f64_e32 v[10:11], v[113:114], v[10:11]
	v_add_f64_e32 v[2:3], v[2:3], v[123:124]
	v_add_f64_e32 v[6:7], v[6:7], v[125:126]
	ds_load_b128 v[123:126], v1 offset:816
	v_fma_f64 v[113:114], v[113:114], v[8:9], v[127:128]
	s_wait_loadcnt_dscnt 0x801
	v_mul_f64_e32 v[133:134], v[79:80], v[121:122]
	v_mul_f64_e32 v[121:122], v[81:82], v[121:122]
	v_fma_f64 v[10:11], v[111:112], v[8:9], -v[10:11]
	s_wait_loadcnt_dscnt 0x700
	v_mul_f64_e32 v[127:128], v[123:124], v[77:78]
	v_add_f64_e32 v[2:3], v[2:3], v[131:132]
	v_add_f64_e32 v[111:112], v[6:7], v[129:130]
	scratch_load_b128 v[6:9], off, off offset:464
	v_mul_f64_e32 v[129:130], v[125:126], v[77:78]
	v_fma_f64 v[81:82], v[81:82], v[119:120], v[133:134]
	v_fma_f64 v[131:132], v[79:80], v[119:120], -v[121:122]
	ds_load_b128 v[77:80], v1 offset:832
	ds_load_b128 v[119:122], v1 offset:848
	v_fma_f64 v[127:128], v[125:126], v[75:76], v[127:128]
	v_add_f64_e32 v[2:3], v[2:3], v[10:11]
	v_add_f64_e32 v[10:11], v[111:112], v[113:114]
	scratch_load_b128 v[111:114], off, off offset:480
	s_wait_loadcnt_dscnt 0x701
	v_mul_f64_e32 v[133:134], v[77:78], v[109:110]
	v_mul_f64_e32 v[109:110], v[79:80], v[109:110]
	v_fma_f64 v[75:76], v[123:124], v[75:76], -v[129:130]
	scratch_load_b128 v[123:126], off, off offset:496
	s_wait_dscnt 0x0
	v_mul_f64_e32 v[129:130], v[119:120], v[85:86]
	v_mul_f64_e32 v[85:86], v[121:122], v[85:86]
	v_add_f64_e32 v[2:3], v[2:3], v[131:132]
	v_add_f64_e32 v[10:11], v[10:11], v[81:82]
	v_fma_f64 v[131:132], v[79:80], v[107:108], v[133:134]
	v_fma_f64 v[107:108], v[77:78], v[107:108], -v[109:110]
	v_fma_f64 v[121:122], v[121:122], v[83:84], v[129:130]
	v_fma_f64 v[83:84], v[119:120], v[83:84], -v[85:86]
	v_add_f64_e32 v[2:3], v[2:3], v[75:76]
	v_add_f64_e32 v[10:11], v[10:11], v[127:128]
	ds_load_b128 v[75:78], v1 offset:864
	ds_load_b128 v[79:82], v1 offset:880
	s_wait_loadcnt_dscnt 0x701
	v_mul_f64_e32 v[109:110], v[75:76], v[89:90]
	v_mul_f64_e32 v[89:90], v[77:78], v[89:90]
	v_add_f64_e32 v[2:3], v[2:3], v[107:108]
	v_add_f64_e32 v[10:11], v[10:11], v[131:132]
	s_wait_loadcnt_dscnt 0x600
	v_mul_f64_e32 v[107:108], v[79:80], v[93:94]
	v_mul_f64_e32 v[93:94], v[81:82], v[93:94]
	v_fma_f64 v[109:110], v[77:78], v[87:88], v[109:110]
	v_fma_f64 v[87:88], v[75:76], v[87:88], -v[89:90]
	v_add_f64_e32 v[2:3], v[2:3], v[83:84]
	v_add_f64_e32 v[10:11], v[10:11], v[121:122]
	ds_load_b128 v[75:78], v1 offset:896
	ds_load_b128 v[83:86], v1 offset:912
	v_fma_f64 v[81:82], v[81:82], v[91:92], v[107:108]
	v_fma_f64 v[79:80], v[79:80], v[91:92], -v[93:94]
	s_wait_loadcnt_dscnt 0x501
	v_mul_f64_e32 v[89:90], v[75:76], v[97:98]
	v_mul_f64_e32 v[97:98], v[77:78], v[97:98]
	s_wait_loadcnt_dscnt 0x400
	v_mul_f64_e32 v[91:92], v[85:86], v[101:102]
	v_add_f64_e32 v[2:3], v[2:3], v[87:88]
	v_add_f64_e32 v[10:11], v[10:11], v[109:110]
	v_mul_f64_e32 v[87:88], v[83:84], v[101:102]
	v_fma_f64 v[89:90], v[77:78], v[95:96], v[89:90]
	v_fma_f64 v[93:94], v[75:76], v[95:96], -v[97:98]
	v_fma_f64 v[83:84], v[83:84], v[99:100], -v[91:92]
	v_add_f64_e32 v[2:3], v[2:3], v[79:80]
	v_add_f64_e32 v[10:11], v[10:11], v[81:82]
	ds_load_b128 v[75:78], v1 offset:928
	ds_load_b128 v[79:82], v1 offset:944
	v_fma_f64 v[85:86], v[85:86], v[99:100], v[87:88]
	s_wait_loadcnt_dscnt 0x301
	v_mul_f64_e32 v[95:96], v[75:76], v[105:106]
	v_mul_f64_e32 v[97:98], v[77:78], v[105:106]
	v_add_f64_e32 v[2:3], v[2:3], v[93:94]
	v_add_f64_e32 v[10:11], v[10:11], v[89:90]
	s_wait_loadcnt_dscnt 0x200
	v_mul_f64_e32 v[87:88], v[79:80], v[8:9]
	v_mul_f64_e32 v[89:90], v[81:82], v[8:9]
	v_fma_f64 v[77:78], v[77:78], v[103:104], v[95:96]
	v_fma_f64 v[75:76], v[75:76], v[103:104], -v[97:98]
	v_add_f64_e32 v[83:84], v[2:3], v[83:84]
	v_add_f64_e32 v[85:86], v[10:11], v[85:86]
	ds_load_b128 v[8:11], v1 offset:960
	ds_load_b128 v[1:4], v1 offset:976
	v_fma_f64 v[81:82], v[81:82], v[6:7], v[87:88]
	v_fma_f64 v[6:7], v[79:80], v[6:7], -v[89:90]
	s_wait_loadcnt_dscnt 0x101
	v_mul_f64_e32 v[91:92], v[8:9], v[113:114]
	v_mul_f64_e32 v[93:94], v[10:11], v[113:114]
	s_wait_loadcnt_dscnt 0x0
	v_mul_f64_e32 v[79:80], v[1:2], v[125:126]
	v_add_f64_e32 v[75:76], v[83:84], v[75:76]
	v_add_f64_e32 v[77:78], v[85:86], v[77:78]
	v_mul_f64_e32 v[83:84], v[3:4], v[125:126]
	v_fma_f64 v[10:11], v[10:11], v[111:112], v[91:92]
	v_fma_f64 v[8:9], v[8:9], v[111:112], -v[93:94]
	v_fma_f64 v[3:4], v[3:4], v[123:124], v[79:80]
	v_add_f64_e32 v[6:7], v[75:76], v[6:7]
	v_add_f64_e32 v[75:76], v[77:78], v[81:82]
	v_fma_f64 v[1:2], v[1:2], v[123:124], -v[83:84]
	s_delay_alu instid0(VALU_DEP_3) | instskip(NEXT) | instid1(VALU_DEP_3)
	v_add_f64_e32 v[6:7], v[6:7], v[8:9]
	v_add_f64_e32 v[8:9], v[75:76], v[10:11]
	s_delay_alu instid0(VALU_DEP_2) | instskip(NEXT) | instid1(VALU_DEP_2)
	v_add_f64_e32 v[1:2], v[6:7], v[1:2]
	v_add_f64_e32 v[3:4], v[8:9], v[3:4]
	s_delay_alu instid0(VALU_DEP_2) | instskip(NEXT) | instid1(VALU_DEP_2)
	v_add_f64_e64 v[1:2], v[115:116], -v[1:2]
	v_add_f64_e64 v[3:4], v[117:118], -v[3:4]
	scratch_store_b128 off, v[1:4], off offset:144
	v_cmpx_lt_u32_e32 7, v0
	s_cbranch_execz .LBB30_185
; %bb.184:
	scratch_load_b128 v[1:4], off, s28
	v_mov_b32_e32 v6, 0
	s_delay_alu instid0(VALU_DEP_1)
	v_dual_mov_b32 v7, v6 :: v_dual_mov_b32 v8, v6
	v_mov_b32_e32 v9, v6
	scratch_store_b128 off, v[6:9], off offset:128
	s_wait_loadcnt 0x0
	ds_store_b128 v5, v[1:4]
.LBB30_185:
	s_wait_alu 0xfffe
	s_or_b32 exec_lo, exec_lo, s0
	s_wait_storecnt_dscnt 0x0
	s_barrier_signal -1
	s_barrier_wait -1
	global_inv scope:SCOPE_SE
	s_clause 0x7
	scratch_load_b128 v[6:9], off, off offset:144
	scratch_load_b128 v[75:78], off, off offset:160
	;; [unrolled: 1-line block ×8, first 2 shown]
	v_mov_b32_e32 v1, 0
	s_mov_b32 s0, exec_lo
	ds_load_b128 v[103:106], v1 offset:624
	s_clause 0x1
	scratch_load_b128 v[107:110], off, off offset:272
	scratch_load_b128 v[111:114], off, off offset:128
	ds_load_b128 v[115:118], v1 offset:640
	ds_load_b128 v[123:126], v1 offset:672
	s_wait_loadcnt_dscnt 0x902
	v_mul_f64_e32 v[2:3], v[105:106], v[8:9]
	v_mul_f64_e32 v[119:120], v[103:104], v[8:9]
	scratch_load_b128 v[8:11], off, off offset:288
	v_fma_f64 v[2:3], v[103:104], v[6:7], -v[2:3]
	v_fma_f64 v[6:7], v[105:106], v[6:7], v[119:120]
	ds_load_b128 v[103:106], v1 offset:656
	s_wait_loadcnt_dscnt 0x902
	v_mul_f64_e32 v[127:128], v[115:116], v[77:78]
	v_mul_f64_e32 v[77:78], v[117:118], v[77:78]
	scratch_load_b128 v[119:122], off, off offset:304
	s_wait_loadcnt_dscnt 0x900
	v_mul_f64_e32 v[129:130], v[103:104], v[81:82]
	v_mul_f64_e32 v[81:82], v[105:106], v[81:82]
	v_add_f64_e32 v[2:3], 0, v[2:3]
	v_add_f64_e32 v[6:7], 0, v[6:7]
	v_fma_f64 v[117:118], v[117:118], v[75:76], v[127:128]
	v_fma_f64 v[115:116], v[115:116], v[75:76], -v[77:78]
	scratch_load_b128 v[75:78], off, off offset:320
	v_fma_f64 v[129:130], v[105:106], v[79:80], v[129:130]
	v_fma_f64 v[131:132], v[103:104], v[79:80], -v[81:82]
	ds_load_b128 v[79:82], v1 offset:688
	s_wait_loadcnt 0x9
	v_mul_f64_e32 v[127:128], v[123:124], v[85:86]
	v_mul_f64_e32 v[85:86], v[125:126], v[85:86]
	scratch_load_b128 v[103:106], off, off offset:336
	v_add_f64_e32 v[6:7], v[6:7], v[117:118]
	v_add_f64_e32 v[2:3], v[2:3], v[115:116]
	ds_load_b128 v[115:118], v1 offset:704
	s_wait_loadcnt_dscnt 0x901
	v_mul_f64_e32 v[133:134], v[79:80], v[89:90]
	v_mul_f64_e32 v[89:90], v[81:82], v[89:90]
	v_fma_f64 v[125:126], v[125:126], v[83:84], v[127:128]
	v_fma_f64 v[123:124], v[123:124], v[83:84], -v[85:86]
	scratch_load_b128 v[83:86], off, off offset:352
	v_add_f64_e32 v[6:7], v[6:7], v[129:130]
	v_add_f64_e32 v[2:3], v[2:3], v[131:132]
	v_fma_f64 v[129:130], v[81:82], v[87:88], v[133:134]
	v_fma_f64 v[131:132], v[79:80], v[87:88], -v[89:90]
	ds_load_b128 v[79:82], v1 offset:720
	s_wait_loadcnt_dscnt 0x901
	v_mul_f64_e32 v[127:128], v[115:116], v[93:94]
	v_mul_f64_e32 v[93:94], v[117:118], v[93:94]
	scratch_load_b128 v[87:90], off, off offset:368
	s_wait_loadcnt_dscnt 0x900
	v_mul_f64_e32 v[133:134], v[79:80], v[97:98]
	v_mul_f64_e32 v[97:98], v[81:82], v[97:98]
	v_add_f64_e32 v[6:7], v[6:7], v[125:126]
	v_add_f64_e32 v[2:3], v[2:3], v[123:124]
	ds_load_b128 v[123:126], v1 offset:736
	v_fma_f64 v[117:118], v[117:118], v[91:92], v[127:128]
	v_fma_f64 v[115:116], v[115:116], v[91:92], -v[93:94]
	scratch_load_b128 v[91:94], off, off offset:384
	v_add_f64_e32 v[6:7], v[6:7], v[129:130]
	v_add_f64_e32 v[2:3], v[2:3], v[131:132]
	v_fma_f64 v[129:130], v[81:82], v[95:96], v[133:134]
	v_fma_f64 v[131:132], v[79:80], v[95:96], -v[97:98]
	ds_load_b128 v[79:82], v1 offset:752
	s_wait_loadcnt_dscnt 0x901
	v_mul_f64_e32 v[127:128], v[123:124], v[101:102]
	v_mul_f64_e32 v[101:102], v[125:126], v[101:102]
	scratch_load_b128 v[95:98], off, off offset:400
	s_wait_loadcnt_dscnt 0x900
	v_mul_f64_e32 v[133:134], v[79:80], v[109:110]
	v_mul_f64_e32 v[109:110], v[81:82], v[109:110]
	v_add_f64_e32 v[6:7], v[6:7], v[117:118]
	v_add_f64_e32 v[2:3], v[2:3], v[115:116]
	ds_load_b128 v[115:118], v1 offset:768
	v_fma_f64 v[125:126], v[125:126], v[99:100], v[127:128]
	v_fma_f64 v[123:124], v[123:124], v[99:100], -v[101:102]
	scratch_load_b128 v[99:102], off, off offset:416
	v_add_f64_e32 v[6:7], v[6:7], v[129:130]
	v_add_f64_e32 v[2:3], v[2:3], v[131:132]
	v_fma_f64 v[129:130], v[81:82], v[107:108], v[133:134]
	v_fma_f64 v[131:132], v[79:80], v[107:108], -v[109:110]
	ds_load_b128 v[79:82], v1 offset:784
	scratch_load_b128 v[107:110], off, off offset:432
	s_wait_loadcnt_dscnt 0x901
	v_mul_f64_e32 v[127:128], v[115:116], v[10:11]
	v_mul_f64_e32 v[10:11], v[117:118], v[10:11]
	v_add_f64_e32 v[6:7], v[6:7], v[125:126]
	v_add_f64_e32 v[2:3], v[2:3], v[123:124]
	ds_load_b128 v[123:126], v1 offset:800
	v_fma_f64 v[117:118], v[117:118], v[8:9], v[127:128]
	v_fma_f64 v[10:11], v[115:116], v[8:9], -v[10:11]
	s_wait_loadcnt_dscnt 0x801
	v_mul_f64_e32 v[133:134], v[79:80], v[121:122]
	v_mul_f64_e32 v[121:122], v[81:82], v[121:122]
	v_add_f64_e32 v[115:116], v[6:7], v[129:130]
	v_add_f64_e32 v[2:3], v[2:3], v[131:132]
	scratch_load_b128 v[6:9], off, off offset:448
	v_fma_f64 v[81:82], v[81:82], v[119:120], v[133:134]
	v_fma_f64 v[131:132], v[79:80], v[119:120], -v[121:122]
	ds_load_b128 v[119:122], v1 offset:832
	s_wait_loadcnt_dscnt 0x801
	v_mul_f64_e32 v[127:128], v[123:124], v[77:78]
	v_mul_f64_e32 v[129:130], v[125:126], v[77:78]
	ds_load_b128 v[77:80], v1 offset:816
	v_add_f64_e32 v[2:3], v[2:3], v[10:11]
	v_add_f64_e32 v[10:11], v[115:116], v[117:118]
	scratch_load_b128 v[115:118], off, off offset:464
	s_wait_loadcnt_dscnt 0x800
	v_mul_f64_e32 v[133:134], v[77:78], v[105:106]
	v_mul_f64_e32 v[105:106], v[79:80], v[105:106]
	v_fma_f64 v[127:128], v[125:126], v[75:76], v[127:128]
	v_fma_f64 v[75:76], v[123:124], v[75:76], -v[129:130]
	scratch_load_b128 v[123:126], off, off offset:480
	v_add_f64_e32 v[2:3], v[2:3], v[131:132]
	v_add_f64_e32 v[10:11], v[10:11], v[81:82]
	s_wait_loadcnt 0x8
	v_mul_f64_e32 v[129:130], v[119:120], v[85:86]
	v_mul_f64_e32 v[85:86], v[121:122], v[85:86]
	v_fma_f64 v[131:132], v[79:80], v[103:104], v[133:134]
	v_fma_f64 v[133:134], v[77:78], v[103:104], -v[105:106]
	scratch_load_b128 v[79:82], off, off offset:496
	ds_load_b128 v[103:106], v1 offset:864
	v_add_f64_e32 v[2:3], v[2:3], v[75:76]
	v_add_f64_e32 v[10:11], v[10:11], v[127:128]
	ds_load_b128 v[75:78], v1 offset:848
	v_fma_f64 v[121:122], v[121:122], v[83:84], v[129:130]
	v_fma_f64 v[83:84], v[119:120], v[83:84], -v[85:86]
	s_wait_loadcnt_dscnt 0x800
	v_mul_f64_e32 v[127:128], v[75:76], v[89:90]
	v_mul_f64_e32 v[89:90], v[77:78], v[89:90]
	s_wait_loadcnt 0x7
	v_mul_f64_e32 v[119:120], v[103:104], v[93:94]
	v_mul_f64_e32 v[93:94], v[105:106], v[93:94]
	v_add_f64_e32 v[2:3], v[2:3], v[133:134]
	v_add_f64_e32 v[10:11], v[10:11], v[131:132]
	v_fma_f64 v[127:128], v[77:78], v[87:88], v[127:128]
	v_fma_f64 v[87:88], v[75:76], v[87:88], -v[89:90]
	v_fma_f64 v[105:106], v[105:106], v[91:92], v[119:120]
	v_fma_f64 v[91:92], v[103:104], v[91:92], -v[93:94]
	v_add_f64_e32 v[2:3], v[2:3], v[83:84]
	v_add_f64_e32 v[10:11], v[10:11], v[121:122]
	ds_load_b128 v[75:78], v1 offset:880
	ds_load_b128 v[83:86], v1 offset:896
	s_wait_loadcnt_dscnt 0x601
	v_mul_f64_e32 v[89:90], v[75:76], v[97:98]
	v_mul_f64_e32 v[97:98], v[77:78], v[97:98]
	s_wait_loadcnt_dscnt 0x500
	v_mul_f64_e32 v[93:94], v[83:84], v[101:102]
	v_mul_f64_e32 v[101:102], v[85:86], v[101:102]
	v_add_f64_e32 v[2:3], v[2:3], v[87:88]
	v_add_f64_e32 v[10:11], v[10:11], v[127:128]
	v_fma_f64 v[103:104], v[77:78], v[95:96], v[89:90]
	v_fma_f64 v[95:96], v[75:76], v[95:96], -v[97:98]
	ds_load_b128 v[75:78], v1 offset:912
	ds_load_b128 v[87:90], v1 offset:928
	v_fma_f64 v[85:86], v[85:86], v[99:100], v[93:94]
	v_fma_f64 v[83:84], v[83:84], v[99:100], -v[101:102]
	v_add_f64_e32 v[2:3], v[2:3], v[91:92]
	v_add_f64_e32 v[10:11], v[10:11], v[105:106]
	s_wait_loadcnt_dscnt 0x401
	v_mul_f64_e32 v[91:92], v[75:76], v[109:110]
	v_mul_f64_e32 v[97:98], v[77:78], v[109:110]
	s_delay_alu instid0(VALU_DEP_4) | instskip(NEXT) | instid1(VALU_DEP_4)
	v_add_f64_e32 v[2:3], v[2:3], v[95:96]
	v_add_f64_e32 v[10:11], v[10:11], v[103:104]
	s_delay_alu instid0(VALU_DEP_4) | instskip(NEXT) | instid1(VALU_DEP_4)
	v_fma_f64 v[91:92], v[77:78], v[107:108], v[91:92]
	v_fma_f64 v[97:98], v[75:76], v[107:108], -v[97:98]
	s_wait_loadcnt_dscnt 0x300
	v_mul_f64_e32 v[93:94], v[87:88], v[8:9]
	v_mul_f64_e32 v[95:96], v[89:90], v[8:9]
	v_add_f64_e32 v[2:3], v[2:3], v[83:84]
	v_add_f64_e32 v[83:84], v[10:11], v[85:86]
	ds_load_b128 v[8:11], v1 offset:944
	ds_load_b128 v[75:78], v1 offset:960
	v_fma_f64 v[89:90], v[89:90], v[6:7], v[93:94]
	v_fma_f64 v[6:7], v[87:88], v[6:7], -v[95:96]
	s_wait_loadcnt_dscnt 0x201
	v_mul_f64_e32 v[85:86], v[8:9], v[117:118]
	v_mul_f64_e32 v[99:100], v[10:11], v[117:118]
	s_wait_loadcnt_dscnt 0x100
	v_mul_f64_e32 v[87:88], v[75:76], v[125:126]
	v_add_f64_e32 v[2:3], v[2:3], v[97:98]
	v_add_f64_e32 v[83:84], v[83:84], v[91:92]
	v_mul_f64_e32 v[91:92], v[77:78], v[125:126]
	v_fma_f64 v[10:11], v[10:11], v[115:116], v[85:86]
	v_fma_f64 v[85:86], v[8:9], v[115:116], -v[99:100]
	v_fma_f64 v[77:78], v[77:78], v[123:124], v[87:88]
	v_add_f64_e32 v[2:3], v[2:3], v[6:7]
	v_add_f64_e32 v[83:84], v[83:84], v[89:90]
	ds_load_b128 v[6:9], v1 offset:976
	v_fma_f64 v[75:76], v[75:76], v[123:124], -v[91:92]
	s_wait_loadcnt_dscnt 0x0
	v_mul_f64_e32 v[89:90], v[6:7], v[81:82]
	v_mul_f64_e32 v[81:82], v[8:9], v[81:82]
	v_add_f64_e32 v[2:3], v[2:3], v[85:86]
	v_add_f64_e32 v[10:11], v[83:84], v[10:11]
	s_delay_alu instid0(VALU_DEP_4) | instskip(NEXT) | instid1(VALU_DEP_4)
	v_fma_f64 v[8:9], v[8:9], v[79:80], v[89:90]
	v_fma_f64 v[6:7], v[6:7], v[79:80], -v[81:82]
	s_delay_alu instid0(VALU_DEP_4) | instskip(NEXT) | instid1(VALU_DEP_4)
	v_add_f64_e32 v[2:3], v[2:3], v[75:76]
	v_add_f64_e32 v[10:11], v[10:11], v[77:78]
	s_delay_alu instid0(VALU_DEP_2) | instskip(NEXT) | instid1(VALU_DEP_2)
	v_add_f64_e32 v[2:3], v[2:3], v[6:7]
	v_add_f64_e32 v[8:9], v[10:11], v[8:9]
	s_delay_alu instid0(VALU_DEP_2) | instskip(NEXT) | instid1(VALU_DEP_2)
	v_add_f64_e64 v[6:7], v[111:112], -v[2:3]
	v_add_f64_e64 v[8:9], v[113:114], -v[8:9]
	scratch_store_b128 off, v[6:9], off offset:128
	v_cmpx_lt_u32_e32 6, v0
	s_cbranch_execz .LBB30_187
; %bb.186:
	scratch_load_b128 v[6:9], off, s34
	v_dual_mov_b32 v2, v1 :: v_dual_mov_b32 v3, v1
	v_mov_b32_e32 v4, v1
	scratch_store_b128 off, v[1:4], off offset:112
	s_wait_loadcnt 0x0
	ds_store_b128 v5, v[6:9]
.LBB30_187:
	s_wait_alu 0xfffe
	s_or_b32 exec_lo, exec_lo, s0
	s_wait_storecnt_dscnt 0x0
	s_barrier_signal -1
	s_barrier_wait -1
	global_inv scope:SCOPE_SE
	s_clause 0x8
	scratch_load_b128 v[6:9], off, off offset:128
	scratch_load_b128 v[75:78], off, off offset:144
	;; [unrolled: 1-line block ×9, first 2 shown]
	ds_load_b128 v[107:110], v1 offset:608
	ds_load_b128 v[111:114], v1 offset:624
	scratch_load_b128 v[115:118], off, off offset:112
	s_mov_b32 s0, exec_lo
	ds_load_b128 v[123:126], v1 offset:656
	s_wait_loadcnt_dscnt 0x902
	v_mul_f64_e32 v[2:3], v[109:110], v[8:9]
	v_mul_f64_e32 v[119:120], v[107:108], v[8:9]
	scratch_load_b128 v[8:11], off, off offset:272
	s_wait_loadcnt_dscnt 0x901
	v_mul_f64_e32 v[127:128], v[111:112], v[77:78]
	v_mul_f64_e32 v[77:78], v[113:114], v[77:78]
	v_fma_f64 v[2:3], v[107:108], v[6:7], -v[2:3]
	v_fma_f64 v[6:7], v[109:110], v[6:7], v[119:120]
	ds_load_b128 v[107:110], v1 offset:640
	scratch_load_b128 v[119:122], off, off offset:288
	v_fma_f64 v[113:114], v[113:114], v[75:76], v[127:128]
	v_fma_f64 v[111:112], v[111:112], v[75:76], -v[77:78]
	scratch_load_b128 v[75:78], off, off offset:304
	s_wait_loadcnt_dscnt 0x901
	v_mul_f64_e32 v[127:128], v[123:124], v[85:86]
	v_mul_f64_e32 v[85:86], v[125:126], v[85:86]
	s_wait_dscnt 0x0
	v_mul_f64_e32 v[129:130], v[107:108], v[81:82]
	v_mul_f64_e32 v[81:82], v[109:110], v[81:82]
	v_add_f64_e32 v[2:3], 0, v[2:3]
	v_add_f64_e32 v[6:7], 0, v[6:7]
	v_fma_f64 v[125:126], v[125:126], v[83:84], v[127:128]
	v_fma_f64 v[123:124], v[123:124], v[83:84], -v[85:86]
	scratch_load_b128 v[83:86], off, off offset:336
	v_fma_f64 v[129:130], v[109:110], v[79:80], v[129:130]
	v_fma_f64 v[131:132], v[107:108], v[79:80], -v[81:82]
	ds_load_b128 v[79:82], v1 offset:672
	scratch_load_b128 v[107:110], off, off offset:320
	v_add_f64_e32 v[2:3], v[2:3], v[111:112]
	v_add_f64_e32 v[6:7], v[6:7], v[113:114]
	ds_load_b128 v[111:114], v1 offset:688
	s_wait_loadcnt_dscnt 0xa01
	v_mul_f64_e32 v[133:134], v[79:80], v[89:90]
	v_mul_f64_e32 v[89:90], v[81:82], v[89:90]
	s_wait_loadcnt_dscnt 0x900
	v_mul_f64_e32 v[127:128], v[111:112], v[93:94]
	v_mul_f64_e32 v[93:94], v[113:114], v[93:94]
	v_add_f64_e32 v[2:3], v[2:3], v[131:132]
	v_add_f64_e32 v[6:7], v[6:7], v[129:130]
	v_fma_f64 v[129:130], v[81:82], v[87:88], v[133:134]
	v_fma_f64 v[131:132], v[79:80], v[87:88], -v[89:90]
	ds_load_b128 v[79:82], v1 offset:704
	scratch_load_b128 v[87:90], off, off offset:352
	v_fma_f64 v[113:114], v[113:114], v[91:92], v[127:128]
	v_fma_f64 v[111:112], v[111:112], v[91:92], -v[93:94]
	scratch_load_b128 v[91:94], off, off offset:368
	v_add_f64_e32 v[2:3], v[2:3], v[123:124]
	v_add_f64_e32 v[6:7], v[6:7], v[125:126]
	ds_load_b128 v[123:126], v1 offset:720
	s_wait_loadcnt_dscnt 0xa01
	v_mul_f64_e32 v[133:134], v[79:80], v[97:98]
	v_mul_f64_e32 v[97:98], v[81:82], v[97:98]
	s_wait_loadcnt_dscnt 0x900
	v_mul_f64_e32 v[127:128], v[123:124], v[101:102]
	v_mul_f64_e32 v[101:102], v[125:126], v[101:102]
	v_add_f64_e32 v[2:3], v[2:3], v[131:132]
	v_add_f64_e32 v[6:7], v[6:7], v[129:130]
	v_fma_f64 v[129:130], v[81:82], v[95:96], v[133:134]
	v_fma_f64 v[131:132], v[79:80], v[95:96], -v[97:98]
	ds_load_b128 v[79:82], v1 offset:736
	scratch_load_b128 v[95:98], off, off offset:384
	v_fma_f64 v[125:126], v[125:126], v[99:100], v[127:128]
	v_fma_f64 v[123:124], v[123:124], v[99:100], -v[101:102]
	scratch_load_b128 v[99:102], off, off offset:400
	v_add_f64_e32 v[2:3], v[2:3], v[111:112]
	v_add_f64_e32 v[6:7], v[6:7], v[113:114]
	ds_load_b128 v[111:114], v1 offset:752
	s_wait_loadcnt_dscnt 0xa01
	v_mul_f64_e32 v[133:134], v[79:80], v[105:106]
	v_mul_f64_e32 v[105:106], v[81:82], v[105:106]
	v_add_f64_e32 v[2:3], v[2:3], v[131:132]
	v_add_f64_e32 v[6:7], v[6:7], v[129:130]
	s_delay_alu instid0(VALU_DEP_4) | instskip(NEXT) | instid1(VALU_DEP_4)
	v_fma_f64 v[129:130], v[81:82], v[103:104], v[133:134]
	v_fma_f64 v[131:132], v[79:80], v[103:104], -v[105:106]
	ds_load_b128 v[79:82], v1 offset:768
	scratch_load_b128 v[103:106], off, off offset:416
	s_wait_loadcnt_dscnt 0x901
	v_mul_f64_e32 v[127:128], v[111:112], v[10:11]
	v_mul_f64_e32 v[10:11], v[113:114], v[10:11]
	v_add_f64_e32 v[2:3], v[2:3], v[123:124]
	v_add_f64_e32 v[6:7], v[6:7], v[125:126]
	ds_load_b128 v[123:126], v1 offset:784
	v_fma_f64 v[113:114], v[113:114], v[8:9], v[127:128]
	s_wait_loadcnt_dscnt 0x801
	v_mul_f64_e32 v[133:134], v[79:80], v[121:122]
	v_mul_f64_e32 v[121:122], v[81:82], v[121:122]
	v_fma_f64 v[10:11], v[111:112], v[8:9], -v[10:11]
	s_wait_loadcnt_dscnt 0x700
	v_mul_f64_e32 v[127:128], v[123:124], v[77:78]
	v_add_f64_e32 v[2:3], v[2:3], v[131:132]
	v_add_f64_e32 v[111:112], v[6:7], v[129:130]
	scratch_load_b128 v[6:9], off, off offset:432
	v_mul_f64_e32 v[129:130], v[125:126], v[77:78]
	v_fma_f64 v[81:82], v[81:82], v[119:120], v[133:134]
	v_fma_f64 v[131:132], v[79:80], v[119:120], -v[121:122]
	ds_load_b128 v[77:80], v1 offset:800
	ds_load_b128 v[119:122], v1 offset:816
	v_fma_f64 v[127:128], v[125:126], v[75:76], v[127:128]
	v_add_f64_e32 v[2:3], v[2:3], v[10:11]
	v_add_f64_e32 v[10:11], v[111:112], v[113:114]
	scratch_load_b128 v[111:114], off, off offset:448
	s_wait_loadcnt_dscnt 0x701
	v_mul_f64_e32 v[133:134], v[77:78], v[109:110]
	v_mul_f64_e32 v[109:110], v[79:80], v[109:110]
	v_fma_f64 v[75:76], v[123:124], v[75:76], -v[129:130]
	scratch_load_b128 v[123:126], off, off offset:464
	s_wait_dscnt 0x0
	v_mul_f64_e32 v[129:130], v[119:120], v[85:86]
	v_mul_f64_e32 v[85:86], v[121:122], v[85:86]
	v_add_f64_e32 v[2:3], v[2:3], v[131:132]
	v_add_f64_e32 v[10:11], v[10:11], v[81:82]
	v_fma_f64 v[131:132], v[79:80], v[107:108], v[133:134]
	v_fma_f64 v[133:134], v[77:78], v[107:108], -v[109:110]
	scratch_load_b128 v[79:82], off, off offset:480
	ds_load_b128 v[107:110], v1 offset:848
	v_fma_f64 v[121:122], v[121:122], v[83:84], v[129:130]
	v_fma_f64 v[119:120], v[119:120], v[83:84], -v[85:86]
	scratch_load_b128 v[83:86], off, off offset:496
	v_add_f64_e32 v[2:3], v[2:3], v[75:76]
	v_add_f64_e32 v[10:11], v[10:11], v[127:128]
	ds_load_b128 v[75:78], v1 offset:832
	s_wait_loadcnt_dscnt 0x801
	v_mul_f64_e32 v[129:130], v[107:108], v[93:94]
	v_mul_f64_e32 v[93:94], v[109:110], v[93:94]
	s_wait_dscnt 0x0
	v_mul_f64_e32 v[127:128], v[75:76], v[89:90]
	v_mul_f64_e32 v[89:90], v[77:78], v[89:90]
	v_add_f64_e32 v[2:3], v[2:3], v[133:134]
	v_add_f64_e32 v[10:11], v[10:11], v[131:132]
	v_fma_f64 v[109:110], v[109:110], v[91:92], v[129:130]
	v_fma_f64 v[91:92], v[107:108], v[91:92], -v[93:94]
	v_fma_f64 v[127:128], v[77:78], v[87:88], v[127:128]
	v_fma_f64 v[131:132], v[75:76], v[87:88], -v[89:90]
	ds_load_b128 v[75:78], v1 offset:864
	ds_load_b128 v[87:90], v1 offset:880
	v_add_f64_e32 v[2:3], v[2:3], v[119:120]
	v_add_f64_e32 v[10:11], v[10:11], v[121:122]
	s_wait_loadcnt_dscnt 0x701
	v_mul_f64_e32 v[119:120], v[75:76], v[97:98]
	v_mul_f64_e32 v[97:98], v[77:78], v[97:98]
	s_wait_loadcnt_dscnt 0x600
	v_mul_f64_e32 v[107:108], v[87:88], v[101:102]
	v_mul_f64_e32 v[101:102], v[89:90], v[101:102]
	v_add_f64_e32 v[2:3], v[2:3], v[131:132]
	v_add_f64_e32 v[10:11], v[10:11], v[127:128]
	v_fma_f64 v[119:120], v[77:78], v[95:96], v[119:120]
	v_fma_f64 v[95:96], v[75:76], v[95:96], -v[97:98]
	v_fma_f64 v[89:90], v[89:90], v[99:100], v[107:108]
	v_fma_f64 v[87:88], v[87:88], v[99:100], -v[101:102]
	v_add_f64_e32 v[2:3], v[2:3], v[91:92]
	v_add_f64_e32 v[10:11], v[10:11], v[109:110]
	ds_load_b128 v[75:78], v1 offset:896
	ds_load_b128 v[91:94], v1 offset:912
	s_wait_loadcnt_dscnt 0x501
	v_mul_f64_e32 v[97:98], v[75:76], v[105:106]
	v_mul_f64_e32 v[105:106], v[77:78], v[105:106]
	v_add_f64_e32 v[2:3], v[2:3], v[95:96]
	v_add_f64_e32 v[10:11], v[10:11], v[119:120]
	s_wait_loadcnt_dscnt 0x400
	v_mul_f64_e32 v[95:96], v[91:92], v[8:9]
	v_mul_f64_e32 v[99:100], v[93:94], v[8:9]
	v_fma_f64 v[97:98], v[77:78], v[103:104], v[97:98]
	v_fma_f64 v[101:102], v[75:76], v[103:104], -v[105:106]
	v_add_f64_e32 v[2:3], v[2:3], v[87:88]
	v_add_f64_e32 v[87:88], v[10:11], v[89:90]
	ds_load_b128 v[8:11], v1 offset:928
	ds_load_b128 v[75:78], v1 offset:944
	v_fma_f64 v[93:94], v[93:94], v[6:7], v[95:96]
	v_fma_f64 v[6:7], v[91:92], v[6:7], -v[99:100]
	s_wait_loadcnt_dscnt 0x301
	v_mul_f64_e32 v[89:90], v[8:9], v[113:114]
	v_mul_f64_e32 v[103:104], v[10:11], v[113:114]
	s_wait_loadcnt_dscnt 0x200
	v_mul_f64_e32 v[91:92], v[75:76], v[125:126]
	v_mul_f64_e32 v[95:96], v[77:78], v[125:126]
	v_add_f64_e32 v[2:3], v[2:3], v[101:102]
	v_add_f64_e32 v[87:88], v[87:88], v[97:98]
	v_fma_f64 v[10:11], v[10:11], v[111:112], v[89:90]
	v_fma_f64 v[89:90], v[8:9], v[111:112], -v[103:104]
	v_fma_f64 v[77:78], v[77:78], v[123:124], v[91:92]
	v_fma_f64 v[75:76], v[75:76], v[123:124], -v[95:96]
	v_add_f64_e32 v[97:98], v[2:3], v[6:7]
	v_add_f64_e32 v[87:88], v[87:88], v[93:94]
	ds_load_b128 v[6:9], v1 offset:960
	ds_load_b128 v[1:4], v1 offset:976
	s_wait_loadcnt_dscnt 0x101
	v_mul_f64_e32 v[93:94], v[6:7], v[81:82]
	v_mul_f64_e32 v[81:82], v[8:9], v[81:82]
	v_add_f64_e32 v[89:90], v[97:98], v[89:90]
	v_add_f64_e32 v[10:11], v[87:88], v[10:11]
	s_wait_loadcnt_dscnt 0x0
	v_mul_f64_e32 v[87:88], v[1:2], v[85:86]
	v_mul_f64_e32 v[85:86], v[3:4], v[85:86]
	v_fma_f64 v[8:9], v[8:9], v[79:80], v[93:94]
	v_fma_f64 v[6:7], v[6:7], v[79:80], -v[81:82]
	v_add_f64_e32 v[75:76], v[89:90], v[75:76]
	v_add_f64_e32 v[10:11], v[10:11], v[77:78]
	v_fma_f64 v[3:4], v[3:4], v[83:84], v[87:88]
	v_fma_f64 v[1:2], v[1:2], v[83:84], -v[85:86]
	s_delay_alu instid0(VALU_DEP_4) | instskip(NEXT) | instid1(VALU_DEP_4)
	v_add_f64_e32 v[6:7], v[75:76], v[6:7]
	v_add_f64_e32 v[8:9], v[10:11], v[8:9]
	s_delay_alu instid0(VALU_DEP_2) | instskip(NEXT) | instid1(VALU_DEP_2)
	v_add_f64_e32 v[1:2], v[6:7], v[1:2]
	v_add_f64_e32 v[3:4], v[8:9], v[3:4]
	s_delay_alu instid0(VALU_DEP_2) | instskip(NEXT) | instid1(VALU_DEP_2)
	v_add_f64_e64 v[1:2], v[115:116], -v[1:2]
	v_add_f64_e64 v[3:4], v[117:118], -v[3:4]
	scratch_store_b128 off, v[1:4], off offset:112
	v_cmpx_lt_u32_e32 5, v0
	s_cbranch_execz .LBB30_189
; %bb.188:
	scratch_load_b128 v[1:4], off, s36
	v_mov_b32_e32 v6, 0
	s_delay_alu instid0(VALU_DEP_1)
	v_dual_mov_b32 v7, v6 :: v_dual_mov_b32 v8, v6
	v_mov_b32_e32 v9, v6
	scratch_store_b128 off, v[6:9], off offset:96
	s_wait_loadcnt 0x0
	ds_store_b128 v5, v[1:4]
.LBB30_189:
	s_wait_alu 0xfffe
	s_or_b32 exec_lo, exec_lo, s0
	s_wait_storecnt_dscnt 0x0
	s_barrier_signal -1
	s_barrier_wait -1
	global_inv scope:SCOPE_SE
	s_clause 0x7
	scratch_load_b128 v[6:9], off, off offset:112
	scratch_load_b128 v[75:78], off, off offset:128
	;; [unrolled: 1-line block ×8, first 2 shown]
	v_mov_b32_e32 v1, 0
	s_mov_b32 s0, exec_lo
	ds_load_b128 v[103:106], v1 offset:592
	s_clause 0x1
	scratch_load_b128 v[107:110], off, off offset:240
	scratch_load_b128 v[111:114], off, off offset:96
	ds_load_b128 v[115:118], v1 offset:608
	ds_load_b128 v[123:126], v1 offset:640
	s_wait_loadcnt_dscnt 0x902
	v_mul_f64_e32 v[2:3], v[105:106], v[8:9]
	v_mul_f64_e32 v[119:120], v[103:104], v[8:9]
	scratch_load_b128 v[8:11], off, off offset:256
	v_fma_f64 v[2:3], v[103:104], v[6:7], -v[2:3]
	v_fma_f64 v[6:7], v[105:106], v[6:7], v[119:120]
	ds_load_b128 v[103:106], v1 offset:624
	s_wait_loadcnt_dscnt 0x902
	v_mul_f64_e32 v[127:128], v[115:116], v[77:78]
	v_mul_f64_e32 v[77:78], v[117:118], v[77:78]
	scratch_load_b128 v[119:122], off, off offset:272
	s_wait_loadcnt_dscnt 0x900
	v_mul_f64_e32 v[129:130], v[103:104], v[81:82]
	v_mul_f64_e32 v[81:82], v[105:106], v[81:82]
	v_add_f64_e32 v[2:3], 0, v[2:3]
	v_add_f64_e32 v[6:7], 0, v[6:7]
	v_fma_f64 v[117:118], v[117:118], v[75:76], v[127:128]
	v_fma_f64 v[115:116], v[115:116], v[75:76], -v[77:78]
	scratch_load_b128 v[75:78], off, off offset:288
	v_fma_f64 v[129:130], v[105:106], v[79:80], v[129:130]
	v_fma_f64 v[131:132], v[103:104], v[79:80], -v[81:82]
	ds_load_b128 v[79:82], v1 offset:656
	s_wait_loadcnt 0x9
	v_mul_f64_e32 v[127:128], v[123:124], v[85:86]
	v_mul_f64_e32 v[85:86], v[125:126], v[85:86]
	scratch_load_b128 v[103:106], off, off offset:304
	v_add_f64_e32 v[6:7], v[6:7], v[117:118]
	v_add_f64_e32 v[2:3], v[2:3], v[115:116]
	ds_load_b128 v[115:118], v1 offset:672
	s_wait_loadcnt_dscnt 0x901
	v_mul_f64_e32 v[133:134], v[79:80], v[89:90]
	v_mul_f64_e32 v[89:90], v[81:82], v[89:90]
	v_fma_f64 v[125:126], v[125:126], v[83:84], v[127:128]
	v_fma_f64 v[123:124], v[123:124], v[83:84], -v[85:86]
	scratch_load_b128 v[83:86], off, off offset:320
	v_add_f64_e32 v[6:7], v[6:7], v[129:130]
	v_add_f64_e32 v[2:3], v[2:3], v[131:132]
	v_fma_f64 v[129:130], v[81:82], v[87:88], v[133:134]
	v_fma_f64 v[131:132], v[79:80], v[87:88], -v[89:90]
	ds_load_b128 v[79:82], v1 offset:688
	s_wait_loadcnt_dscnt 0x901
	v_mul_f64_e32 v[127:128], v[115:116], v[93:94]
	v_mul_f64_e32 v[93:94], v[117:118], v[93:94]
	scratch_load_b128 v[87:90], off, off offset:336
	s_wait_loadcnt_dscnt 0x900
	v_mul_f64_e32 v[133:134], v[79:80], v[97:98]
	v_mul_f64_e32 v[97:98], v[81:82], v[97:98]
	v_add_f64_e32 v[6:7], v[6:7], v[125:126]
	v_add_f64_e32 v[2:3], v[2:3], v[123:124]
	ds_load_b128 v[123:126], v1 offset:704
	v_fma_f64 v[117:118], v[117:118], v[91:92], v[127:128]
	v_fma_f64 v[115:116], v[115:116], v[91:92], -v[93:94]
	scratch_load_b128 v[91:94], off, off offset:352
	v_add_f64_e32 v[6:7], v[6:7], v[129:130]
	v_add_f64_e32 v[2:3], v[2:3], v[131:132]
	v_fma_f64 v[129:130], v[81:82], v[95:96], v[133:134]
	v_fma_f64 v[131:132], v[79:80], v[95:96], -v[97:98]
	ds_load_b128 v[79:82], v1 offset:720
	s_wait_loadcnt_dscnt 0x901
	v_mul_f64_e32 v[127:128], v[123:124], v[101:102]
	v_mul_f64_e32 v[101:102], v[125:126], v[101:102]
	scratch_load_b128 v[95:98], off, off offset:368
	s_wait_loadcnt_dscnt 0x900
	v_mul_f64_e32 v[133:134], v[79:80], v[109:110]
	v_mul_f64_e32 v[109:110], v[81:82], v[109:110]
	v_add_f64_e32 v[6:7], v[6:7], v[117:118]
	v_add_f64_e32 v[2:3], v[2:3], v[115:116]
	ds_load_b128 v[115:118], v1 offset:736
	v_fma_f64 v[125:126], v[125:126], v[99:100], v[127:128]
	v_fma_f64 v[123:124], v[123:124], v[99:100], -v[101:102]
	scratch_load_b128 v[99:102], off, off offset:384
	v_add_f64_e32 v[6:7], v[6:7], v[129:130]
	v_add_f64_e32 v[2:3], v[2:3], v[131:132]
	v_fma_f64 v[129:130], v[81:82], v[107:108], v[133:134]
	v_fma_f64 v[131:132], v[79:80], v[107:108], -v[109:110]
	ds_load_b128 v[79:82], v1 offset:752
	scratch_load_b128 v[107:110], off, off offset:400
	s_wait_loadcnt_dscnt 0x901
	v_mul_f64_e32 v[127:128], v[115:116], v[10:11]
	v_mul_f64_e32 v[10:11], v[117:118], v[10:11]
	v_add_f64_e32 v[6:7], v[6:7], v[125:126]
	v_add_f64_e32 v[2:3], v[2:3], v[123:124]
	ds_load_b128 v[123:126], v1 offset:768
	v_fma_f64 v[117:118], v[117:118], v[8:9], v[127:128]
	v_fma_f64 v[10:11], v[115:116], v[8:9], -v[10:11]
	s_wait_loadcnt_dscnt 0x801
	v_mul_f64_e32 v[133:134], v[79:80], v[121:122]
	v_mul_f64_e32 v[121:122], v[81:82], v[121:122]
	v_add_f64_e32 v[115:116], v[6:7], v[129:130]
	v_add_f64_e32 v[2:3], v[2:3], v[131:132]
	scratch_load_b128 v[6:9], off, off offset:416
	v_fma_f64 v[81:82], v[81:82], v[119:120], v[133:134]
	v_fma_f64 v[131:132], v[79:80], v[119:120], -v[121:122]
	ds_load_b128 v[119:122], v1 offset:800
	s_wait_loadcnt_dscnt 0x801
	v_mul_f64_e32 v[127:128], v[123:124], v[77:78]
	v_mul_f64_e32 v[129:130], v[125:126], v[77:78]
	ds_load_b128 v[77:80], v1 offset:784
	v_add_f64_e32 v[2:3], v[2:3], v[10:11]
	v_add_f64_e32 v[10:11], v[115:116], v[117:118]
	scratch_load_b128 v[115:118], off, off offset:432
	s_wait_loadcnt_dscnt 0x800
	v_mul_f64_e32 v[133:134], v[77:78], v[105:106]
	v_mul_f64_e32 v[105:106], v[79:80], v[105:106]
	v_fma_f64 v[127:128], v[125:126], v[75:76], v[127:128]
	v_fma_f64 v[75:76], v[123:124], v[75:76], -v[129:130]
	scratch_load_b128 v[123:126], off, off offset:448
	v_add_f64_e32 v[2:3], v[2:3], v[131:132]
	v_add_f64_e32 v[10:11], v[10:11], v[81:82]
	s_wait_loadcnt 0x8
	v_mul_f64_e32 v[129:130], v[119:120], v[85:86]
	v_mul_f64_e32 v[85:86], v[121:122], v[85:86]
	v_fma_f64 v[131:132], v[79:80], v[103:104], v[133:134]
	v_fma_f64 v[133:134], v[77:78], v[103:104], -v[105:106]
	scratch_load_b128 v[79:82], off, off offset:464
	ds_load_b128 v[103:106], v1 offset:832
	v_add_f64_e32 v[2:3], v[2:3], v[75:76]
	v_add_f64_e32 v[10:11], v[10:11], v[127:128]
	ds_load_b128 v[75:78], v1 offset:816
	v_fma_f64 v[121:122], v[121:122], v[83:84], v[129:130]
	v_fma_f64 v[119:120], v[119:120], v[83:84], -v[85:86]
	scratch_load_b128 v[83:86], off, off offset:480
	s_wait_loadcnt_dscnt 0x900
	v_mul_f64_e32 v[127:128], v[75:76], v[89:90]
	v_mul_f64_e32 v[89:90], v[77:78], v[89:90]
	s_wait_loadcnt 0x8
	v_mul_f64_e32 v[129:130], v[103:104], v[93:94]
	v_mul_f64_e32 v[93:94], v[105:106], v[93:94]
	v_add_f64_e32 v[2:3], v[2:3], v[133:134]
	v_add_f64_e32 v[10:11], v[10:11], v[131:132]
	v_fma_f64 v[127:128], v[77:78], v[87:88], v[127:128]
	v_fma_f64 v[131:132], v[75:76], v[87:88], -v[89:90]
	ds_load_b128 v[75:78], v1 offset:848
	scratch_load_b128 v[87:90], off, off offset:496
	v_fma_f64 v[105:106], v[105:106], v[91:92], v[129:130]
	v_fma_f64 v[91:92], v[103:104], v[91:92], -v[93:94]
	v_add_f64_e32 v[2:3], v[2:3], v[119:120]
	v_add_f64_e32 v[10:11], v[10:11], v[121:122]
	ds_load_b128 v[119:122], v1 offset:864
	s_wait_loadcnt_dscnt 0x801
	v_mul_f64_e32 v[133:134], v[75:76], v[97:98]
	v_mul_f64_e32 v[97:98], v[77:78], v[97:98]
	s_wait_loadcnt_dscnt 0x700
	v_mul_f64_e32 v[103:104], v[119:120], v[101:102]
	v_mul_f64_e32 v[101:102], v[121:122], v[101:102]
	v_add_f64_e32 v[2:3], v[2:3], v[131:132]
	v_add_f64_e32 v[10:11], v[10:11], v[127:128]
	v_fma_f64 v[127:128], v[77:78], v[95:96], v[133:134]
	v_fma_f64 v[95:96], v[75:76], v[95:96], -v[97:98]
	v_fma_f64 v[103:104], v[121:122], v[99:100], v[103:104]
	v_fma_f64 v[99:100], v[119:120], v[99:100], -v[101:102]
	v_add_f64_e32 v[2:3], v[2:3], v[91:92]
	v_add_f64_e32 v[10:11], v[10:11], v[105:106]
	ds_load_b128 v[75:78], v1 offset:880
	ds_load_b128 v[91:94], v1 offset:896
	s_wait_loadcnt_dscnt 0x601
	v_mul_f64_e32 v[97:98], v[75:76], v[109:110]
	v_mul_f64_e32 v[105:106], v[77:78], v[109:110]
	v_add_f64_e32 v[2:3], v[2:3], v[95:96]
	v_add_f64_e32 v[10:11], v[10:11], v[127:128]
	s_wait_loadcnt_dscnt 0x500
	v_mul_f64_e32 v[95:96], v[91:92], v[8:9]
	v_mul_f64_e32 v[101:102], v[93:94], v[8:9]
	v_fma_f64 v[97:98], v[77:78], v[107:108], v[97:98]
	v_fma_f64 v[105:106], v[75:76], v[107:108], -v[105:106]
	v_add_f64_e32 v[2:3], v[2:3], v[99:100]
	v_add_f64_e32 v[99:100], v[10:11], v[103:104]
	ds_load_b128 v[8:11], v1 offset:912
	ds_load_b128 v[75:78], v1 offset:928
	v_fma_f64 v[93:94], v[93:94], v[6:7], v[95:96]
	v_fma_f64 v[6:7], v[91:92], v[6:7], -v[101:102]
	s_wait_loadcnt_dscnt 0x401
	v_mul_f64_e32 v[103:104], v[8:9], v[117:118]
	v_mul_f64_e32 v[107:108], v[10:11], v[117:118]
	s_wait_loadcnt_dscnt 0x300
	v_mul_f64_e32 v[95:96], v[75:76], v[125:126]
	v_add_f64_e32 v[2:3], v[2:3], v[105:106]
	v_add_f64_e32 v[91:92], v[99:100], v[97:98]
	v_mul_f64_e32 v[97:98], v[77:78], v[125:126]
	v_fma_f64 v[10:11], v[10:11], v[115:116], v[103:104]
	v_fma_f64 v[99:100], v[8:9], v[115:116], -v[107:108]
	v_fma_f64 v[77:78], v[77:78], v[123:124], v[95:96]
	v_add_f64_e32 v[2:3], v[2:3], v[6:7]
	v_add_f64_e32 v[101:102], v[91:92], v[93:94]
	ds_load_b128 v[6:9], v1 offset:944
	ds_load_b128 v[91:94], v1 offset:960
	v_fma_f64 v[75:76], v[75:76], v[123:124], -v[97:98]
	s_wait_loadcnt_dscnt 0x201
	v_mul_f64_e32 v[103:104], v[6:7], v[81:82]
	v_mul_f64_e32 v[81:82], v[8:9], v[81:82]
	s_wait_loadcnt_dscnt 0x100
	v_mul_f64_e32 v[95:96], v[91:92], v[85:86]
	v_mul_f64_e32 v[85:86], v[93:94], v[85:86]
	v_add_f64_e32 v[2:3], v[2:3], v[99:100]
	v_add_f64_e32 v[10:11], v[101:102], v[10:11]
	v_fma_f64 v[97:98], v[8:9], v[79:80], v[103:104]
	v_fma_f64 v[79:80], v[6:7], v[79:80], -v[81:82]
	ds_load_b128 v[6:9], v1 offset:976
	v_fma_f64 v[81:82], v[93:94], v[83:84], v[95:96]
	v_fma_f64 v[83:84], v[91:92], v[83:84], -v[85:86]
	v_add_f64_e32 v[2:3], v[2:3], v[75:76]
	v_add_f64_e32 v[10:11], v[10:11], v[77:78]
	s_wait_loadcnt_dscnt 0x0
	v_mul_f64_e32 v[75:76], v[6:7], v[89:90]
	v_mul_f64_e32 v[77:78], v[8:9], v[89:90]
	s_delay_alu instid0(VALU_DEP_4) | instskip(NEXT) | instid1(VALU_DEP_4)
	v_add_f64_e32 v[2:3], v[2:3], v[79:80]
	v_add_f64_e32 v[10:11], v[10:11], v[97:98]
	s_delay_alu instid0(VALU_DEP_4) | instskip(NEXT) | instid1(VALU_DEP_4)
	v_fma_f64 v[8:9], v[8:9], v[87:88], v[75:76]
	v_fma_f64 v[6:7], v[6:7], v[87:88], -v[77:78]
	s_delay_alu instid0(VALU_DEP_4) | instskip(NEXT) | instid1(VALU_DEP_4)
	v_add_f64_e32 v[2:3], v[2:3], v[83:84]
	v_add_f64_e32 v[10:11], v[10:11], v[81:82]
	s_delay_alu instid0(VALU_DEP_2) | instskip(NEXT) | instid1(VALU_DEP_2)
	v_add_f64_e32 v[2:3], v[2:3], v[6:7]
	v_add_f64_e32 v[8:9], v[10:11], v[8:9]
	s_delay_alu instid0(VALU_DEP_2) | instskip(NEXT) | instid1(VALU_DEP_2)
	v_add_f64_e64 v[6:7], v[111:112], -v[2:3]
	v_add_f64_e64 v[8:9], v[113:114], -v[8:9]
	scratch_store_b128 off, v[6:9], off offset:96
	v_cmpx_lt_u32_e32 4, v0
	s_cbranch_execz .LBB30_191
; %bb.190:
	scratch_load_b128 v[6:9], off, s4
	v_dual_mov_b32 v2, v1 :: v_dual_mov_b32 v3, v1
	v_mov_b32_e32 v4, v1
	scratch_store_b128 off, v[1:4], off offset:80
	s_wait_loadcnt 0x0
	ds_store_b128 v5, v[6:9]
.LBB30_191:
	s_wait_alu 0xfffe
	s_or_b32 exec_lo, exec_lo, s0
	s_wait_storecnt_dscnt 0x0
	s_barrier_signal -1
	s_barrier_wait -1
	global_inv scope:SCOPE_SE
	s_clause 0x8
	scratch_load_b128 v[6:9], off, off offset:96
	scratch_load_b128 v[75:78], off, off offset:112
	;; [unrolled: 1-line block ×9, first 2 shown]
	ds_load_b128 v[107:110], v1 offset:576
	ds_load_b128 v[111:114], v1 offset:592
	scratch_load_b128 v[115:118], off, off offset:80
	s_mov_b32 s0, exec_lo
	ds_load_b128 v[123:126], v1 offset:624
	s_wait_loadcnt_dscnt 0x902
	v_mul_f64_e32 v[2:3], v[109:110], v[8:9]
	v_mul_f64_e32 v[119:120], v[107:108], v[8:9]
	scratch_load_b128 v[8:11], off, off offset:240
	s_wait_loadcnt_dscnt 0x901
	v_mul_f64_e32 v[127:128], v[111:112], v[77:78]
	v_mul_f64_e32 v[77:78], v[113:114], v[77:78]
	v_fma_f64 v[2:3], v[107:108], v[6:7], -v[2:3]
	v_fma_f64 v[6:7], v[109:110], v[6:7], v[119:120]
	ds_load_b128 v[107:110], v1 offset:608
	scratch_load_b128 v[119:122], off, off offset:256
	v_fma_f64 v[113:114], v[113:114], v[75:76], v[127:128]
	v_fma_f64 v[111:112], v[111:112], v[75:76], -v[77:78]
	scratch_load_b128 v[75:78], off, off offset:272
	s_wait_loadcnt_dscnt 0x901
	v_mul_f64_e32 v[127:128], v[123:124], v[85:86]
	v_mul_f64_e32 v[85:86], v[125:126], v[85:86]
	s_wait_dscnt 0x0
	v_mul_f64_e32 v[129:130], v[107:108], v[81:82]
	v_mul_f64_e32 v[81:82], v[109:110], v[81:82]
	v_add_f64_e32 v[2:3], 0, v[2:3]
	v_add_f64_e32 v[6:7], 0, v[6:7]
	v_fma_f64 v[125:126], v[125:126], v[83:84], v[127:128]
	v_fma_f64 v[123:124], v[123:124], v[83:84], -v[85:86]
	scratch_load_b128 v[83:86], off, off offset:304
	v_fma_f64 v[129:130], v[109:110], v[79:80], v[129:130]
	v_fma_f64 v[131:132], v[107:108], v[79:80], -v[81:82]
	ds_load_b128 v[79:82], v1 offset:640
	scratch_load_b128 v[107:110], off, off offset:288
	v_add_f64_e32 v[2:3], v[2:3], v[111:112]
	v_add_f64_e32 v[6:7], v[6:7], v[113:114]
	ds_load_b128 v[111:114], v1 offset:656
	s_wait_loadcnt_dscnt 0xa01
	v_mul_f64_e32 v[133:134], v[79:80], v[89:90]
	v_mul_f64_e32 v[89:90], v[81:82], v[89:90]
	s_wait_loadcnt_dscnt 0x900
	v_mul_f64_e32 v[127:128], v[111:112], v[93:94]
	v_mul_f64_e32 v[93:94], v[113:114], v[93:94]
	v_add_f64_e32 v[2:3], v[2:3], v[131:132]
	v_add_f64_e32 v[6:7], v[6:7], v[129:130]
	v_fma_f64 v[129:130], v[81:82], v[87:88], v[133:134]
	v_fma_f64 v[131:132], v[79:80], v[87:88], -v[89:90]
	ds_load_b128 v[79:82], v1 offset:672
	scratch_load_b128 v[87:90], off, off offset:320
	v_fma_f64 v[113:114], v[113:114], v[91:92], v[127:128]
	v_fma_f64 v[111:112], v[111:112], v[91:92], -v[93:94]
	scratch_load_b128 v[91:94], off, off offset:336
	v_add_f64_e32 v[2:3], v[2:3], v[123:124]
	v_add_f64_e32 v[6:7], v[6:7], v[125:126]
	ds_load_b128 v[123:126], v1 offset:688
	s_wait_loadcnt_dscnt 0xa01
	v_mul_f64_e32 v[133:134], v[79:80], v[97:98]
	v_mul_f64_e32 v[97:98], v[81:82], v[97:98]
	s_wait_loadcnt_dscnt 0x900
	v_mul_f64_e32 v[127:128], v[123:124], v[101:102]
	v_mul_f64_e32 v[101:102], v[125:126], v[101:102]
	v_add_f64_e32 v[2:3], v[2:3], v[131:132]
	v_add_f64_e32 v[6:7], v[6:7], v[129:130]
	v_fma_f64 v[129:130], v[81:82], v[95:96], v[133:134]
	v_fma_f64 v[131:132], v[79:80], v[95:96], -v[97:98]
	ds_load_b128 v[79:82], v1 offset:704
	scratch_load_b128 v[95:98], off, off offset:352
	v_fma_f64 v[125:126], v[125:126], v[99:100], v[127:128]
	v_fma_f64 v[123:124], v[123:124], v[99:100], -v[101:102]
	scratch_load_b128 v[99:102], off, off offset:368
	v_add_f64_e32 v[2:3], v[2:3], v[111:112]
	v_add_f64_e32 v[6:7], v[6:7], v[113:114]
	ds_load_b128 v[111:114], v1 offset:720
	s_wait_loadcnt_dscnt 0xa01
	v_mul_f64_e32 v[133:134], v[79:80], v[105:106]
	v_mul_f64_e32 v[105:106], v[81:82], v[105:106]
	v_add_f64_e32 v[2:3], v[2:3], v[131:132]
	v_add_f64_e32 v[6:7], v[6:7], v[129:130]
	s_delay_alu instid0(VALU_DEP_4) | instskip(NEXT) | instid1(VALU_DEP_4)
	v_fma_f64 v[129:130], v[81:82], v[103:104], v[133:134]
	v_fma_f64 v[131:132], v[79:80], v[103:104], -v[105:106]
	ds_load_b128 v[79:82], v1 offset:736
	scratch_load_b128 v[103:106], off, off offset:384
	s_wait_loadcnt_dscnt 0x901
	v_mul_f64_e32 v[127:128], v[111:112], v[10:11]
	v_mul_f64_e32 v[10:11], v[113:114], v[10:11]
	v_add_f64_e32 v[2:3], v[2:3], v[123:124]
	v_add_f64_e32 v[6:7], v[6:7], v[125:126]
	ds_load_b128 v[123:126], v1 offset:752
	v_fma_f64 v[113:114], v[113:114], v[8:9], v[127:128]
	s_wait_loadcnt_dscnt 0x801
	v_mul_f64_e32 v[133:134], v[79:80], v[121:122]
	v_mul_f64_e32 v[121:122], v[81:82], v[121:122]
	v_fma_f64 v[10:11], v[111:112], v[8:9], -v[10:11]
	s_wait_loadcnt_dscnt 0x700
	v_mul_f64_e32 v[127:128], v[123:124], v[77:78]
	v_add_f64_e32 v[2:3], v[2:3], v[131:132]
	v_add_f64_e32 v[111:112], v[6:7], v[129:130]
	scratch_load_b128 v[6:9], off, off offset:400
	v_mul_f64_e32 v[129:130], v[125:126], v[77:78]
	v_fma_f64 v[81:82], v[81:82], v[119:120], v[133:134]
	v_fma_f64 v[131:132], v[79:80], v[119:120], -v[121:122]
	ds_load_b128 v[77:80], v1 offset:768
	ds_load_b128 v[119:122], v1 offset:784
	v_fma_f64 v[127:128], v[125:126], v[75:76], v[127:128]
	v_add_f64_e32 v[2:3], v[2:3], v[10:11]
	v_add_f64_e32 v[10:11], v[111:112], v[113:114]
	scratch_load_b128 v[111:114], off, off offset:416
	s_wait_loadcnt_dscnt 0x701
	v_mul_f64_e32 v[133:134], v[77:78], v[109:110]
	v_mul_f64_e32 v[109:110], v[79:80], v[109:110]
	v_fma_f64 v[75:76], v[123:124], v[75:76], -v[129:130]
	scratch_load_b128 v[123:126], off, off offset:432
	s_wait_dscnt 0x0
	v_mul_f64_e32 v[129:130], v[119:120], v[85:86]
	v_mul_f64_e32 v[85:86], v[121:122], v[85:86]
	v_add_f64_e32 v[2:3], v[2:3], v[131:132]
	v_add_f64_e32 v[10:11], v[10:11], v[81:82]
	v_fma_f64 v[131:132], v[79:80], v[107:108], v[133:134]
	v_fma_f64 v[133:134], v[77:78], v[107:108], -v[109:110]
	scratch_load_b128 v[79:82], off, off offset:448
	ds_load_b128 v[107:110], v1 offset:816
	v_fma_f64 v[121:122], v[121:122], v[83:84], v[129:130]
	v_fma_f64 v[119:120], v[119:120], v[83:84], -v[85:86]
	scratch_load_b128 v[83:86], off, off offset:464
	v_add_f64_e32 v[2:3], v[2:3], v[75:76]
	v_add_f64_e32 v[10:11], v[10:11], v[127:128]
	ds_load_b128 v[75:78], v1 offset:800
	s_wait_loadcnt_dscnt 0x801
	v_mul_f64_e32 v[129:130], v[107:108], v[93:94]
	v_mul_f64_e32 v[93:94], v[109:110], v[93:94]
	s_wait_dscnt 0x0
	v_mul_f64_e32 v[127:128], v[75:76], v[89:90]
	v_mul_f64_e32 v[89:90], v[77:78], v[89:90]
	v_add_f64_e32 v[2:3], v[2:3], v[133:134]
	v_add_f64_e32 v[10:11], v[10:11], v[131:132]
	v_fma_f64 v[109:110], v[109:110], v[91:92], v[129:130]
	v_fma_f64 v[107:108], v[107:108], v[91:92], -v[93:94]
	scratch_load_b128 v[91:94], off, off offset:496
	v_fma_f64 v[127:128], v[77:78], v[87:88], v[127:128]
	v_fma_f64 v[131:132], v[75:76], v[87:88], -v[89:90]
	ds_load_b128 v[75:78], v1 offset:832
	scratch_load_b128 v[87:90], off, off offset:480
	v_add_f64_e32 v[2:3], v[2:3], v[119:120]
	v_add_f64_e32 v[10:11], v[10:11], v[121:122]
	ds_load_b128 v[119:122], v1 offset:848
	s_wait_loadcnt_dscnt 0x901
	v_mul_f64_e32 v[133:134], v[75:76], v[97:98]
	v_mul_f64_e32 v[97:98], v[77:78], v[97:98]
	v_add_f64_e32 v[2:3], v[2:3], v[131:132]
	v_add_f64_e32 v[10:11], v[10:11], v[127:128]
	s_wait_loadcnt_dscnt 0x800
	v_mul_f64_e32 v[127:128], v[119:120], v[101:102]
	v_mul_f64_e32 v[101:102], v[121:122], v[101:102]
	v_fma_f64 v[129:130], v[77:78], v[95:96], v[133:134]
	v_fma_f64 v[131:132], v[75:76], v[95:96], -v[97:98]
	ds_load_b128 v[75:78], v1 offset:864
	ds_load_b128 v[95:98], v1 offset:880
	v_add_f64_e32 v[2:3], v[2:3], v[107:108]
	v_add_f64_e32 v[10:11], v[10:11], v[109:110]
	s_wait_loadcnt_dscnt 0x701
	v_mul_f64_e32 v[107:108], v[75:76], v[105:106]
	v_mul_f64_e32 v[105:106], v[77:78], v[105:106]
	v_fma_f64 v[109:110], v[121:122], v[99:100], v[127:128]
	v_fma_f64 v[99:100], v[119:120], v[99:100], -v[101:102]
	v_add_f64_e32 v[2:3], v[2:3], v[131:132]
	v_add_f64_e32 v[10:11], v[10:11], v[129:130]
	v_fma_f64 v[107:108], v[77:78], v[103:104], v[107:108]
	v_fma_f64 v[103:104], v[75:76], v[103:104], -v[105:106]
	s_wait_loadcnt_dscnt 0x600
	v_mul_f64_e32 v[101:102], v[95:96], v[8:9]
	v_mul_f64_e32 v[119:120], v[97:98], v[8:9]
	v_add_f64_e32 v[2:3], v[2:3], v[99:100]
	v_add_f64_e32 v[99:100], v[10:11], v[109:110]
	ds_load_b128 v[8:11], v1 offset:896
	ds_load_b128 v[75:78], v1 offset:912
	v_fma_f64 v[97:98], v[97:98], v[6:7], v[101:102]
	v_fma_f64 v[6:7], v[95:96], v[6:7], -v[119:120]
	s_wait_loadcnt_dscnt 0x501
	v_mul_f64_e32 v[105:106], v[8:9], v[113:114]
	v_mul_f64_e32 v[109:110], v[10:11], v[113:114]
	s_wait_loadcnt_dscnt 0x400
	v_mul_f64_e32 v[101:102], v[77:78], v[125:126]
	v_add_f64_e32 v[2:3], v[2:3], v[103:104]
	v_add_f64_e32 v[95:96], v[99:100], v[107:108]
	v_mul_f64_e32 v[99:100], v[75:76], v[125:126]
	v_fma_f64 v[10:11], v[10:11], v[111:112], v[105:106]
	v_fma_f64 v[103:104], v[8:9], v[111:112], -v[109:110]
	v_fma_f64 v[75:76], v[75:76], v[123:124], -v[101:102]
	v_add_f64_e32 v[2:3], v[2:3], v[6:7]
	v_add_f64_e32 v[105:106], v[95:96], v[97:98]
	ds_load_b128 v[6:9], v1 offset:928
	ds_load_b128 v[95:98], v1 offset:944
	v_fma_f64 v[77:78], v[77:78], v[123:124], v[99:100]
	s_wait_loadcnt_dscnt 0x301
	v_mul_f64_e32 v[107:108], v[6:7], v[81:82]
	v_mul_f64_e32 v[81:82], v[8:9], v[81:82]
	s_wait_loadcnt_dscnt 0x200
	v_mul_f64_e32 v[99:100], v[95:96], v[85:86]
	v_mul_f64_e32 v[85:86], v[97:98], v[85:86]
	v_add_f64_e32 v[2:3], v[2:3], v[103:104]
	v_add_f64_e32 v[10:11], v[105:106], v[10:11]
	v_fma_f64 v[101:102], v[8:9], v[79:80], v[107:108]
	v_fma_f64 v[79:80], v[6:7], v[79:80], -v[81:82]
	s_delay_alu instid0(VALU_DEP_4) | instskip(NEXT) | instid1(VALU_DEP_4)
	v_add_f64_e32 v[75:76], v[2:3], v[75:76]
	v_add_f64_e32 v[10:11], v[10:11], v[77:78]
	ds_load_b128 v[6:9], v1 offset:960
	ds_load_b128 v[1:4], v1 offset:976
	s_wait_loadcnt_dscnt 0x1
	v_mul_f64_e32 v[77:78], v[6:7], v[89:90]
	v_mul_f64_e32 v[81:82], v[8:9], v[89:90]
	v_fma_f64 v[89:90], v[97:98], v[83:84], v[99:100]
	v_fma_f64 v[83:84], v[95:96], v[83:84], -v[85:86]
	s_wait_dscnt 0x0
	v_mul_f64_e32 v[85:86], v[3:4], v[93:94]
	v_add_f64_e32 v[75:76], v[75:76], v[79:80]
	v_add_f64_e32 v[10:11], v[10:11], v[101:102]
	v_mul_f64_e32 v[79:80], v[1:2], v[93:94]
	v_fma_f64 v[8:9], v[8:9], v[87:88], v[77:78]
	v_fma_f64 v[6:7], v[6:7], v[87:88], -v[81:82]
	v_fma_f64 v[1:2], v[1:2], v[91:92], -v[85:86]
	v_add_f64_e32 v[75:76], v[75:76], v[83:84]
	v_add_f64_e32 v[10:11], v[10:11], v[89:90]
	v_fma_f64 v[3:4], v[3:4], v[91:92], v[79:80]
	s_delay_alu instid0(VALU_DEP_3) | instskip(NEXT) | instid1(VALU_DEP_3)
	v_add_f64_e32 v[6:7], v[75:76], v[6:7]
	v_add_f64_e32 v[8:9], v[10:11], v[8:9]
	s_delay_alu instid0(VALU_DEP_2) | instskip(NEXT) | instid1(VALU_DEP_2)
	v_add_f64_e32 v[1:2], v[6:7], v[1:2]
	v_add_f64_e32 v[3:4], v[8:9], v[3:4]
	s_delay_alu instid0(VALU_DEP_2) | instskip(NEXT) | instid1(VALU_DEP_2)
	v_add_f64_e64 v[1:2], v[115:116], -v[1:2]
	v_add_f64_e64 v[3:4], v[117:118], -v[3:4]
	scratch_store_b128 off, v[1:4], off offset:80
	v_cmpx_lt_u32_e32 3, v0
	s_cbranch_execz .LBB30_193
; %bb.192:
	scratch_load_b128 v[1:4], off, s5
	v_mov_b32_e32 v6, 0
	s_delay_alu instid0(VALU_DEP_1)
	v_dual_mov_b32 v7, v6 :: v_dual_mov_b32 v8, v6
	v_mov_b32_e32 v9, v6
	scratch_store_b128 off, v[6:9], off offset:64
	s_wait_loadcnt 0x0
	ds_store_b128 v5, v[1:4]
.LBB30_193:
	s_wait_alu 0xfffe
	s_or_b32 exec_lo, exec_lo, s0
	s_wait_storecnt_dscnt 0x0
	s_barrier_signal -1
	s_barrier_wait -1
	global_inv scope:SCOPE_SE
	s_clause 0x7
	scratch_load_b128 v[6:9], off, off offset:80
	scratch_load_b128 v[75:78], off, off offset:96
	;; [unrolled: 1-line block ×8, first 2 shown]
	v_mov_b32_e32 v1, 0
	s_mov_b32 s0, exec_lo
	ds_load_b128 v[103:106], v1 offset:560
	s_clause 0x1
	scratch_load_b128 v[107:110], off, off offset:208
	scratch_load_b128 v[111:114], off, off offset:64
	ds_load_b128 v[115:118], v1 offset:576
	ds_load_b128 v[123:126], v1 offset:608
	s_wait_loadcnt_dscnt 0x902
	v_mul_f64_e32 v[2:3], v[105:106], v[8:9]
	v_mul_f64_e32 v[119:120], v[103:104], v[8:9]
	scratch_load_b128 v[8:11], off, off offset:224
	v_fma_f64 v[2:3], v[103:104], v[6:7], -v[2:3]
	v_fma_f64 v[6:7], v[105:106], v[6:7], v[119:120]
	ds_load_b128 v[103:106], v1 offset:592
	s_wait_loadcnt_dscnt 0x902
	v_mul_f64_e32 v[127:128], v[115:116], v[77:78]
	v_mul_f64_e32 v[77:78], v[117:118], v[77:78]
	scratch_load_b128 v[119:122], off, off offset:240
	s_wait_loadcnt_dscnt 0x900
	v_mul_f64_e32 v[129:130], v[103:104], v[81:82]
	v_mul_f64_e32 v[81:82], v[105:106], v[81:82]
	v_add_f64_e32 v[2:3], 0, v[2:3]
	v_add_f64_e32 v[6:7], 0, v[6:7]
	v_fma_f64 v[117:118], v[117:118], v[75:76], v[127:128]
	v_fma_f64 v[115:116], v[115:116], v[75:76], -v[77:78]
	scratch_load_b128 v[75:78], off, off offset:256
	v_fma_f64 v[129:130], v[105:106], v[79:80], v[129:130]
	v_fma_f64 v[131:132], v[103:104], v[79:80], -v[81:82]
	ds_load_b128 v[79:82], v1 offset:624
	s_wait_loadcnt 0x9
	v_mul_f64_e32 v[127:128], v[123:124], v[85:86]
	v_mul_f64_e32 v[85:86], v[125:126], v[85:86]
	scratch_load_b128 v[103:106], off, off offset:272
	v_add_f64_e32 v[6:7], v[6:7], v[117:118]
	v_add_f64_e32 v[2:3], v[2:3], v[115:116]
	ds_load_b128 v[115:118], v1 offset:640
	s_wait_loadcnt_dscnt 0x901
	v_mul_f64_e32 v[133:134], v[79:80], v[89:90]
	v_mul_f64_e32 v[89:90], v[81:82], v[89:90]
	v_fma_f64 v[125:126], v[125:126], v[83:84], v[127:128]
	v_fma_f64 v[123:124], v[123:124], v[83:84], -v[85:86]
	scratch_load_b128 v[83:86], off, off offset:288
	v_add_f64_e32 v[6:7], v[6:7], v[129:130]
	v_add_f64_e32 v[2:3], v[2:3], v[131:132]
	v_fma_f64 v[129:130], v[81:82], v[87:88], v[133:134]
	v_fma_f64 v[131:132], v[79:80], v[87:88], -v[89:90]
	ds_load_b128 v[79:82], v1 offset:656
	s_wait_loadcnt_dscnt 0x901
	v_mul_f64_e32 v[127:128], v[115:116], v[93:94]
	v_mul_f64_e32 v[93:94], v[117:118], v[93:94]
	scratch_load_b128 v[87:90], off, off offset:304
	s_wait_loadcnt_dscnt 0x900
	v_mul_f64_e32 v[133:134], v[79:80], v[97:98]
	v_mul_f64_e32 v[97:98], v[81:82], v[97:98]
	v_add_f64_e32 v[6:7], v[6:7], v[125:126]
	v_add_f64_e32 v[2:3], v[2:3], v[123:124]
	ds_load_b128 v[123:126], v1 offset:672
	v_fma_f64 v[117:118], v[117:118], v[91:92], v[127:128]
	v_fma_f64 v[115:116], v[115:116], v[91:92], -v[93:94]
	scratch_load_b128 v[91:94], off, off offset:320
	v_add_f64_e32 v[6:7], v[6:7], v[129:130]
	v_add_f64_e32 v[2:3], v[2:3], v[131:132]
	v_fma_f64 v[129:130], v[81:82], v[95:96], v[133:134]
	v_fma_f64 v[131:132], v[79:80], v[95:96], -v[97:98]
	ds_load_b128 v[79:82], v1 offset:688
	s_wait_loadcnt_dscnt 0x901
	v_mul_f64_e32 v[127:128], v[123:124], v[101:102]
	v_mul_f64_e32 v[101:102], v[125:126], v[101:102]
	scratch_load_b128 v[95:98], off, off offset:336
	s_wait_loadcnt_dscnt 0x900
	v_mul_f64_e32 v[133:134], v[79:80], v[109:110]
	v_mul_f64_e32 v[109:110], v[81:82], v[109:110]
	v_add_f64_e32 v[6:7], v[6:7], v[117:118]
	v_add_f64_e32 v[2:3], v[2:3], v[115:116]
	ds_load_b128 v[115:118], v1 offset:704
	v_fma_f64 v[125:126], v[125:126], v[99:100], v[127:128]
	v_fma_f64 v[123:124], v[123:124], v[99:100], -v[101:102]
	scratch_load_b128 v[99:102], off, off offset:352
	v_add_f64_e32 v[6:7], v[6:7], v[129:130]
	v_add_f64_e32 v[2:3], v[2:3], v[131:132]
	v_fma_f64 v[129:130], v[81:82], v[107:108], v[133:134]
	v_fma_f64 v[131:132], v[79:80], v[107:108], -v[109:110]
	ds_load_b128 v[79:82], v1 offset:720
	scratch_load_b128 v[107:110], off, off offset:368
	s_wait_loadcnt_dscnt 0x901
	v_mul_f64_e32 v[127:128], v[115:116], v[10:11]
	v_mul_f64_e32 v[10:11], v[117:118], v[10:11]
	v_add_f64_e32 v[6:7], v[6:7], v[125:126]
	v_add_f64_e32 v[2:3], v[2:3], v[123:124]
	ds_load_b128 v[123:126], v1 offset:736
	v_fma_f64 v[117:118], v[117:118], v[8:9], v[127:128]
	v_fma_f64 v[10:11], v[115:116], v[8:9], -v[10:11]
	s_wait_loadcnt_dscnt 0x801
	v_mul_f64_e32 v[133:134], v[79:80], v[121:122]
	v_mul_f64_e32 v[121:122], v[81:82], v[121:122]
	v_add_f64_e32 v[115:116], v[6:7], v[129:130]
	v_add_f64_e32 v[2:3], v[2:3], v[131:132]
	scratch_load_b128 v[6:9], off, off offset:384
	v_fma_f64 v[81:82], v[81:82], v[119:120], v[133:134]
	v_fma_f64 v[131:132], v[79:80], v[119:120], -v[121:122]
	ds_load_b128 v[119:122], v1 offset:768
	s_wait_loadcnt_dscnt 0x801
	v_mul_f64_e32 v[127:128], v[123:124], v[77:78]
	v_mul_f64_e32 v[129:130], v[125:126], v[77:78]
	ds_load_b128 v[77:80], v1 offset:752
	v_add_f64_e32 v[2:3], v[2:3], v[10:11]
	v_add_f64_e32 v[10:11], v[115:116], v[117:118]
	scratch_load_b128 v[115:118], off, off offset:400
	s_wait_loadcnt_dscnt 0x800
	v_mul_f64_e32 v[133:134], v[77:78], v[105:106]
	v_mul_f64_e32 v[105:106], v[79:80], v[105:106]
	v_fma_f64 v[127:128], v[125:126], v[75:76], v[127:128]
	v_fma_f64 v[75:76], v[123:124], v[75:76], -v[129:130]
	scratch_load_b128 v[123:126], off, off offset:416
	v_add_f64_e32 v[2:3], v[2:3], v[131:132]
	v_add_f64_e32 v[10:11], v[10:11], v[81:82]
	s_wait_loadcnt 0x8
	v_mul_f64_e32 v[129:130], v[119:120], v[85:86]
	v_mul_f64_e32 v[85:86], v[121:122], v[85:86]
	v_fma_f64 v[131:132], v[79:80], v[103:104], v[133:134]
	v_fma_f64 v[133:134], v[77:78], v[103:104], -v[105:106]
	scratch_load_b128 v[79:82], off, off offset:432
	ds_load_b128 v[103:106], v1 offset:800
	v_add_f64_e32 v[2:3], v[2:3], v[75:76]
	v_add_f64_e32 v[10:11], v[10:11], v[127:128]
	ds_load_b128 v[75:78], v1 offset:784
	v_fma_f64 v[121:122], v[121:122], v[83:84], v[129:130]
	v_fma_f64 v[119:120], v[119:120], v[83:84], -v[85:86]
	scratch_load_b128 v[83:86], off, off offset:448
	s_wait_loadcnt_dscnt 0x900
	v_mul_f64_e32 v[127:128], v[75:76], v[89:90]
	v_mul_f64_e32 v[89:90], v[77:78], v[89:90]
	s_wait_loadcnt 0x8
	v_mul_f64_e32 v[129:130], v[103:104], v[93:94]
	v_mul_f64_e32 v[93:94], v[105:106], v[93:94]
	v_add_f64_e32 v[2:3], v[2:3], v[133:134]
	v_add_f64_e32 v[10:11], v[10:11], v[131:132]
	v_fma_f64 v[127:128], v[77:78], v[87:88], v[127:128]
	v_fma_f64 v[131:132], v[75:76], v[87:88], -v[89:90]
	ds_load_b128 v[75:78], v1 offset:816
	scratch_load_b128 v[87:90], off, off offset:464
	v_fma_f64 v[105:106], v[105:106], v[91:92], v[129:130]
	v_fma_f64 v[103:104], v[103:104], v[91:92], -v[93:94]
	scratch_load_b128 v[91:94], off, off offset:480
	v_add_f64_e32 v[2:3], v[2:3], v[119:120]
	v_add_f64_e32 v[10:11], v[10:11], v[121:122]
	ds_load_b128 v[119:122], v1 offset:832
	s_wait_loadcnt_dscnt 0x901
	v_mul_f64_e32 v[133:134], v[75:76], v[97:98]
	v_mul_f64_e32 v[97:98], v[77:78], v[97:98]
	s_wait_loadcnt_dscnt 0x800
	v_mul_f64_e32 v[129:130], v[121:122], v[101:102]
	v_add_f64_e32 v[2:3], v[2:3], v[131:132]
	v_add_f64_e32 v[10:11], v[10:11], v[127:128]
	v_mul_f64_e32 v[127:128], v[119:120], v[101:102]
	v_fma_f64 v[131:132], v[77:78], v[95:96], v[133:134]
	v_fma_f64 v[133:134], v[75:76], v[95:96], -v[97:98]
	ds_load_b128 v[75:78], v1 offset:848
	scratch_load_b128 v[95:98], off, off offset:496
	v_add_f64_e32 v[2:3], v[2:3], v[103:104]
	v_add_f64_e32 v[10:11], v[10:11], v[105:106]
	ds_load_b128 v[101:104], v1 offset:864
	s_wait_loadcnt_dscnt 0x801
	v_mul_f64_e32 v[105:106], v[75:76], v[109:110]
	v_mul_f64_e32 v[109:110], v[77:78], v[109:110]
	v_fma_f64 v[121:122], v[121:122], v[99:100], v[127:128]
	v_fma_f64 v[99:100], v[119:120], v[99:100], -v[129:130]
	v_add_f64_e32 v[2:3], v[2:3], v[133:134]
	v_add_f64_e32 v[10:11], v[10:11], v[131:132]
	v_fma_f64 v[105:106], v[77:78], v[107:108], v[105:106]
	v_fma_f64 v[107:108], v[75:76], v[107:108], -v[109:110]
	s_wait_loadcnt_dscnt 0x700
	v_mul_f64_e32 v[119:120], v[101:102], v[8:9]
	v_mul_f64_e32 v[127:128], v[103:104], v[8:9]
	v_add_f64_e32 v[2:3], v[2:3], v[99:100]
	v_add_f64_e32 v[99:100], v[10:11], v[121:122]
	ds_load_b128 v[8:11], v1 offset:880
	ds_load_b128 v[75:78], v1 offset:896
	v_fma_f64 v[103:104], v[103:104], v[6:7], v[119:120]
	v_fma_f64 v[6:7], v[101:102], v[6:7], -v[127:128]
	s_wait_loadcnt_dscnt 0x601
	v_mul_f64_e32 v[109:110], v[8:9], v[117:118]
	v_mul_f64_e32 v[117:118], v[10:11], v[117:118]
	v_add_f64_e32 v[2:3], v[2:3], v[107:108]
	v_add_f64_e32 v[99:100], v[99:100], v[105:106]
	s_wait_loadcnt_dscnt 0x500
	v_mul_f64_e32 v[105:106], v[75:76], v[125:126]
	v_mul_f64_e32 v[107:108], v[77:78], v[125:126]
	v_fma_f64 v[10:11], v[10:11], v[115:116], v[109:110]
	v_fma_f64 v[109:110], v[8:9], v[115:116], -v[117:118]
	v_add_f64_e32 v[2:3], v[2:3], v[6:7]
	v_add_f64_e32 v[103:104], v[99:100], v[103:104]
	ds_load_b128 v[6:9], v1 offset:912
	ds_load_b128 v[99:102], v1 offset:928
	v_fma_f64 v[77:78], v[77:78], v[123:124], v[105:106]
	v_fma_f64 v[75:76], v[75:76], v[123:124], -v[107:108]
	s_wait_loadcnt_dscnt 0x401
	v_mul_f64_e32 v[115:116], v[6:7], v[81:82]
	v_mul_f64_e32 v[81:82], v[8:9], v[81:82]
	v_add_f64_e32 v[2:3], v[2:3], v[109:110]
	v_add_f64_e32 v[10:11], v[103:104], v[10:11]
	s_wait_loadcnt_dscnt 0x300
	v_mul_f64_e32 v[103:104], v[99:100], v[85:86]
	v_mul_f64_e32 v[85:86], v[101:102], v[85:86]
	v_fma_f64 v[105:106], v[8:9], v[79:80], v[115:116]
	v_fma_f64 v[79:80], v[6:7], v[79:80], -v[81:82]
	v_add_f64_e32 v[2:3], v[2:3], v[75:76]
	v_add_f64_e32 v[10:11], v[10:11], v[77:78]
	ds_load_b128 v[6:9], v1 offset:944
	ds_load_b128 v[75:78], v1 offset:960
	v_fma_f64 v[101:102], v[101:102], v[83:84], v[103:104]
	v_fma_f64 v[83:84], v[99:100], v[83:84], -v[85:86]
	s_wait_loadcnt_dscnt 0x201
	v_mul_f64_e32 v[81:82], v[6:7], v[89:90]
	v_mul_f64_e32 v[89:90], v[8:9], v[89:90]
	s_wait_loadcnt_dscnt 0x100
	v_mul_f64_e32 v[85:86], v[77:78], v[93:94]
	v_add_f64_e32 v[2:3], v[2:3], v[79:80]
	v_add_f64_e32 v[10:11], v[10:11], v[105:106]
	v_mul_f64_e32 v[79:80], v[75:76], v[93:94]
	v_fma_f64 v[81:82], v[8:9], v[87:88], v[81:82]
	v_fma_f64 v[87:88], v[6:7], v[87:88], -v[89:90]
	ds_load_b128 v[6:9], v1 offset:976
	v_fma_f64 v[75:76], v[75:76], v[91:92], -v[85:86]
	v_add_f64_e32 v[2:3], v[2:3], v[83:84]
	v_add_f64_e32 v[10:11], v[10:11], v[101:102]
	v_fma_f64 v[77:78], v[77:78], v[91:92], v[79:80]
	s_wait_loadcnt_dscnt 0x0
	v_mul_f64_e32 v[83:84], v[6:7], v[97:98]
	v_mul_f64_e32 v[89:90], v[8:9], v[97:98]
	v_add_f64_e32 v[2:3], v[2:3], v[87:88]
	v_add_f64_e32 v[10:11], v[10:11], v[81:82]
	s_delay_alu instid0(VALU_DEP_4) | instskip(NEXT) | instid1(VALU_DEP_4)
	v_fma_f64 v[8:9], v[8:9], v[95:96], v[83:84]
	v_fma_f64 v[6:7], v[6:7], v[95:96], -v[89:90]
	s_delay_alu instid0(VALU_DEP_4) | instskip(NEXT) | instid1(VALU_DEP_4)
	v_add_f64_e32 v[2:3], v[2:3], v[75:76]
	v_add_f64_e32 v[10:11], v[10:11], v[77:78]
	s_delay_alu instid0(VALU_DEP_2) | instskip(NEXT) | instid1(VALU_DEP_2)
	v_add_f64_e32 v[2:3], v[2:3], v[6:7]
	v_add_f64_e32 v[8:9], v[10:11], v[8:9]
	s_delay_alu instid0(VALU_DEP_2) | instskip(NEXT) | instid1(VALU_DEP_2)
	v_add_f64_e64 v[6:7], v[111:112], -v[2:3]
	v_add_f64_e64 v[8:9], v[113:114], -v[8:9]
	scratch_store_b128 off, v[6:9], off offset:64
	v_cmpx_lt_u32_e32 2, v0
	s_cbranch_execz .LBB30_195
; %bb.194:
	scratch_load_b128 v[6:9], off, s9
	v_dual_mov_b32 v2, v1 :: v_dual_mov_b32 v3, v1
	v_mov_b32_e32 v4, v1
	scratch_store_b128 off, v[1:4], off offset:48
	s_wait_loadcnt 0x0
	ds_store_b128 v5, v[6:9]
.LBB30_195:
	s_wait_alu 0xfffe
	s_or_b32 exec_lo, exec_lo, s0
	s_wait_storecnt_dscnt 0x0
	s_barrier_signal -1
	s_barrier_wait -1
	global_inv scope:SCOPE_SE
	s_clause 0x8
	scratch_load_b128 v[6:9], off, off offset:64
	scratch_load_b128 v[75:78], off, off offset:80
	;; [unrolled: 1-line block ×9, first 2 shown]
	ds_load_b128 v[107:110], v1 offset:544
	ds_load_b128 v[111:114], v1 offset:560
	scratch_load_b128 v[115:118], off, off offset:48
	s_mov_b32 s0, exec_lo
	ds_load_b128 v[123:126], v1 offset:592
	s_wait_loadcnt_dscnt 0x902
	v_mul_f64_e32 v[2:3], v[109:110], v[8:9]
	v_mul_f64_e32 v[119:120], v[107:108], v[8:9]
	scratch_load_b128 v[8:11], off, off offset:208
	s_wait_loadcnt_dscnt 0x901
	v_mul_f64_e32 v[127:128], v[111:112], v[77:78]
	v_mul_f64_e32 v[77:78], v[113:114], v[77:78]
	v_fma_f64 v[2:3], v[107:108], v[6:7], -v[2:3]
	v_fma_f64 v[6:7], v[109:110], v[6:7], v[119:120]
	ds_load_b128 v[107:110], v1 offset:576
	scratch_load_b128 v[119:122], off, off offset:224
	v_fma_f64 v[113:114], v[113:114], v[75:76], v[127:128]
	v_fma_f64 v[111:112], v[111:112], v[75:76], -v[77:78]
	scratch_load_b128 v[75:78], off, off offset:240
	s_wait_loadcnt_dscnt 0x901
	v_mul_f64_e32 v[127:128], v[123:124], v[85:86]
	v_mul_f64_e32 v[85:86], v[125:126], v[85:86]
	s_wait_dscnt 0x0
	v_mul_f64_e32 v[129:130], v[107:108], v[81:82]
	v_mul_f64_e32 v[81:82], v[109:110], v[81:82]
	v_add_f64_e32 v[2:3], 0, v[2:3]
	v_add_f64_e32 v[6:7], 0, v[6:7]
	v_fma_f64 v[125:126], v[125:126], v[83:84], v[127:128]
	v_fma_f64 v[123:124], v[123:124], v[83:84], -v[85:86]
	scratch_load_b128 v[83:86], off, off offset:272
	v_fma_f64 v[129:130], v[109:110], v[79:80], v[129:130]
	v_fma_f64 v[131:132], v[107:108], v[79:80], -v[81:82]
	ds_load_b128 v[79:82], v1 offset:608
	scratch_load_b128 v[107:110], off, off offset:256
	v_add_f64_e32 v[2:3], v[2:3], v[111:112]
	v_add_f64_e32 v[6:7], v[6:7], v[113:114]
	ds_load_b128 v[111:114], v1 offset:624
	s_wait_loadcnt_dscnt 0xa01
	v_mul_f64_e32 v[133:134], v[79:80], v[89:90]
	v_mul_f64_e32 v[89:90], v[81:82], v[89:90]
	s_wait_loadcnt_dscnt 0x900
	v_mul_f64_e32 v[127:128], v[111:112], v[93:94]
	v_mul_f64_e32 v[93:94], v[113:114], v[93:94]
	v_add_f64_e32 v[2:3], v[2:3], v[131:132]
	v_add_f64_e32 v[6:7], v[6:7], v[129:130]
	v_fma_f64 v[129:130], v[81:82], v[87:88], v[133:134]
	v_fma_f64 v[131:132], v[79:80], v[87:88], -v[89:90]
	ds_load_b128 v[79:82], v1 offset:640
	scratch_load_b128 v[87:90], off, off offset:288
	v_fma_f64 v[113:114], v[113:114], v[91:92], v[127:128]
	v_fma_f64 v[111:112], v[111:112], v[91:92], -v[93:94]
	scratch_load_b128 v[91:94], off, off offset:304
	v_add_f64_e32 v[2:3], v[2:3], v[123:124]
	v_add_f64_e32 v[6:7], v[6:7], v[125:126]
	ds_load_b128 v[123:126], v1 offset:656
	s_wait_loadcnt_dscnt 0xa01
	v_mul_f64_e32 v[133:134], v[79:80], v[97:98]
	v_mul_f64_e32 v[97:98], v[81:82], v[97:98]
	s_wait_loadcnt_dscnt 0x900
	v_mul_f64_e32 v[127:128], v[123:124], v[101:102]
	v_mul_f64_e32 v[101:102], v[125:126], v[101:102]
	v_add_f64_e32 v[2:3], v[2:3], v[131:132]
	v_add_f64_e32 v[6:7], v[6:7], v[129:130]
	v_fma_f64 v[129:130], v[81:82], v[95:96], v[133:134]
	v_fma_f64 v[131:132], v[79:80], v[95:96], -v[97:98]
	ds_load_b128 v[79:82], v1 offset:672
	scratch_load_b128 v[95:98], off, off offset:320
	v_fma_f64 v[125:126], v[125:126], v[99:100], v[127:128]
	v_fma_f64 v[123:124], v[123:124], v[99:100], -v[101:102]
	scratch_load_b128 v[99:102], off, off offset:336
	v_add_f64_e32 v[2:3], v[2:3], v[111:112]
	v_add_f64_e32 v[6:7], v[6:7], v[113:114]
	ds_load_b128 v[111:114], v1 offset:688
	s_wait_loadcnt_dscnt 0xa01
	v_mul_f64_e32 v[133:134], v[79:80], v[105:106]
	v_mul_f64_e32 v[105:106], v[81:82], v[105:106]
	v_add_f64_e32 v[2:3], v[2:3], v[131:132]
	v_add_f64_e32 v[6:7], v[6:7], v[129:130]
	s_delay_alu instid0(VALU_DEP_4) | instskip(NEXT) | instid1(VALU_DEP_4)
	v_fma_f64 v[129:130], v[81:82], v[103:104], v[133:134]
	v_fma_f64 v[131:132], v[79:80], v[103:104], -v[105:106]
	ds_load_b128 v[79:82], v1 offset:704
	scratch_load_b128 v[103:106], off, off offset:352
	s_wait_loadcnt_dscnt 0x901
	v_mul_f64_e32 v[127:128], v[111:112], v[10:11]
	v_mul_f64_e32 v[10:11], v[113:114], v[10:11]
	v_add_f64_e32 v[2:3], v[2:3], v[123:124]
	v_add_f64_e32 v[6:7], v[6:7], v[125:126]
	ds_load_b128 v[123:126], v1 offset:720
	v_fma_f64 v[113:114], v[113:114], v[8:9], v[127:128]
	s_wait_loadcnt_dscnt 0x801
	v_mul_f64_e32 v[133:134], v[79:80], v[121:122]
	v_mul_f64_e32 v[121:122], v[81:82], v[121:122]
	v_fma_f64 v[10:11], v[111:112], v[8:9], -v[10:11]
	s_wait_loadcnt_dscnt 0x700
	v_mul_f64_e32 v[127:128], v[123:124], v[77:78]
	v_add_f64_e32 v[2:3], v[2:3], v[131:132]
	v_add_f64_e32 v[111:112], v[6:7], v[129:130]
	scratch_load_b128 v[6:9], off, off offset:368
	v_mul_f64_e32 v[129:130], v[125:126], v[77:78]
	v_fma_f64 v[81:82], v[81:82], v[119:120], v[133:134]
	v_fma_f64 v[131:132], v[79:80], v[119:120], -v[121:122]
	ds_load_b128 v[77:80], v1 offset:736
	ds_load_b128 v[119:122], v1 offset:752
	v_fma_f64 v[127:128], v[125:126], v[75:76], v[127:128]
	v_add_f64_e32 v[2:3], v[2:3], v[10:11]
	v_add_f64_e32 v[10:11], v[111:112], v[113:114]
	scratch_load_b128 v[111:114], off, off offset:384
	s_wait_loadcnt_dscnt 0x701
	v_mul_f64_e32 v[133:134], v[77:78], v[109:110]
	v_mul_f64_e32 v[109:110], v[79:80], v[109:110]
	v_fma_f64 v[75:76], v[123:124], v[75:76], -v[129:130]
	scratch_load_b128 v[123:126], off, off offset:400
	s_wait_dscnt 0x0
	v_mul_f64_e32 v[129:130], v[119:120], v[85:86]
	v_mul_f64_e32 v[85:86], v[121:122], v[85:86]
	v_add_f64_e32 v[2:3], v[2:3], v[131:132]
	v_add_f64_e32 v[10:11], v[10:11], v[81:82]
	v_fma_f64 v[131:132], v[79:80], v[107:108], v[133:134]
	v_fma_f64 v[133:134], v[77:78], v[107:108], -v[109:110]
	scratch_load_b128 v[79:82], off, off offset:416
	ds_load_b128 v[107:110], v1 offset:784
	v_fma_f64 v[121:122], v[121:122], v[83:84], v[129:130]
	v_fma_f64 v[119:120], v[119:120], v[83:84], -v[85:86]
	scratch_load_b128 v[83:86], off, off offset:432
	v_add_f64_e32 v[2:3], v[2:3], v[75:76]
	v_add_f64_e32 v[10:11], v[10:11], v[127:128]
	ds_load_b128 v[75:78], v1 offset:768
	s_wait_loadcnt_dscnt 0x801
	v_mul_f64_e32 v[129:130], v[107:108], v[93:94]
	v_mul_f64_e32 v[93:94], v[109:110], v[93:94]
	s_wait_dscnt 0x0
	v_mul_f64_e32 v[127:128], v[75:76], v[89:90]
	v_mul_f64_e32 v[89:90], v[77:78], v[89:90]
	v_add_f64_e32 v[2:3], v[2:3], v[133:134]
	v_add_f64_e32 v[10:11], v[10:11], v[131:132]
	v_fma_f64 v[109:110], v[109:110], v[91:92], v[129:130]
	v_fma_f64 v[107:108], v[107:108], v[91:92], -v[93:94]
	scratch_load_b128 v[91:94], off, off offset:464
	v_fma_f64 v[127:128], v[77:78], v[87:88], v[127:128]
	v_fma_f64 v[131:132], v[75:76], v[87:88], -v[89:90]
	ds_load_b128 v[75:78], v1 offset:800
	scratch_load_b128 v[87:90], off, off offset:448
	v_add_f64_e32 v[2:3], v[2:3], v[119:120]
	v_add_f64_e32 v[10:11], v[10:11], v[121:122]
	ds_load_b128 v[119:122], v1 offset:816
	s_wait_loadcnt_dscnt 0x901
	v_mul_f64_e32 v[133:134], v[75:76], v[97:98]
	v_mul_f64_e32 v[97:98], v[77:78], v[97:98]
	v_add_f64_e32 v[2:3], v[2:3], v[131:132]
	v_add_f64_e32 v[10:11], v[10:11], v[127:128]
	s_wait_loadcnt_dscnt 0x800
	v_mul_f64_e32 v[127:128], v[119:120], v[101:102]
	v_mul_f64_e32 v[101:102], v[121:122], v[101:102]
	v_fma_f64 v[129:130], v[77:78], v[95:96], v[133:134]
	v_fma_f64 v[131:132], v[75:76], v[95:96], -v[97:98]
	ds_load_b128 v[75:78], v1 offset:832
	scratch_load_b128 v[95:98], off, off offset:480
	v_add_f64_e32 v[2:3], v[2:3], v[107:108]
	v_add_f64_e32 v[10:11], v[10:11], v[109:110]
	ds_load_b128 v[107:110], v1 offset:848
	s_wait_loadcnt_dscnt 0x801
	v_mul_f64_e32 v[133:134], v[75:76], v[105:106]
	v_mul_f64_e32 v[105:106], v[77:78], v[105:106]
	v_fma_f64 v[121:122], v[121:122], v[99:100], v[127:128]
	v_fma_f64 v[119:120], v[119:120], v[99:100], -v[101:102]
	scratch_load_b128 v[99:102], off, off offset:496
	v_add_f64_e32 v[2:3], v[2:3], v[131:132]
	v_add_f64_e32 v[10:11], v[10:11], v[129:130]
	v_fma_f64 v[131:132], v[77:78], v[103:104], v[133:134]
	v_fma_f64 v[103:104], v[75:76], v[103:104], -v[105:106]
	s_wait_loadcnt_dscnt 0x800
	v_mul_f64_e32 v[127:128], v[107:108], v[8:9]
	v_mul_f64_e32 v[129:130], v[109:110], v[8:9]
	v_add_f64_e32 v[2:3], v[2:3], v[119:120]
	v_add_f64_e32 v[105:106], v[10:11], v[121:122]
	ds_load_b128 v[8:11], v1 offset:864
	ds_load_b128 v[75:78], v1 offset:880
	v_fma_f64 v[109:110], v[109:110], v[6:7], v[127:128]
	v_fma_f64 v[6:7], v[107:108], v[6:7], -v[129:130]
	s_wait_loadcnt_dscnt 0x701
	v_mul_f64_e32 v[119:120], v[8:9], v[113:114]
	v_mul_f64_e32 v[113:114], v[10:11], v[113:114]
	s_wait_loadcnt_dscnt 0x600
	v_mul_f64_e32 v[107:108], v[75:76], v[125:126]
	v_mul_f64_e32 v[121:122], v[77:78], v[125:126]
	v_add_f64_e32 v[2:3], v[2:3], v[103:104]
	v_add_f64_e32 v[103:104], v[105:106], v[131:132]
	v_fma_f64 v[10:11], v[10:11], v[111:112], v[119:120]
	v_fma_f64 v[111:112], v[8:9], v[111:112], -v[113:114]
	v_fma_f64 v[77:78], v[77:78], v[123:124], v[107:108]
	v_fma_f64 v[75:76], v[75:76], v[123:124], -v[121:122]
	v_add_f64_e32 v[2:3], v[2:3], v[6:7]
	v_add_f64_e32 v[109:110], v[103:104], v[109:110]
	ds_load_b128 v[6:9], v1 offset:896
	ds_load_b128 v[103:106], v1 offset:912
	s_wait_loadcnt_dscnt 0x501
	v_mul_f64_e32 v[113:114], v[6:7], v[81:82]
	v_mul_f64_e32 v[81:82], v[8:9], v[81:82]
	s_wait_loadcnt_dscnt 0x400
	v_mul_f64_e32 v[107:108], v[103:104], v[85:86]
	v_mul_f64_e32 v[85:86], v[105:106], v[85:86]
	v_add_f64_e32 v[2:3], v[2:3], v[111:112]
	v_add_f64_e32 v[10:11], v[109:110], v[10:11]
	v_fma_f64 v[109:110], v[8:9], v[79:80], v[113:114]
	v_fma_f64 v[79:80], v[6:7], v[79:80], -v[81:82]
	v_fma_f64 v[105:106], v[105:106], v[83:84], v[107:108]
	v_fma_f64 v[83:84], v[103:104], v[83:84], -v[85:86]
	v_add_f64_e32 v[2:3], v[2:3], v[75:76]
	v_add_f64_e32 v[10:11], v[10:11], v[77:78]
	ds_load_b128 v[6:9], v1 offset:928
	ds_load_b128 v[75:78], v1 offset:944
	s_wait_loadcnt_dscnt 0x201
	v_mul_f64_e32 v[81:82], v[6:7], v[89:90]
	v_mul_f64_e32 v[89:90], v[8:9], v[89:90]
	s_wait_dscnt 0x0
	v_mul_f64_e32 v[85:86], v[77:78], v[93:94]
	v_add_f64_e32 v[2:3], v[2:3], v[79:80]
	v_add_f64_e32 v[10:11], v[10:11], v[109:110]
	v_mul_f64_e32 v[79:80], v[75:76], v[93:94]
	v_fma_f64 v[81:82], v[8:9], v[87:88], v[81:82]
	v_fma_f64 v[87:88], v[6:7], v[87:88], -v[89:90]
	v_fma_f64 v[75:76], v[75:76], v[91:92], -v[85:86]
	v_add_f64_e32 v[83:84], v[2:3], v[83:84]
	v_add_f64_e32 v[10:11], v[10:11], v[105:106]
	ds_load_b128 v[6:9], v1 offset:960
	ds_load_b128 v[1:4], v1 offset:976
	v_fma_f64 v[77:78], v[77:78], v[91:92], v[79:80]
	s_wait_loadcnt_dscnt 0x101
	v_mul_f64_e32 v[89:90], v[6:7], v[97:98]
	v_mul_f64_e32 v[93:94], v[8:9], v[97:98]
	v_add_f64_e32 v[79:80], v[83:84], v[87:88]
	v_add_f64_e32 v[10:11], v[10:11], v[81:82]
	s_wait_loadcnt_dscnt 0x0
	v_mul_f64_e32 v[81:82], v[1:2], v[101:102]
	v_mul_f64_e32 v[83:84], v[3:4], v[101:102]
	v_fma_f64 v[8:9], v[8:9], v[95:96], v[89:90]
	v_fma_f64 v[6:7], v[6:7], v[95:96], -v[93:94]
	v_add_f64_e32 v[75:76], v[79:80], v[75:76]
	v_add_f64_e32 v[10:11], v[10:11], v[77:78]
	v_fma_f64 v[3:4], v[3:4], v[99:100], v[81:82]
	v_fma_f64 v[1:2], v[1:2], v[99:100], -v[83:84]
	s_delay_alu instid0(VALU_DEP_4) | instskip(NEXT) | instid1(VALU_DEP_4)
	v_add_f64_e32 v[6:7], v[75:76], v[6:7]
	v_add_f64_e32 v[8:9], v[10:11], v[8:9]
	s_delay_alu instid0(VALU_DEP_2) | instskip(NEXT) | instid1(VALU_DEP_2)
	v_add_f64_e32 v[1:2], v[6:7], v[1:2]
	v_add_f64_e32 v[3:4], v[8:9], v[3:4]
	s_delay_alu instid0(VALU_DEP_2) | instskip(NEXT) | instid1(VALU_DEP_2)
	v_add_f64_e64 v[1:2], v[115:116], -v[1:2]
	v_add_f64_e64 v[3:4], v[117:118], -v[3:4]
	scratch_store_b128 off, v[1:4], off offset:48
	v_cmpx_lt_u32_e32 1, v0
	s_cbranch_execz .LBB30_197
; %bb.196:
	scratch_load_b128 v[1:4], off, s11
	v_mov_b32_e32 v6, 0
	s_delay_alu instid0(VALU_DEP_1)
	v_dual_mov_b32 v7, v6 :: v_dual_mov_b32 v8, v6
	v_mov_b32_e32 v9, v6
	scratch_store_b128 off, v[6:9], off offset:32
	s_wait_loadcnt 0x0
	ds_store_b128 v5, v[1:4]
.LBB30_197:
	s_wait_alu 0xfffe
	s_or_b32 exec_lo, exec_lo, s0
	s_wait_storecnt_dscnt 0x0
	s_barrier_signal -1
	s_barrier_wait -1
	global_inv scope:SCOPE_SE
	s_clause 0x7
	scratch_load_b128 v[6:9], off, off offset:48
	scratch_load_b128 v[75:78], off, off offset:64
	;; [unrolled: 1-line block ×8, first 2 shown]
	v_mov_b32_e32 v1, 0
	s_mov_b32 s0, exec_lo
	ds_load_b128 v[103:106], v1 offset:528
	s_clause 0x1
	scratch_load_b128 v[107:110], off, off offset:176
	scratch_load_b128 v[111:114], off, off offset:32
	ds_load_b128 v[115:118], v1 offset:544
	ds_load_b128 v[123:126], v1 offset:576
	s_wait_loadcnt_dscnt 0x902
	v_mul_f64_e32 v[2:3], v[105:106], v[8:9]
	v_mul_f64_e32 v[119:120], v[103:104], v[8:9]
	scratch_load_b128 v[8:11], off, off offset:192
	v_fma_f64 v[2:3], v[103:104], v[6:7], -v[2:3]
	v_fma_f64 v[6:7], v[105:106], v[6:7], v[119:120]
	ds_load_b128 v[103:106], v1 offset:560
	s_wait_loadcnt_dscnt 0x902
	v_mul_f64_e32 v[127:128], v[115:116], v[77:78]
	v_mul_f64_e32 v[77:78], v[117:118], v[77:78]
	scratch_load_b128 v[119:122], off, off offset:208
	s_wait_loadcnt_dscnt 0x900
	v_mul_f64_e32 v[129:130], v[103:104], v[81:82]
	v_mul_f64_e32 v[81:82], v[105:106], v[81:82]
	v_add_f64_e32 v[2:3], 0, v[2:3]
	v_add_f64_e32 v[6:7], 0, v[6:7]
	v_fma_f64 v[117:118], v[117:118], v[75:76], v[127:128]
	v_fma_f64 v[115:116], v[115:116], v[75:76], -v[77:78]
	scratch_load_b128 v[75:78], off, off offset:224
	v_fma_f64 v[129:130], v[105:106], v[79:80], v[129:130]
	v_fma_f64 v[131:132], v[103:104], v[79:80], -v[81:82]
	ds_load_b128 v[79:82], v1 offset:592
	s_wait_loadcnt 0x9
	v_mul_f64_e32 v[127:128], v[123:124], v[85:86]
	v_mul_f64_e32 v[85:86], v[125:126], v[85:86]
	scratch_load_b128 v[103:106], off, off offset:240
	v_add_f64_e32 v[6:7], v[6:7], v[117:118]
	v_add_f64_e32 v[2:3], v[2:3], v[115:116]
	ds_load_b128 v[115:118], v1 offset:608
	s_wait_loadcnt_dscnt 0x901
	v_mul_f64_e32 v[133:134], v[79:80], v[89:90]
	v_mul_f64_e32 v[89:90], v[81:82], v[89:90]
	v_fma_f64 v[125:126], v[125:126], v[83:84], v[127:128]
	v_fma_f64 v[123:124], v[123:124], v[83:84], -v[85:86]
	scratch_load_b128 v[83:86], off, off offset:256
	v_add_f64_e32 v[6:7], v[6:7], v[129:130]
	v_add_f64_e32 v[2:3], v[2:3], v[131:132]
	v_fma_f64 v[129:130], v[81:82], v[87:88], v[133:134]
	v_fma_f64 v[131:132], v[79:80], v[87:88], -v[89:90]
	ds_load_b128 v[79:82], v1 offset:624
	s_wait_loadcnt_dscnt 0x901
	v_mul_f64_e32 v[127:128], v[115:116], v[93:94]
	v_mul_f64_e32 v[93:94], v[117:118], v[93:94]
	scratch_load_b128 v[87:90], off, off offset:272
	s_wait_loadcnt_dscnt 0x900
	v_mul_f64_e32 v[133:134], v[79:80], v[97:98]
	v_mul_f64_e32 v[97:98], v[81:82], v[97:98]
	v_add_f64_e32 v[6:7], v[6:7], v[125:126]
	v_add_f64_e32 v[2:3], v[2:3], v[123:124]
	ds_load_b128 v[123:126], v1 offset:640
	v_fma_f64 v[117:118], v[117:118], v[91:92], v[127:128]
	v_fma_f64 v[115:116], v[115:116], v[91:92], -v[93:94]
	scratch_load_b128 v[91:94], off, off offset:288
	v_add_f64_e32 v[6:7], v[6:7], v[129:130]
	v_add_f64_e32 v[2:3], v[2:3], v[131:132]
	v_fma_f64 v[129:130], v[81:82], v[95:96], v[133:134]
	v_fma_f64 v[131:132], v[79:80], v[95:96], -v[97:98]
	ds_load_b128 v[79:82], v1 offset:656
	s_wait_loadcnt_dscnt 0x901
	v_mul_f64_e32 v[127:128], v[123:124], v[101:102]
	v_mul_f64_e32 v[101:102], v[125:126], v[101:102]
	scratch_load_b128 v[95:98], off, off offset:304
	s_wait_loadcnt_dscnt 0x900
	v_mul_f64_e32 v[133:134], v[79:80], v[109:110]
	v_mul_f64_e32 v[109:110], v[81:82], v[109:110]
	v_add_f64_e32 v[6:7], v[6:7], v[117:118]
	v_add_f64_e32 v[2:3], v[2:3], v[115:116]
	ds_load_b128 v[115:118], v1 offset:672
	v_fma_f64 v[125:126], v[125:126], v[99:100], v[127:128]
	v_fma_f64 v[123:124], v[123:124], v[99:100], -v[101:102]
	scratch_load_b128 v[99:102], off, off offset:320
	v_add_f64_e32 v[6:7], v[6:7], v[129:130]
	v_add_f64_e32 v[2:3], v[2:3], v[131:132]
	v_fma_f64 v[129:130], v[81:82], v[107:108], v[133:134]
	v_fma_f64 v[131:132], v[79:80], v[107:108], -v[109:110]
	ds_load_b128 v[79:82], v1 offset:688
	scratch_load_b128 v[107:110], off, off offset:336
	s_wait_loadcnt_dscnt 0x901
	v_mul_f64_e32 v[127:128], v[115:116], v[10:11]
	v_mul_f64_e32 v[10:11], v[117:118], v[10:11]
	v_add_f64_e32 v[6:7], v[6:7], v[125:126]
	v_add_f64_e32 v[2:3], v[2:3], v[123:124]
	ds_load_b128 v[123:126], v1 offset:704
	v_fma_f64 v[117:118], v[117:118], v[8:9], v[127:128]
	v_fma_f64 v[10:11], v[115:116], v[8:9], -v[10:11]
	s_wait_loadcnt_dscnt 0x801
	v_mul_f64_e32 v[133:134], v[79:80], v[121:122]
	v_mul_f64_e32 v[121:122], v[81:82], v[121:122]
	v_add_f64_e32 v[115:116], v[6:7], v[129:130]
	v_add_f64_e32 v[2:3], v[2:3], v[131:132]
	scratch_load_b128 v[6:9], off, off offset:352
	v_fma_f64 v[81:82], v[81:82], v[119:120], v[133:134]
	v_fma_f64 v[131:132], v[79:80], v[119:120], -v[121:122]
	ds_load_b128 v[119:122], v1 offset:736
	s_wait_loadcnt_dscnt 0x801
	v_mul_f64_e32 v[127:128], v[123:124], v[77:78]
	v_mul_f64_e32 v[129:130], v[125:126], v[77:78]
	ds_load_b128 v[77:80], v1 offset:720
	v_add_f64_e32 v[2:3], v[2:3], v[10:11]
	v_add_f64_e32 v[10:11], v[115:116], v[117:118]
	scratch_load_b128 v[115:118], off, off offset:368
	s_wait_loadcnt_dscnt 0x800
	v_mul_f64_e32 v[133:134], v[77:78], v[105:106]
	v_mul_f64_e32 v[105:106], v[79:80], v[105:106]
	v_fma_f64 v[127:128], v[125:126], v[75:76], v[127:128]
	v_fma_f64 v[75:76], v[123:124], v[75:76], -v[129:130]
	scratch_load_b128 v[123:126], off, off offset:384
	v_add_f64_e32 v[2:3], v[2:3], v[131:132]
	v_add_f64_e32 v[10:11], v[10:11], v[81:82]
	s_wait_loadcnt 0x8
	v_mul_f64_e32 v[129:130], v[119:120], v[85:86]
	v_mul_f64_e32 v[85:86], v[121:122], v[85:86]
	v_fma_f64 v[131:132], v[79:80], v[103:104], v[133:134]
	v_fma_f64 v[133:134], v[77:78], v[103:104], -v[105:106]
	scratch_load_b128 v[79:82], off, off offset:400
	ds_load_b128 v[103:106], v1 offset:768
	v_add_f64_e32 v[2:3], v[2:3], v[75:76]
	v_add_f64_e32 v[10:11], v[10:11], v[127:128]
	ds_load_b128 v[75:78], v1 offset:752
	v_fma_f64 v[121:122], v[121:122], v[83:84], v[129:130]
	v_fma_f64 v[119:120], v[119:120], v[83:84], -v[85:86]
	scratch_load_b128 v[83:86], off, off offset:416
	s_wait_loadcnt_dscnt 0x900
	v_mul_f64_e32 v[127:128], v[75:76], v[89:90]
	v_mul_f64_e32 v[89:90], v[77:78], v[89:90]
	s_wait_loadcnt 0x8
	v_mul_f64_e32 v[129:130], v[103:104], v[93:94]
	v_mul_f64_e32 v[93:94], v[105:106], v[93:94]
	v_add_f64_e32 v[2:3], v[2:3], v[133:134]
	v_add_f64_e32 v[10:11], v[10:11], v[131:132]
	v_fma_f64 v[127:128], v[77:78], v[87:88], v[127:128]
	v_fma_f64 v[131:132], v[75:76], v[87:88], -v[89:90]
	ds_load_b128 v[75:78], v1 offset:784
	scratch_load_b128 v[87:90], off, off offset:432
	v_fma_f64 v[105:106], v[105:106], v[91:92], v[129:130]
	v_fma_f64 v[103:104], v[103:104], v[91:92], -v[93:94]
	scratch_load_b128 v[91:94], off, off offset:448
	v_add_f64_e32 v[2:3], v[2:3], v[119:120]
	v_add_f64_e32 v[10:11], v[10:11], v[121:122]
	ds_load_b128 v[119:122], v1 offset:800
	s_wait_loadcnt_dscnt 0x901
	v_mul_f64_e32 v[133:134], v[75:76], v[97:98]
	v_mul_f64_e32 v[97:98], v[77:78], v[97:98]
	s_wait_loadcnt_dscnt 0x800
	v_mul_f64_e32 v[129:130], v[121:122], v[101:102]
	v_add_f64_e32 v[2:3], v[2:3], v[131:132]
	v_add_f64_e32 v[10:11], v[10:11], v[127:128]
	v_mul_f64_e32 v[127:128], v[119:120], v[101:102]
	v_fma_f64 v[131:132], v[77:78], v[95:96], v[133:134]
	v_fma_f64 v[133:134], v[75:76], v[95:96], -v[97:98]
	ds_load_b128 v[75:78], v1 offset:816
	scratch_load_b128 v[95:98], off, off offset:464
	v_add_f64_e32 v[2:3], v[2:3], v[103:104]
	v_add_f64_e32 v[10:11], v[10:11], v[105:106]
	ds_load_b128 v[101:104], v1 offset:832
	s_wait_loadcnt_dscnt 0x801
	v_mul_f64_e32 v[105:106], v[75:76], v[109:110]
	v_mul_f64_e32 v[109:110], v[77:78], v[109:110]
	v_fma_f64 v[127:128], v[121:122], v[99:100], v[127:128]
	v_fma_f64 v[99:100], v[119:120], v[99:100], -v[129:130]
	scratch_load_b128 v[119:122], off, off offset:480
	v_add_f64_e32 v[2:3], v[2:3], v[133:134]
	v_add_f64_e32 v[10:11], v[10:11], v[131:132]
	v_fma_f64 v[133:134], v[77:78], v[107:108], v[105:106]
	v_fma_f64 v[109:110], v[75:76], v[107:108], -v[109:110]
	scratch_load_b128 v[75:78], off, off offset:496
	ds_load_b128 v[105:108], v1 offset:864
	s_wait_loadcnt_dscnt 0x901
	v_mul_f64_e32 v[129:130], v[101:102], v[8:9]
	v_mul_f64_e32 v[131:132], v[103:104], v[8:9]
	v_add_f64_e32 v[2:3], v[2:3], v[99:100]
	v_add_f64_e32 v[99:100], v[10:11], v[127:128]
	ds_load_b128 v[8:11], v1 offset:848
	v_fma_f64 v[103:104], v[103:104], v[6:7], v[129:130]
	v_fma_f64 v[6:7], v[101:102], v[6:7], -v[131:132]
	s_wait_loadcnt_dscnt 0x800
	v_mul_f64_e32 v[127:128], v[8:9], v[117:118]
	v_mul_f64_e32 v[117:118], v[10:11], v[117:118]
	v_add_f64_e32 v[2:3], v[2:3], v[109:110]
	v_add_f64_e32 v[99:100], v[99:100], v[133:134]
	s_wait_loadcnt 0x7
	v_mul_f64_e32 v[109:110], v[105:106], v[125:126]
	v_mul_f64_e32 v[125:126], v[107:108], v[125:126]
	v_fma_f64 v[10:11], v[10:11], v[115:116], v[127:128]
	v_fma_f64 v[115:116], v[8:9], v[115:116], -v[117:118]
	v_add_f64_e32 v[2:3], v[2:3], v[6:7]
	v_add_f64_e32 v[103:104], v[99:100], v[103:104]
	ds_load_b128 v[6:9], v1 offset:880
	ds_load_b128 v[99:102], v1 offset:896
	v_fma_f64 v[107:108], v[107:108], v[123:124], v[109:110]
	v_fma_f64 v[105:106], v[105:106], v[123:124], -v[125:126]
	s_wait_loadcnt_dscnt 0x601
	v_mul_f64_e32 v[117:118], v[6:7], v[81:82]
	v_mul_f64_e32 v[81:82], v[8:9], v[81:82]
	v_add_f64_e32 v[2:3], v[2:3], v[115:116]
	v_add_f64_e32 v[10:11], v[103:104], v[10:11]
	s_wait_loadcnt_dscnt 0x500
	v_mul_f64_e32 v[103:104], v[99:100], v[85:86]
	v_mul_f64_e32 v[85:86], v[101:102], v[85:86]
	v_fma_f64 v[109:110], v[8:9], v[79:80], v[117:118]
	v_fma_f64 v[115:116], v[6:7], v[79:80], -v[81:82]
	ds_load_b128 v[6:9], v1 offset:912
	ds_load_b128 v[79:82], v1 offset:928
	v_add_f64_e32 v[2:3], v[2:3], v[105:106]
	v_add_f64_e32 v[10:11], v[10:11], v[107:108]
	v_fma_f64 v[101:102], v[101:102], v[83:84], v[103:104]
	v_fma_f64 v[83:84], v[99:100], v[83:84], -v[85:86]
	s_wait_loadcnt_dscnt 0x401
	v_mul_f64_e32 v[105:106], v[6:7], v[89:90]
	v_mul_f64_e32 v[89:90], v[8:9], v[89:90]
	s_wait_loadcnt_dscnt 0x300
	v_mul_f64_e32 v[99:100], v[79:80], v[93:94]
	v_mul_f64_e32 v[93:94], v[81:82], v[93:94]
	v_add_f64_e32 v[2:3], v[2:3], v[115:116]
	v_add_f64_e32 v[10:11], v[10:11], v[109:110]
	v_fma_f64 v[103:104], v[8:9], v[87:88], v[105:106]
	v_fma_f64 v[87:88], v[6:7], v[87:88], -v[89:90]
	v_fma_f64 v[81:82], v[81:82], v[91:92], v[99:100]
	v_fma_f64 v[79:80], v[79:80], v[91:92], -v[93:94]
	v_add_f64_e32 v[2:3], v[2:3], v[83:84]
	v_add_f64_e32 v[10:11], v[10:11], v[101:102]
	ds_load_b128 v[6:9], v1 offset:944
	ds_load_b128 v[83:86], v1 offset:960
	s_wait_loadcnt_dscnt 0x201
	v_mul_f64_e32 v[89:90], v[6:7], v[97:98]
	v_mul_f64_e32 v[97:98], v[8:9], v[97:98]
	s_wait_loadcnt_dscnt 0x100
	v_mul_f64_e32 v[91:92], v[85:86], v[121:122]
	v_add_f64_e32 v[2:3], v[2:3], v[87:88]
	v_add_f64_e32 v[10:11], v[10:11], v[103:104]
	v_mul_f64_e32 v[87:88], v[83:84], v[121:122]
	v_fma_f64 v[89:90], v[8:9], v[95:96], v[89:90]
	v_fma_f64 v[93:94], v[6:7], v[95:96], -v[97:98]
	ds_load_b128 v[6:9], v1 offset:976
	v_fma_f64 v[83:84], v[83:84], v[119:120], -v[91:92]
	v_add_f64_e32 v[2:3], v[2:3], v[79:80]
	v_add_f64_e32 v[10:11], v[10:11], v[81:82]
	v_fma_f64 v[81:82], v[85:86], v[119:120], v[87:88]
	s_wait_loadcnt_dscnt 0x0
	v_mul_f64_e32 v[79:80], v[6:7], v[77:78]
	v_mul_f64_e32 v[77:78], v[8:9], v[77:78]
	v_add_f64_e32 v[2:3], v[2:3], v[93:94]
	v_add_f64_e32 v[10:11], v[10:11], v[89:90]
	s_delay_alu instid0(VALU_DEP_4) | instskip(NEXT) | instid1(VALU_DEP_4)
	v_fma_f64 v[8:9], v[8:9], v[75:76], v[79:80]
	v_fma_f64 v[6:7], v[6:7], v[75:76], -v[77:78]
	s_delay_alu instid0(VALU_DEP_4) | instskip(NEXT) | instid1(VALU_DEP_4)
	v_add_f64_e32 v[2:3], v[2:3], v[83:84]
	v_add_f64_e32 v[10:11], v[10:11], v[81:82]
	s_delay_alu instid0(VALU_DEP_2) | instskip(NEXT) | instid1(VALU_DEP_2)
	v_add_f64_e32 v[2:3], v[2:3], v[6:7]
	v_add_f64_e32 v[8:9], v[10:11], v[8:9]
	s_delay_alu instid0(VALU_DEP_2) | instskip(NEXT) | instid1(VALU_DEP_2)
	v_add_f64_e64 v[6:7], v[111:112], -v[2:3]
	v_add_f64_e64 v[8:9], v[113:114], -v[8:9]
	scratch_store_b128 off, v[6:9], off offset:32
	v_cmpx_ne_u32_e32 0, v0
	s_cbranch_execz .LBB30_199
; %bb.198:
	scratch_load_b128 v[6:9], off, off offset:16
	v_dual_mov_b32 v2, v1 :: v_dual_mov_b32 v3, v1
	v_mov_b32_e32 v4, v1
	scratch_store_b128 off, v[1:4], off offset:16
	s_wait_loadcnt 0x0
	ds_store_b128 v5, v[6:9]
.LBB30_199:
	s_wait_alu 0xfffe
	s_or_b32 exec_lo, exec_lo, s0
	s_wait_storecnt_dscnt 0x0
	s_barrier_signal -1
	s_barrier_wait -1
	global_inv scope:SCOPE_SE
	s_clause 0x8
	scratch_load_b128 v[2:5], off, off offset:32
	scratch_load_b128 v[6:9], off, off offset:48
	;; [unrolled: 1-line block ×9, first 2 shown]
	ds_load_b128 v[103:106], v1 offset:512
	ds_load_b128 v[107:110], v1 offset:528
	s_clause 0x1
	scratch_load_b128 v[111:114], off, off offset:16
	scratch_load_b128 v[115:118], off, off offset:176
	s_and_b32 vcc_lo, exec_lo, s18
	s_wait_loadcnt_dscnt 0xa01
	v_mul_f64_e32 v[10:11], v[105:106], v[4:5]
	v_mul_f64_e32 v[4:5], v[103:104], v[4:5]
	s_wait_loadcnt_dscnt 0x900
	v_mul_f64_e32 v[119:120], v[107:108], v[8:9]
	v_mul_f64_e32 v[121:122], v[109:110], v[8:9]
	s_delay_alu instid0(VALU_DEP_4) | instskip(NEXT) | instid1(VALU_DEP_4)
	v_fma_f64 v[123:124], v[103:104], v[2:3], -v[10:11]
	v_fma_f64 v[125:126], v[105:106], v[2:3], v[4:5]
	ds_load_b128 v[2:5], v1 offset:544
	ds_load_b128 v[103:106], v1 offset:560
	scratch_load_b128 v[8:11], off, off offset:192
	v_fma_f64 v[119:120], v[109:110], v[6:7], v[119:120]
	v_fma_f64 v[6:7], v[107:108], v[6:7], -v[121:122]
	scratch_load_b128 v[107:110], off, off offset:208
	s_wait_loadcnt_dscnt 0xa01
	v_mul_f64_e32 v[127:128], v[2:3], v[77:78]
	v_mul_f64_e32 v[77:78], v[4:5], v[77:78]
	v_add_f64_e32 v[121:122], 0, v[123:124]
	v_add_f64_e32 v[123:124], 0, v[125:126]
	s_wait_loadcnt_dscnt 0x900
	v_mul_f64_e32 v[125:126], v[103:104], v[81:82]
	v_mul_f64_e32 v[81:82], v[105:106], v[81:82]
	v_fma_f64 v[127:128], v[4:5], v[75:76], v[127:128]
	v_fma_f64 v[129:130], v[2:3], v[75:76], -v[77:78]
	ds_load_b128 v[2:5], v1 offset:576
	scratch_load_b128 v[75:78], off, off offset:224
	v_add_f64_e32 v[6:7], v[121:122], v[6:7]
	v_add_f64_e32 v[123:124], v[123:124], v[119:120]
	ds_load_b128 v[119:122], v1 offset:592
	v_fma_f64 v[105:106], v[105:106], v[79:80], v[125:126]
	v_fma_f64 v[103:104], v[103:104], v[79:80], -v[81:82]
	scratch_load_b128 v[79:82], off, off offset:240
	s_wait_loadcnt_dscnt 0xa01
	v_mul_f64_e32 v[131:132], v[2:3], v[85:86]
	v_mul_f64_e32 v[85:86], v[4:5], v[85:86]
	s_wait_loadcnt_dscnt 0x900
	v_mul_f64_e32 v[125:126], v[119:120], v[89:90]
	v_mul_f64_e32 v[89:90], v[121:122], v[89:90]
	v_add_f64_e32 v[6:7], v[6:7], v[129:130]
	v_add_f64_e32 v[123:124], v[123:124], v[127:128]
	v_fma_f64 v[127:128], v[4:5], v[83:84], v[131:132]
	v_fma_f64 v[129:130], v[2:3], v[83:84], -v[85:86]
	ds_load_b128 v[2:5], v1 offset:608
	scratch_load_b128 v[83:86], off, off offset:256
	v_fma_f64 v[121:122], v[121:122], v[87:88], v[125:126]
	v_fma_f64 v[119:120], v[119:120], v[87:88], -v[89:90]
	scratch_load_b128 v[87:90], off, off offset:272
	v_add_f64_e32 v[6:7], v[6:7], v[103:104]
	v_add_f64_e32 v[123:124], v[123:124], v[105:106]
	ds_load_b128 v[103:106], v1 offset:624
	s_wait_loadcnt_dscnt 0xa01
	v_mul_f64_e32 v[131:132], v[2:3], v[93:94]
	v_mul_f64_e32 v[93:94], v[4:5], v[93:94]
	s_wait_loadcnt_dscnt 0x900
	v_mul_f64_e32 v[125:126], v[103:104], v[97:98]
	v_mul_f64_e32 v[97:98], v[105:106], v[97:98]
	v_add_f64_e32 v[6:7], v[6:7], v[129:130]
	v_add_f64_e32 v[123:124], v[123:124], v[127:128]
	v_fma_f64 v[127:128], v[4:5], v[91:92], v[131:132]
	v_fma_f64 v[129:130], v[2:3], v[91:92], -v[93:94]
	ds_load_b128 v[2:5], v1 offset:640
	scratch_load_b128 v[91:94], off, off offset:288
	v_fma_f64 v[105:106], v[105:106], v[95:96], v[125:126]
	v_fma_f64 v[103:104], v[103:104], v[95:96], -v[97:98]
	scratch_load_b128 v[95:98], off, off offset:304
	v_add_f64_e32 v[6:7], v[6:7], v[119:120]
	v_add_f64_e32 v[123:124], v[123:124], v[121:122]
	ds_load_b128 v[119:122], v1 offset:656
	;; [unrolled: 18-line block ×3, first 2 shown]
	s_wait_loadcnt_dscnt 0x901
	v_mul_f64_e32 v[131:132], v[2:3], v[10:11]
	v_mul_f64_e32 v[10:11], v[4:5], v[10:11]
	s_wait_loadcnt_dscnt 0x800
	v_mul_f64_e32 v[125:126], v[103:104], v[109:110]
	v_mul_f64_e32 v[109:110], v[105:106], v[109:110]
	v_add_f64_e32 v[6:7], v[6:7], v[129:130]
	v_add_f64_e32 v[123:124], v[123:124], v[127:128]
	v_fma_f64 v[127:128], v[4:5], v[8:9], v[131:132]
	v_fma_f64 v[10:11], v[2:3], v[8:9], -v[10:11]
	ds_load_b128 v[2:5], v1 offset:704
	v_fma_f64 v[125:126], v[105:106], v[107:108], v[125:126]
	v_fma_f64 v[107:108], v[103:104], v[107:108], -v[109:110]
	scratch_load_b128 v[103:106], off, off offset:368
	v_add_f64_e32 v[129:130], v[6:7], v[119:120]
	v_add_f64_e32 v[123:124], v[123:124], v[121:122]
	scratch_load_b128 v[6:9], off, off offset:352
	ds_load_b128 v[119:122], v1 offset:720
	s_wait_loadcnt_dscnt 0x901
	v_mul_f64_e32 v[131:132], v[2:3], v[77:78]
	v_mul_f64_e32 v[77:78], v[4:5], v[77:78]
	v_add_f64_e32 v[10:11], v[129:130], v[10:11]
	v_add_f64_e32 v[109:110], v[123:124], v[127:128]
	s_wait_loadcnt_dscnt 0x800
	v_mul_f64_e32 v[123:124], v[119:120], v[81:82]
	v_mul_f64_e32 v[81:82], v[121:122], v[81:82]
	v_fma_f64 v[127:128], v[4:5], v[75:76], v[131:132]
	v_fma_f64 v[129:130], v[2:3], v[75:76], -v[77:78]
	ds_load_b128 v[2:5], v1 offset:736
	scratch_load_b128 v[75:78], off, off offset:384
	v_add_f64_e32 v[10:11], v[10:11], v[107:108]
	v_add_f64_e32 v[125:126], v[109:110], v[125:126]
	ds_load_b128 v[107:110], v1 offset:752
	s_wait_loadcnt_dscnt 0x801
	v_mul_f64_e32 v[131:132], v[2:3], v[85:86]
	v_mul_f64_e32 v[85:86], v[4:5], v[85:86]
	v_fma_f64 v[121:122], v[121:122], v[79:80], v[123:124]
	v_fma_f64 v[119:120], v[119:120], v[79:80], -v[81:82]
	scratch_load_b128 v[79:82], off, off offset:400
	v_add_f64_e32 v[10:11], v[10:11], v[129:130]
	v_add_f64_e32 v[123:124], v[125:126], v[127:128]
	s_wait_loadcnt_dscnt 0x800
	v_mul_f64_e32 v[125:126], v[107:108], v[89:90]
	v_mul_f64_e32 v[89:90], v[109:110], v[89:90]
	v_fma_f64 v[127:128], v[4:5], v[83:84], v[131:132]
	v_fma_f64 v[129:130], v[2:3], v[83:84], -v[85:86]
	ds_load_b128 v[2:5], v1 offset:768
	scratch_load_b128 v[83:86], off, off offset:416
	v_add_f64_e32 v[10:11], v[10:11], v[119:120]
	v_add_f64_e32 v[123:124], v[123:124], v[121:122]
	ds_load_b128 v[119:122], v1 offset:784
	s_wait_loadcnt_dscnt 0x801
	v_mul_f64_e32 v[131:132], v[2:3], v[93:94]
	v_mul_f64_e32 v[93:94], v[4:5], v[93:94]
	v_fma_f64 v[109:110], v[109:110], v[87:88], v[125:126]
	v_fma_f64 v[107:108], v[107:108], v[87:88], -v[89:90]
	scratch_load_b128 v[87:90], off, off offset:432
	s_wait_loadcnt_dscnt 0x800
	v_mul_f64_e32 v[125:126], v[119:120], v[97:98]
	v_mul_f64_e32 v[97:98], v[121:122], v[97:98]
	v_add_f64_e32 v[10:11], v[10:11], v[129:130]
	v_add_f64_e32 v[123:124], v[123:124], v[127:128]
	v_fma_f64 v[127:128], v[4:5], v[91:92], v[131:132]
	v_fma_f64 v[129:130], v[2:3], v[91:92], -v[93:94]
	ds_load_b128 v[2:5], v1 offset:800
	scratch_load_b128 v[91:94], off, off offset:448
	v_fma_f64 v[121:122], v[121:122], v[95:96], v[125:126]
	v_fma_f64 v[119:120], v[119:120], v[95:96], -v[97:98]
	scratch_load_b128 v[95:98], off, off offset:464
	v_add_f64_e32 v[10:11], v[10:11], v[107:108]
	v_add_f64_e32 v[123:124], v[123:124], v[109:110]
	ds_load_b128 v[107:110], v1 offset:816
	s_wait_loadcnt_dscnt 0x901
	v_mul_f64_e32 v[131:132], v[2:3], v[101:102]
	v_mul_f64_e32 v[101:102], v[4:5], v[101:102]
	s_wait_loadcnt_dscnt 0x800
	v_mul_f64_e32 v[125:126], v[107:108], v[117:118]
	v_add_f64_e32 v[10:11], v[10:11], v[129:130]
	v_add_f64_e32 v[123:124], v[123:124], v[127:128]
	v_mul_f64_e32 v[127:128], v[109:110], v[117:118]
	v_fma_f64 v[129:130], v[4:5], v[99:100], v[131:132]
	v_fma_f64 v[131:132], v[2:3], v[99:100], -v[101:102]
	ds_load_b128 v[2:5], v1 offset:832
	scratch_load_b128 v[99:102], off, off offset:480
	v_fma_f64 v[109:110], v[109:110], v[115:116], v[125:126]
	v_add_f64_e32 v[10:11], v[10:11], v[119:120]
	v_add_f64_e32 v[121:122], v[123:124], v[121:122]
	ds_load_b128 v[117:120], v1 offset:848
	v_fma_f64 v[107:108], v[107:108], v[115:116], -v[127:128]
	s_wait_loadcnt_dscnt 0x701
	v_mul_f64_e32 v[123:124], v[2:3], v[8:9]
	v_mul_f64_e32 v[133:134], v[4:5], v[8:9]
	s_wait_dscnt 0x0
	v_mul_f64_e32 v[125:126], v[117:118], v[105:106]
	v_mul_f64_e32 v[127:128], v[119:120], v[105:106]
	v_add_f64_e32 v[115:116], v[10:11], v[131:132]
	v_add_f64_e32 v[121:122], v[121:122], v[129:130]
	scratch_load_b128 v[8:11], off, off offset:496
	v_fma_f64 v[123:124], v[4:5], v[6:7], v[123:124]
	v_fma_f64 v[6:7], v[2:3], v[6:7], -v[133:134]
	v_fma_f64 v[119:120], v[119:120], v[103:104], v[125:126]
	v_fma_f64 v[103:104], v[117:118], v[103:104], -v[127:128]
	v_add_f64_e32 v[115:116], v[115:116], v[107:108]
	v_add_f64_e32 v[109:110], v[121:122], v[109:110]
	ds_load_b128 v[2:5], v1 offset:864
	ds_load_b128 v[105:108], v1 offset:880
	s_wait_loadcnt_dscnt 0x701
	v_mul_f64_e32 v[121:122], v[2:3], v[77:78]
	v_mul_f64_e32 v[77:78], v[4:5], v[77:78]
	v_add_f64_e32 v[6:7], v[115:116], v[6:7]
	v_add_f64_e32 v[109:110], v[109:110], v[123:124]
	s_wait_loadcnt_dscnt 0x600
	v_mul_f64_e32 v[115:116], v[105:106], v[81:82]
	v_mul_f64_e32 v[81:82], v[107:108], v[81:82]
	v_fma_f64 v[117:118], v[4:5], v[75:76], v[121:122]
	v_fma_f64 v[121:122], v[2:3], v[75:76], -v[77:78]
	ds_load_b128 v[2:5], v1 offset:896
	ds_load_b128 v[75:78], v1 offset:912
	v_add_f64_e32 v[6:7], v[6:7], v[103:104]
	v_add_f64_e32 v[103:104], v[109:110], v[119:120]
	v_fma_f64 v[107:108], v[107:108], v[79:80], v[115:116]
	v_fma_f64 v[79:80], v[105:106], v[79:80], -v[81:82]
	s_wait_loadcnt_dscnt 0x501
	v_mul_f64_e32 v[109:110], v[2:3], v[85:86]
	v_mul_f64_e32 v[85:86], v[4:5], v[85:86]
	v_add_f64_e32 v[6:7], v[6:7], v[121:122]
	v_add_f64_e32 v[81:82], v[103:104], v[117:118]
	s_wait_loadcnt_dscnt 0x400
	v_mul_f64_e32 v[103:104], v[75:76], v[89:90]
	v_mul_f64_e32 v[89:90], v[77:78], v[89:90]
	v_fma_f64 v[105:106], v[4:5], v[83:84], v[109:110]
	v_fma_f64 v[83:84], v[2:3], v[83:84], -v[85:86]
	v_add_f64_e32 v[6:7], v[6:7], v[79:80]
	v_add_f64_e32 v[85:86], v[81:82], v[107:108]
	ds_load_b128 v[2:5], v1 offset:928
	ds_load_b128 v[79:82], v1 offset:944
	v_fma_f64 v[77:78], v[77:78], v[87:88], v[103:104]
	v_fma_f64 v[75:76], v[75:76], v[87:88], -v[89:90]
	s_wait_loadcnt_dscnt 0x301
	v_mul_f64_e32 v[107:108], v[2:3], v[93:94]
	v_mul_f64_e32 v[93:94], v[4:5], v[93:94]
	s_wait_loadcnt_dscnt 0x200
	v_mul_f64_e32 v[87:88], v[81:82], v[97:98]
	v_add_f64_e32 v[6:7], v[6:7], v[83:84]
	v_add_f64_e32 v[83:84], v[85:86], v[105:106]
	v_mul_f64_e32 v[85:86], v[79:80], v[97:98]
	v_fma_f64 v[89:90], v[4:5], v[91:92], v[107:108]
	v_fma_f64 v[91:92], v[2:3], v[91:92], -v[93:94]
	v_fma_f64 v[79:80], v[79:80], v[95:96], -v[87:88]
	v_add_f64_e32 v[6:7], v[6:7], v[75:76]
	v_add_f64_e32 v[83:84], v[83:84], v[77:78]
	ds_load_b128 v[2:5], v1 offset:960
	ds_load_b128 v[75:78], v1 offset:976
	v_fma_f64 v[81:82], v[81:82], v[95:96], v[85:86]
	s_wait_loadcnt_dscnt 0x101
	v_mul_f64_e32 v[0:1], v[2:3], v[101:102]
	v_mul_f64_e32 v[93:94], v[4:5], v[101:102]
	v_add_f64_e32 v[6:7], v[6:7], v[91:92]
	v_add_f64_e32 v[83:84], v[83:84], v[89:90]
	s_wait_loadcnt_dscnt 0x0
	v_mul_f64_e32 v[85:86], v[75:76], v[10:11]
	v_mul_f64_e32 v[10:11], v[77:78], v[10:11]
	v_fma_f64 v[0:1], v[4:5], v[99:100], v[0:1]
	v_fma_f64 v[2:3], v[2:3], v[99:100], -v[93:94]
	v_add_f64_e32 v[4:5], v[6:7], v[79:80]
	v_add_f64_e32 v[6:7], v[83:84], v[81:82]
	v_fma_f64 v[77:78], v[77:78], v[8:9], v[85:86]
	v_fma_f64 v[8:9], v[75:76], v[8:9], -v[10:11]
	s_delay_alu instid0(VALU_DEP_4) | instskip(NEXT) | instid1(VALU_DEP_4)
	v_add_f64_e32 v[2:3], v[4:5], v[2:3]
	v_add_f64_e32 v[0:1], v[6:7], v[0:1]
	s_delay_alu instid0(VALU_DEP_2) | instskip(NEXT) | instid1(VALU_DEP_2)
	v_add_f64_e32 v[2:3], v[2:3], v[8:9]
	v_add_f64_e32 v[4:5], v[0:1], v[77:78]
	s_delay_alu instid0(VALU_DEP_2) | instskip(NEXT) | instid1(VALU_DEP_2)
	v_add_f64_e64 v[0:1], v[111:112], -v[2:3]
	v_add_f64_e64 v[2:3], v[113:114], -v[4:5]
	scratch_store_b128 off, v[0:3], off offset:16
	s_wait_alu 0xfffe
	s_cbranch_vccz .LBB30_260
; %bb.200:
	v_mov_b32_e32 v0, 0
	global_load_b32 v1, v0, s[2:3] offset:116
	s_wait_loadcnt 0x0
	v_cmp_ne_u32_e32 vcc_lo, 30, v1
	s_cbranch_vccz .LBB30_202
; %bb.201:
	v_lshlrev_b32_e32 v1, 4, v1
	s_delay_alu instid0(VALU_DEP_1)
	v_add_nc_u32_e32 v9, 16, v1
	s_clause 0x1
	scratch_load_b128 v[1:4], v9, off offset:-16
	scratch_load_b128 v[5:8], off, s24
	s_wait_loadcnt 0x1
	scratch_store_b128 off, v[1:4], s24
	s_wait_loadcnt 0x0
	scratch_store_b128 v9, v[5:8], off offset:-16
.LBB30_202:
	global_load_b32 v0, v0, s[2:3] offset:112
	s_wait_loadcnt 0x0
	v_cmp_eq_u32_e32 vcc_lo, 29, v0
	s_cbranch_vccnz .LBB30_204
; %bb.203:
	v_lshlrev_b32_e32 v0, 4, v0
	s_delay_alu instid0(VALU_DEP_1)
	v_add_nc_u32_e32 v8, 16, v0
	s_clause 0x1
	scratch_load_b128 v[0:3], v8, off offset:-16
	scratch_load_b128 v[4:7], off, s31
	s_wait_loadcnt 0x1
	scratch_store_b128 off, v[0:3], s31
	s_wait_loadcnt 0x0
	scratch_store_b128 v8, v[4:7], off offset:-16
.LBB30_204:
	v_mov_b32_e32 v0, 0
	global_load_b32 v1, v0, s[2:3] offset:108
	s_wait_loadcnt 0x0
	v_cmp_eq_u32_e32 vcc_lo, 28, v1
	s_cbranch_vccnz .LBB30_206
; %bb.205:
	v_lshlrev_b32_e32 v1, 4, v1
	s_delay_alu instid0(VALU_DEP_1)
	v_add_nc_u32_e32 v9, 16, v1
	s_clause 0x1
	scratch_load_b128 v[1:4], v9, off offset:-16
	scratch_load_b128 v[5:8], off, s21
	s_wait_loadcnt 0x1
	scratch_store_b128 off, v[1:4], s21
	s_wait_loadcnt 0x0
	scratch_store_b128 v9, v[5:8], off offset:-16
.LBB30_206:
	global_load_b32 v0, v0, s[2:3] offset:104
	s_wait_loadcnt 0x0
	v_cmp_eq_u32_e32 vcc_lo, 27, v0
	s_cbranch_vccnz .LBB30_208
; %bb.207:
	v_lshlrev_b32_e32 v0, 4, v0
	s_delay_alu instid0(VALU_DEP_1)
	v_add_nc_u32_e32 v8, 16, v0
	s_clause 0x1
	scratch_load_b128 v[0:3], v8, off offset:-16
	scratch_load_b128 v[4:7], off, s30
	s_wait_loadcnt 0x1
	scratch_store_b128 off, v[0:3], s30
	s_wait_loadcnt 0x0
	scratch_store_b128 v8, v[4:7], off offset:-16
.LBB30_208:
	v_mov_b32_e32 v0, 0
	global_load_b32 v1, v0, s[2:3] offset:100
	s_wait_loadcnt 0x0
	v_cmp_eq_u32_e32 vcc_lo, 26, v1
	s_cbranch_vccnz .LBB30_210
; %bb.209:
	v_lshlrev_b32_e32 v1, 4, v1
	s_delay_alu instid0(VALU_DEP_1)
	v_add_nc_u32_e32 v9, 16, v1
	s_clause 0x1
	scratch_load_b128 v[1:4], v9, off offset:-16
	scratch_load_b128 v[5:8], off, s20
	s_wait_loadcnt 0x1
	scratch_store_b128 off, v[1:4], s20
	s_wait_loadcnt 0x0
	scratch_store_b128 v9, v[5:8], off offset:-16
.LBB30_210:
	;; [unrolled: 33-line block ×14, first 2 shown]
	global_load_b32 v0, v0, s[2:3]
	s_wait_loadcnt 0x0
	v_cmp_eq_u32_e32 vcc_lo, 1, v0
	s_cbranch_vccnz .LBB30_260
; %bb.259:
	v_lshlrev_b32_e32 v0, 4, v0
	s_delay_alu instid0(VALU_DEP_1)
	v_add_nc_u32_e32 v8, 16, v0
	scratch_load_b128 v[0:3], v8, off offset:-16
	scratch_load_b128 v[4:7], off, off offset:16
	s_wait_loadcnt 0x1
	scratch_store_b128 off, v[0:3], off offset:16
	s_wait_loadcnt 0x0
	scratch_store_b128 v8, v[4:7], off offset:-16
.LBB30_260:
	scratch_load_b128 v[0:3], off, off offset:16
	s_clause 0x11
	scratch_load_b128 v[4:7], off, s11
	scratch_load_b128 v[8:11], off, s9
	;; [unrolled: 1-line block ×18, first 2 shown]
	s_wait_loadcnt 0x12
	global_store_b128 v[13:14], v[0:3], off
	s_clause 0x1
	scratch_load_b128 v[0:3], off, s35
	scratch_load_b128 v[139:142], off, s38
	s_wait_loadcnt 0x13
	global_store_b128 v[15:16], v[4:7], off
	s_wait_loadcnt 0x12
	global_store_b128 v[17:18], v[8:11], off
	s_clause 0x1
	scratch_load_b128 v[4:7], off, s26
	scratch_load_b128 v[8:11], off, s29
	s_wait_loadcnt 0x13
	global_store_b128 v[19:20], v[75:78], off
	s_clause 0x1
	scratch_load_b128 v[12:15], off, s23
	scratch_load_b128 v[16:19], off, s27
	;; [unrolled: 5-line block ×3, first 2 shown]
	s_wait_loadcnt 0x15
	global_store_b128 v[23:24], v[83:86], off
	s_wait_loadcnt 0x14
	global_store_b128 v[25:26], v[87:90], off
	s_clause 0x1
	scratch_load_b128 v[20:23], off, s21
	scratch_load_b128 v[83:86], off, s31
	s_wait_loadcnt 0x15
	global_store_b128 v[27:28], v[91:94], off
	s_clause 0x1
	scratch_load_b128 v[24:27], off, s24
	scratch_load_b128 v[87:90], off, s33
	s_wait_loadcnt 0x16
	global_store_b128 v[29:30], v[95:98], off
	s_wait_loadcnt 0x15
	global_store_b128 v[31:32], v[99:102], off
	;; [unrolled: 2-line block ×23, first 2 shown]
	s_nop 0
	s_sendmsg sendmsg(MSG_DEALLOC_VGPRS)
	s_endpgm
	.section	.rodata,"a",@progbits
	.p2align	6, 0x0
	.amdhsa_kernel _ZN9rocsolver6v33100L18getri_kernel_smallILi31E19rocblas_complex_numIdEPS3_EEvT1_iilPiilS6_bb
		.amdhsa_group_segment_fixed_size 1000
		.amdhsa_private_segment_fixed_size 528
		.amdhsa_kernarg_size 60
		.amdhsa_user_sgpr_count 2
		.amdhsa_user_sgpr_dispatch_ptr 0
		.amdhsa_user_sgpr_queue_ptr 0
		.amdhsa_user_sgpr_kernarg_segment_ptr 1
		.amdhsa_user_sgpr_dispatch_id 0
		.amdhsa_user_sgpr_private_segment_size 0
		.amdhsa_wavefront_size32 1
		.amdhsa_uses_dynamic_stack 0
		.amdhsa_enable_private_segment 1
		.amdhsa_system_sgpr_workgroup_id_x 1
		.amdhsa_system_sgpr_workgroup_id_y 0
		.amdhsa_system_sgpr_workgroup_id_z 0
		.amdhsa_system_sgpr_workgroup_info 0
		.amdhsa_system_vgpr_workitem_id 0
		.amdhsa_next_free_vgpr 143
		.amdhsa_next_free_sgpr 43
		.amdhsa_reserve_vcc 1
		.amdhsa_float_round_mode_32 0
		.amdhsa_float_round_mode_16_64 0
		.amdhsa_float_denorm_mode_32 3
		.amdhsa_float_denorm_mode_16_64 3
		.amdhsa_fp16_overflow 0
		.amdhsa_workgroup_processor_mode 1
		.amdhsa_memory_ordered 1
		.amdhsa_forward_progress 1
		.amdhsa_inst_pref_size 255
		.amdhsa_round_robin_scheduling 0
		.amdhsa_exception_fp_ieee_invalid_op 0
		.amdhsa_exception_fp_denorm_src 0
		.amdhsa_exception_fp_ieee_div_zero 0
		.amdhsa_exception_fp_ieee_overflow 0
		.amdhsa_exception_fp_ieee_underflow 0
		.amdhsa_exception_fp_ieee_inexact 0
		.amdhsa_exception_int_div_zero 0
	.end_amdhsa_kernel
	.section	.text._ZN9rocsolver6v33100L18getri_kernel_smallILi31E19rocblas_complex_numIdEPS3_EEvT1_iilPiilS6_bb,"axG",@progbits,_ZN9rocsolver6v33100L18getri_kernel_smallILi31E19rocblas_complex_numIdEPS3_EEvT1_iilPiilS6_bb,comdat
.Lfunc_end30:
	.size	_ZN9rocsolver6v33100L18getri_kernel_smallILi31E19rocblas_complex_numIdEPS3_EEvT1_iilPiilS6_bb, .Lfunc_end30-_ZN9rocsolver6v33100L18getri_kernel_smallILi31E19rocblas_complex_numIdEPS3_EEvT1_iilPiilS6_bb
                                        ; -- End function
	.set _ZN9rocsolver6v33100L18getri_kernel_smallILi31E19rocblas_complex_numIdEPS3_EEvT1_iilPiilS6_bb.num_vgpr, 143
	.set _ZN9rocsolver6v33100L18getri_kernel_smallILi31E19rocblas_complex_numIdEPS3_EEvT1_iilPiilS6_bb.num_agpr, 0
	.set _ZN9rocsolver6v33100L18getri_kernel_smallILi31E19rocblas_complex_numIdEPS3_EEvT1_iilPiilS6_bb.numbered_sgpr, 43
	.set _ZN9rocsolver6v33100L18getri_kernel_smallILi31E19rocblas_complex_numIdEPS3_EEvT1_iilPiilS6_bb.num_named_barrier, 0
	.set _ZN9rocsolver6v33100L18getri_kernel_smallILi31E19rocblas_complex_numIdEPS3_EEvT1_iilPiilS6_bb.private_seg_size, 528
	.set _ZN9rocsolver6v33100L18getri_kernel_smallILi31E19rocblas_complex_numIdEPS3_EEvT1_iilPiilS6_bb.uses_vcc, 1
	.set _ZN9rocsolver6v33100L18getri_kernel_smallILi31E19rocblas_complex_numIdEPS3_EEvT1_iilPiilS6_bb.uses_flat_scratch, 1
	.set _ZN9rocsolver6v33100L18getri_kernel_smallILi31E19rocblas_complex_numIdEPS3_EEvT1_iilPiilS6_bb.has_dyn_sized_stack, 0
	.set _ZN9rocsolver6v33100L18getri_kernel_smallILi31E19rocblas_complex_numIdEPS3_EEvT1_iilPiilS6_bb.has_recursion, 0
	.set _ZN9rocsolver6v33100L18getri_kernel_smallILi31E19rocblas_complex_numIdEPS3_EEvT1_iilPiilS6_bb.has_indirect_call, 0
	.section	.AMDGPU.csdata,"",@progbits
; Kernel info:
; codeLenInByte = 46936
; TotalNumSgprs: 45
; NumVgprs: 143
; ScratchSize: 528
; MemoryBound: 0
; FloatMode: 240
; IeeeMode: 1
; LDSByteSize: 1000 bytes/workgroup (compile time only)
; SGPRBlocks: 0
; VGPRBlocks: 17
; NumSGPRsForWavesPerEU: 45
; NumVGPRsForWavesPerEU: 143
; Occupancy: 10
; WaveLimiterHint : 1
; COMPUTE_PGM_RSRC2:SCRATCH_EN: 1
; COMPUTE_PGM_RSRC2:USER_SGPR: 2
; COMPUTE_PGM_RSRC2:TRAP_HANDLER: 0
; COMPUTE_PGM_RSRC2:TGID_X_EN: 1
; COMPUTE_PGM_RSRC2:TGID_Y_EN: 0
; COMPUTE_PGM_RSRC2:TGID_Z_EN: 0
; COMPUTE_PGM_RSRC2:TIDIG_COMP_CNT: 0
	.section	.text._ZN9rocsolver6v33100L18getri_kernel_smallILi32E19rocblas_complex_numIdEPS3_EEvT1_iilPiilS6_bb,"axG",@progbits,_ZN9rocsolver6v33100L18getri_kernel_smallILi32E19rocblas_complex_numIdEPS3_EEvT1_iilPiilS6_bb,comdat
	.globl	_ZN9rocsolver6v33100L18getri_kernel_smallILi32E19rocblas_complex_numIdEPS3_EEvT1_iilPiilS6_bb ; -- Begin function _ZN9rocsolver6v33100L18getri_kernel_smallILi32E19rocblas_complex_numIdEPS3_EEvT1_iilPiilS6_bb
	.p2align	8
	.type	_ZN9rocsolver6v33100L18getri_kernel_smallILi32E19rocblas_complex_numIdEPS3_EEvT1_iilPiilS6_bb,@function
_ZN9rocsolver6v33100L18getri_kernel_smallILi32E19rocblas_complex_numIdEPS3_EEvT1_iilPiilS6_bb: ; @_ZN9rocsolver6v33100L18getri_kernel_smallILi32E19rocblas_complex_numIdEPS3_EEvT1_iilPiilS6_bb
; %bb.0:
	s_mov_b32 s2, exec_lo
	v_cmpx_gt_u32_e32 32, v0
	s_cbranch_execz .LBB31_142
; %bb.1:
	s_clause 0x2
	s_load_b32 s2, s[0:1], 0x38
	s_load_b128 s[12:15], s[0:1], 0x10
	s_load_b128 s[4:7], s[0:1], 0x28
	s_mov_b32 s16, ttmp9
	s_wait_kmcnt 0x0
	s_bitcmp1_b32 s2, 8
	s_cselect_b32 s18, -1, 0
	s_bfe_u32 s2, s2, 0x10008
	s_ashr_i32 s17, ttmp9, 31
	s_cmp_eq_u32 s2, 0
                                        ; implicit-def: $sgpr2_sgpr3
	s_cbranch_scc1 .LBB31_3
; %bb.2:
	s_load_b32 s2, s[0:1], 0x20
	s_mul_u64 s[4:5], s[4:5], s[16:17]
	s_delay_alu instid0(SALU_CYCLE_1) | instskip(NEXT) | instid1(SALU_CYCLE_1)
	s_lshl_b64 s[4:5], s[4:5], 2
	s_add_nc_u64 s[4:5], s[14:15], s[4:5]
	s_wait_kmcnt 0x0
	s_ashr_i32 s3, s2, 31
	s_delay_alu instid0(SALU_CYCLE_1) | instskip(NEXT) | instid1(SALU_CYCLE_1)
	s_lshl_b64 s[2:3], s[2:3], 2
	s_add_nc_u64 s[2:3], s[4:5], s[2:3]
.LBB31_3:
	s_clause 0x1
	s_load_b128 s[8:11], s[0:1], 0x0
	s_load_b32 s41, s[0:1], 0x38
	s_mul_u64 s[0:1], s[12:13], s[16:17]
	v_lshlrev_b32_e32 v77, 4, v0
	s_lshl_b64 s[0:1], s[0:1], 4
	s_movk_i32 s12, 0xd0
	s_movk_i32 s13, 0xe0
	;; [unrolled: 1-line block ×3, first 2 shown]
	s_add_co_i32 s30, s12, 16
	s_movk_i32 s14, 0xf0
	s_movk_i32 s19, 0x110
	s_add_co_i32 s29, s13, 16
	s_add_co_i32 s27, s15, 16
	s_movk_i32 s20, 0x120
	s_movk_i32 s21, 0x130
	s_add_co_i32 s28, s14, 16
	s_movk_i32 s22, 0x140
	s_mov_b32 s26, 32
	s_mov_b32 s25, 48
	;; [unrolled: 1-line block ×3, first 2 shown]
	s_wait_kmcnt 0x0
	v_add3_u32 v5, s11, s11, v0
	s_ashr_i32 s5, s10, 31
	s_mov_b32 s4, s10
	s_add_nc_u64 s[0:1], s[8:9], s[0:1]
	s_lshl_b64 s[4:5], s[4:5], 4
	v_add_nc_u32_e32 v7, s11, v5
	v_ashrrev_i32_e32 v6, 31, v5
	s_add_nc_u64 s[0:1], s[0:1], s[4:5]
	s_ashr_i32 s9, s11, 31
	v_add_co_u32 v13, s4, s0, v77
	v_add_nc_u32_e32 v9, s11, v7
	v_ashrrev_i32_e32 v8, 31, v7
	s_mov_b32 s8, s11
	v_lshlrev_b64_e32 v[5:6], 4, v[5:6]
	v_add_co_ci_u32_e64 v14, null, s1, 0, s4
	v_ashrrev_i32_e32 v10, 31, v9
	v_add_nc_u32_e32 v23, s11, v9
	s_lshl_b64 s[8:9], s[8:9], 4
	v_lshlrev_b64_e32 v[19:20], 4, v[7:8]
	v_add_co_u32 v15, vcc_lo, v13, s8
	v_lshlrev_b64_e32 v[25:26], 4, v[9:10]
	v_add_nc_u32_e32 v27, s11, v23
	v_add_co_ci_u32_e64 v16, null, s9, v14, vcc_lo
	v_add_co_u32 v17, vcc_lo, s0, v5
	s_wait_alu 0xfffd
	v_add_co_ci_u32_e64 v18, null, s1, v6, vcc_lo
	v_add_co_u32 v21, vcc_lo, s0, v19
	s_wait_alu 0xfffd
	v_add_co_ci_u32_e64 v22, null, s1, v20, vcc_lo
	v_add_co_u32 v19, vcc_lo, s0, v25
	v_add_nc_u32_e32 v25, s11, v27
	v_ashrrev_i32_e32 v24, 31, v23
	v_ashrrev_i32_e32 v28, 31, v27
	s_wait_alu 0xfffd
	v_add_co_ci_u32_e64 v20, null, s1, v26, vcc_lo
	v_add_nc_u32_e32 v31, s11, v25
	v_ashrrev_i32_e32 v26, 31, v25
	v_lshlrev_b64_e32 v[23:24], 4, v[23:24]
	v_lshlrev_b64_e32 v[27:28], 4, v[27:28]
	global_load_b128 v[1:4], v77, s[0:1]
	v_add_nc_u32_e32 v33, s11, v31
	v_lshlrev_b64_e32 v[29:30], 4, v[25:26]
	v_ashrrev_i32_e32 v32, 31, v31
	v_add_co_u32 v23, vcc_lo, s0, v23
	s_delay_alu instid0(VALU_DEP_4)
	v_ashrrev_i32_e32 v34, 31, v33
	v_add_nc_u32_e32 v35, s11, v33
	s_wait_alu 0xfffd
	v_add_co_ci_u32_e64 v24, null, s1, v24, vcc_lo
	v_add_co_u32 v25, vcc_lo, s0, v27
	s_clause 0x3
	global_load_b128 v[5:8], v[15:16], off
	global_load_b128 v[9:12], v[17:18], off
	;; [unrolled: 1-line block ×4, first 2 shown]
	s_wait_alu 0xfffd
	v_add_co_ci_u32_e64 v26, null, s1, v28, vcc_lo
	v_add_co_u32 v27, vcc_lo, s0, v29
	s_wait_alu 0xfffd
	v_add_co_ci_u32_e64 v28, null, s1, v30, vcc_lo
	v_lshlrev_b64_e32 v[29:30], 4, v[31:32]
	v_lshlrev_b64_e32 v[31:32], 4, v[33:34]
	v_add_nc_u32_e32 v33, s11, v35
	v_ashrrev_i32_e32 v36, 31, v35
	s_clause 0x2
	global_load_b128 v[73:76], v[23:24], off
	global_load_b128 v[78:81], v[25:26], off
	;; [unrolled: 1-line block ×3, first 2 shown]
	v_add_co_u32 v29, vcc_lo, s0, v29
	v_add_nc_u32_e32 v37, s11, v33
	v_ashrrev_i32_e32 v34, 31, v33
	v_lshlrev_b64_e32 v[35:36], 4, v[35:36]
	s_wait_alu 0xfffd
	v_add_co_ci_u32_e64 v30, null, s1, v30, vcc_lo
	v_add_nc_u32_e32 v41, s11, v37
	v_lshlrev_b64_e32 v[39:40], 4, v[33:34]
	v_ashrrev_i32_e32 v38, 31, v37
	v_add_co_u32 v31, vcc_lo, s0, v31
	s_delay_alu instid0(VALU_DEP_4)
	v_ashrrev_i32_e32 v42, 31, v41
	s_wait_alu 0xfffd
	v_add_co_ci_u32_e64 v32, null, s1, v32, vcc_lo
	v_add_co_u32 v33, vcc_lo, s0, v35
	s_wait_alu 0xfffd
	v_add_co_ci_u32_e64 v34, null, s1, v36, vcc_lo
	v_lshlrev_b64_e32 v[37:38], 4, v[37:38]
	v_add_co_u32 v35, vcc_lo, s0, v39
	s_wait_alu 0xfffd
	v_add_co_ci_u32_e64 v36, null, s1, v40, vcc_lo
	v_lshlrev_b64_e32 v[39:40], 4, v[41:42]
	s_delay_alu instid0(VALU_DEP_4)
	v_add_co_u32 v37, vcc_lo, s0, v37
	s_wait_alu 0xfffd
	v_add_co_ci_u32_e64 v38, null, s1, v38, vcc_lo
	global_load_b128 v[86:89], v[29:30], off
	v_add_co_u32 v39, vcc_lo, s0, v39
	s_wait_alu 0xfffd
	v_add_co_ci_u32_e64 v40, null, s1, v40, vcc_lo
	s_clause 0x4
	global_load_b128 v[90:93], v[31:32], off
	global_load_b128 v[94:97], v[33:34], off
	;; [unrolled: 1-line block ×5, first 2 shown]
	v_add_nc_u32_e32 v41, s11, v41
	s_movk_i32 s9, 0xa0
	s_movk_i32 s10, 0xb0
	s_wait_alu 0xfffe
	s_add_co_i32 s34, s9, 16
	s_add_co_i32 s33, s10, 16
	v_add_nc_u32_e32 v43, s11, v41
	v_ashrrev_i32_e32 v42, 31, v41
	s_movk_i32 s5, 0x80
	s_movk_i32 s4, 0x70
	;; [unrolled: 1-line block ×3, first 2 shown]
	v_add_nc_u32_e32 v45, s11, v43
	v_ashrrev_i32_e32 v44, 31, v43
	v_lshlrev_b64_e32 v[41:42], 4, v[41:42]
	s_wait_alu 0xfffe
	s_add_co_i32 s36, s5, 16
	s_add_co_i32 s5, s19, 16
	v_add_nc_u32_e32 v47, s11, v45
	v_ashrrev_i32_e32 v46, 31, v45
	v_lshlrev_b64_e32 v[43:44], 4, v[43:44]
	v_add_co_u32 v41, vcc_lo, s0, v41
	s_delay_alu instid0(VALU_DEP_4)
	v_add_nc_u32_e32 v49, s11, v47
	v_ashrrev_i32_e32 v48, 31, v47
	v_lshlrev_b64_e32 v[45:46], 4, v[45:46]
	s_wait_alu 0xfffd
	v_add_co_ci_u32_e64 v42, null, s1, v42, vcc_lo
	v_add_nc_u32_e32 v51, s11, v49
	v_ashrrev_i32_e32 v50, 31, v49
	v_lshlrev_b64_e32 v[47:48], 4, v[47:48]
	v_add_co_u32 v43, vcc_lo, s0, v43
	s_delay_alu instid0(VALU_DEP_4)
	v_add_nc_u32_e32 v53, s11, v51
	v_ashrrev_i32_e32 v52, 31, v51
	v_lshlrev_b64_e32 v[49:50], 4, v[49:50]
	s_wait_alu 0xfffd
	v_add_co_ci_u32_e64 v44, null, s1, v44, vcc_lo
	v_add_nc_u32_e32 v55, s11, v53
	v_ashrrev_i32_e32 v54, 31, v53
	v_add_co_u32 v45, vcc_lo, s0, v45
	v_lshlrev_b64_e32 v[51:52], 4, v[51:52]
	s_delay_alu instid0(VALU_DEP_4)
	v_add_nc_u32_e32 v57, s11, v55
	v_ashrrev_i32_e32 v56, 31, v55
	s_wait_alu 0xfffd
	v_add_co_ci_u32_e64 v46, null, s1, v46, vcc_lo
	v_add_co_u32 v47, vcc_lo, s0, v47
	v_add_nc_u32_e32 v59, s11, v57
	v_ashrrev_i32_e32 v58, 31, v57
	v_lshlrev_b64_e32 v[53:54], 4, v[53:54]
	s_wait_alu 0xfffd
	v_add_co_ci_u32_e64 v48, null, s1, v48, vcc_lo
	v_add_nc_u32_e32 v61, s11, v59
	v_add_co_u32 v49, vcc_lo, s0, v49
	v_lshlrev_b64_e32 v[55:56], 4, v[55:56]
	s_wait_alu 0xfffd
	v_add_co_ci_u32_e64 v50, null, s1, v50, vcc_lo
	v_add_nc_u32_e32 v63, s11, v61
	v_add_co_u32 v51, vcc_lo, s0, v51
	v_lshlrev_b64_e32 v[57:58], 4, v[57:58]
	s_wait_alu 0xfffd
	v_add_co_ci_u32_e64 v52, null, s1, v52, vcc_lo
	v_add_nc_u32_e32 v138, s11, v63
	v_add_co_u32 v53, vcc_lo, s0, v53
	v_ashrrev_i32_e32 v60, 31, v59
	s_wait_alu 0xfffd
	v_add_co_ci_u32_e64 v54, null, s1, v54, vcc_lo
	v_add_nc_u32_e32 v142, s11, v138
	v_add_co_u32 v55, vcc_lo, s0, v55
	v_ashrrev_i32_e32 v62, 31, v61
	s_wait_alu 0xfffd
	v_add_co_ci_u32_e64 v56, null, s1, v56, vcc_lo
	v_add_co_u32 v57, vcc_lo, s0, v57
	v_add_nc_u32_e32 v144, s11, v142
	v_lshlrev_b64_e32 v[59:60], 4, v[59:60]
	s_wait_alu 0xfffd
	v_add_co_ci_u32_e64 v58, null, s1, v58, vcc_lo
	v_lshlrev_b64_e32 v[61:62], 4, v[61:62]
	s_clause 0x6
	global_load_b128 v[110:113], v[41:42], off
	global_load_b128 v[114:117], v[43:44], off
	global_load_b128 v[118:121], v[45:46], off
	global_load_b128 v[122:125], v[47:48], off
	global_load_b128 v[126:129], v[49:50], off
	global_load_b128 v[130:133], v[51:52], off
	global_load_b128 v[134:137], v[53:54], off
	v_ashrrev_i32_e32 v64, 31, v63
	v_ashrrev_i32_e32 v139, 31, v138
	v_add_co_u32 v59, vcc_lo, s0, v59
	v_ashrrev_i32_e32 v143, 31, v142
	s_wait_alu 0xfffd
	v_add_co_ci_u32_e64 v60, null, s1, v60, vcc_lo
	v_lshlrev_b64_e32 v[63:64], 4, v[63:64]
	v_add_co_u32 v61, vcc_lo, s0, v61
	v_ashrrev_i32_e32 v145, 31, v144
	s_wait_alu 0xfffd
	v_add_co_ci_u32_e64 v62, null, s1, v62, vcc_lo
	v_lshlrev_b64_e32 v[146:147], 4, v[138:139]
	v_add_co_u32 v63, vcc_lo, s0, v63
	s_wait_alu 0xfffd
	v_add_co_ci_u32_e64 v64, null, s1, v64, vcc_lo
	s_add_co_i32 s37, s4, 16
	s_add_co_i32 s35, s8, 16
	;; [unrolled: 1-line block ×4, first 2 shown]
	s_movk_i32 s23, 0x50
	s_wait_loadcnt 0x14
	scratch_store_b128 off, v[1:4], off offset:16
	s_wait_loadcnt 0x13
	scratch_store_b128 off, v[5:8], off offset:32
	s_clause 0x1
	global_load_b128 v[1:4], v[55:56], off
	global_load_b128 v[5:8], v[57:58], off
	s_wait_loadcnt 0x14
	scratch_store_b128 off, v[9:12], off offset:48
	s_wait_loadcnt 0x13
	scratch_store_b128 off, v[65:68], off offset:64
	s_wait_loadcnt 0x12
	scratch_store_b128 off, v[69:72], off offset:80
	v_add_nc_u32_e32 v69, s11, v144
	v_lshlrev_b64_e32 v[67:68], 4, v[142:143]
	s_clause 0x1
	global_load_b128 v[9:12], v[59:60], off
	global_load_b128 v[138:141], v[61:62], off
	v_add_co_u32 v65, vcc_lo, s0, v146
	v_add_nc_u32_e32 v71, s11, v69
	v_ashrrev_i32_e32 v70, 31, v69
	s_wait_alu 0xfffd
	v_add_co_ci_u32_e64 v66, null, s1, v147, vcc_lo
	s_wait_loadcnt 0x13
	scratch_store_b128 off, v[73:76], off offset:96
	v_lshlrev_b64_e32 v[73:74], 4, v[144:145]
	v_add_nc_u32_e32 v142, s11, v71
	v_lshlrev_b64_e32 v[75:76], 4, v[69:70]
	v_ashrrev_i32_e32 v72, 31, v71
	v_add_co_u32 v67, vcc_lo, s0, v67
	s_delay_alu instid0(VALU_DEP_4)
	v_ashrrev_i32_e32 v143, 31, v142
	s_wait_alu 0xfffd
	v_add_co_ci_u32_e64 v68, null, s1, v68, vcc_lo
	v_add_co_u32 v69, vcc_lo, s0, v73
	s_wait_alu 0xfffd
	v_add_co_ci_u32_e64 v70, null, s1, v74, vcc_lo
	v_lshlrev_b64_e32 v[73:74], 4, v[71:72]
	v_add_co_u32 v71, vcc_lo, s0, v75
	s_wait_alu 0xfffd
	v_add_co_ci_u32_e64 v72, null, s1, v76, vcc_lo
	v_lshlrev_b64_e32 v[75:76], 4, v[142:143]
	s_delay_alu instid0(VALU_DEP_4)
	v_add_co_u32 v73, vcc_lo, s0, v73
	s_wait_alu 0xfffd
	v_add_co_ci_u32_e64 v74, null, s1, v74, vcc_lo
	s_wait_loadcnt 0x12
	scratch_store_b128 off, v[78:81], off offset:112
	s_wait_loadcnt 0x11
	scratch_store_b128 off, v[82:85], off offset:128
	v_add_co_u32 v75, vcc_lo, s0, v75
	s_wait_alu 0xfffd
	v_add_co_ci_u32_e64 v76, null, s1, v76, vcc_lo
	s_clause 0x1
	global_load_b128 v[78:81], v[63:64], off
	global_load_b128 v[82:85], v[65:66], off
	s_movk_i32 s0, 0x50
	s_wait_loadcnt 0x12
	scratch_store_b128 off, v[86:89], off offset:144
	s_wait_loadcnt 0x11
	scratch_store_b128 off, v[90:93], off offset:160
	;; [unrolled: 2-line block ×3, first 2 shown]
	s_clause 0x1
	global_load_b128 v[86:89], v[67:68], off
	global_load_b128 v[90:93], v[69:70], off
	s_wait_loadcnt 0x11
	scratch_store_b128 off, v[98:101], off offset:192
	s_wait_loadcnt 0x10
	scratch_store_b128 off, v[102:105], off offset:208
	s_clause 0x2
	global_load_b128 v[94:97], v[71:72], off
	global_load_b128 v[98:101], v[73:74], off
	;; [unrolled: 1-line block ×3, first 2 shown]
	s_movk_i32 s1, 0x60
	s_wait_alu 0xfffe
	s_add_co_i32 s39, s0, 16
	s_movk_i32 s0, 0x150
	s_add_co_i32 s38, s1, 16
	s_wait_alu 0xfffe
	s_add_co_i32 s9, s0, 16
	s_movk_i32 s0, 0x160
	s_movk_i32 s1, 0x170
	s_wait_alu 0xfffe
	s_add_co_i32 s12, s0, 16
	s_add_co_i32 s10, s1, 16
	s_movk_i32 s0, 0x180
	s_movk_i32 s1, 0x190
	s_wait_alu 0xfffe
	s_add_co_i32 s15, s0, 16
	;; [unrolled: 5-line block ×3, first 2 shown]
	s_add_co_i32 s14, s1, 16
	s_movk_i32 s0, 0x1c0
	s_movk_i32 s1, 0x1d0
	;; [unrolled: 1-line block ×3, first 2 shown]
	s_wait_alu 0xfffe
	s_add_co_i32 s21, s0, 16
	s_add_co_i32 s20, s1, 16
	s_movk_i32 s0, 0x1e0
	s_movk_i32 s1, 0x1f0
	s_add_co_i32 s31, s11, 16
	s_add_co_i32 s11, s22, 16
	s_wait_alu 0xfffe
	s_add_co_i32 s22, s0, 16
	s_add_co_i32 s40, s1, 16
	s_mov_b32 s1, -1
	s_bitcmp0_b32 s41, 0
	s_wait_loadcnt 0x12
	scratch_store_b128 off, v[106:109], off offset:224
	s_wait_loadcnt 0x11
	scratch_store_b128 off, v[110:113], off offset:240
	;; [unrolled: 2-line block ×19, first 2 shown]
	s_cbranch_scc1 .LBB31_140
; %bb.4:
	v_cmp_eq_u32_e64 s0, 0, v0
	s_and_saveexec_b32 s1, s0
; %bb.5:
	v_mov_b32_e32 v1, 0
	ds_store_b32 v1, v1 offset:1024
; %bb.6:
	s_wait_alu 0xfffe
	s_or_b32 exec_lo, exec_lo, s1
	s_wait_storecnt_dscnt 0x0
	s_barrier_signal -1
	s_barrier_wait -1
	global_inv scope:SCOPE_SE
	scratch_load_b128 v[1:4], v77, off offset:16
	s_wait_loadcnt 0x0
	v_cmp_eq_f64_e32 vcc_lo, 0, v[1:2]
	v_cmp_eq_f64_e64 s1, 0, v[3:4]
	s_and_b32 s1, vcc_lo, s1
	s_wait_alu 0xfffe
	s_and_saveexec_b32 s41, s1
	s_cbranch_execz .LBB31_10
; %bb.7:
	v_mov_b32_e32 v1, 0
	s_mov_b32 s42, 0
	ds_load_b32 v2, v1 offset:1024
	s_wait_dscnt 0x0
	v_readfirstlane_b32 s1, v2
	v_add_nc_u32_e32 v2, 1, v0
	s_cmp_eq_u32 s1, 0
	s_delay_alu instid0(VALU_DEP_1) | instskip(SKIP_1) | instid1(SALU_CYCLE_1)
	v_cmp_gt_i32_e32 vcc_lo, s1, v2
	s_cselect_b32 s43, -1, 0
	s_or_b32 s43, s43, vcc_lo
	s_delay_alu instid0(SALU_CYCLE_1)
	s_and_b32 exec_lo, exec_lo, s43
	s_cbranch_execz .LBB31_10
; %bb.8:
	v_mov_b32_e32 v3, s1
.LBB31_9:                               ; =>This Inner Loop Header: Depth=1
	ds_cmpstore_rtn_b32 v3, v1, v2, v3 offset:1024
	s_wait_dscnt 0x0
	v_cmp_ne_u32_e32 vcc_lo, 0, v3
	v_cmp_le_i32_e64 s1, v3, v2
	s_and_b32 s1, vcc_lo, s1
	s_wait_alu 0xfffe
	s_and_b32 s1, exec_lo, s1
	s_wait_alu 0xfffe
	s_or_b32 s42, s1, s42
	s_delay_alu instid0(SALU_CYCLE_1)
	s_and_not1_b32 exec_lo, exec_lo, s42
	s_cbranch_execnz .LBB31_9
.LBB31_10:
	s_or_b32 exec_lo, exec_lo, s41
	v_mov_b32_e32 v1, 0
	s_barrier_signal -1
	s_barrier_wait -1
	global_inv scope:SCOPE_SE
	ds_load_b32 v2, v1 offset:1024
	s_and_saveexec_b32 s1, s0
	s_cbranch_execz .LBB31_12
; %bb.11:
	s_lshl_b64 s[42:43], s[16:17], 2
	s_delay_alu instid0(SALU_CYCLE_1)
	s_add_nc_u64 s[42:43], s[6:7], s[42:43]
	s_wait_dscnt 0x0
	global_store_b32 v1, v2, s[42:43]
.LBB31_12:
	s_wait_alu 0xfffe
	s_or_b32 exec_lo, exec_lo, s1
	s_wait_dscnt 0x0
	v_cmp_ne_u32_e32 vcc_lo, 0, v2
	s_mov_b32 s1, 0
	s_cbranch_vccnz .LBB31_140
; %bb.13:
	v_add_nc_u32_e32 v78, 16, v77
                                        ; implicit-def: $vgpr1_vgpr2
                                        ; implicit-def: $vgpr9_vgpr10
	scratch_load_b128 v[5:8], v78, off
	s_wait_loadcnt 0x0
	v_cmp_ngt_f64_e64 s1, |v[5:6]|, |v[7:8]|
	s_wait_alu 0xfffe
	s_and_saveexec_b32 s41, s1
	s_delay_alu instid0(SALU_CYCLE_1)
	s_xor_b32 s1, exec_lo, s41
	s_cbranch_execz .LBB31_15
; %bb.14:
	v_div_scale_f64 v[1:2], null, v[7:8], v[7:8], v[5:6]
	v_div_scale_f64 v[11:12], vcc_lo, v[5:6], v[7:8], v[5:6]
	s_delay_alu instid0(VALU_DEP_2) | instskip(NEXT) | instid1(TRANS32_DEP_1)
	v_rcp_f64_e32 v[3:4], v[1:2]
	v_fma_f64 v[9:10], -v[1:2], v[3:4], 1.0
	s_delay_alu instid0(VALU_DEP_1) | instskip(NEXT) | instid1(VALU_DEP_1)
	v_fma_f64 v[3:4], v[3:4], v[9:10], v[3:4]
	v_fma_f64 v[9:10], -v[1:2], v[3:4], 1.0
	s_delay_alu instid0(VALU_DEP_1) | instskip(NEXT) | instid1(VALU_DEP_1)
	v_fma_f64 v[3:4], v[3:4], v[9:10], v[3:4]
	v_mul_f64_e32 v[9:10], v[11:12], v[3:4]
	s_delay_alu instid0(VALU_DEP_1) | instskip(SKIP_1) | instid1(VALU_DEP_1)
	v_fma_f64 v[1:2], -v[1:2], v[9:10], v[11:12]
	s_wait_alu 0xfffd
	v_div_fmas_f64 v[1:2], v[1:2], v[3:4], v[9:10]
	s_delay_alu instid0(VALU_DEP_1) | instskip(NEXT) | instid1(VALU_DEP_1)
	v_div_fixup_f64 v[1:2], v[1:2], v[7:8], v[5:6]
	v_fma_f64 v[3:4], v[5:6], v[1:2], v[7:8]
	s_delay_alu instid0(VALU_DEP_1) | instskip(SKIP_1) | instid1(VALU_DEP_2)
	v_div_scale_f64 v[5:6], null, v[3:4], v[3:4], 1.0
	v_div_scale_f64 v[11:12], vcc_lo, 1.0, v[3:4], 1.0
	v_rcp_f64_e32 v[7:8], v[5:6]
	s_delay_alu instid0(TRANS32_DEP_1) | instskip(NEXT) | instid1(VALU_DEP_1)
	v_fma_f64 v[9:10], -v[5:6], v[7:8], 1.0
	v_fma_f64 v[7:8], v[7:8], v[9:10], v[7:8]
	s_delay_alu instid0(VALU_DEP_1) | instskip(NEXT) | instid1(VALU_DEP_1)
	v_fma_f64 v[9:10], -v[5:6], v[7:8], 1.0
	v_fma_f64 v[7:8], v[7:8], v[9:10], v[7:8]
	s_delay_alu instid0(VALU_DEP_1) | instskip(NEXT) | instid1(VALU_DEP_1)
	v_mul_f64_e32 v[9:10], v[11:12], v[7:8]
	v_fma_f64 v[5:6], -v[5:6], v[9:10], v[11:12]
	s_wait_alu 0xfffd
	s_delay_alu instid0(VALU_DEP_1) | instskip(NEXT) | instid1(VALU_DEP_1)
	v_div_fmas_f64 v[5:6], v[5:6], v[7:8], v[9:10]
	v_div_fixup_f64 v[3:4], v[5:6], v[3:4], 1.0
                                        ; implicit-def: $vgpr5_vgpr6
	s_delay_alu instid0(VALU_DEP_1) | instskip(SKIP_1) | instid1(VALU_DEP_2)
	v_mul_f64_e32 v[1:2], v[1:2], v[3:4]
	v_xor_b32_e32 v4, 0x80000000, v4
	v_xor_b32_e32 v10, 0x80000000, v2
	s_delay_alu instid0(VALU_DEP_3)
	v_mov_b32_e32 v9, v1
.LBB31_15:
	s_wait_alu 0xfffe
	s_and_not1_saveexec_b32 s1, s1
	s_cbranch_execz .LBB31_17
; %bb.16:
	v_div_scale_f64 v[1:2], null, v[5:6], v[5:6], v[7:8]
	v_div_scale_f64 v[11:12], vcc_lo, v[7:8], v[5:6], v[7:8]
	s_delay_alu instid0(VALU_DEP_2) | instskip(NEXT) | instid1(TRANS32_DEP_1)
	v_rcp_f64_e32 v[3:4], v[1:2]
	v_fma_f64 v[9:10], -v[1:2], v[3:4], 1.0
	s_delay_alu instid0(VALU_DEP_1) | instskip(NEXT) | instid1(VALU_DEP_1)
	v_fma_f64 v[3:4], v[3:4], v[9:10], v[3:4]
	v_fma_f64 v[9:10], -v[1:2], v[3:4], 1.0
	s_delay_alu instid0(VALU_DEP_1) | instskip(NEXT) | instid1(VALU_DEP_1)
	v_fma_f64 v[3:4], v[3:4], v[9:10], v[3:4]
	v_mul_f64_e32 v[9:10], v[11:12], v[3:4]
	s_delay_alu instid0(VALU_DEP_1) | instskip(SKIP_1) | instid1(VALU_DEP_1)
	v_fma_f64 v[1:2], -v[1:2], v[9:10], v[11:12]
	s_wait_alu 0xfffd
	v_div_fmas_f64 v[1:2], v[1:2], v[3:4], v[9:10]
	s_delay_alu instid0(VALU_DEP_1) | instskip(NEXT) | instid1(VALU_DEP_1)
	v_div_fixup_f64 v[3:4], v[1:2], v[5:6], v[7:8]
	v_fma_f64 v[1:2], v[7:8], v[3:4], v[5:6]
	s_delay_alu instid0(VALU_DEP_1) | instskip(NEXT) | instid1(VALU_DEP_1)
	v_div_scale_f64 v[5:6], null, v[1:2], v[1:2], 1.0
	v_rcp_f64_e32 v[7:8], v[5:6]
	s_delay_alu instid0(TRANS32_DEP_1) | instskip(NEXT) | instid1(VALU_DEP_1)
	v_fma_f64 v[9:10], -v[5:6], v[7:8], 1.0
	v_fma_f64 v[7:8], v[7:8], v[9:10], v[7:8]
	s_delay_alu instid0(VALU_DEP_1) | instskip(NEXT) | instid1(VALU_DEP_1)
	v_fma_f64 v[9:10], -v[5:6], v[7:8], 1.0
	v_fma_f64 v[7:8], v[7:8], v[9:10], v[7:8]
	v_div_scale_f64 v[9:10], vcc_lo, 1.0, v[1:2], 1.0
	s_delay_alu instid0(VALU_DEP_1) | instskip(NEXT) | instid1(VALU_DEP_1)
	v_mul_f64_e32 v[11:12], v[9:10], v[7:8]
	v_fma_f64 v[5:6], -v[5:6], v[11:12], v[9:10]
	s_wait_alu 0xfffd
	s_delay_alu instid0(VALU_DEP_1) | instskip(NEXT) | instid1(VALU_DEP_1)
	v_div_fmas_f64 v[5:6], v[5:6], v[7:8], v[11:12]
	v_div_fixup_f64 v[1:2], v[5:6], v[1:2], 1.0
	s_delay_alu instid0(VALU_DEP_1)
	v_mul_f64_e64 v[3:4], v[3:4], -v[1:2]
	v_xor_b32_e32 v10, 0x80000000, v2
	v_mov_b32_e32 v9, v1
.LBB31_17:
	s_wait_alu 0xfffe
	s_or_b32 exec_lo, exec_lo, s1
	scratch_store_b128 v78, v[1:4], off
	scratch_load_b128 v[79:82], off, s26
	v_xor_b32_e32 v12, 0x80000000, v4
	v_mov_b32_e32 v11, v3
	v_add_nc_u32_e32 v5, 0x200, v77
	ds_store_b128 v77, v[9:12]
	s_wait_loadcnt 0x0
	ds_store_b128 v77, v[79:82] offset:512
	s_wait_storecnt_dscnt 0x0
	s_barrier_signal -1
	s_barrier_wait -1
	global_inv scope:SCOPE_SE
	s_and_saveexec_b32 s1, s0
	s_cbranch_execz .LBB31_19
; %bb.18:
	scratch_load_b128 v[1:4], v78, off
	ds_load_b128 v[6:9], v5
	v_mov_b32_e32 v10, 0
	ds_load_b128 v[79:82], v10 offset:16
	s_wait_loadcnt_dscnt 0x1
	v_mul_f64_e32 v[10:11], v[6:7], v[3:4]
	v_mul_f64_e32 v[3:4], v[8:9], v[3:4]
	s_delay_alu instid0(VALU_DEP_2) | instskip(NEXT) | instid1(VALU_DEP_2)
	v_fma_f64 v[8:9], v[8:9], v[1:2], v[10:11]
	v_fma_f64 v[1:2], v[6:7], v[1:2], -v[3:4]
	s_delay_alu instid0(VALU_DEP_2) | instskip(NEXT) | instid1(VALU_DEP_2)
	v_add_f64_e32 v[3:4], 0, v[8:9]
	v_add_f64_e32 v[1:2], 0, v[1:2]
	s_wait_dscnt 0x0
	s_delay_alu instid0(VALU_DEP_2) | instskip(NEXT) | instid1(VALU_DEP_2)
	v_mul_f64_e32 v[6:7], v[3:4], v[81:82]
	v_mul_f64_e32 v[8:9], v[1:2], v[81:82]
	s_delay_alu instid0(VALU_DEP_2) | instskip(NEXT) | instid1(VALU_DEP_2)
	v_fma_f64 v[1:2], v[1:2], v[79:80], -v[6:7]
	v_fma_f64 v[3:4], v[3:4], v[79:80], v[8:9]
	scratch_store_b128 off, v[1:4], off offset:32
.LBB31_19:
	s_wait_alu 0xfffe
	s_or_b32 exec_lo, exec_lo, s1
	s_wait_loadcnt 0x0
	s_wait_storecnt 0x0
	s_barrier_signal -1
	s_barrier_wait -1
	global_inv scope:SCOPE_SE
	scratch_load_b128 v[1:4], off, s25
	s_mov_b32 s1, exec_lo
	s_wait_loadcnt 0x0
	ds_store_b128 v5, v[1:4]
	s_wait_dscnt 0x0
	s_barrier_signal -1
	s_barrier_wait -1
	global_inv scope:SCOPE_SE
	v_cmpx_gt_u32_e32 2, v0
	s_cbranch_execz .LBB31_23
; %bb.20:
	scratch_load_b128 v[1:4], v78, off
	ds_load_b128 v[6:9], v5
	s_wait_loadcnt_dscnt 0x0
	v_mul_f64_e32 v[10:11], v[8:9], v[3:4]
	v_mul_f64_e32 v[3:4], v[6:7], v[3:4]
	s_delay_alu instid0(VALU_DEP_2) | instskip(NEXT) | instid1(VALU_DEP_2)
	v_fma_f64 v[6:7], v[6:7], v[1:2], -v[10:11]
	v_fma_f64 v[3:4], v[8:9], v[1:2], v[3:4]
	s_delay_alu instid0(VALU_DEP_2) | instskip(NEXT) | instid1(VALU_DEP_2)
	v_add_f64_e32 v[1:2], 0, v[6:7]
	v_add_f64_e32 v[3:4], 0, v[3:4]
	s_and_saveexec_b32 s41, s0
	s_cbranch_execz .LBB31_22
; %bb.21:
	scratch_load_b128 v[6:9], off, off offset:32
	v_mov_b32_e32 v10, 0
	ds_load_b128 v[79:82], v10 offset:528
	s_wait_loadcnt_dscnt 0x0
	v_mul_f64_e32 v[10:11], v[79:80], v[8:9]
	v_mul_f64_e32 v[8:9], v[81:82], v[8:9]
	s_delay_alu instid0(VALU_DEP_2) | instskip(NEXT) | instid1(VALU_DEP_2)
	v_fma_f64 v[10:11], v[81:82], v[6:7], v[10:11]
	v_fma_f64 v[6:7], v[79:80], v[6:7], -v[8:9]
	s_delay_alu instid0(VALU_DEP_2) | instskip(NEXT) | instid1(VALU_DEP_2)
	v_add_f64_e32 v[3:4], v[3:4], v[10:11]
	v_add_f64_e32 v[1:2], v[1:2], v[6:7]
.LBB31_22:
	s_or_b32 exec_lo, exec_lo, s41
	v_mov_b32_e32 v6, 0
	ds_load_b128 v[6:9], v6 offset:32
	s_wait_dscnt 0x0
	v_mul_f64_e32 v[10:11], v[3:4], v[8:9]
	v_mul_f64_e32 v[8:9], v[1:2], v[8:9]
	s_delay_alu instid0(VALU_DEP_2) | instskip(NEXT) | instid1(VALU_DEP_2)
	v_fma_f64 v[1:2], v[1:2], v[6:7], -v[10:11]
	v_fma_f64 v[3:4], v[3:4], v[6:7], v[8:9]
	scratch_store_b128 off, v[1:4], off offset:48
.LBB31_23:
	s_wait_alu 0xfffe
	s_or_b32 exec_lo, exec_lo, s1
	s_wait_loadcnt 0x0
	s_wait_storecnt 0x0
	s_barrier_signal -1
	s_barrier_wait -1
	global_inv scope:SCOPE_SE
	scratch_load_b128 v[1:4], off, s24
	v_add_nc_u32_e32 v6, -1, v0
	s_mov_b32 s0, exec_lo
	s_wait_loadcnt 0x0
	ds_store_b128 v5, v[1:4]
	s_wait_dscnt 0x0
	s_barrier_signal -1
	s_barrier_wait -1
	global_inv scope:SCOPE_SE
	v_cmpx_gt_u32_e32 3, v0
	s_cbranch_execz .LBB31_27
; %bb.24:
	v_dual_mov_b32 v1, 0 :: v_dual_add_nc_u32 v8, 0x200, v77
	v_mov_b32_e32 v3, 0
	v_dual_mov_b32 v2, 0 :: v_dual_add_nc_u32 v7, -1, v0
	v_mov_b32_e32 v4, 0
	v_or_b32_e32 v9, 8, v78
	s_mov_b32 s1, 0
.LBB31_25:                              ; =>This Inner Loop Header: Depth=1
	scratch_load_b128 v[79:82], v9, off offset:-8
	ds_load_b128 v[83:86], v8
	v_add_nc_u32_e32 v7, 1, v7
	v_add_nc_u32_e32 v8, 16, v8
	v_add_nc_u32_e32 v9, 16, v9
	s_delay_alu instid0(VALU_DEP_3)
	v_cmp_lt_u32_e32 vcc_lo, 1, v7
	s_wait_alu 0xfffe
	s_or_b32 s1, vcc_lo, s1
	s_wait_loadcnt_dscnt 0x0
	v_mul_f64_e32 v[10:11], v[85:86], v[81:82]
	v_mul_f64_e32 v[81:82], v[83:84], v[81:82]
	s_delay_alu instid0(VALU_DEP_2) | instskip(NEXT) | instid1(VALU_DEP_2)
	v_fma_f64 v[10:11], v[83:84], v[79:80], -v[10:11]
	v_fma_f64 v[79:80], v[85:86], v[79:80], v[81:82]
	s_delay_alu instid0(VALU_DEP_2) | instskip(NEXT) | instid1(VALU_DEP_2)
	v_add_f64_e32 v[3:4], v[3:4], v[10:11]
	v_add_f64_e32 v[1:2], v[1:2], v[79:80]
	s_wait_alu 0xfffe
	s_and_not1_b32 exec_lo, exec_lo, s1
	s_cbranch_execnz .LBB31_25
; %bb.26:
	s_or_b32 exec_lo, exec_lo, s1
	v_mov_b32_e32 v7, 0
	ds_load_b128 v[7:10], v7 offset:48
	s_wait_dscnt 0x0
	v_mul_f64_e32 v[11:12], v[1:2], v[9:10]
	v_mul_f64_e32 v[79:80], v[3:4], v[9:10]
	s_delay_alu instid0(VALU_DEP_2) | instskip(NEXT) | instid1(VALU_DEP_2)
	v_fma_f64 v[9:10], v[3:4], v[7:8], -v[11:12]
	v_fma_f64 v[11:12], v[1:2], v[7:8], v[79:80]
	scratch_store_b128 off, v[9:12], off offset:64
.LBB31_27:
	s_wait_alu 0xfffe
	s_or_b32 exec_lo, exec_lo, s0
	s_wait_loadcnt 0x0
	s_wait_storecnt 0x0
	s_barrier_signal -1
	s_barrier_wait -1
	global_inv scope:SCOPE_SE
	scratch_load_b128 v[1:4], off, s23
	s_mov_b32 s0, exec_lo
	s_wait_loadcnt 0x0
	ds_store_b128 v5, v[1:4]
	s_wait_dscnt 0x0
	s_barrier_signal -1
	s_barrier_wait -1
	global_inv scope:SCOPE_SE
	v_cmpx_gt_u32_e32 4, v0
	s_cbranch_execz .LBB31_31
; %bb.28:
	v_dual_mov_b32 v1, 0 :: v_dual_add_nc_u32 v8, 0x200, v77
	v_mov_b32_e32 v3, 0
	v_dual_mov_b32 v2, 0 :: v_dual_add_nc_u32 v7, -1, v0
	v_mov_b32_e32 v4, 0
	v_or_b32_e32 v9, 8, v78
	s_mov_b32 s1, 0
.LBB31_29:                              ; =>This Inner Loop Header: Depth=1
	scratch_load_b128 v[79:82], v9, off offset:-8
	ds_load_b128 v[83:86], v8
	v_add_nc_u32_e32 v7, 1, v7
	v_add_nc_u32_e32 v8, 16, v8
	v_add_nc_u32_e32 v9, 16, v9
	s_delay_alu instid0(VALU_DEP_3)
	v_cmp_lt_u32_e32 vcc_lo, 2, v7
	s_wait_alu 0xfffe
	s_or_b32 s1, vcc_lo, s1
	s_wait_loadcnt_dscnt 0x0
	v_mul_f64_e32 v[10:11], v[85:86], v[81:82]
	v_mul_f64_e32 v[81:82], v[83:84], v[81:82]
	s_delay_alu instid0(VALU_DEP_2) | instskip(NEXT) | instid1(VALU_DEP_2)
	v_fma_f64 v[10:11], v[83:84], v[79:80], -v[10:11]
	v_fma_f64 v[79:80], v[85:86], v[79:80], v[81:82]
	s_delay_alu instid0(VALU_DEP_2) | instskip(NEXT) | instid1(VALU_DEP_2)
	v_add_f64_e32 v[3:4], v[3:4], v[10:11]
	v_add_f64_e32 v[1:2], v[1:2], v[79:80]
	s_wait_alu 0xfffe
	s_and_not1_b32 exec_lo, exec_lo, s1
	s_cbranch_execnz .LBB31_29
; %bb.30:
	s_or_b32 exec_lo, exec_lo, s1
	v_mov_b32_e32 v7, 0
	ds_load_b128 v[7:10], v7 offset:64
	s_wait_dscnt 0x0
	v_mul_f64_e32 v[11:12], v[1:2], v[9:10]
	v_mul_f64_e32 v[79:80], v[3:4], v[9:10]
	s_delay_alu instid0(VALU_DEP_2) | instskip(NEXT) | instid1(VALU_DEP_2)
	v_fma_f64 v[9:10], v[3:4], v[7:8], -v[11:12]
	v_fma_f64 v[11:12], v[1:2], v[7:8], v[79:80]
	scratch_store_b128 off, v[9:12], off offset:80
.LBB31_31:
	s_wait_alu 0xfffe
	s_or_b32 exec_lo, exec_lo, s0
	s_wait_loadcnt 0x0
	s_wait_storecnt 0x0
	s_barrier_signal -1
	s_barrier_wait -1
	global_inv scope:SCOPE_SE
	scratch_load_b128 v[1:4], off, s39
	;; [unrolled: 58-line block ×19, first 2 shown]
	s_mov_b32 s0, exec_lo
	s_wait_loadcnt 0x0
	ds_store_b128 v5, v[1:4]
	s_wait_dscnt 0x0
	s_barrier_signal -1
	s_barrier_wait -1
	global_inv scope:SCOPE_SE
	v_cmpx_gt_u32_e32 22, v0
	s_cbranch_execz .LBB31_103
; %bb.100:
	v_dual_mov_b32 v1, 0 :: v_dual_add_nc_u32 v8, 0x200, v77
	v_mov_b32_e32 v3, 0
	v_dual_mov_b32 v2, 0 :: v_dual_add_nc_u32 v7, -1, v0
	v_mov_b32_e32 v4, 0
	v_or_b32_e32 v9, 8, v78
	s_mov_b32 s1, 0
.LBB31_101:                             ; =>This Inner Loop Header: Depth=1
	scratch_load_b128 v[79:82], v9, off offset:-8
	ds_load_b128 v[83:86], v8
	v_add_nc_u32_e32 v7, 1, v7
	v_add_nc_u32_e32 v8, 16, v8
	v_add_nc_u32_e32 v9, 16, v9
	s_delay_alu instid0(VALU_DEP_3)
	v_cmp_lt_u32_e32 vcc_lo, 20, v7
	s_wait_alu 0xfffe
	s_or_b32 s1, vcc_lo, s1
	s_wait_loadcnt_dscnt 0x0
	v_mul_f64_e32 v[10:11], v[85:86], v[81:82]
	v_mul_f64_e32 v[81:82], v[83:84], v[81:82]
	s_delay_alu instid0(VALU_DEP_2) | instskip(NEXT) | instid1(VALU_DEP_2)
	v_fma_f64 v[10:11], v[83:84], v[79:80], -v[10:11]
	v_fma_f64 v[79:80], v[85:86], v[79:80], v[81:82]
	s_delay_alu instid0(VALU_DEP_2) | instskip(NEXT) | instid1(VALU_DEP_2)
	v_add_f64_e32 v[3:4], v[3:4], v[10:11]
	v_add_f64_e32 v[1:2], v[1:2], v[79:80]
	s_wait_alu 0xfffe
	s_and_not1_b32 exec_lo, exec_lo, s1
	s_cbranch_execnz .LBB31_101
; %bb.102:
	s_or_b32 exec_lo, exec_lo, s1
	v_mov_b32_e32 v7, 0
	ds_load_b128 v[7:10], v7 offset:352
	s_wait_dscnt 0x0
	v_mul_f64_e32 v[11:12], v[1:2], v[9:10]
	v_mul_f64_e32 v[79:80], v[3:4], v[9:10]
	s_delay_alu instid0(VALU_DEP_2) | instskip(NEXT) | instid1(VALU_DEP_2)
	v_fma_f64 v[9:10], v[3:4], v[7:8], -v[11:12]
	v_fma_f64 v[11:12], v[1:2], v[7:8], v[79:80]
	scratch_store_b128 off, v[9:12], off offset:368
.LBB31_103:
	s_wait_alu 0xfffe
	s_or_b32 exec_lo, exec_lo, s0
	s_wait_loadcnt 0x0
	s_wait_storecnt 0x0
	s_barrier_signal -1
	s_barrier_wait -1
	global_inv scope:SCOPE_SE
	scratch_load_b128 v[1:4], off, s10
	s_mov_b32 s0, exec_lo
	s_wait_loadcnt 0x0
	ds_store_b128 v5, v[1:4]
	s_wait_dscnt 0x0
	s_barrier_signal -1
	s_barrier_wait -1
	global_inv scope:SCOPE_SE
	v_cmpx_gt_u32_e32 23, v0
	s_cbranch_execz .LBB31_107
; %bb.104:
	v_dual_mov_b32 v1, 0 :: v_dual_add_nc_u32 v8, 0x200, v77
	v_mov_b32_e32 v3, 0
	v_dual_mov_b32 v2, 0 :: v_dual_add_nc_u32 v7, -1, v0
	v_mov_b32_e32 v4, 0
	v_or_b32_e32 v9, 8, v78
	s_mov_b32 s1, 0
.LBB31_105:                             ; =>This Inner Loop Header: Depth=1
	scratch_load_b128 v[79:82], v9, off offset:-8
	ds_load_b128 v[83:86], v8
	v_add_nc_u32_e32 v7, 1, v7
	v_add_nc_u32_e32 v8, 16, v8
	v_add_nc_u32_e32 v9, 16, v9
	s_delay_alu instid0(VALU_DEP_3)
	v_cmp_lt_u32_e32 vcc_lo, 21, v7
	s_wait_alu 0xfffe
	s_or_b32 s1, vcc_lo, s1
	s_wait_loadcnt_dscnt 0x0
	v_mul_f64_e32 v[10:11], v[85:86], v[81:82]
	v_mul_f64_e32 v[81:82], v[83:84], v[81:82]
	s_delay_alu instid0(VALU_DEP_2) | instskip(NEXT) | instid1(VALU_DEP_2)
	v_fma_f64 v[10:11], v[83:84], v[79:80], -v[10:11]
	v_fma_f64 v[79:80], v[85:86], v[79:80], v[81:82]
	s_delay_alu instid0(VALU_DEP_2) | instskip(NEXT) | instid1(VALU_DEP_2)
	v_add_f64_e32 v[3:4], v[3:4], v[10:11]
	v_add_f64_e32 v[1:2], v[1:2], v[79:80]
	s_wait_alu 0xfffe
	s_and_not1_b32 exec_lo, exec_lo, s1
	s_cbranch_execnz .LBB31_105
; %bb.106:
	s_or_b32 exec_lo, exec_lo, s1
	v_mov_b32_e32 v7, 0
	ds_load_b128 v[7:10], v7 offset:368
	s_wait_dscnt 0x0
	v_mul_f64_e32 v[11:12], v[1:2], v[9:10]
	v_mul_f64_e32 v[79:80], v[3:4], v[9:10]
	s_delay_alu instid0(VALU_DEP_2) | instskip(NEXT) | instid1(VALU_DEP_2)
	v_fma_f64 v[9:10], v[3:4], v[7:8], -v[11:12]
	v_fma_f64 v[11:12], v[1:2], v[7:8], v[79:80]
	scratch_store_b128 off, v[9:12], off offset:384
.LBB31_107:
	s_wait_alu 0xfffe
	s_or_b32 exec_lo, exec_lo, s0
	s_wait_loadcnt 0x0
	s_wait_storecnt 0x0
	s_barrier_signal -1
	s_barrier_wait -1
	global_inv scope:SCOPE_SE
	scratch_load_b128 v[1:4], off, s15
	;; [unrolled: 58-line block ×9, first 2 shown]
	s_mov_b32 s0, exec_lo
	s_wait_loadcnt 0x0
	ds_store_b128 v5, v[1:4]
	s_wait_dscnt 0x0
	s_barrier_signal -1
	s_barrier_wait -1
	global_inv scope:SCOPE_SE
	v_cmpx_ne_u32_e32 31, v0
	s_cbranch_execz .LBB31_139
; %bb.136:
	v_mov_b32_e32 v1, 0
	v_dual_mov_b32 v2, 0 :: v_dual_mov_b32 v3, 0
	v_mov_b32_e32 v4, 0
	v_or_b32_e32 v7, 8, v78
	s_mov_b32 s1, 0
.LBB31_137:                             ; =>This Inner Loop Header: Depth=1
	scratch_load_b128 v[8:11], v7, off offset:-8
	ds_load_b128 v[77:80], v5
	v_add_nc_u32_e32 v6, 1, v6
	v_add_nc_u32_e32 v5, 16, v5
	v_add_nc_u32_e32 v7, 16, v7
	s_delay_alu instid0(VALU_DEP_3)
	v_cmp_lt_u32_e32 vcc_lo, 29, v6
	s_wait_alu 0xfffe
	s_or_b32 s1, vcc_lo, s1
	s_wait_loadcnt_dscnt 0x0
	v_mul_f64_e32 v[81:82], v[79:80], v[10:11]
	v_mul_f64_e32 v[10:11], v[77:78], v[10:11]
	s_delay_alu instid0(VALU_DEP_2) | instskip(NEXT) | instid1(VALU_DEP_2)
	v_fma_f64 v[77:78], v[77:78], v[8:9], -v[81:82]
	v_fma_f64 v[8:9], v[79:80], v[8:9], v[10:11]
	s_delay_alu instid0(VALU_DEP_2) | instskip(NEXT) | instid1(VALU_DEP_2)
	v_add_f64_e32 v[3:4], v[3:4], v[77:78]
	v_add_f64_e32 v[1:2], v[1:2], v[8:9]
	s_wait_alu 0xfffe
	s_and_not1_b32 exec_lo, exec_lo, s1
	s_cbranch_execnz .LBB31_137
; %bb.138:
	s_or_b32 exec_lo, exec_lo, s1
	v_mov_b32_e32 v5, 0
	ds_load_b128 v[5:8], v5 offset:496
	s_wait_dscnt 0x0
	v_mul_f64_e32 v[9:10], v[1:2], v[7:8]
	v_mul_f64_e32 v[7:8], v[3:4], v[7:8]
	s_delay_alu instid0(VALU_DEP_2) | instskip(NEXT) | instid1(VALU_DEP_2)
	v_fma_f64 v[3:4], v[3:4], v[5:6], -v[9:10]
	v_fma_f64 v[5:6], v[1:2], v[5:6], v[7:8]
	scratch_store_b128 off, v[3:6], off offset:512
.LBB31_139:
	s_wait_alu 0xfffe
	s_or_b32 exec_lo, exec_lo, s0
	s_mov_b32 s1, -1
	s_wait_loadcnt 0x0
	s_wait_storecnt 0x0
	s_barrier_signal -1
	s_barrier_wait -1
	global_inv scope:SCOPE_SE
.LBB31_140:
	s_wait_alu 0xfffe
	s_and_b32 vcc_lo, exec_lo, s1
	s_wait_alu 0xfffe
	s_cbranch_vccz .LBB31_142
; %bb.141:
	v_mov_b32_e32 v1, 0
	s_lshl_b64 s[0:1], s[16:17], 2
	s_wait_alu 0xfffe
	s_add_nc_u64 s[0:1], s[6:7], s[0:1]
	global_load_b32 v1, v1, s[0:1]
	s_wait_loadcnt 0x0
	v_cmp_ne_u32_e32 vcc_lo, 0, v1
	s_cbranch_vccz .LBB31_143
.LBB31_142:
	s_nop 0
	s_sendmsg sendmsg(MSG_DEALLOC_VGPRS)
	s_endpgm
.LBB31_143:
	v_lshl_add_u32 v5, v0, 4, 0x200
	s_mov_b32 s0, exec_lo
	v_cmpx_eq_u32_e32 31, v0
	s_cbranch_execz .LBB31_145
; %bb.144:
	scratch_load_b128 v[1:4], off, s22
	v_mov_b32_e32 v6, 0
	s_delay_alu instid0(VALU_DEP_1)
	v_dual_mov_b32 v7, v6 :: v_dual_mov_b32 v8, v6
	v_mov_b32_e32 v9, v6
	scratch_store_b128 off, v[6:9], off offset:496
	s_wait_loadcnt 0x0
	ds_store_b128 v5, v[1:4]
.LBB31_145:
	s_wait_alu 0xfffe
	s_or_b32 exec_lo, exec_lo, s0
	s_wait_storecnt_dscnt 0x0
	s_barrier_signal -1
	s_barrier_wait -1
	global_inv scope:SCOPE_SE
	s_clause 0x1
	scratch_load_b128 v[6:9], off, off offset:512
	scratch_load_b128 v[77:80], off, off offset:496
	v_mov_b32_e32 v1, 0
	s_mov_b32 s0, exec_lo
	ds_load_b128 v[81:84], v1 offset:1008
	s_wait_loadcnt_dscnt 0x100
	v_mul_f64_e32 v[2:3], v[83:84], v[8:9]
	v_mul_f64_e32 v[8:9], v[81:82], v[8:9]
	s_delay_alu instid0(VALU_DEP_2) | instskip(NEXT) | instid1(VALU_DEP_2)
	v_fma_f64 v[2:3], v[81:82], v[6:7], -v[2:3]
	v_fma_f64 v[6:7], v[83:84], v[6:7], v[8:9]
	s_delay_alu instid0(VALU_DEP_2) | instskip(NEXT) | instid1(VALU_DEP_2)
	v_add_f64_e32 v[2:3], 0, v[2:3]
	v_add_f64_e32 v[8:9], 0, v[6:7]
	s_wait_loadcnt 0x0
	s_delay_alu instid0(VALU_DEP_2) | instskip(NEXT) | instid1(VALU_DEP_2)
	v_add_f64_e64 v[6:7], v[77:78], -v[2:3]
	v_add_f64_e64 v[8:9], v[79:80], -v[8:9]
	scratch_store_b128 off, v[6:9], off offset:496
	v_cmpx_lt_u32_e32 29, v0
	s_cbranch_execz .LBB31_147
; %bb.146:
	scratch_load_b128 v[6:9], off, s20
	v_dual_mov_b32 v2, v1 :: v_dual_mov_b32 v3, v1
	v_mov_b32_e32 v4, v1
	scratch_store_b128 off, v[1:4], off offset:480
	s_wait_loadcnt 0x0
	ds_store_b128 v5, v[6:9]
.LBB31_147:
	s_wait_alu 0xfffe
	s_or_b32 exec_lo, exec_lo, s0
	s_wait_storecnt_dscnt 0x0
	s_barrier_signal -1
	s_barrier_wait -1
	global_inv scope:SCOPE_SE
	s_clause 0x2
	scratch_load_b128 v[6:9], off, off offset:496
	scratch_load_b128 v[77:80], off, off offset:512
	;; [unrolled: 1-line block ×3, first 2 shown]
	ds_load_b128 v[85:88], v1 offset:992
	ds_load_b128 v[1:4], v1 offset:1008
	s_mov_b32 s0, exec_lo
	s_wait_loadcnt_dscnt 0x201
	v_mul_f64_e32 v[10:11], v[87:88], v[8:9]
	v_mul_f64_e32 v[8:9], v[85:86], v[8:9]
	s_wait_loadcnt_dscnt 0x100
	v_mul_f64_e32 v[89:90], v[1:2], v[79:80]
	v_mul_f64_e32 v[79:80], v[3:4], v[79:80]
	s_delay_alu instid0(VALU_DEP_4) | instskip(NEXT) | instid1(VALU_DEP_4)
	v_fma_f64 v[10:11], v[85:86], v[6:7], -v[10:11]
	v_fma_f64 v[6:7], v[87:88], v[6:7], v[8:9]
	s_delay_alu instid0(VALU_DEP_4) | instskip(NEXT) | instid1(VALU_DEP_4)
	v_fma_f64 v[3:4], v[3:4], v[77:78], v[89:90]
	v_fma_f64 v[1:2], v[1:2], v[77:78], -v[79:80]
	s_delay_alu instid0(VALU_DEP_4) | instskip(NEXT) | instid1(VALU_DEP_4)
	v_add_f64_e32 v[8:9], 0, v[10:11]
	v_add_f64_e32 v[6:7], 0, v[6:7]
	s_delay_alu instid0(VALU_DEP_2) | instskip(NEXT) | instid1(VALU_DEP_2)
	v_add_f64_e32 v[1:2], v[8:9], v[1:2]
	v_add_f64_e32 v[3:4], v[6:7], v[3:4]
	s_wait_loadcnt 0x0
	s_delay_alu instid0(VALU_DEP_2) | instskip(NEXT) | instid1(VALU_DEP_2)
	v_add_f64_e64 v[1:2], v[81:82], -v[1:2]
	v_add_f64_e64 v[3:4], v[83:84], -v[3:4]
	scratch_store_b128 off, v[1:4], off offset:480
	v_cmpx_lt_u32_e32 28, v0
	s_cbranch_execz .LBB31_149
; %bb.148:
	scratch_load_b128 v[1:4], off, s21
	v_mov_b32_e32 v6, 0
	s_delay_alu instid0(VALU_DEP_1)
	v_dual_mov_b32 v7, v6 :: v_dual_mov_b32 v8, v6
	v_mov_b32_e32 v9, v6
	scratch_store_b128 off, v[6:9], off offset:464
	s_wait_loadcnt 0x0
	ds_store_b128 v5, v[1:4]
.LBB31_149:
	s_wait_alu 0xfffe
	s_or_b32 exec_lo, exec_lo, s0
	s_wait_storecnt_dscnt 0x0
	s_barrier_signal -1
	s_barrier_wait -1
	global_inv scope:SCOPE_SE
	s_clause 0x3
	scratch_load_b128 v[6:9], off, off offset:480
	scratch_load_b128 v[77:80], off, off offset:496
	;; [unrolled: 1-line block ×4, first 2 shown]
	v_mov_b32_e32 v1, 0
	ds_load_b128 v[89:92], v1 offset:976
	ds_load_b128 v[93:96], v1 offset:992
	s_mov_b32 s0, exec_lo
	s_wait_loadcnt_dscnt 0x301
	v_mul_f64_e32 v[2:3], v[91:92], v[8:9]
	v_mul_f64_e32 v[8:9], v[89:90], v[8:9]
	s_wait_loadcnt_dscnt 0x200
	v_mul_f64_e32 v[10:11], v[93:94], v[79:80]
	v_mul_f64_e32 v[79:80], v[95:96], v[79:80]
	s_delay_alu instid0(VALU_DEP_4) | instskip(NEXT) | instid1(VALU_DEP_4)
	v_fma_f64 v[2:3], v[89:90], v[6:7], -v[2:3]
	v_fma_f64 v[89:90], v[91:92], v[6:7], v[8:9]
	ds_load_b128 v[6:9], v1 offset:1008
	v_fma_f64 v[10:11], v[95:96], v[77:78], v[10:11]
	v_fma_f64 v[77:78], v[93:94], v[77:78], -v[79:80]
	s_wait_loadcnt_dscnt 0x100
	v_mul_f64_e32 v[91:92], v[6:7], v[83:84]
	v_mul_f64_e32 v[83:84], v[8:9], v[83:84]
	v_add_f64_e32 v[2:3], 0, v[2:3]
	v_add_f64_e32 v[79:80], 0, v[89:90]
	s_delay_alu instid0(VALU_DEP_4) | instskip(NEXT) | instid1(VALU_DEP_4)
	v_fma_f64 v[8:9], v[8:9], v[81:82], v[91:92]
	v_fma_f64 v[6:7], v[6:7], v[81:82], -v[83:84]
	s_delay_alu instid0(VALU_DEP_4) | instskip(NEXT) | instid1(VALU_DEP_4)
	v_add_f64_e32 v[2:3], v[2:3], v[77:78]
	v_add_f64_e32 v[10:11], v[79:80], v[10:11]
	s_delay_alu instid0(VALU_DEP_2) | instskip(NEXT) | instid1(VALU_DEP_2)
	v_add_f64_e32 v[2:3], v[2:3], v[6:7]
	v_add_f64_e32 v[8:9], v[10:11], v[8:9]
	s_wait_loadcnt 0x0
	s_delay_alu instid0(VALU_DEP_2) | instskip(NEXT) | instid1(VALU_DEP_2)
	v_add_f64_e64 v[6:7], v[85:86], -v[2:3]
	v_add_f64_e64 v[8:9], v[87:88], -v[8:9]
	scratch_store_b128 off, v[6:9], off offset:464
	v_cmpx_lt_u32_e32 27, v0
	s_cbranch_execz .LBB31_151
; %bb.150:
	scratch_load_b128 v[6:9], off, s14
	v_dual_mov_b32 v2, v1 :: v_dual_mov_b32 v3, v1
	v_mov_b32_e32 v4, v1
	scratch_store_b128 off, v[1:4], off offset:448
	s_wait_loadcnt 0x0
	ds_store_b128 v5, v[6:9]
.LBB31_151:
	s_wait_alu 0xfffe
	s_or_b32 exec_lo, exec_lo, s0
	s_wait_storecnt_dscnt 0x0
	s_barrier_signal -1
	s_barrier_wait -1
	global_inv scope:SCOPE_SE
	s_clause 0x4
	scratch_load_b128 v[6:9], off, off offset:464
	scratch_load_b128 v[77:80], off, off offset:480
	;; [unrolled: 1-line block ×5, first 2 shown]
	ds_load_b128 v[93:96], v1 offset:960
	ds_load_b128 v[97:100], v1 offset:976
	s_mov_b32 s0, exec_lo
	s_wait_loadcnt_dscnt 0x401
	v_mul_f64_e32 v[2:3], v[95:96], v[8:9]
	v_mul_f64_e32 v[8:9], v[93:94], v[8:9]
	s_wait_loadcnt_dscnt 0x300
	v_mul_f64_e32 v[10:11], v[97:98], v[79:80]
	v_mul_f64_e32 v[79:80], v[99:100], v[79:80]
	s_delay_alu instid0(VALU_DEP_4) | instskip(NEXT) | instid1(VALU_DEP_4)
	v_fma_f64 v[93:94], v[93:94], v[6:7], -v[2:3]
	v_fma_f64 v[95:96], v[95:96], v[6:7], v[8:9]
	ds_load_b128 v[6:9], v1 offset:992
	ds_load_b128 v[1:4], v1 offset:1008
	v_fma_f64 v[10:11], v[99:100], v[77:78], v[10:11]
	v_fma_f64 v[77:78], v[97:98], v[77:78], -v[79:80]
	s_wait_loadcnt_dscnt 0x201
	v_mul_f64_e32 v[101:102], v[6:7], v[83:84]
	v_mul_f64_e32 v[83:84], v[8:9], v[83:84]
	v_add_f64_e32 v[79:80], 0, v[93:94]
	v_add_f64_e32 v[93:94], 0, v[95:96]
	s_wait_loadcnt_dscnt 0x100
	v_mul_f64_e32 v[95:96], v[1:2], v[87:88]
	v_mul_f64_e32 v[87:88], v[3:4], v[87:88]
	v_fma_f64 v[8:9], v[8:9], v[81:82], v[101:102]
	v_fma_f64 v[6:7], v[6:7], v[81:82], -v[83:84]
	v_add_f64_e32 v[77:78], v[79:80], v[77:78]
	v_add_f64_e32 v[10:11], v[93:94], v[10:11]
	v_fma_f64 v[3:4], v[3:4], v[85:86], v[95:96]
	v_fma_f64 v[1:2], v[1:2], v[85:86], -v[87:88]
	s_delay_alu instid0(VALU_DEP_4) | instskip(NEXT) | instid1(VALU_DEP_4)
	v_add_f64_e32 v[6:7], v[77:78], v[6:7]
	v_add_f64_e32 v[8:9], v[10:11], v[8:9]
	s_delay_alu instid0(VALU_DEP_2) | instskip(NEXT) | instid1(VALU_DEP_2)
	v_add_f64_e32 v[1:2], v[6:7], v[1:2]
	v_add_f64_e32 v[3:4], v[8:9], v[3:4]
	s_wait_loadcnt 0x0
	s_delay_alu instid0(VALU_DEP_2) | instskip(NEXT) | instid1(VALU_DEP_2)
	v_add_f64_e64 v[1:2], v[89:90], -v[1:2]
	v_add_f64_e64 v[3:4], v[91:92], -v[3:4]
	scratch_store_b128 off, v[1:4], off offset:448
	v_cmpx_lt_u32_e32 26, v0
	s_cbranch_execz .LBB31_153
; %bb.152:
	scratch_load_b128 v[1:4], off, s19
	v_mov_b32_e32 v6, 0
	s_delay_alu instid0(VALU_DEP_1)
	v_dual_mov_b32 v7, v6 :: v_dual_mov_b32 v8, v6
	v_mov_b32_e32 v9, v6
	scratch_store_b128 off, v[6:9], off offset:432
	s_wait_loadcnt 0x0
	ds_store_b128 v5, v[1:4]
.LBB31_153:
	s_wait_alu 0xfffe
	s_or_b32 exec_lo, exec_lo, s0
	s_wait_storecnt_dscnt 0x0
	s_barrier_signal -1
	s_barrier_wait -1
	global_inv scope:SCOPE_SE
	s_clause 0x5
	scratch_load_b128 v[6:9], off, off offset:448
	scratch_load_b128 v[77:80], off, off offset:464
	;; [unrolled: 1-line block ×6, first 2 shown]
	v_mov_b32_e32 v1, 0
	ds_load_b128 v[97:100], v1 offset:944
	ds_load_b128 v[101:104], v1 offset:960
	s_mov_b32 s0, exec_lo
	s_wait_loadcnt_dscnt 0x501
	v_mul_f64_e32 v[2:3], v[99:100], v[8:9]
	v_mul_f64_e32 v[8:9], v[97:98], v[8:9]
	s_wait_loadcnt_dscnt 0x400
	v_mul_f64_e32 v[10:11], v[101:102], v[79:80]
	v_mul_f64_e32 v[79:80], v[103:104], v[79:80]
	s_delay_alu instid0(VALU_DEP_4) | instskip(NEXT) | instid1(VALU_DEP_4)
	v_fma_f64 v[2:3], v[97:98], v[6:7], -v[2:3]
	v_fma_f64 v[105:106], v[99:100], v[6:7], v[8:9]
	ds_load_b128 v[6:9], v1 offset:976
	ds_load_b128 v[97:100], v1 offset:992
	v_fma_f64 v[10:11], v[103:104], v[77:78], v[10:11]
	v_fma_f64 v[77:78], v[101:102], v[77:78], -v[79:80]
	s_wait_loadcnt_dscnt 0x301
	v_mul_f64_e32 v[107:108], v[6:7], v[83:84]
	v_mul_f64_e32 v[83:84], v[8:9], v[83:84]
	s_wait_loadcnt_dscnt 0x200
	v_mul_f64_e32 v[101:102], v[97:98], v[87:88]
	v_mul_f64_e32 v[87:88], v[99:100], v[87:88]
	v_add_f64_e32 v[2:3], 0, v[2:3]
	v_add_f64_e32 v[79:80], 0, v[105:106]
	v_fma_f64 v[103:104], v[8:9], v[81:82], v[107:108]
	v_fma_f64 v[81:82], v[6:7], v[81:82], -v[83:84]
	ds_load_b128 v[6:9], v1 offset:1008
	v_fma_f64 v[83:84], v[99:100], v[85:86], v[101:102]
	v_fma_f64 v[85:86], v[97:98], v[85:86], -v[87:88]
	v_add_f64_e32 v[2:3], v[2:3], v[77:78]
	v_add_f64_e32 v[10:11], v[79:80], v[10:11]
	s_wait_loadcnt_dscnt 0x100
	v_mul_f64_e32 v[77:78], v[6:7], v[91:92]
	v_mul_f64_e32 v[79:80], v[8:9], v[91:92]
	s_delay_alu instid0(VALU_DEP_4) | instskip(NEXT) | instid1(VALU_DEP_4)
	v_add_f64_e32 v[2:3], v[2:3], v[81:82]
	v_add_f64_e32 v[10:11], v[10:11], v[103:104]
	s_delay_alu instid0(VALU_DEP_4) | instskip(NEXT) | instid1(VALU_DEP_4)
	v_fma_f64 v[8:9], v[8:9], v[89:90], v[77:78]
	v_fma_f64 v[6:7], v[6:7], v[89:90], -v[79:80]
	s_delay_alu instid0(VALU_DEP_4) | instskip(NEXT) | instid1(VALU_DEP_4)
	v_add_f64_e32 v[2:3], v[2:3], v[85:86]
	v_add_f64_e32 v[10:11], v[10:11], v[83:84]
	s_delay_alu instid0(VALU_DEP_2) | instskip(NEXT) | instid1(VALU_DEP_2)
	v_add_f64_e32 v[2:3], v[2:3], v[6:7]
	v_add_f64_e32 v[8:9], v[10:11], v[8:9]
	s_wait_loadcnt 0x0
	s_delay_alu instid0(VALU_DEP_2) | instskip(NEXT) | instid1(VALU_DEP_2)
	v_add_f64_e64 v[6:7], v[93:94], -v[2:3]
	v_add_f64_e64 v[8:9], v[95:96], -v[8:9]
	scratch_store_b128 off, v[6:9], off offset:432
	v_cmpx_lt_u32_e32 25, v0
	s_cbranch_execz .LBB31_155
; %bb.154:
	scratch_load_b128 v[6:9], off, s13
	v_dual_mov_b32 v2, v1 :: v_dual_mov_b32 v3, v1
	v_mov_b32_e32 v4, v1
	scratch_store_b128 off, v[1:4], off offset:416
	s_wait_loadcnt 0x0
	ds_store_b128 v5, v[6:9]
.LBB31_155:
	s_wait_alu 0xfffe
	s_or_b32 exec_lo, exec_lo, s0
	s_wait_storecnt_dscnt 0x0
	s_barrier_signal -1
	s_barrier_wait -1
	global_inv scope:SCOPE_SE
	s_clause 0x5
	scratch_load_b128 v[6:9], off, off offset:432
	scratch_load_b128 v[77:80], off, off offset:448
	;; [unrolled: 1-line block ×6, first 2 shown]
	ds_load_b128 v[97:100], v1 offset:928
	ds_load_b128 v[105:108], v1 offset:944
	scratch_load_b128 v[101:104], off, off offset:416
	s_mov_b32 s0, exec_lo
	s_wait_loadcnt_dscnt 0x601
	v_mul_f64_e32 v[2:3], v[99:100], v[8:9]
	v_mul_f64_e32 v[8:9], v[97:98], v[8:9]
	s_wait_loadcnt_dscnt 0x500
	v_mul_f64_e32 v[10:11], v[105:106], v[79:80]
	v_mul_f64_e32 v[79:80], v[107:108], v[79:80]
	s_delay_alu instid0(VALU_DEP_4) | instskip(NEXT) | instid1(VALU_DEP_4)
	v_fma_f64 v[2:3], v[97:98], v[6:7], -v[2:3]
	v_fma_f64 v[109:110], v[99:100], v[6:7], v[8:9]
	ds_load_b128 v[6:9], v1 offset:960
	ds_load_b128 v[97:100], v1 offset:976
	v_fma_f64 v[10:11], v[107:108], v[77:78], v[10:11]
	v_fma_f64 v[77:78], v[105:106], v[77:78], -v[79:80]
	s_wait_loadcnt_dscnt 0x401
	v_mul_f64_e32 v[111:112], v[6:7], v[83:84]
	v_mul_f64_e32 v[83:84], v[8:9], v[83:84]
	s_wait_loadcnt_dscnt 0x300
	v_mul_f64_e32 v[105:106], v[97:98], v[87:88]
	v_mul_f64_e32 v[87:88], v[99:100], v[87:88]
	v_add_f64_e32 v[2:3], 0, v[2:3]
	v_add_f64_e32 v[79:80], 0, v[109:110]
	v_fma_f64 v[107:108], v[8:9], v[81:82], v[111:112]
	v_fma_f64 v[81:82], v[6:7], v[81:82], -v[83:84]
	s_delay_alu instid0(VALU_DEP_4) | instskip(NEXT) | instid1(VALU_DEP_4)
	v_add_f64_e32 v[77:78], v[2:3], v[77:78]
	v_add_f64_e32 v[10:11], v[79:80], v[10:11]
	ds_load_b128 v[6:9], v1 offset:992
	ds_load_b128 v[1:4], v1 offset:1008
	s_wait_loadcnt_dscnt 0x201
	v_mul_f64_e32 v[79:80], v[6:7], v[91:92]
	v_mul_f64_e32 v[83:84], v[8:9], v[91:92]
	v_fma_f64 v[91:92], v[99:100], v[85:86], v[105:106]
	v_fma_f64 v[85:86], v[97:98], v[85:86], -v[87:88]
	s_wait_loadcnt_dscnt 0x100
	v_mul_f64_e32 v[87:88], v[3:4], v[95:96]
	v_add_f64_e32 v[77:78], v[77:78], v[81:82]
	v_add_f64_e32 v[10:11], v[10:11], v[107:108]
	v_mul_f64_e32 v[81:82], v[1:2], v[95:96]
	v_fma_f64 v[8:9], v[8:9], v[89:90], v[79:80]
	v_fma_f64 v[6:7], v[6:7], v[89:90], -v[83:84]
	v_fma_f64 v[1:2], v[1:2], v[93:94], -v[87:88]
	v_add_f64_e32 v[77:78], v[77:78], v[85:86]
	v_add_f64_e32 v[10:11], v[10:11], v[91:92]
	v_fma_f64 v[3:4], v[3:4], v[93:94], v[81:82]
	s_delay_alu instid0(VALU_DEP_3) | instskip(NEXT) | instid1(VALU_DEP_3)
	v_add_f64_e32 v[6:7], v[77:78], v[6:7]
	v_add_f64_e32 v[8:9], v[10:11], v[8:9]
	s_delay_alu instid0(VALU_DEP_2) | instskip(NEXT) | instid1(VALU_DEP_2)
	v_add_f64_e32 v[1:2], v[6:7], v[1:2]
	v_add_f64_e32 v[3:4], v[8:9], v[3:4]
	s_wait_loadcnt 0x0
	s_delay_alu instid0(VALU_DEP_2) | instskip(NEXT) | instid1(VALU_DEP_2)
	v_add_f64_e64 v[1:2], v[101:102], -v[1:2]
	v_add_f64_e64 v[3:4], v[103:104], -v[3:4]
	scratch_store_b128 off, v[1:4], off offset:416
	v_cmpx_lt_u32_e32 24, v0
	s_cbranch_execz .LBB31_157
; %bb.156:
	scratch_load_b128 v[1:4], off, s15
	v_mov_b32_e32 v6, 0
	s_delay_alu instid0(VALU_DEP_1)
	v_dual_mov_b32 v7, v6 :: v_dual_mov_b32 v8, v6
	v_mov_b32_e32 v9, v6
	scratch_store_b128 off, v[6:9], off offset:400
	s_wait_loadcnt 0x0
	ds_store_b128 v5, v[1:4]
.LBB31_157:
	s_wait_alu 0xfffe
	s_or_b32 exec_lo, exec_lo, s0
	s_wait_storecnt_dscnt 0x0
	s_barrier_signal -1
	s_barrier_wait -1
	global_inv scope:SCOPE_SE
	s_clause 0x6
	scratch_load_b128 v[6:9], off, off offset:416
	scratch_load_b128 v[77:80], off, off offset:432
	;; [unrolled: 1-line block ×7, first 2 shown]
	v_mov_b32_e32 v1, 0
	scratch_load_b128 v[105:108], off, off offset:400
	s_mov_b32 s0, exec_lo
	ds_load_b128 v[101:104], v1 offset:912
	ds_load_b128 v[109:112], v1 offset:928
	s_wait_loadcnt_dscnt 0x701
	v_mul_f64_e32 v[2:3], v[103:104], v[8:9]
	v_mul_f64_e32 v[8:9], v[101:102], v[8:9]
	s_wait_loadcnt_dscnt 0x600
	v_mul_f64_e32 v[10:11], v[109:110], v[79:80]
	v_mul_f64_e32 v[79:80], v[111:112], v[79:80]
	s_delay_alu instid0(VALU_DEP_4) | instskip(NEXT) | instid1(VALU_DEP_4)
	v_fma_f64 v[2:3], v[101:102], v[6:7], -v[2:3]
	v_fma_f64 v[113:114], v[103:104], v[6:7], v[8:9]
	ds_load_b128 v[6:9], v1 offset:944
	ds_load_b128 v[101:104], v1 offset:960
	v_fma_f64 v[10:11], v[111:112], v[77:78], v[10:11]
	v_fma_f64 v[77:78], v[109:110], v[77:78], -v[79:80]
	s_wait_loadcnt_dscnt 0x501
	v_mul_f64_e32 v[115:116], v[6:7], v[83:84]
	v_mul_f64_e32 v[83:84], v[8:9], v[83:84]
	s_wait_loadcnt_dscnt 0x400
	v_mul_f64_e32 v[109:110], v[101:102], v[87:88]
	v_mul_f64_e32 v[87:88], v[103:104], v[87:88]
	v_add_f64_e32 v[2:3], 0, v[2:3]
	v_add_f64_e32 v[79:80], 0, v[113:114]
	v_fma_f64 v[111:112], v[8:9], v[81:82], v[115:116]
	v_fma_f64 v[81:82], v[6:7], v[81:82], -v[83:84]
	v_fma_f64 v[103:104], v[103:104], v[85:86], v[109:110]
	v_fma_f64 v[85:86], v[101:102], v[85:86], -v[87:88]
	v_add_f64_e32 v[2:3], v[2:3], v[77:78]
	v_add_f64_e32 v[10:11], v[79:80], v[10:11]
	ds_load_b128 v[6:9], v1 offset:976
	ds_load_b128 v[77:80], v1 offset:992
	s_wait_loadcnt_dscnt 0x301
	v_mul_f64_e32 v[83:84], v[6:7], v[91:92]
	v_mul_f64_e32 v[91:92], v[8:9], v[91:92]
	s_wait_loadcnt_dscnt 0x200
	v_mul_f64_e32 v[87:88], v[79:80], v[95:96]
	v_add_f64_e32 v[2:3], v[2:3], v[81:82]
	v_add_f64_e32 v[10:11], v[10:11], v[111:112]
	v_mul_f64_e32 v[81:82], v[77:78], v[95:96]
	v_fma_f64 v[83:84], v[8:9], v[89:90], v[83:84]
	v_fma_f64 v[89:90], v[6:7], v[89:90], -v[91:92]
	ds_load_b128 v[6:9], v1 offset:1008
	v_fma_f64 v[77:78], v[77:78], v[93:94], -v[87:88]
	v_add_f64_e32 v[2:3], v[2:3], v[85:86]
	v_add_f64_e32 v[10:11], v[10:11], v[103:104]
	v_fma_f64 v[79:80], v[79:80], v[93:94], v[81:82]
	s_wait_loadcnt_dscnt 0x100
	v_mul_f64_e32 v[85:86], v[6:7], v[99:100]
	v_mul_f64_e32 v[91:92], v[8:9], v[99:100]
	v_add_f64_e32 v[2:3], v[2:3], v[89:90]
	v_add_f64_e32 v[10:11], v[10:11], v[83:84]
	s_delay_alu instid0(VALU_DEP_4) | instskip(NEXT) | instid1(VALU_DEP_4)
	v_fma_f64 v[8:9], v[8:9], v[97:98], v[85:86]
	v_fma_f64 v[6:7], v[6:7], v[97:98], -v[91:92]
	s_delay_alu instid0(VALU_DEP_4) | instskip(NEXT) | instid1(VALU_DEP_4)
	v_add_f64_e32 v[2:3], v[2:3], v[77:78]
	v_add_f64_e32 v[10:11], v[10:11], v[79:80]
	s_delay_alu instid0(VALU_DEP_2) | instskip(NEXT) | instid1(VALU_DEP_2)
	v_add_f64_e32 v[2:3], v[2:3], v[6:7]
	v_add_f64_e32 v[8:9], v[10:11], v[8:9]
	s_wait_loadcnt 0x0
	s_delay_alu instid0(VALU_DEP_2) | instskip(NEXT) | instid1(VALU_DEP_2)
	v_add_f64_e64 v[6:7], v[105:106], -v[2:3]
	v_add_f64_e64 v[8:9], v[107:108], -v[8:9]
	scratch_store_b128 off, v[6:9], off offset:400
	v_cmpx_lt_u32_e32 23, v0
	s_cbranch_execz .LBB31_159
; %bb.158:
	scratch_load_b128 v[6:9], off, s10
	v_dual_mov_b32 v2, v1 :: v_dual_mov_b32 v3, v1
	v_mov_b32_e32 v4, v1
	scratch_store_b128 off, v[1:4], off offset:384
	s_wait_loadcnt 0x0
	ds_store_b128 v5, v[6:9]
.LBB31_159:
	s_wait_alu 0xfffe
	s_or_b32 exec_lo, exec_lo, s0
	s_wait_storecnt_dscnt 0x0
	s_barrier_signal -1
	s_barrier_wait -1
	global_inv scope:SCOPE_SE
	s_clause 0x7
	scratch_load_b128 v[6:9], off, off offset:400
	scratch_load_b128 v[77:80], off, off offset:416
	;; [unrolled: 1-line block ×8, first 2 shown]
	ds_load_b128 v[105:108], v1 offset:896
	s_mov_b32 s0, exec_lo
	s_wait_loadcnt_dscnt 0x700
	v_mul_f64_e32 v[2:3], v[107:108], v[8:9]
	v_mul_f64_e32 v[109:110], v[105:106], v[8:9]
	ds_load_b128 v[8:11], v1 offset:912
	v_fma_f64 v[2:3], v[105:106], v[6:7], -v[2:3]
	v_fma_f64 v[6:7], v[107:108], v[6:7], v[109:110]
	ds_load_b128 v[105:108], v1 offset:928
	s_wait_loadcnt_dscnt 0x601
	v_mul_f64_e32 v[113:114], v[8:9], v[79:80]
	v_mul_f64_e32 v[79:80], v[10:11], v[79:80]
	scratch_load_b128 v[109:112], off, off offset:384
	s_wait_loadcnt_dscnt 0x600
	v_mul_f64_e32 v[115:116], v[105:106], v[83:84]
	v_mul_f64_e32 v[83:84], v[107:108], v[83:84]
	v_add_f64_e32 v[2:3], 0, v[2:3]
	v_fma_f64 v[10:11], v[10:11], v[77:78], v[113:114]
	v_fma_f64 v[77:78], v[8:9], v[77:78], -v[79:80]
	v_add_f64_e32 v[79:80], 0, v[6:7]
	ds_load_b128 v[6:9], v1 offset:944
	v_fma_f64 v[107:108], v[107:108], v[81:82], v[115:116]
	v_fma_f64 v[81:82], v[105:106], v[81:82], -v[83:84]
	v_add_f64_e32 v[2:3], v[2:3], v[77:78]
	v_add_f64_e32 v[10:11], v[79:80], v[10:11]
	ds_load_b128 v[77:80], v1 offset:960
	s_wait_loadcnt_dscnt 0x501
	v_mul_f64_e32 v[113:114], v[6:7], v[87:88]
	v_mul_f64_e32 v[87:88], v[8:9], v[87:88]
	s_wait_loadcnt_dscnt 0x400
	v_mul_f64_e32 v[83:84], v[77:78], v[91:92]
	v_mul_f64_e32 v[91:92], v[79:80], v[91:92]
	v_add_f64_e32 v[2:3], v[2:3], v[81:82]
	v_add_f64_e32 v[10:11], v[10:11], v[107:108]
	v_fma_f64 v[105:106], v[8:9], v[85:86], v[113:114]
	v_fma_f64 v[85:86], v[6:7], v[85:86], -v[87:88]
	ds_load_b128 v[6:9], v1 offset:976
	v_fma_f64 v[83:84], v[79:80], v[89:90], v[83:84]
	v_fma_f64 v[89:90], v[77:78], v[89:90], -v[91:92]
	ds_load_b128 v[77:80], v1 offset:992
	s_wait_loadcnt_dscnt 0x301
	v_mul_f64_e32 v[81:82], v[6:7], v[95:96]
	v_mul_f64_e32 v[87:88], v[8:9], v[95:96]
	v_add_f64_e32 v[10:11], v[10:11], v[105:106]
	v_add_f64_e32 v[2:3], v[2:3], v[85:86]
	s_wait_loadcnt_dscnt 0x200
	v_mul_f64_e32 v[85:86], v[77:78], v[99:100]
	v_mul_f64_e32 v[91:92], v[79:80], v[99:100]
	v_fma_f64 v[8:9], v[8:9], v[93:94], v[81:82]
	v_fma_f64 v[6:7], v[6:7], v[93:94], -v[87:88]
	v_add_f64_e32 v[10:11], v[10:11], v[83:84]
	v_add_f64_e32 v[81:82], v[2:3], v[89:90]
	ds_load_b128 v[1:4], v1 offset:1008
	v_fma_f64 v[79:80], v[79:80], v[97:98], v[85:86]
	v_fma_f64 v[77:78], v[77:78], v[97:98], -v[91:92]
	s_wait_loadcnt_dscnt 0x100
	v_mul_f64_e32 v[83:84], v[1:2], v[103:104]
	v_mul_f64_e32 v[87:88], v[3:4], v[103:104]
	v_add_f64_e32 v[8:9], v[10:11], v[8:9]
	v_add_f64_e32 v[6:7], v[81:82], v[6:7]
	s_delay_alu instid0(VALU_DEP_4) | instskip(NEXT) | instid1(VALU_DEP_4)
	v_fma_f64 v[3:4], v[3:4], v[101:102], v[83:84]
	v_fma_f64 v[1:2], v[1:2], v[101:102], -v[87:88]
	s_delay_alu instid0(VALU_DEP_4) | instskip(NEXT) | instid1(VALU_DEP_4)
	v_add_f64_e32 v[8:9], v[8:9], v[79:80]
	v_add_f64_e32 v[6:7], v[6:7], v[77:78]
	s_delay_alu instid0(VALU_DEP_2) | instskip(NEXT) | instid1(VALU_DEP_2)
	v_add_f64_e32 v[3:4], v[8:9], v[3:4]
	v_add_f64_e32 v[1:2], v[6:7], v[1:2]
	s_wait_loadcnt 0x0
	s_delay_alu instid0(VALU_DEP_2) | instskip(NEXT) | instid1(VALU_DEP_2)
	v_add_f64_e64 v[3:4], v[111:112], -v[3:4]
	v_add_f64_e64 v[1:2], v[109:110], -v[1:2]
	scratch_store_b128 off, v[1:4], off offset:384
	v_cmpx_lt_u32_e32 22, v0
	s_cbranch_execz .LBB31_161
; %bb.160:
	scratch_load_b128 v[1:4], off, s12
	v_mov_b32_e32 v6, 0
	s_delay_alu instid0(VALU_DEP_1)
	v_dual_mov_b32 v7, v6 :: v_dual_mov_b32 v8, v6
	v_mov_b32_e32 v9, v6
	scratch_store_b128 off, v[6:9], off offset:368
	s_wait_loadcnt 0x0
	ds_store_b128 v5, v[1:4]
.LBB31_161:
	s_wait_alu 0xfffe
	s_or_b32 exec_lo, exec_lo, s0
	s_wait_storecnt_dscnt 0x0
	s_barrier_signal -1
	s_barrier_wait -1
	global_inv scope:SCOPE_SE
	s_clause 0x7
	scratch_load_b128 v[6:9], off, off offset:384
	scratch_load_b128 v[77:80], off, off offset:400
	;; [unrolled: 1-line block ×8, first 2 shown]
	v_mov_b32_e32 v1, 0
	scratch_load_b128 v[109:112], off, off offset:512
	s_mov_b32 s0, exec_lo
	ds_load_b128 v[105:108], v1 offset:880
	s_wait_loadcnt_dscnt 0x800
	v_mul_f64_e32 v[2:3], v[107:108], v[8:9]
	v_mul_f64_e32 v[113:114], v[105:106], v[8:9]
	ds_load_b128 v[8:11], v1 offset:896
	v_fma_f64 v[2:3], v[105:106], v[6:7], -v[2:3]
	v_fma_f64 v[6:7], v[107:108], v[6:7], v[113:114]
	ds_load_b128 v[105:108], v1 offset:912
	s_wait_loadcnt_dscnt 0x701
	v_mul_f64_e32 v[115:116], v[8:9], v[79:80]
	v_mul_f64_e32 v[79:80], v[10:11], v[79:80]
	s_wait_loadcnt_dscnt 0x600
	v_mul_f64_e32 v[113:114], v[105:106], v[83:84]
	v_mul_f64_e32 v[83:84], v[107:108], v[83:84]
	v_add_f64_e32 v[2:3], 0, v[2:3]
	v_add_f64_e32 v[117:118], 0, v[6:7]
	v_fma_f64 v[10:11], v[10:11], v[77:78], v[115:116]
	v_fma_f64 v[115:116], v[8:9], v[77:78], -v[79:80]
	ds_load_b128 v[6:9], v1 offset:928
	scratch_load_b128 v[77:80], off, off offset:368
	v_fma_f64 v[107:108], v[107:108], v[81:82], v[113:114]
	v_fma_f64 v[105:106], v[105:106], v[81:82], -v[83:84]
	ds_load_b128 v[81:84], v1 offset:944
	s_wait_loadcnt_dscnt 0x601
	v_mul_f64_e32 v[119:120], v[6:7], v[87:88]
	v_mul_f64_e32 v[87:88], v[8:9], v[87:88]
	v_add_f64_e32 v[10:11], v[117:118], v[10:11]
	v_add_f64_e32 v[2:3], v[2:3], v[115:116]
	s_wait_loadcnt_dscnt 0x500
	v_mul_f64_e32 v[113:114], v[81:82], v[91:92]
	v_mul_f64_e32 v[91:92], v[83:84], v[91:92]
	v_fma_f64 v[115:116], v[8:9], v[85:86], v[119:120]
	v_fma_f64 v[85:86], v[6:7], v[85:86], -v[87:88]
	ds_load_b128 v[6:9], v1 offset:960
	v_add_f64_e32 v[10:11], v[10:11], v[107:108]
	v_add_f64_e32 v[2:3], v[2:3], v[105:106]
	v_fma_f64 v[105:106], v[83:84], v[89:90], v[113:114]
	v_fma_f64 v[89:90], v[81:82], v[89:90], -v[91:92]
	ds_load_b128 v[81:84], v1 offset:976
	s_wait_loadcnt_dscnt 0x401
	v_mul_f64_e32 v[87:88], v[6:7], v[95:96]
	v_mul_f64_e32 v[95:96], v[8:9], v[95:96]
	s_wait_loadcnt_dscnt 0x300
	v_mul_f64_e32 v[91:92], v[83:84], v[99:100]
	v_add_f64_e32 v[10:11], v[10:11], v[115:116]
	v_add_f64_e32 v[2:3], v[2:3], v[85:86]
	v_mul_f64_e32 v[85:86], v[81:82], v[99:100]
	v_fma_f64 v[87:88], v[8:9], v[93:94], v[87:88]
	v_fma_f64 v[93:94], v[6:7], v[93:94], -v[95:96]
	ds_load_b128 v[6:9], v1 offset:992
	v_fma_f64 v[91:92], v[81:82], v[97:98], -v[91:92]
	v_add_f64_e32 v[10:11], v[10:11], v[105:106]
	v_add_f64_e32 v[2:3], v[2:3], v[89:90]
	v_fma_f64 v[85:86], v[83:84], v[97:98], v[85:86]
	ds_load_b128 v[81:84], v1 offset:1008
	s_wait_loadcnt_dscnt 0x201
	v_mul_f64_e32 v[89:90], v[6:7], v[103:104]
	v_mul_f64_e32 v[95:96], v[8:9], v[103:104]
	v_add_f64_e32 v[10:11], v[10:11], v[87:88]
	v_add_f64_e32 v[2:3], v[2:3], v[93:94]
	s_wait_loadcnt_dscnt 0x100
	v_mul_f64_e32 v[87:88], v[81:82], v[111:112]
	v_mul_f64_e32 v[93:94], v[83:84], v[111:112]
	v_fma_f64 v[8:9], v[8:9], v[101:102], v[89:90]
	v_fma_f64 v[6:7], v[6:7], v[101:102], -v[95:96]
	v_add_f64_e32 v[10:11], v[10:11], v[85:86]
	v_add_f64_e32 v[2:3], v[2:3], v[91:92]
	v_fma_f64 v[83:84], v[83:84], v[109:110], v[87:88]
	v_fma_f64 v[81:82], v[81:82], v[109:110], -v[93:94]
	s_delay_alu instid0(VALU_DEP_3) | instskip(SKIP_1) | instid1(VALU_DEP_2)
	v_add_f64_e32 v[2:3], v[2:3], v[6:7]
	v_add_f64_e32 v[6:7], v[10:11], v[8:9]
	;; [unrolled: 1-line block ×3, first 2 shown]
	s_delay_alu instid0(VALU_DEP_2) | instskip(SKIP_1) | instid1(VALU_DEP_2)
	v_add_f64_e32 v[8:9], v[6:7], v[83:84]
	s_wait_loadcnt 0x0
	v_add_f64_e64 v[6:7], v[77:78], -v[2:3]
	s_delay_alu instid0(VALU_DEP_2)
	v_add_f64_e64 v[8:9], v[79:80], -v[8:9]
	scratch_store_b128 off, v[6:9], off offset:368
	v_cmpx_lt_u32_e32 21, v0
	s_cbranch_execz .LBB31_163
; %bb.162:
	scratch_load_b128 v[6:9], off, s9
	v_dual_mov_b32 v2, v1 :: v_dual_mov_b32 v3, v1
	v_mov_b32_e32 v4, v1
	scratch_store_b128 off, v[1:4], off offset:352
	s_wait_loadcnt 0x0
	ds_store_b128 v5, v[6:9]
.LBB31_163:
	s_wait_alu 0xfffe
	s_or_b32 exec_lo, exec_lo, s0
	s_wait_storecnt_dscnt 0x0
	s_barrier_signal -1
	s_barrier_wait -1
	global_inv scope:SCOPE_SE
	s_clause 0x8
	scratch_load_b128 v[6:9], off, off offset:368
	scratch_load_b128 v[77:80], off, off offset:384
	;; [unrolled: 1-line block ×9, first 2 shown]
	ds_load_b128 v[109:112], v1 offset:864
	ds_load_b128 v[113:116], v1 offset:880
	scratch_load_b128 v[117:120], off, off offset:352
	s_mov_b32 s0, exec_lo
	s_wait_loadcnt_dscnt 0x901
	v_mul_f64_e32 v[2:3], v[111:112], v[8:9]
	v_mul_f64_e32 v[121:122], v[109:110], v[8:9]
	scratch_load_b128 v[8:11], off, off offset:512
	s_wait_loadcnt_dscnt 0x900
	v_mul_f64_e32 v[125:126], v[113:114], v[79:80]
	v_mul_f64_e32 v[79:80], v[115:116], v[79:80]
	v_fma_f64 v[2:3], v[109:110], v[6:7], -v[2:3]
	v_fma_f64 v[6:7], v[111:112], v[6:7], v[121:122]
	ds_load_b128 v[109:112], v1 offset:896
	ds_load_b128 v[121:124], v1 offset:912
	v_fma_f64 v[115:116], v[115:116], v[77:78], v[125:126]
	v_fma_f64 v[77:78], v[113:114], v[77:78], -v[79:80]
	s_wait_loadcnt_dscnt 0x801
	v_mul_f64_e32 v[127:128], v[109:110], v[83:84]
	v_mul_f64_e32 v[83:84], v[111:112], v[83:84]
	s_wait_loadcnt_dscnt 0x700
	v_mul_f64_e32 v[113:114], v[121:122], v[87:88]
	v_mul_f64_e32 v[87:88], v[123:124], v[87:88]
	v_add_f64_e32 v[2:3], 0, v[2:3]
	v_add_f64_e32 v[6:7], 0, v[6:7]
	v_fma_f64 v[111:112], v[111:112], v[81:82], v[127:128]
	v_fma_f64 v[109:110], v[109:110], v[81:82], -v[83:84]
	v_fma_f64 v[113:114], v[123:124], v[85:86], v[113:114]
	v_fma_f64 v[85:86], v[121:122], v[85:86], -v[87:88]
	v_add_f64_e32 v[2:3], v[2:3], v[77:78]
	v_add_f64_e32 v[6:7], v[6:7], v[115:116]
	ds_load_b128 v[77:80], v1 offset:928
	ds_load_b128 v[81:84], v1 offset:944
	s_wait_loadcnt_dscnt 0x601
	v_mul_f64_e32 v[115:116], v[77:78], v[91:92]
	v_mul_f64_e32 v[91:92], v[79:80], v[91:92]
	v_add_f64_e32 v[2:3], v[2:3], v[109:110]
	v_add_f64_e32 v[6:7], v[6:7], v[111:112]
	s_wait_loadcnt_dscnt 0x500
	v_mul_f64_e32 v[109:110], v[81:82], v[95:96]
	v_mul_f64_e32 v[95:96], v[83:84], v[95:96]
	v_fma_f64 v[111:112], v[79:80], v[89:90], v[115:116]
	v_fma_f64 v[89:90], v[77:78], v[89:90], -v[91:92]
	v_add_f64_e32 v[2:3], v[2:3], v[85:86]
	v_add_f64_e32 v[6:7], v[6:7], v[113:114]
	ds_load_b128 v[77:80], v1 offset:960
	ds_load_b128 v[85:88], v1 offset:976
	v_fma_f64 v[83:84], v[83:84], v[93:94], v[109:110]
	v_fma_f64 v[81:82], v[81:82], v[93:94], -v[95:96]
	s_wait_loadcnt_dscnt 0x401
	v_mul_f64_e32 v[91:92], v[77:78], v[99:100]
	v_mul_f64_e32 v[99:100], v[79:80], v[99:100]
	s_wait_loadcnt_dscnt 0x300
	v_mul_f64_e32 v[93:94], v[87:88], v[103:104]
	v_add_f64_e32 v[2:3], v[2:3], v[89:90]
	v_add_f64_e32 v[6:7], v[6:7], v[111:112]
	v_mul_f64_e32 v[89:90], v[85:86], v[103:104]
	v_fma_f64 v[91:92], v[79:80], v[97:98], v[91:92]
	v_fma_f64 v[95:96], v[77:78], v[97:98], -v[99:100]
	v_fma_f64 v[85:86], v[85:86], v[101:102], -v[93:94]
	v_add_f64_e32 v[81:82], v[2:3], v[81:82]
	v_add_f64_e32 v[6:7], v[6:7], v[83:84]
	ds_load_b128 v[77:80], v1 offset:992
	ds_load_b128 v[1:4], v1 offset:1008
	v_fma_f64 v[87:88], v[87:88], v[101:102], v[89:90]
	s_wait_loadcnt_dscnt 0x201
	v_mul_f64_e32 v[83:84], v[77:78], v[107:108]
	v_mul_f64_e32 v[97:98], v[79:80], v[107:108]
	v_add_f64_e32 v[81:82], v[81:82], v[95:96]
	v_add_f64_e32 v[6:7], v[6:7], v[91:92]
	s_wait_loadcnt_dscnt 0x0
	v_mul_f64_e32 v[89:90], v[1:2], v[10:11]
	v_mul_f64_e32 v[10:11], v[3:4], v[10:11]
	v_fma_f64 v[79:80], v[79:80], v[105:106], v[83:84]
	v_fma_f64 v[77:78], v[77:78], v[105:106], -v[97:98]
	v_add_f64_e32 v[81:82], v[81:82], v[85:86]
	v_add_f64_e32 v[6:7], v[6:7], v[87:88]
	v_fma_f64 v[3:4], v[3:4], v[8:9], v[89:90]
	v_fma_f64 v[1:2], v[1:2], v[8:9], -v[10:11]
	s_delay_alu instid0(VALU_DEP_4) | instskip(NEXT) | instid1(VALU_DEP_4)
	v_add_f64_e32 v[8:9], v[81:82], v[77:78]
	v_add_f64_e32 v[6:7], v[6:7], v[79:80]
	s_delay_alu instid0(VALU_DEP_2) | instskip(NEXT) | instid1(VALU_DEP_2)
	v_add_f64_e32 v[1:2], v[8:9], v[1:2]
	v_add_f64_e32 v[3:4], v[6:7], v[3:4]
	s_delay_alu instid0(VALU_DEP_2) | instskip(NEXT) | instid1(VALU_DEP_2)
	v_add_f64_e64 v[1:2], v[117:118], -v[1:2]
	v_add_f64_e64 v[3:4], v[119:120], -v[3:4]
	scratch_store_b128 off, v[1:4], off offset:352
	v_cmpx_lt_u32_e32 20, v0
	s_cbranch_execz .LBB31_165
; %bb.164:
	scratch_load_b128 v[1:4], off, s11
	v_mov_b32_e32 v6, 0
	s_delay_alu instid0(VALU_DEP_1)
	v_dual_mov_b32 v7, v6 :: v_dual_mov_b32 v8, v6
	v_mov_b32_e32 v9, v6
	scratch_store_b128 off, v[6:9], off offset:336
	s_wait_loadcnt 0x0
	ds_store_b128 v5, v[1:4]
.LBB31_165:
	s_wait_alu 0xfffe
	s_or_b32 exec_lo, exec_lo, s0
	s_wait_storecnt_dscnt 0x0
	s_barrier_signal -1
	s_barrier_wait -1
	global_inv scope:SCOPE_SE
	s_clause 0x7
	scratch_load_b128 v[6:9], off, off offset:352
	scratch_load_b128 v[77:80], off, off offset:368
	;; [unrolled: 1-line block ×8, first 2 shown]
	v_mov_b32_e32 v1, 0
	s_mov_b32 s0, exec_lo
	ds_load_b128 v[105:108], v1 offset:848
	s_clause 0x1
	scratch_load_b128 v[109:112], off, off offset:480
	scratch_load_b128 v[113:116], off, off offset:336
	ds_load_b128 v[117:120], v1 offset:864
	ds_load_b128 v[125:128], v1 offset:896
	s_wait_loadcnt_dscnt 0x902
	v_mul_f64_e32 v[2:3], v[107:108], v[8:9]
	v_mul_f64_e32 v[121:122], v[105:106], v[8:9]
	scratch_load_b128 v[8:11], off, off offset:496
	v_fma_f64 v[2:3], v[105:106], v[6:7], -v[2:3]
	v_fma_f64 v[6:7], v[107:108], v[6:7], v[121:122]
	ds_load_b128 v[105:108], v1 offset:880
	s_wait_loadcnt_dscnt 0x902
	v_mul_f64_e32 v[129:130], v[117:118], v[79:80]
	v_mul_f64_e32 v[79:80], v[119:120], v[79:80]
	scratch_load_b128 v[121:124], off, off offset:512
	s_wait_loadcnt_dscnt 0x900
	v_mul_f64_e32 v[131:132], v[105:106], v[83:84]
	v_mul_f64_e32 v[83:84], v[107:108], v[83:84]
	v_add_f64_e32 v[2:3], 0, v[2:3]
	v_add_f64_e32 v[6:7], 0, v[6:7]
	v_fma_f64 v[119:120], v[119:120], v[77:78], v[129:130]
	v_fma_f64 v[77:78], v[117:118], v[77:78], -v[79:80]
	s_wait_loadcnt 0x8
	v_mul_f64_e32 v[117:118], v[125:126], v[87:88]
	v_mul_f64_e32 v[87:88], v[127:128], v[87:88]
	v_fma_f64 v[107:108], v[107:108], v[81:82], v[131:132]
	v_fma_f64 v[105:106], v[105:106], v[81:82], -v[83:84]
	v_add_f64_e32 v[6:7], v[6:7], v[119:120]
	v_add_f64_e32 v[2:3], v[2:3], v[77:78]
	ds_load_b128 v[77:80], v1 offset:912
	ds_load_b128 v[81:84], v1 offset:928
	v_fma_f64 v[117:118], v[127:128], v[85:86], v[117:118]
	v_fma_f64 v[85:86], v[125:126], v[85:86], -v[87:88]
	s_wait_loadcnt_dscnt 0x701
	v_mul_f64_e32 v[119:120], v[77:78], v[91:92]
	v_mul_f64_e32 v[91:92], v[79:80], v[91:92]
	v_add_f64_e32 v[6:7], v[6:7], v[107:108]
	v_add_f64_e32 v[2:3], v[2:3], v[105:106]
	s_wait_loadcnt_dscnt 0x600
	v_mul_f64_e32 v[105:106], v[81:82], v[95:96]
	v_mul_f64_e32 v[95:96], v[83:84], v[95:96]
	v_fma_f64 v[107:108], v[79:80], v[89:90], v[119:120]
	v_fma_f64 v[89:90], v[77:78], v[89:90], -v[91:92]
	v_add_f64_e32 v[6:7], v[6:7], v[117:118]
	v_add_f64_e32 v[2:3], v[2:3], v[85:86]
	ds_load_b128 v[77:80], v1 offset:944
	ds_load_b128 v[85:88], v1 offset:960
	v_fma_f64 v[83:84], v[83:84], v[93:94], v[105:106]
	v_fma_f64 v[81:82], v[81:82], v[93:94], -v[95:96]
	s_wait_loadcnt_dscnt 0x501
	v_mul_f64_e32 v[91:92], v[77:78], v[99:100]
	v_mul_f64_e32 v[99:100], v[79:80], v[99:100]
	s_wait_loadcnt_dscnt 0x400
	v_mul_f64_e32 v[93:94], v[87:88], v[103:104]
	v_add_f64_e32 v[6:7], v[6:7], v[107:108]
	v_add_f64_e32 v[2:3], v[2:3], v[89:90]
	v_mul_f64_e32 v[89:90], v[85:86], v[103:104]
	v_fma_f64 v[91:92], v[79:80], v[97:98], v[91:92]
	v_fma_f64 v[95:96], v[77:78], v[97:98], -v[99:100]
	v_fma_f64 v[85:86], v[85:86], v[101:102], -v[93:94]
	v_add_f64_e32 v[6:7], v[6:7], v[83:84]
	v_add_f64_e32 v[2:3], v[2:3], v[81:82]
	ds_load_b128 v[77:80], v1 offset:976
	ds_load_b128 v[81:84], v1 offset:992
	v_fma_f64 v[87:88], v[87:88], v[101:102], v[89:90]
	s_wait_loadcnt_dscnt 0x301
	v_mul_f64_e32 v[97:98], v[77:78], v[111:112]
	v_mul_f64_e32 v[99:100], v[79:80], v[111:112]
	v_add_f64_e32 v[6:7], v[6:7], v[91:92]
	v_add_f64_e32 v[2:3], v[2:3], v[95:96]
	s_wait_loadcnt_dscnt 0x100
	v_mul_f64_e32 v[89:90], v[81:82], v[10:11]
	v_mul_f64_e32 v[10:11], v[83:84], v[10:11]
	v_fma_f64 v[91:92], v[79:80], v[109:110], v[97:98]
	v_fma_f64 v[93:94], v[77:78], v[109:110], -v[99:100]
	ds_load_b128 v[77:80], v1 offset:1008
	v_add_f64_e32 v[6:7], v[6:7], v[87:88]
	v_add_f64_e32 v[2:3], v[2:3], v[85:86]
	v_fma_f64 v[83:84], v[83:84], v[8:9], v[89:90]
	v_fma_f64 v[8:9], v[81:82], v[8:9], -v[10:11]
	s_wait_loadcnt_dscnt 0x0
	v_mul_f64_e32 v[85:86], v[77:78], v[123:124]
	v_mul_f64_e32 v[87:88], v[79:80], v[123:124]
	v_add_f64_e32 v[6:7], v[6:7], v[91:92]
	v_add_f64_e32 v[2:3], v[2:3], v[93:94]
	s_delay_alu instid0(VALU_DEP_4) | instskip(NEXT) | instid1(VALU_DEP_4)
	v_fma_f64 v[10:11], v[79:80], v[121:122], v[85:86]
	v_fma_f64 v[77:78], v[77:78], v[121:122], -v[87:88]
	s_delay_alu instid0(VALU_DEP_4) | instskip(NEXT) | instid1(VALU_DEP_4)
	v_add_f64_e32 v[6:7], v[6:7], v[83:84]
	v_add_f64_e32 v[2:3], v[2:3], v[8:9]
	s_delay_alu instid0(VALU_DEP_2) | instskip(NEXT) | instid1(VALU_DEP_2)
	v_add_f64_e32 v[8:9], v[6:7], v[10:11]
	v_add_f64_e32 v[2:3], v[2:3], v[77:78]
	s_delay_alu instid0(VALU_DEP_2) | instskip(NEXT) | instid1(VALU_DEP_2)
	v_add_f64_e64 v[8:9], v[115:116], -v[8:9]
	v_add_f64_e64 v[6:7], v[113:114], -v[2:3]
	scratch_store_b128 off, v[6:9], off offset:336
	v_cmpx_lt_u32_e32 19, v0
	s_cbranch_execz .LBB31_167
; %bb.166:
	scratch_load_b128 v[6:9], off, s4
	v_dual_mov_b32 v2, v1 :: v_dual_mov_b32 v3, v1
	v_mov_b32_e32 v4, v1
	scratch_store_b128 off, v[1:4], off offset:320
	s_wait_loadcnt 0x0
	ds_store_b128 v5, v[6:9]
.LBB31_167:
	s_wait_alu 0xfffe
	s_or_b32 exec_lo, exec_lo, s0
	s_wait_storecnt_dscnt 0x0
	s_barrier_signal -1
	s_barrier_wait -1
	global_inv scope:SCOPE_SE
	s_clause 0x8
	scratch_load_b128 v[6:9], off, off offset:336
	scratch_load_b128 v[77:80], off, off offset:352
	;; [unrolled: 1-line block ×9, first 2 shown]
	ds_load_b128 v[109:112], v1 offset:832
	ds_load_b128 v[113:116], v1 offset:848
	scratch_load_b128 v[117:120], off, off offset:320
	s_mov_b32 s0, exec_lo
	ds_load_b128 v[125:128], v1 offset:880
	s_wait_loadcnt_dscnt 0x902
	v_mul_f64_e32 v[2:3], v[111:112], v[8:9]
	v_mul_f64_e32 v[121:122], v[109:110], v[8:9]
	scratch_load_b128 v[8:11], off, off offset:480
	s_wait_loadcnt_dscnt 0x901
	v_mul_f64_e32 v[129:130], v[113:114], v[79:80]
	v_mul_f64_e32 v[79:80], v[115:116], v[79:80]
	v_fma_f64 v[2:3], v[109:110], v[6:7], -v[2:3]
	v_fma_f64 v[6:7], v[111:112], v[6:7], v[121:122]
	ds_load_b128 v[109:112], v1 offset:864
	scratch_load_b128 v[121:124], off, off offset:496
	v_fma_f64 v[115:116], v[115:116], v[77:78], v[129:130]
	v_fma_f64 v[113:114], v[113:114], v[77:78], -v[79:80]
	scratch_load_b128 v[77:80], off, off offset:512
	s_wait_loadcnt_dscnt 0x901
	v_mul_f64_e32 v[129:130], v[125:126], v[87:88]
	v_mul_f64_e32 v[87:88], v[127:128], v[87:88]
	s_wait_dscnt 0x0
	v_mul_f64_e32 v[131:132], v[109:110], v[83:84]
	v_mul_f64_e32 v[83:84], v[111:112], v[83:84]
	v_add_f64_e32 v[2:3], 0, v[2:3]
	v_add_f64_e32 v[6:7], 0, v[6:7]
	s_delay_alu instid0(VALU_DEP_4) | instskip(NEXT) | instid1(VALU_DEP_4)
	v_fma_f64 v[131:132], v[111:112], v[81:82], v[131:132]
	v_fma_f64 v[133:134], v[109:110], v[81:82], -v[83:84]
	ds_load_b128 v[81:84], v1 offset:896
	ds_load_b128 v[109:112], v1 offset:912
	v_add_f64_e32 v[2:3], v[2:3], v[113:114]
	v_add_f64_e32 v[6:7], v[6:7], v[115:116]
	v_fma_f64 v[115:116], v[127:128], v[85:86], v[129:130]
	v_fma_f64 v[85:86], v[125:126], v[85:86], -v[87:88]
	s_wait_loadcnt_dscnt 0x801
	v_mul_f64_e32 v[113:114], v[81:82], v[91:92]
	v_mul_f64_e32 v[91:92], v[83:84], v[91:92]
	s_wait_loadcnt_dscnt 0x700
	v_mul_f64_e32 v[125:126], v[109:110], v[95:96]
	v_mul_f64_e32 v[95:96], v[111:112], v[95:96]
	v_add_f64_e32 v[2:3], v[2:3], v[133:134]
	v_add_f64_e32 v[6:7], v[6:7], v[131:132]
	v_fma_f64 v[113:114], v[83:84], v[89:90], v[113:114]
	v_fma_f64 v[89:90], v[81:82], v[89:90], -v[91:92]
	v_fma_f64 v[111:112], v[111:112], v[93:94], v[125:126]
	v_fma_f64 v[93:94], v[109:110], v[93:94], -v[95:96]
	v_add_f64_e32 v[2:3], v[2:3], v[85:86]
	v_add_f64_e32 v[6:7], v[6:7], v[115:116]
	ds_load_b128 v[81:84], v1 offset:928
	ds_load_b128 v[85:88], v1 offset:944
	s_wait_loadcnt_dscnt 0x601
	v_mul_f64_e32 v[91:92], v[81:82], v[99:100]
	v_mul_f64_e32 v[99:100], v[83:84], v[99:100]
	s_wait_loadcnt_dscnt 0x500
	v_mul_f64_e32 v[95:96], v[85:86], v[103:104]
	v_mul_f64_e32 v[103:104], v[87:88], v[103:104]
	v_add_f64_e32 v[2:3], v[2:3], v[89:90]
	v_add_f64_e32 v[6:7], v[6:7], v[113:114]
	v_fma_f64 v[109:110], v[83:84], v[97:98], v[91:92]
	v_fma_f64 v[97:98], v[81:82], v[97:98], -v[99:100]
	ds_load_b128 v[81:84], v1 offset:960
	ds_load_b128 v[89:92], v1 offset:976
	v_fma_f64 v[87:88], v[87:88], v[101:102], v[95:96]
	v_fma_f64 v[85:86], v[85:86], v[101:102], -v[103:104]
	v_add_f64_e32 v[2:3], v[2:3], v[93:94]
	v_add_f64_e32 v[6:7], v[6:7], v[111:112]
	s_wait_loadcnt_dscnt 0x401
	v_mul_f64_e32 v[93:94], v[81:82], v[107:108]
	v_mul_f64_e32 v[99:100], v[83:84], v[107:108]
	s_delay_alu instid0(VALU_DEP_4) | instskip(NEXT) | instid1(VALU_DEP_4)
	v_add_f64_e32 v[2:3], v[2:3], v[97:98]
	v_add_f64_e32 v[6:7], v[6:7], v[109:110]
	s_delay_alu instid0(VALU_DEP_4) | instskip(NEXT) | instid1(VALU_DEP_4)
	v_fma_f64 v[93:94], v[83:84], v[105:106], v[93:94]
	v_fma_f64 v[97:98], v[81:82], v[105:106], -v[99:100]
	s_wait_loadcnt_dscnt 0x200
	v_mul_f64_e32 v[95:96], v[89:90], v[10:11]
	v_mul_f64_e32 v[10:11], v[91:92], v[10:11]
	v_add_f64_e32 v[85:86], v[2:3], v[85:86]
	v_add_f64_e32 v[6:7], v[6:7], v[87:88]
	ds_load_b128 v[81:84], v1 offset:992
	ds_load_b128 v[1:4], v1 offset:1008
	v_fma_f64 v[91:92], v[91:92], v[8:9], v[95:96]
	v_fma_f64 v[8:9], v[89:90], v[8:9], -v[10:11]
	s_wait_loadcnt_dscnt 0x101
	v_mul_f64_e32 v[87:88], v[81:82], v[123:124]
	v_mul_f64_e32 v[99:100], v[83:84], v[123:124]
	v_add_f64_e32 v[10:11], v[85:86], v[97:98]
	v_add_f64_e32 v[6:7], v[6:7], v[93:94]
	s_wait_loadcnt_dscnt 0x0
	v_mul_f64_e32 v[85:86], v[1:2], v[79:80]
	v_mul_f64_e32 v[79:80], v[3:4], v[79:80]
	v_fma_f64 v[83:84], v[83:84], v[121:122], v[87:88]
	v_fma_f64 v[81:82], v[81:82], v[121:122], -v[99:100]
	v_add_f64_e32 v[8:9], v[10:11], v[8:9]
	v_add_f64_e32 v[6:7], v[6:7], v[91:92]
	v_fma_f64 v[3:4], v[3:4], v[77:78], v[85:86]
	v_fma_f64 v[1:2], v[1:2], v[77:78], -v[79:80]
	s_delay_alu instid0(VALU_DEP_4) | instskip(NEXT) | instid1(VALU_DEP_4)
	v_add_f64_e32 v[8:9], v[8:9], v[81:82]
	v_add_f64_e32 v[6:7], v[6:7], v[83:84]
	s_delay_alu instid0(VALU_DEP_2) | instskip(NEXT) | instid1(VALU_DEP_2)
	v_add_f64_e32 v[1:2], v[8:9], v[1:2]
	v_add_f64_e32 v[3:4], v[6:7], v[3:4]
	s_delay_alu instid0(VALU_DEP_2) | instskip(NEXT) | instid1(VALU_DEP_2)
	v_add_f64_e64 v[1:2], v[117:118], -v[1:2]
	v_add_f64_e64 v[3:4], v[119:120], -v[3:4]
	scratch_store_b128 off, v[1:4], off offset:320
	v_cmpx_lt_u32_e32 18, v0
	s_cbranch_execz .LBB31_169
; %bb.168:
	scratch_load_b128 v[1:4], off, s8
	v_mov_b32_e32 v6, 0
	s_delay_alu instid0(VALU_DEP_1)
	v_dual_mov_b32 v7, v6 :: v_dual_mov_b32 v8, v6
	v_mov_b32_e32 v9, v6
	scratch_store_b128 off, v[6:9], off offset:304
	s_wait_loadcnt 0x0
	ds_store_b128 v5, v[1:4]
.LBB31_169:
	s_wait_alu 0xfffe
	s_or_b32 exec_lo, exec_lo, s0
	s_wait_storecnt_dscnt 0x0
	s_barrier_signal -1
	s_barrier_wait -1
	global_inv scope:SCOPE_SE
	s_clause 0x7
	scratch_load_b128 v[6:9], off, off offset:320
	scratch_load_b128 v[77:80], off, off offset:336
	;; [unrolled: 1-line block ×8, first 2 shown]
	v_mov_b32_e32 v1, 0
	s_mov_b32 s0, exec_lo
	ds_load_b128 v[105:108], v1 offset:816
	s_clause 0x1
	scratch_load_b128 v[109:112], off, off offset:448
	scratch_load_b128 v[113:116], off, off offset:304
	ds_load_b128 v[117:120], v1 offset:832
	ds_load_b128 v[125:128], v1 offset:864
	s_wait_loadcnt_dscnt 0x902
	v_mul_f64_e32 v[2:3], v[107:108], v[8:9]
	v_mul_f64_e32 v[121:122], v[105:106], v[8:9]
	scratch_load_b128 v[8:11], off, off offset:464
	v_fma_f64 v[2:3], v[105:106], v[6:7], -v[2:3]
	v_fma_f64 v[6:7], v[107:108], v[6:7], v[121:122]
	ds_load_b128 v[105:108], v1 offset:848
	s_wait_loadcnt_dscnt 0x902
	v_mul_f64_e32 v[129:130], v[117:118], v[79:80]
	v_mul_f64_e32 v[79:80], v[119:120], v[79:80]
	scratch_load_b128 v[121:124], off, off offset:480
	s_wait_loadcnt_dscnt 0x900
	v_mul_f64_e32 v[131:132], v[105:106], v[83:84]
	v_mul_f64_e32 v[83:84], v[107:108], v[83:84]
	v_add_f64_e32 v[2:3], 0, v[2:3]
	v_add_f64_e32 v[6:7], 0, v[6:7]
	v_fma_f64 v[119:120], v[119:120], v[77:78], v[129:130]
	v_fma_f64 v[117:118], v[117:118], v[77:78], -v[79:80]
	scratch_load_b128 v[77:80], off, off offset:496
	v_fma_f64 v[131:132], v[107:108], v[81:82], v[131:132]
	v_fma_f64 v[133:134], v[105:106], v[81:82], -v[83:84]
	ds_load_b128 v[81:84], v1 offset:880
	s_wait_loadcnt 0x9
	v_mul_f64_e32 v[129:130], v[125:126], v[87:88]
	v_mul_f64_e32 v[87:88], v[127:128], v[87:88]
	scratch_load_b128 v[105:108], off, off offset:512
	v_add_f64_e32 v[6:7], v[6:7], v[119:120]
	v_add_f64_e32 v[2:3], v[2:3], v[117:118]
	ds_load_b128 v[117:120], v1 offset:896
	s_wait_loadcnt_dscnt 0x901
	v_mul_f64_e32 v[135:136], v[81:82], v[91:92]
	v_mul_f64_e32 v[91:92], v[83:84], v[91:92]
	v_fma_f64 v[127:128], v[127:128], v[85:86], v[129:130]
	v_fma_f64 v[85:86], v[125:126], v[85:86], -v[87:88]
	s_wait_loadcnt_dscnt 0x800
	v_mul_f64_e32 v[125:126], v[117:118], v[95:96]
	v_mul_f64_e32 v[95:96], v[119:120], v[95:96]
	v_add_f64_e32 v[6:7], v[6:7], v[131:132]
	v_add_f64_e32 v[2:3], v[2:3], v[133:134]
	v_fma_f64 v[129:130], v[83:84], v[89:90], v[135:136]
	v_fma_f64 v[89:90], v[81:82], v[89:90], -v[91:92]
	v_fma_f64 v[119:120], v[119:120], v[93:94], v[125:126]
	v_fma_f64 v[93:94], v[117:118], v[93:94], -v[95:96]
	v_add_f64_e32 v[6:7], v[6:7], v[127:128]
	v_add_f64_e32 v[2:3], v[2:3], v[85:86]
	ds_load_b128 v[81:84], v1 offset:912
	ds_load_b128 v[85:88], v1 offset:928
	s_wait_loadcnt_dscnt 0x701
	v_mul_f64_e32 v[91:92], v[81:82], v[99:100]
	v_mul_f64_e32 v[99:100], v[83:84], v[99:100]
	s_wait_loadcnt_dscnt 0x600
	v_mul_f64_e32 v[95:96], v[85:86], v[103:104]
	v_mul_f64_e32 v[103:104], v[87:88], v[103:104]
	v_add_f64_e32 v[6:7], v[6:7], v[129:130]
	v_add_f64_e32 v[2:3], v[2:3], v[89:90]
	v_fma_f64 v[117:118], v[83:84], v[97:98], v[91:92]
	v_fma_f64 v[97:98], v[81:82], v[97:98], -v[99:100]
	ds_load_b128 v[81:84], v1 offset:944
	ds_load_b128 v[89:92], v1 offset:960
	v_fma_f64 v[87:88], v[87:88], v[101:102], v[95:96]
	v_fma_f64 v[85:86], v[85:86], v[101:102], -v[103:104]
	v_add_f64_e32 v[6:7], v[6:7], v[119:120]
	v_add_f64_e32 v[2:3], v[2:3], v[93:94]
	s_wait_loadcnt_dscnt 0x501
	v_mul_f64_e32 v[93:94], v[81:82], v[111:112]
	v_mul_f64_e32 v[99:100], v[83:84], v[111:112]
	s_delay_alu instid0(VALU_DEP_4) | instskip(NEXT) | instid1(VALU_DEP_4)
	v_add_f64_e32 v[6:7], v[6:7], v[117:118]
	v_add_f64_e32 v[2:3], v[2:3], v[97:98]
	s_delay_alu instid0(VALU_DEP_4) | instskip(NEXT) | instid1(VALU_DEP_4)
	v_fma_f64 v[93:94], v[83:84], v[109:110], v[93:94]
	v_fma_f64 v[97:98], v[81:82], v[109:110], -v[99:100]
	s_wait_loadcnt_dscnt 0x300
	v_mul_f64_e32 v[95:96], v[89:90], v[10:11]
	v_mul_f64_e32 v[10:11], v[91:92], v[10:11]
	v_add_f64_e32 v[6:7], v[6:7], v[87:88]
	v_add_f64_e32 v[2:3], v[2:3], v[85:86]
	ds_load_b128 v[81:84], v1 offset:976
	ds_load_b128 v[85:88], v1 offset:992
	v_fma_f64 v[91:92], v[91:92], v[8:9], v[95:96]
	v_fma_f64 v[8:9], v[89:90], v[8:9], -v[10:11]
	s_wait_loadcnt_dscnt 0x201
	v_mul_f64_e32 v[99:100], v[81:82], v[123:124]
	v_mul_f64_e32 v[101:102], v[83:84], v[123:124]
	v_add_f64_e32 v[6:7], v[6:7], v[93:94]
	v_add_f64_e32 v[2:3], v[2:3], v[97:98]
	s_wait_loadcnt_dscnt 0x100
	v_mul_f64_e32 v[10:11], v[85:86], v[79:80]
	v_mul_f64_e32 v[79:80], v[87:88], v[79:80]
	v_fma_f64 v[83:84], v[83:84], v[121:122], v[99:100]
	v_fma_f64 v[81:82], v[81:82], v[121:122], -v[101:102]
	v_add_f64_e32 v[89:90], v[6:7], v[91:92]
	v_add_f64_e32 v[2:3], v[2:3], v[8:9]
	ds_load_b128 v[6:9], v1 offset:1008
	v_fma_f64 v[10:11], v[87:88], v[77:78], v[10:11]
	v_fma_f64 v[77:78], v[85:86], v[77:78], -v[79:80]
	s_wait_loadcnt_dscnt 0x0
	v_mul_f64_e32 v[91:92], v[6:7], v[107:108]
	v_mul_f64_e32 v[93:94], v[8:9], v[107:108]
	v_add_f64_e32 v[79:80], v[89:90], v[83:84]
	v_add_f64_e32 v[2:3], v[2:3], v[81:82]
	s_delay_alu instid0(VALU_DEP_4) | instskip(NEXT) | instid1(VALU_DEP_4)
	v_fma_f64 v[8:9], v[8:9], v[105:106], v[91:92]
	v_fma_f64 v[6:7], v[6:7], v[105:106], -v[93:94]
	s_delay_alu instid0(VALU_DEP_4) | instskip(NEXT) | instid1(VALU_DEP_4)
	v_add_f64_e32 v[10:11], v[79:80], v[10:11]
	v_add_f64_e32 v[2:3], v[2:3], v[77:78]
	s_delay_alu instid0(VALU_DEP_2) | instskip(NEXT) | instid1(VALU_DEP_2)
	v_add_f64_e32 v[8:9], v[10:11], v[8:9]
	v_add_f64_e32 v[2:3], v[2:3], v[6:7]
	s_delay_alu instid0(VALU_DEP_2) | instskip(NEXT) | instid1(VALU_DEP_2)
	v_add_f64_e64 v[8:9], v[115:116], -v[8:9]
	v_add_f64_e64 v[6:7], v[113:114], -v[2:3]
	scratch_store_b128 off, v[6:9], off offset:304
	v_cmpx_lt_u32_e32 17, v0
	s_cbranch_execz .LBB31_171
; %bb.170:
	scratch_load_b128 v[6:9], off, s5
	v_dual_mov_b32 v2, v1 :: v_dual_mov_b32 v3, v1
	v_mov_b32_e32 v4, v1
	scratch_store_b128 off, v[1:4], off offset:288
	s_wait_loadcnt 0x0
	ds_store_b128 v5, v[6:9]
.LBB31_171:
	s_wait_alu 0xfffe
	s_or_b32 exec_lo, exec_lo, s0
	s_wait_storecnt_dscnt 0x0
	s_barrier_signal -1
	s_barrier_wait -1
	global_inv scope:SCOPE_SE
	s_clause 0x8
	scratch_load_b128 v[6:9], off, off offset:304
	scratch_load_b128 v[77:80], off, off offset:320
	;; [unrolled: 1-line block ×9, first 2 shown]
	ds_load_b128 v[109:112], v1 offset:800
	ds_load_b128 v[113:116], v1 offset:816
	scratch_load_b128 v[117:120], off, off offset:288
	s_mov_b32 s0, exec_lo
	ds_load_b128 v[125:128], v1 offset:848
	s_wait_loadcnt_dscnt 0x902
	v_mul_f64_e32 v[2:3], v[111:112], v[8:9]
	v_mul_f64_e32 v[121:122], v[109:110], v[8:9]
	scratch_load_b128 v[8:11], off, off offset:448
	s_wait_loadcnt_dscnt 0x901
	v_mul_f64_e32 v[129:130], v[113:114], v[79:80]
	v_mul_f64_e32 v[79:80], v[115:116], v[79:80]
	v_fma_f64 v[2:3], v[109:110], v[6:7], -v[2:3]
	v_fma_f64 v[6:7], v[111:112], v[6:7], v[121:122]
	ds_load_b128 v[109:112], v1 offset:832
	scratch_load_b128 v[121:124], off, off offset:464
	v_fma_f64 v[115:116], v[115:116], v[77:78], v[129:130]
	v_fma_f64 v[113:114], v[113:114], v[77:78], -v[79:80]
	scratch_load_b128 v[77:80], off, off offset:480
	s_wait_loadcnt_dscnt 0x901
	v_mul_f64_e32 v[129:130], v[125:126], v[87:88]
	v_mul_f64_e32 v[87:88], v[127:128], v[87:88]
	s_wait_dscnt 0x0
	v_mul_f64_e32 v[131:132], v[109:110], v[83:84]
	v_mul_f64_e32 v[83:84], v[111:112], v[83:84]
	v_add_f64_e32 v[2:3], 0, v[2:3]
	v_add_f64_e32 v[6:7], 0, v[6:7]
	v_fma_f64 v[127:128], v[127:128], v[85:86], v[129:130]
	v_fma_f64 v[125:126], v[125:126], v[85:86], -v[87:88]
	scratch_load_b128 v[85:88], off, off offset:512
	v_fma_f64 v[131:132], v[111:112], v[81:82], v[131:132]
	v_fma_f64 v[133:134], v[109:110], v[81:82], -v[83:84]
	ds_load_b128 v[81:84], v1 offset:864
	scratch_load_b128 v[109:112], off, off offset:496
	v_add_f64_e32 v[2:3], v[2:3], v[113:114]
	v_add_f64_e32 v[6:7], v[6:7], v[115:116]
	ds_load_b128 v[113:116], v1 offset:880
	s_wait_loadcnt_dscnt 0xa01
	v_mul_f64_e32 v[135:136], v[81:82], v[91:92]
	v_mul_f64_e32 v[91:92], v[83:84], v[91:92]
	s_wait_loadcnt_dscnt 0x900
	v_mul_f64_e32 v[129:130], v[113:114], v[95:96]
	v_mul_f64_e32 v[95:96], v[115:116], v[95:96]
	v_add_f64_e32 v[2:3], v[2:3], v[133:134]
	v_add_f64_e32 v[6:7], v[6:7], v[131:132]
	v_fma_f64 v[131:132], v[83:84], v[89:90], v[135:136]
	v_fma_f64 v[133:134], v[81:82], v[89:90], -v[91:92]
	ds_load_b128 v[81:84], v1 offset:896
	ds_load_b128 v[89:92], v1 offset:912
	v_fma_f64 v[115:116], v[115:116], v[93:94], v[129:130]
	v_fma_f64 v[93:94], v[113:114], v[93:94], -v[95:96]
	s_wait_loadcnt_dscnt 0x700
	v_mul_f64_e32 v[113:114], v[89:90], v[103:104]
	v_mul_f64_e32 v[103:104], v[91:92], v[103:104]
	v_add_f64_e32 v[2:3], v[2:3], v[125:126]
	v_add_f64_e32 v[6:7], v[6:7], v[127:128]
	v_mul_f64_e32 v[125:126], v[81:82], v[99:100]
	v_mul_f64_e32 v[99:100], v[83:84], v[99:100]
	v_fma_f64 v[91:92], v[91:92], v[101:102], v[113:114]
	v_fma_f64 v[89:90], v[89:90], v[101:102], -v[103:104]
	v_add_f64_e32 v[2:3], v[2:3], v[133:134]
	v_add_f64_e32 v[6:7], v[6:7], v[131:132]
	v_fma_f64 v[125:126], v[83:84], v[97:98], v[125:126]
	v_fma_f64 v[97:98], v[81:82], v[97:98], -v[99:100]
	s_delay_alu instid0(VALU_DEP_4) | instskip(NEXT) | instid1(VALU_DEP_4)
	v_add_f64_e32 v[2:3], v[2:3], v[93:94]
	v_add_f64_e32 v[6:7], v[6:7], v[115:116]
	ds_load_b128 v[81:84], v1 offset:928
	ds_load_b128 v[93:96], v1 offset:944
	s_wait_loadcnt_dscnt 0x601
	v_mul_f64_e32 v[99:100], v[81:82], v[107:108]
	v_mul_f64_e32 v[107:108], v[83:84], v[107:108]
	v_add_f64_e32 v[2:3], v[2:3], v[97:98]
	v_add_f64_e32 v[6:7], v[6:7], v[125:126]
	s_wait_loadcnt_dscnt 0x400
	v_mul_f64_e32 v[97:98], v[93:94], v[10:11]
	v_mul_f64_e32 v[10:11], v[95:96], v[10:11]
	v_fma_f64 v[99:100], v[83:84], v[105:106], v[99:100]
	v_fma_f64 v[101:102], v[81:82], v[105:106], -v[107:108]
	v_add_f64_e32 v[2:3], v[2:3], v[89:90]
	v_add_f64_e32 v[6:7], v[6:7], v[91:92]
	ds_load_b128 v[81:84], v1 offset:960
	ds_load_b128 v[89:92], v1 offset:976
	v_fma_f64 v[95:96], v[95:96], v[8:9], v[97:98]
	v_fma_f64 v[8:9], v[93:94], v[8:9], -v[10:11]
	s_wait_loadcnt_dscnt 0x301
	v_mul_f64_e32 v[103:104], v[81:82], v[123:124]
	v_mul_f64_e32 v[105:106], v[83:84], v[123:124]
	s_wait_loadcnt_dscnt 0x200
	v_mul_f64_e32 v[10:11], v[89:90], v[79:80]
	v_mul_f64_e32 v[79:80], v[91:92], v[79:80]
	v_add_f64_e32 v[2:3], v[2:3], v[101:102]
	v_add_f64_e32 v[6:7], v[6:7], v[99:100]
	v_fma_f64 v[83:84], v[83:84], v[121:122], v[103:104]
	v_fma_f64 v[81:82], v[81:82], v[121:122], -v[105:106]
	v_fma_f64 v[10:11], v[91:92], v[77:78], v[10:11]
	v_fma_f64 v[77:78], v[89:90], v[77:78], -v[79:80]
	v_add_f64_e32 v[93:94], v[2:3], v[8:9]
	v_add_f64_e32 v[95:96], v[6:7], v[95:96]
	ds_load_b128 v[6:9], v1 offset:992
	ds_load_b128 v[1:4], v1 offset:1008
	s_wait_loadcnt_dscnt 0x1
	v_mul_f64_e32 v[97:98], v[6:7], v[111:112]
	v_mul_f64_e32 v[99:100], v[8:9], v[111:112]
	v_add_f64_e32 v[79:80], v[93:94], v[81:82]
	v_add_f64_e32 v[81:82], v[95:96], v[83:84]
	s_wait_dscnt 0x0
	v_mul_f64_e32 v[83:84], v[1:2], v[87:88]
	v_mul_f64_e32 v[87:88], v[3:4], v[87:88]
	v_fma_f64 v[8:9], v[8:9], v[109:110], v[97:98]
	v_fma_f64 v[6:7], v[6:7], v[109:110], -v[99:100]
	v_add_f64_e32 v[77:78], v[79:80], v[77:78]
	v_add_f64_e32 v[10:11], v[81:82], v[10:11]
	v_fma_f64 v[3:4], v[3:4], v[85:86], v[83:84]
	v_fma_f64 v[1:2], v[1:2], v[85:86], -v[87:88]
	s_delay_alu instid0(VALU_DEP_4) | instskip(NEXT) | instid1(VALU_DEP_4)
	v_add_f64_e32 v[6:7], v[77:78], v[6:7]
	v_add_f64_e32 v[8:9], v[10:11], v[8:9]
	s_delay_alu instid0(VALU_DEP_2) | instskip(NEXT) | instid1(VALU_DEP_2)
	v_add_f64_e32 v[1:2], v[6:7], v[1:2]
	v_add_f64_e32 v[3:4], v[8:9], v[3:4]
	s_delay_alu instid0(VALU_DEP_2) | instskip(NEXT) | instid1(VALU_DEP_2)
	v_add_f64_e64 v[1:2], v[117:118], -v[1:2]
	v_add_f64_e64 v[3:4], v[119:120], -v[3:4]
	scratch_store_b128 off, v[1:4], off offset:288
	v_cmpx_lt_u32_e32 16, v0
	s_cbranch_execz .LBB31_173
; %bb.172:
	scratch_load_b128 v[1:4], off, s27
	v_mov_b32_e32 v6, 0
	s_delay_alu instid0(VALU_DEP_1)
	v_dual_mov_b32 v7, v6 :: v_dual_mov_b32 v8, v6
	v_mov_b32_e32 v9, v6
	scratch_store_b128 off, v[6:9], off offset:272
	s_wait_loadcnt 0x0
	ds_store_b128 v5, v[1:4]
.LBB31_173:
	s_wait_alu 0xfffe
	s_or_b32 exec_lo, exec_lo, s0
	s_wait_storecnt_dscnt 0x0
	s_barrier_signal -1
	s_barrier_wait -1
	global_inv scope:SCOPE_SE
	s_clause 0x7
	scratch_load_b128 v[6:9], off, off offset:288
	scratch_load_b128 v[77:80], off, off offset:304
	;; [unrolled: 1-line block ×8, first 2 shown]
	v_mov_b32_e32 v1, 0
	s_mov_b32 s0, exec_lo
	ds_load_b128 v[105:108], v1 offset:784
	s_clause 0x1
	scratch_load_b128 v[109:112], off, off offset:416
	scratch_load_b128 v[113:116], off, off offset:272
	ds_load_b128 v[117:120], v1 offset:800
	ds_load_b128 v[125:128], v1 offset:832
	s_wait_loadcnt_dscnt 0x902
	v_mul_f64_e32 v[2:3], v[107:108], v[8:9]
	v_mul_f64_e32 v[121:122], v[105:106], v[8:9]
	scratch_load_b128 v[8:11], off, off offset:432
	v_fma_f64 v[2:3], v[105:106], v[6:7], -v[2:3]
	v_fma_f64 v[6:7], v[107:108], v[6:7], v[121:122]
	ds_load_b128 v[105:108], v1 offset:816
	s_wait_loadcnt_dscnt 0x902
	v_mul_f64_e32 v[129:130], v[117:118], v[79:80]
	v_mul_f64_e32 v[79:80], v[119:120], v[79:80]
	scratch_load_b128 v[121:124], off, off offset:448
	s_wait_loadcnt_dscnt 0x900
	v_mul_f64_e32 v[131:132], v[105:106], v[83:84]
	v_mul_f64_e32 v[83:84], v[107:108], v[83:84]
	v_add_f64_e32 v[2:3], 0, v[2:3]
	v_add_f64_e32 v[6:7], 0, v[6:7]
	v_fma_f64 v[119:120], v[119:120], v[77:78], v[129:130]
	v_fma_f64 v[117:118], v[117:118], v[77:78], -v[79:80]
	scratch_load_b128 v[77:80], off, off offset:464
	v_fma_f64 v[131:132], v[107:108], v[81:82], v[131:132]
	v_fma_f64 v[133:134], v[105:106], v[81:82], -v[83:84]
	ds_load_b128 v[81:84], v1 offset:848
	s_wait_loadcnt 0x9
	v_mul_f64_e32 v[129:130], v[125:126], v[87:88]
	v_mul_f64_e32 v[87:88], v[127:128], v[87:88]
	scratch_load_b128 v[105:108], off, off offset:480
	v_add_f64_e32 v[6:7], v[6:7], v[119:120]
	v_add_f64_e32 v[2:3], v[2:3], v[117:118]
	ds_load_b128 v[117:120], v1 offset:864
	s_wait_loadcnt_dscnt 0x901
	v_mul_f64_e32 v[135:136], v[81:82], v[91:92]
	v_mul_f64_e32 v[91:92], v[83:84], v[91:92]
	v_fma_f64 v[127:128], v[127:128], v[85:86], v[129:130]
	v_fma_f64 v[125:126], v[125:126], v[85:86], -v[87:88]
	scratch_load_b128 v[85:88], off, off offset:496
	v_add_f64_e32 v[6:7], v[6:7], v[131:132]
	v_add_f64_e32 v[2:3], v[2:3], v[133:134]
	v_fma_f64 v[131:132], v[83:84], v[89:90], v[135:136]
	v_fma_f64 v[133:134], v[81:82], v[89:90], -v[91:92]
	ds_load_b128 v[81:84], v1 offset:880
	s_wait_loadcnt_dscnt 0x901
	v_mul_f64_e32 v[129:130], v[117:118], v[95:96]
	v_mul_f64_e32 v[95:96], v[119:120], v[95:96]
	scratch_load_b128 v[89:92], off, off offset:512
	s_wait_loadcnt_dscnt 0x900
	v_mul_f64_e32 v[135:136], v[81:82], v[99:100]
	v_mul_f64_e32 v[99:100], v[83:84], v[99:100]
	v_add_f64_e32 v[6:7], v[6:7], v[127:128]
	v_add_f64_e32 v[2:3], v[2:3], v[125:126]
	ds_load_b128 v[125:128], v1 offset:896
	v_fma_f64 v[119:120], v[119:120], v[93:94], v[129:130]
	v_fma_f64 v[93:94], v[117:118], v[93:94], -v[95:96]
	s_wait_loadcnt_dscnt 0x800
	v_mul_f64_e32 v[117:118], v[125:126], v[103:104]
	v_mul_f64_e32 v[103:104], v[127:128], v[103:104]
	v_fma_f64 v[129:130], v[83:84], v[97:98], v[135:136]
	v_fma_f64 v[97:98], v[81:82], v[97:98], -v[99:100]
	v_add_f64_e32 v[6:7], v[6:7], v[131:132]
	v_add_f64_e32 v[2:3], v[2:3], v[133:134]
	v_fma_f64 v[117:118], v[127:128], v[101:102], v[117:118]
	v_fma_f64 v[101:102], v[125:126], v[101:102], -v[103:104]
	s_delay_alu instid0(VALU_DEP_4) | instskip(NEXT) | instid1(VALU_DEP_4)
	v_add_f64_e32 v[6:7], v[6:7], v[119:120]
	v_add_f64_e32 v[2:3], v[2:3], v[93:94]
	ds_load_b128 v[81:84], v1 offset:912
	ds_load_b128 v[93:96], v1 offset:928
	s_wait_loadcnt_dscnt 0x701
	v_mul_f64_e32 v[99:100], v[81:82], v[111:112]
	v_mul_f64_e32 v[111:112], v[83:84], v[111:112]
	v_add_f64_e32 v[6:7], v[6:7], v[129:130]
	v_add_f64_e32 v[2:3], v[2:3], v[97:98]
	s_wait_loadcnt_dscnt 0x500
	v_mul_f64_e32 v[103:104], v[93:94], v[10:11]
	v_mul_f64_e32 v[10:11], v[95:96], v[10:11]
	v_fma_f64 v[119:120], v[83:84], v[109:110], v[99:100]
	v_fma_f64 v[109:110], v[81:82], v[109:110], -v[111:112]
	ds_load_b128 v[81:84], v1 offset:944
	ds_load_b128 v[97:100], v1 offset:960
	v_add_f64_e32 v[6:7], v[6:7], v[117:118]
	v_add_f64_e32 v[2:3], v[2:3], v[101:102]
	v_fma_f64 v[95:96], v[95:96], v[8:9], v[103:104]
	v_fma_f64 v[8:9], v[93:94], v[8:9], -v[10:11]
	s_wait_loadcnt_dscnt 0x401
	v_mul_f64_e32 v[101:102], v[81:82], v[123:124]
	v_mul_f64_e32 v[111:112], v[83:84], v[123:124]
	v_add_f64_e32 v[6:7], v[6:7], v[119:120]
	v_add_f64_e32 v[2:3], v[2:3], v[109:110]
	s_wait_loadcnt_dscnt 0x300
	v_mul_f64_e32 v[10:11], v[97:98], v[79:80]
	v_mul_f64_e32 v[93:94], v[99:100], v[79:80]
	v_fma_f64 v[83:84], v[83:84], v[121:122], v[101:102]
	v_fma_f64 v[101:102], v[81:82], v[121:122], -v[111:112]
	v_add_f64_e32 v[95:96], v[6:7], v[95:96]
	v_add_f64_e32 v[2:3], v[2:3], v[8:9]
	ds_load_b128 v[6:9], v1 offset:976
	ds_load_b128 v[79:82], v1 offset:992
	v_fma_f64 v[10:11], v[99:100], v[77:78], v[10:11]
	v_fma_f64 v[77:78], v[97:98], v[77:78], -v[93:94]
	s_wait_loadcnt_dscnt 0x201
	v_mul_f64_e32 v[103:104], v[6:7], v[107:108]
	v_mul_f64_e32 v[107:108], v[8:9], v[107:108]
	v_add_f64_e32 v[83:84], v[95:96], v[83:84]
	v_add_f64_e32 v[2:3], v[2:3], v[101:102]
	s_wait_loadcnt_dscnt 0x100
	v_mul_f64_e32 v[93:94], v[79:80], v[87:88]
	v_mul_f64_e32 v[87:88], v[81:82], v[87:88]
	v_fma_f64 v[95:96], v[8:9], v[105:106], v[103:104]
	v_fma_f64 v[97:98], v[6:7], v[105:106], -v[107:108]
	ds_load_b128 v[6:9], v1 offset:1008
	v_add_f64_e32 v[10:11], v[83:84], v[10:11]
	v_add_f64_e32 v[2:3], v[2:3], v[77:78]
	v_fma_f64 v[81:82], v[81:82], v[85:86], v[93:94]
	v_fma_f64 v[79:80], v[79:80], v[85:86], -v[87:88]
	s_wait_loadcnt_dscnt 0x0
	v_mul_f64_e32 v[77:78], v[6:7], v[91:92]
	v_mul_f64_e32 v[83:84], v[8:9], v[91:92]
	v_add_f64_e32 v[10:11], v[10:11], v[95:96]
	v_add_f64_e32 v[2:3], v[2:3], v[97:98]
	s_delay_alu instid0(VALU_DEP_4) | instskip(NEXT) | instid1(VALU_DEP_4)
	v_fma_f64 v[8:9], v[8:9], v[89:90], v[77:78]
	v_fma_f64 v[6:7], v[6:7], v[89:90], -v[83:84]
	s_delay_alu instid0(VALU_DEP_4) | instskip(NEXT) | instid1(VALU_DEP_4)
	v_add_f64_e32 v[10:11], v[10:11], v[81:82]
	v_add_f64_e32 v[2:3], v[2:3], v[79:80]
	s_delay_alu instid0(VALU_DEP_2) | instskip(NEXT) | instid1(VALU_DEP_2)
	v_add_f64_e32 v[8:9], v[10:11], v[8:9]
	v_add_f64_e32 v[2:3], v[2:3], v[6:7]
	s_delay_alu instid0(VALU_DEP_2) | instskip(NEXT) | instid1(VALU_DEP_2)
	v_add_f64_e64 v[8:9], v[115:116], -v[8:9]
	v_add_f64_e64 v[6:7], v[113:114], -v[2:3]
	scratch_store_b128 off, v[6:9], off offset:272
	v_cmpx_lt_u32_e32 15, v0
	s_cbranch_execz .LBB31_175
; %bb.174:
	scratch_load_b128 v[6:9], off, s28
	v_dual_mov_b32 v2, v1 :: v_dual_mov_b32 v3, v1
	v_mov_b32_e32 v4, v1
	scratch_store_b128 off, v[1:4], off offset:256
	s_wait_loadcnt 0x0
	ds_store_b128 v5, v[6:9]
.LBB31_175:
	s_wait_alu 0xfffe
	s_or_b32 exec_lo, exec_lo, s0
	s_wait_storecnt_dscnt 0x0
	s_barrier_signal -1
	s_barrier_wait -1
	global_inv scope:SCOPE_SE
	s_clause 0x8
	scratch_load_b128 v[6:9], off, off offset:272
	scratch_load_b128 v[77:80], off, off offset:288
	;; [unrolled: 1-line block ×9, first 2 shown]
	ds_load_b128 v[109:112], v1 offset:768
	ds_load_b128 v[113:116], v1 offset:784
	scratch_load_b128 v[117:120], off, off offset:256
	s_mov_b32 s0, exec_lo
	ds_load_b128 v[125:128], v1 offset:816
	s_wait_loadcnt_dscnt 0x902
	v_mul_f64_e32 v[2:3], v[111:112], v[8:9]
	v_mul_f64_e32 v[121:122], v[109:110], v[8:9]
	scratch_load_b128 v[8:11], off, off offset:416
	s_wait_loadcnt_dscnt 0x901
	v_mul_f64_e32 v[129:130], v[113:114], v[79:80]
	v_mul_f64_e32 v[79:80], v[115:116], v[79:80]
	v_fma_f64 v[2:3], v[109:110], v[6:7], -v[2:3]
	v_fma_f64 v[6:7], v[111:112], v[6:7], v[121:122]
	ds_load_b128 v[109:112], v1 offset:800
	scratch_load_b128 v[121:124], off, off offset:432
	v_fma_f64 v[115:116], v[115:116], v[77:78], v[129:130]
	v_fma_f64 v[113:114], v[113:114], v[77:78], -v[79:80]
	scratch_load_b128 v[77:80], off, off offset:448
	s_wait_loadcnt_dscnt 0x901
	v_mul_f64_e32 v[129:130], v[125:126], v[87:88]
	v_mul_f64_e32 v[87:88], v[127:128], v[87:88]
	s_wait_dscnt 0x0
	v_mul_f64_e32 v[131:132], v[109:110], v[83:84]
	v_mul_f64_e32 v[83:84], v[111:112], v[83:84]
	v_add_f64_e32 v[2:3], 0, v[2:3]
	v_add_f64_e32 v[6:7], 0, v[6:7]
	v_fma_f64 v[127:128], v[127:128], v[85:86], v[129:130]
	v_fma_f64 v[125:126], v[125:126], v[85:86], -v[87:88]
	scratch_load_b128 v[85:88], off, off offset:480
	v_fma_f64 v[131:132], v[111:112], v[81:82], v[131:132]
	v_fma_f64 v[133:134], v[109:110], v[81:82], -v[83:84]
	ds_load_b128 v[81:84], v1 offset:832
	scratch_load_b128 v[109:112], off, off offset:464
	v_add_f64_e32 v[2:3], v[2:3], v[113:114]
	v_add_f64_e32 v[6:7], v[6:7], v[115:116]
	ds_load_b128 v[113:116], v1 offset:848
	s_wait_loadcnt_dscnt 0xa01
	v_mul_f64_e32 v[135:136], v[81:82], v[91:92]
	v_mul_f64_e32 v[91:92], v[83:84], v[91:92]
	s_wait_loadcnt_dscnt 0x900
	v_mul_f64_e32 v[129:130], v[113:114], v[95:96]
	v_mul_f64_e32 v[95:96], v[115:116], v[95:96]
	v_add_f64_e32 v[2:3], v[2:3], v[133:134]
	v_add_f64_e32 v[6:7], v[6:7], v[131:132]
	v_fma_f64 v[131:132], v[83:84], v[89:90], v[135:136]
	v_fma_f64 v[133:134], v[81:82], v[89:90], -v[91:92]
	ds_load_b128 v[81:84], v1 offset:864
	scratch_load_b128 v[89:92], off, off offset:496
	v_fma_f64 v[115:116], v[115:116], v[93:94], v[129:130]
	v_fma_f64 v[113:114], v[113:114], v[93:94], -v[95:96]
	scratch_load_b128 v[93:96], off, off offset:512
	v_add_f64_e32 v[2:3], v[2:3], v[125:126]
	v_add_f64_e32 v[6:7], v[6:7], v[127:128]
	ds_load_b128 v[125:128], v1 offset:880
	s_wait_loadcnt_dscnt 0xa01
	v_mul_f64_e32 v[135:136], v[81:82], v[99:100]
	v_mul_f64_e32 v[99:100], v[83:84], v[99:100]
	s_wait_loadcnt_dscnt 0x900
	v_mul_f64_e32 v[129:130], v[125:126], v[103:104]
	v_mul_f64_e32 v[103:104], v[127:128], v[103:104]
	v_add_f64_e32 v[2:3], v[2:3], v[133:134]
	v_add_f64_e32 v[6:7], v[6:7], v[131:132]
	v_fma_f64 v[131:132], v[83:84], v[97:98], v[135:136]
	v_fma_f64 v[133:134], v[81:82], v[97:98], -v[99:100]
	ds_load_b128 v[81:84], v1 offset:896
	ds_load_b128 v[97:100], v1 offset:912
	v_add_f64_e32 v[2:3], v[2:3], v[113:114]
	v_add_f64_e32 v[6:7], v[6:7], v[115:116]
	s_wait_loadcnt_dscnt 0x801
	v_mul_f64_e32 v[113:114], v[81:82], v[107:108]
	v_mul_f64_e32 v[107:108], v[83:84], v[107:108]
	v_fma_f64 v[115:116], v[127:128], v[101:102], v[129:130]
	v_fma_f64 v[101:102], v[125:126], v[101:102], -v[103:104]
	v_add_f64_e32 v[2:3], v[2:3], v[133:134]
	v_add_f64_e32 v[6:7], v[6:7], v[131:132]
	v_fma_f64 v[113:114], v[83:84], v[105:106], v[113:114]
	v_fma_f64 v[105:106], v[81:82], v[105:106], -v[107:108]
	s_wait_loadcnt_dscnt 0x600
	v_mul_f64_e32 v[125:126], v[97:98], v[10:11]
	v_mul_f64_e32 v[10:11], v[99:100], v[10:11]
	v_add_f64_e32 v[2:3], v[2:3], v[101:102]
	v_add_f64_e32 v[6:7], v[6:7], v[115:116]
	ds_load_b128 v[81:84], v1 offset:928
	ds_load_b128 v[101:104], v1 offset:944
	v_fma_f64 v[99:100], v[99:100], v[8:9], v[125:126]
	v_fma_f64 v[8:9], v[97:98], v[8:9], -v[10:11]
	s_wait_loadcnt_dscnt 0x501
	v_mul_f64_e32 v[107:108], v[81:82], v[123:124]
	v_mul_f64_e32 v[115:116], v[83:84], v[123:124]
	s_wait_loadcnt_dscnt 0x400
	v_mul_f64_e32 v[10:11], v[101:102], v[79:80]
	v_mul_f64_e32 v[97:98], v[103:104], v[79:80]
	v_add_f64_e32 v[2:3], v[2:3], v[105:106]
	v_add_f64_e32 v[6:7], v[6:7], v[113:114]
	v_fma_f64 v[83:84], v[83:84], v[121:122], v[107:108]
	v_fma_f64 v[105:106], v[81:82], v[121:122], -v[115:116]
	v_fma_f64 v[10:11], v[103:104], v[77:78], v[10:11]
	v_fma_f64 v[77:78], v[101:102], v[77:78], -v[97:98]
	v_add_f64_e32 v[2:3], v[2:3], v[8:9]
	v_add_f64_e32 v[99:100], v[6:7], v[99:100]
	ds_load_b128 v[6:9], v1 offset:960
	ds_load_b128 v[79:82], v1 offset:976
	s_wait_loadcnt_dscnt 0x201
	v_mul_f64_e32 v[107:108], v[6:7], v[111:112]
	v_mul_f64_e32 v[111:112], v[8:9], v[111:112]
	s_wait_dscnt 0x0
	v_mul_f64_e32 v[97:98], v[79:80], v[87:88]
	v_mul_f64_e32 v[87:88], v[81:82], v[87:88]
	v_add_f64_e32 v[2:3], v[2:3], v[105:106]
	v_add_f64_e32 v[83:84], v[99:100], v[83:84]
	v_fma_f64 v[99:100], v[8:9], v[109:110], v[107:108]
	v_fma_f64 v[101:102], v[6:7], v[109:110], -v[111:112]
	v_fma_f64 v[81:82], v[81:82], v[85:86], v[97:98]
	v_fma_f64 v[79:80], v[79:80], v[85:86], -v[87:88]
	v_add_f64_e32 v[77:78], v[2:3], v[77:78]
	v_add_f64_e32 v[10:11], v[83:84], v[10:11]
	ds_load_b128 v[6:9], v1 offset:992
	ds_load_b128 v[1:4], v1 offset:1008
	s_wait_loadcnt_dscnt 0x101
	v_mul_f64_e32 v[83:84], v[6:7], v[91:92]
	v_mul_f64_e32 v[91:92], v[8:9], v[91:92]
	s_wait_loadcnt_dscnt 0x0
	v_mul_f64_e32 v[85:86], v[1:2], v[95:96]
	v_mul_f64_e32 v[87:88], v[3:4], v[95:96]
	v_add_f64_e32 v[77:78], v[77:78], v[101:102]
	v_add_f64_e32 v[10:11], v[10:11], v[99:100]
	v_fma_f64 v[8:9], v[8:9], v[89:90], v[83:84]
	v_fma_f64 v[6:7], v[6:7], v[89:90], -v[91:92]
	v_fma_f64 v[3:4], v[3:4], v[93:94], v[85:86]
	v_fma_f64 v[1:2], v[1:2], v[93:94], -v[87:88]
	v_add_f64_e32 v[77:78], v[77:78], v[79:80]
	v_add_f64_e32 v[10:11], v[10:11], v[81:82]
	s_delay_alu instid0(VALU_DEP_2) | instskip(NEXT) | instid1(VALU_DEP_2)
	v_add_f64_e32 v[6:7], v[77:78], v[6:7]
	v_add_f64_e32 v[8:9], v[10:11], v[8:9]
	s_delay_alu instid0(VALU_DEP_2) | instskip(NEXT) | instid1(VALU_DEP_2)
	;; [unrolled: 3-line block ×3, first 2 shown]
	v_add_f64_e64 v[1:2], v[117:118], -v[1:2]
	v_add_f64_e64 v[3:4], v[119:120], -v[3:4]
	scratch_store_b128 off, v[1:4], off offset:256
	v_cmpx_lt_u32_e32 14, v0
	s_cbranch_execz .LBB31_177
; %bb.176:
	scratch_load_b128 v[1:4], off, s29
	v_mov_b32_e32 v6, 0
	s_delay_alu instid0(VALU_DEP_1)
	v_dual_mov_b32 v7, v6 :: v_dual_mov_b32 v8, v6
	v_mov_b32_e32 v9, v6
	scratch_store_b128 off, v[6:9], off offset:240
	s_wait_loadcnt 0x0
	ds_store_b128 v5, v[1:4]
.LBB31_177:
	s_wait_alu 0xfffe
	s_or_b32 exec_lo, exec_lo, s0
	s_wait_storecnt_dscnt 0x0
	s_barrier_signal -1
	s_barrier_wait -1
	global_inv scope:SCOPE_SE
	s_clause 0x7
	scratch_load_b128 v[6:9], off, off offset:256
	scratch_load_b128 v[77:80], off, off offset:272
	scratch_load_b128 v[81:84], off, off offset:288
	scratch_load_b128 v[85:88], off, off offset:304
	scratch_load_b128 v[89:92], off, off offset:320
	scratch_load_b128 v[93:96], off, off offset:336
	scratch_load_b128 v[97:100], off, off offset:352
	scratch_load_b128 v[101:104], off, off offset:368
	v_mov_b32_e32 v1, 0
	s_mov_b32 s0, exec_lo
	ds_load_b128 v[105:108], v1 offset:752
	s_clause 0x1
	scratch_load_b128 v[109:112], off, off offset:384
	scratch_load_b128 v[113:116], off, off offset:240
	ds_load_b128 v[117:120], v1 offset:768
	ds_load_b128 v[125:128], v1 offset:800
	s_wait_loadcnt_dscnt 0x902
	v_mul_f64_e32 v[2:3], v[107:108], v[8:9]
	v_mul_f64_e32 v[121:122], v[105:106], v[8:9]
	scratch_load_b128 v[8:11], off, off offset:400
	v_fma_f64 v[2:3], v[105:106], v[6:7], -v[2:3]
	v_fma_f64 v[6:7], v[107:108], v[6:7], v[121:122]
	ds_load_b128 v[105:108], v1 offset:784
	s_wait_loadcnt_dscnt 0x902
	v_mul_f64_e32 v[129:130], v[117:118], v[79:80]
	v_mul_f64_e32 v[79:80], v[119:120], v[79:80]
	scratch_load_b128 v[121:124], off, off offset:416
	s_wait_loadcnt_dscnt 0x900
	v_mul_f64_e32 v[131:132], v[105:106], v[83:84]
	v_mul_f64_e32 v[83:84], v[107:108], v[83:84]
	v_add_f64_e32 v[2:3], 0, v[2:3]
	v_add_f64_e32 v[6:7], 0, v[6:7]
	v_fma_f64 v[119:120], v[119:120], v[77:78], v[129:130]
	v_fma_f64 v[117:118], v[117:118], v[77:78], -v[79:80]
	scratch_load_b128 v[77:80], off, off offset:432
	v_fma_f64 v[131:132], v[107:108], v[81:82], v[131:132]
	v_fma_f64 v[133:134], v[105:106], v[81:82], -v[83:84]
	ds_load_b128 v[81:84], v1 offset:816
	s_wait_loadcnt 0x9
	v_mul_f64_e32 v[129:130], v[125:126], v[87:88]
	v_mul_f64_e32 v[87:88], v[127:128], v[87:88]
	scratch_load_b128 v[105:108], off, off offset:448
	v_add_f64_e32 v[6:7], v[6:7], v[119:120]
	v_add_f64_e32 v[2:3], v[2:3], v[117:118]
	ds_load_b128 v[117:120], v1 offset:832
	s_wait_loadcnt_dscnt 0x901
	v_mul_f64_e32 v[135:136], v[81:82], v[91:92]
	v_mul_f64_e32 v[91:92], v[83:84], v[91:92]
	v_fma_f64 v[127:128], v[127:128], v[85:86], v[129:130]
	v_fma_f64 v[125:126], v[125:126], v[85:86], -v[87:88]
	scratch_load_b128 v[85:88], off, off offset:464
	v_add_f64_e32 v[6:7], v[6:7], v[131:132]
	v_add_f64_e32 v[2:3], v[2:3], v[133:134]
	v_fma_f64 v[131:132], v[83:84], v[89:90], v[135:136]
	v_fma_f64 v[133:134], v[81:82], v[89:90], -v[91:92]
	ds_load_b128 v[81:84], v1 offset:848
	s_wait_loadcnt_dscnt 0x901
	v_mul_f64_e32 v[129:130], v[117:118], v[95:96]
	v_mul_f64_e32 v[95:96], v[119:120], v[95:96]
	scratch_load_b128 v[89:92], off, off offset:480
	s_wait_loadcnt_dscnt 0x900
	v_mul_f64_e32 v[135:136], v[81:82], v[99:100]
	v_mul_f64_e32 v[99:100], v[83:84], v[99:100]
	v_add_f64_e32 v[6:7], v[6:7], v[127:128]
	v_add_f64_e32 v[2:3], v[2:3], v[125:126]
	ds_load_b128 v[125:128], v1 offset:864
	v_fma_f64 v[119:120], v[119:120], v[93:94], v[129:130]
	v_fma_f64 v[117:118], v[117:118], v[93:94], -v[95:96]
	scratch_load_b128 v[93:96], off, off offset:496
	v_add_f64_e32 v[6:7], v[6:7], v[131:132]
	v_add_f64_e32 v[2:3], v[2:3], v[133:134]
	v_fma_f64 v[131:132], v[83:84], v[97:98], v[135:136]
	v_fma_f64 v[133:134], v[81:82], v[97:98], -v[99:100]
	ds_load_b128 v[81:84], v1 offset:880
	s_wait_loadcnt_dscnt 0x901
	v_mul_f64_e32 v[129:130], v[125:126], v[103:104]
	v_mul_f64_e32 v[103:104], v[127:128], v[103:104]
	scratch_load_b128 v[97:100], off, off offset:512
	s_wait_loadcnt_dscnt 0x900
	v_mul_f64_e32 v[135:136], v[81:82], v[111:112]
	v_mul_f64_e32 v[111:112], v[83:84], v[111:112]
	v_add_f64_e32 v[6:7], v[6:7], v[119:120]
	v_add_f64_e32 v[2:3], v[2:3], v[117:118]
	ds_load_b128 v[117:120], v1 offset:896
	v_fma_f64 v[127:128], v[127:128], v[101:102], v[129:130]
	v_fma_f64 v[101:102], v[125:126], v[101:102], -v[103:104]
	v_fma_f64 v[129:130], v[83:84], v[109:110], v[135:136]
	v_fma_f64 v[109:110], v[81:82], v[109:110], -v[111:112]
	v_add_f64_e32 v[6:7], v[6:7], v[131:132]
	v_add_f64_e32 v[2:3], v[2:3], v[133:134]
	s_wait_loadcnt_dscnt 0x700
	v_mul_f64_e32 v[125:126], v[117:118], v[10:11]
	v_mul_f64_e32 v[10:11], v[119:120], v[10:11]
	s_delay_alu instid0(VALU_DEP_4) | instskip(NEXT) | instid1(VALU_DEP_4)
	v_add_f64_e32 v[6:7], v[6:7], v[127:128]
	v_add_f64_e32 v[2:3], v[2:3], v[101:102]
	ds_load_b128 v[81:84], v1 offset:912
	ds_load_b128 v[101:104], v1 offset:928
	v_fma_f64 v[119:120], v[119:120], v[8:9], v[125:126]
	v_fma_f64 v[8:9], v[117:118], v[8:9], -v[10:11]
	s_wait_loadcnt_dscnt 0x601
	v_mul_f64_e32 v[111:112], v[81:82], v[123:124]
	v_mul_f64_e32 v[123:124], v[83:84], v[123:124]
	v_add_f64_e32 v[6:7], v[6:7], v[129:130]
	v_add_f64_e32 v[2:3], v[2:3], v[109:110]
	s_wait_loadcnt_dscnt 0x500
	v_mul_f64_e32 v[10:11], v[101:102], v[79:80]
	v_mul_f64_e32 v[109:110], v[103:104], v[79:80]
	v_fma_f64 v[83:84], v[83:84], v[121:122], v[111:112]
	v_fma_f64 v[111:112], v[81:82], v[121:122], -v[123:124]
	v_add_f64_e32 v[117:118], v[6:7], v[119:120]
	v_add_f64_e32 v[2:3], v[2:3], v[8:9]
	ds_load_b128 v[6:9], v1 offset:944
	ds_load_b128 v[79:82], v1 offset:960
	v_fma_f64 v[10:11], v[103:104], v[77:78], v[10:11]
	v_fma_f64 v[77:78], v[101:102], v[77:78], -v[109:110]
	s_wait_loadcnt_dscnt 0x401
	v_mul_f64_e32 v[119:120], v[6:7], v[107:108]
	v_mul_f64_e32 v[107:108], v[8:9], v[107:108]
	v_add_f64_e32 v[83:84], v[117:118], v[83:84]
	v_add_f64_e32 v[2:3], v[2:3], v[111:112]
	s_wait_loadcnt_dscnt 0x300
	v_mul_f64_e32 v[109:110], v[79:80], v[87:88]
	v_mul_f64_e32 v[87:88], v[81:82], v[87:88]
	v_fma_f64 v[111:112], v[8:9], v[105:106], v[119:120]
	v_fma_f64 v[105:106], v[6:7], v[105:106], -v[107:108]
	ds_load_b128 v[6:9], v1 offset:976
	ds_load_b128 v[101:104], v1 offset:992
	v_add_f64_e32 v[10:11], v[83:84], v[10:11]
	v_add_f64_e32 v[2:3], v[2:3], v[77:78]
	v_fma_f64 v[81:82], v[81:82], v[85:86], v[109:110]
	v_fma_f64 v[79:80], v[79:80], v[85:86], -v[87:88]
	s_wait_loadcnt_dscnt 0x201
	v_mul_f64_e32 v[77:78], v[6:7], v[91:92]
	v_mul_f64_e32 v[83:84], v[8:9], v[91:92]
	s_wait_loadcnt_dscnt 0x100
	v_mul_f64_e32 v[85:86], v[101:102], v[95:96]
	v_mul_f64_e32 v[87:88], v[103:104], v[95:96]
	v_add_f64_e32 v[10:11], v[10:11], v[111:112]
	v_add_f64_e32 v[2:3], v[2:3], v[105:106]
	v_fma_f64 v[77:78], v[8:9], v[89:90], v[77:78]
	v_fma_f64 v[83:84], v[6:7], v[89:90], -v[83:84]
	ds_load_b128 v[6:9], v1 offset:1008
	v_fma_f64 v[85:86], v[103:104], v[93:94], v[85:86]
	v_fma_f64 v[87:88], v[101:102], v[93:94], -v[87:88]
	v_add_f64_e32 v[10:11], v[10:11], v[81:82]
	v_add_f64_e32 v[2:3], v[2:3], v[79:80]
	s_wait_loadcnt_dscnt 0x0
	v_mul_f64_e32 v[79:80], v[6:7], v[99:100]
	v_mul_f64_e32 v[81:82], v[8:9], v[99:100]
	s_delay_alu instid0(VALU_DEP_4) | instskip(NEXT) | instid1(VALU_DEP_4)
	v_add_f64_e32 v[10:11], v[10:11], v[77:78]
	v_add_f64_e32 v[2:3], v[2:3], v[83:84]
	s_delay_alu instid0(VALU_DEP_4) | instskip(NEXT) | instid1(VALU_DEP_4)
	v_fma_f64 v[8:9], v[8:9], v[97:98], v[79:80]
	v_fma_f64 v[6:7], v[6:7], v[97:98], -v[81:82]
	s_delay_alu instid0(VALU_DEP_4) | instskip(NEXT) | instid1(VALU_DEP_4)
	v_add_f64_e32 v[10:11], v[10:11], v[85:86]
	v_add_f64_e32 v[2:3], v[2:3], v[87:88]
	s_delay_alu instid0(VALU_DEP_2) | instskip(NEXT) | instid1(VALU_DEP_2)
	v_add_f64_e32 v[8:9], v[10:11], v[8:9]
	v_add_f64_e32 v[2:3], v[2:3], v[6:7]
	s_delay_alu instid0(VALU_DEP_2) | instskip(NEXT) | instid1(VALU_DEP_2)
	v_add_f64_e64 v[8:9], v[115:116], -v[8:9]
	v_add_f64_e64 v[6:7], v[113:114], -v[2:3]
	scratch_store_b128 off, v[6:9], off offset:240
	v_cmpx_lt_u32_e32 13, v0
	s_cbranch_execz .LBB31_179
; %bb.178:
	scratch_load_b128 v[6:9], off, s30
	v_dual_mov_b32 v2, v1 :: v_dual_mov_b32 v3, v1
	v_mov_b32_e32 v4, v1
	scratch_store_b128 off, v[1:4], off offset:224
	s_wait_loadcnt 0x0
	ds_store_b128 v5, v[6:9]
.LBB31_179:
	s_wait_alu 0xfffe
	s_or_b32 exec_lo, exec_lo, s0
	s_wait_storecnt_dscnt 0x0
	s_barrier_signal -1
	s_barrier_wait -1
	global_inv scope:SCOPE_SE
	s_clause 0x8
	scratch_load_b128 v[6:9], off, off offset:240
	scratch_load_b128 v[77:80], off, off offset:256
	;; [unrolled: 1-line block ×9, first 2 shown]
	ds_load_b128 v[109:112], v1 offset:736
	ds_load_b128 v[113:116], v1 offset:752
	scratch_load_b128 v[117:120], off, off offset:224
	s_mov_b32 s0, exec_lo
	ds_load_b128 v[125:128], v1 offset:784
	s_wait_loadcnt_dscnt 0x902
	v_mul_f64_e32 v[2:3], v[111:112], v[8:9]
	v_mul_f64_e32 v[121:122], v[109:110], v[8:9]
	scratch_load_b128 v[8:11], off, off offset:384
	s_wait_loadcnt_dscnt 0x901
	v_mul_f64_e32 v[129:130], v[113:114], v[79:80]
	v_mul_f64_e32 v[79:80], v[115:116], v[79:80]
	v_fma_f64 v[2:3], v[109:110], v[6:7], -v[2:3]
	v_fma_f64 v[6:7], v[111:112], v[6:7], v[121:122]
	ds_load_b128 v[109:112], v1 offset:768
	scratch_load_b128 v[121:124], off, off offset:400
	v_fma_f64 v[115:116], v[115:116], v[77:78], v[129:130]
	v_fma_f64 v[113:114], v[113:114], v[77:78], -v[79:80]
	scratch_load_b128 v[77:80], off, off offset:416
	s_wait_loadcnt_dscnt 0x901
	v_mul_f64_e32 v[129:130], v[125:126], v[87:88]
	v_mul_f64_e32 v[87:88], v[127:128], v[87:88]
	s_wait_dscnt 0x0
	v_mul_f64_e32 v[131:132], v[109:110], v[83:84]
	v_mul_f64_e32 v[83:84], v[111:112], v[83:84]
	v_add_f64_e32 v[2:3], 0, v[2:3]
	v_add_f64_e32 v[6:7], 0, v[6:7]
	v_fma_f64 v[127:128], v[127:128], v[85:86], v[129:130]
	v_fma_f64 v[125:126], v[125:126], v[85:86], -v[87:88]
	scratch_load_b128 v[85:88], off, off offset:448
	v_fma_f64 v[131:132], v[111:112], v[81:82], v[131:132]
	v_fma_f64 v[133:134], v[109:110], v[81:82], -v[83:84]
	ds_load_b128 v[81:84], v1 offset:800
	scratch_load_b128 v[109:112], off, off offset:432
	v_add_f64_e32 v[2:3], v[2:3], v[113:114]
	v_add_f64_e32 v[6:7], v[6:7], v[115:116]
	ds_load_b128 v[113:116], v1 offset:816
	s_wait_loadcnt_dscnt 0xa01
	v_mul_f64_e32 v[135:136], v[81:82], v[91:92]
	v_mul_f64_e32 v[91:92], v[83:84], v[91:92]
	s_wait_loadcnt_dscnt 0x900
	v_mul_f64_e32 v[129:130], v[113:114], v[95:96]
	v_mul_f64_e32 v[95:96], v[115:116], v[95:96]
	v_add_f64_e32 v[2:3], v[2:3], v[133:134]
	v_add_f64_e32 v[6:7], v[6:7], v[131:132]
	v_fma_f64 v[131:132], v[83:84], v[89:90], v[135:136]
	v_fma_f64 v[133:134], v[81:82], v[89:90], -v[91:92]
	ds_load_b128 v[81:84], v1 offset:832
	scratch_load_b128 v[89:92], off, off offset:464
	v_fma_f64 v[115:116], v[115:116], v[93:94], v[129:130]
	v_fma_f64 v[113:114], v[113:114], v[93:94], -v[95:96]
	scratch_load_b128 v[93:96], off, off offset:480
	v_add_f64_e32 v[2:3], v[2:3], v[125:126]
	v_add_f64_e32 v[6:7], v[6:7], v[127:128]
	ds_load_b128 v[125:128], v1 offset:848
	s_wait_loadcnt_dscnt 0xa01
	v_mul_f64_e32 v[135:136], v[81:82], v[99:100]
	v_mul_f64_e32 v[99:100], v[83:84], v[99:100]
	s_wait_loadcnt_dscnt 0x900
	v_mul_f64_e32 v[129:130], v[125:126], v[103:104]
	v_mul_f64_e32 v[103:104], v[127:128], v[103:104]
	v_add_f64_e32 v[2:3], v[2:3], v[133:134]
	v_add_f64_e32 v[6:7], v[6:7], v[131:132]
	v_fma_f64 v[131:132], v[83:84], v[97:98], v[135:136]
	v_fma_f64 v[133:134], v[81:82], v[97:98], -v[99:100]
	ds_load_b128 v[81:84], v1 offset:864
	scratch_load_b128 v[97:100], off, off offset:496
	v_fma_f64 v[127:128], v[127:128], v[101:102], v[129:130]
	v_fma_f64 v[125:126], v[125:126], v[101:102], -v[103:104]
	scratch_load_b128 v[101:104], off, off offset:512
	v_add_f64_e32 v[2:3], v[2:3], v[113:114]
	v_add_f64_e32 v[6:7], v[6:7], v[115:116]
	ds_load_b128 v[113:116], v1 offset:880
	s_wait_loadcnt_dscnt 0xa01
	v_mul_f64_e32 v[135:136], v[81:82], v[107:108]
	v_mul_f64_e32 v[107:108], v[83:84], v[107:108]
	v_add_f64_e32 v[2:3], v[2:3], v[133:134]
	v_add_f64_e32 v[6:7], v[6:7], v[131:132]
	s_delay_alu instid0(VALU_DEP_4) | instskip(NEXT) | instid1(VALU_DEP_4)
	v_fma_f64 v[131:132], v[83:84], v[105:106], v[135:136]
	v_fma_f64 v[133:134], v[81:82], v[105:106], -v[107:108]
	ds_load_b128 v[81:84], v1 offset:896
	ds_load_b128 v[105:108], v1 offset:912
	s_wait_loadcnt_dscnt 0x802
	v_mul_f64_e32 v[129:130], v[113:114], v[10:11]
	v_mul_f64_e32 v[10:11], v[115:116], v[10:11]
	v_add_f64_e32 v[2:3], v[2:3], v[125:126]
	v_add_f64_e32 v[6:7], v[6:7], v[127:128]
	s_delay_alu instid0(VALU_DEP_4)
	v_fma_f64 v[115:116], v[115:116], v[8:9], v[129:130]
	s_wait_loadcnt_dscnt 0x701
	v_mul_f64_e32 v[125:126], v[81:82], v[123:124]
	v_mul_f64_e32 v[123:124], v[83:84], v[123:124]
	v_fma_f64 v[8:9], v[113:114], v[8:9], -v[10:11]
	s_wait_loadcnt_dscnt 0x600
	v_mul_f64_e32 v[10:11], v[105:106], v[79:80]
	v_mul_f64_e32 v[113:114], v[107:108], v[79:80]
	v_add_f64_e32 v[2:3], v[2:3], v[133:134]
	v_add_f64_e32 v[6:7], v[6:7], v[131:132]
	v_fma_f64 v[83:84], v[83:84], v[121:122], v[125:126]
	v_fma_f64 v[121:122], v[81:82], v[121:122], -v[123:124]
	v_fma_f64 v[10:11], v[107:108], v[77:78], v[10:11]
	v_fma_f64 v[77:78], v[105:106], v[77:78], -v[113:114]
	v_add_f64_e32 v[2:3], v[2:3], v[8:9]
	v_add_f64_e32 v[115:116], v[6:7], v[115:116]
	ds_load_b128 v[6:9], v1 offset:928
	ds_load_b128 v[79:82], v1 offset:944
	s_wait_loadcnt_dscnt 0x401
	v_mul_f64_e32 v[123:124], v[6:7], v[111:112]
	v_mul_f64_e32 v[111:112], v[8:9], v[111:112]
	s_wait_dscnt 0x0
	v_mul_f64_e32 v[113:114], v[79:80], v[87:88]
	v_mul_f64_e32 v[87:88], v[81:82], v[87:88]
	v_add_f64_e32 v[2:3], v[2:3], v[121:122]
	v_add_f64_e32 v[83:84], v[115:116], v[83:84]
	v_fma_f64 v[115:116], v[8:9], v[109:110], v[123:124]
	v_fma_f64 v[109:110], v[6:7], v[109:110], -v[111:112]
	ds_load_b128 v[6:9], v1 offset:960
	ds_load_b128 v[105:108], v1 offset:976
	v_fma_f64 v[81:82], v[81:82], v[85:86], v[113:114]
	v_fma_f64 v[79:80], v[79:80], v[85:86], -v[87:88]
	v_add_f64_e32 v[2:3], v[2:3], v[77:78]
	v_add_f64_e32 v[10:11], v[83:84], v[10:11]
	s_wait_loadcnt_dscnt 0x301
	v_mul_f64_e32 v[77:78], v[6:7], v[91:92]
	v_mul_f64_e32 v[83:84], v[8:9], v[91:92]
	s_wait_loadcnt_dscnt 0x200
	v_mul_f64_e32 v[85:86], v[105:106], v[95:96]
	v_mul_f64_e32 v[87:88], v[107:108], v[95:96]
	v_add_f64_e32 v[2:3], v[2:3], v[109:110]
	v_add_f64_e32 v[10:11], v[10:11], v[115:116]
	v_fma_f64 v[77:78], v[8:9], v[89:90], v[77:78]
	v_fma_f64 v[83:84], v[6:7], v[89:90], -v[83:84]
	v_fma_f64 v[85:86], v[107:108], v[93:94], v[85:86]
	v_fma_f64 v[87:88], v[105:106], v[93:94], -v[87:88]
	v_add_f64_e32 v[79:80], v[2:3], v[79:80]
	v_add_f64_e32 v[10:11], v[10:11], v[81:82]
	ds_load_b128 v[6:9], v1 offset:992
	ds_load_b128 v[1:4], v1 offset:1008
	s_wait_loadcnt_dscnt 0x101
	v_mul_f64_e32 v[81:82], v[6:7], v[99:100]
	v_mul_f64_e32 v[89:90], v[8:9], v[99:100]
	v_add_f64_e32 v[79:80], v[79:80], v[83:84]
	v_add_f64_e32 v[10:11], v[10:11], v[77:78]
	s_wait_loadcnt_dscnt 0x0
	v_mul_f64_e32 v[77:78], v[1:2], v[103:104]
	v_mul_f64_e32 v[83:84], v[3:4], v[103:104]
	v_fma_f64 v[8:9], v[8:9], v[97:98], v[81:82]
	v_fma_f64 v[6:7], v[6:7], v[97:98], -v[89:90]
	v_add_f64_e32 v[79:80], v[79:80], v[87:88]
	v_add_f64_e32 v[10:11], v[10:11], v[85:86]
	v_fma_f64 v[3:4], v[3:4], v[101:102], v[77:78]
	v_fma_f64 v[1:2], v[1:2], v[101:102], -v[83:84]
	s_delay_alu instid0(VALU_DEP_4) | instskip(NEXT) | instid1(VALU_DEP_4)
	v_add_f64_e32 v[6:7], v[79:80], v[6:7]
	v_add_f64_e32 v[8:9], v[10:11], v[8:9]
	s_delay_alu instid0(VALU_DEP_2) | instskip(NEXT) | instid1(VALU_DEP_2)
	v_add_f64_e32 v[1:2], v[6:7], v[1:2]
	v_add_f64_e32 v[3:4], v[8:9], v[3:4]
	s_delay_alu instid0(VALU_DEP_2) | instskip(NEXT) | instid1(VALU_DEP_2)
	v_add_f64_e64 v[1:2], v[117:118], -v[1:2]
	v_add_f64_e64 v[3:4], v[119:120], -v[3:4]
	scratch_store_b128 off, v[1:4], off offset:224
	v_cmpx_lt_u32_e32 12, v0
	s_cbranch_execz .LBB31_181
; %bb.180:
	scratch_load_b128 v[1:4], off, s31
	v_mov_b32_e32 v6, 0
	s_delay_alu instid0(VALU_DEP_1)
	v_dual_mov_b32 v7, v6 :: v_dual_mov_b32 v8, v6
	v_mov_b32_e32 v9, v6
	scratch_store_b128 off, v[6:9], off offset:208
	s_wait_loadcnt 0x0
	ds_store_b128 v5, v[1:4]
.LBB31_181:
	s_wait_alu 0xfffe
	s_or_b32 exec_lo, exec_lo, s0
	s_wait_storecnt_dscnt 0x0
	s_barrier_signal -1
	s_barrier_wait -1
	global_inv scope:SCOPE_SE
	s_clause 0x7
	scratch_load_b128 v[6:9], off, off offset:224
	scratch_load_b128 v[77:80], off, off offset:240
	;; [unrolled: 1-line block ×8, first 2 shown]
	v_mov_b32_e32 v1, 0
	s_mov_b32 s0, exec_lo
	ds_load_b128 v[105:108], v1 offset:720
	s_clause 0x1
	scratch_load_b128 v[109:112], off, off offset:352
	scratch_load_b128 v[113:116], off, off offset:208
	ds_load_b128 v[117:120], v1 offset:736
	ds_load_b128 v[125:128], v1 offset:768
	s_wait_loadcnt_dscnt 0x902
	v_mul_f64_e32 v[2:3], v[107:108], v[8:9]
	v_mul_f64_e32 v[121:122], v[105:106], v[8:9]
	scratch_load_b128 v[8:11], off, off offset:368
	v_fma_f64 v[2:3], v[105:106], v[6:7], -v[2:3]
	v_fma_f64 v[6:7], v[107:108], v[6:7], v[121:122]
	ds_load_b128 v[105:108], v1 offset:752
	s_wait_loadcnt_dscnt 0x902
	v_mul_f64_e32 v[129:130], v[117:118], v[79:80]
	v_mul_f64_e32 v[79:80], v[119:120], v[79:80]
	scratch_load_b128 v[121:124], off, off offset:384
	s_wait_loadcnt_dscnt 0x900
	v_mul_f64_e32 v[131:132], v[105:106], v[83:84]
	v_mul_f64_e32 v[83:84], v[107:108], v[83:84]
	v_add_f64_e32 v[2:3], 0, v[2:3]
	v_add_f64_e32 v[6:7], 0, v[6:7]
	v_fma_f64 v[119:120], v[119:120], v[77:78], v[129:130]
	v_fma_f64 v[117:118], v[117:118], v[77:78], -v[79:80]
	scratch_load_b128 v[77:80], off, off offset:400
	v_fma_f64 v[131:132], v[107:108], v[81:82], v[131:132]
	v_fma_f64 v[133:134], v[105:106], v[81:82], -v[83:84]
	ds_load_b128 v[81:84], v1 offset:784
	s_wait_loadcnt 0x9
	v_mul_f64_e32 v[129:130], v[125:126], v[87:88]
	v_mul_f64_e32 v[87:88], v[127:128], v[87:88]
	scratch_load_b128 v[105:108], off, off offset:416
	v_add_f64_e32 v[6:7], v[6:7], v[119:120]
	v_add_f64_e32 v[2:3], v[2:3], v[117:118]
	ds_load_b128 v[117:120], v1 offset:800
	s_wait_loadcnt_dscnt 0x901
	v_mul_f64_e32 v[135:136], v[81:82], v[91:92]
	v_mul_f64_e32 v[91:92], v[83:84], v[91:92]
	v_fma_f64 v[127:128], v[127:128], v[85:86], v[129:130]
	v_fma_f64 v[125:126], v[125:126], v[85:86], -v[87:88]
	scratch_load_b128 v[85:88], off, off offset:432
	v_add_f64_e32 v[6:7], v[6:7], v[131:132]
	v_add_f64_e32 v[2:3], v[2:3], v[133:134]
	v_fma_f64 v[131:132], v[83:84], v[89:90], v[135:136]
	v_fma_f64 v[133:134], v[81:82], v[89:90], -v[91:92]
	ds_load_b128 v[81:84], v1 offset:816
	s_wait_loadcnt_dscnt 0x901
	v_mul_f64_e32 v[129:130], v[117:118], v[95:96]
	v_mul_f64_e32 v[95:96], v[119:120], v[95:96]
	scratch_load_b128 v[89:92], off, off offset:448
	s_wait_loadcnt_dscnt 0x900
	v_mul_f64_e32 v[135:136], v[81:82], v[99:100]
	v_mul_f64_e32 v[99:100], v[83:84], v[99:100]
	v_add_f64_e32 v[6:7], v[6:7], v[127:128]
	v_add_f64_e32 v[2:3], v[2:3], v[125:126]
	ds_load_b128 v[125:128], v1 offset:832
	v_fma_f64 v[119:120], v[119:120], v[93:94], v[129:130]
	v_fma_f64 v[117:118], v[117:118], v[93:94], -v[95:96]
	scratch_load_b128 v[93:96], off, off offset:464
	v_add_f64_e32 v[6:7], v[6:7], v[131:132]
	v_add_f64_e32 v[2:3], v[2:3], v[133:134]
	v_fma_f64 v[131:132], v[83:84], v[97:98], v[135:136]
	v_fma_f64 v[133:134], v[81:82], v[97:98], -v[99:100]
	ds_load_b128 v[81:84], v1 offset:848
	s_wait_loadcnt_dscnt 0x901
	v_mul_f64_e32 v[129:130], v[125:126], v[103:104]
	v_mul_f64_e32 v[103:104], v[127:128], v[103:104]
	scratch_load_b128 v[97:100], off, off offset:480
	s_wait_loadcnt_dscnt 0x900
	v_mul_f64_e32 v[135:136], v[81:82], v[111:112]
	v_mul_f64_e32 v[111:112], v[83:84], v[111:112]
	v_add_f64_e32 v[6:7], v[6:7], v[119:120]
	v_add_f64_e32 v[2:3], v[2:3], v[117:118]
	ds_load_b128 v[117:120], v1 offset:864
	v_fma_f64 v[127:128], v[127:128], v[101:102], v[129:130]
	v_fma_f64 v[125:126], v[125:126], v[101:102], -v[103:104]
	scratch_load_b128 v[101:104], off, off offset:496
	v_add_f64_e32 v[6:7], v[6:7], v[131:132]
	v_add_f64_e32 v[2:3], v[2:3], v[133:134]
	v_fma_f64 v[131:132], v[83:84], v[109:110], v[135:136]
	v_fma_f64 v[133:134], v[81:82], v[109:110], -v[111:112]
	ds_load_b128 v[81:84], v1 offset:880
	scratch_load_b128 v[109:112], off, off offset:512
	s_wait_loadcnt_dscnt 0x901
	v_mul_f64_e32 v[129:130], v[117:118], v[10:11]
	v_mul_f64_e32 v[10:11], v[119:120], v[10:11]
	v_add_f64_e32 v[6:7], v[6:7], v[127:128]
	v_add_f64_e32 v[2:3], v[2:3], v[125:126]
	ds_load_b128 v[125:128], v1 offset:896
	v_fma_f64 v[119:120], v[119:120], v[8:9], v[129:130]
	v_fma_f64 v[8:9], v[117:118], v[8:9], -v[10:11]
	s_wait_loadcnt_dscnt 0x801
	v_mul_f64_e32 v[135:136], v[81:82], v[123:124]
	v_mul_f64_e32 v[123:124], v[83:84], v[123:124]
	v_add_f64_e32 v[6:7], v[6:7], v[131:132]
	v_add_f64_e32 v[2:3], v[2:3], v[133:134]
	s_wait_loadcnt_dscnt 0x700
	v_mul_f64_e32 v[10:11], v[125:126], v[79:80]
	v_mul_f64_e32 v[117:118], v[127:128], v[79:80]
	v_fma_f64 v[83:84], v[83:84], v[121:122], v[135:136]
	v_fma_f64 v[121:122], v[81:82], v[121:122], -v[123:124]
	v_add_f64_e32 v[119:120], v[6:7], v[119:120]
	v_add_f64_e32 v[2:3], v[2:3], v[8:9]
	ds_load_b128 v[6:9], v1 offset:912
	ds_load_b128 v[79:82], v1 offset:928
	v_fma_f64 v[10:11], v[127:128], v[77:78], v[10:11]
	v_fma_f64 v[77:78], v[125:126], v[77:78], -v[117:118]
	s_wait_loadcnt_dscnt 0x601
	v_mul_f64_e32 v[123:124], v[6:7], v[107:108]
	v_mul_f64_e32 v[107:108], v[8:9], v[107:108]
	v_add_f64_e32 v[83:84], v[119:120], v[83:84]
	v_add_f64_e32 v[2:3], v[2:3], v[121:122]
	s_wait_loadcnt_dscnt 0x500
	v_mul_f64_e32 v[117:118], v[79:80], v[87:88]
	v_mul_f64_e32 v[87:88], v[81:82], v[87:88]
	v_fma_f64 v[119:120], v[8:9], v[105:106], v[123:124]
	v_fma_f64 v[121:122], v[6:7], v[105:106], -v[107:108]
	ds_load_b128 v[6:9], v1 offset:944
	ds_load_b128 v[105:108], v1 offset:960
	v_add_f64_e32 v[10:11], v[83:84], v[10:11]
	v_add_f64_e32 v[2:3], v[2:3], v[77:78]
	v_fma_f64 v[81:82], v[81:82], v[85:86], v[117:118]
	v_fma_f64 v[79:80], v[79:80], v[85:86], -v[87:88]
	s_wait_loadcnt_dscnt 0x401
	v_mul_f64_e32 v[77:78], v[6:7], v[91:92]
	v_mul_f64_e32 v[83:84], v[8:9], v[91:92]
	s_wait_loadcnt_dscnt 0x300
	v_mul_f64_e32 v[85:86], v[105:106], v[95:96]
	v_mul_f64_e32 v[87:88], v[107:108], v[95:96]
	v_add_f64_e32 v[10:11], v[10:11], v[119:120]
	v_add_f64_e32 v[2:3], v[2:3], v[121:122]
	v_fma_f64 v[91:92], v[8:9], v[89:90], v[77:78]
	v_fma_f64 v[83:84], v[6:7], v[89:90], -v[83:84]
	v_fma_f64 v[85:86], v[107:108], v[93:94], v[85:86]
	v_fma_f64 v[87:88], v[105:106], v[93:94], -v[87:88]
	v_add_f64_e32 v[10:11], v[10:11], v[81:82]
	v_add_f64_e32 v[2:3], v[2:3], v[79:80]
	ds_load_b128 v[6:9], v1 offset:976
	ds_load_b128 v[77:80], v1 offset:992
	s_wait_loadcnt_dscnt 0x201
	v_mul_f64_e32 v[81:82], v[6:7], v[99:100]
	v_mul_f64_e32 v[89:90], v[8:9], v[99:100]
	v_add_f64_e32 v[10:11], v[10:11], v[91:92]
	v_add_f64_e32 v[2:3], v[2:3], v[83:84]
	s_wait_loadcnt_dscnt 0x100
	v_mul_f64_e32 v[83:84], v[77:78], v[103:104]
	v_mul_f64_e32 v[91:92], v[79:80], v[103:104]
	v_fma_f64 v[81:82], v[8:9], v[97:98], v[81:82]
	v_fma_f64 v[89:90], v[6:7], v[97:98], -v[89:90]
	ds_load_b128 v[6:9], v1 offset:1008
	v_add_f64_e32 v[10:11], v[10:11], v[85:86]
	v_add_f64_e32 v[2:3], v[2:3], v[87:88]
	v_fma_f64 v[79:80], v[79:80], v[101:102], v[83:84]
	v_fma_f64 v[77:78], v[77:78], v[101:102], -v[91:92]
	s_wait_loadcnt_dscnt 0x0
	v_mul_f64_e32 v[85:86], v[6:7], v[111:112]
	v_mul_f64_e32 v[87:88], v[8:9], v[111:112]
	v_add_f64_e32 v[10:11], v[10:11], v[81:82]
	v_add_f64_e32 v[2:3], v[2:3], v[89:90]
	s_delay_alu instid0(VALU_DEP_4) | instskip(NEXT) | instid1(VALU_DEP_4)
	v_fma_f64 v[8:9], v[8:9], v[109:110], v[85:86]
	v_fma_f64 v[6:7], v[6:7], v[109:110], -v[87:88]
	s_delay_alu instid0(VALU_DEP_4) | instskip(NEXT) | instid1(VALU_DEP_4)
	v_add_f64_e32 v[10:11], v[10:11], v[79:80]
	v_add_f64_e32 v[2:3], v[2:3], v[77:78]
	s_delay_alu instid0(VALU_DEP_2) | instskip(NEXT) | instid1(VALU_DEP_2)
	v_add_f64_e32 v[8:9], v[10:11], v[8:9]
	v_add_f64_e32 v[2:3], v[2:3], v[6:7]
	s_delay_alu instid0(VALU_DEP_2) | instskip(NEXT) | instid1(VALU_DEP_2)
	v_add_f64_e64 v[8:9], v[115:116], -v[8:9]
	v_add_f64_e64 v[6:7], v[113:114], -v[2:3]
	scratch_store_b128 off, v[6:9], off offset:208
	v_cmpx_lt_u32_e32 11, v0
	s_cbranch_execz .LBB31_183
; %bb.182:
	scratch_load_b128 v[6:9], off, s33
	v_dual_mov_b32 v2, v1 :: v_dual_mov_b32 v3, v1
	v_mov_b32_e32 v4, v1
	scratch_store_b128 off, v[1:4], off offset:192
	s_wait_loadcnt 0x0
	ds_store_b128 v5, v[6:9]
.LBB31_183:
	s_wait_alu 0xfffe
	s_or_b32 exec_lo, exec_lo, s0
	s_wait_storecnt_dscnt 0x0
	s_barrier_signal -1
	s_barrier_wait -1
	global_inv scope:SCOPE_SE
	s_clause 0x8
	scratch_load_b128 v[6:9], off, off offset:208
	scratch_load_b128 v[77:80], off, off offset:224
	;; [unrolled: 1-line block ×9, first 2 shown]
	ds_load_b128 v[109:112], v1 offset:704
	ds_load_b128 v[113:116], v1 offset:720
	scratch_load_b128 v[117:120], off, off offset:192
	s_mov_b32 s0, exec_lo
	ds_load_b128 v[125:128], v1 offset:752
	s_wait_loadcnt_dscnt 0x902
	v_mul_f64_e32 v[2:3], v[111:112], v[8:9]
	v_mul_f64_e32 v[121:122], v[109:110], v[8:9]
	scratch_load_b128 v[8:11], off, off offset:352
	s_wait_loadcnt_dscnt 0x901
	v_mul_f64_e32 v[129:130], v[113:114], v[79:80]
	v_mul_f64_e32 v[79:80], v[115:116], v[79:80]
	v_fma_f64 v[2:3], v[109:110], v[6:7], -v[2:3]
	v_fma_f64 v[6:7], v[111:112], v[6:7], v[121:122]
	ds_load_b128 v[109:112], v1 offset:736
	scratch_load_b128 v[121:124], off, off offset:368
	v_fma_f64 v[115:116], v[115:116], v[77:78], v[129:130]
	v_fma_f64 v[113:114], v[113:114], v[77:78], -v[79:80]
	scratch_load_b128 v[77:80], off, off offset:384
	s_wait_loadcnt_dscnt 0x901
	v_mul_f64_e32 v[129:130], v[125:126], v[87:88]
	v_mul_f64_e32 v[87:88], v[127:128], v[87:88]
	s_wait_dscnt 0x0
	v_mul_f64_e32 v[131:132], v[109:110], v[83:84]
	v_mul_f64_e32 v[83:84], v[111:112], v[83:84]
	v_add_f64_e32 v[2:3], 0, v[2:3]
	v_add_f64_e32 v[6:7], 0, v[6:7]
	v_fma_f64 v[127:128], v[127:128], v[85:86], v[129:130]
	v_fma_f64 v[125:126], v[125:126], v[85:86], -v[87:88]
	scratch_load_b128 v[85:88], off, off offset:416
	v_fma_f64 v[131:132], v[111:112], v[81:82], v[131:132]
	v_fma_f64 v[133:134], v[109:110], v[81:82], -v[83:84]
	ds_load_b128 v[81:84], v1 offset:768
	scratch_load_b128 v[109:112], off, off offset:400
	v_add_f64_e32 v[2:3], v[2:3], v[113:114]
	v_add_f64_e32 v[6:7], v[6:7], v[115:116]
	ds_load_b128 v[113:116], v1 offset:784
	s_wait_loadcnt_dscnt 0xa01
	v_mul_f64_e32 v[135:136], v[81:82], v[91:92]
	v_mul_f64_e32 v[91:92], v[83:84], v[91:92]
	s_wait_loadcnt_dscnt 0x900
	v_mul_f64_e32 v[129:130], v[113:114], v[95:96]
	v_mul_f64_e32 v[95:96], v[115:116], v[95:96]
	v_add_f64_e32 v[2:3], v[2:3], v[133:134]
	v_add_f64_e32 v[6:7], v[6:7], v[131:132]
	v_fma_f64 v[131:132], v[83:84], v[89:90], v[135:136]
	v_fma_f64 v[133:134], v[81:82], v[89:90], -v[91:92]
	ds_load_b128 v[81:84], v1 offset:800
	scratch_load_b128 v[89:92], off, off offset:432
	v_fma_f64 v[115:116], v[115:116], v[93:94], v[129:130]
	v_fma_f64 v[113:114], v[113:114], v[93:94], -v[95:96]
	scratch_load_b128 v[93:96], off, off offset:448
	v_add_f64_e32 v[2:3], v[2:3], v[125:126]
	v_add_f64_e32 v[6:7], v[6:7], v[127:128]
	ds_load_b128 v[125:128], v1 offset:816
	s_wait_loadcnt_dscnt 0xa01
	v_mul_f64_e32 v[135:136], v[81:82], v[99:100]
	v_mul_f64_e32 v[99:100], v[83:84], v[99:100]
	s_wait_loadcnt_dscnt 0x900
	v_mul_f64_e32 v[129:130], v[125:126], v[103:104]
	v_mul_f64_e32 v[103:104], v[127:128], v[103:104]
	v_add_f64_e32 v[2:3], v[2:3], v[133:134]
	v_add_f64_e32 v[6:7], v[6:7], v[131:132]
	v_fma_f64 v[131:132], v[83:84], v[97:98], v[135:136]
	v_fma_f64 v[133:134], v[81:82], v[97:98], -v[99:100]
	ds_load_b128 v[81:84], v1 offset:832
	scratch_load_b128 v[97:100], off, off offset:464
	v_fma_f64 v[127:128], v[127:128], v[101:102], v[129:130]
	v_fma_f64 v[125:126], v[125:126], v[101:102], -v[103:104]
	scratch_load_b128 v[101:104], off, off offset:480
	v_add_f64_e32 v[2:3], v[2:3], v[113:114]
	v_add_f64_e32 v[6:7], v[6:7], v[115:116]
	ds_load_b128 v[113:116], v1 offset:848
	s_wait_loadcnt_dscnt 0xa01
	v_mul_f64_e32 v[135:136], v[81:82], v[107:108]
	v_mul_f64_e32 v[107:108], v[83:84], v[107:108]
	v_add_f64_e32 v[2:3], v[2:3], v[133:134]
	v_add_f64_e32 v[6:7], v[6:7], v[131:132]
	s_delay_alu instid0(VALU_DEP_4) | instskip(NEXT) | instid1(VALU_DEP_4)
	v_fma_f64 v[131:132], v[83:84], v[105:106], v[135:136]
	v_fma_f64 v[133:134], v[81:82], v[105:106], -v[107:108]
	ds_load_b128 v[81:84], v1 offset:864
	scratch_load_b128 v[105:108], off, off offset:496
	s_wait_loadcnt_dscnt 0x901
	v_mul_f64_e32 v[129:130], v[113:114], v[10:11]
	v_mul_f64_e32 v[10:11], v[115:116], v[10:11]
	v_add_f64_e32 v[2:3], v[2:3], v[125:126]
	v_add_f64_e32 v[6:7], v[6:7], v[127:128]
	ds_load_b128 v[125:128], v1 offset:880
	v_fma_f64 v[115:116], v[115:116], v[8:9], v[129:130]
	s_wait_loadcnt_dscnt 0x801
	v_mul_f64_e32 v[135:136], v[81:82], v[123:124]
	v_mul_f64_e32 v[123:124], v[83:84], v[123:124]
	v_fma_f64 v[10:11], v[113:114], v[8:9], -v[10:11]
	s_wait_loadcnt_dscnt 0x700
	v_mul_f64_e32 v[129:130], v[125:126], v[79:80]
	v_add_f64_e32 v[2:3], v[2:3], v[133:134]
	v_add_f64_e32 v[113:114], v[6:7], v[131:132]
	scratch_load_b128 v[6:9], off, off offset:512
	v_mul_f64_e32 v[131:132], v[127:128], v[79:80]
	v_fma_f64 v[83:84], v[83:84], v[121:122], v[135:136]
	v_fma_f64 v[121:122], v[81:82], v[121:122], -v[123:124]
	v_fma_f64 v[127:128], v[127:128], v[77:78], v[129:130]
	v_add_f64_e32 v[2:3], v[2:3], v[10:11]
	v_add_f64_e32 v[10:11], v[113:114], v[115:116]
	ds_load_b128 v[79:82], v1 offset:896
	ds_load_b128 v[113:116], v1 offset:912
	v_fma_f64 v[77:78], v[125:126], v[77:78], -v[131:132]
	s_wait_loadcnt_dscnt 0x601
	v_mul_f64_e32 v[123:124], v[79:80], v[111:112]
	v_mul_f64_e32 v[111:112], v[81:82], v[111:112]
	v_add_f64_e32 v[2:3], v[2:3], v[121:122]
	v_add_f64_e32 v[10:11], v[10:11], v[83:84]
	s_wait_dscnt 0x0
	v_mul_f64_e32 v[121:122], v[113:114], v[87:88]
	v_mul_f64_e32 v[87:88], v[115:116], v[87:88]
	v_fma_f64 v[123:124], v[81:82], v[109:110], v[123:124]
	v_fma_f64 v[109:110], v[79:80], v[109:110], -v[111:112]
	v_add_f64_e32 v[2:3], v[2:3], v[77:78]
	v_add_f64_e32 v[10:11], v[10:11], v[127:128]
	ds_load_b128 v[77:80], v1 offset:928
	ds_load_b128 v[81:84], v1 offset:944
	v_fma_f64 v[115:116], v[115:116], v[85:86], v[121:122]
	v_fma_f64 v[85:86], v[113:114], v[85:86], -v[87:88]
	s_wait_loadcnt_dscnt 0x501
	v_mul_f64_e32 v[111:112], v[77:78], v[91:92]
	v_mul_f64_e32 v[91:92], v[79:80], v[91:92]
	v_add_f64_e32 v[2:3], v[2:3], v[109:110]
	v_add_f64_e32 v[10:11], v[10:11], v[123:124]
	s_wait_loadcnt_dscnt 0x400
	v_mul_f64_e32 v[109:110], v[81:82], v[95:96]
	v_mul_f64_e32 v[95:96], v[83:84], v[95:96]
	v_fma_f64 v[111:112], v[79:80], v[89:90], v[111:112]
	v_fma_f64 v[89:90], v[77:78], v[89:90], -v[91:92]
	v_add_f64_e32 v[2:3], v[2:3], v[85:86]
	v_add_f64_e32 v[10:11], v[10:11], v[115:116]
	ds_load_b128 v[77:80], v1 offset:960
	ds_load_b128 v[85:88], v1 offset:976
	v_fma_f64 v[83:84], v[83:84], v[93:94], v[109:110]
	v_fma_f64 v[81:82], v[81:82], v[93:94], -v[95:96]
	s_wait_loadcnt_dscnt 0x301
	v_mul_f64_e32 v[91:92], v[77:78], v[99:100]
	v_mul_f64_e32 v[99:100], v[79:80], v[99:100]
	s_wait_loadcnt_dscnt 0x200
	v_mul_f64_e32 v[93:94], v[87:88], v[103:104]
	v_add_f64_e32 v[2:3], v[2:3], v[89:90]
	v_add_f64_e32 v[10:11], v[10:11], v[111:112]
	v_mul_f64_e32 v[89:90], v[85:86], v[103:104]
	v_fma_f64 v[91:92], v[79:80], v[97:98], v[91:92]
	v_fma_f64 v[95:96], v[77:78], v[97:98], -v[99:100]
	v_fma_f64 v[85:86], v[85:86], v[101:102], -v[93:94]
	v_add_f64_e32 v[81:82], v[2:3], v[81:82]
	v_add_f64_e32 v[10:11], v[10:11], v[83:84]
	ds_load_b128 v[77:80], v1 offset:992
	ds_load_b128 v[1:4], v1 offset:1008
	v_fma_f64 v[87:88], v[87:88], v[101:102], v[89:90]
	s_wait_loadcnt_dscnt 0x101
	v_mul_f64_e32 v[83:84], v[77:78], v[107:108]
	v_mul_f64_e32 v[97:98], v[79:80], v[107:108]
	v_add_f64_e32 v[81:82], v[81:82], v[95:96]
	v_add_f64_e32 v[10:11], v[10:11], v[91:92]
	s_wait_loadcnt_dscnt 0x0
	v_mul_f64_e32 v[89:90], v[1:2], v[8:9]
	v_mul_f64_e32 v[8:9], v[3:4], v[8:9]
	v_fma_f64 v[79:80], v[79:80], v[105:106], v[83:84]
	v_fma_f64 v[77:78], v[77:78], v[105:106], -v[97:98]
	v_add_f64_e32 v[81:82], v[81:82], v[85:86]
	v_add_f64_e32 v[10:11], v[10:11], v[87:88]
	v_fma_f64 v[3:4], v[3:4], v[6:7], v[89:90]
	v_fma_f64 v[1:2], v[1:2], v[6:7], -v[8:9]
	s_delay_alu instid0(VALU_DEP_4) | instskip(NEXT) | instid1(VALU_DEP_4)
	v_add_f64_e32 v[6:7], v[81:82], v[77:78]
	v_add_f64_e32 v[8:9], v[10:11], v[79:80]
	s_delay_alu instid0(VALU_DEP_2) | instskip(NEXT) | instid1(VALU_DEP_2)
	v_add_f64_e32 v[1:2], v[6:7], v[1:2]
	v_add_f64_e32 v[3:4], v[8:9], v[3:4]
	s_delay_alu instid0(VALU_DEP_2) | instskip(NEXT) | instid1(VALU_DEP_2)
	v_add_f64_e64 v[1:2], v[117:118], -v[1:2]
	v_add_f64_e64 v[3:4], v[119:120], -v[3:4]
	scratch_store_b128 off, v[1:4], off offset:192
	v_cmpx_lt_u32_e32 10, v0
	s_cbranch_execz .LBB31_185
; %bb.184:
	scratch_load_b128 v[1:4], off, s34
	v_mov_b32_e32 v6, 0
	s_delay_alu instid0(VALU_DEP_1)
	v_dual_mov_b32 v7, v6 :: v_dual_mov_b32 v8, v6
	v_mov_b32_e32 v9, v6
	scratch_store_b128 off, v[6:9], off offset:176
	s_wait_loadcnt 0x0
	ds_store_b128 v5, v[1:4]
.LBB31_185:
	s_wait_alu 0xfffe
	s_or_b32 exec_lo, exec_lo, s0
	s_wait_storecnt_dscnt 0x0
	s_barrier_signal -1
	s_barrier_wait -1
	global_inv scope:SCOPE_SE
	s_clause 0x7
	scratch_load_b128 v[6:9], off, off offset:192
	scratch_load_b128 v[77:80], off, off offset:208
	;; [unrolled: 1-line block ×8, first 2 shown]
	v_mov_b32_e32 v1, 0
	s_mov_b32 s0, exec_lo
	ds_load_b128 v[105:108], v1 offset:688
	s_clause 0x1
	scratch_load_b128 v[109:112], off, off offset:320
	scratch_load_b128 v[113:116], off, off offset:176
	ds_load_b128 v[117:120], v1 offset:704
	ds_load_b128 v[125:128], v1 offset:736
	s_wait_loadcnt_dscnt 0x902
	v_mul_f64_e32 v[2:3], v[107:108], v[8:9]
	v_mul_f64_e32 v[121:122], v[105:106], v[8:9]
	scratch_load_b128 v[8:11], off, off offset:336
	v_fma_f64 v[2:3], v[105:106], v[6:7], -v[2:3]
	v_fma_f64 v[6:7], v[107:108], v[6:7], v[121:122]
	ds_load_b128 v[105:108], v1 offset:720
	s_wait_loadcnt_dscnt 0x902
	v_mul_f64_e32 v[129:130], v[117:118], v[79:80]
	v_mul_f64_e32 v[79:80], v[119:120], v[79:80]
	scratch_load_b128 v[121:124], off, off offset:352
	s_wait_loadcnt_dscnt 0x900
	v_mul_f64_e32 v[131:132], v[105:106], v[83:84]
	v_mul_f64_e32 v[83:84], v[107:108], v[83:84]
	v_add_f64_e32 v[2:3], 0, v[2:3]
	v_add_f64_e32 v[6:7], 0, v[6:7]
	v_fma_f64 v[119:120], v[119:120], v[77:78], v[129:130]
	v_fma_f64 v[117:118], v[117:118], v[77:78], -v[79:80]
	scratch_load_b128 v[77:80], off, off offset:368
	v_fma_f64 v[131:132], v[107:108], v[81:82], v[131:132]
	v_fma_f64 v[133:134], v[105:106], v[81:82], -v[83:84]
	ds_load_b128 v[81:84], v1 offset:752
	s_wait_loadcnt 0x9
	v_mul_f64_e32 v[129:130], v[125:126], v[87:88]
	v_mul_f64_e32 v[87:88], v[127:128], v[87:88]
	scratch_load_b128 v[105:108], off, off offset:384
	v_add_f64_e32 v[6:7], v[6:7], v[119:120]
	v_add_f64_e32 v[2:3], v[2:3], v[117:118]
	ds_load_b128 v[117:120], v1 offset:768
	s_wait_loadcnt_dscnt 0x901
	v_mul_f64_e32 v[135:136], v[81:82], v[91:92]
	v_mul_f64_e32 v[91:92], v[83:84], v[91:92]
	v_fma_f64 v[127:128], v[127:128], v[85:86], v[129:130]
	v_fma_f64 v[125:126], v[125:126], v[85:86], -v[87:88]
	scratch_load_b128 v[85:88], off, off offset:400
	v_add_f64_e32 v[6:7], v[6:7], v[131:132]
	v_add_f64_e32 v[2:3], v[2:3], v[133:134]
	v_fma_f64 v[131:132], v[83:84], v[89:90], v[135:136]
	v_fma_f64 v[133:134], v[81:82], v[89:90], -v[91:92]
	ds_load_b128 v[81:84], v1 offset:784
	s_wait_loadcnt_dscnt 0x901
	v_mul_f64_e32 v[129:130], v[117:118], v[95:96]
	v_mul_f64_e32 v[95:96], v[119:120], v[95:96]
	scratch_load_b128 v[89:92], off, off offset:416
	s_wait_loadcnt_dscnt 0x900
	v_mul_f64_e32 v[135:136], v[81:82], v[99:100]
	v_mul_f64_e32 v[99:100], v[83:84], v[99:100]
	v_add_f64_e32 v[6:7], v[6:7], v[127:128]
	v_add_f64_e32 v[2:3], v[2:3], v[125:126]
	ds_load_b128 v[125:128], v1 offset:800
	v_fma_f64 v[119:120], v[119:120], v[93:94], v[129:130]
	v_fma_f64 v[117:118], v[117:118], v[93:94], -v[95:96]
	scratch_load_b128 v[93:96], off, off offset:432
	v_add_f64_e32 v[6:7], v[6:7], v[131:132]
	v_add_f64_e32 v[2:3], v[2:3], v[133:134]
	v_fma_f64 v[131:132], v[83:84], v[97:98], v[135:136]
	v_fma_f64 v[133:134], v[81:82], v[97:98], -v[99:100]
	ds_load_b128 v[81:84], v1 offset:816
	s_wait_loadcnt_dscnt 0x901
	v_mul_f64_e32 v[129:130], v[125:126], v[103:104]
	v_mul_f64_e32 v[103:104], v[127:128], v[103:104]
	scratch_load_b128 v[97:100], off, off offset:448
	s_wait_loadcnt_dscnt 0x900
	v_mul_f64_e32 v[135:136], v[81:82], v[111:112]
	v_mul_f64_e32 v[111:112], v[83:84], v[111:112]
	v_add_f64_e32 v[6:7], v[6:7], v[119:120]
	v_add_f64_e32 v[2:3], v[2:3], v[117:118]
	ds_load_b128 v[117:120], v1 offset:832
	v_fma_f64 v[127:128], v[127:128], v[101:102], v[129:130]
	v_fma_f64 v[125:126], v[125:126], v[101:102], -v[103:104]
	scratch_load_b128 v[101:104], off, off offset:464
	v_add_f64_e32 v[6:7], v[6:7], v[131:132]
	v_add_f64_e32 v[2:3], v[2:3], v[133:134]
	v_fma_f64 v[131:132], v[83:84], v[109:110], v[135:136]
	v_fma_f64 v[133:134], v[81:82], v[109:110], -v[111:112]
	ds_load_b128 v[81:84], v1 offset:848
	scratch_load_b128 v[109:112], off, off offset:480
	s_wait_loadcnt_dscnt 0x901
	v_mul_f64_e32 v[129:130], v[117:118], v[10:11]
	v_mul_f64_e32 v[10:11], v[119:120], v[10:11]
	v_add_f64_e32 v[6:7], v[6:7], v[127:128]
	v_add_f64_e32 v[2:3], v[2:3], v[125:126]
	ds_load_b128 v[125:128], v1 offset:864
	v_fma_f64 v[119:120], v[119:120], v[8:9], v[129:130]
	v_fma_f64 v[10:11], v[117:118], v[8:9], -v[10:11]
	s_wait_loadcnt_dscnt 0x801
	v_mul_f64_e32 v[135:136], v[81:82], v[123:124]
	v_mul_f64_e32 v[123:124], v[83:84], v[123:124]
	v_add_f64_e32 v[117:118], v[6:7], v[131:132]
	v_add_f64_e32 v[2:3], v[2:3], v[133:134]
	scratch_load_b128 v[6:9], off, off offset:496
	v_fma_f64 v[83:84], v[83:84], v[121:122], v[135:136]
	v_fma_f64 v[133:134], v[81:82], v[121:122], -v[123:124]
	ds_load_b128 v[121:124], v1 offset:896
	s_wait_loadcnt_dscnt 0x801
	v_mul_f64_e32 v[129:130], v[125:126], v[79:80]
	v_mul_f64_e32 v[131:132], v[127:128], v[79:80]
	ds_load_b128 v[79:82], v1 offset:880
	v_add_f64_e32 v[2:3], v[2:3], v[10:11]
	v_add_f64_e32 v[10:11], v[117:118], v[119:120]
	scratch_load_b128 v[117:120], off, off offset:512
	s_wait_loadcnt_dscnt 0x800
	v_mul_f64_e32 v[135:136], v[79:80], v[107:108]
	v_mul_f64_e32 v[107:108], v[81:82], v[107:108]
	v_fma_f64 v[127:128], v[127:128], v[77:78], v[129:130]
	v_fma_f64 v[77:78], v[125:126], v[77:78], -v[131:132]
	v_add_f64_e32 v[2:3], v[2:3], v[133:134]
	v_add_f64_e32 v[10:11], v[10:11], v[83:84]
	s_wait_loadcnt 0x7
	v_mul_f64_e32 v[125:126], v[121:122], v[87:88]
	v_mul_f64_e32 v[87:88], v[123:124], v[87:88]
	v_fma_f64 v[129:130], v[81:82], v[105:106], v[135:136]
	v_fma_f64 v[105:106], v[79:80], v[105:106], -v[107:108]
	v_add_f64_e32 v[2:3], v[2:3], v[77:78]
	v_add_f64_e32 v[10:11], v[10:11], v[127:128]
	ds_load_b128 v[77:80], v1 offset:912
	ds_load_b128 v[81:84], v1 offset:928
	v_fma_f64 v[123:124], v[123:124], v[85:86], v[125:126]
	v_fma_f64 v[85:86], v[121:122], v[85:86], -v[87:88]
	s_wait_loadcnt_dscnt 0x601
	v_mul_f64_e32 v[107:108], v[77:78], v[91:92]
	v_mul_f64_e32 v[91:92], v[79:80], v[91:92]
	v_add_f64_e32 v[2:3], v[2:3], v[105:106]
	v_add_f64_e32 v[10:11], v[10:11], v[129:130]
	s_wait_loadcnt_dscnt 0x500
	v_mul_f64_e32 v[105:106], v[81:82], v[95:96]
	v_mul_f64_e32 v[95:96], v[83:84], v[95:96]
	v_fma_f64 v[107:108], v[79:80], v[89:90], v[107:108]
	v_fma_f64 v[89:90], v[77:78], v[89:90], -v[91:92]
	v_add_f64_e32 v[2:3], v[2:3], v[85:86]
	v_add_f64_e32 v[10:11], v[10:11], v[123:124]
	ds_load_b128 v[77:80], v1 offset:944
	ds_load_b128 v[85:88], v1 offset:960
	v_fma_f64 v[83:84], v[83:84], v[93:94], v[105:106]
	v_fma_f64 v[81:82], v[81:82], v[93:94], -v[95:96]
	s_wait_loadcnt_dscnt 0x401
	v_mul_f64_e32 v[91:92], v[77:78], v[99:100]
	v_mul_f64_e32 v[99:100], v[79:80], v[99:100]
	s_wait_loadcnt_dscnt 0x300
	v_mul_f64_e32 v[93:94], v[87:88], v[103:104]
	v_add_f64_e32 v[2:3], v[2:3], v[89:90]
	v_add_f64_e32 v[10:11], v[10:11], v[107:108]
	v_mul_f64_e32 v[89:90], v[85:86], v[103:104]
	v_fma_f64 v[91:92], v[79:80], v[97:98], v[91:92]
	v_fma_f64 v[95:96], v[77:78], v[97:98], -v[99:100]
	v_fma_f64 v[85:86], v[85:86], v[101:102], -v[93:94]
	v_add_f64_e32 v[2:3], v[2:3], v[81:82]
	v_add_f64_e32 v[10:11], v[10:11], v[83:84]
	ds_load_b128 v[77:80], v1 offset:976
	ds_load_b128 v[81:84], v1 offset:992
	v_fma_f64 v[87:88], v[87:88], v[101:102], v[89:90]
	s_wait_loadcnt_dscnt 0x201
	v_mul_f64_e32 v[97:98], v[77:78], v[111:112]
	v_mul_f64_e32 v[99:100], v[79:80], v[111:112]
	v_add_f64_e32 v[2:3], v[2:3], v[95:96]
	v_add_f64_e32 v[10:11], v[10:11], v[91:92]
	s_wait_loadcnt_dscnt 0x100
	v_mul_f64_e32 v[89:90], v[81:82], v[8:9]
	v_mul_f64_e32 v[91:92], v[83:84], v[8:9]
	v_fma_f64 v[79:80], v[79:80], v[109:110], v[97:98]
	v_fma_f64 v[77:78], v[77:78], v[109:110], -v[99:100]
	v_add_f64_e32 v[2:3], v[2:3], v[85:86]
	v_add_f64_e32 v[85:86], v[10:11], v[87:88]
	ds_load_b128 v[8:11], v1 offset:1008
	v_fma_f64 v[83:84], v[83:84], v[6:7], v[89:90]
	v_fma_f64 v[6:7], v[81:82], v[6:7], -v[91:92]
	s_wait_loadcnt_dscnt 0x0
	v_mul_f64_e32 v[87:88], v[8:9], v[119:120]
	v_mul_f64_e32 v[93:94], v[10:11], v[119:120]
	v_add_f64_e32 v[2:3], v[2:3], v[77:78]
	v_add_f64_e32 v[77:78], v[85:86], v[79:80]
	s_delay_alu instid0(VALU_DEP_4) | instskip(NEXT) | instid1(VALU_DEP_4)
	v_fma_f64 v[10:11], v[10:11], v[117:118], v[87:88]
	v_fma_f64 v[8:9], v[8:9], v[117:118], -v[93:94]
	s_delay_alu instid0(VALU_DEP_4) | instskip(NEXT) | instid1(VALU_DEP_4)
	v_add_f64_e32 v[2:3], v[2:3], v[6:7]
	v_add_f64_e32 v[6:7], v[77:78], v[83:84]
	s_delay_alu instid0(VALU_DEP_2) | instskip(NEXT) | instid1(VALU_DEP_2)
	v_add_f64_e32 v[2:3], v[2:3], v[8:9]
	v_add_f64_e32 v[8:9], v[6:7], v[10:11]
	s_delay_alu instid0(VALU_DEP_2) | instskip(NEXT) | instid1(VALU_DEP_2)
	v_add_f64_e64 v[6:7], v[113:114], -v[2:3]
	v_add_f64_e64 v[8:9], v[115:116], -v[8:9]
	scratch_store_b128 off, v[6:9], off offset:176
	v_cmpx_lt_u32_e32 9, v0
	s_cbranch_execz .LBB31_187
; %bb.186:
	scratch_load_b128 v[6:9], off, s35
	v_dual_mov_b32 v2, v1 :: v_dual_mov_b32 v3, v1
	v_mov_b32_e32 v4, v1
	scratch_store_b128 off, v[1:4], off offset:160
	s_wait_loadcnt 0x0
	ds_store_b128 v5, v[6:9]
.LBB31_187:
	s_wait_alu 0xfffe
	s_or_b32 exec_lo, exec_lo, s0
	s_wait_storecnt_dscnt 0x0
	s_barrier_signal -1
	s_barrier_wait -1
	global_inv scope:SCOPE_SE
	s_clause 0x8
	scratch_load_b128 v[6:9], off, off offset:176
	scratch_load_b128 v[77:80], off, off offset:192
	;; [unrolled: 1-line block ×9, first 2 shown]
	ds_load_b128 v[109:112], v1 offset:672
	ds_load_b128 v[113:116], v1 offset:688
	scratch_load_b128 v[117:120], off, off offset:160
	s_mov_b32 s0, exec_lo
	ds_load_b128 v[125:128], v1 offset:720
	s_wait_loadcnt_dscnt 0x902
	v_mul_f64_e32 v[2:3], v[111:112], v[8:9]
	v_mul_f64_e32 v[121:122], v[109:110], v[8:9]
	scratch_load_b128 v[8:11], off, off offset:320
	s_wait_loadcnt_dscnt 0x901
	v_mul_f64_e32 v[129:130], v[113:114], v[79:80]
	v_mul_f64_e32 v[79:80], v[115:116], v[79:80]
	v_fma_f64 v[2:3], v[109:110], v[6:7], -v[2:3]
	v_fma_f64 v[6:7], v[111:112], v[6:7], v[121:122]
	ds_load_b128 v[109:112], v1 offset:704
	scratch_load_b128 v[121:124], off, off offset:336
	v_fma_f64 v[115:116], v[115:116], v[77:78], v[129:130]
	v_fma_f64 v[113:114], v[113:114], v[77:78], -v[79:80]
	scratch_load_b128 v[77:80], off, off offset:352
	s_wait_loadcnt_dscnt 0x901
	v_mul_f64_e32 v[129:130], v[125:126], v[87:88]
	v_mul_f64_e32 v[87:88], v[127:128], v[87:88]
	s_wait_dscnt 0x0
	v_mul_f64_e32 v[131:132], v[109:110], v[83:84]
	v_mul_f64_e32 v[83:84], v[111:112], v[83:84]
	v_add_f64_e32 v[2:3], 0, v[2:3]
	v_add_f64_e32 v[6:7], 0, v[6:7]
	v_fma_f64 v[127:128], v[127:128], v[85:86], v[129:130]
	v_fma_f64 v[125:126], v[125:126], v[85:86], -v[87:88]
	scratch_load_b128 v[85:88], off, off offset:384
	v_fma_f64 v[131:132], v[111:112], v[81:82], v[131:132]
	v_fma_f64 v[133:134], v[109:110], v[81:82], -v[83:84]
	ds_load_b128 v[81:84], v1 offset:736
	scratch_load_b128 v[109:112], off, off offset:368
	v_add_f64_e32 v[2:3], v[2:3], v[113:114]
	v_add_f64_e32 v[6:7], v[6:7], v[115:116]
	ds_load_b128 v[113:116], v1 offset:752
	s_wait_loadcnt_dscnt 0xa01
	v_mul_f64_e32 v[135:136], v[81:82], v[91:92]
	v_mul_f64_e32 v[91:92], v[83:84], v[91:92]
	s_wait_loadcnt_dscnt 0x900
	v_mul_f64_e32 v[129:130], v[113:114], v[95:96]
	v_mul_f64_e32 v[95:96], v[115:116], v[95:96]
	v_add_f64_e32 v[2:3], v[2:3], v[133:134]
	v_add_f64_e32 v[6:7], v[6:7], v[131:132]
	v_fma_f64 v[131:132], v[83:84], v[89:90], v[135:136]
	v_fma_f64 v[133:134], v[81:82], v[89:90], -v[91:92]
	ds_load_b128 v[81:84], v1 offset:768
	scratch_load_b128 v[89:92], off, off offset:400
	v_fma_f64 v[115:116], v[115:116], v[93:94], v[129:130]
	v_fma_f64 v[113:114], v[113:114], v[93:94], -v[95:96]
	scratch_load_b128 v[93:96], off, off offset:416
	v_add_f64_e32 v[2:3], v[2:3], v[125:126]
	v_add_f64_e32 v[6:7], v[6:7], v[127:128]
	ds_load_b128 v[125:128], v1 offset:784
	s_wait_loadcnt_dscnt 0xa01
	v_mul_f64_e32 v[135:136], v[81:82], v[99:100]
	v_mul_f64_e32 v[99:100], v[83:84], v[99:100]
	s_wait_loadcnt_dscnt 0x900
	v_mul_f64_e32 v[129:130], v[125:126], v[103:104]
	v_mul_f64_e32 v[103:104], v[127:128], v[103:104]
	v_add_f64_e32 v[2:3], v[2:3], v[133:134]
	v_add_f64_e32 v[6:7], v[6:7], v[131:132]
	v_fma_f64 v[131:132], v[83:84], v[97:98], v[135:136]
	v_fma_f64 v[133:134], v[81:82], v[97:98], -v[99:100]
	ds_load_b128 v[81:84], v1 offset:800
	scratch_load_b128 v[97:100], off, off offset:432
	v_fma_f64 v[127:128], v[127:128], v[101:102], v[129:130]
	v_fma_f64 v[125:126], v[125:126], v[101:102], -v[103:104]
	scratch_load_b128 v[101:104], off, off offset:448
	v_add_f64_e32 v[2:3], v[2:3], v[113:114]
	v_add_f64_e32 v[6:7], v[6:7], v[115:116]
	ds_load_b128 v[113:116], v1 offset:816
	s_wait_loadcnt_dscnt 0xa01
	v_mul_f64_e32 v[135:136], v[81:82], v[107:108]
	v_mul_f64_e32 v[107:108], v[83:84], v[107:108]
	v_add_f64_e32 v[2:3], v[2:3], v[133:134]
	v_add_f64_e32 v[6:7], v[6:7], v[131:132]
	s_delay_alu instid0(VALU_DEP_4) | instskip(NEXT) | instid1(VALU_DEP_4)
	v_fma_f64 v[131:132], v[83:84], v[105:106], v[135:136]
	v_fma_f64 v[133:134], v[81:82], v[105:106], -v[107:108]
	ds_load_b128 v[81:84], v1 offset:832
	scratch_load_b128 v[105:108], off, off offset:464
	s_wait_loadcnt_dscnt 0x901
	v_mul_f64_e32 v[129:130], v[113:114], v[10:11]
	v_mul_f64_e32 v[10:11], v[115:116], v[10:11]
	v_add_f64_e32 v[2:3], v[2:3], v[125:126]
	v_add_f64_e32 v[6:7], v[6:7], v[127:128]
	ds_load_b128 v[125:128], v1 offset:848
	v_fma_f64 v[115:116], v[115:116], v[8:9], v[129:130]
	s_wait_loadcnt_dscnt 0x801
	v_mul_f64_e32 v[135:136], v[81:82], v[123:124]
	v_mul_f64_e32 v[123:124], v[83:84], v[123:124]
	v_fma_f64 v[10:11], v[113:114], v[8:9], -v[10:11]
	s_wait_loadcnt_dscnt 0x700
	v_mul_f64_e32 v[129:130], v[125:126], v[79:80]
	v_add_f64_e32 v[2:3], v[2:3], v[133:134]
	v_add_f64_e32 v[113:114], v[6:7], v[131:132]
	scratch_load_b128 v[6:9], off, off offset:480
	v_mul_f64_e32 v[131:132], v[127:128], v[79:80]
	v_fma_f64 v[83:84], v[83:84], v[121:122], v[135:136]
	v_fma_f64 v[133:134], v[81:82], v[121:122], -v[123:124]
	ds_load_b128 v[79:82], v1 offset:864
	ds_load_b128 v[121:124], v1 offset:880
	v_fma_f64 v[129:130], v[127:128], v[77:78], v[129:130]
	v_add_f64_e32 v[2:3], v[2:3], v[10:11]
	v_add_f64_e32 v[10:11], v[113:114], v[115:116]
	scratch_load_b128 v[113:116], off, off offset:496
	s_wait_loadcnt_dscnt 0x701
	v_mul_f64_e32 v[135:136], v[79:80], v[111:112]
	v_mul_f64_e32 v[111:112], v[81:82], v[111:112]
	v_fma_f64 v[77:78], v[125:126], v[77:78], -v[131:132]
	scratch_load_b128 v[125:128], off, off offset:512
	s_wait_dscnt 0x0
	v_mul_f64_e32 v[131:132], v[121:122], v[87:88]
	v_mul_f64_e32 v[87:88], v[123:124], v[87:88]
	v_add_f64_e32 v[2:3], v[2:3], v[133:134]
	v_add_f64_e32 v[10:11], v[10:11], v[83:84]
	v_fma_f64 v[133:134], v[81:82], v[109:110], v[135:136]
	v_fma_f64 v[109:110], v[79:80], v[109:110], -v[111:112]
	v_fma_f64 v[123:124], v[123:124], v[85:86], v[131:132]
	v_fma_f64 v[85:86], v[121:122], v[85:86], -v[87:88]
	v_add_f64_e32 v[2:3], v[2:3], v[77:78]
	v_add_f64_e32 v[10:11], v[10:11], v[129:130]
	ds_load_b128 v[77:80], v1 offset:896
	ds_load_b128 v[81:84], v1 offset:912
	s_wait_loadcnt_dscnt 0x701
	v_mul_f64_e32 v[111:112], v[77:78], v[91:92]
	v_mul_f64_e32 v[91:92], v[79:80], v[91:92]
	v_add_f64_e32 v[2:3], v[2:3], v[109:110]
	v_add_f64_e32 v[10:11], v[10:11], v[133:134]
	s_wait_loadcnt_dscnt 0x600
	v_mul_f64_e32 v[109:110], v[81:82], v[95:96]
	v_mul_f64_e32 v[95:96], v[83:84], v[95:96]
	v_fma_f64 v[111:112], v[79:80], v[89:90], v[111:112]
	v_fma_f64 v[89:90], v[77:78], v[89:90], -v[91:92]
	v_add_f64_e32 v[2:3], v[2:3], v[85:86]
	v_add_f64_e32 v[10:11], v[10:11], v[123:124]
	ds_load_b128 v[77:80], v1 offset:928
	ds_load_b128 v[85:88], v1 offset:944
	v_fma_f64 v[83:84], v[83:84], v[93:94], v[109:110]
	v_fma_f64 v[81:82], v[81:82], v[93:94], -v[95:96]
	s_wait_loadcnt_dscnt 0x501
	v_mul_f64_e32 v[91:92], v[77:78], v[99:100]
	v_mul_f64_e32 v[99:100], v[79:80], v[99:100]
	s_wait_loadcnt_dscnt 0x400
	v_mul_f64_e32 v[93:94], v[87:88], v[103:104]
	v_add_f64_e32 v[2:3], v[2:3], v[89:90]
	v_add_f64_e32 v[10:11], v[10:11], v[111:112]
	v_mul_f64_e32 v[89:90], v[85:86], v[103:104]
	v_fma_f64 v[91:92], v[79:80], v[97:98], v[91:92]
	v_fma_f64 v[95:96], v[77:78], v[97:98], -v[99:100]
	v_fma_f64 v[85:86], v[85:86], v[101:102], -v[93:94]
	v_add_f64_e32 v[2:3], v[2:3], v[81:82]
	v_add_f64_e32 v[10:11], v[10:11], v[83:84]
	ds_load_b128 v[77:80], v1 offset:960
	ds_load_b128 v[81:84], v1 offset:976
	v_fma_f64 v[87:88], v[87:88], v[101:102], v[89:90]
	s_wait_loadcnt_dscnt 0x301
	v_mul_f64_e32 v[97:98], v[77:78], v[107:108]
	v_mul_f64_e32 v[99:100], v[79:80], v[107:108]
	v_add_f64_e32 v[2:3], v[2:3], v[95:96]
	v_add_f64_e32 v[10:11], v[10:11], v[91:92]
	s_wait_loadcnt_dscnt 0x200
	v_mul_f64_e32 v[89:90], v[81:82], v[8:9]
	v_mul_f64_e32 v[91:92], v[83:84], v[8:9]
	v_fma_f64 v[79:80], v[79:80], v[105:106], v[97:98]
	v_fma_f64 v[77:78], v[77:78], v[105:106], -v[99:100]
	v_add_f64_e32 v[85:86], v[2:3], v[85:86]
	v_add_f64_e32 v[87:88], v[10:11], v[87:88]
	ds_load_b128 v[8:11], v1 offset:992
	ds_load_b128 v[1:4], v1 offset:1008
	v_fma_f64 v[83:84], v[83:84], v[6:7], v[89:90]
	v_fma_f64 v[6:7], v[81:82], v[6:7], -v[91:92]
	s_wait_loadcnt_dscnt 0x101
	v_mul_f64_e32 v[93:94], v[8:9], v[115:116]
	v_mul_f64_e32 v[95:96], v[10:11], v[115:116]
	s_wait_loadcnt_dscnt 0x0
	v_mul_f64_e32 v[81:82], v[1:2], v[127:128]
	v_add_f64_e32 v[77:78], v[85:86], v[77:78]
	v_add_f64_e32 v[79:80], v[87:88], v[79:80]
	v_mul_f64_e32 v[85:86], v[3:4], v[127:128]
	v_fma_f64 v[10:11], v[10:11], v[113:114], v[93:94]
	v_fma_f64 v[8:9], v[8:9], v[113:114], -v[95:96]
	v_fma_f64 v[3:4], v[3:4], v[125:126], v[81:82]
	v_add_f64_e32 v[6:7], v[77:78], v[6:7]
	v_add_f64_e32 v[77:78], v[79:80], v[83:84]
	v_fma_f64 v[1:2], v[1:2], v[125:126], -v[85:86]
	s_delay_alu instid0(VALU_DEP_3) | instskip(NEXT) | instid1(VALU_DEP_3)
	v_add_f64_e32 v[6:7], v[6:7], v[8:9]
	v_add_f64_e32 v[8:9], v[77:78], v[10:11]
	s_delay_alu instid0(VALU_DEP_2) | instskip(NEXT) | instid1(VALU_DEP_2)
	v_add_f64_e32 v[1:2], v[6:7], v[1:2]
	v_add_f64_e32 v[3:4], v[8:9], v[3:4]
	s_delay_alu instid0(VALU_DEP_2) | instskip(NEXT) | instid1(VALU_DEP_2)
	v_add_f64_e64 v[1:2], v[117:118], -v[1:2]
	v_add_f64_e64 v[3:4], v[119:120], -v[3:4]
	scratch_store_b128 off, v[1:4], off offset:160
	v_cmpx_lt_u32_e32 8, v0
	s_cbranch_execz .LBB31_189
; %bb.188:
	scratch_load_b128 v[1:4], off, s36
	v_mov_b32_e32 v6, 0
	s_delay_alu instid0(VALU_DEP_1)
	v_dual_mov_b32 v7, v6 :: v_dual_mov_b32 v8, v6
	v_mov_b32_e32 v9, v6
	scratch_store_b128 off, v[6:9], off offset:144
	s_wait_loadcnt 0x0
	ds_store_b128 v5, v[1:4]
.LBB31_189:
	s_wait_alu 0xfffe
	s_or_b32 exec_lo, exec_lo, s0
	s_wait_storecnt_dscnt 0x0
	s_barrier_signal -1
	s_barrier_wait -1
	global_inv scope:SCOPE_SE
	s_clause 0x7
	scratch_load_b128 v[6:9], off, off offset:160
	scratch_load_b128 v[77:80], off, off offset:176
	;; [unrolled: 1-line block ×8, first 2 shown]
	v_mov_b32_e32 v1, 0
	s_mov_b32 s0, exec_lo
	ds_load_b128 v[105:108], v1 offset:656
	s_clause 0x1
	scratch_load_b128 v[109:112], off, off offset:288
	scratch_load_b128 v[113:116], off, off offset:144
	ds_load_b128 v[117:120], v1 offset:672
	ds_load_b128 v[125:128], v1 offset:704
	s_wait_loadcnt_dscnt 0x902
	v_mul_f64_e32 v[2:3], v[107:108], v[8:9]
	v_mul_f64_e32 v[121:122], v[105:106], v[8:9]
	scratch_load_b128 v[8:11], off, off offset:304
	v_fma_f64 v[2:3], v[105:106], v[6:7], -v[2:3]
	v_fma_f64 v[6:7], v[107:108], v[6:7], v[121:122]
	ds_load_b128 v[105:108], v1 offset:688
	s_wait_loadcnt_dscnt 0x902
	v_mul_f64_e32 v[129:130], v[117:118], v[79:80]
	v_mul_f64_e32 v[79:80], v[119:120], v[79:80]
	scratch_load_b128 v[121:124], off, off offset:320
	s_wait_loadcnt_dscnt 0x900
	v_mul_f64_e32 v[131:132], v[105:106], v[83:84]
	v_mul_f64_e32 v[83:84], v[107:108], v[83:84]
	v_add_f64_e32 v[2:3], 0, v[2:3]
	v_add_f64_e32 v[6:7], 0, v[6:7]
	v_fma_f64 v[119:120], v[119:120], v[77:78], v[129:130]
	v_fma_f64 v[117:118], v[117:118], v[77:78], -v[79:80]
	scratch_load_b128 v[77:80], off, off offset:336
	v_fma_f64 v[131:132], v[107:108], v[81:82], v[131:132]
	v_fma_f64 v[133:134], v[105:106], v[81:82], -v[83:84]
	ds_load_b128 v[81:84], v1 offset:720
	s_wait_loadcnt 0x9
	v_mul_f64_e32 v[129:130], v[125:126], v[87:88]
	v_mul_f64_e32 v[87:88], v[127:128], v[87:88]
	scratch_load_b128 v[105:108], off, off offset:352
	v_add_f64_e32 v[6:7], v[6:7], v[119:120]
	v_add_f64_e32 v[2:3], v[2:3], v[117:118]
	ds_load_b128 v[117:120], v1 offset:736
	s_wait_loadcnt_dscnt 0x901
	v_mul_f64_e32 v[135:136], v[81:82], v[91:92]
	v_mul_f64_e32 v[91:92], v[83:84], v[91:92]
	v_fma_f64 v[127:128], v[127:128], v[85:86], v[129:130]
	v_fma_f64 v[125:126], v[125:126], v[85:86], -v[87:88]
	scratch_load_b128 v[85:88], off, off offset:368
	v_add_f64_e32 v[6:7], v[6:7], v[131:132]
	v_add_f64_e32 v[2:3], v[2:3], v[133:134]
	v_fma_f64 v[131:132], v[83:84], v[89:90], v[135:136]
	v_fma_f64 v[133:134], v[81:82], v[89:90], -v[91:92]
	ds_load_b128 v[81:84], v1 offset:752
	s_wait_loadcnt_dscnt 0x901
	v_mul_f64_e32 v[129:130], v[117:118], v[95:96]
	v_mul_f64_e32 v[95:96], v[119:120], v[95:96]
	scratch_load_b128 v[89:92], off, off offset:384
	s_wait_loadcnt_dscnt 0x900
	v_mul_f64_e32 v[135:136], v[81:82], v[99:100]
	v_mul_f64_e32 v[99:100], v[83:84], v[99:100]
	v_add_f64_e32 v[6:7], v[6:7], v[127:128]
	v_add_f64_e32 v[2:3], v[2:3], v[125:126]
	ds_load_b128 v[125:128], v1 offset:768
	v_fma_f64 v[119:120], v[119:120], v[93:94], v[129:130]
	v_fma_f64 v[117:118], v[117:118], v[93:94], -v[95:96]
	scratch_load_b128 v[93:96], off, off offset:400
	v_add_f64_e32 v[6:7], v[6:7], v[131:132]
	v_add_f64_e32 v[2:3], v[2:3], v[133:134]
	v_fma_f64 v[131:132], v[83:84], v[97:98], v[135:136]
	v_fma_f64 v[133:134], v[81:82], v[97:98], -v[99:100]
	ds_load_b128 v[81:84], v1 offset:784
	s_wait_loadcnt_dscnt 0x901
	v_mul_f64_e32 v[129:130], v[125:126], v[103:104]
	v_mul_f64_e32 v[103:104], v[127:128], v[103:104]
	scratch_load_b128 v[97:100], off, off offset:416
	s_wait_loadcnt_dscnt 0x900
	v_mul_f64_e32 v[135:136], v[81:82], v[111:112]
	v_mul_f64_e32 v[111:112], v[83:84], v[111:112]
	v_add_f64_e32 v[6:7], v[6:7], v[119:120]
	v_add_f64_e32 v[2:3], v[2:3], v[117:118]
	ds_load_b128 v[117:120], v1 offset:800
	v_fma_f64 v[127:128], v[127:128], v[101:102], v[129:130]
	v_fma_f64 v[125:126], v[125:126], v[101:102], -v[103:104]
	scratch_load_b128 v[101:104], off, off offset:432
	v_add_f64_e32 v[6:7], v[6:7], v[131:132]
	v_add_f64_e32 v[2:3], v[2:3], v[133:134]
	v_fma_f64 v[131:132], v[83:84], v[109:110], v[135:136]
	v_fma_f64 v[133:134], v[81:82], v[109:110], -v[111:112]
	ds_load_b128 v[81:84], v1 offset:816
	scratch_load_b128 v[109:112], off, off offset:448
	s_wait_loadcnt_dscnt 0x901
	v_mul_f64_e32 v[129:130], v[117:118], v[10:11]
	v_mul_f64_e32 v[10:11], v[119:120], v[10:11]
	v_add_f64_e32 v[6:7], v[6:7], v[127:128]
	v_add_f64_e32 v[2:3], v[2:3], v[125:126]
	ds_load_b128 v[125:128], v1 offset:832
	v_fma_f64 v[119:120], v[119:120], v[8:9], v[129:130]
	v_fma_f64 v[10:11], v[117:118], v[8:9], -v[10:11]
	s_wait_loadcnt_dscnt 0x801
	v_mul_f64_e32 v[135:136], v[81:82], v[123:124]
	v_mul_f64_e32 v[123:124], v[83:84], v[123:124]
	v_add_f64_e32 v[117:118], v[6:7], v[131:132]
	v_add_f64_e32 v[2:3], v[2:3], v[133:134]
	scratch_load_b128 v[6:9], off, off offset:464
	v_fma_f64 v[83:84], v[83:84], v[121:122], v[135:136]
	v_fma_f64 v[133:134], v[81:82], v[121:122], -v[123:124]
	ds_load_b128 v[121:124], v1 offset:864
	s_wait_loadcnt_dscnt 0x801
	v_mul_f64_e32 v[129:130], v[125:126], v[79:80]
	v_mul_f64_e32 v[131:132], v[127:128], v[79:80]
	ds_load_b128 v[79:82], v1 offset:848
	v_add_f64_e32 v[2:3], v[2:3], v[10:11]
	v_add_f64_e32 v[10:11], v[117:118], v[119:120]
	scratch_load_b128 v[117:120], off, off offset:480
	s_wait_loadcnt_dscnt 0x800
	v_mul_f64_e32 v[135:136], v[79:80], v[107:108]
	v_mul_f64_e32 v[107:108], v[81:82], v[107:108]
	v_fma_f64 v[129:130], v[127:128], v[77:78], v[129:130]
	v_fma_f64 v[77:78], v[125:126], v[77:78], -v[131:132]
	scratch_load_b128 v[125:128], off, off offset:496
	v_add_f64_e32 v[2:3], v[2:3], v[133:134]
	v_add_f64_e32 v[10:11], v[10:11], v[83:84]
	s_wait_loadcnt 0x8
	v_mul_f64_e32 v[131:132], v[121:122], v[87:88]
	v_mul_f64_e32 v[87:88], v[123:124], v[87:88]
	v_fma_f64 v[133:134], v[81:82], v[105:106], v[135:136]
	v_fma_f64 v[135:136], v[79:80], v[105:106], -v[107:108]
	scratch_load_b128 v[81:84], off, off offset:512
	ds_load_b128 v[105:108], v1 offset:896
	v_add_f64_e32 v[2:3], v[2:3], v[77:78]
	v_add_f64_e32 v[10:11], v[10:11], v[129:130]
	ds_load_b128 v[77:80], v1 offset:880
	v_fma_f64 v[123:124], v[123:124], v[85:86], v[131:132]
	v_fma_f64 v[85:86], v[121:122], v[85:86], -v[87:88]
	s_wait_loadcnt_dscnt 0x800
	v_mul_f64_e32 v[129:130], v[77:78], v[91:92]
	v_mul_f64_e32 v[91:92], v[79:80], v[91:92]
	s_wait_loadcnt 0x7
	v_mul_f64_e32 v[121:122], v[105:106], v[95:96]
	v_mul_f64_e32 v[95:96], v[107:108], v[95:96]
	v_add_f64_e32 v[2:3], v[2:3], v[135:136]
	v_add_f64_e32 v[10:11], v[10:11], v[133:134]
	v_fma_f64 v[129:130], v[79:80], v[89:90], v[129:130]
	v_fma_f64 v[89:90], v[77:78], v[89:90], -v[91:92]
	v_fma_f64 v[107:108], v[107:108], v[93:94], v[121:122]
	v_fma_f64 v[93:94], v[105:106], v[93:94], -v[95:96]
	v_add_f64_e32 v[2:3], v[2:3], v[85:86]
	v_add_f64_e32 v[10:11], v[10:11], v[123:124]
	ds_load_b128 v[77:80], v1 offset:912
	ds_load_b128 v[85:88], v1 offset:928
	s_wait_loadcnt_dscnt 0x601
	v_mul_f64_e32 v[91:92], v[77:78], v[99:100]
	v_mul_f64_e32 v[99:100], v[79:80], v[99:100]
	s_wait_loadcnt_dscnt 0x500
	v_mul_f64_e32 v[95:96], v[85:86], v[103:104]
	v_mul_f64_e32 v[103:104], v[87:88], v[103:104]
	v_add_f64_e32 v[2:3], v[2:3], v[89:90]
	v_add_f64_e32 v[10:11], v[10:11], v[129:130]
	v_fma_f64 v[105:106], v[79:80], v[97:98], v[91:92]
	v_fma_f64 v[97:98], v[77:78], v[97:98], -v[99:100]
	ds_load_b128 v[77:80], v1 offset:944
	ds_load_b128 v[89:92], v1 offset:960
	v_fma_f64 v[87:88], v[87:88], v[101:102], v[95:96]
	v_fma_f64 v[85:86], v[85:86], v[101:102], -v[103:104]
	v_add_f64_e32 v[2:3], v[2:3], v[93:94]
	v_add_f64_e32 v[10:11], v[10:11], v[107:108]
	s_wait_loadcnt_dscnt 0x401
	v_mul_f64_e32 v[93:94], v[77:78], v[111:112]
	v_mul_f64_e32 v[99:100], v[79:80], v[111:112]
	s_delay_alu instid0(VALU_DEP_4) | instskip(NEXT) | instid1(VALU_DEP_4)
	v_add_f64_e32 v[2:3], v[2:3], v[97:98]
	v_add_f64_e32 v[10:11], v[10:11], v[105:106]
	s_delay_alu instid0(VALU_DEP_4) | instskip(NEXT) | instid1(VALU_DEP_4)
	v_fma_f64 v[93:94], v[79:80], v[109:110], v[93:94]
	v_fma_f64 v[99:100], v[77:78], v[109:110], -v[99:100]
	s_wait_loadcnt_dscnt 0x300
	v_mul_f64_e32 v[95:96], v[89:90], v[8:9]
	v_mul_f64_e32 v[97:98], v[91:92], v[8:9]
	v_add_f64_e32 v[2:3], v[2:3], v[85:86]
	v_add_f64_e32 v[85:86], v[10:11], v[87:88]
	ds_load_b128 v[8:11], v1 offset:976
	ds_load_b128 v[77:80], v1 offset:992
	v_fma_f64 v[91:92], v[91:92], v[6:7], v[95:96]
	v_fma_f64 v[6:7], v[89:90], v[6:7], -v[97:98]
	s_wait_loadcnt_dscnt 0x201
	v_mul_f64_e32 v[87:88], v[8:9], v[119:120]
	v_mul_f64_e32 v[101:102], v[10:11], v[119:120]
	s_wait_loadcnt_dscnt 0x100
	v_mul_f64_e32 v[89:90], v[77:78], v[127:128]
	v_add_f64_e32 v[2:3], v[2:3], v[99:100]
	v_add_f64_e32 v[85:86], v[85:86], v[93:94]
	v_mul_f64_e32 v[93:94], v[79:80], v[127:128]
	v_fma_f64 v[10:11], v[10:11], v[117:118], v[87:88]
	v_fma_f64 v[87:88], v[8:9], v[117:118], -v[101:102]
	v_fma_f64 v[79:80], v[79:80], v[125:126], v[89:90]
	v_add_f64_e32 v[2:3], v[2:3], v[6:7]
	v_add_f64_e32 v[85:86], v[85:86], v[91:92]
	ds_load_b128 v[6:9], v1 offset:1008
	v_fma_f64 v[77:78], v[77:78], v[125:126], -v[93:94]
	s_wait_loadcnt_dscnt 0x0
	v_mul_f64_e32 v[91:92], v[6:7], v[83:84]
	v_mul_f64_e32 v[83:84], v[8:9], v[83:84]
	v_add_f64_e32 v[2:3], v[2:3], v[87:88]
	v_add_f64_e32 v[10:11], v[85:86], v[10:11]
	s_delay_alu instid0(VALU_DEP_4) | instskip(NEXT) | instid1(VALU_DEP_4)
	v_fma_f64 v[8:9], v[8:9], v[81:82], v[91:92]
	v_fma_f64 v[6:7], v[6:7], v[81:82], -v[83:84]
	s_delay_alu instid0(VALU_DEP_4) | instskip(NEXT) | instid1(VALU_DEP_4)
	v_add_f64_e32 v[2:3], v[2:3], v[77:78]
	v_add_f64_e32 v[10:11], v[10:11], v[79:80]
	s_delay_alu instid0(VALU_DEP_2) | instskip(NEXT) | instid1(VALU_DEP_2)
	v_add_f64_e32 v[2:3], v[2:3], v[6:7]
	v_add_f64_e32 v[8:9], v[10:11], v[8:9]
	s_delay_alu instid0(VALU_DEP_2) | instskip(NEXT) | instid1(VALU_DEP_2)
	v_add_f64_e64 v[6:7], v[113:114], -v[2:3]
	v_add_f64_e64 v[8:9], v[115:116], -v[8:9]
	scratch_store_b128 off, v[6:9], off offset:144
	v_cmpx_lt_u32_e32 7, v0
	s_cbranch_execz .LBB31_191
; %bb.190:
	scratch_load_b128 v[6:9], off, s37
	v_dual_mov_b32 v2, v1 :: v_dual_mov_b32 v3, v1
	v_mov_b32_e32 v4, v1
	scratch_store_b128 off, v[1:4], off offset:128
	s_wait_loadcnt 0x0
	ds_store_b128 v5, v[6:9]
.LBB31_191:
	s_wait_alu 0xfffe
	s_or_b32 exec_lo, exec_lo, s0
	s_wait_storecnt_dscnt 0x0
	s_barrier_signal -1
	s_barrier_wait -1
	global_inv scope:SCOPE_SE
	s_clause 0x8
	scratch_load_b128 v[6:9], off, off offset:144
	scratch_load_b128 v[77:80], off, off offset:160
	;; [unrolled: 1-line block ×9, first 2 shown]
	ds_load_b128 v[109:112], v1 offset:640
	ds_load_b128 v[113:116], v1 offset:656
	scratch_load_b128 v[117:120], off, off offset:128
	s_mov_b32 s0, exec_lo
	ds_load_b128 v[125:128], v1 offset:688
	s_wait_loadcnt_dscnt 0x902
	v_mul_f64_e32 v[2:3], v[111:112], v[8:9]
	v_mul_f64_e32 v[121:122], v[109:110], v[8:9]
	scratch_load_b128 v[8:11], off, off offset:288
	s_wait_loadcnt_dscnt 0x901
	v_mul_f64_e32 v[129:130], v[113:114], v[79:80]
	v_mul_f64_e32 v[79:80], v[115:116], v[79:80]
	v_fma_f64 v[2:3], v[109:110], v[6:7], -v[2:3]
	v_fma_f64 v[6:7], v[111:112], v[6:7], v[121:122]
	ds_load_b128 v[109:112], v1 offset:672
	scratch_load_b128 v[121:124], off, off offset:304
	v_fma_f64 v[115:116], v[115:116], v[77:78], v[129:130]
	v_fma_f64 v[113:114], v[113:114], v[77:78], -v[79:80]
	scratch_load_b128 v[77:80], off, off offset:320
	s_wait_loadcnt_dscnt 0x901
	v_mul_f64_e32 v[129:130], v[125:126], v[87:88]
	v_mul_f64_e32 v[87:88], v[127:128], v[87:88]
	s_wait_dscnt 0x0
	v_mul_f64_e32 v[131:132], v[109:110], v[83:84]
	v_mul_f64_e32 v[83:84], v[111:112], v[83:84]
	v_add_f64_e32 v[2:3], 0, v[2:3]
	v_add_f64_e32 v[6:7], 0, v[6:7]
	v_fma_f64 v[127:128], v[127:128], v[85:86], v[129:130]
	v_fma_f64 v[125:126], v[125:126], v[85:86], -v[87:88]
	scratch_load_b128 v[85:88], off, off offset:352
	v_fma_f64 v[131:132], v[111:112], v[81:82], v[131:132]
	v_fma_f64 v[133:134], v[109:110], v[81:82], -v[83:84]
	ds_load_b128 v[81:84], v1 offset:704
	scratch_load_b128 v[109:112], off, off offset:336
	v_add_f64_e32 v[2:3], v[2:3], v[113:114]
	v_add_f64_e32 v[6:7], v[6:7], v[115:116]
	ds_load_b128 v[113:116], v1 offset:720
	s_wait_loadcnt_dscnt 0xa01
	v_mul_f64_e32 v[135:136], v[81:82], v[91:92]
	v_mul_f64_e32 v[91:92], v[83:84], v[91:92]
	s_wait_loadcnt_dscnt 0x900
	v_mul_f64_e32 v[129:130], v[113:114], v[95:96]
	v_mul_f64_e32 v[95:96], v[115:116], v[95:96]
	v_add_f64_e32 v[2:3], v[2:3], v[133:134]
	v_add_f64_e32 v[6:7], v[6:7], v[131:132]
	v_fma_f64 v[131:132], v[83:84], v[89:90], v[135:136]
	v_fma_f64 v[133:134], v[81:82], v[89:90], -v[91:92]
	ds_load_b128 v[81:84], v1 offset:736
	scratch_load_b128 v[89:92], off, off offset:368
	v_fma_f64 v[115:116], v[115:116], v[93:94], v[129:130]
	v_fma_f64 v[113:114], v[113:114], v[93:94], -v[95:96]
	scratch_load_b128 v[93:96], off, off offset:384
	v_add_f64_e32 v[2:3], v[2:3], v[125:126]
	v_add_f64_e32 v[6:7], v[6:7], v[127:128]
	ds_load_b128 v[125:128], v1 offset:752
	s_wait_loadcnt_dscnt 0xa01
	v_mul_f64_e32 v[135:136], v[81:82], v[99:100]
	v_mul_f64_e32 v[99:100], v[83:84], v[99:100]
	s_wait_loadcnt_dscnt 0x900
	v_mul_f64_e32 v[129:130], v[125:126], v[103:104]
	v_mul_f64_e32 v[103:104], v[127:128], v[103:104]
	v_add_f64_e32 v[2:3], v[2:3], v[133:134]
	v_add_f64_e32 v[6:7], v[6:7], v[131:132]
	v_fma_f64 v[131:132], v[83:84], v[97:98], v[135:136]
	v_fma_f64 v[133:134], v[81:82], v[97:98], -v[99:100]
	ds_load_b128 v[81:84], v1 offset:768
	scratch_load_b128 v[97:100], off, off offset:400
	v_fma_f64 v[127:128], v[127:128], v[101:102], v[129:130]
	v_fma_f64 v[125:126], v[125:126], v[101:102], -v[103:104]
	scratch_load_b128 v[101:104], off, off offset:416
	v_add_f64_e32 v[2:3], v[2:3], v[113:114]
	v_add_f64_e32 v[6:7], v[6:7], v[115:116]
	ds_load_b128 v[113:116], v1 offset:784
	s_wait_loadcnt_dscnt 0xa01
	v_mul_f64_e32 v[135:136], v[81:82], v[107:108]
	v_mul_f64_e32 v[107:108], v[83:84], v[107:108]
	v_add_f64_e32 v[2:3], v[2:3], v[133:134]
	v_add_f64_e32 v[6:7], v[6:7], v[131:132]
	s_delay_alu instid0(VALU_DEP_4) | instskip(NEXT) | instid1(VALU_DEP_4)
	v_fma_f64 v[131:132], v[83:84], v[105:106], v[135:136]
	v_fma_f64 v[133:134], v[81:82], v[105:106], -v[107:108]
	ds_load_b128 v[81:84], v1 offset:800
	scratch_load_b128 v[105:108], off, off offset:432
	s_wait_loadcnt_dscnt 0x901
	v_mul_f64_e32 v[129:130], v[113:114], v[10:11]
	v_mul_f64_e32 v[10:11], v[115:116], v[10:11]
	v_add_f64_e32 v[2:3], v[2:3], v[125:126]
	v_add_f64_e32 v[6:7], v[6:7], v[127:128]
	ds_load_b128 v[125:128], v1 offset:816
	v_fma_f64 v[115:116], v[115:116], v[8:9], v[129:130]
	s_wait_loadcnt_dscnt 0x801
	v_mul_f64_e32 v[135:136], v[81:82], v[123:124]
	v_mul_f64_e32 v[123:124], v[83:84], v[123:124]
	v_fma_f64 v[10:11], v[113:114], v[8:9], -v[10:11]
	s_wait_loadcnt_dscnt 0x700
	v_mul_f64_e32 v[129:130], v[125:126], v[79:80]
	v_add_f64_e32 v[2:3], v[2:3], v[133:134]
	v_add_f64_e32 v[113:114], v[6:7], v[131:132]
	scratch_load_b128 v[6:9], off, off offset:448
	v_mul_f64_e32 v[131:132], v[127:128], v[79:80]
	v_fma_f64 v[83:84], v[83:84], v[121:122], v[135:136]
	v_fma_f64 v[133:134], v[81:82], v[121:122], -v[123:124]
	ds_load_b128 v[79:82], v1 offset:832
	ds_load_b128 v[121:124], v1 offset:848
	v_fma_f64 v[129:130], v[127:128], v[77:78], v[129:130]
	v_add_f64_e32 v[2:3], v[2:3], v[10:11]
	v_add_f64_e32 v[10:11], v[113:114], v[115:116]
	scratch_load_b128 v[113:116], off, off offset:464
	s_wait_loadcnt_dscnt 0x701
	v_mul_f64_e32 v[135:136], v[79:80], v[111:112]
	v_mul_f64_e32 v[111:112], v[81:82], v[111:112]
	v_fma_f64 v[77:78], v[125:126], v[77:78], -v[131:132]
	scratch_load_b128 v[125:128], off, off offset:480
	s_wait_dscnt 0x0
	v_mul_f64_e32 v[131:132], v[121:122], v[87:88]
	v_mul_f64_e32 v[87:88], v[123:124], v[87:88]
	v_add_f64_e32 v[2:3], v[2:3], v[133:134]
	v_add_f64_e32 v[10:11], v[10:11], v[83:84]
	v_fma_f64 v[133:134], v[81:82], v[109:110], v[135:136]
	v_fma_f64 v[135:136], v[79:80], v[109:110], -v[111:112]
	scratch_load_b128 v[81:84], off, off offset:496
	ds_load_b128 v[109:112], v1 offset:880
	v_fma_f64 v[123:124], v[123:124], v[85:86], v[131:132]
	v_fma_f64 v[121:122], v[121:122], v[85:86], -v[87:88]
	scratch_load_b128 v[85:88], off, off offset:512
	v_add_f64_e32 v[2:3], v[2:3], v[77:78]
	v_add_f64_e32 v[10:11], v[10:11], v[129:130]
	ds_load_b128 v[77:80], v1 offset:864
	s_wait_loadcnt_dscnt 0x801
	v_mul_f64_e32 v[131:132], v[109:110], v[95:96]
	v_mul_f64_e32 v[95:96], v[111:112], v[95:96]
	s_wait_dscnt 0x0
	v_mul_f64_e32 v[129:130], v[77:78], v[91:92]
	v_mul_f64_e32 v[91:92], v[79:80], v[91:92]
	v_add_f64_e32 v[2:3], v[2:3], v[135:136]
	v_add_f64_e32 v[10:11], v[10:11], v[133:134]
	v_fma_f64 v[111:112], v[111:112], v[93:94], v[131:132]
	v_fma_f64 v[93:94], v[109:110], v[93:94], -v[95:96]
	v_fma_f64 v[129:130], v[79:80], v[89:90], v[129:130]
	v_fma_f64 v[133:134], v[77:78], v[89:90], -v[91:92]
	ds_load_b128 v[77:80], v1 offset:896
	ds_load_b128 v[89:92], v1 offset:912
	v_add_f64_e32 v[2:3], v[2:3], v[121:122]
	v_add_f64_e32 v[10:11], v[10:11], v[123:124]
	s_wait_loadcnt_dscnt 0x701
	v_mul_f64_e32 v[121:122], v[77:78], v[99:100]
	v_mul_f64_e32 v[99:100], v[79:80], v[99:100]
	s_wait_loadcnt_dscnt 0x600
	v_mul_f64_e32 v[109:110], v[89:90], v[103:104]
	v_mul_f64_e32 v[103:104], v[91:92], v[103:104]
	v_add_f64_e32 v[2:3], v[2:3], v[133:134]
	v_add_f64_e32 v[10:11], v[10:11], v[129:130]
	v_fma_f64 v[121:122], v[79:80], v[97:98], v[121:122]
	v_fma_f64 v[97:98], v[77:78], v[97:98], -v[99:100]
	v_fma_f64 v[91:92], v[91:92], v[101:102], v[109:110]
	v_fma_f64 v[89:90], v[89:90], v[101:102], -v[103:104]
	v_add_f64_e32 v[2:3], v[2:3], v[93:94]
	v_add_f64_e32 v[10:11], v[10:11], v[111:112]
	ds_load_b128 v[77:80], v1 offset:928
	ds_load_b128 v[93:96], v1 offset:944
	s_wait_loadcnt_dscnt 0x501
	v_mul_f64_e32 v[99:100], v[77:78], v[107:108]
	v_mul_f64_e32 v[107:108], v[79:80], v[107:108]
	v_add_f64_e32 v[2:3], v[2:3], v[97:98]
	v_add_f64_e32 v[10:11], v[10:11], v[121:122]
	s_wait_loadcnt_dscnt 0x400
	v_mul_f64_e32 v[97:98], v[93:94], v[8:9]
	v_mul_f64_e32 v[101:102], v[95:96], v[8:9]
	v_fma_f64 v[99:100], v[79:80], v[105:106], v[99:100]
	v_fma_f64 v[103:104], v[77:78], v[105:106], -v[107:108]
	v_add_f64_e32 v[2:3], v[2:3], v[89:90]
	v_add_f64_e32 v[89:90], v[10:11], v[91:92]
	ds_load_b128 v[8:11], v1 offset:960
	ds_load_b128 v[77:80], v1 offset:976
	v_fma_f64 v[95:96], v[95:96], v[6:7], v[97:98]
	v_fma_f64 v[6:7], v[93:94], v[6:7], -v[101:102]
	s_wait_loadcnt_dscnt 0x301
	v_mul_f64_e32 v[91:92], v[8:9], v[115:116]
	v_mul_f64_e32 v[105:106], v[10:11], v[115:116]
	s_wait_loadcnt_dscnt 0x200
	v_mul_f64_e32 v[93:94], v[77:78], v[127:128]
	v_mul_f64_e32 v[97:98], v[79:80], v[127:128]
	v_add_f64_e32 v[2:3], v[2:3], v[103:104]
	v_add_f64_e32 v[89:90], v[89:90], v[99:100]
	v_fma_f64 v[10:11], v[10:11], v[113:114], v[91:92]
	v_fma_f64 v[91:92], v[8:9], v[113:114], -v[105:106]
	v_fma_f64 v[79:80], v[79:80], v[125:126], v[93:94]
	v_fma_f64 v[77:78], v[77:78], v[125:126], -v[97:98]
	v_add_f64_e32 v[99:100], v[2:3], v[6:7]
	v_add_f64_e32 v[89:90], v[89:90], v[95:96]
	ds_load_b128 v[6:9], v1 offset:992
	ds_load_b128 v[1:4], v1 offset:1008
	s_wait_loadcnt_dscnt 0x101
	v_mul_f64_e32 v[95:96], v[6:7], v[83:84]
	v_mul_f64_e32 v[83:84], v[8:9], v[83:84]
	v_add_f64_e32 v[91:92], v[99:100], v[91:92]
	v_add_f64_e32 v[10:11], v[89:90], v[10:11]
	s_wait_loadcnt_dscnt 0x0
	v_mul_f64_e32 v[89:90], v[1:2], v[87:88]
	v_mul_f64_e32 v[87:88], v[3:4], v[87:88]
	v_fma_f64 v[8:9], v[8:9], v[81:82], v[95:96]
	v_fma_f64 v[6:7], v[6:7], v[81:82], -v[83:84]
	v_add_f64_e32 v[77:78], v[91:92], v[77:78]
	v_add_f64_e32 v[10:11], v[10:11], v[79:80]
	v_fma_f64 v[3:4], v[3:4], v[85:86], v[89:90]
	v_fma_f64 v[1:2], v[1:2], v[85:86], -v[87:88]
	s_delay_alu instid0(VALU_DEP_4) | instskip(NEXT) | instid1(VALU_DEP_4)
	v_add_f64_e32 v[6:7], v[77:78], v[6:7]
	v_add_f64_e32 v[8:9], v[10:11], v[8:9]
	s_delay_alu instid0(VALU_DEP_2) | instskip(NEXT) | instid1(VALU_DEP_2)
	v_add_f64_e32 v[1:2], v[6:7], v[1:2]
	v_add_f64_e32 v[3:4], v[8:9], v[3:4]
	s_delay_alu instid0(VALU_DEP_2) | instskip(NEXT) | instid1(VALU_DEP_2)
	v_add_f64_e64 v[1:2], v[117:118], -v[1:2]
	v_add_f64_e64 v[3:4], v[119:120], -v[3:4]
	scratch_store_b128 off, v[1:4], off offset:128
	v_cmpx_lt_u32_e32 6, v0
	s_cbranch_execz .LBB31_193
; %bb.192:
	scratch_load_b128 v[1:4], off, s38
	v_mov_b32_e32 v6, 0
	s_delay_alu instid0(VALU_DEP_1)
	v_dual_mov_b32 v7, v6 :: v_dual_mov_b32 v8, v6
	v_mov_b32_e32 v9, v6
	scratch_store_b128 off, v[6:9], off offset:112
	s_wait_loadcnt 0x0
	ds_store_b128 v5, v[1:4]
.LBB31_193:
	s_wait_alu 0xfffe
	s_or_b32 exec_lo, exec_lo, s0
	s_wait_storecnt_dscnt 0x0
	s_barrier_signal -1
	s_barrier_wait -1
	global_inv scope:SCOPE_SE
	s_clause 0x7
	scratch_load_b128 v[6:9], off, off offset:128
	scratch_load_b128 v[77:80], off, off offset:144
	;; [unrolled: 1-line block ×8, first 2 shown]
	v_mov_b32_e32 v1, 0
	s_mov_b32 s0, exec_lo
	ds_load_b128 v[105:108], v1 offset:624
	s_clause 0x1
	scratch_load_b128 v[109:112], off, off offset:256
	scratch_load_b128 v[113:116], off, off offset:112
	ds_load_b128 v[117:120], v1 offset:640
	ds_load_b128 v[125:128], v1 offset:672
	s_wait_loadcnt_dscnt 0x902
	v_mul_f64_e32 v[2:3], v[107:108], v[8:9]
	v_mul_f64_e32 v[121:122], v[105:106], v[8:9]
	scratch_load_b128 v[8:11], off, off offset:272
	v_fma_f64 v[2:3], v[105:106], v[6:7], -v[2:3]
	v_fma_f64 v[6:7], v[107:108], v[6:7], v[121:122]
	ds_load_b128 v[105:108], v1 offset:656
	s_wait_loadcnt_dscnt 0x902
	v_mul_f64_e32 v[129:130], v[117:118], v[79:80]
	v_mul_f64_e32 v[79:80], v[119:120], v[79:80]
	scratch_load_b128 v[121:124], off, off offset:288
	s_wait_loadcnt_dscnt 0x900
	v_mul_f64_e32 v[131:132], v[105:106], v[83:84]
	v_mul_f64_e32 v[83:84], v[107:108], v[83:84]
	v_add_f64_e32 v[2:3], 0, v[2:3]
	v_add_f64_e32 v[6:7], 0, v[6:7]
	v_fma_f64 v[119:120], v[119:120], v[77:78], v[129:130]
	v_fma_f64 v[117:118], v[117:118], v[77:78], -v[79:80]
	scratch_load_b128 v[77:80], off, off offset:304
	v_fma_f64 v[131:132], v[107:108], v[81:82], v[131:132]
	v_fma_f64 v[133:134], v[105:106], v[81:82], -v[83:84]
	ds_load_b128 v[81:84], v1 offset:688
	s_wait_loadcnt 0x9
	v_mul_f64_e32 v[129:130], v[125:126], v[87:88]
	v_mul_f64_e32 v[87:88], v[127:128], v[87:88]
	scratch_load_b128 v[105:108], off, off offset:320
	v_add_f64_e32 v[6:7], v[6:7], v[119:120]
	v_add_f64_e32 v[2:3], v[2:3], v[117:118]
	ds_load_b128 v[117:120], v1 offset:704
	s_wait_loadcnt_dscnt 0x901
	v_mul_f64_e32 v[135:136], v[81:82], v[91:92]
	v_mul_f64_e32 v[91:92], v[83:84], v[91:92]
	v_fma_f64 v[127:128], v[127:128], v[85:86], v[129:130]
	v_fma_f64 v[125:126], v[125:126], v[85:86], -v[87:88]
	scratch_load_b128 v[85:88], off, off offset:336
	v_add_f64_e32 v[6:7], v[6:7], v[131:132]
	v_add_f64_e32 v[2:3], v[2:3], v[133:134]
	v_fma_f64 v[131:132], v[83:84], v[89:90], v[135:136]
	v_fma_f64 v[133:134], v[81:82], v[89:90], -v[91:92]
	ds_load_b128 v[81:84], v1 offset:720
	s_wait_loadcnt_dscnt 0x901
	v_mul_f64_e32 v[129:130], v[117:118], v[95:96]
	v_mul_f64_e32 v[95:96], v[119:120], v[95:96]
	scratch_load_b128 v[89:92], off, off offset:352
	s_wait_loadcnt_dscnt 0x900
	v_mul_f64_e32 v[135:136], v[81:82], v[99:100]
	v_mul_f64_e32 v[99:100], v[83:84], v[99:100]
	v_add_f64_e32 v[6:7], v[6:7], v[127:128]
	v_add_f64_e32 v[2:3], v[2:3], v[125:126]
	ds_load_b128 v[125:128], v1 offset:736
	v_fma_f64 v[119:120], v[119:120], v[93:94], v[129:130]
	v_fma_f64 v[117:118], v[117:118], v[93:94], -v[95:96]
	scratch_load_b128 v[93:96], off, off offset:368
	v_add_f64_e32 v[6:7], v[6:7], v[131:132]
	v_add_f64_e32 v[2:3], v[2:3], v[133:134]
	v_fma_f64 v[131:132], v[83:84], v[97:98], v[135:136]
	v_fma_f64 v[133:134], v[81:82], v[97:98], -v[99:100]
	ds_load_b128 v[81:84], v1 offset:752
	s_wait_loadcnt_dscnt 0x901
	v_mul_f64_e32 v[129:130], v[125:126], v[103:104]
	v_mul_f64_e32 v[103:104], v[127:128], v[103:104]
	scratch_load_b128 v[97:100], off, off offset:384
	s_wait_loadcnt_dscnt 0x900
	v_mul_f64_e32 v[135:136], v[81:82], v[111:112]
	v_mul_f64_e32 v[111:112], v[83:84], v[111:112]
	v_add_f64_e32 v[6:7], v[6:7], v[119:120]
	v_add_f64_e32 v[2:3], v[2:3], v[117:118]
	ds_load_b128 v[117:120], v1 offset:768
	v_fma_f64 v[127:128], v[127:128], v[101:102], v[129:130]
	v_fma_f64 v[125:126], v[125:126], v[101:102], -v[103:104]
	scratch_load_b128 v[101:104], off, off offset:400
	v_add_f64_e32 v[6:7], v[6:7], v[131:132]
	v_add_f64_e32 v[2:3], v[2:3], v[133:134]
	v_fma_f64 v[131:132], v[83:84], v[109:110], v[135:136]
	v_fma_f64 v[133:134], v[81:82], v[109:110], -v[111:112]
	ds_load_b128 v[81:84], v1 offset:784
	scratch_load_b128 v[109:112], off, off offset:416
	s_wait_loadcnt_dscnt 0x901
	v_mul_f64_e32 v[129:130], v[117:118], v[10:11]
	v_mul_f64_e32 v[10:11], v[119:120], v[10:11]
	v_add_f64_e32 v[6:7], v[6:7], v[127:128]
	v_add_f64_e32 v[2:3], v[2:3], v[125:126]
	ds_load_b128 v[125:128], v1 offset:800
	v_fma_f64 v[119:120], v[119:120], v[8:9], v[129:130]
	v_fma_f64 v[10:11], v[117:118], v[8:9], -v[10:11]
	s_wait_loadcnt_dscnt 0x801
	v_mul_f64_e32 v[135:136], v[81:82], v[123:124]
	v_mul_f64_e32 v[123:124], v[83:84], v[123:124]
	v_add_f64_e32 v[117:118], v[6:7], v[131:132]
	v_add_f64_e32 v[2:3], v[2:3], v[133:134]
	scratch_load_b128 v[6:9], off, off offset:432
	v_fma_f64 v[83:84], v[83:84], v[121:122], v[135:136]
	v_fma_f64 v[133:134], v[81:82], v[121:122], -v[123:124]
	ds_load_b128 v[121:124], v1 offset:832
	s_wait_loadcnt_dscnt 0x801
	v_mul_f64_e32 v[129:130], v[125:126], v[79:80]
	v_mul_f64_e32 v[131:132], v[127:128], v[79:80]
	ds_load_b128 v[79:82], v1 offset:816
	v_add_f64_e32 v[2:3], v[2:3], v[10:11]
	v_add_f64_e32 v[10:11], v[117:118], v[119:120]
	scratch_load_b128 v[117:120], off, off offset:448
	s_wait_loadcnt_dscnt 0x800
	v_mul_f64_e32 v[135:136], v[79:80], v[107:108]
	v_mul_f64_e32 v[107:108], v[81:82], v[107:108]
	v_fma_f64 v[129:130], v[127:128], v[77:78], v[129:130]
	v_fma_f64 v[77:78], v[125:126], v[77:78], -v[131:132]
	scratch_load_b128 v[125:128], off, off offset:464
	v_add_f64_e32 v[2:3], v[2:3], v[133:134]
	v_add_f64_e32 v[10:11], v[10:11], v[83:84]
	s_wait_loadcnt 0x8
	v_mul_f64_e32 v[131:132], v[121:122], v[87:88]
	v_mul_f64_e32 v[87:88], v[123:124], v[87:88]
	v_fma_f64 v[133:134], v[81:82], v[105:106], v[135:136]
	v_fma_f64 v[135:136], v[79:80], v[105:106], -v[107:108]
	scratch_load_b128 v[81:84], off, off offset:480
	ds_load_b128 v[105:108], v1 offset:864
	v_add_f64_e32 v[2:3], v[2:3], v[77:78]
	v_add_f64_e32 v[10:11], v[10:11], v[129:130]
	ds_load_b128 v[77:80], v1 offset:848
	v_fma_f64 v[123:124], v[123:124], v[85:86], v[131:132]
	v_fma_f64 v[121:122], v[121:122], v[85:86], -v[87:88]
	scratch_load_b128 v[85:88], off, off offset:496
	s_wait_loadcnt_dscnt 0x900
	v_mul_f64_e32 v[129:130], v[77:78], v[91:92]
	v_mul_f64_e32 v[91:92], v[79:80], v[91:92]
	s_wait_loadcnt 0x8
	v_mul_f64_e32 v[131:132], v[105:106], v[95:96]
	v_mul_f64_e32 v[95:96], v[107:108], v[95:96]
	v_add_f64_e32 v[2:3], v[2:3], v[135:136]
	v_add_f64_e32 v[10:11], v[10:11], v[133:134]
	v_fma_f64 v[129:130], v[79:80], v[89:90], v[129:130]
	v_fma_f64 v[133:134], v[77:78], v[89:90], -v[91:92]
	ds_load_b128 v[77:80], v1 offset:880
	scratch_load_b128 v[89:92], off, off offset:512
	v_fma_f64 v[107:108], v[107:108], v[93:94], v[131:132]
	v_fma_f64 v[93:94], v[105:106], v[93:94], -v[95:96]
	v_add_f64_e32 v[2:3], v[2:3], v[121:122]
	v_add_f64_e32 v[10:11], v[10:11], v[123:124]
	ds_load_b128 v[121:124], v1 offset:896
	s_wait_loadcnt_dscnt 0x801
	v_mul_f64_e32 v[135:136], v[77:78], v[99:100]
	v_mul_f64_e32 v[99:100], v[79:80], v[99:100]
	s_wait_loadcnt_dscnt 0x700
	v_mul_f64_e32 v[105:106], v[121:122], v[103:104]
	v_mul_f64_e32 v[103:104], v[123:124], v[103:104]
	v_add_f64_e32 v[2:3], v[2:3], v[133:134]
	v_add_f64_e32 v[10:11], v[10:11], v[129:130]
	v_fma_f64 v[129:130], v[79:80], v[97:98], v[135:136]
	v_fma_f64 v[97:98], v[77:78], v[97:98], -v[99:100]
	v_fma_f64 v[105:106], v[123:124], v[101:102], v[105:106]
	v_fma_f64 v[101:102], v[121:122], v[101:102], -v[103:104]
	v_add_f64_e32 v[2:3], v[2:3], v[93:94]
	v_add_f64_e32 v[10:11], v[10:11], v[107:108]
	ds_load_b128 v[77:80], v1 offset:912
	ds_load_b128 v[93:96], v1 offset:928
	s_wait_loadcnt_dscnt 0x601
	v_mul_f64_e32 v[99:100], v[77:78], v[111:112]
	v_mul_f64_e32 v[107:108], v[79:80], v[111:112]
	v_add_f64_e32 v[2:3], v[2:3], v[97:98]
	v_add_f64_e32 v[10:11], v[10:11], v[129:130]
	s_wait_loadcnt_dscnt 0x500
	v_mul_f64_e32 v[97:98], v[93:94], v[8:9]
	v_mul_f64_e32 v[103:104], v[95:96], v[8:9]
	v_fma_f64 v[99:100], v[79:80], v[109:110], v[99:100]
	v_fma_f64 v[107:108], v[77:78], v[109:110], -v[107:108]
	v_add_f64_e32 v[2:3], v[2:3], v[101:102]
	v_add_f64_e32 v[101:102], v[10:11], v[105:106]
	ds_load_b128 v[8:11], v1 offset:944
	ds_load_b128 v[77:80], v1 offset:960
	v_fma_f64 v[95:96], v[95:96], v[6:7], v[97:98]
	v_fma_f64 v[6:7], v[93:94], v[6:7], -v[103:104]
	s_wait_loadcnt_dscnt 0x401
	v_mul_f64_e32 v[105:106], v[8:9], v[119:120]
	v_mul_f64_e32 v[109:110], v[10:11], v[119:120]
	s_wait_loadcnt_dscnt 0x300
	v_mul_f64_e32 v[97:98], v[77:78], v[127:128]
	v_add_f64_e32 v[2:3], v[2:3], v[107:108]
	v_add_f64_e32 v[93:94], v[101:102], v[99:100]
	v_mul_f64_e32 v[99:100], v[79:80], v[127:128]
	v_fma_f64 v[10:11], v[10:11], v[117:118], v[105:106]
	v_fma_f64 v[101:102], v[8:9], v[117:118], -v[109:110]
	v_fma_f64 v[79:80], v[79:80], v[125:126], v[97:98]
	v_add_f64_e32 v[2:3], v[2:3], v[6:7]
	v_add_f64_e32 v[103:104], v[93:94], v[95:96]
	ds_load_b128 v[6:9], v1 offset:976
	ds_load_b128 v[93:96], v1 offset:992
	v_fma_f64 v[77:78], v[77:78], v[125:126], -v[99:100]
	s_wait_loadcnt_dscnt 0x201
	v_mul_f64_e32 v[105:106], v[6:7], v[83:84]
	v_mul_f64_e32 v[83:84], v[8:9], v[83:84]
	s_wait_loadcnt_dscnt 0x100
	v_mul_f64_e32 v[97:98], v[93:94], v[87:88]
	v_mul_f64_e32 v[87:88], v[95:96], v[87:88]
	v_add_f64_e32 v[2:3], v[2:3], v[101:102]
	v_add_f64_e32 v[10:11], v[103:104], v[10:11]
	v_fma_f64 v[99:100], v[8:9], v[81:82], v[105:106]
	v_fma_f64 v[81:82], v[6:7], v[81:82], -v[83:84]
	ds_load_b128 v[6:9], v1 offset:1008
	v_fma_f64 v[83:84], v[95:96], v[85:86], v[97:98]
	v_fma_f64 v[85:86], v[93:94], v[85:86], -v[87:88]
	v_add_f64_e32 v[2:3], v[2:3], v[77:78]
	v_add_f64_e32 v[10:11], v[10:11], v[79:80]
	s_wait_loadcnt_dscnt 0x0
	v_mul_f64_e32 v[77:78], v[6:7], v[91:92]
	v_mul_f64_e32 v[79:80], v[8:9], v[91:92]
	s_delay_alu instid0(VALU_DEP_4) | instskip(NEXT) | instid1(VALU_DEP_4)
	v_add_f64_e32 v[2:3], v[2:3], v[81:82]
	v_add_f64_e32 v[10:11], v[10:11], v[99:100]
	s_delay_alu instid0(VALU_DEP_4) | instskip(NEXT) | instid1(VALU_DEP_4)
	v_fma_f64 v[8:9], v[8:9], v[89:90], v[77:78]
	v_fma_f64 v[6:7], v[6:7], v[89:90], -v[79:80]
	s_delay_alu instid0(VALU_DEP_4) | instskip(NEXT) | instid1(VALU_DEP_4)
	v_add_f64_e32 v[2:3], v[2:3], v[85:86]
	v_add_f64_e32 v[10:11], v[10:11], v[83:84]
	s_delay_alu instid0(VALU_DEP_2) | instskip(NEXT) | instid1(VALU_DEP_2)
	v_add_f64_e32 v[2:3], v[2:3], v[6:7]
	v_add_f64_e32 v[8:9], v[10:11], v[8:9]
	s_delay_alu instid0(VALU_DEP_2) | instskip(NEXT) | instid1(VALU_DEP_2)
	v_add_f64_e64 v[6:7], v[113:114], -v[2:3]
	v_add_f64_e64 v[8:9], v[115:116], -v[8:9]
	scratch_store_b128 off, v[6:9], off offset:112
	v_cmpx_lt_u32_e32 5, v0
	s_cbranch_execz .LBB31_195
; %bb.194:
	scratch_load_b128 v[6:9], off, s39
	v_dual_mov_b32 v2, v1 :: v_dual_mov_b32 v3, v1
	v_mov_b32_e32 v4, v1
	scratch_store_b128 off, v[1:4], off offset:96
	s_wait_loadcnt 0x0
	ds_store_b128 v5, v[6:9]
.LBB31_195:
	s_wait_alu 0xfffe
	s_or_b32 exec_lo, exec_lo, s0
	s_wait_storecnt_dscnt 0x0
	s_barrier_signal -1
	s_barrier_wait -1
	global_inv scope:SCOPE_SE
	s_clause 0x8
	scratch_load_b128 v[6:9], off, off offset:112
	scratch_load_b128 v[77:80], off, off offset:128
	;; [unrolled: 1-line block ×9, first 2 shown]
	ds_load_b128 v[109:112], v1 offset:608
	ds_load_b128 v[113:116], v1 offset:624
	scratch_load_b128 v[117:120], off, off offset:96
	s_mov_b32 s0, exec_lo
	ds_load_b128 v[125:128], v1 offset:656
	s_wait_loadcnt_dscnt 0x902
	v_mul_f64_e32 v[2:3], v[111:112], v[8:9]
	v_mul_f64_e32 v[121:122], v[109:110], v[8:9]
	scratch_load_b128 v[8:11], off, off offset:256
	s_wait_loadcnt_dscnt 0x901
	v_mul_f64_e32 v[129:130], v[113:114], v[79:80]
	v_mul_f64_e32 v[79:80], v[115:116], v[79:80]
	v_fma_f64 v[2:3], v[109:110], v[6:7], -v[2:3]
	v_fma_f64 v[6:7], v[111:112], v[6:7], v[121:122]
	ds_load_b128 v[109:112], v1 offset:640
	scratch_load_b128 v[121:124], off, off offset:272
	v_fma_f64 v[115:116], v[115:116], v[77:78], v[129:130]
	v_fma_f64 v[113:114], v[113:114], v[77:78], -v[79:80]
	scratch_load_b128 v[77:80], off, off offset:288
	s_wait_loadcnt_dscnt 0x901
	v_mul_f64_e32 v[129:130], v[125:126], v[87:88]
	v_mul_f64_e32 v[87:88], v[127:128], v[87:88]
	s_wait_dscnt 0x0
	v_mul_f64_e32 v[131:132], v[109:110], v[83:84]
	v_mul_f64_e32 v[83:84], v[111:112], v[83:84]
	v_add_f64_e32 v[2:3], 0, v[2:3]
	v_add_f64_e32 v[6:7], 0, v[6:7]
	v_fma_f64 v[127:128], v[127:128], v[85:86], v[129:130]
	v_fma_f64 v[125:126], v[125:126], v[85:86], -v[87:88]
	scratch_load_b128 v[85:88], off, off offset:320
	v_fma_f64 v[131:132], v[111:112], v[81:82], v[131:132]
	v_fma_f64 v[133:134], v[109:110], v[81:82], -v[83:84]
	ds_load_b128 v[81:84], v1 offset:672
	scratch_load_b128 v[109:112], off, off offset:304
	v_add_f64_e32 v[2:3], v[2:3], v[113:114]
	v_add_f64_e32 v[6:7], v[6:7], v[115:116]
	ds_load_b128 v[113:116], v1 offset:688
	s_wait_loadcnt_dscnt 0xa01
	v_mul_f64_e32 v[135:136], v[81:82], v[91:92]
	v_mul_f64_e32 v[91:92], v[83:84], v[91:92]
	s_wait_loadcnt_dscnt 0x900
	v_mul_f64_e32 v[129:130], v[113:114], v[95:96]
	v_mul_f64_e32 v[95:96], v[115:116], v[95:96]
	v_add_f64_e32 v[2:3], v[2:3], v[133:134]
	v_add_f64_e32 v[6:7], v[6:7], v[131:132]
	v_fma_f64 v[131:132], v[83:84], v[89:90], v[135:136]
	v_fma_f64 v[133:134], v[81:82], v[89:90], -v[91:92]
	ds_load_b128 v[81:84], v1 offset:704
	scratch_load_b128 v[89:92], off, off offset:336
	v_fma_f64 v[115:116], v[115:116], v[93:94], v[129:130]
	v_fma_f64 v[113:114], v[113:114], v[93:94], -v[95:96]
	scratch_load_b128 v[93:96], off, off offset:352
	v_add_f64_e32 v[2:3], v[2:3], v[125:126]
	v_add_f64_e32 v[6:7], v[6:7], v[127:128]
	ds_load_b128 v[125:128], v1 offset:720
	s_wait_loadcnt_dscnt 0xa01
	v_mul_f64_e32 v[135:136], v[81:82], v[99:100]
	v_mul_f64_e32 v[99:100], v[83:84], v[99:100]
	s_wait_loadcnt_dscnt 0x900
	v_mul_f64_e32 v[129:130], v[125:126], v[103:104]
	v_mul_f64_e32 v[103:104], v[127:128], v[103:104]
	v_add_f64_e32 v[2:3], v[2:3], v[133:134]
	v_add_f64_e32 v[6:7], v[6:7], v[131:132]
	v_fma_f64 v[131:132], v[83:84], v[97:98], v[135:136]
	v_fma_f64 v[133:134], v[81:82], v[97:98], -v[99:100]
	ds_load_b128 v[81:84], v1 offset:736
	scratch_load_b128 v[97:100], off, off offset:368
	v_fma_f64 v[127:128], v[127:128], v[101:102], v[129:130]
	v_fma_f64 v[125:126], v[125:126], v[101:102], -v[103:104]
	scratch_load_b128 v[101:104], off, off offset:384
	v_add_f64_e32 v[2:3], v[2:3], v[113:114]
	v_add_f64_e32 v[6:7], v[6:7], v[115:116]
	ds_load_b128 v[113:116], v1 offset:752
	s_wait_loadcnt_dscnt 0xa01
	v_mul_f64_e32 v[135:136], v[81:82], v[107:108]
	v_mul_f64_e32 v[107:108], v[83:84], v[107:108]
	v_add_f64_e32 v[2:3], v[2:3], v[133:134]
	v_add_f64_e32 v[6:7], v[6:7], v[131:132]
	s_delay_alu instid0(VALU_DEP_4) | instskip(NEXT) | instid1(VALU_DEP_4)
	v_fma_f64 v[131:132], v[83:84], v[105:106], v[135:136]
	v_fma_f64 v[133:134], v[81:82], v[105:106], -v[107:108]
	ds_load_b128 v[81:84], v1 offset:768
	scratch_load_b128 v[105:108], off, off offset:400
	s_wait_loadcnt_dscnt 0x901
	v_mul_f64_e32 v[129:130], v[113:114], v[10:11]
	v_mul_f64_e32 v[10:11], v[115:116], v[10:11]
	v_add_f64_e32 v[2:3], v[2:3], v[125:126]
	v_add_f64_e32 v[6:7], v[6:7], v[127:128]
	ds_load_b128 v[125:128], v1 offset:784
	v_fma_f64 v[115:116], v[115:116], v[8:9], v[129:130]
	s_wait_loadcnt_dscnt 0x801
	v_mul_f64_e32 v[135:136], v[81:82], v[123:124]
	v_mul_f64_e32 v[123:124], v[83:84], v[123:124]
	v_fma_f64 v[10:11], v[113:114], v[8:9], -v[10:11]
	s_wait_loadcnt_dscnt 0x700
	v_mul_f64_e32 v[129:130], v[125:126], v[79:80]
	v_add_f64_e32 v[2:3], v[2:3], v[133:134]
	v_add_f64_e32 v[113:114], v[6:7], v[131:132]
	scratch_load_b128 v[6:9], off, off offset:416
	v_mul_f64_e32 v[131:132], v[127:128], v[79:80]
	v_fma_f64 v[83:84], v[83:84], v[121:122], v[135:136]
	v_fma_f64 v[133:134], v[81:82], v[121:122], -v[123:124]
	ds_load_b128 v[79:82], v1 offset:800
	ds_load_b128 v[121:124], v1 offset:816
	v_fma_f64 v[129:130], v[127:128], v[77:78], v[129:130]
	v_add_f64_e32 v[2:3], v[2:3], v[10:11]
	v_add_f64_e32 v[10:11], v[113:114], v[115:116]
	scratch_load_b128 v[113:116], off, off offset:432
	s_wait_loadcnt_dscnt 0x701
	v_mul_f64_e32 v[135:136], v[79:80], v[111:112]
	v_mul_f64_e32 v[111:112], v[81:82], v[111:112]
	v_fma_f64 v[77:78], v[125:126], v[77:78], -v[131:132]
	scratch_load_b128 v[125:128], off, off offset:448
	s_wait_dscnt 0x0
	v_mul_f64_e32 v[131:132], v[121:122], v[87:88]
	v_mul_f64_e32 v[87:88], v[123:124], v[87:88]
	v_add_f64_e32 v[2:3], v[2:3], v[133:134]
	v_add_f64_e32 v[10:11], v[10:11], v[83:84]
	v_fma_f64 v[133:134], v[81:82], v[109:110], v[135:136]
	v_fma_f64 v[135:136], v[79:80], v[109:110], -v[111:112]
	scratch_load_b128 v[81:84], off, off offset:464
	ds_load_b128 v[109:112], v1 offset:848
	v_fma_f64 v[123:124], v[123:124], v[85:86], v[131:132]
	v_fma_f64 v[121:122], v[121:122], v[85:86], -v[87:88]
	scratch_load_b128 v[85:88], off, off offset:480
	v_add_f64_e32 v[2:3], v[2:3], v[77:78]
	v_add_f64_e32 v[10:11], v[10:11], v[129:130]
	ds_load_b128 v[77:80], v1 offset:832
	s_wait_loadcnt_dscnt 0x801
	v_mul_f64_e32 v[131:132], v[109:110], v[95:96]
	v_mul_f64_e32 v[95:96], v[111:112], v[95:96]
	s_wait_dscnt 0x0
	v_mul_f64_e32 v[129:130], v[77:78], v[91:92]
	v_mul_f64_e32 v[91:92], v[79:80], v[91:92]
	v_add_f64_e32 v[2:3], v[2:3], v[135:136]
	v_add_f64_e32 v[10:11], v[10:11], v[133:134]
	v_fma_f64 v[111:112], v[111:112], v[93:94], v[131:132]
	v_fma_f64 v[109:110], v[109:110], v[93:94], -v[95:96]
	scratch_load_b128 v[93:96], off, off offset:512
	v_fma_f64 v[129:130], v[79:80], v[89:90], v[129:130]
	v_fma_f64 v[133:134], v[77:78], v[89:90], -v[91:92]
	ds_load_b128 v[77:80], v1 offset:864
	scratch_load_b128 v[89:92], off, off offset:496
	v_add_f64_e32 v[2:3], v[2:3], v[121:122]
	v_add_f64_e32 v[10:11], v[10:11], v[123:124]
	ds_load_b128 v[121:124], v1 offset:880
	s_wait_loadcnt_dscnt 0x901
	v_mul_f64_e32 v[135:136], v[77:78], v[99:100]
	v_mul_f64_e32 v[99:100], v[79:80], v[99:100]
	v_add_f64_e32 v[2:3], v[2:3], v[133:134]
	v_add_f64_e32 v[10:11], v[10:11], v[129:130]
	s_wait_loadcnt_dscnt 0x800
	v_mul_f64_e32 v[129:130], v[121:122], v[103:104]
	v_mul_f64_e32 v[103:104], v[123:124], v[103:104]
	v_fma_f64 v[131:132], v[79:80], v[97:98], v[135:136]
	v_fma_f64 v[133:134], v[77:78], v[97:98], -v[99:100]
	ds_load_b128 v[77:80], v1 offset:896
	ds_load_b128 v[97:100], v1 offset:912
	v_add_f64_e32 v[2:3], v[2:3], v[109:110]
	v_add_f64_e32 v[10:11], v[10:11], v[111:112]
	s_wait_loadcnt_dscnt 0x701
	v_mul_f64_e32 v[109:110], v[77:78], v[107:108]
	v_mul_f64_e32 v[107:108], v[79:80], v[107:108]
	v_fma_f64 v[111:112], v[123:124], v[101:102], v[129:130]
	v_fma_f64 v[101:102], v[121:122], v[101:102], -v[103:104]
	v_add_f64_e32 v[2:3], v[2:3], v[133:134]
	v_add_f64_e32 v[10:11], v[10:11], v[131:132]
	v_fma_f64 v[109:110], v[79:80], v[105:106], v[109:110]
	v_fma_f64 v[105:106], v[77:78], v[105:106], -v[107:108]
	s_wait_loadcnt_dscnt 0x600
	v_mul_f64_e32 v[103:104], v[97:98], v[8:9]
	v_mul_f64_e32 v[121:122], v[99:100], v[8:9]
	v_add_f64_e32 v[2:3], v[2:3], v[101:102]
	v_add_f64_e32 v[101:102], v[10:11], v[111:112]
	ds_load_b128 v[8:11], v1 offset:928
	ds_load_b128 v[77:80], v1 offset:944
	v_fma_f64 v[99:100], v[99:100], v[6:7], v[103:104]
	v_fma_f64 v[6:7], v[97:98], v[6:7], -v[121:122]
	s_wait_loadcnt_dscnt 0x501
	v_mul_f64_e32 v[107:108], v[8:9], v[115:116]
	v_mul_f64_e32 v[111:112], v[10:11], v[115:116]
	s_wait_loadcnt_dscnt 0x400
	v_mul_f64_e32 v[103:104], v[79:80], v[127:128]
	v_add_f64_e32 v[2:3], v[2:3], v[105:106]
	v_add_f64_e32 v[97:98], v[101:102], v[109:110]
	v_mul_f64_e32 v[101:102], v[77:78], v[127:128]
	v_fma_f64 v[10:11], v[10:11], v[113:114], v[107:108]
	v_fma_f64 v[105:106], v[8:9], v[113:114], -v[111:112]
	v_fma_f64 v[77:78], v[77:78], v[125:126], -v[103:104]
	v_add_f64_e32 v[2:3], v[2:3], v[6:7]
	v_add_f64_e32 v[107:108], v[97:98], v[99:100]
	ds_load_b128 v[6:9], v1 offset:960
	ds_load_b128 v[97:100], v1 offset:976
	v_fma_f64 v[79:80], v[79:80], v[125:126], v[101:102]
	s_wait_loadcnt_dscnt 0x301
	v_mul_f64_e32 v[109:110], v[6:7], v[83:84]
	v_mul_f64_e32 v[83:84], v[8:9], v[83:84]
	s_wait_loadcnt_dscnt 0x200
	v_mul_f64_e32 v[101:102], v[97:98], v[87:88]
	v_mul_f64_e32 v[87:88], v[99:100], v[87:88]
	v_add_f64_e32 v[2:3], v[2:3], v[105:106]
	v_add_f64_e32 v[10:11], v[107:108], v[10:11]
	v_fma_f64 v[103:104], v[8:9], v[81:82], v[109:110]
	v_fma_f64 v[81:82], v[6:7], v[81:82], -v[83:84]
	s_delay_alu instid0(VALU_DEP_4) | instskip(NEXT) | instid1(VALU_DEP_4)
	v_add_f64_e32 v[77:78], v[2:3], v[77:78]
	v_add_f64_e32 v[10:11], v[10:11], v[79:80]
	ds_load_b128 v[6:9], v1 offset:992
	ds_load_b128 v[1:4], v1 offset:1008
	s_wait_loadcnt_dscnt 0x1
	v_mul_f64_e32 v[79:80], v[6:7], v[91:92]
	v_mul_f64_e32 v[83:84], v[8:9], v[91:92]
	v_fma_f64 v[91:92], v[99:100], v[85:86], v[101:102]
	v_fma_f64 v[85:86], v[97:98], v[85:86], -v[87:88]
	s_wait_dscnt 0x0
	v_mul_f64_e32 v[87:88], v[3:4], v[95:96]
	v_add_f64_e32 v[77:78], v[77:78], v[81:82]
	v_add_f64_e32 v[10:11], v[10:11], v[103:104]
	v_mul_f64_e32 v[81:82], v[1:2], v[95:96]
	v_fma_f64 v[8:9], v[8:9], v[89:90], v[79:80]
	v_fma_f64 v[6:7], v[6:7], v[89:90], -v[83:84]
	v_fma_f64 v[1:2], v[1:2], v[93:94], -v[87:88]
	v_add_f64_e32 v[77:78], v[77:78], v[85:86]
	v_add_f64_e32 v[10:11], v[10:11], v[91:92]
	v_fma_f64 v[3:4], v[3:4], v[93:94], v[81:82]
	s_delay_alu instid0(VALU_DEP_3) | instskip(NEXT) | instid1(VALU_DEP_3)
	v_add_f64_e32 v[6:7], v[77:78], v[6:7]
	v_add_f64_e32 v[8:9], v[10:11], v[8:9]
	s_delay_alu instid0(VALU_DEP_2) | instskip(NEXT) | instid1(VALU_DEP_2)
	v_add_f64_e32 v[1:2], v[6:7], v[1:2]
	v_add_f64_e32 v[3:4], v[8:9], v[3:4]
	s_delay_alu instid0(VALU_DEP_2) | instskip(NEXT) | instid1(VALU_DEP_2)
	v_add_f64_e64 v[1:2], v[117:118], -v[1:2]
	v_add_f64_e64 v[3:4], v[119:120], -v[3:4]
	scratch_store_b128 off, v[1:4], off offset:96
	v_cmpx_lt_u32_e32 4, v0
	s_cbranch_execz .LBB31_197
; %bb.196:
	scratch_load_b128 v[1:4], off, s23
	v_mov_b32_e32 v6, 0
	s_delay_alu instid0(VALU_DEP_1)
	v_dual_mov_b32 v7, v6 :: v_dual_mov_b32 v8, v6
	v_mov_b32_e32 v9, v6
	scratch_store_b128 off, v[6:9], off offset:80
	s_wait_loadcnt 0x0
	ds_store_b128 v5, v[1:4]
.LBB31_197:
	s_wait_alu 0xfffe
	s_or_b32 exec_lo, exec_lo, s0
	s_wait_storecnt_dscnt 0x0
	s_barrier_signal -1
	s_barrier_wait -1
	global_inv scope:SCOPE_SE
	s_clause 0x7
	scratch_load_b128 v[6:9], off, off offset:96
	scratch_load_b128 v[77:80], off, off offset:112
	;; [unrolled: 1-line block ×8, first 2 shown]
	v_mov_b32_e32 v1, 0
	s_mov_b32 s0, exec_lo
	ds_load_b128 v[105:108], v1 offset:592
	s_clause 0x1
	scratch_load_b128 v[109:112], off, off offset:224
	scratch_load_b128 v[113:116], off, off offset:80
	ds_load_b128 v[117:120], v1 offset:608
	ds_load_b128 v[125:128], v1 offset:640
	s_wait_loadcnt_dscnt 0x902
	v_mul_f64_e32 v[2:3], v[107:108], v[8:9]
	v_mul_f64_e32 v[121:122], v[105:106], v[8:9]
	scratch_load_b128 v[8:11], off, off offset:240
	v_fma_f64 v[2:3], v[105:106], v[6:7], -v[2:3]
	v_fma_f64 v[6:7], v[107:108], v[6:7], v[121:122]
	ds_load_b128 v[105:108], v1 offset:624
	s_wait_loadcnt_dscnt 0x902
	v_mul_f64_e32 v[129:130], v[117:118], v[79:80]
	v_mul_f64_e32 v[79:80], v[119:120], v[79:80]
	scratch_load_b128 v[121:124], off, off offset:256
	s_wait_loadcnt_dscnt 0x900
	v_mul_f64_e32 v[131:132], v[105:106], v[83:84]
	v_mul_f64_e32 v[83:84], v[107:108], v[83:84]
	v_add_f64_e32 v[2:3], 0, v[2:3]
	v_add_f64_e32 v[6:7], 0, v[6:7]
	v_fma_f64 v[119:120], v[119:120], v[77:78], v[129:130]
	v_fma_f64 v[117:118], v[117:118], v[77:78], -v[79:80]
	scratch_load_b128 v[77:80], off, off offset:272
	v_fma_f64 v[131:132], v[107:108], v[81:82], v[131:132]
	v_fma_f64 v[133:134], v[105:106], v[81:82], -v[83:84]
	ds_load_b128 v[81:84], v1 offset:656
	s_wait_loadcnt 0x9
	v_mul_f64_e32 v[129:130], v[125:126], v[87:88]
	v_mul_f64_e32 v[87:88], v[127:128], v[87:88]
	scratch_load_b128 v[105:108], off, off offset:288
	v_add_f64_e32 v[6:7], v[6:7], v[119:120]
	v_add_f64_e32 v[2:3], v[2:3], v[117:118]
	ds_load_b128 v[117:120], v1 offset:672
	s_wait_loadcnt_dscnt 0x901
	v_mul_f64_e32 v[135:136], v[81:82], v[91:92]
	v_mul_f64_e32 v[91:92], v[83:84], v[91:92]
	v_fma_f64 v[127:128], v[127:128], v[85:86], v[129:130]
	v_fma_f64 v[125:126], v[125:126], v[85:86], -v[87:88]
	scratch_load_b128 v[85:88], off, off offset:304
	v_add_f64_e32 v[6:7], v[6:7], v[131:132]
	v_add_f64_e32 v[2:3], v[2:3], v[133:134]
	v_fma_f64 v[131:132], v[83:84], v[89:90], v[135:136]
	v_fma_f64 v[133:134], v[81:82], v[89:90], -v[91:92]
	ds_load_b128 v[81:84], v1 offset:688
	s_wait_loadcnt_dscnt 0x901
	v_mul_f64_e32 v[129:130], v[117:118], v[95:96]
	v_mul_f64_e32 v[95:96], v[119:120], v[95:96]
	scratch_load_b128 v[89:92], off, off offset:320
	s_wait_loadcnt_dscnt 0x900
	v_mul_f64_e32 v[135:136], v[81:82], v[99:100]
	v_mul_f64_e32 v[99:100], v[83:84], v[99:100]
	v_add_f64_e32 v[6:7], v[6:7], v[127:128]
	v_add_f64_e32 v[2:3], v[2:3], v[125:126]
	ds_load_b128 v[125:128], v1 offset:704
	v_fma_f64 v[119:120], v[119:120], v[93:94], v[129:130]
	v_fma_f64 v[117:118], v[117:118], v[93:94], -v[95:96]
	scratch_load_b128 v[93:96], off, off offset:336
	v_add_f64_e32 v[6:7], v[6:7], v[131:132]
	v_add_f64_e32 v[2:3], v[2:3], v[133:134]
	v_fma_f64 v[131:132], v[83:84], v[97:98], v[135:136]
	v_fma_f64 v[133:134], v[81:82], v[97:98], -v[99:100]
	ds_load_b128 v[81:84], v1 offset:720
	s_wait_loadcnt_dscnt 0x901
	v_mul_f64_e32 v[129:130], v[125:126], v[103:104]
	v_mul_f64_e32 v[103:104], v[127:128], v[103:104]
	scratch_load_b128 v[97:100], off, off offset:352
	s_wait_loadcnt_dscnt 0x900
	v_mul_f64_e32 v[135:136], v[81:82], v[111:112]
	v_mul_f64_e32 v[111:112], v[83:84], v[111:112]
	v_add_f64_e32 v[6:7], v[6:7], v[119:120]
	v_add_f64_e32 v[2:3], v[2:3], v[117:118]
	ds_load_b128 v[117:120], v1 offset:736
	v_fma_f64 v[127:128], v[127:128], v[101:102], v[129:130]
	v_fma_f64 v[125:126], v[125:126], v[101:102], -v[103:104]
	scratch_load_b128 v[101:104], off, off offset:368
	v_add_f64_e32 v[6:7], v[6:7], v[131:132]
	v_add_f64_e32 v[2:3], v[2:3], v[133:134]
	v_fma_f64 v[131:132], v[83:84], v[109:110], v[135:136]
	v_fma_f64 v[133:134], v[81:82], v[109:110], -v[111:112]
	ds_load_b128 v[81:84], v1 offset:752
	scratch_load_b128 v[109:112], off, off offset:384
	s_wait_loadcnt_dscnt 0x901
	v_mul_f64_e32 v[129:130], v[117:118], v[10:11]
	v_mul_f64_e32 v[10:11], v[119:120], v[10:11]
	v_add_f64_e32 v[6:7], v[6:7], v[127:128]
	v_add_f64_e32 v[2:3], v[2:3], v[125:126]
	ds_load_b128 v[125:128], v1 offset:768
	v_fma_f64 v[119:120], v[119:120], v[8:9], v[129:130]
	v_fma_f64 v[10:11], v[117:118], v[8:9], -v[10:11]
	s_wait_loadcnt_dscnt 0x801
	v_mul_f64_e32 v[135:136], v[81:82], v[123:124]
	v_mul_f64_e32 v[123:124], v[83:84], v[123:124]
	v_add_f64_e32 v[117:118], v[6:7], v[131:132]
	v_add_f64_e32 v[2:3], v[2:3], v[133:134]
	scratch_load_b128 v[6:9], off, off offset:400
	v_fma_f64 v[83:84], v[83:84], v[121:122], v[135:136]
	v_fma_f64 v[133:134], v[81:82], v[121:122], -v[123:124]
	ds_load_b128 v[121:124], v1 offset:800
	s_wait_loadcnt_dscnt 0x801
	v_mul_f64_e32 v[129:130], v[125:126], v[79:80]
	v_mul_f64_e32 v[131:132], v[127:128], v[79:80]
	ds_load_b128 v[79:82], v1 offset:784
	v_add_f64_e32 v[2:3], v[2:3], v[10:11]
	v_add_f64_e32 v[10:11], v[117:118], v[119:120]
	scratch_load_b128 v[117:120], off, off offset:416
	s_wait_loadcnt_dscnt 0x800
	v_mul_f64_e32 v[135:136], v[79:80], v[107:108]
	v_mul_f64_e32 v[107:108], v[81:82], v[107:108]
	v_fma_f64 v[129:130], v[127:128], v[77:78], v[129:130]
	v_fma_f64 v[77:78], v[125:126], v[77:78], -v[131:132]
	scratch_load_b128 v[125:128], off, off offset:432
	v_add_f64_e32 v[2:3], v[2:3], v[133:134]
	v_add_f64_e32 v[10:11], v[10:11], v[83:84]
	s_wait_loadcnt 0x8
	v_mul_f64_e32 v[131:132], v[121:122], v[87:88]
	v_mul_f64_e32 v[87:88], v[123:124], v[87:88]
	v_fma_f64 v[133:134], v[81:82], v[105:106], v[135:136]
	v_fma_f64 v[135:136], v[79:80], v[105:106], -v[107:108]
	scratch_load_b128 v[81:84], off, off offset:448
	ds_load_b128 v[105:108], v1 offset:832
	v_add_f64_e32 v[2:3], v[2:3], v[77:78]
	v_add_f64_e32 v[10:11], v[10:11], v[129:130]
	ds_load_b128 v[77:80], v1 offset:816
	v_fma_f64 v[123:124], v[123:124], v[85:86], v[131:132]
	v_fma_f64 v[121:122], v[121:122], v[85:86], -v[87:88]
	scratch_load_b128 v[85:88], off, off offset:464
	s_wait_loadcnt_dscnt 0x900
	v_mul_f64_e32 v[129:130], v[77:78], v[91:92]
	v_mul_f64_e32 v[91:92], v[79:80], v[91:92]
	s_wait_loadcnt 0x8
	v_mul_f64_e32 v[131:132], v[105:106], v[95:96]
	v_mul_f64_e32 v[95:96], v[107:108], v[95:96]
	v_add_f64_e32 v[2:3], v[2:3], v[135:136]
	v_add_f64_e32 v[10:11], v[10:11], v[133:134]
	v_fma_f64 v[129:130], v[79:80], v[89:90], v[129:130]
	v_fma_f64 v[133:134], v[77:78], v[89:90], -v[91:92]
	ds_load_b128 v[77:80], v1 offset:848
	scratch_load_b128 v[89:92], off, off offset:480
	v_fma_f64 v[107:108], v[107:108], v[93:94], v[131:132]
	v_fma_f64 v[105:106], v[105:106], v[93:94], -v[95:96]
	scratch_load_b128 v[93:96], off, off offset:496
	v_add_f64_e32 v[2:3], v[2:3], v[121:122]
	v_add_f64_e32 v[10:11], v[10:11], v[123:124]
	ds_load_b128 v[121:124], v1 offset:864
	s_wait_loadcnt_dscnt 0x901
	v_mul_f64_e32 v[135:136], v[77:78], v[99:100]
	v_mul_f64_e32 v[99:100], v[79:80], v[99:100]
	s_wait_loadcnt_dscnt 0x800
	v_mul_f64_e32 v[131:132], v[123:124], v[103:104]
	v_add_f64_e32 v[2:3], v[2:3], v[133:134]
	v_add_f64_e32 v[10:11], v[10:11], v[129:130]
	v_mul_f64_e32 v[129:130], v[121:122], v[103:104]
	v_fma_f64 v[133:134], v[79:80], v[97:98], v[135:136]
	v_fma_f64 v[135:136], v[77:78], v[97:98], -v[99:100]
	ds_load_b128 v[77:80], v1 offset:880
	scratch_load_b128 v[97:100], off, off offset:512
	v_add_f64_e32 v[2:3], v[2:3], v[105:106]
	v_add_f64_e32 v[10:11], v[10:11], v[107:108]
	ds_load_b128 v[103:106], v1 offset:896
	s_wait_loadcnt_dscnt 0x801
	v_mul_f64_e32 v[107:108], v[77:78], v[111:112]
	v_mul_f64_e32 v[111:112], v[79:80], v[111:112]
	v_fma_f64 v[123:124], v[123:124], v[101:102], v[129:130]
	v_fma_f64 v[101:102], v[121:122], v[101:102], -v[131:132]
	v_add_f64_e32 v[2:3], v[2:3], v[135:136]
	v_add_f64_e32 v[10:11], v[10:11], v[133:134]
	v_fma_f64 v[107:108], v[79:80], v[109:110], v[107:108]
	v_fma_f64 v[109:110], v[77:78], v[109:110], -v[111:112]
	s_wait_loadcnt_dscnt 0x700
	v_mul_f64_e32 v[121:122], v[103:104], v[8:9]
	v_mul_f64_e32 v[129:130], v[105:106], v[8:9]
	v_add_f64_e32 v[2:3], v[2:3], v[101:102]
	v_add_f64_e32 v[101:102], v[10:11], v[123:124]
	ds_load_b128 v[8:11], v1 offset:912
	ds_load_b128 v[77:80], v1 offset:928
	v_fma_f64 v[105:106], v[105:106], v[6:7], v[121:122]
	v_fma_f64 v[6:7], v[103:104], v[6:7], -v[129:130]
	s_wait_loadcnt_dscnt 0x601
	v_mul_f64_e32 v[111:112], v[8:9], v[119:120]
	v_mul_f64_e32 v[119:120], v[10:11], v[119:120]
	v_add_f64_e32 v[2:3], v[2:3], v[109:110]
	v_add_f64_e32 v[101:102], v[101:102], v[107:108]
	s_wait_loadcnt_dscnt 0x500
	v_mul_f64_e32 v[107:108], v[77:78], v[127:128]
	v_mul_f64_e32 v[109:110], v[79:80], v[127:128]
	v_fma_f64 v[10:11], v[10:11], v[117:118], v[111:112]
	v_fma_f64 v[111:112], v[8:9], v[117:118], -v[119:120]
	v_add_f64_e32 v[2:3], v[2:3], v[6:7]
	v_add_f64_e32 v[105:106], v[101:102], v[105:106]
	ds_load_b128 v[6:9], v1 offset:944
	ds_load_b128 v[101:104], v1 offset:960
	v_fma_f64 v[79:80], v[79:80], v[125:126], v[107:108]
	v_fma_f64 v[77:78], v[77:78], v[125:126], -v[109:110]
	s_wait_loadcnt_dscnt 0x401
	v_mul_f64_e32 v[117:118], v[6:7], v[83:84]
	v_mul_f64_e32 v[83:84], v[8:9], v[83:84]
	v_add_f64_e32 v[2:3], v[2:3], v[111:112]
	v_add_f64_e32 v[10:11], v[105:106], v[10:11]
	s_wait_loadcnt_dscnt 0x300
	v_mul_f64_e32 v[105:106], v[101:102], v[87:88]
	v_mul_f64_e32 v[87:88], v[103:104], v[87:88]
	v_fma_f64 v[107:108], v[8:9], v[81:82], v[117:118]
	v_fma_f64 v[81:82], v[6:7], v[81:82], -v[83:84]
	v_add_f64_e32 v[2:3], v[2:3], v[77:78]
	v_add_f64_e32 v[10:11], v[10:11], v[79:80]
	ds_load_b128 v[6:9], v1 offset:976
	ds_load_b128 v[77:80], v1 offset:992
	v_fma_f64 v[103:104], v[103:104], v[85:86], v[105:106]
	v_fma_f64 v[85:86], v[101:102], v[85:86], -v[87:88]
	s_wait_loadcnt_dscnt 0x201
	v_mul_f64_e32 v[83:84], v[6:7], v[91:92]
	v_mul_f64_e32 v[91:92], v[8:9], v[91:92]
	s_wait_loadcnt_dscnt 0x100
	v_mul_f64_e32 v[87:88], v[79:80], v[95:96]
	v_add_f64_e32 v[2:3], v[2:3], v[81:82]
	v_add_f64_e32 v[10:11], v[10:11], v[107:108]
	v_mul_f64_e32 v[81:82], v[77:78], v[95:96]
	v_fma_f64 v[83:84], v[8:9], v[89:90], v[83:84]
	v_fma_f64 v[89:90], v[6:7], v[89:90], -v[91:92]
	ds_load_b128 v[6:9], v1 offset:1008
	v_fma_f64 v[77:78], v[77:78], v[93:94], -v[87:88]
	v_add_f64_e32 v[2:3], v[2:3], v[85:86]
	v_add_f64_e32 v[10:11], v[10:11], v[103:104]
	v_fma_f64 v[79:80], v[79:80], v[93:94], v[81:82]
	s_wait_loadcnt_dscnt 0x0
	v_mul_f64_e32 v[85:86], v[6:7], v[99:100]
	v_mul_f64_e32 v[91:92], v[8:9], v[99:100]
	v_add_f64_e32 v[2:3], v[2:3], v[89:90]
	v_add_f64_e32 v[10:11], v[10:11], v[83:84]
	s_delay_alu instid0(VALU_DEP_4) | instskip(NEXT) | instid1(VALU_DEP_4)
	v_fma_f64 v[8:9], v[8:9], v[97:98], v[85:86]
	v_fma_f64 v[6:7], v[6:7], v[97:98], -v[91:92]
	s_delay_alu instid0(VALU_DEP_4) | instskip(NEXT) | instid1(VALU_DEP_4)
	v_add_f64_e32 v[2:3], v[2:3], v[77:78]
	v_add_f64_e32 v[10:11], v[10:11], v[79:80]
	s_delay_alu instid0(VALU_DEP_2) | instskip(NEXT) | instid1(VALU_DEP_2)
	v_add_f64_e32 v[2:3], v[2:3], v[6:7]
	v_add_f64_e32 v[8:9], v[10:11], v[8:9]
	s_delay_alu instid0(VALU_DEP_2) | instskip(NEXT) | instid1(VALU_DEP_2)
	v_add_f64_e64 v[6:7], v[113:114], -v[2:3]
	v_add_f64_e64 v[8:9], v[115:116], -v[8:9]
	scratch_store_b128 off, v[6:9], off offset:80
	v_cmpx_lt_u32_e32 3, v0
	s_cbranch_execz .LBB31_199
; %bb.198:
	scratch_load_b128 v[6:9], off, s24
	v_dual_mov_b32 v2, v1 :: v_dual_mov_b32 v3, v1
	v_mov_b32_e32 v4, v1
	scratch_store_b128 off, v[1:4], off offset:64
	s_wait_loadcnt 0x0
	ds_store_b128 v5, v[6:9]
.LBB31_199:
	s_wait_alu 0xfffe
	s_or_b32 exec_lo, exec_lo, s0
	s_wait_storecnt_dscnt 0x0
	s_barrier_signal -1
	s_barrier_wait -1
	global_inv scope:SCOPE_SE
	s_clause 0x8
	scratch_load_b128 v[6:9], off, off offset:80
	scratch_load_b128 v[77:80], off, off offset:96
	;; [unrolled: 1-line block ×9, first 2 shown]
	ds_load_b128 v[109:112], v1 offset:576
	ds_load_b128 v[113:116], v1 offset:592
	scratch_load_b128 v[117:120], off, off offset:64
	s_mov_b32 s0, exec_lo
	ds_load_b128 v[125:128], v1 offset:624
	s_wait_loadcnt_dscnt 0x902
	v_mul_f64_e32 v[2:3], v[111:112], v[8:9]
	v_mul_f64_e32 v[121:122], v[109:110], v[8:9]
	scratch_load_b128 v[8:11], off, off offset:224
	s_wait_loadcnt_dscnt 0x901
	v_mul_f64_e32 v[129:130], v[113:114], v[79:80]
	v_mul_f64_e32 v[79:80], v[115:116], v[79:80]
	v_fma_f64 v[2:3], v[109:110], v[6:7], -v[2:3]
	v_fma_f64 v[6:7], v[111:112], v[6:7], v[121:122]
	ds_load_b128 v[109:112], v1 offset:608
	scratch_load_b128 v[121:124], off, off offset:240
	v_fma_f64 v[115:116], v[115:116], v[77:78], v[129:130]
	v_fma_f64 v[113:114], v[113:114], v[77:78], -v[79:80]
	scratch_load_b128 v[77:80], off, off offset:256
	s_wait_loadcnt_dscnt 0x901
	v_mul_f64_e32 v[129:130], v[125:126], v[87:88]
	v_mul_f64_e32 v[87:88], v[127:128], v[87:88]
	s_wait_dscnt 0x0
	v_mul_f64_e32 v[131:132], v[109:110], v[83:84]
	v_mul_f64_e32 v[83:84], v[111:112], v[83:84]
	v_add_f64_e32 v[2:3], 0, v[2:3]
	v_add_f64_e32 v[6:7], 0, v[6:7]
	v_fma_f64 v[127:128], v[127:128], v[85:86], v[129:130]
	v_fma_f64 v[125:126], v[125:126], v[85:86], -v[87:88]
	scratch_load_b128 v[85:88], off, off offset:288
	v_fma_f64 v[131:132], v[111:112], v[81:82], v[131:132]
	v_fma_f64 v[133:134], v[109:110], v[81:82], -v[83:84]
	ds_load_b128 v[81:84], v1 offset:640
	scratch_load_b128 v[109:112], off, off offset:272
	v_add_f64_e32 v[2:3], v[2:3], v[113:114]
	v_add_f64_e32 v[6:7], v[6:7], v[115:116]
	ds_load_b128 v[113:116], v1 offset:656
	s_wait_loadcnt_dscnt 0xa01
	v_mul_f64_e32 v[135:136], v[81:82], v[91:92]
	v_mul_f64_e32 v[91:92], v[83:84], v[91:92]
	s_wait_loadcnt_dscnt 0x900
	v_mul_f64_e32 v[129:130], v[113:114], v[95:96]
	v_mul_f64_e32 v[95:96], v[115:116], v[95:96]
	v_add_f64_e32 v[2:3], v[2:3], v[133:134]
	v_add_f64_e32 v[6:7], v[6:7], v[131:132]
	v_fma_f64 v[131:132], v[83:84], v[89:90], v[135:136]
	v_fma_f64 v[133:134], v[81:82], v[89:90], -v[91:92]
	ds_load_b128 v[81:84], v1 offset:672
	scratch_load_b128 v[89:92], off, off offset:304
	v_fma_f64 v[115:116], v[115:116], v[93:94], v[129:130]
	v_fma_f64 v[113:114], v[113:114], v[93:94], -v[95:96]
	scratch_load_b128 v[93:96], off, off offset:320
	v_add_f64_e32 v[2:3], v[2:3], v[125:126]
	v_add_f64_e32 v[6:7], v[6:7], v[127:128]
	ds_load_b128 v[125:128], v1 offset:688
	s_wait_loadcnt_dscnt 0xa01
	v_mul_f64_e32 v[135:136], v[81:82], v[99:100]
	v_mul_f64_e32 v[99:100], v[83:84], v[99:100]
	s_wait_loadcnt_dscnt 0x900
	v_mul_f64_e32 v[129:130], v[125:126], v[103:104]
	v_mul_f64_e32 v[103:104], v[127:128], v[103:104]
	v_add_f64_e32 v[2:3], v[2:3], v[133:134]
	v_add_f64_e32 v[6:7], v[6:7], v[131:132]
	v_fma_f64 v[131:132], v[83:84], v[97:98], v[135:136]
	v_fma_f64 v[133:134], v[81:82], v[97:98], -v[99:100]
	ds_load_b128 v[81:84], v1 offset:704
	scratch_load_b128 v[97:100], off, off offset:336
	v_fma_f64 v[127:128], v[127:128], v[101:102], v[129:130]
	v_fma_f64 v[125:126], v[125:126], v[101:102], -v[103:104]
	scratch_load_b128 v[101:104], off, off offset:352
	v_add_f64_e32 v[2:3], v[2:3], v[113:114]
	v_add_f64_e32 v[6:7], v[6:7], v[115:116]
	ds_load_b128 v[113:116], v1 offset:720
	s_wait_loadcnt_dscnt 0xa01
	v_mul_f64_e32 v[135:136], v[81:82], v[107:108]
	v_mul_f64_e32 v[107:108], v[83:84], v[107:108]
	v_add_f64_e32 v[2:3], v[2:3], v[133:134]
	v_add_f64_e32 v[6:7], v[6:7], v[131:132]
	s_delay_alu instid0(VALU_DEP_4) | instskip(NEXT) | instid1(VALU_DEP_4)
	v_fma_f64 v[131:132], v[83:84], v[105:106], v[135:136]
	v_fma_f64 v[133:134], v[81:82], v[105:106], -v[107:108]
	ds_load_b128 v[81:84], v1 offset:736
	scratch_load_b128 v[105:108], off, off offset:368
	s_wait_loadcnt_dscnt 0x901
	v_mul_f64_e32 v[129:130], v[113:114], v[10:11]
	v_mul_f64_e32 v[10:11], v[115:116], v[10:11]
	v_add_f64_e32 v[2:3], v[2:3], v[125:126]
	v_add_f64_e32 v[6:7], v[6:7], v[127:128]
	ds_load_b128 v[125:128], v1 offset:752
	v_fma_f64 v[115:116], v[115:116], v[8:9], v[129:130]
	s_wait_loadcnt_dscnt 0x801
	v_mul_f64_e32 v[135:136], v[81:82], v[123:124]
	v_mul_f64_e32 v[123:124], v[83:84], v[123:124]
	v_fma_f64 v[10:11], v[113:114], v[8:9], -v[10:11]
	s_wait_loadcnt_dscnt 0x700
	v_mul_f64_e32 v[129:130], v[125:126], v[79:80]
	v_add_f64_e32 v[2:3], v[2:3], v[133:134]
	v_add_f64_e32 v[113:114], v[6:7], v[131:132]
	scratch_load_b128 v[6:9], off, off offset:384
	v_mul_f64_e32 v[131:132], v[127:128], v[79:80]
	v_fma_f64 v[83:84], v[83:84], v[121:122], v[135:136]
	v_fma_f64 v[133:134], v[81:82], v[121:122], -v[123:124]
	ds_load_b128 v[79:82], v1 offset:768
	ds_load_b128 v[121:124], v1 offset:784
	v_fma_f64 v[129:130], v[127:128], v[77:78], v[129:130]
	v_add_f64_e32 v[2:3], v[2:3], v[10:11]
	v_add_f64_e32 v[10:11], v[113:114], v[115:116]
	scratch_load_b128 v[113:116], off, off offset:400
	s_wait_loadcnt_dscnt 0x701
	v_mul_f64_e32 v[135:136], v[79:80], v[111:112]
	v_mul_f64_e32 v[111:112], v[81:82], v[111:112]
	v_fma_f64 v[77:78], v[125:126], v[77:78], -v[131:132]
	scratch_load_b128 v[125:128], off, off offset:416
	s_wait_dscnt 0x0
	v_mul_f64_e32 v[131:132], v[121:122], v[87:88]
	v_mul_f64_e32 v[87:88], v[123:124], v[87:88]
	v_add_f64_e32 v[2:3], v[2:3], v[133:134]
	v_add_f64_e32 v[10:11], v[10:11], v[83:84]
	v_fma_f64 v[133:134], v[81:82], v[109:110], v[135:136]
	v_fma_f64 v[135:136], v[79:80], v[109:110], -v[111:112]
	scratch_load_b128 v[81:84], off, off offset:432
	ds_load_b128 v[109:112], v1 offset:816
	v_fma_f64 v[123:124], v[123:124], v[85:86], v[131:132]
	v_fma_f64 v[121:122], v[121:122], v[85:86], -v[87:88]
	scratch_load_b128 v[85:88], off, off offset:448
	v_add_f64_e32 v[2:3], v[2:3], v[77:78]
	v_add_f64_e32 v[10:11], v[10:11], v[129:130]
	ds_load_b128 v[77:80], v1 offset:800
	s_wait_loadcnt_dscnt 0x801
	v_mul_f64_e32 v[131:132], v[109:110], v[95:96]
	v_mul_f64_e32 v[95:96], v[111:112], v[95:96]
	s_wait_dscnt 0x0
	v_mul_f64_e32 v[129:130], v[77:78], v[91:92]
	v_mul_f64_e32 v[91:92], v[79:80], v[91:92]
	v_add_f64_e32 v[2:3], v[2:3], v[135:136]
	v_add_f64_e32 v[10:11], v[10:11], v[133:134]
	v_fma_f64 v[111:112], v[111:112], v[93:94], v[131:132]
	v_fma_f64 v[109:110], v[109:110], v[93:94], -v[95:96]
	scratch_load_b128 v[93:96], off, off offset:480
	v_fma_f64 v[129:130], v[79:80], v[89:90], v[129:130]
	v_fma_f64 v[133:134], v[77:78], v[89:90], -v[91:92]
	ds_load_b128 v[77:80], v1 offset:832
	scratch_load_b128 v[89:92], off, off offset:464
	v_add_f64_e32 v[2:3], v[2:3], v[121:122]
	v_add_f64_e32 v[10:11], v[10:11], v[123:124]
	ds_load_b128 v[121:124], v1 offset:848
	s_wait_loadcnt_dscnt 0x901
	v_mul_f64_e32 v[135:136], v[77:78], v[99:100]
	v_mul_f64_e32 v[99:100], v[79:80], v[99:100]
	v_add_f64_e32 v[2:3], v[2:3], v[133:134]
	v_add_f64_e32 v[10:11], v[10:11], v[129:130]
	s_wait_loadcnt_dscnt 0x800
	v_mul_f64_e32 v[129:130], v[121:122], v[103:104]
	v_mul_f64_e32 v[103:104], v[123:124], v[103:104]
	v_fma_f64 v[131:132], v[79:80], v[97:98], v[135:136]
	v_fma_f64 v[133:134], v[77:78], v[97:98], -v[99:100]
	ds_load_b128 v[77:80], v1 offset:864
	scratch_load_b128 v[97:100], off, off offset:496
	v_add_f64_e32 v[2:3], v[2:3], v[109:110]
	v_add_f64_e32 v[10:11], v[10:11], v[111:112]
	ds_load_b128 v[109:112], v1 offset:880
	s_wait_loadcnt_dscnt 0x801
	v_mul_f64_e32 v[135:136], v[77:78], v[107:108]
	v_mul_f64_e32 v[107:108], v[79:80], v[107:108]
	v_fma_f64 v[123:124], v[123:124], v[101:102], v[129:130]
	v_fma_f64 v[121:122], v[121:122], v[101:102], -v[103:104]
	scratch_load_b128 v[101:104], off, off offset:512
	v_add_f64_e32 v[2:3], v[2:3], v[133:134]
	v_add_f64_e32 v[10:11], v[10:11], v[131:132]
	v_fma_f64 v[133:134], v[79:80], v[105:106], v[135:136]
	v_fma_f64 v[105:106], v[77:78], v[105:106], -v[107:108]
	s_wait_loadcnt_dscnt 0x800
	v_mul_f64_e32 v[129:130], v[109:110], v[8:9]
	v_mul_f64_e32 v[131:132], v[111:112], v[8:9]
	v_add_f64_e32 v[2:3], v[2:3], v[121:122]
	v_add_f64_e32 v[107:108], v[10:11], v[123:124]
	ds_load_b128 v[8:11], v1 offset:896
	ds_load_b128 v[77:80], v1 offset:912
	v_fma_f64 v[111:112], v[111:112], v[6:7], v[129:130]
	v_fma_f64 v[6:7], v[109:110], v[6:7], -v[131:132]
	s_wait_loadcnt_dscnt 0x701
	v_mul_f64_e32 v[121:122], v[8:9], v[115:116]
	v_mul_f64_e32 v[115:116], v[10:11], v[115:116]
	s_wait_loadcnt_dscnt 0x600
	v_mul_f64_e32 v[109:110], v[77:78], v[127:128]
	v_mul_f64_e32 v[123:124], v[79:80], v[127:128]
	v_add_f64_e32 v[2:3], v[2:3], v[105:106]
	v_add_f64_e32 v[105:106], v[107:108], v[133:134]
	v_fma_f64 v[10:11], v[10:11], v[113:114], v[121:122]
	v_fma_f64 v[113:114], v[8:9], v[113:114], -v[115:116]
	v_fma_f64 v[79:80], v[79:80], v[125:126], v[109:110]
	v_fma_f64 v[77:78], v[77:78], v[125:126], -v[123:124]
	v_add_f64_e32 v[2:3], v[2:3], v[6:7]
	v_add_f64_e32 v[111:112], v[105:106], v[111:112]
	ds_load_b128 v[6:9], v1 offset:928
	ds_load_b128 v[105:108], v1 offset:944
	s_wait_loadcnt_dscnt 0x501
	v_mul_f64_e32 v[115:116], v[6:7], v[83:84]
	v_mul_f64_e32 v[83:84], v[8:9], v[83:84]
	s_wait_loadcnt_dscnt 0x400
	v_mul_f64_e32 v[109:110], v[105:106], v[87:88]
	v_mul_f64_e32 v[87:88], v[107:108], v[87:88]
	v_add_f64_e32 v[2:3], v[2:3], v[113:114]
	v_add_f64_e32 v[10:11], v[111:112], v[10:11]
	v_fma_f64 v[111:112], v[8:9], v[81:82], v[115:116]
	v_fma_f64 v[81:82], v[6:7], v[81:82], -v[83:84]
	v_fma_f64 v[107:108], v[107:108], v[85:86], v[109:110]
	v_fma_f64 v[85:86], v[105:106], v[85:86], -v[87:88]
	v_add_f64_e32 v[2:3], v[2:3], v[77:78]
	v_add_f64_e32 v[10:11], v[10:11], v[79:80]
	ds_load_b128 v[6:9], v1 offset:960
	ds_load_b128 v[77:80], v1 offset:976
	s_wait_loadcnt_dscnt 0x201
	v_mul_f64_e32 v[83:84], v[6:7], v[91:92]
	v_mul_f64_e32 v[91:92], v[8:9], v[91:92]
	s_wait_dscnt 0x0
	v_mul_f64_e32 v[87:88], v[79:80], v[95:96]
	v_add_f64_e32 v[2:3], v[2:3], v[81:82]
	v_add_f64_e32 v[10:11], v[10:11], v[111:112]
	v_mul_f64_e32 v[81:82], v[77:78], v[95:96]
	v_fma_f64 v[83:84], v[8:9], v[89:90], v[83:84]
	v_fma_f64 v[89:90], v[6:7], v[89:90], -v[91:92]
	v_fma_f64 v[77:78], v[77:78], v[93:94], -v[87:88]
	v_add_f64_e32 v[85:86], v[2:3], v[85:86]
	v_add_f64_e32 v[10:11], v[10:11], v[107:108]
	ds_load_b128 v[6:9], v1 offset:992
	ds_load_b128 v[1:4], v1 offset:1008
	v_fma_f64 v[79:80], v[79:80], v[93:94], v[81:82]
	s_wait_loadcnt_dscnt 0x101
	v_mul_f64_e32 v[91:92], v[6:7], v[99:100]
	v_mul_f64_e32 v[95:96], v[8:9], v[99:100]
	v_add_f64_e32 v[81:82], v[85:86], v[89:90]
	v_add_f64_e32 v[10:11], v[10:11], v[83:84]
	s_wait_loadcnt_dscnt 0x0
	v_mul_f64_e32 v[83:84], v[1:2], v[103:104]
	v_mul_f64_e32 v[85:86], v[3:4], v[103:104]
	v_fma_f64 v[8:9], v[8:9], v[97:98], v[91:92]
	v_fma_f64 v[6:7], v[6:7], v[97:98], -v[95:96]
	v_add_f64_e32 v[77:78], v[81:82], v[77:78]
	v_add_f64_e32 v[10:11], v[10:11], v[79:80]
	v_fma_f64 v[3:4], v[3:4], v[101:102], v[83:84]
	v_fma_f64 v[1:2], v[1:2], v[101:102], -v[85:86]
	s_delay_alu instid0(VALU_DEP_4) | instskip(NEXT) | instid1(VALU_DEP_4)
	v_add_f64_e32 v[6:7], v[77:78], v[6:7]
	v_add_f64_e32 v[8:9], v[10:11], v[8:9]
	s_delay_alu instid0(VALU_DEP_2) | instskip(NEXT) | instid1(VALU_DEP_2)
	v_add_f64_e32 v[1:2], v[6:7], v[1:2]
	v_add_f64_e32 v[3:4], v[8:9], v[3:4]
	s_delay_alu instid0(VALU_DEP_2) | instskip(NEXT) | instid1(VALU_DEP_2)
	v_add_f64_e64 v[1:2], v[117:118], -v[1:2]
	v_add_f64_e64 v[3:4], v[119:120], -v[3:4]
	scratch_store_b128 off, v[1:4], off offset:64
	v_cmpx_lt_u32_e32 2, v0
	s_cbranch_execz .LBB31_201
; %bb.200:
	scratch_load_b128 v[1:4], off, s25
	v_mov_b32_e32 v6, 0
	s_delay_alu instid0(VALU_DEP_1)
	v_dual_mov_b32 v7, v6 :: v_dual_mov_b32 v8, v6
	v_mov_b32_e32 v9, v6
	scratch_store_b128 off, v[6:9], off offset:48
	s_wait_loadcnt 0x0
	ds_store_b128 v5, v[1:4]
.LBB31_201:
	s_wait_alu 0xfffe
	s_or_b32 exec_lo, exec_lo, s0
	s_wait_storecnt_dscnt 0x0
	s_barrier_signal -1
	s_barrier_wait -1
	global_inv scope:SCOPE_SE
	s_clause 0x7
	scratch_load_b128 v[6:9], off, off offset:64
	scratch_load_b128 v[77:80], off, off offset:80
	;; [unrolled: 1-line block ×8, first 2 shown]
	v_mov_b32_e32 v1, 0
	s_mov_b32 s0, exec_lo
	ds_load_b128 v[105:108], v1 offset:560
	s_clause 0x1
	scratch_load_b128 v[109:112], off, off offset:192
	scratch_load_b128 v[113:116], off, off offset:48
	ds_load_b128 v[117:120], v1 offset:576
	ds_load_b128 v[125:128], v1 offset:608
	s_wait_loadcnt_dscnt 0x902
	v_mul_f64_e32 v[2:3], v[107:108], v[8:9]
	v_mul_f64_e32 v[121:122], v[105:106], v[8:9]
	scratch_load_b128 v[8:11], off, off offset:208
	v_fma_f64 v[2:3], v[105:106], v[6:7], -v[2:3]
	v_fma_f64 v[6:7], v[107:108], v[6:7], v[121:122]
	ds_load_b128 v[105:108], v1 offset:592
	s_wait_loadcnt_dscnt 0x902
	v_mul_f64_e32 v[129:130], v[117:118], v[79:80]
	v_mul_f64_e32 v[79:80], v[119:120], v[79:80]
	scratch_load_b128 v[121:124], off, off offset:224
	s_wait_loadcnt_dscnt 0x900
	v_mul_f64_e32 v[131:132], v[105:106], v[83:84]
	v_mul_f64_e32 v[83:84], v[107:108], v[83:84]
	v_add_f64_e32 v[2:3], 0, v[2:3]
	v_add_f64_e32 v[6:7], 0, v[6:7]
	v_fma_f64 v[119:120], v[119:120], v[77:78], v[129:130]
	v_fma_f64 v[117:118], v[117:118], v[77:78], -v[79:80]
	scratch_load_b128 v[77:80], off, off offset:240
	v_fma_f64 v[131:132], v[107:108], v[81:82], v[131:132]
	v_fma_f64 v[133:134], v[105:106], v[81:82], -v[83:84]
	ds_load_b128 v[81:84], v1 offset:624
	s_wait_loadcnt 0x9
	v_mul_f64_e32 v[129:130], v[125:126], v[87:88]
	v_mul_f64_e32 v[87:88], v[127:128], v[87:88]
	scratch_load_b128 v[105:108], off, off offset:256
	v_add_f64_e32 v[6:7], v[6:7], v[119:120]
	v_add_f64_e32 v[2:3], v[2:3], v[117:118]
	ds_load_b128 v[117:120], v1 offset:640
	s_wait_loadcnt_dscnt 0x901
	v_mul_f64_e32 v[135:136], v[81:82], v[91:92]
	v_mul_f64_e32 v[91:92], v[83:84], v[91:92]
	v_fma_f64 v[127:128], v[127:128], v[85:86], v[129:130]
	v_fma_f64 v[125:126], v[125:126], v[85:86], -v[87:88]
	scratch_load_b128 v[85:88], off, off offset:272
	v_add_f64_e32 v[6:7], v[6:7], v[131:132]
	v_add_f64_e32 v[2:3], v[2:3], v[133:134]
	v_fma_f64 v[131:132], v[83:84], v[89:90], v[135:136]
	v_fma_f64 v[133:134], v[81:82], v[89:90], -v[91:92]
	ds_load_b128 v[81:84], v1 offset:656
	s_wait_loadcnt_dscnt 0x901
	v_mul_f64_e32 v[129:130], v[117:118], v[95:96]
	v_mul_f64_e32 v[95:96], v[119:120], v[95:96]
	scratch_load_b128 v[89:92], off, off offset:288
	s_wait_loadcnt_dscnt 0x900
	v_mul_f64_e32 v[135:136], v[81:82], v[99:100]
	v_mul_f64_e32 v[99:100], v[83:84], v[99:100]
	v_add_f64_e32 v[6:7], v[6:7], v[127:128]
	v_add_f64_e32 v[2:3], v[2:3], v[125:126]
	ds_load_b128 v[125:128], v1 offset:672
	v_fma_f64 v[119:120], v[119:120], v[93:94], v[129:130]
	v_fma_f64 v[117:118], v[117:118], v[93:94], -v[95:96]
	scratch_load_b128 v[93:96], off, off offset:304
	v_add_f64_e32 v[6:7], v[6:7], v[131:132]
	v_add_f64_e32 v[2:3], v[2:3], v[133:134]
	v_fma_f64 v[131:132], v[83:84], v[97:98], v[135:136]
	v_fma_f64 v[133:134], v[81:82], v[97:98], -v[99:100]
	ds_load_b128 v[81:84], v1 offset:688
	s_wait_loadcnt_dscnt 0x901
	v_mul_f64_e32 v[129:130], v[125:126], v[103:104]
	v_mul_f64_e32 v[103:104], v[127:128], v[103:104]
	scratch_load_b128 v[97:100], off, off offset:320
	s_wait_loadcnt_dscnt 0x900
	v_mul_f64_e32 v[135:136], v[81:82], v[111:112]
	v_mul_f64_e32 v[111:112], v[83:84], v[111:112]
	v_add_f64_e32 v[6:7], v[6:7], v[119:120]
	v_add_f64_e32 v[2:3], v[2:3], v[117:118]
	ds_load_b128 v[117:120], v1 offset:704
	v_fma_f64 v[127:128], v[127:128], v[101:102], v[129:130]
	v_fma_f64 v[125:126], v[125:126], v[101:102], -v[103:104]
	scratch_load_b128 v[101:104], off, off offset:336
	v_add_f64_e32 v[6:7], v[6:7], v[131:132]
	v_add_f64_e32 v[2:3], v[2:3], v[133:134]
	v_fma_f64 v[131:132], v[83:84], v[109:110], v[135:136]
	v_fma_f64 v[133:134], v[81:82], v[109:110], -v[111:112]
	ds_load_b128 v[81:84], v1 offset:720
	scratch_load_b128 v[109:112], off, off offset:352
	s_wait_loadcnt_dscnt 0x901
	v_mul_f64_e32 v[129:130], v[117:118], v[10:11]
	v_mul_f64_e32 v[10:11], v[119:120], v[10:11]
	v_add_f64_e32 v[6:7], v[6:7], v[127:128]
	v_add_f64_e32 v[2:3], v[2:3], v[125:126]
	ds_load_b128 v[125:128], v1 offset:736
	v_fma_f64 v[119:120], v[119:120], v[8:9], v[129:130]
	v_fma_f64 v[10:11], v[117:118], v[8:9], -v[10:11]
	s_wait_loadcnt_dscnt 0x801
	v_mul_f64_e32 v[135:136], v[81:82], v[123:124]
	v_mul_f64_e32 v[123:124], v[83:84], v[123:124]
	v_add_f64_e32 v[117:118], v[6:7], v[131:132]
	v_add_f64_e32 v[2:3], v[2:3], v[133:134]
	scratch_load_b128 v[6:9], off, off offset:368
	v_fma_f64 v[83:84], v[83:84], v[121:122], v[135:136]
	v_fma_f64 v[133:134], v[81:82], v[121:122], -v[123:124]
	ds_load_b128 v[121:124], v1 offset:768
	s_wait_loadcnt_dscnt 0x801
	v_mul_f64_e32 v[129:130], v[125:126], v[79:80]
	v_mul_f64_e32 v[131:132], v[127:128], v[79:80]
	ds_load_b128 v[79:82], v1 offset:752
	v_add_f64_e32 v[2:3], v[2:3], v[10:11]
	v_add_f64_e32 v[10:11], v[117:118], v[119:120]
	scratch_load_b128 v[117:120], off, off offset:384
	s_wait_loadcnt_dscnt 0x800
	v_mul_f64_e32 v[135:136], v[79:80], v[107:108]
	v_mul_f64_e32 v[107:108], v[81:82], v[107:108]
	v_fma_f64 v[129:130], v[127:128], v[77:78], v[129:130]
	v_fma_f64 v[77:78], v[125:126], v[77:78], -v[131:132]
	scratch_load_b128 v[125:128], off, off offset:400
	v_add_f64_e32 v[2:3], v[2:3], v[133:134]
	v_add_f64_e32 v[10:11], v[10:11], v[83:84]
	s_wait_loadcnt 0x8
	v_mul_f64_e32 v[131:132], v[121:122], v[87:88]
	v_mul_f64_e32 v[87:88], v[123:124], v[87:88]
	v_fma_f64 v[133:134], v[81:82], v[105:106], v[135:136]
	v_fma_f64 v[135:136], v[79:80], v[105:106], -v[107:108]
	scratch_load_b128 v[81:84], off, off offset:416
	ds_load_b128 v[105:108], v1 offset:800
	v_add_f64_e32 v[2:3], v[2:3], v[77:78]
	v_add_f64_e32 v[10:11], v[10:11], v[129:130]
	ds_load_b128 v[77:80], v1 offset:784
	v_fma_f64 v[123:124], v[123:124], v[85:86], v[131:132]
	v_fma_f64 v[121:122], v[121:122], v[85:86], -v[87:88]
	scratch_load_b128 v[85:88], off, off offset:432
	s_wait_loadcnt_dscnt 0x900
	v_mul_f64_e32 v[129:130], v[77:78], v[91:92]
	v_mul_f64_e32 v[91:92], v[79:80], v[91:92]
	s_wait_loadcnt 0x8
	v_mul_f64_e32 v[131:132], v[105:106], v[95:96]
	v_mul_f64_e32 v[95:96], v[107:108], v[95:96]
	v_add_f64_e32 v[2:3], v[2:3], v[135:136]
	v_add_f64_e32 v[10:11], v[10:11], v[133:134]
	v_fma_f64 v[129:130], v[79:80], v[89:90], v[129:130]
	v_fma_f64 v[133:134], v[77:78], v[89:90], -v[91:92]
	ds_load_b128 v[77:80], v1 offset:816
	scratch_load_b128 v[89:92], off, off offset:448
	v_fma_f64 v[107:108], v[107:108], v[93:94], v[131:132]
	v_fma_f64 v[105:106], v[105:106], v[93:94], -v[95:96]
	scratch_load_b128 v[93:96], off, off offset:464
	v_add_f64_e32 v[2:3], v[2:3], v[121:122]
	v_add_f64_e32 v[10:11], v[10:11], v[123:124]
	ds_load_b128 v[121:124], v1 offset:832
	s_wait_loadcnt_dscnt 0x901
	v_mul_f64_e32 v[135:136], v[77:78], v[99:100]
	v_mul_f64_e32 v[99:100], v[79:80], v[99:100]
	s_wait_loadcnt_dscnt 0x800
	v_mul_f64_e32 v[131:132], v[123:124], v[103:104]
	v_add_f64_e32 v[2:3], v[2:3], v[133:134]
	v_add_f64_e32 v[10:11], v[10:11], v[129:130]
	v_mul_f64_e32 v[129:130], v[121:122], v[103:104]
	v_fma_f64 v[133:134], v[79:80], v[97:98], v[135:136]
	v_fma_f64 v[135:136], v[77:78], v[97:98], -v[99:100]
	ds_load_b128 v[77:80], v1 offset:848
	scratch_load_b128 v[97:100], off, off offset:480
	v_add_f64_e32 v[2:3], v[2:3], v[105:106]
	v_add_f64_e32 v[10:11], v[10:11], v[107:108]
	ds_load_b128 v[103:106], v1 offset:864
	s_wait_loadcnt_dscnt 0x801
	v_mul_f64_e32 v[107:108], v[77:78], v[111:112]
	v_mul_f64_e32 v[111:112], v[79:80], v[111:112]
	v_fma_f64 v[129:130], v[123:124], v[101:102], v[129:130]
	v_fma_f64 v[101:102], v[121:122], v[101:102], -v[131:132]
	scratch_load_b128 v[121:124], off, off offset:496
	v_add_f64_e32 v[2:3], v[2:3], v[135:136]
	v_add_f64_e32 v[10:11], v[10:11], v[133:134]
	v_fma_f64 v[135:136], v[79:80], v[109:110], v[107:108]
	v_fma_f64 v[111:112], v[77:78], v[109:110], -v[111:112]
	scratch_load_b128 v[77:80], off, off offset:512
	ds_load_b128 v[107:110], v1 offset:896
	s_wait_loadcnt_dscnt 0x901
	v_mul_f64_e32 v[131:132], v[103:104], v[8:9]
	v_mul_f64_e32 v[133:134], v[105:106], v[8:9]
	v_add_f64_e32 v[2:3], v[2:3], v[101:102]
	v_add_f64_e32 v[101:102], v[10:11], v[129:130]
	ds_load_b128 v[8:11], v1 offset:880
	v_fma_f64 v[105:106], v[105:106], v[6:7], v[131:132]
	v_fma_f64 v[6:7], v[103:104], v[6:7], -v[133:134]
	s_wait_loadcnt_dscnt 0x800
	v_mul_f64_e32 v[129:130], v[8:9], v[119:120]
	v_mul_f64_e32 v[119:120], v[10:11], v[119:120]
	v_add_f64_e32 v[2:3], v[2:3], v[111:112]
	v_add_f64_e32 v[101:102], v[101:102], v[135:136]
	s_wait_loadcnt 0x7
	v_mul_f64_e32 v[111:112], v[107:108], v[127:128]
	v_mul_f64_e32 v[127:128], v[109:110], v[127:128]
	v_fma_f64 v[10:11], v[10:11], v[117:118], v[129:130]
	v_fma_f64 v[117:118], v[8:9], v[117:118], -v[119:120]
	v_add_f64_e32 v[2:3], v[2:3], v[6:7]
	v_add_f64_e32 v[105:106], v[101:102], v[105:106]
	ds_load_b128 v[6:9], v1 offset:912
	ds_load_b128 v[101:104], v1 offset:928
	v_fma_f64 v[109:110], v[109:110], v[125:126], v[111:112]
	v_fma_f64 v[107:108], v[107:108], v[125:126], -v[127:128]
	s_wait_loadcnt_dscnt 0x601
	v_mul_f64_e32 v[119:120], v[6:7], v[83:84]
	v_mul_f64_e32 v[83:84], v[8:9], v[83:84]
	v_add_f64_e32 v[2:3], v[2:3], v[117:118]
	v_add_f64_e32 v[10:11], v[105:106], v[10:11]
	s_wait_loadcnt_dscnt 0x500
	v_mul_f64_e32 v[105:106], v[101:102], v[87:88]
	v_mul_f64_e32 v[87:88], v[103:104], v[87:88]
	v_fma_f64 v[111:112], v[8:9], v[81:82], v[119:120]
	v_fma_f64 v[117:118], v[6:7], v[81:82], -v[83:84]
	ds_load_b128 v[6:9], v1 offset:944
	ds_load_b128 v[81:84], v1 offset:960
	v_add_f64_e32 v[2:3], v[2:3], v[107:108]
	v_add_f64_e32 v[10:11], v[10:11], v[109:110]
	v_fma_f64 v[103:104], v[103:104], v[85:86], v[105:106]
	v_fma_f64 v[85:86], v[101:102], v[85:86], -v[87:88]
	s_wait_loadcnt_dscnt 0x401
	v_mul_f64_e32 v[107:108], v[6:7], v[91:92]
	v_mul_f64_e32 v[91:92], v[8:9], v[91:92]
	s_wait_loadcnt_dscnt 0x300
	v_mul_f64_e32 v[101:102], v[81:82], v[95:96]
	v_mul_f64_e32 v[95:96], v[83:84], v[95:96]
	v_add_f64_e32 v[2:3], v[2:3], v[117:118]
	v_add_f64_e32 v[10:11], v[10:11], v[111:112]
	v_fma_f64 v[105:106], v[8:9], v[89:90], v[107:108]
	v_fma_f64 v[89:90], v[6:7], v[89:90], -v[91:92]
	v_fma_f64 v[83:84], v[83:84], v[93:94], v[101:102]
	v_fma_f64 v[81:82], v[81:82], v[93:94], -v[95:96]
	v_add_f64_e32 v[2:3], v[2:3], v[85:86]
	v_add_f64_e32 v[10:11], v[10:11], v[103:104]
	ds_load_b128 v[6:9], v1 offset:976
	ds_load_b128 v[85:88], v1 offset:992
	s_wait_loadcnt_dscnt 0x201
	v_mul_f64_e32 v[91:92], v[6:7], v[99:100]
	v_mul_f64_e32 v[99:100], v[8:9], v[99:100]
	s_wait_loadcnt_dscnt 0x100
	v_mul_f64_e32 v[93:94], v[87:88], v[123:124]
	v_add_f64_e32 v[2:3], v[2:3], v[89:90]
	v_add_f64_e32 v[10:11], v[10:11], v[105:106]
	v_mul_f64_e32 v[89:90], v[85:86], v[123:124]
	v_fma_f64 v[91:92], v[8:9], v[97:98], v[91:92]
	v_fma_f64 v[95:96], v[6:7], v[97:98], -v[99:100]
	ds_load_b128 v[6:9], v1 offset:1008
	v_fma_f64 v[85:86], v[85:86], v[121:122], -v[93:94]
	v_add_f64_e32 v[2:3], v[2:3], v[81:82]
	v_add_f64_e32 v[10:11], v[10:11], v[83:84]
	v_fma_f64 v[83:84], v[87:88], v[121:122], v[89:90]
	s_wait_loadcnt_dscnt 0x0
	v_mul_f64_e32 v[81:82], v[6:7], v[79:80]
	v_mul_f64_e32 v[79:80], v[8:9], v[79:80]
	v_add_f64_e32 v[2:3], v[2:3], v[95:96]
	v_add_f64_e32 v[10:11], v[10:11], v[91:92]
	s_delay_alu instid0(VALU_DEP_4) | instskip(NEXT) | instid1(VALU_DEP_4)
	v_fma_f64 v[8:9], v[8:9], v[77:78], v[81:82]
	v_fma_f64 v[6:7], v[6:7], v[77:78], -v[79:80]
	s_delay_alu instid0(VALU_DEP_4) | instskip(NEXT) | instid1(VALU_DEP_4)
	v_add_f64_e32 v[2:3], v[2:3], v[85:86]
	v_add_f64_e32 v[10:11], v[10:11], v[83:84]
	s_delay_alu instid0(VALU_DEP_2) | instskip(NEXT) | instid1(VALU_DEP_2)
	v_add_f64_e32 v[2:3], v[2:3], v[6:7]
	v_add_f64_e32 v[8:9], v[10:11], v[8:9]
	s_delay_alu instid0(VALU_DEP_2) | instskip(NEXT) | instid1(VALU_DEP_2)
	v_add_f64_e64 v[6:7], v[113:114], -v[2:3]
	v_add_f64_e64 v[8:9], v[115:116], -v[8:9]
	scratch_store_b128 off, v[6:9], off offset:48
	v_cmpx_lt_u32_e32 1, v0
	s_cbranch_execz .LBB31_203
; %bb.202:
	scratch_load_b128 v[6:9], off, s26
	v_dual_mov_b32 v2, v1 :: v_dual_mov_b32 v3, v1
	v_mov_b32_e32 v4, v1
	scratch_store_b128 off, v[1:4], off offset:32
	s_wait_loadcnt 0x0
	ds_store_b128 v5, v[6:9]
.LBB31_203:
	s_wait_alu 0xfffe
	s_or_b32 exec_lo, exec_lo, s0
	s_wait_storecnt_dscnt 0x0
	s_barrier_signal -1
	s_barrier_wait -1
	global_inv scope:SCOPE_SE
	s_clause 0x8
	scratch_load_b128 v[6:9], off, off offset:48
	scratch_load_b128 v[77:80], off, off offset:64
	;; [unrolled: 1-line block ×9, first 2 shown]
	ds_load_b128 v[109:112], v1 offset:544
	ds_load_b128 v[113:116], v1 offset:560
	scratch_load_b128 v[117:120], off, off offset:32
	s_mov_b32 s0, exec_lo
	ds_load_b128 v[125:128], v1 offset:592
	s_wait_loadcnt_dscnt 0x902
	v_mul_f64_e32 v[2:3], v[111:112], v[8:9]
	v_mul_f64_e32 v[121:122], v[109:110], v[8:9]
	scratch_load_b128 v[8:11], off, off offset:192
	s_wait_loadcnt_dscnt 0x901
	v_mul_f64_e32 v[129:130], v[113:114], v[79:80]
	v_mul_f64_e32 v[79:80], v[115:116], v[79:80]
	v_fma_f64 v[2:3], v[109:110], v[6:7], -v[2:3]
	v_fma_f64 v[6:7], v[111:112], v[6:7], v[121:122]
	ds_load_b128 v[109:112], v1 offset:576
	scratch_load_b128 v[121:124], off, off offset:208
	v_fma_f64 v[115:116], v[115:116], v[77:78], v[129:130]
	v_fma_f64 v[113:114], v[113:114], v[77:78], -v[79:80]
	scratch_load_b128 v[77:80], off, off offset:224
	s_wait_loadcnt_dscnt 0x901
	v_mul_f64_e32 v[129:130], v[125:126], v[87:88]
	v_mul_f64_e32 v[87:88], v[127:128], v[87:88]
	s_wait_dscnt 0x0
	v_mul_f64_e32 v[131:132], v[109:110], v[83:84]
	v_mul_f64_e32 v[83:84], v[111:112], v[83:84]
	v_add_f64_e32 v[2:3], 0, v[2:3]
	v_add_f64_e32 v[6:7], 0, v[6:7]
	v_fma_f64 v[127:128], v[127:128], v[85:86], v[129:130]
	v_fma_f64 v[125:126], v[125:126], v[85:86], -v[87:88]
	scratch_load_b128 v[85:88], off, off offset:256
	v_fma_f64 v[131:132], v[111:112], v[81:82], v[131:132]
	v_fma_f64 v[133:134], v[109:110], v[81:82], -v[83:84]
	ds_load_b128 v[81:84], v1 offset:608
	scratch_load_b128 v[109:112], off, off offset:240
	v_add_f64_e32 v[2:3], v[2:3], v[113:114]
	v_add_f64_e32 v[6:7], v[6:7], v[115:116]
	ds_load_b128 v[113:116], v1 offset:624
	s_wait_loadcnt_dscnt 0xa01
	v_mul_f64_e32 v[135:136], v[81:82], v[91:92]
	v_mul_f64_e32 v[91:92], v[83:84], v[91:92]
	s_wait_loadcnt_dscnt 0x900
	v_mul_f64_e32 v[129:130], v[113:114], v[95:96]
	v_mul_f64_e32 v[95:96], v[115:116], v[95:96]
	v_add_f64_e32 v[2:3], v[2:3], v[133:134]
	v_add_f64_e32 v[6:7], v[6:7], v[131:132]
	v_fma_f64 v[131:132], v[83:84], v[89:90], v[135:136]
	v_fma_f64 v[133:134], v[81:82], v[89:90], -v[91:92]
	ds_load_b128 v[81:84], v1 offset:640
	scratch_load_b128 v[89:92], off, off offset:272
	v_fma_f64 v[115:116], v[115:116], v[93:94], v[129:130]
	v_fma_f64 v[113:114], v[113:114], v[93:94], -v[95:96]
	scratch_load_b128 v[93:96], off, off offset:288
	v_add_f64_e32 v[2:3], v[2:3], v[125:126]
	v_add_f64_e32 v[6:7], v[6:7], v[127:128]
	ds_load_b128 v[125:128], v1 offset:656
	s_wait_loadcnt_dscnt 0xa01
	v_mul_f64_e32 v[135:136], v[81:82], v[99:100]
	v_mul_f64_e32 v[99:100], v[83:84], v[99:100]
	s_wait_loadcnt_dscnt 0x900
	v_mul_f64_e32 v[129:130], v[125:126], v[103:104]
	v_mul_f64_e32 v[103:104], v[127:128], v[103:104]
	v_add_f64_e32 v[2:3], v[2:3], v[133:134]
	v_add_f64_e32 v[6:7], v[6:7], v[131:132]
	v_fma_f64 v[131:132], v[83:84], v[97:98], v[135:136]
	v_fma_f64 v[133:134], v[81:82], v[97:98], -v[99:100]
	ds_load_b128 v[81:84], v1 offset:672
	scratch_load_b128 v[97:100], off, off offset:304
	v_fma_f64 v[127:128], v[127:128], v[101:102], v[129:130]
	v_fma_f64 v[125:126], v[125:126], v[101:102], -v[103:104]
	scratch_load_b128 v[101:104], off, off offset:320
	v_add_f64_e32 v[2:3], v[2:3], v[113:114]
	v_add_f64_e32 v[6:7], v[6:7], v[115:116]
	ds_load_b128 v[113:116], v1 offset:688
	s_wait_loadcnt_dscnt 0xa01
	v_mul_f64_e32 v[135:136], v[81:82], v[107:108]
	v_mul_f64_e32 v[107:108], v[83:84], v[107:108]
	v_add_f64_e32 v[2:3], v[2:3], v[133:134]
	v_add_f64_e32 v[6:7], v[6:7], v[131:132]
	s_delay_alu instid0(VALU_DEP_4) | instskip(NEXT) | instid1(VALU_DEP_4)
	v_fma_f64 v[131:132], v[83:84], v[105:106], v[135:136]
	v_fma_f64 v[133:134], v[81:82], v[105:106], -v[107:108]
	ds_load_b128 v[81:84], v1 offset:704
	scratch_load_b128 v[105:108], off, off offset:336
	s_wait_loadcnt_dscnt 0x901
	v_mul_f64_e32 v[129:130], v[113:114], v[10:11]
	v_mul_f64_e32 v[10:11], v[115:116], v[10:11]
	v_add_f64_e32 v[2:3], v[2:3], v[125:126]
	v_add_f64_e32 v[6:7], v[6:7], v[127:128]
	ds_load_b128 v[125:128], v1 offset:720
	v_fma_f64 v[115:116], v[115:116], v[8:9], v[129:130]
	s_wait_loadcnt_dscnt 0x801
	v_mul_f64_e32 v[135:136], v[81:82], v[123:124]
	v_mul_f64_e32 v[123:124], v[83:84], v[123:124]
	v_fma_f64 v[10:11], v[113:114], v[8:9], -v[10:11]
	s_wait_loadcnt_dscnt 0x700
	v_mul_f64_e32 v[129:130], v[125:126], v[79:80]
	v_add_f64_e32 v[2:3], v[2:3], v[133:134]
	v_add_f64_e32 v[113:114], v[6:7], v[131:132]
	scratch_load_b128 v[6:9], off, off offset:352
	v_mul_f64_e32 v[131:132], v[127:128], v[79:80]
	v_fma_f64 v[83:84], v[83:84], v[121:122], v[135:136]
	v_fma_f64 v[133:134], v[81:82], v[121:122], -v[123:124]
	ds_load_b128 v[79:82], v1 offset:736
	ds_load_b128 v[121:124], v1 offset:752
	v_fma_f64 v[129:130], v[127:128], v[77:78], v[129:130]
	v_add_f64_e32 v[2:3], v[2:3], v[10:11]
	v_add_f64_e32 v[10:11], v[113:114], v[115:116]
	scratch_load_b128 v[113:116], off, off offset:368
	s_wait_loadcnt_dscnt 0x701
	v_mul_f64_e32 v[135:136], v[79:80], v[111:112]
	v_mul_f64_e32 v[111:112], v[81:82], v[111:112]
	v_fma_f64 v[77:78], v[125:126], v[77:78], -v[131:132]
	scratch_load_b128 v[125:128], off, off offset:384
	s_wait_dscnt 0x0
	v_mul_f64_e32 v[131:132], v[121:122], v[87:88]
	v_mul_f64_e32 v[87:88], v[123:124], v[87:88]
	v_add_f64_e32 v[2:3], v[2:3], v[133:134]
	v_add_f64_e32 v[10:11], v[10:11], v[83:84]
	v_fma_f64 v[133:134], v[81:82], v[109:110], v[135:136]
	v_fma_f64 v[135:136], v[79:80], v[109:110], -v[111:112]
	scratch_load_b128 v[81:84], off, off offset:400
	ds_load_b128 v[109:112], v1 offset:784
	v_fma_f64 v[123:124], v[123:124], v[85:86], v[131:132]
	v_fma_f64 v[121:122], v[121:122], v[85:86], -v[87:88]
	scratch_load_b128 v[85:88], off, off offset:416
	v_add_f64_e32 v[2:3], v[2:3], v[77:78]
	v_add_f64_e32 v[10:11], v[10:11], v[129:130]
	ds_load_b128 v[77:80], v1 offset:768
	s_wait_loadcnt_dscnt 0x801
	v_mul_f64_e32 v[131:132], v[109:110], v[95:96]
	v_mul_f64_e32 v[95:96], v[111:112], v[95:96]
	s_wait_dscnt 0x0
	v_mul_f64_e32 v[129:130], v[77:78], v[91:92]
	v_mul_f64_e32 v[91:92], v[79:80], v[91:92]
	v_add_f64_e32 v[2:3], v[2:3], v[135:136]
	v_add_f64_e32 v[10:11], v[10:11], v[133:134]
	v_fma_f64 v[111:112], v[111:112], v[93:94], v[131:132]
	v_fma_f64 v[109:110], v[109:110], v[93:94], -v[95:96]
	scratch_load_b128 v[93:96], off, off offset:448
	v_fma_f64 v[129:130], v[79:80], v[89:90], v[129:130]
	v_fma_f64 v[133:134], v[77:78], v[89:90], -v[91:92]
	ds_load_b128 v[77:80], v1 offset:800
	scratch_load_b128 v[89:92], off, off offset:432
	v_add_f64_e32 v[2:3], v[2:3], v[121:122]
	v_add_f64_e32 v[10:11], v[10:11], v[123:124]
	ds_load_b128 v[121:124], v1 offset:816
	s_wait_loadcnt_dscnt 0x901
	v_mul_f64_e32 v[135:136], v[77:78], v[99:100]
	v_mul_f64_e32 v[99:100], v[79:80], v[99:100]
	v_add_f64_e32 v[2:3], v[2:3], v[133:134]
	v_add_f64_e32 v[10:11], v[10:11], v[129:130]
	s_wait_loadcnt_dscnt 0x800
	v_mul_f64_e32 v[129:130], v[121:122], v[103:104]
	v_mul_f64_e32 v[103:104], v[123:124], v[103:104]
	v_fma_f64 v[131:132], v[79:80], v[97:98], v[135:136]
	v_fma_f64 v[133:134], v[77:78], v[97:98], -v[99:100]
	ds_load_b128 v[77:80], v1 offset:832
	scratch_load_b128 v[97:100], off, off offset:464
	v_add_f64_e32 v[2:3], v[2:3], v[109:110]
	v_add_f64_e32 v[10:11], v[10:11], v[111:112]
	ds_load_b128 v[109:112], v1 offset:848
	s_wait_loadcnt_dscnt 0x801
	v_mul_f64_e32 v[135:136], v[77:78], v[107:108]
	v_mul_f64_e32 v[107:108], v[79:80], v[107:108]
	v_fma_f64 v[123:124], v[123:124], v[101:102], v[129:130]
	v_fma_f64 v[121:122], v[121:122], v[101:102], -v[103:104]
	scratch_load_b128 v[101:104], off, off offset:480
	v_add_f64_e32 v[2:3], v[2:3], v[133:134]
	v_add_f64_e32 v[10:11], v[10:11], v[131:132]
	v_fma_f64 v[133:134], v[79:80], v[105:106], v[135:136]
	v_fma_f64 v[135:136], v[77:78], v[105:106], -v[107:108]
	scratch_load_b128 v[77:80], off, off offset:496
	ds_load_b128 v[105:108], v1 offset:880
	s_wait_loadcnt_dscnt 0x901
	v_mul_f64_e32 v[129:130], v[109:110], v[8:9]
	v_mul_f64_e32 v[131:132], v[111:112], v[8:9]
	v_add_f64_e32 v[2:3], v[2:3], v[121:122]
	v_add_f64_e32 v[121:122], v[10:11], v[123:124]
	ds_load_b128 v[8:11], v1 offset:864
	v_fma_f64 v[129:130], v[111:112], v[6:7], v[129:130]
	v_fma_f64 v[6:7], v[109:110], v[6:7], -v[131:132]
	scratch_load_b128 v[109:112], off, off offset:512
	s_wait_loadcnt_dscnt 0x900
	v_mul_f64_e32 v[123:124], v[8:9], v[115:116]
	v_mul_f64_e32 v[115:116], v[10:11], v[115:116]
	s_wait_loadcnt 0x8
	v_mul_f64_e32 v[131:132], v[105:106], v[127:128]
	v_mul_f64_e32 v[127:128], v[107:108], v[127:128]
	v_add_f64_e32 v[2:3], v[2:3], v[135:136]
	v_add_f64_e32 v[121:122], v[121:122], v[133:134]
	v_fma_f64 v[10:11], v[10:11], v[113:114], v[123:124]
	v_fma_f64 v[123:124], v[8:9], v[113:114], -v[115:116]
	v_fma_f64 v[107:108], v[107:108], v[125:126], v[131:132]
	v_fma_f64 v[105:106], v[105:106], v[125:126], -v[127:128]
	v_add_f64_e32 v[2:3], v[2:3], v[6:7]
	v_add_f64_e32 v[121:122], v[121:122], v[129:130]
	ds_load_b128 v[6:9], v1 offset:896
	ds_load_b128 v[113:116], v1 offset:912
	s_wait_loadcnt_dscnt 0x701
	v_mul_f64_e32 v[129:130], v[6:7], v[83:84]
	v_mul_f64_e32 v[83:84], v[8:9], v[83:84]
	v_add_f64_e32 v[2:3], v[2:3], v[123:124]
	v_add_f64_e32 v[10:11], v[121:122], v[10:11]
	s_wait_loadcnt_dscnt 0x600
	v_mul_f64_e32 v[121:122], v[113:114], v[87:88]
	v_mul_f64_e32 v[87:88], v[115:116], v[87:88]
	v_fma_f64 v[123:124], v[8:9], v[81:82], v[129:130]
	v_fma_f64 v[125:126], v[6:7], v[81:82], -v[83:84]
	ds_load_b128 v[6:9], v1 offset:928
	ds_load_b128 v[81:84], v1 offset:944
	v_add_f64_e32 v[2:3], v[2:3], v[105:106]
	v_add_f64_e32 v[10:11], v[10:11], v[107:108]
	v_fma_f64 v[107:108], v[115:116], v[85:86], v[121:122]
	v_fma_f64 v[85:86], v[113:114], v[85:86], -v[87:88]
	s_wait_loadcnt_dscnt 0x401
	v_mul_f64_e32 v[105:106], v[6:7], v[91:92]
	v_mul_f64_e32 v[91:92], v[8:9], v[91:92]
	s_wait_dscnt 0x0
	v_mul_f64_e32 v[113:114], v[81:82], v[95:96]
	v_mul_f64_e32 v[95:96], v[83:84], v[95:96]
	v_add_f64_e32 v[2:3], v[2:3], v[125:126]
	v_add_f64_e32 v[10:11], v[10:11], v[123:124]
	v_fma_f64 v[105:106], v[8:9], v[89:90], v[105:106]
	v_fma_f64 v[89:90], v[6:7], v[89:90], -v[91:92]
	v_fma_f64 v[83:84], v[83:84], v[93:94], v[113:114]
	v_fma_f64 v[81:82], v[81:82], v[93:94], -v[95:96]
	v_add_f64_e32 v[2:3], v[2:3], v[85:86]
	v_add_f64_e32 v[10:11], v[10:11], v[107:108]
	ds_load_b128 v[6:9], v1 offset:960
	ds_load_b128 v[85:88], v1 offset:976
	s_wait_loadcnt_dscnt 0x301
	v_mul_f64_e32 v[91:92], v[6:7], v[99:100]
	v_mul_f64_e32 v[99:100], v[8:9], v[99:100]
	s_wait_loadcnt_dscnt 0x200
	v_mul_f64_e32 v[93:94], v[87:88], v[103:104]
	v_add_f64_e32 v[2:3], v[2:3], v[89:90]
	v_add_f64_e32 v[10:11], v[10:11], v[105:106]
	v_mul_f64_e32 v[89:90], v[85:86], v[103:104]
	v_fma_f64 v[91:92], v[8:9], v[97:98], v[91:92]
	v_fma_f64 v[95:96], v[6:7], v[97:98], -v[99:100]
	v_fma_f64 v[85:86], v[85:86], v[101:102], -v[93:94]
	v_add_f64_e32 v[81:82], v[2:3], v[81:82]
	v_add_f64_e32 v[10:11], v[10:11], v[83:84]
	ds_load_b128 v[6:9], v1 offset:992
	ds_load_b128 v[1:4], v1 offset:1008
	v_fma_f64 v[87:88], v[87:88], v[101:102], v[89:90]
	s_wait_loadcnt_dscnt 0x101
	v_mul_f64_e32 v[83:84], v[6:7], v[79:80]
	v_mul_f64_e32 v[79:80], v[8:9], v[79:80]
	s_wait_loadcnt_dscnt 0x0
	v_mul_f64_e32 v[89:90], v[1:2], v[111:112]
	v_add_f64_e32 v[81:82], v[81:82], v[95:96]
	v_add_f64_e32 v[10:11], v[10:11], v[91:92]
	v_mul_f64_e32 v[91:92], v[3:4], v[111:112]
	v_fma_f64 v[8:9], v[8:9], v[77:78], v[83:84]
	v_fma_f64 v[6:7], v[6:7], v[77:78], -v[79:80]
	v_fma_f64 v[3:4], v[3:4], v[109:110], v[89:90]
	v_add_f64_e32 v[77:78], v[81:82], v[85:86]
	v_add_f64_e32 v[10:11], v[10:11], v[87:88]
	v_fma_f64 v[1:2], v[1:2], v[109:110], -v[91:92]
	s_delay_alu instid0(VALU_DEP_3) | instskip(NEXT) | instid1(VALU_DEP_3)
	v_add_f64_e32 v[6:7], v[77:78], v[6:7]
	v_add_f64_e32 v[8:9], v[10:11], v[8:9]
	s_delay_alu instid0(VALU_DEP_2) | instskip(NEXT) | instid1(VALU_DEP_2)
	v_add_f64_e32 v[1:2], v[6:7], v[1:2]
	v_add_f64_e32 v[3:4], v[8:9], v[3:4]
	s_delay_alu instid0(VALU_DEP_2) | instskip(NEXT) | instid1(VALU_DEP_2)
	v_add_f64_e64 v[1:2], v[117:118], -v[1:2]
	v_add_f64_e64 v[3:4], v[119:120], -v[3:4]
	scratch_store_b128 off, v[1:4], off offset:32
	v_cmpx_ne_u32_e32 0, v0
	s_cbranch_execz .LBB31_205
; %bb.204:
	scratch_load_b128 v[0:3], off, off offset:16
	v_mov_b32_e32 v6, 0
	s_delay_alu instid0(VALU_DEP_1)
	v_dual_mov_b32 v7, v6 :: v_dual_mov_b32 v8, v6
	v_mov_b32_e32 v9, v6
	scratch_store_b128 off, v[6:9], off offset:16
	s_wait_loadcnt 0x0
	ds_store_b128 v5, v[0:3]
.LBB31_205:
	s_wait_alu 0xfffe
	s_or_b32 exec_lo, exec_lo, s0
	s_wait_storecnt_dscnt 0x0
	s_barrier_signal -1
	s_barrier_wait -1
	global_inv scope:SCOPE_SE
	s_clause 0x7
	scratch_load_b128 v[1:4], off, off offset:32
	scratch_load_b128 v[5:8], off, off offset:48
	;; [unrolled: 1-line block ×8, first 2 shown]
	v_mov_b32_e32 v0, 0
	s_and_b32 vcc_lo, exec_lo, s18
	ds_load_b128 v[97:100], v0 offset:528
	s_clause 0x1
	scratch_load_b128 v[101:104], off, off offset:160
	scratch_load_b128 v[105:108], off, off offset:16
	ds_load_b128 v[109:112], v0 offset:544
	scratch_load_b128 v[113:116], off, off offset:176
	s_wait_loadcnt_dscnt 0xa01
	v_mul_f64_e32 v[117:118], v[99:100], v[3:4]
	v_mul_f64_e32 v[3:4], v[97:98], v[3:4]
	s_delay_alu instid0(VALU_DEP_2) | instskip(NEXT) | instid1(VALU_DEP_2)
	v_fma_f64 v[123:124], v[97:98], v[1:2], -v[117:118]
	v_fma_f64 v[125:126], v[99:100], v[1:2], v[3:4]
	ds_load_b128 v[1:4], v0 offset:560
	s_wait_loadcnt_dscnt 0x901
	v_mul_f64_e32 v[121:122], v[109:110], v[7:8]
	v_mul_f64_e32 v[7:8], v[111:112], v[7:8]
	scratch_load_b128 v[97:100], off, off offset:192
	ds_load_b128 v[117:120], v0 offset:576
	s_wait_loadcnt_dscnt 0x901
	v_mul_f64_e32 v[127:128], v[1:2], v[11:12]
	v_mul_f64_e32 v[11:12], v[3:4], v[11:12]
	v_fma_f64 v[111:112], v[111:112], v[5:6], v[121:122]
	v_fma_f64 v[109:110], v[109:110], v[5:6], -v[7:8]
	v_add_f64_e32 v[121:122], 0, v[123:124]
	v_add_f64_e32 v[123:124], 0, v[125:126]
	scratch_load_b128 v[5:8], off, off offset:208
	v_fma_f64 v[127:128], v[3:4], v[9:10], v[127:128]
	v_fma_f64 v[129:130], v[1:2], v[9:10], -v[11:12]
	ds_load_b128 v[1:4], v0 offset:592
	s_wait_loadcnt_dscnt 0x901
	v_mul_f64_e32 v[125:126], v[117:118], v[79:80]
	v_mul_f64_e32 v[79:80], v[119:120], v[79:80]
	scratch_load_b128 v[9:12], off, off offset:224
	v_add_f64_e32 v[121:122], v[121:122], v[109:110]
	v_add_f64_e32 v[123:124], v[123:124], v[111:112]
	s_wait_loadcnt_dscnt 0x900
	v_mul_f64_e32 v[131:132], v[1:2], v[83:84]
	v_mul_f64_e32 v[83:84], v[3:4], v[83:84]
	ds_load_b128 v[109:112], v0 offset:608
	v_fma_f64 v[119:120], v[119:120], v[77:78], v[125:126]
	v_fma_f64 v[117:118], v[117:118], v[77:78], -v[79:80]
	scratch_load_b128 v[77:80], off, off offset:240
	v_add_f64_e32 v[121:122], v[121:122], v[129:130]
	v_add_f64_e32 v[123:124], v[123:124], v[127:128]
	v_fma_f64 v[127:128], v[3:4], v[81:82], v[131:132]
	v_fma_f64 v[129:130], v[1:2], v[81:82], -v[83:84]
	ds_load_b128 v[1:4], v0 offset:624
	s_wait_loadcnt_dscnt 0x901
	v_mul_f64_e32 v[125:126], v[109:110], v[87:88]
	v_mul_f64_e32 v[87:88], v[111:112], v[87:88]
	scratch_load_b128 v[81:84], off, off offset:256
	s_wait_loadcnt_dscnt 0x900
	v_mul_f64_e32 v[131:132], v[1:2], v[91:92]
	v_mul_f64_e32 v[91:92], v[3:4], v[91:92]
	v_add_f64_e32 v[121:122], v[121:122], v[117:118]
	v_add_f64_e32 v[123:124], v[123:124], v[119:120]
	ds_load_b128 v[117:120], v0 offset:640
	v_fma_f64 v[111:112], v[111:112], v[85:86], v[125:126]
	v_fma_f64 v[109:110], v[109:110], v[85:86], -v[87:88]
	scratch_load_b128 v[85:88], off, off offset:272
	v_add_f64_e32 v[121:122], v[121:122], v[129:130]
	v_add_f64_e32 v[123:124], v[123:124], v[127:128]
	v_fma_f64 v[127:128], v[3:4], v[89:90], v[131:132]
	v_fma_f64 v[129:130], v[1:2], v[89:90], -v[91:92]
	ds_load_b128 v[1:4], v0 offset:656
	s_wait_loadcnt_dscnt 0x901
	v_mul_f64_e32 v[125:126], v[117:118], v[95:96]
	v_mul_f64_e32 v[95:96], v[119:120], v[95:96]
	scratch_load_b128 v[89:92], off, off offset:288
	s_wait_loadcnt_dscnt 0x900
	v_mul_f64_e32 v[131:132], v[1:2], v[103:104]
	v_mul_f64_e32 v[103:104], v[3:4], v[103:104]
	v_add_f64_e32 v[121:122], v[121:122], v[109:110]
	v_add_f64_e32 v[123:124], v[123:124], v[111:112]
	ds_load_b128 v[109:112], v0 offset:672
	v_fma_f64 v[119:120], v[119:120], v[93:94], v[125:126]
	v_fma_f64 v[117:118], v[117:118], v[93:94], -v[95:96]
	scratch_load_b128 v[93:96], off, off offset:304
	v_add_f64_e32 v[121:122], v[121:122], v[129:130]
	v_add_f64_e32 v[123:124], v[123:124], v[127:128]
	v_fma_f64 v[129:130], v[3:4], v[101:102], v[131:132]
	v_fma_f64 v[131:132], v[1:2], v[101:102], -v[103:104]
	ds_load_b128 v[1:4], v0 offset:688
	s_wait_loadcnt_dscnt 0x801
	v_mul_f64_e32 v[125:126], v[109:110], v[115:116]
	v_mul_f64_e32 v[127:128], v[111:112], v[115:116]
	scratch_load_b128 v[101:104], off, off offset:320
	v_add_f64_e32 v[121:122], v[121:122], v[117:118]
	v_add_f64_e32 v[119:120], v[123:124], v[119:120]
	ds_load_b128 v[115:118], v0 offset:704
	v_fma_f64 v[125:126], v[111:112], v[113:114], v[125:126]
	v_fma_f64 v[113:114], v[109:110], v[113:114], -v[127:128]
	scratch_load_b128 v[109:112], off, off offset:336
	s_wait_loadcnt_dscnt 0x901
	v_mul_f64_e32 v[123:124], v[1:2], v[99:100]
	v_mul_f64_e32 v[99:100], v[3:4], v[99:100]
	v_add_f64_e32 v[121:122], v[121:122], v[131:132]
	v_add_f64_e32 v[119:120], v[119:120], v[129:130]
	s_delay_alu instid0(VALU_DEP_4) | instskip(NEXT) | instid1(VALU_DEP_4)
	v_fma_f64 v[123:124], v[3:4], v[97:98], v[123:124]
	v_fma_f64 v[129:130], v[1:2], v[97:98], -v[99:100]
	ds_load_b128 v[1:4], v0 offset:720
	s_wait_loadcnt_dscnt 0x801
	v_mul_f64_e32 v[127:128], v[115:116], v[7:8]
	v_mul_f64_e32 v[7:8], v[117:118], v[7:8]
	scratch_load_b128 v[97:100], off, off offset:352
	s_wait_loadcnt_dscnt 0x800
	v_mul_f64_e32 v[131:132], v[1:2], v[11:12]
	v_add_f64_e32 v[113:114], v[121:122], v[113:114]
	v_add_f64_e32 v[125:126], v[119:120], v[125:126]
	v_mul_f64_e32 v[11:12], v[3:4], v[11:12]
	ds_load_b128 v[119:122], v0 offset:736
	v_fma_f64 v[117:118], v[117:118], v[5:6], v[127:128]
	v_fma_f64 v[115:116], v[115:116], v[5:6], -v[7:8]
	scratch_load_b128 v[5:8], off, off offset:368
	v_fma_f64 v[127:128], v[3:4], v[9:10], v[131:132]
	v_add_f64_e32 v[113:114], v[113:114], v[129:130]
	v_add_f64_e32 v[123:124], v[125:126], v[123:124]
	v_fma_f64 v[129:130], v[1:2], v[9:10], -v[11:12]
	ds_load_b128 v[1:4], v0 offset:752
	s_wait_loadcnt_dscnt 0x801
	v_mul_f64_e32 v[125:126], v[119:120], v[79:80]
	v_mul_f64_e32 v[79:80], v[121:122], v[79:80]
	scratch_load_b128 v[9:12], off, off offset:384
	v_add_f64_e32 v[131:132], v[113:114], v[115:116]
	v_add_f64_e32 v[117:118], v[123:124], v[117:118]
	s_wait_loadcnt_dscnt 0x800
	v_mul_f64_e32 v[123:124], v[1:2], v[83:84]
	v_mul_f64_e32 v[83:84], v[3:4], v[83:84]
	v_fma_f64 v[121:122], v[121:122], v[77:78], v[125:126]
	v_fma_f64 v[119:120], v[119:120], v[77:78], -v[79:80]
	ds_load_b128 v[113:116], v0 offset:768
	scratch_load_b128 v[77:80], off, off offset:400
	v_add_f64_e32 v[125:126], v[131:132], v[129:130]
	v_add_f64_e32 v[117:118], v[117:118], v[127:128]
	v_fma_f64 v[123:124], v[3:4], v[81:82], v[123:124]
	v_fma_f64 v[129:130], v[1:2], v[81:82], -v[83:84]
	ds_load_b128 v[1:4], v0 offset:784
	s_wait_loadcnt_dscnt 0x801
	v_mul_f64_e32 v[127:128], v[113:114], v[87:88]
	v_mul_f64_e32 v[87:88], v[115:116], v[87:88]
	scratch_load_b128 v[81:84], off, off offset:416
	s_wait_loadcnt_dscnt 0x800
	v_mul_f64_e32 v[131:132], v[1:2], v[91:92]
	v_mul_f64_e32 v[91:92], v[3:4], v[91:92]
	v_add_f64_e32 v[125:126], v[125:126], v[119:120]
	v_add_f64_e32 v[121:122], v[117:118], v[121:122]
	ds_load_b128 v[117:120], v0 offset:800
	v_fma_f64 v[115:116], v[115:116], v[85:86], v[127:128]
	v_fma_f64 v[113:114], v[113:114], v[85:86], -v[87:88]
	scratch_load_b128 v[85:88], off, off offset:432
	v_fma_f64 v[127:128], v[3:4], v[89:90], v[131:132]
	v_add_f64_e32 v[125:126], v[125:126], v[129:130]
	v_add_f64_e32 v[121:122], v[121:122], v[123:124]
	v_fma_f64 v[129:130], v[1:2], v[89:90], -v[91:92]
	ds_load_b128 v[1:4], v0 offset:816
	s_wait_loadcnt_dscnt 0x801
	v_mul_f64_e32 v[123:124], v[117:118], v[95:96]
	v_mul_f64_e32 v[95:96], v[119:120], v[95:96]
	scratch_load_b128 v[89:92], off, off offset:448
	s_wait_loadcnt_dscnt 0x800
	v_mul_f64_e32 v[131:132], v[1:2], v[103:104]
	v_mul_f64_e32 v[103:104], v[3:4], v[103:104]
	v_add_f64_e32 v[125:126], v[125:126], v[113:114]
	v_add_f64_e32 v[121:122], v[121:122], v[115:116]
	ds_load_b128 v[113:116], v0 offset:832
	v_fma_f64 v[119:120], v[119:120], v[93:94], v[123:124]
	v_fma_f64 v[117:118], v[117:118], v[93:94], -v[95:96]
	scratch_load_b128 v[93:96], off, off offset:464
	v_add_f64_e32 v[123:124], v[125:126], v[129:130]
	v_add_f64_e32 v[121:122], v[121:122], v[127:128]
	v_fma_f64 v[127:128], v[3:4], v[101:102], v[131:132]
	v_fma_f64 v[129:130], v[1:2], v[101:102], -v[103:104]
	ds_load_b128 v[1:4], v0 offset:848
	s_wait_loadcnt_dscnt 0x801
	v_mul_f64_e32 v[125:126], v[113:114], v[111:112]
	v_mul_f64_e32 v[111:112], v[115:116], v[111:112]
	scratch_load_b128 v[101:104], off, off offset:480
	s_wait_loadcnt_dscnt 0x800
	v_mul_f64_e32 v[131:132], v[1:2], v[99:100]
	v_mul_f64_e32 v[99:100], v[3:4], v[99:100]
	v_add_f64_e32 v[123:124], v[123:124], v[117:118]
	v_add_f64_e32 v[121:122], v[121:122], v[119:120]
	ds_load_b128 v[117:120], v0 offset:864
	v_fma_f64 v[115:116], v[115:116], v[109:110], v[125:126]
	v_fma_f64 v[113:114], v[113:114], v[109:110], -v[111:112]
	scratch_load_b128 v[109:112], off, off offset:496
	v_add_f64_e32 v[123:124], v[123:124], v[129:130]
	v_add_f64_e32 v[121:122], v[121:122], v[127:128]
	v_fma_f64 v[127:128], v[3:4], v[97:98], v[131:132]
	v_fma_f64 v[129:130], v[1:2], v[97:98], -v[99:100]
	ds_load_b128 v[1:4], v0 offset:880
	s_wait_loadcnt_dscnt 0x801
	v_mul_f64_e32 v[125:126], v[117:118], v[7:8]
	v_mul_f64_e32 v[7:8], v[119:120], v[7:8]
	scratch_load_b128 v[97:100], off, off offset:512
	s_wait_loadcnt_dscnt 0x800
	v_mul_f64_e32 v[131:132], v[1:2], v[11:12]
	v_mul_f64_e32 v[11:12], v[3:4], v[11:12]
	v_add_f64_e32 v[123:124], v[123:124], v[113:114]
	v_add_f64_e32 v[121:122], v[121:122], v[115:116]
	ds_load_b128 v[113:116], v0 offset:896
	v_fma_f64 v[119:120], v[119:120], v[5:6], v[125:126]
	v_fma_f64 v[5:6], v[117:118], v[5:6], -v[7:8]
	v_add_f64_e32 v[7:8], v[123:124], v[129:130]
	v_add_f64_e32 v[117:118], v[121:122], v[127:128]
	s_wait_loadcnt_dscnt 0x700
	v_mul_f64_e32 v[121:122], v[113:114], v[79:80]
	v_mul_f64_e32 v[79:80], v[115:116], v[79:80]
	v_fma_f64 v[123:124], v[3:4], v[9:10], v[131:132]
	v_fma_f64 v[9:10], v[1:2], v[9:10], -v[11:12]
	v_add_f64_e32 v[11:12], v[7:8], v[5:6]
	v_add_f64_e32 v[117:118], v[117:118], v[119:120]
	ds_load_b128 v[1:4], v0 offset:912
	ds_load_b128 v[5:8], v0 offset:928
	v_fma_f64 v[115:116], v[115:116], v[77:78], v[121:122]
	v_fma_f64 v[77:78], v[113:114], v[77:78], -v[79:80]
	s_wait_loadcnt_dscnt 0x601
	v_mul_f64_e32 v[119:120], v[1:2], v[83:84]
	v_mul_f64_e32 v[83:84], v[3:4], v[83:84]
	s_wait_loadcnt_dscnt 0x500
	v_mul_f64_e32 v[79:80], v[5:6], v[87:88]
	v_mul_f64_e32 v[87:88], v[7:8], v[87:88]
	v_add_f64_e32 v[9:10], v[11:12], v[9:10]
	v_add_f64_e32 v[11:12], v[117:118], v[123:124]
	v_fma_f64 v[113:114], v[3:4], v[81:82], v[119:120]
	v_fma_f64 v[81:82], v[1:2], v[81:82], -v[83:84]
	v_fma_f64 v[7:8], v[7:8], v[85:86], v[79:80]
	v_fma_f64 v[5:6], v[5:6], v[85:86], -v[87:88]
	v_add_f64_e32 v[77:78], v[9:10], v[77:78]
	v_add_f64_e32 v[83:84], v[11:12], v[115:116]
	ds_load_b128 v[1:4], v0 offset:944
	ds_load_b128 v[9:12], v0 offset:960
	s_wait_loadcnt_dscnt 0x401
	v_mul_f64_e32 v[115:116], v[1:2], v[91:92]
	v_mul_f64_e32 v[91:92], v[3:4], v[91:92]
	v_add_f64_e32 v[77:78], v[77:78], v[81:82]
	v_add_f64_e32 v[79:80], v[83:84], v[113:114]
	s_wait_loadcnt_dscnt 0x300
	v_mul_f64_e32 v[81:82], v[9:10], v[95:96]
	v_mul_f64_e32 v[83:84], v[11:12], v[95:96]
	v_fma_f64 v[85:86], v[3:4], v[89:90], v[115:116]
	v_fma_f64 v[87:88], v[1:2], v[89:90], -v[91:92]
	v_add_f64_e32 v[77:78], v[77:78], v[5:6]
	v_add_f64_e32 v[79:80], v[79:80], v[7:8]
	ds_load_b128 v[1:4], v0 offset:976
	ds_load_b128 v[5:8], v0 offset:992
	v_fma_f64 v[11:12], v[11:12], v[93:94], v[81:82]
	v_fma_f64 v[9:10], v[9:10], v[93:94], -v[83:84]
	s_wait_loadcnt_dscnt 0x201
	v_mul_f64_e32 v[89:90], v[1:2], v[103:104]
	v_mul_f64_e32 v[91:92], v[3:4], v[103:104]
	s_wait_loadcnt_dscnt 0x100
	v_mul_f64_e32 v[81:82], v[5:6], v[111:112]
	v_mul_f64_e32 v[83:84], v[7:8], v[111:112]
	v_add_f64_e32 v[77:78], v[77:78], v[87:88]
	v_add_f64_e32 v[79:80], v[79:80], v[85:86]
	v_fma_f64 v[85:86], v[3:4], v[101:102], v[89:90]
	v_fma_f64 v[87:88], v[1:2], v[101:102], -v[91:92]
	ds_load_b128 v[1:4], v0 offset:1008
	v_fma_f64 v[7:8], v[7:8], v[109:110], v[81:82]
	v_fma_f64 v[5:6], v[5:6], v[109:110], -v[83:84]
	v_add_f64_e32 v[9:10], v[77:78], v[9:10]
	v_add_f64_e32 v[11:12], v[79:80], v[11:12]
	s_wait_loadcnt_dscnt 0x0
	v_mul_f64_e32 v[77:78], v[1:2], v[99:100]
	v_mul_f64_e32 v[79:80], v[3:4], v[99:100]
	s_delay_alu instid0(VALU_DEP_4) | instskip(NEXT) | instid1(VALU_DEP_4)
	v_add_f64_e32 v[9:10], v[9:10], v[87:88]
	v_add_f64_e32 v[11:12], v[11:12], v[85:86]
	s_delay_alu instid0(VALU_DEP_4) | instskip(NEXT) | instid1(VALU_DEP_4)
	v_fma_f64 v[3:4], v[3:4], v[97:98], v[77:78]
	v_fma_f64 v[1:2], v[1:2], v[97:98], -v[79:80]
	s_delay_alu instid0(VALU_DEP_4) | instskip(NEXT) | instid1(VALU_DEP_4)
	v_add_f64_e32 v[5:6], v[9:10], v[5:6]
	v_add_f64_e32 v[7:8], v[11:12], v[7:8]
	s_delay_alu instid0(VALU_DEP_2) | instskip(NEXT) | instid1(VALU_DEP_2)
	v_add_f64_e32 v[1:2], v[5:6], v[1:2]
	v_add_f64_e32 v[3:4], v[7:8], v[3:4]
	s_delay_alu instid0(VALU_DEP_2) | instskip(NEXT) | instid1(VALU_DEP_2)
	v_add_f64_e64 v[1:2], v[105:106], -v[1:2]
	v_add_f64_e64 v[3:4], v[107:108], -v[3:4]
	scratch_store_b128 off, v[1:4], off offset:16
	s_wait_alu 0xfffe
	s_cbranch_vccz .LBB31_268
; %bb.206:
	global_load_b32 v0, v0, s[2:3] offset:120
	s_wait_loadcnt 0x0
	v_cmp_ne_u32_e32 vcc_lo, 31, v0
	s_cbranch_vccz .LBB31_208
; %bb.207:
	v_lshlrev_b32_e32 v0, 4, v0
	s_delay_alu instid0(VALU_DEP_1)
	v_add_nc_u32_e32 v8, 16, v0
	s_clause 0x1
	scratch_load_b128 v[0:3], v8, off offset:-16
	scratch_load_b128 v[4:7], off, s22
	s_wait_loadcnt 0x1
	scratch_store_b128 off, v[0:3], s22
	s_wait_loadcnt 0x0
	scratch_store_b128 v8, v[4:7], off offset:-16
.LBB31_208:
	v_mov_b32_e32 v0, 0
	global_load_b32 v1, v0, s[2:3] offset:116
	s_wait_loadcnt 0x0
	v_cmp_eq_u32_e32 vcc_lo, 30, v1
	s_cbranch_vccnz .LBB31_210
; %bb.209:
	v_lshlrev_b32_e32 v1, 4, v1
	s_delay_alu instid0(VALU_DEP_1)
	v_add_nc_u32_e32 v9, 16, v1
	s_clause 0x1
	scratch_load_b128 v[1:4], v9, off offset:-16
	scratch_load_b128 v[5:8], off, s20
	s_wait_loadcnt 0x1
	scratch_store_b128 off, v[1:4], s20
	s_wait_loadcnt 0x0
	scratch_store_b128 v9, v[5:8], off offset:-16
.LBB31_210:
	global_load_b32 v0, v0, s[2:3] offset:112
	s_wait_loadcnt 0x0
	v_cmp_eq_u32_e32 vcc_lo, 29, v0
	s_cbranch_vccnz .LBB31_212
; %bb.211:
	v_lshlrev_b32_e32 v0, 4, v0
	s_delay_alu instid0(VALU_DEP_1)
	v_add_nc_u32_e32 v8, 16, v0
	s_clause 0x1
	scratch_load_b128 v[0:3], v8, off offset:-16
	scratch_load_b128 v[4:7], off, s21
	s_wait_loadcnt 0x1
	scratch_store_b128 off, v[0:3], s21
	s_wait_loadcnt 0x0
	scratch_store_b128 v8, v[4:7], off offset:-16
.LBB31_212:
	v_mov_b32_e32 v0, 0
	global_load_b32 v1, v0, s[2:3] offset:108
	s_wait_loadcnt 0x0
	v_cmp_eq_u32_e32 vcc_lo, 28, v1
	s_cbranch_vccnz .LBB31_214
; %bb.213:
	v_lshlrev_b32_e32 v1, 4, v1
	s_delay_alu instid0(VALU_DEP_1)
	v_add_nc_u32_e32 v9, 16, v1
	s_clause 0x1
	scratch_load_b128 v[1:4], v9, off offset:-16
	scratch_load_b128 v[5:8], off, s14
	s_wait_loadcnt 0x1
	scratch_store_b128 off, v[1:4], s14
	s_wait_loadcnt 0x0
	scratch_store_b128 v9, v[5:8], off offset:-16
.LBB31_214:
	global_load_b32 v0, v0, s[2:3] offset:104
	s_wait_loadcnt 0x0
	v_cmp_eq_u32_e32 vcc_lo, 27, v0
	s_cbranch_vccnz .LBB31_216
; %bb.215:
	v_lshlrev_b32_e32 v0, 4, v0
	s_delay_alu instid0(VALU_DEP_1)
	v_add_nc_u32_e32 v8, 16, v0
	s_clause 0x1
	scratch_load_b128 v[0:3], v8, off offset:-16
	scratch_load_b128 v[4:7], off, s19
	s_wait_loadcnt 0x1
	scratch_store_b128 off, v[0:3], s19
	s_wait_loadcnt 0x0
	scratch_store_b128 v8, v[4:7], off offset:-16
.LBB31_216:
	v_mov_b32_e32 v0, 0
	global_load_b32 v1, v0, s[2:3] offset:100
	s_wait_loadcnt 0x0
	v_cmp_eq_u32_e32 vcc_lo, 26, v1
	s_cbranch_vccnz .LBB31_218
; %bb.217:
	v_lshlrev_b32_e32 v1, 4, v1
	s_delay_alu instid0(VALU_DEP_1)
	v_add_nc_u32_e32 v9, 16, v1
	s_clause 0x1
	scratch_load_b128 v[1:4], v9, off offset:-16
	scratch_load_b128 v[5:8], off, s13
	s_wait_loadcnt 0x1
	scratch_store_b128 off, v[1:4], s13
	s_wait_loadcnt 0x0
	scratch_store_b128 v9, v[5:8], off offset:-16
.LBB31_218:
	global_load_b32 v0, v0, s[2:3] offset:96
	s_wait_loadcnt 0x0
	v_cmp_eq_u32_e32 vcc_lo, 25, v0
	s_cbranch_vccnz .LBB31_220
; %bb.219:
	v_lshlrev_b32_e32 v0, 4, v0
	s_delay_alu instid0(VALU_DEP_1)
	v_add_nc_u32_e32 v8, 16, v0
	s_clause 0x1
	scratch_load_b128 v[0:3], v8, off offset:-16
	scratch_load_b128 v[4:7], off, s15
	s_wait_loadcnt 0x1
	scratch_store_b128 off, v[0:3], s15
	s_wait_loadcnt 0x0
	scratch_store_b128 v8, v[4:7], off offset:-16
.LBB31_220:
	v_mov_b32_e32 v0, 0
	global_load_b32 v1, v0, s[2:3] offset:92
	s_wait_loadcnt 0x0
	v_cmp_eq_u32_e32 vcc_lo, 24, v1
	s_cbranch_vccnz .LBB31_222
; %bb.221:
	v_lshlrev_b32_e32 v1, 4, v1
	s_delay_alu instid0(VALU_DEP_1)
	v_add_nc_u32_e32 v9, 16, v1
	s_clause 0x1
	scratch_load_b128 v[1:4], v9, off offset:-16
	scratch_load_b128 v[5:8], off, s10
	s_wait_loadcnt 0x1
	scratch_store_b128 off, v[1:4], s10
	s_wait_loadcnt 0x0
	scratch_store_b128 v9, v[5:8], off offset:-16
.LBB31_222:
	global_load_b32 v0, v0, s[2:3] offset:88
	s_wait_loadcnt 0x0
	v_cmp_eq_u32_e32 vcc_lo, 23, v0
	s_cbranch_vccnz .LBB31_224
; %bb.223:
	v_lshlrev_b32_e32 v0, 4, v0
	s_delay_alu instid0(VALU_DEP_1)
	v_add_nc_u32_e32 v8, 16, v0
	s_clause 0x1
	scratch_load_b128 v[0:3], v8, off offset:-16
	scratch_load_b128 v[4:7], off, s12
	s_wait_loadcnt 0x1
	scratch_store_b128 off, v[0:3], s12
	s_wait_loadcnt 0x0
	scratch_store_b128 v8, v[4:7], off offset:-16
.LBB31_224:
	v_mov_b32_e32 v0, 0
	global_load_b32 v1, v0, s[2:3] offset:84
	s_wait_loadcnt 0x0
	v_cmp_eq_u32_e32 vcc_lo, 22, v1
	s_cbranch_vccnz .LBB31_226
; %bb.225:
	v_lshlrev_b32_e32 v1, 4, v1
	s_delay_alu instid0(VALU_DEP_1)
	v_add_nc_u32_e32 v9, 16, v1
	s_clause 0x1
	scratch_load_b128 v[1:4], v9, off offset:-16
	scratch_load_b128 v[5:8], off, s9
	s_wait_loadcnt 0x1
	scratch_store_b128 off, v[1:4], s9
	s_wait_loadcnt 0x0
	scratch_store_b128 v9, v[5:8], off offset:-16
.LBB31_226:
	global_load_b32 v0, v0, s[2:3] offset:80
	s_wait_loadcnt 0x0
	v_cmp_eq_u32_e32 vcc_lo, 21, v0
	s_cbranch_vccnz .LBB31_228
; %bb.227:
	v_lshlrev_b32_e32 v0, 4, v0
	s_delay_alu instid0(VALU_DEP_1)
	v_add_nc_u32_e32 v8, 16, v0
	s_clause 0x1
	scratch_load_b128 v[0:3], v8, off offset:-16
	scratch_load_b128 v[4:7], off, s11
	s_wait_loadcnt 0x1
	scratch_store_b128 off, v[0:3], s11
	s_wait_loadcnt 0x0
	scratch_store_b128 v8, v[4:7], off offset:-16
.LBB31_228:
	v_mov_b32_e32 v0, 0
	global_load_b32 v1, v0, s[2:3] offset:76
	s_wait_loadcnt 0x0
	v_cmp_eq_u32_e32 vcc_lo, 20, v1
	s_cbranch_vccnz .LBB31_230
; %bb.229:
	v_lshlrev_b32_e32 v1, 4, v1
	s_delay_alu instid0(VALU_DEP_1)
	v_add_nc_u32_e32 v9, 16, v1
	s_clause 0x1
	scratch_load_b128 v[1:4], v9, off offset:-16
	scratch_load_b128 v[5:8], off, s4
	s_wait_loadcnt 0x1
	scratch_store_b128 off, v[1:4], s4
	s_wait_loadcnt 0x0
	scratch_store_b128 v9, v[5:8], off offset:-16
.LBB31_230:
	global_load_b32 v0, v0, s[2:3] offset:72
	s_wait_loadcnt 0x0
	v_cmp_eq_u32_e32 vcc_lo, 19, v0
	s_cbranch_vccnz .LBB31_232
; %bb.231:
	v_lshlrev_b32_e32 v0, 4, v0
	s_delay_alu instid0(VALU_DEP_1)
	v_add_nc_u32_e32 v8, 16, v0
	s_clause 0x1
	scratch_load_b128 v[0:3], v8, off offset:-16
	scratch_load_b128 v[4:7], off, s8
	s_wait_loadcnt 0x1
	scratch_store_b128 off, v[0:3], s8
	s_wait_loadcnt 0x0
	scratch_store_b128 v8, v[4:7], off offset:-16
.LBB31_232:
	v_mov_b32_e32 v0, 0
	global_load_b32 v1, v0, s[2:3] offset:68
	s_wait_loadcnt 0x0
	v_cmp_eq_u32_e32 vcc_lo, 18, v1
	s_cbranch_vccnz .LBB31_234
; %bb.233:
	v_lshlrev_b32_e32 v1, 4, v1
	s_delay_alu instid0(VALU_DEP_1)
	v_add_nc_u32_e32 v9, 16, v1
	s_clause 0x1
	scratch_load_b128 v[1:4], v9, off offset:-16
	scratch_load_b128 v[5:8], off, s5
	s_wait_loadcnt 0x1
	scratch_store_b128 off, v[1:4], s5
	s_wait_loadcnt 0x0
	scratch_store_b128 v9, v[5:8], off offset:-16
.LBB31_234:
	global_load_b32 v0, v0, s[2:3] offset:64
	s_wait_loadcnt 0x0
	v_cmp_eq_u32_e32 vcc_lo, 17, v0
	s_cbranch_vccnz .LBB31_236
; %bb.235:
	v_lshlrev_b32_e32 v0, 4, v0
	s_delay_alu instid0(VALU_DEP_1)
	v_add_nc_u32_e32 v8, 16, v0
	s_clause 0x1
	scratch_load_b128 v[0:3], v8, off offset:-16
	scratch_load_b128 v[4:7], off, s27
	s_wait_loadcnt 0x1
	scratch_store_b128 off, v[0:3], s27
	s_wait_loadcnt 0x0
	scratch_store_b128 v8, v[4:7], off offset:-16
.LBB31_236:
	v_mov_b32_e32 v0, 0
	global_load_b32 v1, v0, s[2:3] offset:60
	s_wait_loadcnt 0x0
	v_cmp_eq_u32_e32 vcc_lo, 16, v1
	s_cbranch_vccnz .LBB31_238
; %bb.237:
	v_lshlrev_b32_e32 v1, 4, v1
	s_delay_alu instid0(VALU_DEP_1)
	v_add_nc_u32_e32 v9, 16, v1
	s_clause 0x1
	scratch_load_b128 v[1:4], v9, off offset:-16
	scratch_load_b128 v[5:8], off, s28
	s_wait_loadcnt 0x1
	scratch_store_b128 off, v[1:4], s28
	s_wait_loadcnt 0x0
	scratch_store_b128 v9, v[5:8], off offset:-16
.LBB31_238:
	global_load_b32 v0, v0, s[2:3] offset:56
	s_wait_loadcnt 0x0
	v_cmp_eq_u32_e32 vcc_lo, 15, v0
	s_cbranch_vccnz .LBB31_240
; %bb.239:
	v_lshlrev_b32_e32 v0, 4, v0
	s_delay_alu instid0(VALU_DEP_1)
	v_add_nc_u32_e32 v8, 16, v0
	s_clause 0x1
	scratch_load_b128 v[0:3], v8, off offset:-16
	scratch_load_b128 v[4:7], off, s29
	s_wait_loadcnt 0x1
	scratch_store_b128 off, v[0:3], s29
	s_wait_loadcnt 0x0
	scratch_store_b128 v8, v[4:7], off offset:-16
.LBB31_240:
	v_mov_b32_e32 v0, 0
	global_load_b32 v1, v0, s[2:3] offset:52
	s_wait_loadcnt 0x0
	v_cmp_eq_u32_e32 vcc_lo, 14, v1
	s_cbranch_vccnz .LBB31_242
; %bb.241:
	v_lshlrev_b32_e32 v1, 4, v1
	s_delay_alu instid0(VALU_DEP_1)
	v_add_nc_u32_e32 v9, 16, v1
	s_clause 0x1
	scratch_load_b128 v[1:4], v9, off offset:-16
	scratch_load_b128 v[5:8], off, s30
	s_wait_loadcnt 0x1
	scratch_store_b128 off, v[1:4], s30
	s_wait_loadcnt 0x0
	scratch_store_b128 v9, v[5:8], off offset:-16
.LBB31_242:
	global_load_b32 v0, v0, s[2:3] offset:48
	s_wait_loadcnt 0x0
	v_cmp_eq_u32_e32 vcc_lo, 13, v0
	s_cbranch_vccnz .LBB31_244
; %bb.243:
	v_lshlrev_b32_e32 v0, 4, v0
	s_delay_alu instid0(VALU_DEP_1)
	v_add_nc_u32_e32 v8, 16, v0
	s_clause 0x1
	scratch_load_b128 v[0:3], v8, off offset:-16
	scratch_load_b128 v[4:7], off, s31
	s_wait_loadcnt 0x1
	scratch_store_b128 off, v[0:3], s31
	s_wait_loadcnt 0x0
	scratch_store_b128 v8, v[4:7], off offset:-16
.LBB31_244:
	v_mov_b32_e32 v0, 0
	global_load_b32 v1, v0, s[2:3] offset:44
	s_wait_loadcnt 0x0
	v_cmp_eq_u32_e32 vcc_lo, 12, v1
	s_cbranch_vccnz .LBB31_246
; %bb.245:
	v_lshlrev_b32_e32 v1, 4, v1
	s_delay_alu instid0(VALU_DEP_1)
	v_add_nc_u32_e32 v9, 16, v1
	s_clause 0x1
	scratch_load_b128 v[1:4], v9, off offset:-16
	scratch_load_b128 v[5:8], off, s33
	s_wait_loadcnt 0x1
	scratch_store_b128 off, v[1:4], s33
	s_wait_loadcnt 0x0
	scratch_store_b128 v9, v[5:8], off offset:-16
.LBB31_246:
	global_load_b32 v0, v0, s[2:3] offset:40
	s_wait_loadcnt 0x0
	v_cmp_eq_u32_e32 vcc_lo, 11, v0
	s_cbranch_vccnz .LBB31_248
; %bb.247:
	v_lshlrev_b32_e32 v0, 4, v0
	s_delay_alu instid0(VALU_DEP_1)
	v_add_nc_u32_e32 v8, 16, v0
	s_clause 0x1
	scratch_load_b128 v[0:3], v8, off offset:-16
	scratch_load_b128 v[4:7], off, s34
	s_wait_loadcnt 0x1
	scratch_store_b128 off, v[0:3], s34
	s_wait_loadcnt 0x0
	scratch_store_b128 v8, v[4:7], off offset:-16
.LBB31_248:
	v_mov_b32_e32 v0, 0
	global_load_b32 v1, v0, s[2:3] offset:36
	s_wait_loadcnt 0x0
	v_cmp_eq_u32_e32 vcc_lo, 10, v1
	s_cbranch_vccnz .LBB31_250
; %bb.249:
	v_lshlrev_b32_e32 v1, 4, v1
	s_delay_alu instid0(VALU_DEP_1)
	v_add_nc_u32_e32 v9, 16, v1
	s_clause 0x1
	scratch_load_b128 v[1:4], v9, off offset:-16
	scratch_load_b128 v[5:8], off, s35
	s_wait_loadcnt 0x1
	scratch_store_b128 off, v[1:4], s35
	s_wait_loadcnt 0x0
	scratch_store_b128 v9, v[5:8], off offset:-16
.LBB31_250:
	global_load_b32 v0, v0, s[2:3] offset:32
	s_wait_loadcnt 0x0
	v_cmp_eq_u32_e32 vcc_lo, 9, v0
	s_cbranch_vccnz .LBB31_252
; %bb.251:
	v_lshlrev_b32_e32 v0, 4, v0
	s_delay_alu instid0(VALU_DEP_1)
	v_add_nc_u32_e32 v8, 16, v0
	s_clause 0x1
	scratch_load_b128 v[0:3], v8, off offset:-16
	scratch_load_b128 v[4:7], off, s36
	s_wait_loadcnt 0x1
	scratch_store_b128 off, v[0:3], s36
	s_wait_loadcnt 0x0
	scratch_store_b128 v8, v[4:7], off offset:-16
.LBB31_252:
	v_mov_b32_e32 v0, 0
	global_load_b32 v1, v0, s[2:3] offset:28
	s_wait_loadcnt 0x0
	v_cmp_eq_u32_e32 vcc_lo, 8, v1
	s_cbranch_vccnz .LBB31_254
; %bb.253:
	v_lshlrev_b32_e32 v1, 4, v1
	s_delay_alu instid0(VALU_DEP_1)
	v_add_nc_u32_e32 v9, 16, v1
	s_clause 0x1
	scratch_load_b128 v[1:4], v9, off offset:-16
	scratch_load_b128 v[5:8], off, s37
	s_wait_loadcnt 0x1
	scratch_store_b128 off, v[1:4], s37
	s_wait_loadcnt 0x0
	scratch_store_b128 v9, v[5:8], off offset:-16
.LBB31_254:
	global_load_b32 v0, v0, s[2:3] offset:24
	s_wait_loadcnt 0x0
	v_cmp_eq_u32_e32 vcc_lo, 7, v0
	s_cbranch_vccnz .LBB31_256
; %bb.255:
	v_lshlrev_b32_e32 v0, 4, v0
	s_delay_alu instid0(VALU_DEP_1)
	v_add_nc_u32_e32 v8, 16, v0
	s_clause 0x1
	scratch_load_b128 v[0:3], v8, off offset:-16
	scratch_load_b128 v[4:7], off, s38
	s_wait_loadcnt 0x1
	scratch_store_b128 off, v[0:3], s38
	s_wait_loadcnt 0x0
	scratch_store_b128 v8, v[4:7], off offset:-16
.LBB31_256:
	v_mov_b32_e32 v0, 0
	global_load_b32 v1, v0, s[2:3] offset:20
	s_wait_loadcnt 0x0
	v_cmp_eq_u32_e32 vcc_lo, 6, v1
	s_cbranch_vccnz .LBB31_258
; %bb.257:
	v_lshlrev_b32_e32 v1, 4, v1
	s_delay_alu instid0(VALU_DEP_1)
	v_add_nc_u32_e32 v9, 16, v1
	s_clause 0x1
	scratch_load_b128 v[1:4], v9, off offset:-16
	scratch_load_b128 v[5:8], off, s39
	s_wait_loadcnt 0x1
	scratch_store_b128 off, v[1:4], s39
	s_wait_loadcnt 0x0
	scratch_store_b128 v9, v[5:8], off offset:-16
.LBB31_258:
	global_load_b32 v0, v0, s[2:3] offset:16
	s_wait_loadcnt 0x0
	v_cmp_eq_u32_e32 vcc_lo, 5, v0
	s_cbranch_vccnz .LBB31_260
; %bb.259:
	v_lshlrev_b32_e32 v0, 4, v0
	s_delay_alu instid0(VALU_DEP_1)
	v_add_nc_u32_e32 v8, 16, v0
	s_clause 0x1
	scratch_load_b128 v[0:3], v8, off offset:-16
	scratch_load_b128 v[4:7], off, s23
	s_wait_loadcnt 0x1
	scratch_store_b128 off, v[0:3], s23
	s_wait_loadcnt 0x0
	scratch_store_b128 v8, v[4:7], off offset:-16
.LBB31_260:
	v_mov_b32_e32 v0, 0
	global_load_b32 v1, v0, s[2:3] offset:12
	s_wait_loadcnt 0x0
	v_cmp_eq_u32_e32 vcc_lo, 4, v1
	s_cbranch_vccnz .LBB31_262
; %bb.261:
	v_lshlrev_b32_e32 v1, 4, v1
	s_delay_alu instid0(VALU_DEP_1)
	v_add_nc_u32_e32 v9, 16, v1
	s_clause 0x1
	scratch_load_b128 v[1:4], v9, off offset:-16
	scratch_load_b128 v[5:8], off, s24
	s_wait_loadcnt 0x1
	scratch_store_b128 off, v[1:4], s24
	s_wait_loadcnt 0x0
	scratch_store_b128 v9, v[5:8], off offset:-16
.LBB31_262:
	global_load_b32 v0, v0, s[2:3] offset:8
	s_wait_loadcnt 0x0
	v_cmp_eq_u32_e32 vcc_lo, 3, v0
	s_cbranch_vccnz .LBB31_264
; %bb.263:
	v_lshlrev_b32_e32 v0, 4, v0
	s_delay_alu instid0(VALU_DEP_1)
	v_add_nc_u32_e32 v8, 16, v0
	s_clause 0x1
	scratch_load_b128 v[0:3], v8, off offset:-16
	scratch_load_b128 v[4:7], off, s25
	s_wait_loadcnt 0x1
	scratch_store_b128 off, v[0:3], s25
	s_wait_loadcnt 0x0
	scratch_store_b128 v8, v[4:7], off offset:-16
.LBB31_264:
	v_mov_b32_e32 v0, 0
	global_load_b32 v1, v0, s[2:3] offset:4
	s_wait_loadcnt 0x0
	v_cmp_eq_u32_e32 vcc_lo, 2, v1
	s_cbranch_vccnz .LBB31_266
; %bb.265:
	v_lshlrev_b32_e32 v1, 4, v1
	s_delay_alu instid0(VALU_DEP_1)
	v_add_nc_u32_e32 v9, 16, v1
	s_clause 0x1
	scratch_load_b128 v[1:4], v9, off offset:-16
	scratch_load_b128 v[5:8], off, s26
	s_wait_loadcnt 0x1
	scratch_store_b128 off, v[1:4], s26
	s_wait_loadcnt 0x0
	scratch_store_b128 v9, v[5:8], off offset:-16
.LBB31_266:
	global_load_b32 v0, v0, s[2:3]
	s_wait_loadcnt 0x0
	v_cmp_eq_u32_e32 vcc_lo, 1, v0
	s_cbranch_vccnz .LBB31_268
; %bb.267:
	v_lshlrev_b32_e32 v0, 4, v0
	s_delay_alu instid0(VALU_DEP_1)
	v_add_nc_u32_e32 v8, 16, v0
	scratch_load_b128 v[0:3], v8, off offset:-16
	scratch_load_b128 v[4:7], off, off offset:16
	s_wait_loadcnt 0x1
	scratch_store_b128 off, v[0:3], off offset:16
	s_wait_loadcnt 0x0
	scratch_store_b128 v8, v[4:7], off offset:-16
.LBB31_268:
	scratch_load_b128 v[0:3], off, off offset:16
	s_clause 0x10
	scratch_load_b128 v[4:7], off, s26
	scratch_load_b128 v[8:11], off, s25
	;; [unrolled: 1-line block ×17, first 2 shown]
	s_wait_loadcnt 0x11
	global_store_b128 v[13:14], v[0:3], off
	s_clause 0x1
	scratch_load_b128 v[0:3], off, s5
	scratch_load_b128 v[137:140], off, s8
	s_wait_loadcnt 0x12
	global_store_b128 v[15:16], v[4:7], off
	s_clause 0x1
	scratch_load_b128 v[4:7], off, s4
	scratch_load_b128 v[12:15], off, s11
	s_wait_loadcnt 0x13
	global_store_b128 v[17:18], v[8:11], off
	s_wait_loadcnt 0x12
	global_store_b128 v[21:22], v[77:80], off
	s_clause 0x1
	scratch_load_b128 v[8:11], off, s9
	scratch_load_b128 v[77:80], off, s12
	s_wait_loadcnt 0x13
	global_store_b128 v[19:20], v[81:84], off
	s_clause 0x1
	scratch_load_b128 v[16:19], off, s10
	scratch_load_b128 v[81:84], off, s15
	;; [unrolled: 5-line block ×3, first 2 shown]
	s_wait_loadcnt 0x15
	global_store_b128 v[25:26], v[89:92], off
	s_wait_loadcnt 0x14
	global_store_b128 v[27:28], v[93:96], off
	s_clause 0x1
	scratch_load_b128 v[24:27], off, s14
	scratch_load_b128 v[89:92], off, s21
	s_wait_loadcnt 0x15
	global_store_b128 v[29:30], v[97:100], off
	s_clause 0x1
	scratch_load_b128 v[93:96], off, s20
	scratch_load_b128 v[97:100], off, s22
	s_wait_loadcnt 0x16
	global_store_b128 v[31:32], v[101:104], off
	s_wait_loadcnt 0x15
	global_store_b128 v[33:34], v[105:108], off
	;; [unrolled: 2-line block ×21, first 2 shown]
	s_wait_loadcnt 0x0
	s_clause 0x1
	global_store_b128 v[73:74], v[97:100], off
	global_store_b128 v[75:76], v[133:136], off
	s_nop 0
	s_sendmsg sendmsg(MSG_DEALLOC_VGPRS)
	s_endpgm
	.section	.rodata,"a",@progbits
	.p2align	6, 0x0
	.amdhsa_kernel _ZN9rocsolver6v33100L18getri_kernel_smallILi32E19rocblas_complex_numIdEPS3_EEvT1_iilPiilS6_bb
		.amdhsa_group_segment_fixed_size 1032
		.amdhsa_private_segment_fixed_size 544
		.amdhsa_kernarg_size 60
		.amdhsa_user_sgpr_count 2
		.amdhsa_user_sgpr_dispatch_ptr 0
		.amdhsa_user_sgpr_queue_ptr 0
		.amdhsa_user_sgpr_kernarg_segment_ptr 1
		.amdhsa_user_sgpr_dispatch_id 0
		.amdhsa_user_sgpr_private_segment_size 0
		.amdhsa_wavefront_size32 1
		.amdhsa_uses_dynamic_stack 0
		.amdhsa_enable_private_segment 1
		.amdhsa_system_sgpr_workgroup_id_x 1
		.amdhsa_system_sgpr_workgroup_id_y 0
		.amdhsa_system_sgpr_workgroup_id_z 0
		.amdhsa_system_sgpr_workgroup_info 0
		.amdhsa_system_vgpr_workitem_id 0
		.amdhsa_next_free_vgpr 148
		.amdhsa_next_free_sgpr 44
		.amdhsa_reserve_vcc 1
		.amdhsa_float_round_mode_32 0
		.amdhsa_float_round_mode_16_64 0
		.amdhsa_float_denorm_mode_32 3
		.amdhsa_float_denorm_mode_16_64 3
		.amdhsa_fp16_overflow 0
		.amdhsa_workgroup_processor_mode 1
		.amdhsa_memory_ordered 1
		.amdhsa_forward_progress 1
		.amdhsa_inst_pref_size 255
		.amdhsa_round_robin_scheduling 0
		.amdhsa_exception_fp_ieee_invalid_op 0
		.amdhsa_exception_fp_denorm_src 0
		.amdhsa_exception_fp_ieee_div_zero 0
		.amdhsa_exception_fp_ieee_overflow 0
		.amdhsa_exception_fp_ieee_underflow 0
		.amdhsa_exception_fp_ieee_inexact 0
		.amdhsa_exception_int_div_zero 0
	.end_amdhsa_kernel
	.section	.text._ZN9rocsolver6v33100L18getri_kernel_smallILi32E19rocblas_complex_numIdEPS3_EEvT1_iilPiilS6_bb,"axG",@progbits,_ZN9rocsolver6v33100L18getri_kernel_smallILi32E19rocblas_complex_numIdEPS3_EEvT1_iilPiilS6_bb,comdat
.Lfunc_end31:
	.size	_ZN9rocsolver6v33100L18getri_kernel_smallILi32E19rocblas_complex_numIdEPS3_EEvT1_iilPiilS6_bb, .Lfunc_end31-_ZN9rocsolver6v33100L18getri_kernel_smallILi32E19rocblas_complex_numIdEPS3_EEvT1_iilPiilS6_bb
                                        ; -- End function
	.set _ZN9rocsolver6v33100L18getri_kernel_smallILi32E19rocblas_complex_numIdEPS3_EEvT1_iilPiilS6_bb.num_vgpr, 148
	.set _ZN9rocsolver6v33100L18getri_kernel_smallILi32E19rocblas_complex_numIdEPS3_EEvT1_iilPiilS6_bb.num_agpr, 0
	.set _ZN9rocsolver6v33100L18getri_kernel_smallILi32E19rocblas_complex_numIdEPS3_EEvT1_iilPiilS6_bb.numbered_sgpr, 44
	.set _ZN9rocsolver6v33100L18getri_kernel_smallILi32E19rocblas_complex_numIdEPS3_EEvT1_iilPiilS6_bb.num_named_barrier, 0
	.set _ZN9rocsolver6v33100L18getri_kernel_smallILi32E19rocblas_complex_numIdEPS3_EEvT1_iilPiilS6_bb.private_seg_size, 544
	.set _ZN9rocsolver6v33100L18getri_kernel_smallILi32E19rocblas_complex_numIdEPS3_EEvT1_iilPiilS6_bb.uses_vcc, 1
	.set _ZN9rocsolver6v33100L18getri_kernel_smallILi32E19rocblas_complex_numIdEPS3_EEvT1_iilPiilS6_bb.uses_flat_scratch, 1
	.set _ZN9rocsolver6v33100L18getri_kernel_smallILi32E19rocblas_complex_numIdEPS3_EEvT1_iilPiilS6_bb.has_dyn_sized_stack, 0
	.set _ZN9rocsolver6v33100L18getri_kernel_smallILi32E19rocblas_complex_numIdEPS3_EEvT1_iilPiilS6_bb.has_recursion, 0
	.set _ZN9rocsolver6v33100L18getri_kernel_smallILi32E19rocblas_complex_numIdEPS3_EEvT1_iilPiilS6_bb.has_indirect_call, 0
	.section	.AMDGPU.csdata,"",@progbits
; Kernel info:
; codeLenInByte = 49320
; TotalNumSgprs: 46
; NumVgprs: 148
; ScratchSize: 544
; MemoryBound: 0
; FloatMode: 240
; IeeeMode: 1
; LDSByteSize: 1032 bytes/workgroup (compile time only)
; SGPRBlocks: 0
; VGPRBlocks: 18
; NumSGPRsForWavesPerEU: 46
; NumVGPRsForWavesPerEU: 148
; Occupancy: 9
; WaveLimiterHint : 1
; COMPUTE_PGM_RSRC2:SCRATCH_EN: 1
; COMPUTE_PGM_RSRC2:USER_SGPR: 2
; COMPUTE_PGM_RSRC2:TRAP_HANDLER: 0
; COMPUTE_PGM_RSRC2:TGID_X_EN: 1
; COMPUTE_PGM_RSRC2:TGID_Y_EN: 0
; COMPUTE_PGM_RSRC2:TGID_Z_EN: 0
; COMPUTE_PGM_RSRC2:TIDIG_COMP_CNT: 0
	.section	.text._ZN9rocsolver6v33100L18getri_kernel_smallILi33E19rocblas_complex_numIdEPS3_EEvT1_iilPiilS6_bb,"axG",@progbits,_ZN9rocsolver6v33100L18getri_kernel_smallILi33E19rocblas_complex_numIdEPS3_EEvT1_iilPiilS6_bb,comdat
	.globl	_ZN9rocsolver6v33100L18getri_kernel_smallILi33E19rocblas_complex_numIdEPS3_EEvT1_iilPiilS6_bb ; -- Begin function _ZN9rocsolver6v33100L18getri_kernel_smallILi33E19rocblas_complex_numIdEPS3_EEvT1_iilPiilS6_bb
	.p2align	8
	.type	_ZN9rocsolver6v33100L18getri_kernel_smallILi33E19rocblas_complex_numIdEPS3_EEvT1_iilPiilS6_bb,@function
_ZN9rocsolver6v33100L18getri_kernel_smallILi33E19rocblas_complex_numIdEPS3_EEvT1_iilPiilS6_bb: ; @_ZN9rocsolver6v33100L18getri_kernel_smallILi33E19rocblas_complex_numIdEPS3_EEvT1_iilPiilS6_bb
; %bb.0:
	s_mov_b32 s2, exec_lo
	v_cmpx_gt_u32_e32 33, v0
	s_cbranch_execz .LBB32_146
; %bb.1:
	s_clause 0x2
	s_load_b32 s2, s[0:1], 0x38
	s_load_b128 s[12:15], s[0:1], 0x10
	s_load_b128 s[4:7], s[0:1], 0x28
	s_mov_b32 s16, ttmp9
	s_wait_kmcnt 0x0
	s_bitcmp1_b32 s2, 8
	s_cselect_b32 s18, -1, 0
	s_bfe_u32 s2, s2, 0x10008
	s_ashr_i32 s17, ttmp9, 31
	s_cmp_eq_u32 s2, 0
                                        ; implicit-def: $sgpr2_sgpr3
	s_cbranch_scc1 .LBB32_3
; %bb.2:
	s_load_b32 s2, s[0:1], 0x20
	s_mul_u64 s[4:5], s[4:5], s[16:17]
	s_delay_alu instid0(SALU_CYCLE_1) | instskip(NEXT) | instid1(SALU_CYCLE_1)
	s_lshl_b64 s[4:5], s[4:5], 2
	s_add_nc_u64 s[4:5], s[14:15], s[4:5]
	s_wait_kmcnt 0x0
	s_ashr_i32 s3, s2, 31
	s_delay_alu instid0(SALU_CYCLE_1) | instskip(NEXT) | instid1(SALU_CYCLE_1)
	s_lshl_b64 s[2:3], s[2:3], 2
	s_add_nc_u64 s[2:3], s[4:5], s[2:3]
.LBB32_3:
	s_clause 0x1
	s_load_b128 s[8:11], s[0:1], 0x0
	s_load_b32 s42, s[0:1], 0x38
	s_mul_u64 s[0:1], s[12:13], s[16:17]
	v_lshlrev_b32_e32 v87, 4, v0
	s_lshl_b64 s[0:1], s[0:1], 4
	s_movk_i32 s29, 0x140
	s_movk_i32 s15, 0xc0
	;; [unrolled: 1-line block ×4, first 2 shown]
	s_add_co_i32 s31, s29, 16
	s_movk_i32 s13, 0xa0
	s_movk_i32 s20, 0xe0
	s_add_co_i32 s28, s15, 16
	s_add_co_i32 s26, s19, 16
	;; [unrolled: 1-line block ×3, first 2 shown]
	s_movk_i32 s12, 0x90
	s_movk_i32 s23, 0x100
	s_add_co_i32 s33, s13, 16
	s_add_co_i32 s21, s20, 16
	s_movk_i32 s24, 0x110
	s_wait_kmcnt 0x0
	v_add3_u32 v5, s11, s11, v0
	s_ashr_i32 s5, s10, 31
	s_mov_b32 s4, s10
	s_add_nc_u64 s[0:1], s[8:9], s[0:1]
	s_lshl_b64 s[4:5], s[4:5], 4
	v_add_nc_u32_e32 v7, s11, v5
	v_ashrrev_i32_e32 v6, 31, v5
	s_add_nc_u64 s[0:1], s[0:1], s[4:5]
	s_ashr_i32 s9, s11, 31
	v_add_co_u32 v21, s4, s0, v87
	v_add_nc_u32_e32 v9, s11, v7
	v_ashrrev_i32_e32 v8, 31, v7
	s_mov_b32 s8, s11
	v_lshlrev_b64_e32 v[5:6], 4, v[5:6]
	v_add_co_ci_u32_e64 v22, null, s1, 0, s4
	v_add_nc_u32_e32 v13, s11, v9
	v_ashrrev_i32_e32 v10, 31, v9
	s_lshl_b64 s[8:9], s[8:9], 4
	v_lshlrev_b64_e32 v[15:16], 4, v[7:8]
	v_add_co_u32 v23, vcc_lo, v21, s8
	v_add_nc_u32_e32 v19, s11, v13
	v_ashrrev_i32_e32 v14, 31, v13
	v_lshlrev_b64_e32 v[17:18], 4, v[9:10]
	v_add_co_ci_u32_e64 v24, null, s9, v22, vcc_lo
	s_delay_alu instid0(VALU_DEP_4) | instskip(SKIP_3) | instid1(VALU_DEP_4)
	v_add_nc_u32_e32 v33, s11, v19
	v_ashrrev_i32_e32 v20, 31, v19
	v_add_co_u32 v25, vcc_lo, s0, v5
	v_lshlrev_b64_e32 v[31:32], 4, v[13:14]
	v_add_nc_u32_e32 v37, s11, v33
	v_ashrrev_i32_e32 v34, 31, v33
	s_wait_alu 0xfffd
	v_add_co_ci_u32_e64 v26, null, s1, v6, vcc_lo
	v_add_co_u32 v27, vcc_lo, s0, v15
	v_lshlrev_b64_e32 v[35:36], 4, v[19:20]
	v_add_nc_u32_e32 v41, s11, v37
	s_wait_alu 0xfffd
	v_add_co_ci_u32_e64 v28, null, s1, v16, vcc_lo
	v_add_co_u32 v29, vcc_lo, s0, v17
	v_lshlrev_b64_e32 v[39:40], 4, v[33:34]
	s_wait_alu 0xfffd
	v_add_co_ci_u32_e64 v30, null, s1, v18, vcc_lo
	v_add_co_u32 v31, vcc_lo, s0, v31
	v_ashrrev_i32_e32 v42, 31, v41
	v_add_nc_u32_e32 v43, s11, v41
	s_wait_alu 0xfffd
	v_add_co_ci_u32_e64 v32, null, s1, v32, vcc_lo
	v_add_co_u32 v33, vcc_lo, s0, v35
	s_wait_alu 0xfffd
	v_add_co_ci_u32_e64 v34, null, s1, v36, vcc_lo
	v_add_co_u32 v35, vcc_lo, s0, v39
	s_wait_alu 0xfffd
	v_add_co_ci_u32_e64 v36, null, s1, v40, vcc_lo
	v_lshlrev_b64_e32 v[39:40], 4, v[41:42]
	v_add_nc_u32_e32 v41, s11, v43
	v_ashrrev_i32_e32 v38, 31, v37
	v_ashrrev_i32_e32 v44, 31, v43
	s_clause 0x2
	global_load_b128 v[1:4], v87, s[0:1]
	global_load_b128 v[5:8], v[23:24], off
	global_load_b128 v[9:12], v[25:26], off
	v_add_nc_u32_e32 v45, s11, v41
	v_lshlrev_b64_e32 v[37:38], 4, v[37:38]
	v_ashrrev_i32_e32 v42, 31, v41
	v_lshlrev_b64_e32 v[43:44], 4, v[43:44]
	s_clause 0x1
	global_load_b128 v[13:16], v[27:28], off
	global_load_b128 v[17:20], v[29:30], off
	v_add_nc_u32_e32 v49, s11, v45
	v_ashrrev_i32_e32 v46, 31, v45
	v_add_co_u32 v37, vcc_lo, s0, v37
	v_lshlrev_b64_e32 v[47:48], 4, v[41:42]
	s_delay_alu instid0(VALU_DEP_4)
	v_add_nc_u32_e32 v51, s11, v49
	s_wait_alu 0xfffd
	v_add_co_ci_u32_e64 v38, null, s1, v38, vcc_lo
	v_add_co_u32 v39, vcc_lo, s0, v39
	v_ashrrev_i32_e32 v50, 31, v49
	s_wait_alu 0xfffd
	v_add_co_ci_u32_e64 v40, null, s1, v40, vcc_lo
	v_add_co_u32 v41, vcc_lo, s0, v43
	v_ashrrev_i32_e32 v52, 31, v51
	s_wait_alu 0xfffd
	v_add_co_ci_u32_e64 v42, null, s1, v44, vcc_lo
	v_lshlrev_b64_e32 v[45:46], 4, v[45:46]
	v_add_co_u32 v43, vcc_lo, s0, v47
	s_wait_alu 0xfffd
	v_add_co_ci_u32_e64 v44, null, s1, v48, vcc_lo
	v_lshlrev_b64_e32 v[47:48], 4, v[49:50]
	v_lshlrev_b64_e32 v[49:50], 4, v[51:52]
	v_add_co_u32 v45, vcc_lo, s0, v45
	s_wait_alu 0xfffd
	v_add_co_ci_u32_e64 v46, null, s1, v46, vcc_lo
	s_delay_alu instid0(VALU_DEP_4)
	v_add_co_u32 v47, vcc_lo, s0, v47
	s_wait_alu 0xfffd
	v_add_co_ci_u32_e64 v48, null, s1, v48, vcc_lo
	v_add_co_u32 v49, vcc_lo, s0, v49
	s_wait_alu 0xfffd
	v_add_co_ci_u32_e64 v50, null, s1, v50, vcc_lo
	s_clause 0x9
	global_load_b128 v[88:91], v[31:32], off
	global_load_b128 v[92:95], v[33:34], off
	global_load_b128 v[96:99], v[35:36], off
	global_load_b128 v[100:103], v[37:38], off
	global_load_b128 v[104:107], v[39:40], off
	global_load_b128 v[108:111], v[41:42], off
	global_load_b128 v[112:115], v[43:44], off
	global_load_b128 v[116:119], v[45:46], off
	global_load_b128 v[120:123], v[47:48], off
	global_load_b128 v[124:127], v[49:50], off
	v_add_nc_u32_e32 v51, s11, v51
	s_movk_i32 s10, 0x70
	s_add_co_i32 s35, s12, 16
	s_wait_alu 0xfffe
	s_add_co_i32 s38, s10, 16
	s_add_co_i32 s12, s23, 16
	v_add_nc_u32_e32 v53, s11, v51
	v_ashrrev_i32_e32 v52, 31, v51
	s_movk_i32 s14, 0xb0
	s_movk_i32 s25, 0x120
	;; [unrolled: 1-line block ×3, first 2 shown]
	v_add_nc_u32_e32 v55, s11, v53
	v_ashrrev_i32_e32 v54, 31, v53
	v_lshlrev_b64_e32 v[51:52], 4, v[51:52]
	s_movk_i32 s43, 0x150
	s_add_co_i32 s39, s24, 16
	v_add_nc_u32_e32 v57, s11, v55
	v_ashrrev_i32_e32 v56, 31, v55
	v_lshlrev_b64_e32 v[53:54], 4, v[53:54]
	v_add_co_u32 v51, vcc_lo, s0, v51
	s_delay_alu instid0(VALU_DEP_4)
	v_add_nc_u32_e32 v59, s11, v57
	v_ashrrev_i32_e32 v58, 31, v57
	v_lshlrev_b64_e32 v[55:56], 4, v[55:56]
	s_wait_alu 0xfffd
	v_add_co_ci_u32_e64 v52, null, s1, v52, vcc_lo
	v_add_nc_u32_e32 v61, s11, v59
	v_ashrrev_i32_e32 v60, 31, v59
	v_lshlrev_b64_e32 v[57:58], 4, v[57:58]
	v_add_co_u32 v53, vcc_lo, s0, v53
	s_delay_alu instid0(VALU_DEP_4)
	v_add_nc_u32_e32 v63, s11, v61
	v_ashrrev_i32_e32 v62, 31, v61
	v_lshlrev_b64_e32 v[59:60], 4, v[59:60]
	s_wait_alu 0xfffd
	v_add_co_ci_u32_e64 v54, null, s1, v54, vcc_lo
	v_add_nc_u32_e32 v65, s11, v63
	v_ashrrev_i32_e32 v64, 31, v63
	v_add_co_u32 v55, vcc_lo, s0, v55
	v_lshlrev_b64_e32 v[61:62], 4, v[61:62]
	s_delay_alu instid0(VALU_DEP_4)
	v_add_nc_u32_e32 v67, s11, v65
	v_ashrrev_i32_e32 v66, 31, v65
	s_wait_alu 0xfffd
	v_add_co_ci_u32_e64 v56, null, s1, v56, vcc_lo
	v_add_co_u32 v57, vcc_lo, s0, v57
	v_add_nc_u32_e32 v69, s11, v67
	v_ashrrev_i32_e32 v68, 31, v67
	v_lshlrev_b64_e32 v[63:64], 4, v[63:64]
	s_wait_alu 0xfffd
	v_add_co_ci_u32_e64 v58, null, s1, v58, vcc_lo
	v_add_nc_u32_e32 v71, s11, v69
	v_ashrrev_i32_e32 v70, 31, v69
	v_add_co_u32 v59, vcc_lo, s0, v59
	v_lshlrev_b64_e32 v[65:66], 4, v[65:66]
	s_delay_alu instid0(VALU_DEP_4)
	v_add_nc_u32_e32 v73, s11, v71
	v_ashrrev_i32_e32 v72, 31, v71
	s_wait_alu 0xfffd
	v_add_co_ci_u32_e64 v60, null, s1, v60, vcc_lo
	v_add_co_u32 v61, vcc_lo, s0, v61
	v_add_nc_u32_e32 v75, s11, v73
	v_lshlrev_b64_e32 v[67:68], 4, v[67:68]
	v_ashrrev_i32_e32 v74, 31, v73
	s_wait_alu 0xfffd
	v_add_co_ci_u32_e64 v62, null, s1, v62, vcc_lo
	v_add_nc_u32_e32 v77, s11, v75
	v_add_co_u32 v63, vcc_lo, s0, v63
	v_lshlrev_b64_e32 v[69:70], 4, v[69:70]
	v_ashrrev_i32_e32 v76, 31, v75
	s_delay_alu instid0(VALU_DEP_4) | instskip(SKIP_3) | instid1(VALU_DEP_3)
	v_add_nc_u32_e32 v79, s11, v77
	s_wait_alu 0xfffd
	v_add_co_ci_u32_e64 v64, null, s1, v64, vcc_lo
	v_add_co_u32 v65, vcc_lo, s0, v65
	v_add_nc_u32_e32 v81, s11, v79
	v_lshlrev_b64_e32 v[71:72], 4, v[71:72]
	v_ashrrev_i32_e32 v78, 31, v77
	s_wait_alu 0xfffd
	v_add_co_ci_u32_e64 v66, null, s1, v66, vcc_lo
	v_add_nc_u32_e32 v83, s11, v81
	v_add_co_u32 v67, vcc_lo, s0, v67
	v_lshlrev_b64_e32 v[73:74], 4, v[73:74]
	v_ashrrev_i32_e32 v80, 31, v79
	s_wait_alu 0xfffd
	v_add_co_ci_u32_e64 v68, null, s1, v68, vcc_lo
	v_add_co_u32 v69, vcc_lo, s0, v69
	v_lshlrev_b64_e32 v[75:76], 4, v[75:76]
	v_add_nc_u32_e32 v85, s11, v83
	v_ashrrev_i32_e32 v82, 31, v81
	s_wait_alu 0xfffd
	v_add_co_ci_u32_e64 v70, null, s1, v70, vcc_lo
	v_add_co_u32 v71, vcc_lo, s0, v71
	v_lshlrev_b64_e32 v[77:78], 4, v[77:78]
	v_ashrrev_i32_e32 v84, 31, v83
	s_wait_alu 0xfffd
	v_add_co_ci_u32_e64 v72, null, s1, v72, vcc_lo
	v_add_co_u32 v73, vcc_lo, s0, v73
	v_lshlrev_b64_e32 v[79:80], 4, v[79:80]
	;; [unrolled: 5-line block ×3, first 2 shown]
	s_wait_alu 0xfffd
	v_add_co_ci_u32_e64 v76, null, s1, v76, vcc_lo
	v_add_co_u32 v77, vcc_lo, s0, v77
	v_lshlrev_b64_e32 v[83:84], 4, v[83:84]
	s_wait_alu 0xfffd
	v_add_co_ci_u32_e64 v78, null, s1, v78, vcc_lo
	v_add_co_u32 v79, vcc_lo, s0, v79
	v_lshlrev_b64_e32 v[85:86], 4, v[85:86]
	s_wait_alu 0xfffd
	v_add_co_ci_u32_e64 v80, null, s1, v80, vcc_lo
	v_add_co_u32 v81, vcc_lo, s0, v81
	s_wait_alu 0xfffd
	v_add_co_ci_u32_e64 v82, null, s1, v82, vcc_lo
	v_add_co_u32 v83, vcc_lo, s0, v83
	;; [unrolled: 3-line block ×3, first 2 shown]
	s_wait_alu 0xfffd
	v_add_co_ci_u32_e64 v86, null, s1, v86, vcc_lo
	s_clause 0x1
	global_load_b128 v[128:131], v[51:52], off
	global_load_b128 v[132:135], v[53:54], off
	s_movk_i32 s0, 0x50
	s_movk_i32 s1, 0x60
	s_wait_alu 0xfffe
	s_add_co_i32 s41, s0, 16
	s_movk_i32 s0, 0x160
	s_add_co_i32 s40, s1, 16
	s_movk_i32 s1, 0x170
	s_wait_alu 0xfffe
	s_add_co_i32 s29, s0, 16
	s_movk_i32 s0, 0x180
	s_add_co_i32 s19, s1, 16
	;; [unrolled: 5-line block ×3, first 2 shown]
	s_movk_i32 s1, 0x1b0
	s_wait_alu 0xfffe
	s_add_co_i32 s20, s0, 16
	s_movk_i32 s0, 0x1c0
	s_movk_i32 s11, 0x80
	s_add_co_i32 s10, s1, 16
	s_movk_i32 s1, 0x1d0
	s_wait_alu 0xfffe
	s_add_co_i32 s23, s0, 16
	s_movk_i32 s0, 0x1e0
	s_add_co_i32 s36, s11, 16
	s_add_co_i32 s11, s1, 16
	s_movk_i32 s1, 0x1f0
	s_wait_alu 0xfffe
	s_add_co_i32 s24, s0, 16
	s_movk_i32 s0, 0x200
	s_add_co_i32 s30, s14, 16
	s_add_co_i32 s37, s25, 16
	;; [unrolled: 1-line block ×5, first 2 shown]
	s_wait_alu 0xfffe
	s_add_co_i32 s25, s0, 16
	s_mov_b32 s9, 32
	s_mov_b32 s8, 48
	;; [unrolled: 1-line block ×3, first 2 shown]
	s_movk_i32 s4, 0x50
	s_bitcmp0_b32 s42, 0
	s_mov_b32 s1, -1
	s_wait_loadcnt 0x10
	scratch_store_b128 off, v[1:4], off offset:16
	s_clause 0x1
	global_load_b128 v[1:4], v[55:56], off
	global_load_b128 v[136:139], v[57:58], off
	s_wait_loadcnt 0x11
	scratch_store_b128 off, v[5:8], off offset:32
	s_wait_loadcnt 0x10
	scratch_store_b128 off, v[9:12], off offset:48
	s_clause 0x1
	global_load_b128 v[5:8], v[59:60], off
	global_load_b128 v[9:12], v[61:62], off
	s_wait_loadcnt 0x11
	scratch_store_b128 off, v[13:16], off offset:64
	;; [unrolled: 7-line block ×8, first 2 shown]
	s_wait_loadcnt 0x10
	scratch_store_b128 off, v[132:135], off offset:272
	s_wait_loadcnt 0xf
	scratch_store_b128 off, v[1:4], off offset:288
	;; [unrolled: 2-line block ×17, first 2 shown]
	s_cbranch_scc1 .LBB32_144
; %bb.4:
	v_cmp_eq_u32_e64 s0, 0, v0
	s_and_saveexec_b32 s1, s0
; %bb.5:
	v_mov_b32_e32 v1, 0
	ds_store_b32 v1, v1 offset:1056
; %bb.6:
	s_wait_alu 0xfffe
	s_or_b32 exec_lo, exec_lo, s1
	s_wait_storecnt_dscnt 0x0
	s_barrier_signal -1
	s_barrier_wait -1
	global_inv scope:SCOPE_SE
	scratch_load_b128 v[1:4], v87, off offset:16
	s_wait_loadcnt 0x0
	v_cmp_eq_f64_e32 vcc_lo, 0, v[1:2]
	v_cmp_eq_f64_e64 s1, 0, v[3:4]
	s_and_b32 s1, vcc_lo, s1
	s_wait_alu 0xfffe
	s_and_saveexec_b32 s42, s1
	s_cbranch_execz .LBB32_10
; %bb.7:
	v_mov_b32_e32 v1, 0
	s_mov_b32 s43, 0
	ds_load_b32 v2, v1 offset:1056
	s_wait_dscnt 0x0
	v_readfirstlane_b32 s1, v2
	v_add_nc_u32_e32 v2, 1, v0
	s_cmp_eq_u32 s1, 0
	s_delay_alu instid0(VALU_DEP_1) | instskip(SKIP_1) | instid1(SALU_CYCLE_1)
	v_cmp_gt_i32_e32 vcc_lo, s1, v2
	s_cselect_b32 s44, -1, 0
	s_or_b32 s44, s44, vcc_lo
	s_delay_alu instid0(SALU_CYCLE_1)
	s_and_b32 exec_lo, exec_lo, s44
	s_cbranch_execz .LBB32_10
; %bb.8:
	v_mov_b32_e32 v3, s1
.LBB32_9:                               ; =>This Inner Loop Header: Depth=1
	ds_cmpstore_rtn_b32 v3, v1, v2, v3 offset:1056
	s_wait_dscnt 0x0
	v_cmp_ne_u32_e32 vcc_lo, 0, v3
	v_cmp_le_i32_e64 s1, v3, v2
	s_and_b32 s1, vcc_lo, s1
	s_wait_alu 0xfffe
	s_and_b32 s1, exec_lo, s1
	s_wait_alu 0xfffe
	s_or_b32 s43, s1, s43
	s_delay_alu instid0(SALU_CYCLE_1)
	s_and_not1_b32 exec_lo, exec_lo, s43
	s_cbranch_execnz .LBB32_9
.LBB32_10:
	s_or_b32 exec_lo, exec_lo, s42
	v_mov_b32_e32 v1, 0
	s_barrier_signal -1
	s_barrier_wait -1
	global_inv scope:SCOPE_SE
	ds_load_b32 v2, v1 offset:1056
	s_and_saveexec_b32 s1, s0
	s_cbranch_execz .LBB32_12
; %bb.11:
	s_lshl_b64 s[42:43], s[16:17], 2
	s_delay_alu instid0(SALU_CYCLE_1)
	s_add_nc_u64 s[42:43], s[6:7], s[42:43]
	s_wait_dscnt 0x0
	global_store_b32 v1, v2, s[42:43]
.LBB32_12:
	s_wait_alu 0xfffe
	s_or_b32 exec_lo, exec_lo, s1
	s_wait_dscnt 0x0
	v_cmp_ne_u32_e32 vcc_lo, 0, v2
	s_mov_b32 s1, 0
	s_cbranch_vccnz .LBB32_144
; %bb.13:
	v_add_nc_u32_e32 v13, 16, v87
                                        ; implicit-def: $vgpr1_vgpr2
                                        ; implicit-def: $vgpr9_vgpr10
	scratch_load_b128 v[5:8], v13, off
	s_wait_loadcnt 0x0
	v_cmp_ngt_f64_e64 s1, |v[5:6]|, |v[7:8]|
	s_wait_alu 0xfffe
	s_and_saveexec_b32 s42, s1
	s_delay_alu instid0(SALU_CYCLE_1)
	s_xor_b32 s1, exec_lo, s42
	s_cbranch_execz .LBB32_15
; %bb.14:
	v_div_scale_f64 v[1:2], null, v[7:8], v[7:8], v[5:6]
	v_div_scale_f64 v[11:12], vcc_lo, v[5:6], v[7:8], v[5:6]
	s_delay_alu instid0(VALU_DEP_2) | instskip(NEXT) | instid1(TRANS32_DEP_1)
	v_rcp_f64_e32 v[3:4], v[1:2]
	v_fma_f64 v[9:10], -v[1:2], v[3:4], 1.0
	s_delay_alu instid0(VALU_DEP_1) | instskip(NEXT) | instid1(VALU_DEP_1)
	v_fma_f64 v[3:4], v[3:4], v[9:10], v[3:4]
	v_fma_f64 v[9:10], -v[1:2], v[3:4], 1.0
	s_delay_alu instid0(VALU_DEP_1) | instskip(NEXT) | instid1(VALU_DEP_1)
	v_fma_f64 v[3:4], v[3:4], v[9:10], v[3:4]
	v_mul_f64_e32 v[9:10], v[11:12], v[3:4]
	s_delay_alu instid0(VALU_DEP_1) | instskip(SKIP_1) | instid1(VALU_DEP_1)
	v_fma_f64 v[1:2], -v[1:2], v[9:10], v[11:12]
	s_wait_alu 0xfffd
	v_div_fmas_f64 v[1:2], v[1:2], v[3:4], v[9:10]
	s_delay_alu instid0(VALU_DEP_1) | instskip(NEXT) | instid1(VALU_DEP_1)
	v_div_fixup_f64 v[1:2], v[1:2], v[7:8], v[5:6]
	v_fma_f64 v[3:4], v[5:6], v[1:2], v[7:8]
	s_delay_alu instid0(VALU_DEP_1) | instskip(SKIP_1) | instid1(VALU_DEP_2)
	v_div_scale_f64 v[5:6], null, v[3:4], v[3:4], 1.0
	v_div_scale_f64 v[11:12], vcc_lo, 1.0, v[3:4], 1.0
	v_rcp_f64_e32 v[7:8], v[5:6]
	s_delay_alu instid0(TRANS32_DEP_1) | instskip(NEXT) | instid1(VALU_DEP_1)
	v_fma_f64 v[9:10], -v[5:6], v[7:8], 1.0
	v_fma_f64 v[7:8], v[7:8], v[9:10], v[7:8]
	s_delay_alu instid0(VALU_DEP_1) | instskip(NEXT) | instid1(VALU_DEP_1)
	v_fma_f64 v[9:10], -v[5:6], v[7:8], 1.0
	v_fma_f64 v[7:8], v[7:8], v[9:10], v[7:8]
	s_delay_alu instid0(VALU_DEP_1) | instskip(NEXT) | instid1(VALU_DEP_1)
	v_mul_f64_e32 v[9:10], v[11:12], v[7:8]
	v_fma_f64 v[5:6], -v[5:6], v[9:10], v[11:12]
	s_wait_alu 0xfffd
	s_delay_alu instid0(VALU_DEP_1) | instskip(NEXT) | instid1(VALU_DEP_1)
	v_div_fmas_f64 v[5:6], v[5:6], v[7:8], v[9:10]
	v_div_fixup_f64 v[3:4], v[5:6], v[3:4], 1.0
                                        ; implicit-def: $vgpr5_vgpr6
	s_delay_alu instid0(VALU_DEP_1) | instskip(SKIP_1) | instid1(VALU_DEP_2)
	v_mul_f64_e32 v[1:2], v[1:2], v[3:4]
	v_xor_b32_e32 v4, 0x80000000, v4
	v_xor_b32_e32 v10, 0x80000000, v2
	s_delay_alu instid0(VALU_DEP_3)
	v_mov_b32_e32 v9, v1
.LBB32_15:
	s_wait_alu 0xfffe
	s_and_not1_saveexec_b32 s1, s1
	s_cbranch_execz .LBB32_17
; %bb.16:
	v_div_scale_f64 v[1:2], null, v[5:6], v[5:6], v[7:8]
	v_div_scale_f64 v[11:12], vcc_lo, v[7:8], v[5:6], v[7:8]
	s_delay_alu instid0(VALU_DEP_2) | instskip(NEXT) | instid1(TRANS32_DEP_1)
	v_rcp_f64_e32 v[3:4], v[1:2]
	v_fma_f64 v[9:10], -v[1:2], v[3:4], 1.0
	s_delay_alu instid0(VALU_DEP_1) | instskip(NEXT) | instid1(VALU_DEP_1)
	v_fma_f64 v[3:4], v[3:4], v[9:10], v[3:4]
	v_fma_f64 v[9:10], -v[1:2], v[3:4], 1.0
	s_delay_alu instid0(VALU_DEP_1) | instskip(NEXT) | instid1(VALU_DEP_1)
	v_fma_f64 v[3:4], v[3:4], v[9:10], v[3:4]
	v_mul_f64_e32 v[9:10], v[11:12], v[3:4]
	s_delay_alu instid0(VALU_DEP_1) | instskip(SKIP_1) | instid1(VALU_DEP_1)
	v_fma_f64 v[1:2], -v[1:2], v[9:10], v[11:12]
	s_wait_alu 0xfffd
	v_div_fmas_f64 v[1:2], v[1:2], v[3:4], v[9:10]
	s_delay_alu instid0(VALU_DEP_1) | instskip(NEXT) | instid1(VALU_DEP_1)
	v_div_fixup_f64 v[3:4], v[1:2], v[5:6], v[7:8]
	v_fma_f64 v[1:2], v[7:8], v[3:4], v[5:6]
	s_delay_alu instid0(VALU_DEP_1) | instskip(NEXT) | instid1(VALU_DEP_1)
	v_div_scale_f64 v[5:6], null, v[1:2], v[1:2], 1.0
	v_rcp_f64_e32 v[7:8], v[5:6]
	s_delay_alu instid0(TRANS32_DEP_1) | instskip(NEXT) | instid1(VALU_DEP_1)
	v_fma_f64 v[9:10], -v[5:6], v[7:8], 1.0
	v_fma_f64 v[7:8], v[7:8], v[9:10], v[7:8]
	s_delay_alu instid0(VALU_DEP_1) | instskip(NEXT) | instid1(VALU_DEP_1)
	v_fma_f64 v[9:10], -v[5:6], v[7:8], 1.0
	v_fma_f64 v[7:8], v[7:8], v[9:10], v[7:8]
	v_div_scale_f64 v[9:10], vcc_lo, 1.0, v[1:2], 1.0
	s_delay_alu instid0(VALU_DEP_1) | instskip(NEXT) | instid1(VALU_DEP_1)
	v_mul_f64_e32 v[11:12], v[9:10], v[7:8]
	v_fma_f64 v[5:6], -v[5:6], v[11:12], v[9:10]
	s_wait_alu 0xfffd
	s_delay_alu instid0(VALU_DEP_1) | instskip(NEXT) | instid1(VALU_DEP_1)
	v_div_fmas_f64 v[5:6], v[5:6], v[7:8], v[11:12]
	v_div_fixup_f64 v[1:2], v[5:6], v[1:2], 1.0
	s_delay_alu instid0(VALU_DEP_1)
	v_mul_f64_e64 v[3:4], v[3:4], -v[1:2]
	v_xor_b32_e32 v10, 0x80000000, v2
	v_mov_b32_e32 v9, v1
.LBB32_17:
	s_wait_alu 0xfffe
	s_or_b32 exec_lo, exec_lo, s1
	scratch_store_b128 v13, v[1:4], off
	scratch_load_b128 v[14:17], off, s9
	v_xor_b32_e32 v12, 0x80000000, v4
	v_mov_b32_e32 v11, v3
	v_add_nc_u32_e32 v5, 0x210, v87
	ds_store_b128 v87, v[9:12]
	s_wait_loadcnt 0x0
	ds_store_b128 v87, v[14:17] offset:528
	s_wait_storecnt_dscnt 0x0
	s_barrier_signal -1
	s_barrier_wait -1
	global_inv scope:SCOPE_SE
	s_and_saveexec_b32 s1, s0
	s_cbranch_execz .LBB32_19
; %bb.18:
	scratch_load_b128 v[1:4], v13, off
	ds_load_b128 v[6:9], v5
	v_mov_b32_e32 v10, 0
	ds_load_b128 v[14:17], v10 offset:16
	s_wait_loadcnt_dscnt 0x1
	v_mul_f64_e32 v[10:11], v[6:7], v[3:4]
	v_mul_f64_e32 v[3:4], v[8:9], v[3:4]
	s_delay_alu instid0(VALU_DEP_2) | instskip(NEXT) | instid1(VALU_DEP_2)
	v_fma_f64 v[8:9], v[8:9], v[1:2], v[10:11]
	v_fma_f64 v[1:2], v[6:7], v[1:2], -v[3:4]
	s_delay_alu instid0(VALU_DEP_2) | instskip(NEXT) | instid1(VALU_DEP_2)
	v_add_f64_e32 v[3:4], 0, v[8:9]
	v_add_f64_e32 v[1:2], 0, v[1:2]
	s_wait_dscnt 0x0
	s_delay_alu instid0(VALU_DEP_2) | instskip(NEXT) | instid1(VALU_DEP_2)
	v_mul_f64_e32 v[6:7], v[3:4], v[16:17]
	v_mul_f64_e32 v[8:9], v[1:2], v[16:17]
	s_delay_alu instid0(VALU_DEP_2) | instskip(NEXT) | instid1(VALU_DEP_2)
	v_fma_f64 v[1:2], v[1:2], v[14:15], -v[6:7]
	v_fma_f64 v[3:4], v[3:4], v[14:15], v[8:9]
	scratch_store_b128 off, v[1:4], off offset:32
.LBB32_19:
	s_wait_alu 0xfffe
	s_or_b32 exec_lo, exec_lo, s1
	s_wait_loadcnt 0x0
	s_wait_storecnt 0x0
	s_barrier_signal -1
	s_barrier_wait -1
	global_inv scope:SCOPE_SE
	scratch_load_b128 v[1:4], off, s8
	s_mov_b32 s1, exec_lo
	s_wait_loadcnt 0x0
	ds_store_b128 v5, v[1:4]
	s_wait_dscnt 0x0
	s_barrier_signal -1
	s_barrier_wait -1
	global_inv scope:SCOPE_SE
	v_cmpx_gt_u32_e32 2, v0
	s_cbranch_execz .LBB32_23
; %bb.20:
	scratch_load_b128 v[1:4], v13, off
	ds_load_b128 v[6:9], v5
	s_wait_loadcnt_dscnt 0x0
	v_mul_f64_e32 v[10:11], v[8:9], v[3:4]
	v_mul_f64_e32 v[3:4], v[6:7], v[3:4]
	s_delay_alu instid0(VALU_DEP_2) | instskip(NEXT) | instid1(VALU_DEP_2)
	v_fma_f64 v[6:7], v[6:7], v[1:2], -v[10:11]
	v_fma_f64 v[3:4], v[8:9], v[1:2], v[3:4]
	s_delay_alu instid0(VALU_DEP_2) | instskip(NEXT) | instid1(VALU_DEP_2)
	v_add_f64_e32 v[1:2], 0, v[6:7]
	v_add_f64_e32 v[3:4], 0, v[3:4]
	s_and_saveexec_b32 s42, s0
	s_cbranch_execz .LBB32_22
; %bb.21:
	scratch_load_b128 v[6:9], off, off offset:32
	v_mov_b32_e32 v10, 0
	ds_load_b128 v[14:17], v10 offset:544
	s_wait_loadcnt_dscnt 0x0
	v_mul_f64_e32 v[10:11], v[14:15], v[8:9]
	v_mul_f64_e32 v[8:9], v[16:17], v[8:9]
	s_delay_alu instid0(VALU_DEP_2) | instskip(NEXT) | instid1(VALU_DEP_2)
	v_fma_f64 v[10:11], v[16:17], v[6:7], v[10:11]
	v_fma_f64 v[6:7], v[14:15], v[6:7], -v[8:9]
	s_delay_alu instid0(VALU_DEP_2) | instskip(NEXT) | instid1(VALU_DEP_2)
	v_add_f64_e32 v[3:4], v[3:4], v[10:11]
	v_add_f64_e32 v[1:2], v[1:2], v[6:7]
.LBB32_22:
	s_or_b32 exec_lo, exec_lo, s42
	v_mov_b32_e32 v6, 0
	ds_load_b128 v[6:9], v6 offset:32
	s_wait_dscnt 0x0
	v_mul_f64_e32 v[10:11], v[3:4], v[8:9]
	v_mul_f64_e32 v[8:9], v[1:2], v[8:9]
	s_delay_alu instid0(VALU_DEP_2) | instskip(NEXT) | instid1(VALU_DEP_2)
	v_fma_f64 v[1:2], v[1:2], v[6:7], -v[10:11]
	v_fma_f64 v[3:4], v[3:4], v[6:7], v[8:9]
	scratch_store_b128 off, v[1:4], off offset:48
.LBB32_23:
	s_wait_alu 0xfffe
	s_or_b32 exec_lo, exec_lo, s1
	s_wait_loadcnt 0x0
	s_wait_storecnt 0x0
	s_barrier_signal -1
	s_barrier_wait -1
	global_inv scope:SCOPE_SE
	scratch_load_b128 v[1:4], off, s5
	v_add_nc_u32_e32 v6, -1, v0
	s_mov_b32 s0, exec_lo
	s_wait_loadcnt 0x0
	ds_store_b128 v5, v[1:4]
	s_wait_dscnt 0x0
	s_barrier_signal -1
	s_barrier_wait -1
	global_inv scope:SCOPE_SE
	v_cmpx_gt_u32_e32 3, v0
	s_cbranch_execz .LBB32_27
; %bb.24:
	v_dual_mov_b32 v1, 0 :: v_dual_add_nc_u32 v8, 0x210, v87
	v_mov_b32_e32 v3, 0
	v_dual_mov_b32 v2, 0 :: v_dual_add_nc_u32 v7, -1, v0
	v_mov_b32_e32 v4, 0
	v_or_b32_e32 v9, 8, v13
	s_mov_b32 s1, 0
.LBB32_25:                              ; =>This Inner Loop Header: Depth=1
	scratch_load_b128 v[14:17], v9, off offset:-8
	ds_load_b128 v[88:91], v8
	v_add_nc_u32_e32 v7, 1, v7
	v_add_nc_u32_e32 v8, 16, v8
	v_add_nc_u32_e32 v9, 16, v9
	s_delay_alu instid0(VALU_DEP_3)
	v_cmp_lt_u32_e32 vcc_lo, 1, v7
	s_wait_alu 0xfffe
	s_or_b32 s1, vcc_lo, s1
	s_wait_loadcnt_dscnt 0x0
	v_mul_f64_e32 v[10:11], v[90:91], v[16:17]
	v_mul_f64_e32 v[16:17], v[88:89], v[16:17]
	s_delay_alu instid0(VALU_DEP_2) | instskip(NEXT) | instid1(VALU_DEP_2)
	v_fma_f64 v[10:11], v[88:89], v[14:15], -v[10:11]
	v_fma_f64 v[14:15], v[90:91], v[14:15], v[16:17]
	s_delay_alu instid0(VALU_DEP_2) | instskip(NEXT) | instid1(VALU_DEP_2)
	v_add_f64_e32 v[3:4], v[3:4], v[10:11]
	v_add_f64_e32 v[1:2], v[1:2], v[14:15]
	s_wait_alu 0xfffe
	s_and_not1_b32 exec_lo, exec_lo, s1
	s_cbranch_execnz .LBB32_25
; %bb.26:
	s_or_b32 exec_lo, exec_lo, s1
	v_mov_b32_e32 v7, 0
	ds_load_b128 v[7:10], v7 offset:48
	s_wait_dscnt 0x0
	v_mul_f64_e32 v[11:12], v[1:2], v[9:10]
	v_mul_f64_e32 v[14:15], v[3:4], v[9:10]
	s_delay_alu instid0(VALU_DEP_2) | instskip(NEXT) | instid1(VALU_DEP_2)
	v_fma_f64 v[9:10], v[3:4], v[7:8], -v[11:12]
	v_fma_f64 v[11:12], v[1:2], v[7:8], v[14:15]
	scratch_store_b128 off, v[9:12], off offset:64
.LBB32_27:
	s_wait_alu 0xfffe
	s_or_b32 exec_lo, exec_lo, s0
	s_wait_loadcnt 0x0
	s_wait_storecnt 0x0
	s_barrier_signal -1
	s_barrier_wait -1
	global_inv scope:SCOPE_SE
	scratch_load_b128 v[1:4], off, s4
	s_mov_b32 s0, exec_lo
	s_wait_loadcnt 0x0
	ds_store_b128 v5, v[1:4]
	s_wait_dscnt 0x0
	s_barrier_signal -1
	s_barrier_wait -1
	global_inv scope:SCOPE_SE
	v_cmpx_gt_u32_e32 4, v0
	s_cbranch_execz .LBB32_31
; %bb.28:
	v_dual_mov_b32 v1, 0 :: v_dual_add_nc_u32 v8, 0x210, v87
	v_mov_b32_e32 v3, 0
	v_dual_mov_b32 v2, 0 :: v_dual_add_nc_u32 v7, -1, v0
	v_mov_b32_e32 v4, 0
	v_or_b32_e32 v9, 8, v13
	s_mov_b32 s1, 0
.LBB32_29:                              ; =>This Inner Loop Header: Depth=1
	scratch_load_b128 v[14:17], v9, off offset:-8
	ds_load_b128 v[88:91], v8
	v_add_nc_u32_e32 v7, 1, v7
	v_add_nc_u32_e32 v8, 16, v8
	v_add_nc_u32_e32 v9, 16, v9
	s_delay_alu instid0(VALU_DEP_3)
	v_cmp_lt_u32_e32 vcc_lo, 2, v7
	s_wait_alu 0xfffe
	s_or_b32 s1, vcc_lo, s1
	s_wait_loadcnt_dscnt 0x0
	v_mul_f64_e32 v[10:11], v[90:91], v[16:17]
	v_mul_f64_e32 v[16:17], v[88:89], v[16:17]
	s_delay_alu instid0(VALU_DEP_2) | instskip(NEXT) | instid1(VALU_DEP_2)
	v_fma_f64 v[10:11], v[88:89], v[14:15], -v[10:11]
	v_fma_f64 v[14:15], v[90:91], v[14:15], v[16:17]
	s_delay_alu instid0(VALU_DEP_2) | instskip(NEXT) | instid1(VALU_DEP_2)
	v_add_f64_e32 v[3:4], v[3:4], v[10:11]
	v_add_f64_e32 v[1:2], v[1:2], v[14:15]
	s_wait_alu 0xfffe
	s_and_not1_b32 exec_lo, exec_lo, s1
	s_cbranch_execnz .LBB32_29
; %bb.30:
	s_or_b32 exec_lo, exec_lo, s1
	v_mov_b32_e32 v7, 0
	ds_load_b128 v[7:10], v7 offset:64
	s_wait_dscnt 0x0
	v_mul_f64_e32 v[11:12], v[1:2], v[9:10]
	v_mul_f64_e32 v[14:15], v[3:4], v[9:10]
	s_delay_alu instid0(VALU_DEP_2) | instskip(NEXT) | instid1(VALU_DEP_2)
	v_fma_f64 v[9:10], v[3:4], v[7:8], -v[11:12]
	v_fma_f64 v[11:12], v[1:2], v[7:8], v[14:15]
	scratch_store_b128 off, v[9:12], off offset:80
.LBB32_31:
	s_wait_alu 0xfffe
	s_or_b32 exec_lo, exec_lo, s0
	s_wait_loadcnt 0x0
	s_wait_storecnt 0x0
	s_barrier_signal -1
	s_barrier_wait -1
	global_inv scope:SCOPE_SE
	scratch_load_b128 v[1:4], off, s41
	;; [unrolled: 58-line block ×19, first 2 shown]
	s_mov_b32 s0, exec_lo
	s_wait_loadcnt 0x0
	ds_store_b128 v5, v[1:4]
	s_wait_dscnt 0x0
	s_barrier_signal -1
	s_barrier_wait -1
	global_inv scope:SCOPE_SE
	v_cmpx_gt_u32_e32 22, v0
	s_cbranch_execz .LBB32_103
; %bb.100:
	v_dual_mov_b32 v1, 0 :: v_dual_add_nc_u32 v8, 0x210, v87
	v_mov_b32_e32 v3, 0
	v_dual_mov_b32 v2, 0 :: v_dual_add_nc_u32 v7, -1, v0
	v_mov_b32_e32 v4, 0
	v_or_b32_e32 v9, 8, v13
	s_mov_b32 s1, 0
.LBB32_101:                             ; =>This Inner Loop Header: Depth=1
	scratch_load_b128 v[14:17], v9, off offset:-8
	ds_load_b128 v[88:91], v8
	v_add_nc_u32_e32 v7, 1, v7
	v_add_nc_u32_e32 v8, 16, v8
	v_add_nc_u32_e32 v9, 16, v9
	s_delay_alu instid0(VALU_DEP_3)
	v_cmp_lt_u32_e32 vcc_lo, 20, v7
	s_wait_alu 0xfffe
	s_or_b32 s1, vcc_lo, s1
	s_wait_loadcnt_dscnt 0x0
	v_mul_f64_e32 v[10:11], v[90:91], v[16:17]
	v_mul_f64_e32 v[16:17], v[88:89], v[16:17]
	s_delay_alu instid0(VALU_DEP_2) | instskip(NEXT) | instid1(VALU_DEP_2)
	v_fma_f64 v[10:11], v[88:89], v[14:15], -v[10:11]
	v_fma_f64 v[14:15], v[90:91], v[14:15], v[16:17]
	s_delay_alu instid0(VALU_DEP_2) | instskip(NEXT) | instid1(VALU_DEP_2)
	v_add_f64_e32 v[3:4], v[3:4], v[10:11]
	v_add_f64_e32 v[1:2], v[1:2], v[14:15]
	s_wait_alu 0xfffe
	s_and_not1_b32 exec_lo, exec_lo, s1
	s_cbranch_execnz .LBB32_101
; %bb.102:
	s_or_b32 exec_lo, exec_lo, s1
	v_mov_b32_e32 v7, 0
	ds_load_b128 v[7:10], v7 offset:352
	s_wait_dscnt 0x0
	v_mul_f64_e32 v[11:12], v[1:2], v[9:10]
	v_mul_f64_e32 v[14:15], v[3:4], v[9:10]
	s_delay_alu instid0(VALU_DEP_2) | instskip(NEXT) | instid1(VALU_DEP_2)
	v_fma_f64 v[9:10], v[3:4], v[7:8], -v[11:12]
	v_fma_f64 v[11:12], v[1:2], v[7:8], v[14:15]
	scratch_store_b128 off, v[9:12], off offset:368
.LBB32_103:
	s_wait_alu 0xfffe
	s_or_b32 exec_lo, exec_lo, s0
	s_wait_loadcnt 0x0
	s_wait_storecnt 0x0
	s_barrier_signal -1
	s_barrier_wait -1
	global_inv scope:SCOPE_SE
	scratch_load_b128 v[1:4], off, s19
	s_mov_b32 s0, exec_lo
	s_wait_loadcnt 0x0
	ds_store_b128 v5, v[1:4]
	s_wait_dscnt 0x0
	s_barrier_signal -1
	s_barrier_wait -1
	global_inv scope:SCOPE_SE
	v_cmpx_gt_u32_e32 23, v0
	s_cbranch_execz .LBB32_107
; %bb.104:
	v_dual_mov_b32 v1, 0 :: v_dual_add_nc_u32 v8, 0x210, v87
	v_mov_b32_e32 v3, 0
	v_dual_mov_b32 v2, 0 :: v_dual_add_nc_u32 v7, -1, v0
	v_mov_b32_e32 v4, 0
	v_or_b32_e32 v9, 8, v13
	s_mov_b32 s1, 0
.LBB32_105:                             ; =>This Inner Loop Header: Depth=1
	scratch_load_b128 v[14:17], v9, off offset:-8
	ds_load_b128 v[88:91], v8
	v_add_nc_u32_e32 v7, 1, v7
	v_add_nc_u32_e32 v8, 16, v8
	v_add_nc_u32_e32 v9, 16, v9
	s_delay_alu instid0(VALU_DEP_3)
	v_cmp_lt_u32_e32 vcc_lo, 21, v7
	s_wait_alu 0xfffe
	s_or_b32 s1, vcc_lo, s1
	s_wait_loadcnt_dscnt 0x0
	v_mul_f64_e32 v[10:11], v[90:91], v[16:17]
	v_mul_f64_e32 v[16:17], v[88:89], v[16:17]
	s_delay_alu instid0(VALU_DEP_2) | instskip(NEXT) | instid1(VALU_DEP_2)
	v_fma_f64 v[10:11], v[88:89], v[14:15], -v[10:11]
	v_fma_f64 v[14:15], v[90:91], v[14:15], v[16:17]
	s_delay_alu instid0(VALU_DEP_2) | instskip(NEXT) | instid1(VALU_DEP_2)
	v_add_f64_e32 v[3:4], v[3:4], v[10:11]
	v_add_f64_e32 v[1:2], v[1:2], v[14:15]
	s_wait_alu 0xfffe
	s_and_not1_b32 exec_lo, exec_lo, s1
	s_cbranch_execnz .LBB32_105
; %bb.106:
	s_or_b32 exec_lo, exec_lo, s1
	v_mov_b32_e32 v7, 0
	ds_load_b128 v[7:10], v7 offset:368
	s_wait_dscnt 0x0
	v_mul_f64_e32 v[11:12], v[1:2], v[9:10]
	v_mul_f64_e32 v[14:15], v[3:4], v[9:10]
	s_delay_alu instid0(VALU_DEP_2) | instskip(NEXT) | instid1(VALU_DEP_2)
	v_fma_f64 v[9:10], v[3:4], v[7:8], -v[11:12]
	v_fma_f64 v[11:12], v[1:2], v[7:8], v[14:15]
	scratch_store_b128 off, v[9:12], off offset:384
.LBB32_107:
	s_wait_alu 0xfffe
	s_or_b32 exec_lo, exec_lo, s0
	s_wait_loadcnt 0x0
	s_wait_storecnt 0x0
	s_barrier_signal -1
	s_barrier_wait -1
	global_inv scope:SCOPE_SE
	scratch_load_b128 v[1:4], off, s22
	;; [unrolled: 58-line block ×10, first 2 shown]
	s_mov_b32 s0, exec_lo
	s_wait_loadcnt 0x0
	ds_store_b128 v5, v[1:4]
	s_wait_dscnt 0x0
	s_barrier_signal -1
	s_barrier_wait -1
	global_inv scope:SCOPE_SE
	v_cmpx_ne_u32_e32 32, v0
	s_cbranch_execz .LBB32_143
; %bb.140:
	v_mov_b32_e32 v1, 0
	v_dual_mov_b32 v2, 0 :: v_dual_mov_b32 v3, 0
	v_mov_b32_e32 v4, 0
	v_or_b32_e32 v7, 8, v13
	s_mov_b32 s1, 0
.LBB32_141:                             ; =>This Inner Loop Header: Depth=1
	scratch_load_b128 v[8:11], v7, off offset:-8
	ds_load_b128 v[12:15], v5
	v_add_nc_u32_e32 v6, 1, v6
	v_add_nc_u32_e32 v5, 16, v5
	;; [unrolled: 1-line block ×3, first 2 shown]
	s_delay_alu instid0(VALU_DEP_3)
	v_cmp_lt_u32_e32 vcc_lo, 30, v6
	s_wait_alu 0xfffe
	s_or_b32 s1, vcc_lo, s1
	s_wait_loadcnt_dscnt 0x0
	v_mul_f64_e32 v[16:17], v[14:15], v[10:11]
	v_mul_f64_e32 v[10:11], v[12:13], v[10:11]
	s_delay_alu instid0(VALU_DEP_2) | instskip(NEXT) | instid1(VALU_DEP_2)
	v_fma_f64 v[12:13], v[12:13], v[8:9], -v[16:17]
	v_fma_f64 v[8:9], v[14:15], v[8:9], v[10:11]
	s_delay_alu instid0(VALU_DEP_2) | instskip(NEXT) | instid1(VALU_DEP_2)
	v_add_f64_e32 v[3:4], v[3:4], v[12:13]
	v_add_f64_e32 v[1:2], v[1:2], v[8:9]
	s_wait_alu 0xfffe
	s_and_not1_b32 exec_lo, exec_lo, s1
	s_cbranch_execnz .LBB32_141
; %bb.142:
	s_or_b32 exec_lo, exec_lo, s1
	v_mov_b32_e32 v5, 0
	ds_load_b128 v[5:8], v5 offset:512
	s_wait_dscnt 0x0
	v_mul_f64_e32 v[9:10], v[1:2], v[7:8]
	v_mul_f64_e32 v[7:8], v[3:4], v[7:8]
	s_delay_alu instid0(VALU_DEP_2) | instskip(NEXT) | instid1(VALU_DEP_2)
	v_fma_f64 v[3:4], v[3:4], v[5:6], -v[9:10]
	v_fma_f64 v[5:6], v[1:2], v[5:6], v[7:8]
	scratch_store_b128 off, v[3:6], off offset:528
.LBB32_143:
	s_wait_alu 0xfffe
	s_or_b32 exec_lo, exec_lo, s0
	s_mov_b32 s1, -1
	s_wait_loadcnt 0x0
	s_wait_storecnt 0x0
	s_barrier_signal -1
	s_barrier_wait -1
	global_inv scope:SCOPE_SE
.LBB32_144:
	s_wait_alu 0xfffe
	s_and_b32 vcc_lo, exec_lo, s1
	s_wait_alu 0xfffe
	s_cbranch_vccz .LBB32_146
; %bb.145:
	v_mov_b32_e32 v1, 0
	s_lshl_b64 s[0:1], s[16:17], 2
	s_wait_alu 0xfffe
	s_add_nc_u64 s[0:1], s[6:7], s[0:1]
	global_load_b32 v1, v1, s[0:1]
	s_wait_loadcnt 0x0
	v_cmp_ne_u32_e32 vcc_lo, 0, v1
	s_cbranch_vccz .LBB32_147
.LBB32_146:
	s_nop 0
	s_sendmsg sendmsg(MSG_DEALLOC_VGPRS)
	s_endpgm
.LBB32_147:
	v_lshl_add_u32 v5, v0, 4, 0x210
	s_mov_b32 s0, exec_lo
	v_cmpx_eq_u32_e32 32, v0
	s_cbranch_execz .LBB32_149
; %bb.148:
	scratch_load_b128 v[1:4], off, s14
	v_mov_b32_e32 v6, 0
	s_delay_alu instid0(VALU_DEP_1)
	v_dual_mov_b32 v7, v6 :: v_dual_mov_b32 v8, v6
	v_mov_b32_e32 v9, v6
	scratch_store_b128 off, v[6:9], off offset:512
	s_wait_loadcnt 0x0
	ds_store_b128 v5, v[1:4]
.LBB32_149:
	s_wait_alu 0xfffe
	s_or_b32 exec_lo, exec_lo, s0
	s_wait_storecnt_dscnt 0x0
	s_barrier_signal -1
	s_barrier_wait -1
	global_inv scope:SCOPE_SE
	s_clause 0x1
	scratch_load_b128 v[6:9], off, off offset:528
	scratch_load_b128 v[10:13], off, off offset:512
	v_mov_b32_e32 v1, 0
	s_mov_b32 s0, exec_lo
	ds_load_b128 v[14:17], v1 offset:1040
	s_wait_loadcnt_dscnt 0x100
	v_mul_f64_e32 v[2:3], v[16:17], v[8:9]
	v_mul_f64_e32 v[8:9], v[14:15], v[8:9]
	s_delay_alu instid0(VALU_DEP_2) | instskip(NEXT) | instid1(VALU_DEP_2)
	v_fma_f64 v[2:3], v[14:15], v[6:7], -v[2:3]
	v_fma_f64 v[6:7], v[16:17], v[6:7], v[8:9]
	s_delay_alu instid0(VALU_DEP_2) | instskip(NEXT) | instid1(VALU_DEP_2)
	v_add_f64_e32 v[2:3], 0, v[2:3]
	v_add_f64_e32 v[8:9], 0, v[6:7]
	s_wait_loadcnt 0x0
	s_delay_alu instid0(VALU_DEP_2) | instskip(NEXT) | instid1(VALU_DEP_2)
	v_add_f64_e64 v[6:7], v[10:11], -v[2:3]
	v_add_f64_e64 v[8:9], v[12:13], -v[8:9]
	scratch_store_b128 off, v[6:9], off offset:512
	v_cmpx_lt_u32_e32 30, v0
	s_cbranch_execz .LBB32_151
; %bb.150:
	scratch_load_b128 v[6:9], off, s24
	v_dual_mov_b32 v2, v1 :: v_dual_mov_b32 v3, v1
	v_mov_b32_e32 v4, v1
	scratch_store_b128 off, v[1:4], off offset:496
	s_wait_loadcnt 0x0
	ds_store_b128 v5, v[6:9]
.LBB32_151:
	s_wait_alu 0xfffe
	s_or_b32 exec_lo, exec_lo, s0
	s_wait_storecnt_dscnt 0x0
	s_barrier_signal -1
	s_barrier_wait -1
	global_inv scope:SCOPE_SE
	s_clause 0x2
	scratch_load_b128 v[6:9], off, off offset:512
	scratch_load_b128 v[10:13], off, off offset:528
	;; [unrolled: 1-line block ×3, first 2 shown]
	ds_load_b128 v[87:90], v1 offset:1024
	ds_load_b128 v[1:4], v1 offset:1040
	s_mov_b32 s0, exec_lo
	s_wait_loadcnt_dscnt 0x201
	v_mul_f64_e32 v[18:19], v[89:90], v[8:9]
	v_mul_f64_e32 v[8:9], v[87:88], v[8:9]
	s_wait_loadcnt_dscnt 0x100
	v_mul_f64_e32 v[91:92], v[1:2], v[12:13]
	v_mul_f64_e32 v[12:13], v[3:4], v[12:13]
	s_delay_alu instid0(VALU_DEP_4) | instskip(NEXT) | instid1(VALU_DEP_4)
	v_fma_f64 v[18:19], v[87:88], v[6:7], -v[18:19]
	v_fma_f64 v[6:7], v[89:90], v[6:7], v[8:9]
	s_delay_alu instid0(VALU_DEP_4) | instskip(NEXT) | instid1(VALU_DEP_4)
	v_fma_f64 v[3:4], v[3:4], v[10:11], v[91:92]
	v_fma_f64 v[1:2], v[1:2], v[10:11], -v[12:13]
	s_delay_alu instid0(VALU_DEP_4) | instskip(NEXT) | instid1(VALU_DEP_4)
	v_add_f64_e32 v[8:9], 0, v[18:19]
	v_add_f64_e32 v[6:7], 0, v[6:7]
	s_delay_alu instid0(VALU_DEP_2) | instskip(NEXT) | instid1(VALU_DEP_2)
	v_add_f64_e32 v[1:2], v[8:9], v[1:2]
	v_add_f64_e32 v[3:4], v[6:7], v[3:4]
	s_wait_loadcnt 0x0
	s_delay_alu instid0(VALU_DEP_2) | instskip(NEXT) | instid1(VALU_DEP_2)
	v_add_f64_e64 v[1:2], v[14:15], -v[1:2]
	v_add_f64_e64 v[3:4], v[16:17], -v[3:4]
	scratch_store_b128 off, v[1:4], off offset:496
	v_cmpx_lt_u32_e32 29, v0
	s_cbranch_execz .LBB32_153
; %bb.152:
	scratch_load_b128 v[1:4], off, s11
	v_mov_b32_e32 v6, 0
	s_delay_alu instid0(VALU_DEP_1)
	v_dual_mov_b32 v7, v6 :: v_dual_mov_b32 v8, v6
	v_mov_b32_e32 v9, v6
	scratch_store_b128 off, v[6:9], off offset:480
	s_wait_loadcnt 0x0
	ds_store_b128 v5, v[1:4]
.LBB32_153:
	s_wait_alu 0xfffe
	s_or_b32 exec_lo, exec_lo, s0
	s_wait_storecnt_dscnt 0x0
	s_barrier_signal -1
	s_barrier_wait -1
	global_inv scope:SCOPE_SE
	s_clause 0x3
	scratch_load_b128 v[6:9], off, off offset:496
	scratch_load_b128 v[10:13], off, off offset:512
	;; [unrolled: 1-line block ×4, first 2 shown]
	v_mov_b32_e32 v1, 0
	ds_load_b128 v[91:94], v1 offset:1008
	ds_load_b128 v[95:98], v1 offset:1024
	s_mov_b32 s0, exec_lo
	s_wait_loadcnt_dscnt 0x301
	v_mul_f64_e32 v[2:3], v[93:94], v[8:9]
	v_mul_f64_e32 v[8:9], v[91:92], v[8:9]
	s_wait_loadcnt_dscnt 0x200
	v_mul_f64_e32 v[18:19], v[95:96], v[12:13]
	v_mul_f64_e32 v[12:13], v[97:98], v[12:13]
	s_delay_alu instid0(VALU_DEP_4) | instskip(NEXT) | instid1(VALU_DEP_4)
	v_fma_f64 v[2:3], v[91:92], v[6:7], -v[2:3]
	v_fma_f64 v[91:92], v[93:94], v[6:7], v[8:9]
	ds_load_b128 v[6:9], v1 offset:1040
	v_fma_f64 v[18:19], v[97:98], v[10:11], v[18:19]
	v_fma_f64 v[10:11], v[95:96], v[10:11], -v[12:13]
	s_wait_loadcnt_dscnt 0x100
	v_mul_f64_e32 v[93:94], v[6:7], v[16:17]
	v_mul_f64_e32 v[16:17], v[8:9], v[16:17]
	v_add_f64_e32 v[2:3], 0, v[2:3]
	v_add_f64_e32 v[12:13], 0, v[91:92]
	s_delay_alu instid0(VALU_DEP_4) | instskip(NEXT) | instid1(VALU_DEP_4)
	v_fma_f64 v[8:9], v[8:9], v[14:15], v[93:94]
	v_fma_f64 v[6:7], v[6:7], v[14:15], -v[16:17]
	s_delay_alu instid0(VALU_DEP_4) | instskip(NEXT) | instid1(VALU_DEP_4)
	v_add_f64_e32 v[2:3], v[2:3], v[10:11]
	v_add_f64_e32 v[10:11], v[12:13], v[18:19]
	s_delay_alu instid0(VALU_DEP_2) | instskip(NEXT) | instid1(VALU_DEP_2)
	v_add_f64_e32 v[2:3], v[2:3], v[6:7]
	v_add_f64_e32 v[8:9], v[10:11], v[8:9]
	s_wait_loadcnt 0x0
	s_delay_alu instid0(VALU_DEP_2) | instskip(NEXT) | instid1(VALU_DEP_2)
	v_add_f64_e64 v[6:7], v[87:88], -v[2:3]
	v_add_f64_e64 v[8:9], v[89:90], -v[8:9]
	scratch_store_b128 off, v[6:9], off offset:480
	v_cmpx_lt_u32_e32 28, v0
	s_cbranch_execz .LBB32_155
; %bb.154:
	scratch_load_b128 v[6:9], off, s23
	v_dual_mov_b32 v2, v1 :: v_dual_mov_b32 v3, v1
	v_mov_b32_e32 v4, v1
	scratch_store_b128 off, v[1:4], off offset:464
	s_wait_loadcnt 0x0
	ds_store_b128 v5, v[6:9]
.LBB32_155:
	s_wait_alu 0xfffe
	s_or_b32 exec_lo, exec_lo, s0
	s_wait_storecnt_dscnt 0x0
	s_barrier_signal -1
	s_barrier_wait -1
	global_inv scope:SCOPE_SE
	s_clause 0x4
	scratch_load_b128 v[6:9], off, off offset:480
	scratch_load_b128 v[10:13], off, off offset:496
	;; [unrolled: 1-line block ×5, first 2 shown]
	ds_load_b128 v[95:98], v1 offset:992
	ds_load_b128 v[99:102], v1 offset:1008
	s_mov_b32 s0, exec_lo
	s_wait_loadcnt_dscnt 0x401
	v_mul_f64_e32 v[2:3], v[97:98], v[8:9]
	v_mul_f64_e32 v[8:9], v[95:96], v[8:9]
	s_wait_loadcnt_dscnt 0x300
	v_mul_f64_e32 v[18:19], v[99:100], v[12:13]
	v_mul_f64_e32 v[12:13], v[101:102], v[12:13]
	s_delay_alu instid0(VALU_DEP_4) | instskip(NEXT) | instid1(VALU_DEP_4)
	v_fma_f64 v[95:96], v[95:96], v[6:7], -v[2:3]
	v_fma_f64 v[97:98], v[97:98], v[6:7], v[8:9]
	ds_load_b128 v[6:9], v1 offset:1024
	ds_load_b128 v[1:4], v1 offset:1040
	v_fma_f64 v[18:19], v[101:102], v[10:11], v[18:19]
	v_fma_f64 v[10:11], v[99:100], v[10:11], -v[12:13]
	s_wait_loadcnt_dscnt 0x201
	v_mul_f64_e32 v[103:104], v[6:7], v[16:17]
	v_mul_f64_e32 v[16:17], v[8:9], v[16:17]
	v_add_f64_e32 v[12:13], 0, v[95:96]
	v_add_f64_e32 v[95:96], 0, v[97:98]
	s_wait_loadcnt_dscnt 0x100
	v_mul_f64_e32 v[97:98], v[1:2], v[89:90]
	v_mul_f64_e32 v[89:90], v[3:4], v[89:90]
	v_fma_f64 v[8:9], v[8:9], v[14:15], v[103:104]
	v_fma_f64 v[6:7], v[6:7], v[14:15], -v[16:17]
	v_add_f64_e32 v[10:11], v[12:13], v[10:11]
	v_add_f64_e32 v[12:13], v[95:96], v[18:19]
	v_fma_f64 v[3:4], v[3:4], v[87:88], v[97:98]
	v_fma_f64 v[1:2], v[1:2], v[87:88], -v[89:90]
	s_delay_alu instid0(VALU_DEP_4) | instskip(NEXT) | instid1(VALU_DEP_4)
	v_add_f64_e32 v[6:7], v[10:11], v[6:7]
	v_add_f64_e32 v[8:9], v[12:13], v[8:9]
	s_delay_alu instid0(VALU_DEP_2) | instskip(NEXT) | instid1(VALU_DEP_2)
	v_add_f64_e32 v[1:2], v[6:7], v[1:2]
	v_add_f64_e32 v[3:4], v[8:9], v[3:4]
	s_wait_loadcnt 0x0
	s_delay_alu instid0(VALU_DEP_2) | instskip(NEXT) | instid1(VALU_DEP_2)
	v_add_f64_e64 v[1:2], v[91:92], -v[1:2]
	v_add_f64_e64 v[3:4], v[93:94], -v[3:4]
	scratch_store_b128 off, v[1:4], off offset:464
	v_cmpx_lt_u32_e32 27, v0
	s_cbranch_execz .LBB32_157
; %bb.156:
	scratch_load_b128 v[1:4], off, s10
	v_mov_b32_e32 v6, 0
	s_delay_alu instid0(VALU_DEP_1)
	v_dual_mov_b32 v7, v6 :: v_dual_mov_b32 v8, v6
	v_mov_b32_e32 v9, v6
	scratch_store_b128 off, v[6:9], off offset:448
	s_wait_loadcnt 0x0
	ds_store_b128 v5, v[1:4]
.LBB32_157:
	s_wait_alu 0xfffe
	s_or_b32 exec_lo, exec_lo, s0
	s_wait_storecnt_dscnt 0x0
	s_barrier_signal -1
	s_barrier_wait -1
	global_inv scope:SCOPE_SE
	s_clause 0x5
	scratch_load_b128 v[6:9], off, off offset:464
	scratch_load_b128 v[10:13], off, off offset:480
	;; [unrolled: 1-line block ×6, first 2 shown]
	v_mov_b32_e32 v1, 0
	ds_load_b128 v[99:102], v1 offset:976
	ds_load_b128 v[103:106], v1 offset:992
	s_mov_b32 s0, exec_lo
	s_wait_loadcnt_dscnt 0x501
	v_mul_f64_e32 v[2:3], v[101:102], v[8:9]
	v_mul_f64_e32 v[8:9], v[99:100], v[8:9]
	s_wait_loadcnt_dscnt 0x400
	v_mul_f64_e32 v[18:19], v[103:104], v[12:13]
	v_mul_f64_e32 v[12:13], v[105:106], v[12:13]
	s_delay_alu instid0(VALU_DEP_4) | instskip(NEXT) | instid1(VALU_DEP_4)
	v_fma_f64 v[2:3], v[99:100], v[6:7], -v[2:3]
	v_fma_f64 v[107:108], v[101:102], v[6:7], v[8:9]
	ds_load_b128 v[6:9], v1 offset:1008
	ds_load_b128 v[99:102], v1 offset:1024
	v_fma_f64 v[18:19], v[105:106], v[10:11], v[18:19]
	v_fma_f64 v[10:11], v[103:104], v[10:11], -v[12:13]
	s_wait_loadcnt_dscnt 0x301
	v_mul_f64_e32 v[109:110], v[6:7], v[16:17]
	v_mul_f64_e32 v[16:17], v[8:9], v[16:17]
	s_wait_loadcnt_dscnt 0x200
	v_mul_f64_e32 v[103:104], v[99:100], v[89:90]
	v_mul_f64_e32 v[89:90], v[101:102], v[89:90]
	v_add_f64_e32 v[2:3], 0, v[2:3]
	v_add_f64_e32 v[12:13], 0, v[107:108]
	v_fma_f64 v[105:106], v[8:9], v[14:15], v[109:110]
	v_fma_f64 v[14:15], v[6:7], v[14:15], -v[16:17]
	ds_load_b128 v[6:9], v1 offset:1040
	v_add_f64_e32 v[2:3], v[2:3], v[10:11]
	v_add_f64_e32 v[10:11], v[12:13], v[18:19]
	v_fma_f64 v[18:19], v[101:102], v[87:88], v[103:104]
	v_fma_f64 v[87:88], v[99:100], v[87:88], -v[89:90]
	s_wait_loadcnt_dscnt 0x100
	v_mul_f64_e32 v[12:13], v[6:7], v[93:94]
	v_mul_f64_e32 v[16:17], v[8:9], v[93:94]
	v_add_f64_e32 v[2:3], v[2:3], v[14:15]
	v_add_f64_e32 v[10:11], v[10:11], v[105:106]
	s_delay_alu instid0(VALU_DEP_4) | instskip(NEXT) | instid1(VALU_DEP_4)
	v_fma_f64 v[8:9], v[8:9], v[91:92], v[12:13]
	v_fma_f64 v[6:7], v[6:7], v[91:92], -v[16:17]
	s_delay_alu instid0(VALU_DEP_4) | instskip(NEXT) | instid1(VALU_DEP_4)
	v_add_f64_e32 v[2:3], v[2:3], v[87:88]
	v_add_f64_e32 v[10:11], v[10:11], v[18:19]
	s_delay_alu instid0(VALU_DEP_2) | instskip(NEXT) | instid1(VALU_DEP_2)
	v_add_f64_e32 v[2:3], v[2:3], v[6:7]
	v_add_f64_e32 v[8:9], v[10:11], v[8:9]
	s_wait_loadcnt 0x0
	s_delay_alu instid0(VALU_DEP_2) | instskip(NEXT) | instid1(VALU_DEP_2)
	v_add_f64_e64 v[6:7], v[95:96], -v[2:3]
	v_add_f64_e64 v[8:9], v[97:98], -v[8:9]
	scratch_store_b128 off, v[6:9], off offset:448
	v_cmpx_lt_u32_e32 26, v0
	s_cbranch_execz .LBB32_159
; %bb.158:
	scratch_load_b128 v[6:9], off, s20
	v_dual_mov_b32 v2, v1 :: v_dual_mov_b32 v3, v1
	v_mov_b32_e32 v4, v1
	scratch_store_b128 off, v[1:4], off offset:432
	s_wait_loadcnt 0x0
	ds_store_b128 v5, v[6:9]
.LBB32_159:
	s_wait_alu 0xfffe
	s_or_b32 exec_lo, exec_lo, s0
	s_wait_storecnt_dscnt 0x0
	s_barrier_signal -1
	s_barrier_wait -1
	global_inv scope:SCOPE_SE
	s_clause 0x5
	scratch_load_b128 v[6:9], off, off offset:448
	scratch_load_b128 v[10:13], off, off offset:464
	scratch_load_b128 v[14:17], off, off offset:480
	scratch_load_b128 v[87:90], off, off offset:496
	scratch_load_b128 v[91:94], off, off offset:512
	scratch_load_b128 v[95:98], off, off offset:528
	ds_load_b128 v[99:102], v1 offset:960
	ds_load_b128 v[107:110], v1 offset:976
	scratch_load_b128 v[103:106], off, off offset:432
	s_mov_b32 s0, exec_lo
	s_wait_loadcnt_dscnt 0x601
	v_mul_f64_e32 v[2:3], v[101:102], v[8:9]
	v_mul_f64_e32 v[8:9], v[99:100], v[8:9]
	s_wait_loadcnt_dscnt 0x500
	v_mul_f64_e32 v[18:19], v[107:108], v[12:13]
	v_mul_f64_e32 v[12:13], v[109:110], v[12:13]
	s_delay_alu instid0(VALU_DEP_4) | instskip(NEXT) | instid1(VALU_DEP_4)
	v_fma_f64 v[2:3], v[99:100], v[6:7], -v[2:3]
	v_fma_f64 v[111:112], v[101:102], v[6:7], v[8:9]
	ds_load_b128 v[6:9], v1 offset:992
	ds_load_b128 v[99:102], v1 offset:1008
	v_fma_f64 v[18:19], v[109:110], v[10:11], v[18:19]
	v_fma_f64 v[10:11], v[107:108], v[10:11], -v[12:13]
	s_wait_loadcnt_dscnt 0x401
	v_mul_f64_e32 v[113:114], v[6:7], v[16:17]
	v_mul_f64_e32 v[16:17], v[8:9], v[16:17]
	s_wait_loadcnt_dscnt 0x300
	v_mul_f64_e32 v[107:108], v[99:100], v[89:90]
	v_mul_f64_e32 v[89:90], v[101:102], v[89:90]
	v_add_f64_e32 v[2:3], 0, v[2:3]
	v_add_f64_e32 v[12:13], 0, v[111:112]
	v_fma_f64 v[109:110], v[8:9], v[14:15], v[113:114]
	v_fma_f64 v[14:15], v[6:7], v[14:15], -v[16:17]
	s_delay_alu instid0(VALU_DEP_4) | instskip(NEXT) | instid1(VALU_DEP_4)
	v_add_f64_e32 v[10:11], v[2:3], v[10:11]
	v_add_f64_e32 v[12:13], v[12:13], v[18:19]
	ds_load_b128 v[6:9], v1 offset:1024
	ds_load_b128 v[1:4], v1 offset:1040
	s_wait_loadcnt_dscnt 0x201
	v_mul_f64_e32 v[16:17], v[6:7], v[93:94]
	v_mul_f64_e32 v[18:19], v[8:9], v[93:94]
	v_fma_f64 v[93:94], v[101:102], v[87:88], v[107:108]
	v_fma_f64 v[87:88], v[99:100], v[87:88], -v[89:90]
	s_wait_loadcnt_dscnt 0x100
	v_mul_f64_e32 v[89:90], v[3:4], v[97:98]
	v_add_f64_e32 v[10:11], v[10:11], v[14:15]
	v_add_f64_e32 v[12:13], v[12:13], v[109:110]
	v_mul_f64_e32 v[14:15], v[1:2], v[97:98]
	v_fma_f64 v[8:9], v[8:9], v[91:92], v[16:17]
	v_fma_f64 v[6:7], v[6:7], v[91:92], -v[18:19]
	v_fma_f64 v[1:2], v[1:2], v[95:96], -v[89:90]
	v_add_f64_e32 v[10:11], v[10:11], v[87:88]
	v_add_f64_e32 v[12:13], v[12:13], v[93:94]
	v_fma_f64 v[3:4], v[3:4], v[95:96], v[14:15]
	s_delay_alu instid0(VALU_DEP_3) | instskip(NEXT) | instid1(VALU_DEP_3)
	v_add_f64_e32 v[6:7], v[10:11], v[6:7]
	v_add_f64_e32 v[8:9], v[12:13], v[8:9]
	s_delay_alu instid0(VALU_DEP_2) | instskip(NEXT) | instid1(VALU_DEP_2)
	v_add_f64_e32 v[1:2], v[6:7], v[1:2]
	v_add_f64_e32 v[3:4], v[8:9], v[3:4]
	s_wait_loadcnt 0x0
	s_delay_alu instid0(VALU_DEP_2) | instskip(NEXT) | instid1(VALU_DEP_2)
	v_add_f64_e64 v[1:2], v[103:104], -v[1:2]
	v_add_f64_e64 v[3:4], v[105:106], -v[3:4]
	scratch_store_b128 off, v[1:4], off offset:432
	v_cmpx_lt_u32_e32 25, v0
	s_cbranch_execz .LBB32_161
; %bb.160:
	scratch_load_b128 v[1:4], off, s13
	v_mov_b32_e32 v6, 0
	s_delay_alu instid0(VALU_DEP_1)
	v_dual_mov_b32 v7, v6 :: v_dual_mov_b32 v8, v6
	v_mov_b32_e32 v9, v6
	scratch_store_b128 off, v[6:9], off offset:416
	s_wait_loadcnt 0x0
	ds_store_b128 v5, v[1:4]
.LBB32_161:
	s_wait_alu 0xfffe
	s_or_b32 exec_lo, exec_lo, s0
	s_wait_storecnt_dscnt 0x0
	s_barrier_signal -1
	s_barrier_wait -1
	global_inv scope:SCOPE_SE
	s_clause 0x6
	scratch_load_b128 v[6:9], off, off offset:432
	scratch_load_b128 v[10:13], off, off offset:448
	;; [unrolled: 1-line block ×7, first 2 shown]
	v_mov_b32_e32 v1, 0
	scratch_load_b128 v[107:110], off, off offset:416
	s_mov_b32 s0, exec_lo
	ds_load_b128 v[103:106], v1 offset:944
	ds_load_b128 v[111:114], v1 offset:960
	s_wait_loadcnt_dscnt 0x701
	v_mul_f64_e32 v[2:3], v[105:106], v[8:9]
	v_mul_f64_e32 v[8:9], v[103:104], v[8:9]
	s_wait_loadcnt_dscnt 0x600
	v_mul_f64_e32 v[18:19], v[111:112], v[12:13]
	v_mul_f64_e32 v[12:13], v[113:114], v[12:13]
	s_delay_alu instid0(VALU_DEP_4) | instskip(NEXT) | instid1(VALU_DEP_4)
	v_fma_f64 v[2:3], v[103:104], v[6:7], -v[2:3]
	v_fma_f64 v[115:116], v[105:106], v[6:7], v[8:9]
	ds_load_b128 v[6:9], v1 offset:976
	ds_load_b128 v[103:106], v1 offset:992
	v_fma_f64 v[18:19], v[113:114], v[10:11], v[18:19]
	v_fma_f64 v[10:11], v[111:112], v[10:11], -v[12:13]
	s_wait_loadcnt_dscnt 0x501
	v_mul_f64_e32 v[117:118], v[6:7], v[16:17]
	v_mul_f64_e32 v[16:17], v[8:9], v[16:17]
	s_wait_loadcnt_dscnt 0x400
	v_mul_f64_e32 v[111:112], v[103:104], v[89:90]
	v_mul_f64_e32 v[89:90], v[105:106], v[89:90]
	v_add_f64_e32 v[2:3], 0, v[2:3]
	v_add_f64_e32 v[12:13], 0, v[115:116]
	v_fma_f64 v[113:114], v[8:9], v[14:15], v[117:118]
	v_fma_f64 v[14:15], v[6:7], v[14:15], -v[16:17]
	v_fma_f64 v[105:106], v[105:106], v[87:88], v[111:112]
	v_fma_f64 v[87:88], v[103:104], v[87:88], -v[89:90]
	v_add_f64_e32 v[2:3], v[2:3], v[10:11]
	v_add_f64_e32 v[16:17], v[12:13], v[18:19]
	ds_load_b128 v[6:9], v1 offset:1008
	ds_load_b128 v[10:13], v1 offset:1024
	s_wait_loadcnt_dscnt 0x301
	v_mul_f64_e32 v[18:19], v[6:7], v[93:94]
	v_mul_f64_e32 v[93:94], v[8:9], v[93:94]
	s_wait_loadcnt_dscnt 0x200
	v_mul_f64_e32 v[89:90], v[12:13], v[97:98]
	v_add_f64_e32 v[2:3], v[2:3], v[14:15]
	v_add_f64_e32 v[14:15], v[16:17], v[113:114]
	v_mul_f64_e32 v[16:17], v[10:11], v[97:98]
	v_fma_f64 v[18:19], v[8:9], v[91:92], v[18:19]
	v_fma_f64 v[91:92], v[6:7], v[91:92], -v[93:94]
	ds_load_b128 v[6:9], v1 offset:1040
	v_fma_f64 v[10:11], v[10:11], v[95:96], -v[89:90]
	v_add_f64_e32 v[2:3], v[2:3], v[87:88]
	v_add_f64_e32 v[14:15], v[14:15], v[105:106]
	v_fma_f64 v[12:13], v[12:13], v[95:96], v[16:17]
	s_wait_loadcnt_dscnt 0x100
	v_mul_f64_e32 v[87:88], v[6:7], v[101:102]
	v_mul_f64_e32 v[93:94], v[8:9], v[101:102]
	v_add_f64_e32 v[2:3], v[2:3], v[91:92]
	v_add_f64_e32 v[14:15], v[14:15], v[18:19]
	s_delay_alu instid0(VALU_DEP_4) | instskip(NEXT) | instid1(VALU_DEP_4)
	v_fma_f64 v[8:9], v[8:9], v[99:100], v[87:88]
	v_fma_f64 v[6:7], v[6:7], v[99:100], -v[93:94]
	s_delay_alu instid0(VALU_DEP_4) | instskip(NEXT) | instid1(VALU_DEP_4)
	v_add_f64_e32 v[2:3], v[2:3], v[10:11]
	v_add_f64_e32 v[10:11], v[14:15], v[12:13]
	s_delay_alu instid0(VALU_DEP_2) | instskip(NEXT) | instid1(VALU_DEP_2)
	v_add_f64_e32 v[2:3], v[2:3], v[6:7]
	v_add_f64_e32 v[8:9], v[10:11], v[8:9]
	s_wait_loadcnt 0x0
	s_delay_alu instid0(VALU_DEP_2) | instskip(NEXT) | instid1(VALU_DEP_2)
	v_add_f64_e64 v[6:7], v[107:108], -v[2:3]
	v_add_f64_e64 v[8:9], v[109:110], -v[8:9]
	scratch_store_b128 off, v[6:9], off offset:416
	v_cmpx_lt_u32_e32 24, v0
	s_cbranch_execz .LBB32_163
; %bb.162:
	scratch_load_b128 v[6:9], off, s22
	v_dual_mov_b32 v2, v1 :: v_dual_mov_b32 v3, v1
	v_mov_b32_e32 v4, v1
	scratch_store_b128 off, v[1:4], off offset:400
	s_wait_loadcnt 0x0
	ds_store_b128 v5, v[6:9]
.LBB32_163:
	s_wait_alu 0xfffe
	s_or_b32 exec_lo, exec_lo, s0
	s_wait_storecnt_dscnt 0x0
	s_barrier_signal -1
	s_barrier_wait -1
	global_inv scope:SCOPE_SE
	s_clause 0x7
	scratch_load_b128 v[6:9], off, off offset:416
	scratch_load_b128 v[10:13], off, off offset:432
	;; [unrolled: 1-line block ×8, first 2 shown]
	ds_load_b128 v[107:110], v1 offset:928
	ds_load_b128 v[111:114], v1 offset:944
	s_mov_b32 s0, exec_lo
	s_wait_loadcnt_dscnt 0x701
	v_mul_f64_e32 v[2:3], v[109:110], v[8:9]
	v_mul_f64_e32 v[8:9], v[107:108], v[8:9]
	s_wait_loadcnt_dscnt 0x600
	v_mul_f64_e32 v[18:19], v[111:112], v[12:13]
	v_mul_f64_e32 v[12:13], v[113:114], v[12:13]
	s_delay_alu instid0(VALU_DEP_4) | instskip(NEXT) | instid1(VALU_DEP_4)
	v_fma_f64 v[2:3], v[107:108], v[6:7], -v[2:3]
	v_fma_f64 v[115:116], v[109:110], v[6:7], v[8:9]
	ds_load_b128 v[6:9], v1 offset:960
	scratch_load_b128 v[107:110], off, off offset:400
	v_fma_f64 v[18:19], v[113:114], v[10:11], v[18:19]
	v_fma_f64 v[111:112], v[111:112], v[10:11], -v[12:13]
	ds_load_b128 v[10:13], v1 offset:976
	s_wait_loadcnt_dscnt 0x601
	v_mul_f64_e32 v[117:118], v[6:7], v[16:17]
	v_mul_f64_e32 v[16:17], v[8:9], v[16:17]
	v_add_f64_e32 v[2:3], 0, v[2:3]
	v_add_f64_e32 v[113:114], 0, v[115:116]
	s_wait_loadcnt_dscnt 0x500
	v_mul_f64_e32 v[115:116], v[10:11], v[89:90]
	v_mul_f64_e32 v[89:90], v[12:13], v[89:90]
	v_fma_f64 v[117:118], v[8:9], v[14:15], v[117:118]
	v_fma_f64 v[14:15], v[6:7], v[14:15], -v[16:17]
	ds_load_b128 v[6:9], v1 offset:992
	v_add_f64_e32 v[2:3], v[2:3], v[111:112]
	v_add_f64_e32 v[16:17], v[113:114], v[18:19]
	v_fma_f64 v[111:112], v[12:13], v[87:88], v[115:116]
	v_fma_f64 v[87:88], v[10:11], v[87:88], -v[89:90]
	ds_load_b128 v[10:13], v1 offset:1008
	s_wait_loadcnt_dscnt 0x401
	v_mul_f64_e32 v[18:19], v[6:7], v[93:94]
	v_mul_f64_e32 v[93:94], v[8:9], v[93:94]
	s_wait_loadcnt_dscnt 0x300
	v_mul_f64_e32 v[89:90], v[12:13], v[97:98]
	v_add_f64_e32 v[2:3], v[2:3], v[14:15]
	v_add_f64_e32 v[14:15], v[16:17], v[117:118]
	v_mul_f64_e32 v[16:17], v[10:11], v[97:98]
	v_fma_f64 v[18:19], v[8:9], v[91:92], v[18:19]
	v_fma_f64 v[91:92], v[6:7], v[91:92], -v[93:94]
	ds_load_b128 v[6:9], v1 offset:1024
	v_fma_f64 v[10:11], v[10:11], v[95:96], -v[89:90]
	s_wait_loadcnt_dscnt 0x200
	v_mul_f64_e32 v[93:94], v[8:9], v[101:102]
	v_add_f64_e32 v[2:3], v[2:3], v[87:88]
	v_add_f64_e32 v[14:15], v[14:15], v[111:112]
	v_mul_f64_e32 v[87:88], v[6:7], v[101:102]
	v_fma_f64 v[12:13], v[12:13], v[95:96], v[16:17]
	v_fma_f64 v[6:7], v[6:7], v[99:100], -v[93:94]
	v_add_f64_e32 v[16:17], v[2:3], v[91:92]
	v_add_f64_e32 v[14:15], v[14:15], v[18:19]
	ds_load_b128 v[1:4], v1 offset:1040
	v_fma_f64 v[8:9], v[8:9], v[99:100], v[87:88]
	s_wait_loadcnt_dscnt 0x100
	v_mul_f64_e32 v[18:19], v[1:2], v[105:106]
	v_mul_f64_e32 v[89:90], v[3:4], v[105:106]
	v_add_f64_e32 v[10:11], v[16:17], v[10:11]
	v_add_f64_e32 v[12:13], v[14:15], v[12:13]
	s_delay_alu instid0(VALU_DEP_4) | instskip(NEXT) | instid1(VALU_DEP_4)
	v_fma_f64 v[3:4], v[3:4], v[103:104], v[18:19]
	v_fma_f64 v[1:2], v[1:2], v[103:104], -v[89:90]
	s_delay_alu instid0(VALU_DEP_4) | instskip(NEXT) | instid1(VALU_DEP_4)
	v_add_f64_e32 v[6:7], v[10:11], v[6:7]
	v_add_f64_e32 v[8:9], v[12:13], v[8:9]
	s_delay_alu instid0(VALU_DEP_2) | instskip(NEXT) | instid1(VALU_DEP_2)
	v_add_f64_e32 v[1:2], v[6:7], v[1:2]
	v_add_f64_e32 v[3:4], v[8:9], v[3:4]
	s_wait_loadcnt 0x0
	s_delay_alu instid0(VALU_DEP_2) | instskip(NEXT) | instid1(VALU_DEP_2)
	v_add_f64_e64 v[1:2], v[107:108], -v[1:2]
	v_add_f64_e64 v[3:4], v[109:110], -v[3:4]
	scratch_store_b128 off, v[1:4], off offset:400
	v_cmpx_lt_u32_e32 23, v0
	s_cbranch_execz .LBB32_165
; %bb.164:
	scratch_load_b128 v[1:4], off, s19
	v_mov_b32_e32 v6, 0
	s_delay_alu instid0(VALU_DEP_1)
	v_dual_mov_b32 v7, v6 :: v_dual_mov_b32 v8, v6
	v_mov_b32_e32 v9, v6
	scratch_store_b128 off, v[6:9], off offset:384
	s_wait_loadcnt 0x0
	ds_store_b128 v5, v[1:4]
.LBB32_165:
	s_wait_alu 0xfffe
	s_or_b32 exec_lo, exec_lo, s0
	s_wait_storecnt_dscnt 0x0
	s_barrier_signal -1
	s_barrier_wait -1
	global_inv scope:SCOPE_SE
	s_clause 0x7
	scratch_load_b128 v[6:9], off, off offset:400
	scratch_load_b128 v[10:13], off, off offset:416
	;; [unrolled: 1-line block ×8, first 2 shown]
	v_mov_b32_e32 v1, 0
	scratch_load_b128 v[111:114], off, off offset:528
	s_mov_b32 s0, exec_lo
	ds_load_b128 v[107:110], v1 offset:912
	ds_load_b128 v[115:118], v1 offset:928
	s_wait_loadcnt_dscnt 0x801
	v_mul_f64_e32 v[2:3], v[109:110], v[8:9]
	v_mul_f64_e32 v[8:9], v[107:108], v[8:9]
	s_wait_loadcnt_dscnt 0x700
	v_mul_f64_e32 v[18:19], v[115:116], v[12:13]
	v_mul_f64_e32 v[12:13], v[117:118], v[12:13]
	s_delay_alu instid0(VALU_DEP_4) | instskip(NEXT) | instid1(VALU_DEP_4)
	v_fma_f64 v[2:3], v[107:108], v[6:7], -v[2:3]
	v_fma_f64 v[107:108], v[109:110], v[6:7], v[8:9]
	ds_load_b128 v[6:9], v1 offset:944
	v_fma_f64 v[117:118], v[117:118], v[10:11], v[18:19]
	v_fma_f64 v[115:116], v[115:116], v[10:11], -v[12:13]
	ds_load_b128 v[10:13], v1 offset:960
	s_wait_loadcnt_dscnt 0x601
	v_mul_f64_e32 v[109:110], v[6:7], v[16:17]
	v_mul_f64_e32 v[119:120], v[8:9], v[16:17]
	scratch_load_b128 v[16:19], off, off offset:384
	s_wait_loadcnt_dscnt 0x600
	v_mul_f64_e32 v[121:122], v[10:11], v[89:90]
	v_mul_f64_e32 v[89:90], v[12:13], v[89:90]
	v_add_f64_e32 v[2:3], 0, v[2:3]
	v_add_f64_e32 v[107:108], 0, v[107:108]
	v_fma_f64 v[109:110], v[8:9], v[14:15], v[109:110]
	v_fma_f64 v[14:15], v[6:7], v[14:15], -v[119:120]
	ds_load_b128 v[6:9], v1 offset:976
	v_add_f64_e32 v[2:3], v[2:3], v[115:116]
	v_add_f64_e32 v[107:108], v[107:108], v[117:118]
	v_fma_f64 v[117:118], v[12:13], v[87:88], v[121:122]
	v_fma_f64 v[87:88], v[10:11], v[87:88], -v[89:90]
	ds_load_b128 v[10:13], v1 offset:992
	s_wait_loadcnt_dscnt 0x501
	v_mul_f64_e32 v[115:116], v[6:7], v[93:94]
	v_mul_f64_e32 v[93:94], v[8:9], v[93:94]
	s_wait_loadcnt_dscnt 0x400
	v_mul_f64_e32 v[89:90], v[10:11], v[97:98]
	v_mul_f64_e32 v[97:98], v[12:13], v[97:98]
	v_add_f64_e32 v[2:3], v[2:3], v[14:15]
	v_add_f64_e32 v[14:15], v[107:108], v[109:110]
	v_fma_f64 v[107:108], v[8:9], v[91:92], v[115:116]
	v_fma_f64 v[91:92], v[6:7], v[91:92], -v[93:94]
	ds_load_b128 v[6:9], v1 offset:1008
	v_fma_f64 v[89:90], v[12:13], v[95:96], v[89:90]
	v_fma_f64 v[95:96], v[10:11], v[95:96], -v[97:98]
	ds_load_b128 v[10:13], v1 offset:1024
	s_wait_loadcnt_dscnt 0x301
	v_mul_f64_e32 v[93:94], v[8:9], v[101:102]
	v_add_f64_e32 v[2:3], v[2:3], v[87:88]
	v_add_f64_e32 v[14:15], v[14:15], v[117:118]
	v_mul_f64_e32 v[87:88], v[6:7], v[101:102]
	s_wait_loadcnt_dscnt 0x200
	v_mul_f64_e32 v[97:98], v[12:13], v[105:106]
	v_fma_f64 v[93:94], v[6:7], v[99:100], -v[93:94]
	v_add_f64_e32 v[2:3], v[2:3], v[91:92]
	v_add_f64_e32 v[14:15], v[14:15], v[107:108]
	v_mul_f64_e32 v[91:92], v[10:11], v[105:106]
	v_fma_f64 v[87:88], v[8:9], v[99:100], v[87:88]
	ds_load_b128 v[6:9], v1 offset:1040
	v_fma_f64 v[10:11], v[10:11], v[103:104], -v[97:98]
	v_add_f64_e32 v[2:3], v[2:3], v[95:96]
	v_add_f64_e32 v[14:15], v[14:15], v[89:90]
	s_wait_loadcnt_dscnt 0x100
	v_mul_f64_e32 v[89:90], v[6:7], v[113:114]
	v_mul_f64_e32 v[95:96], v[8:9], v[113:114]
	v_fma_f64 v[12:13], v[12:13], v[103:104], v[91:92]
	v_add_f64_e32 v[2:3], v[2:3], v[93:94]
	v_add_f64_e32 v[14:15], v[14:15], v[87:88]
	v_fma_f64 v[8:9], v[8:9], v[111:112], v[89:90]
	v_fma_f64 v[6:7], v[6:7], v[111:112], -v[95:96]
	s_delay_alu instid0(VALU_DEP_4) | instskip(NEXT) | instid1(VALU_DEP_4)
	v_add_f64_e32 v[2:3], v[2:3], v[10:11]
	v_add_f64_e32 v[10:11], v[14:15], v[12:13]
	s_delay_alu instid0(VALU_DEP_2) | instskip(NEXT) | instid1(VALU_DEP_2)
	v_add_f64_e32 v[2:3], v[2:3], v[6:7]
	v_add_f64_e32 v[8:9], v[10:11], v[8:9]
	s_wait_loadcnt 0x0
	s_delay_alu instid0(VALU_DEP_2) | instskip(NEXT) | instid1(VALU_DEP_2)
	v_add_f64_e64 v[6:7], v[16:17], -v[2:3]
	v_add_f64_e64 v[8:9], v[18:19], -v[8:9]
	scratch_store_b128 off, v[6:9], off offset:384
	v_cmpx_lt_u32_e32 22, v0
	s_cbranch_execz .LBB32_167
; %bb.166:
	scratch_load_b128 v[6:9], off, s29
	v_dual_mov_b32 v2, v1 :: v_dual_mov_b32 v3, v1
	v_mov_b32_e32 v4, v1
	scratch_store_b128 off, v[1:4], off offset:368
	s_wait_loadcnt 0x0
	ds_store_b128 v5, v[6:9]
.LBB32_167:
	s_wait_alu 0xfffe
	s_or_b32 exec_lo, exec_lo, s0
	s_wait_storecnt_dscnt 0x0
	s_barrier_signal -1
	s_barrier_wait -1
	global_inv scope:SCOPE_SE
	s_clause 0x8
	scratch_load_b128 v[6:9], off, off offset:384
	scratch_load_b128 v[10:13], off, off offset:400
	;; [unrolled: 1-line block ×9, first 2 shown]
	ds_load_b128 v[111:114], v1 offset:896
	ds_load_b128 v[115:118], v1 offset:912
	s_clause 0x1
	scratch_load_b128 v[119:122], off, off offset:368
	scratch_load_b128 v[123:126], off, off offset:528
	s_mov_b32 s0, exec_lo
	s_wait_loadcnt_dscnt 0xa01
	v_mul_f64_e32 v[2:3], v[113:114], v[8:9]
	v_mul_f64_e32 v[8:9], v[111:112], v[8:9]
	s_wait_loadcnt_dscnt 0x900
	v_mul_f64_e32 v[18:19], v[115:116], v[12:13]
	v_mul_f64_e32 v[12:13], v[117:118], v[12:13]
	s_delay_alu instid0(VALU_DEP_4) | instskip(NEXT) | instid1(VALU_DEP_4)
	v_fma_f64 v[2:3], v[111:112], v[6:7], -v[2:3]
	v_fma_f64 v[127:128], v[113:114], v[6:7], v[8:9]
	ds_load_b128 v[6:9], v1 offset:928
	ds_load_b128 v[111:114], v1 offset:944
	v_fma_f64 v[18:19], v[117:118], v[10:11], v[18:19]
	v_fma_f64 v[10:11], v[115:116], v[10:11], -v[12:13]
	s_wait_loadcnt_dscnt 0x801
	v_mul_f64_e32 v[129:130], v[6:7], v[16:17]
	v_mul_f64_e32 v[16:17], v[8:9], v[16:17]
	s_wait_loadcnt_dscnt 0x700
	v_mul_f64_e32 v[115:116], v[111:112], v[89:90]
	v_mul_f64_e32 v[89:90], v[113:114], v[89:90]
	v_add_f64_e32 v[2:3], 0, v[2:3]
	v_add_f64_e32 v[12:13], 0, v[127:128]
	v_fma_f64 v[117:118], v[8:9], v[14:15], v[129:130]
	v_fma_f64 v[14:15], v[6:7], v[14:15], -v[16:17]
	v_fma_f64 v[113:114], v[113:114], v[87:88], v[115:116]
	v_fma_f64 v[87:88], v[111:112], v[87:88], -v[89:90]
	v_add_f64_e32 v[2:3], v[2:3], v[10:11]
	v_add_f64_e32 v[16:17], v[12:13], v[18:19]
	ds_load_b128 v[6:9], v1 offset:960
	ds_load_b128 v[10:13], v1 offset:976
	s_wait_loadcnt_dscnt 0x601
	v_mul_f64_e32 v[18:19], v[6:7], v[93:94]
	v_mul_f64_e32 v[93:94], v[8:9], v[93:94]
	s_wait_loadcnt_dscnt 0x500
	v_mul_f64_e32 v[89:90], v[10:11], v[97:98]
	v_mul_f64_e32 v[97:98], v[12:13], v[97:98]
	v_add_f64_e32 v[2:3], v[2:3], v[14:15]
	v_add_f64_e32 v[14:15], v[16:17], v[117:118]
	v_fma_f64 v[18:19], v[8:9], v[91:92], v[18:19]
	v_fma_f64 v[91:92], v[6:7], v[91:92], -v[93:94]
	v_fma_f64 v[12:13], v[12:13], v[95:96], v[89:90]
	v_fma_f64 v[10:11], v[10:11], v[95:96], -v[97:98]
	v_add_f64_e32 v[2:3], v[2:3], v[87:88]
	v_add_f64_e32 v[87:88], v[14:15], v[113:114]
	ds_load_b128 v[6:9], v1 offset:992
	ds_load_b128 v[14:17], v1 offset:1008
	s_wait_loadcnt_dscnt 0x401
	v_mul_f64_e32 v[93:94], v[6:7], v[101:102]
	v_mul_f64_e32 v[101:102], v[8:9], v[101:102]
	s_wait_loadcnt_dscnt 0x300
	v_mul_f64_e32 v[89:90], v[16:17], v[105:106]
	v_add_f64_e32 v[2:3], v[2:3], v[91:92]
	v_add_f64_e32 v[18:19], v[87:88], v[18:19]
	v_mul_f64_e32 v[87:88], v[14:15], v[105:106]
	v_fma_f64 v[91:92], v[8:9], v[99:100], v[93:94]
	v_fma_f64 v[93:94], v[6:7], v[99:100], -v[101:102]
	v_fma_f64 v[14:15], v[14:15], v[103:104], -v[89:90]
	v_add_f64_e32 v[10:11], v[2:3], v[10:11]
	v_add_f64_e32 v[12:13], v[18:19], v[12:13]
	ds_load_b128 v[6:9], v1 offset:1024
	ds_load_b128 v[1:4], v1 offset:1040
	v_fma_f64 v[16:17], v[16:17], v[103:104], v[87:88]
	s_wait_loadcnt_dscnt 0x201
	v_mul_f64_e32 v[18:19], v[6:7], v[109:110]
	v_mul_f64_e32 v[95:96], v[8:9], v[109:110]
	s_wait_loadcnt_dscnt 0x0
	v_mul_f64_e32 v[87:88], v[1:2], v[125:126]
	v_mul_f64_e32 v[89:90], v[3:4], v[125:126]
	v_add_f64_e32 v[10:11], v[10:11], v[93:94]
	v_add_f64_e32 v[12:13], v[12:13], v[91:92]
	v_fma_f64 v[8:9], v[8:9], v[107:108], v[18:19]
	v_fma_f64 v[6:7], v[6:7], v[107:108], -v[95:96]
	v_fma_f64 v[3:4], v[3:4], v[123:124], v[87:88]
	v_fma_f64 v[1:2], v[1:2], v[123:124], -v[89:90]
	v_add_f64_e32 v[10:11], v[10:11], v[14:15]
	v_add_f64_e32 v[12:13], v[12:13], v[16:17]
	s_delay_alu instid0(VALU_DEP_2) | instskip(NEXT) | instid1(VALU_DEP_2)
	v_add_f64_e32 v[6:7], v[10:11], v[6:7]
	v_add_f64_e32 v[8:9], v[12:13], v[8:9]
	s_delay_alu instid0(VALU_DEP_2) | instskip(NEXT) | instid1(VALU_DEP_2)
	v_add_f64_e32 v[1:2], v[6:7], v[1:2]
	v_add_f64_e32 v[3:4], v[8:9], v[3:4]
	s_delay_alu instid0(VALU_DEP_2) | instskip(NEXT) | instid1(VALU_DEP_2)
	v_add_f64_e64 v[1:2], v[119:120], -v[1:2]
	v_add_f64_e64 v[3:4], v[121:122], -v[3:4]
	scratch_store_b128 off, v[1:4], off offset:368
	v_cmpx_lt_u32_e32 21, v0
	s_cbranch_execz .LBB32_169
; %bb.168:
	scratch_load_b128 v[1:4], off, s27
	v_mov_b32_e32 v6, 0
	s_delay_alu instid0(VALU_DEP_1)
	v_dual_mov_b32 v7, v6 :: v_dual_mov_b32 v8, v6
	v_mov_b32_e32 v9, v6
	scratch_store_b128 off, v[6:9], off offset:352
	s_wait_loadcnt 0x0
	ds_store_b128 v5, v[1:4]
.LBB32_169:
	s_wait_alu 0xfffe
	s_or_b32 exec_lo, exec_lo, s0
	s_wait_storecnt_dscnt 0x0
	s_barrier_signal -1
	s_barrier_wait -1
	global_inv scope:SCOPE_SE
	s_clause 0x7
	scratch_load_b128 v[6:9], off, off offset:368
	scratch_load_b128 v[10:13], off, off offset:384
	scratch_load_b128 v[14:17], off, off offset:400
	scratch_load_b128 v[87:90], off, off offset:416
	scratch_load_b128 v[91:94], off, off offset:432
	scratch_load_b128 v[95:98], off, off offset:448
	scratch_load_b128 v[99:102], off, off offset:464
	scratch_load_b128 v[103:106], off, off offset:480
	v_mov_b32_e32 v1, 0
	s_mov_b32 s0, exec_lo
	ds_load_b128 v[107:110], v1 offset:880
	s_clause 0x1
	scratch_load_b128 v[111:114], off, off offset:496
	scratch_load_b128 v[115:118], off, off offset:352
	ds_load_b128 v[119:122], v1 offset:896
	scratch_load_b128 v[123:126], off, off offset:512
	ds_load_b128 v[127:130], v1 offset:928
	s_wait_loadcnt_dscnt 0xa02
	v_mul_f64_e32 v[2:3], v[109:110], v[8:9]
	v_mul_f64_e32 v[8:9], v[107:108], v[8:9]
	s_delay_alu instid0(VALU_DEP_2) | instskip(NEXT) | instid1(VALU_DEP_2)
	v_fma_f64 v[2:3], v[107:108], v[6:7], -v[2:3]
	v_fma_f64 v[131:132], v[109:110], v[6:7], v[8:9]
	ds_load_b128 v[6:9], v1 offset:912
	s_wait_loadcnt_dscnt 0x902
	v_mul_f64_e32 v[18:19], v[119:120], v[12:13]
	v_mul_f64_e32 v[12:13], v[121:122], v[12:13]
	scratch_load_b128 v[107:110], off, off offset:528
	s_wait_loadcnt_dscnt 0x900
	v_mul_f64_e32 v[133:134], v[6:7], v[16:17]
	v_mul_f64_e32 v[16:17], v[8:9], v[16:17]
	v_add_f64_e32 v[2:3], 0, v[2:3]
	v_fma_f64 v[18:19], v[121:122], v[10:11], v[18:19]
	v_fma_f64 v[10:11], v[119:120], v[10:11], -v[12:13]
	v_add_f64_e32 v[12:13], 0, v[131:132]
	s_wait_loadcnt 0x8
	v_mul_f64_e32 v[119:120], v[127:128], v[89:90]
	v_mul_f64_e32 v[89:90], v[129:130], v[89:90]
	v_fma_f64 v[121:122], v[8:9], v[14:15], v[133:134]
	v_fma_f64 v[14:15], v[6:7], v[14:15], -v[16:17]
	v_add_f64_e32 v[2:3], v[2:3], v[10:11]
	v_add_f64_e32 v[16:17], v[12:13], v[18:19]
	ds_load_b128 v[6:9], v1 offset:944
	ds_load_b128 v[10:13], v1 offset:960
	v_fma_f64 v[119:120], v[129:130], v[87:88], v[119:120]
	v_fma_f64 v[87:88], v[127:128], v[87:88], -v[89:90]
	s_wait_loadcnt_dscnt 0x701
	v_mul_f64_e32 v[18:19], v[6:7], v[93:94]
	v_mul_f64_e32 v[93:94], v[8:9], v[93:94]
	s_wait_loadcnt_dscnt 0x600
	v_mul_f64_e32 v[89:90], v[10:11], v[97:98]
	v_mul_f64_e32 v[97:98], v[12:13], v[97:98]
	v_add_f64_e32 v[2:3], v[2:3], v[14:15]
	v_add_f64_e32 v[14:15], v[16:17], v[121:122]
	v_fma_f64 v[18:19], v[8:9], v[91:92], v[18:19]
	v_fma_f64 v[91:92], v[6:7], v[91:92], -v[93:94]
	v_fma_f64 v[12:13], v[12:13], v[95:96], v[89:90]
	v_fma_f64 v[10:11], v[10:11], v[95:96], -v[97:98]
	v_add_f64_e32 v[2:3], v[2:3], v[87:88]
	v_add_f64_e32 v[87:88], v[14:15], v[119:120]
	ds_load_b128 v[6:9], v1 offset:976
	ds_load_b128 v[14:17], v1 offset:992
	s_wait_loadcnt_dscnt 0x501
	v_mul_f64_e32 v[93:94], v[6:7], v[101:102]
	v_mul_f64_e32 v[101:102], v[8:9], v[101:102]
	s_wait_loadcnt_dscnt 0x400
	v_mul_f64_e32 v[89:90], v[16:17], v[105:106]
	v_add_f64_e32 v[2:3], v[2:3], v[91:92]
	v_add_f64_e32 v[18:19], v[87:88], v[18:19]
	v_mul_f64_e32 v[87:88], v[14:15], v[105:106]
	v_fma_f64 v[91:92], v[8:9], v[99:100], v[93:94]
	v_fma_f64 v[93:94], v[6:7], v[99:100], -v[101:102]
	v_fma_f64 v[14:15], v[14:15], v[103:104], -v[89:90]
	v_add_f64_e32 v[2:3], v[2:3], v[10:11]
	v_add_f64_e32 v[18:19], v[18:19], v[12:13]
	ds_load_b128 v[6:9], v1 offset:1008
	ds_load_b128 v[10:13], v1 offset:1024
	v_fma_f64 v[16:17], v[16:17], v[103:104], v[87:88]
	s_wait_loadcnt_dscnt 0x301
	v_mul_f64_e32 v[95:96], v[6:7], v[113:114]
	v_mul_f64_e32 v[97:98], v[8:9], v[113:114]
	s_wait_loadcnt_dscnt 0x100
	v_mul_f64_e32 v[87:88], v[10:11], v[125:126]
	v_mul_f64_e32 v[89:90], v[12:13], v[125:126]
	v_add_f64_e32 v[2:3], v[2:3], v[93:94]
	v_add_f64_e32 v[18:19], v[18:19], v[91:92]
	v_fma_f64 v[91:92], v[8:9], v[111:112], v[95:96]
	v_fma_f64 v[93:94], v[6:7], v[111:112], -v[97:98]
	ds_load_b128 v[6:9], v1 offset:1040
	v_fma_f64 v[12:13], v[12:13], v[123:124], v[87:88]
	v_fma_f64 v[10:11], v[10:11], v[123:124], -v[89:90]
	v_add_f64_e32 v[2:3], v[2:3], v[14:15]
	v_add_f64_e32 v[14:15], v[18:19], v[16:17]
	s_wait_loadcnt_dscnt 0x0
	v_mul_f64_e32 v[16:17], v[6:7], v[109:110]
	v_mul_f64_e32 v[18:19], v[8:9], v[109:110]
	s_delay_alu instid0(VALU_DEP_4) | instskip(NEXT) | instid1(VALU_DEP_4)
	v_add_f64_e32 v[2:3], v[2:3], v[93:94]
	v_add_f64_e32 v[14:15], v[14:15], v[91:92]
	s_delay_alu instid0(VALU_DEP_4) | instskip(NEXT) | instid1(VALU_DEP_4)
	v_fma_f64 v[8:9], v[8:9], v[107:108], v[16:17]
	v_fma_f64 v[6:7], v[6:7], v[107:108], -v[18:19]
	s_delay_alu instid0(VALU_DEP_4) | instskip(NEXT) | instid1(VALU_DEP_4)
	v_add_f64_e32 v[2:3], v[2:3], v[10:11]
	v_add_f64_e32 v[10:11], v[14:15], v[12:13]
	s_delay_alu instid0(VALU_DEP_2) | instskip(NEXT) | instid1(VALU_DEP_2)
	v_add_f64_e32 v[2:3], v[2:3], v[6:7]
	v_add_f64_e32 v[8:9], v[10:11], v[8:9]
	s_delay_alu instid0(VALU_DEP_2) | instskip(NEXT) | instid1(VALU_DEP_2)
	v_add_f64_e64 v[6:7], v[115:116], -v[2:3]
	v_add_f64_e64 v[8:9], v[117:118], -v[8:9]
	scratch_store_b128 off, v[6:9], off offset:352
	v_cmpx_lt_u32_e32 20, v0
	s_cbranch_execz .LBB32_171
; %bb.170:
	scratch_load_b128 v[6:9], off, s31
	v_dual_mov_b32 v2, v1 :: v_dual_mov_b32 v3, v1
	v_mov_b32_e32 v4, v1
	scratch_store_b128 off, v[1:4], off offset:336
	s_wait_loadcnt 0x0
	ds_store_b128 v5, v[6:9]
.LBB32_171:
	s_wait_alu 0xfffe
	s_or_b32 exec_lo, exec_lo, s0
	s_wait_storecnt_dscnt 0x0
	s_barrier_signal -1
	s_barrier_wait -1
	global_inv scope:SCOPE_SE
	s_clause 0x8
	scratch_load_b128 v[6:9], off, off offset:352
	scratch_load_b128 v[10:13], off, off offset:368
	;; [unrolled: 1-line block ×9, first 2 shown]
	ds_load_b128 v[111:114], v1 offset:864
	ds_load_b128 v[115:118], v1 offset:880
	s_clause 0x1
	scratch_load_b128 v[119:122], off, off offset:336
	scratch_load_b128 v[123:126], off, off offset:496
	s_mov_b32 s0, exec_lo
	ds_load_b128 v[127:130], v1 offset:912
	s_wait_loadcnt_dscnt 0xa02
	v_mul_f64_e32 v[2:3], v[113:114], v[8:9]
	v_mul_f64_e32 v[8:9], v[111:112], v[8:9]
	s_wait_loadcnt_dscnt 0x901
	v_mul_f64_e32 v[18:19], v[115:116], v[12:13]
	v_mul_f64_e32 v[12:13], v[117:118], v[12:13]
	s_delay_alu instid0(VALU_DEP_4) | instskip(NEXT) | instid1(VALU_DEP_4)
	v_fma_f64 v[2:3], v[111:112], v[6:7], -v[2:3]
	v_fma_f64 v[131:132], v[113:114], v[6:7], v[8:9]
	ds_load_b128 v[6:9], v1 offset:896
	scratch_load_b128 v[111:114], off, off offset:512
	v_fma_f64 v[18:19], v[117:118], v[10:11], v[18:19]
	v_fma_f64 v[115:116], v[115:116], v[10:11], -v[12:13]
	scratch_load_b128 v[10:13], off, off offset:528
	s_wait_loadcnt_dscnt 0xa00
	v_mul_f64_e32 v[133:134], v[6:7], v[16:17]
	v_mul_f64_e32 v[16:17], v[8:9], v[16:17]
	v_add_f64_e32 v[2:3], 0, v[2:3]
	v_add_f64_e32 v[117:118], 0, v[131:132]
	s_wait_loadcnt 0x9
	v_mul_f64_e32 v[131:132], v[127:128], v[89:90]
	v_mul_f64_e32 v[89:90], v[129:130], v[89:90]
	v_fma_f64 v[133:134], v[8:9], v[14:15], v[133:134]
	v_fma_f64 v[135:136], v[6:7], v[14:15], -v[16:17]
	ds_load_b128 v[6:9], v1 offset:928
	ds_load_b128 v[14:17], v1 offset:944
	v_add_f64_e32 v[2:3], v[2:3], v[115:116]
	v_add_f64_e32 v[18:19], v[117:118], v[18:19]
	v_fma_f64 v[117:118], v[129:130], v[87:88], v[131:132]
	v_fma_f64 v[87:88], v[127:128], v[87:88], -v[89:90]
	s_wait_loadcnt_dscnt 0x801
	v_mul_f64_e32 v[115:116], v[6:7], v[93:94]
	v_mul_f64_e32 v[93:94], v[8:9], v[93:94]
	s_wait_loadcnt_dscnt 0x700
	v_mul_f64_e32 v[127:128], v[14:15], v[97:98]
	v_mul_f64_e32 v[97:98], v[16:17], v[97:98]
	v_add_f64_e32 v[2:3], v[2:3], v[135:136]
	v_add_f64_e32 v[18:19], v[18:19], v[133:134]
	v_fma_f64 v[115:116], v[8:9], v[91:92], v[115:116]
	v_fma_f64 v[91:92], v[6:7], v[91:92], -v[93:94]
	v_fma_f64 v[16:17], v[16:17], v[95:96], v[127:128]
	v_fma_f64 v[14:15], v[14:15], v[95:96], -v[97:98]
	v_add_f64_e32 v[2:3], v[2:3], v[87:88]
	v_add_f64_e32 v[18:19], v[18:19], v[117:118]
	ds_load_b128 v[6:9], v1 offset:960
	ds_load_b128 v[87:90], v1 offset:976
	s_wait_loadcnt_dscnt 0x601
	v_mul_f64_e32 v[93:94], v[6:7], v[101:102]
	v_mul_f64_e32 v[101:102], v[8:9], v[101:102]
	s_wait_loadcnt_dscnt 0x500
	v_mul_f64_e32 v[95:96], v[89:90], v[105:106]
	v_add_f64_e32 v[2:3], v[2:3], v[91:92]
	v_add_f64_e32 v[18:19], v[18:19], v[115:116]
	v_mul_f64_e32 v[91:92], v[87:88], v[105:106]
	v_fma_f64 v[93:94], v[8:9], v[99:100], v[93:94]
	v_fma_f64 v[97:98], v[6:7], v[99:100], -v[101:102]
	v_fma_f64 v[87:88], v[87:88], v[103:104], -v[95:96]
	v_add_f64_e32 v[2:3], v[2:3], v[14:15]
	v_add_f64_e32 v[18:19], v[18:19], v[16:17]
	ds_load_b128 v[6:9], v1 offset:992
	ds_load_b128 v[14:17], v1 offset:1008
	v_fma_f64 v[89:90], v[89:90], v[103:104], v[91:92]
	s_wait_loadcnt_dscnt 0x401
	v_mul_f64_e32 v[99:100], v[6:7], v[109:110]
	v_mul_f64_e32 v[101:102], v[8:9], v[109:110]
	s_wait_loadcnt_dscnt 0x200
	v_mul_f64_e32 v[91:92], v[14:15], v[125:126]
	v_add_f64_e32 v[2:3], v[2:3], v[97:98]
	v_add_f64_e32 v[18:19], v[18:19], v[93:94]
	v_mul_f64_e32 v[93:94], v[16:17], v[125:126]
	v_fma_f64 v[95:96], v[8:9], v[107:108], v[99:100]
	v_fma_f64 v[97:98], v[6:7], v[107:108], -v[101:102]
	v_fma_f64 v[16:17], v[16:17], v[123:124], v[91:92]
	v_add_f64_e32 v[87:88], v[2:3], v[87:88]
	v_add_f64_e32 v[18:19], v[18:19], v[89:90]
	ds_load_b128 v[6:9], v1 offset:1024
	ds_load_b128 v[1:4], v1 offset:1040
	v_fma_f64 v[14:15], v[14:15], v[123:124], -v[93:94]
	s_wait_loadcnt_dscnt 0x101
	v_mul_f64_e32 v[89:90], v[6:7], v[113:114]
	v_mul_f64_e32 v[99:100], v[8:9], v[113:114]
	s_wait_loadcnt_dscnt 0x0
	v_mul_f64_e32 v[91:92], v[1:2], v[12:13]
	v_mul_f64_e32 v[12:13], v[3:4], v[12:13]
	v_add_f64_e32 v[87:88], v[87:88], v[97:98]
	v_add_f64_e32 v[18:19], v[18:19], v[95:96]
	v_fma_f64 v[8:9], v[8:9], v[111:112], v[89:90]
	v_fma_f64 v[6:7], v[6:7], v[111:112], -v[99:100]
	v_fma_f64 v[3:4], v[3:4], v[10:11], v[91:92]
	v_fma_f64 v[1:2], v[1:2], v[10:11], -v[12:13]
	v_add_f64_e32 v[14:15], v[87:88], v[14:15]
	v_add_f64_e32 v[16:17], v[18:19], v[16:17]
	s_delay_alu instid0(VALU_DEP_2) | instskip(NEXT) | instid1(VALU_DEP_2)
	v_add_f64_e32 v[6:7], v[14:15], v[6:7]
	v_add_f64_e32 v[8:9], v[16:17], v[8:9]
	s_delay_alu instid0(VALU_DEP_2) | instskip(NEXT) | instid1(VALU_DEP_2)
	;; [unrolled: 3-line block ×3, first 2 shown]
	v_add_f64_e64 v[1:2], v[119:120], -v[1:2]
	v_add_f64_e64 v[3:4], v[121:122], -v[3:4]
	scratch_store_b128 off, v[1:4], off offset:336
	v_cmpx_lt_u32_e32 19, v0
	s_cbranch_execz .LBB32_173
; %bb.172:
	scratch_load_b128 v[1:4], off, s34
	v_mov_b32_e32 v6, 0
	s_delay_alu instid0(VALU_DEP_1)
	v_dual_mov_b32 v7, v6 :: v_dual_mov_b32 v8, v6
	v_mov_b32_e32 v9, v6
	scratch_store_b128 off, v[6:9], off offset:320
	s_wait_loadcnt 0x0
	ds_store_b128 v5, v[1:4]
.LBB32_173:
	s_wait_alu 0xfffe
	s_or_b32 exec_lo, exec_lo, s0
	s_wait_storecnt_dscnt 0x0
	s_barrier_signal -1
	s_barrier_wait -1
	global_inv scope:SCOPE_SE
	s_clause 0x7
	scratch_load_b128 v[6:9], off, off offset:336
	scratch_load_b128 v[10:13], off, off offset:352
	;; [unrolled: 1-line block ×8, first 2 shown]
	v_mov_b32_e32 v1, 0
	s_mov_b32 s0, exec_lo
	ds_load_b128 v[107:110], v1 offset:848
	s_clause 0x1
	scratch_load_b128 v[111:114], off, off offset:464
	scratch_load_b128 v[115:118], off, off offset:320
	ds_load_b128 v[119:122], v1 offset:864
	scratch_load_b128 v[123:126], off, off offset:480
	ds_load_b128 v[127:130], v1 offset:896
	s_wait_loadcnt_dscnt 0xa02
	v_mul_f64_e32 v[2:3], v[109:110], v[8:9]
	v_mul_f64_e32 v[8:9], v[107:108], v[8:9]
	s_delay_alu instid0(VALU_DEP_2) | instskip(NEXT) | instid1(VALU_DEP_2)
	v_fma_f64 v[2:3], v[107:108], v[6:7], -v[2:3]
	v_fma_f64 v[131:132], v[109:110], v[6:7], v[8:9]
	ds_load_b128 v[6:9], v1 offset:880
	s_wait_loadcnt_dscnt 0x902
	v_mul_f64_e32 v[18:19], v[119:120], v[12:13]
	v_mul_f64_e32 v[12:13], v[121:122], v[12:13]
	scratch_load_b128 v[107:110], off, off offset:496
	s_wait_loadcnt_dscnt 0x900
	v_mul_f64_e32 v[133:134], v[6:7], v[16:17]
	v_mul_f64_e32 v[16:17], v[8:9], v[16:17]
	v_add_f64_e32 v[2:3], 0, v[2:3]
	v_fma_f64 v[18:19], v[121:122], v[10:11], v[18:19]
	v_fma_f64 v[119:120], v[119:120], v[10:11], -v[12:13]
	v_add_f64_e32 v[121:122], 0, v[131:132]
	scratch_load_b128 v[10:13], off, off offset:512
	v_fma_f64 v[133:134], v[8:9], v[14:15], v[133:134]
	v_fma_f64 v[135:136], v[6:7], v[14:15], -v[16:17]
	ds_load_b128 v[6:9], v1 offset:912
	s_wait_loadcnt 0x9
	v_mul_f64_e32 v[131:132], v[127:128], v[89:90]
	v_mul_f64_e32 v[89:90], v[129:130], v[89:90]
	scratch_load_b128 v[14:17], off, off offset:528
	v_add_f64_e32 v[2:3], v[2:3], v[119:120]
	v_add_f64_e32 v[18:19], v[121:122], v[18:19]
	s_wait_loadcnt_dscnt 0x900
	v_mul_f64_e32 v[137:138], v[6:7], v[93:94]
	v_mul_f64_e32 v[93:94], v[8:9], v[93:94]
	ds_load_b128 v[119:122], v1 offset:928
	v_fma_f64 v[129:130], v[129:130], v[87:88], v[131:132]
	v_fma_f64 v[87:88], v[127:128], v[87:88], -v[89:90]
	s_wait_loadcnt_dscnt 0x800
	v_mul_f64_e32 v[127:128], v[119:120], v[97:98]
	v_mul_f64_e32 v[97:98], v[121:122], v[97:98]
	v_add_f64_e32 v[2:3], v[2:3], v[135:136]
	v_add_f64_e32 v[18:19], v[18:19], v[133:134]
	v_fma_f64 v[131:132], v[8:9], v[91:92], v[137:138]
	v_fma_f64 v[91:92], v[6:7], v[91:92], -v[93:94]
	v_fma_f64 v[121:122], v[121:122], v[95:96], v[127:128]
	v_fma_f64 v[95:96], v[119:120], v[95:96], -v[97:98]
	v_add_f64_e32 v[2:3], v[2:3], v[87:88]
	v_add_f64_e32 v[18:19], v[18:19], v[129:130]
	ds_load_b128 v[6:9], v1 offset:944
	ds_load_b128 v[87:90], v1 offset:960
	s_wait_loadcnt_dscnt 0x701
	v_mul_f64_e32 v[93:94], v[6:7], v[101:102]
	v_mul_f64_e32 v[101:102], v[8:9], v[101:102]
	s_wait_loadcnt_dscnt 0x600
	v_mul_f64_e32 v[97:98], v[87:88], v[105:106]
	v_mul_f64_e32 v[105:106], v[89:90], v[105:106]
	v_add_f64_e32 v[2:3], v[2:3], v[91:92]
	v_add_f64_e32 v[18:19], v[18:19], v[131:132]
	v_fma_f64 v[119:120], v[8:9], v[99:100], v[93:94]
	v_fma_f64 v[99:100], v[6:7], v[99:100], -v[101:102]
	ds_load_b128 v[6:9], v1 offset:976
	ds_load_b128 v[91:94], v1 offset:992
	v_fma_f64 v[89:90], v[89:90], v[103:104], v[97:98]
	v_fma_f64 v[87:88], v[87:88], v[103:104], -v[105:106]
	v_add_f64_e32 v[2:3], v[2:3], v[95:96]
	v_add_f64_e32 v[18:19], v[18:19], v[121:122]
	s_wait_loadcnt_dscnt 0x501
	v_mul_f64_e32 v[95:96], v[6:7], v[113:114]
	v_mul_f64_e32 v[101:102], v[8:9], v[113:114]
	s_wait_loadcnt_dscnt 0x300
	v_mul_f64_e32 v[97:98], v[91:92], v[125:126]
	v_add_f64_e32 v[2:3], v[2:3], v[99:100]
	v_add_f64_e32 v[18:19], v[18:19], v[119:120]
	v_mul_f64_e32 v[99:100], v[93:94], v[125:126]
	v_fma_f64 v[95:96], v[8:9], v[111:112], v[95:96]
	v_fma_f64 v[101:102], v[6:7], v[111:112], -v[101:102]
	v_fma_f64 v[93:94], v[93:94], v[123:124], v[97:98]
	v_add_f64_e32 v[2:3], v[2:3], v[87:88]
	v_add_f64_e32 v[18:19], v[18:19], v[89:90]
	ds_load_b128 v[6:9], v1 offset:1008
	ds_load_b128 v[87:90], v1 offset:1024
	v_fma_f64 v[91:92], v[91:92], v[123:124], -v[99:100]
	s_wait_loadcnt_dscnt 0x201
	v_mul_f64_e32 v[103:104], v[6:7], v[109:110]
	v_mul_f64_e32 v[105:106], v[8:9], v[109:110]
	v_add_f64_e32 v[2:3], v[2:3], v[101:102]
	v_add_f64_e32 v[18:19], v[18:19], v[95:96]
	s_wait_loadcnt_dscnt 0x100
	v_mul_f64_e32 v[95:96], v[87:88], v[12:13]
	v_mul_f64_e32 v[12:13], v[89:90], v[12:13]
	v_fma_f64 v[97:98], v[8:9], v[107:108], v[103:104]
	v_fma_f64 v[99:100], v[6:7], v[107:108], -v[105:106]
	ds_load_b128 v[6:9], v1 offset:1040
	v_add_f64_e32 v[2:3], v[2:3], v[91:92]
	v_add_f64_e32 v[18:19], v[18:19], v[93:94]
	s_wait_loadcnt_dscnt 0x0
	v_mul_f64_e32 v[91:92], v[6:7], v[16:17]
	v_mul_f64_e32 v[16:17], v[8:9], v[16:17]
	v_fma_f64 v[89:90], v[89:90], v[10:11], v[95:96]
	v_fma_f64 v[10:11], v[87:88], v[10:11], -v[12:13]
	v_add_f64_e32 v[2:3], v[2:3], v[99:100]
	v_add_f64_e32 v[12:13], v[18:19], v[97:98]
	v_fma_f64 v[8:9], v[8:9], v[14:15], v[91:92]
	v_fma_f64 v[6:7], v[6:7], v[14:15], -v[16:17]
	s_delay_alu instid0(VALU_DEP_4) | instskip(NEXT) | instid1(VALU_DEP_4)
	v_add_f64_e32 v[2:3], v[2:3], v[10:11]
	v_add_f64_e32 v[10:11], v[12:13], v[89:90]
	s_delay_alu instid0(VALU_DEP_2) | instskip(NEXT) | instid1(VALU_DEP_2)
	v_add_f64_e32 v[2:3], v[2:3], v[6:7]
	v_add_f64_e32 v[8:9], v[10:11], v[8:9]
	s_delay_alu instid0(VALU_DEP_2) | instskip(NEXT) | instid1(VALU_DEP_2)
	v_add_f64_e64 v[6:7], v[115:116], -v[2:3]
	v_add_f64_e64 v[8:9], v[117:118], -v[8:9]
	scratch_store_b128 off, v[6:9], off offset:320
	v_cmpx_lt_u32_e32 18, v0
	s_cbranch_execz .LBB32_175
; %bb.174:
	scratch_load_b128 v[6:9], off, s37
	v_dual_mov_b32 v2, v1 :: v_dual_mov_b32 v3, v1
	v_mov_b32_e32 v4, v1
	scratch_store_b128 off, v[1:4], off offset:304
	s_wait_loadcnt 0x0
	ds_store_b128 v5, v[6:9]
.LBB32_175:
	s_wait_alu 0xfffe
	s_or_b32 exec_lo, exec_lo, s0
	s_wait_storecnt_dscnt 0x0
	s_barrier_signal -1
	s_barrier_wait -1
	global_inv scope:SCOPE_SE
	s_clause 0x8
	scratch_load_b128 v[6:9], off, off offset:320
	scratch_load_b128 v[10:13], off, off offset:336
	;; [unrolled: 1-line block ×9, first 2 shown]
	ds_load_b128 v[111:114], v1 offset:832
	ds_load_b128 v[115:118], v1 offset:848
	s_clause 0x1
	scratch_load_b128 v[119:122], off, off offset:304
	scratch_load_b128 v[123:126], off, off offset:464
	s_mov_b32 s0, exec_lo
	ds_load_b128 v[127:130], v1 offset:880
	s_wait_loadcnt_dscnt 0xa02
	v_mul_f64_e32 v[2:3], v[113:114], v[8:9]
	v_mul_f64_e32 v[8:9], v[111:112], v[8:9]
	s_wait_loadcnt_dscnt 0x901
	v_mul_f64_e32 v[18:19], v[115:116], v[12:13]
	v_mul_f64_e32 v[12:13], v[117:118], v[12:13]
	s_delay_alu instid0(VALU_DEP_4) | instskip(NEXT) | instid1(VALU_DEP_4)
	v_fma_f64 v[2:3], v[111:112], v[6:7], -v[2:3]
	v_fma_f64 v[131:132], v[113:114], v[6:7], v[8:9]
	ds_load_b128 v[6:9], v1 offset:864
	scratch_load_b128 v[111:114], off, off offset:480
	v_fma_f64 v[18:19], v[117:118], v[10:11], v[18:19]
	v_fma_f64 v[115:116], v[115:116], v[10:11], -v[12:13]
	scratch_load_b128 v[10:13], off, off offset:496
	s_wait_loadcnt_dscnt 0xa00
	v_mul_f64_e32 v[133:134], v[6:7], v[16:17]
	v_mul_f64_e32 v[16:17], v[8:9], v[16:17]
	v_add_f64_e32 v[2:3], 0, v[2:3]
	v_add_f64_e32 v[117:118], 0, v[131:132]
	s_wait_loadcnt 0x9
	v_mul_f64_e32 v[131:132], v[127:128], v[89:90]
	v_mul_f64_e32 v[89:90], v[129:130], v[89:90]
	v_fma_f64 v[133:134], v[8:9], v[14:15], v[133:134]
	v_fma_f64 v[135:136], v[6:7], v[14:15], -v[16:17]
	ds_load_b128 v[6:9], v1 offset:896
	scratch_load_b128 v[14:17], off, off offset:512
	v_add_f64_e32 v[2:3], v[2:3], v[115:116]
	v_add_f64_e32 v[18:19], v[117:118], v[18:19]
	ds_load_b128 v[115:118], v1 offset:912
	v_fma_f64 v[129:130], v[129:130], v[87:88], v[131:132]
	v_fma_f64 v[127:128], v[127:128], v[87:88], -v[89:90]
	scratch_load_b128 v[87:90], off, off offset:528
	s_wait_loadcnt_dscnt 0xa01
	v_mul_f64_e32 v[137:138], v[6:7], v[93:94]
	v_mul_f64_e32 v[93:94], v[8:9], v[93:94]
	s_wait_loadcnt_dscnt 0x900
	v_mul_f64_e32 v[131:132], v[115:116], v[97:98]
	v_mul_f64_e32 v[97:98], v[117:118], v[97:98]
	v_add_f64_e32 v[2:3], v[2:3], v[135:136]
	v_add_f64_e32 v[18:19], v[18:19], v[133:134]
	v_fma_f64 v[133:134], v[8:9], v[91:92], v[137:138]
	v_fma_f64 v[135:136], v[6:7], v[91:92], -v[93:94]
	ds_load_b128 v[6:9], v1 offset:928
	ds_load_b128 v[91:94], v1 offset:944
	v_fma_f64 v[117:118], v[117:118], v[95:96], v[131:132]
	v_fma_f64 v[95:96], v[115:116], v[95:96], -v[97:98]
	s_wait_loadcnt_dscnt 0x700
	v_mul_f64_e32 v[115:116], v[91:92], v[105:106]
	v_mul_f64_e32 v[105:106], v[93:94], v[105:106]
	v_add_f64_e32 v[2:3], v[2:3], v[127:128]
	v_add_f64_e32 v[18:19], v[18:19], v[129:130]
	v_mul_f64_e32 v[127:128], v[6:7], v[101:102]
	v_mul_f64_e32 v[101:102], v[8:9], v[101:102]
	v_fma_f64 v[93:94], v[93:94], v[103:104], v[115:116]
	v_fma_f64 v[91:92], v[91:92], v[103:104], -v[105:106]
	v_add_f64_e32 v[2:3], v[2:3], v[135:136]
	v_add_f64_e32 v[18:19], v[18:19], v[133:134]
	v_fma_f64 v[127:128], v[8:9], v[99:100], v[127:128]
	v_fma_f64 v[99:100], v[6:7], v[99:100], -v[101:102]
	s_delay_alu instid0(VALU_DEP_4) | instskip(NEXT) | instid1(VALU_DEP_4)
	v_add_f64_e32 v[2:3], v[2:3], v[95:96]
	v_add_f64_e32 v[18:19], v[18:19], v[117:118]
	ds_load_b128 v[6:9], v1 offset:960
	ds_load_b128 v[95:98], v1 offset:976
	s_wait_loadcnt_dscnt 0x601
	v_mul_f64_e32 v[101:102], v[6:7], v[109:110]
	v_mul_f64_e32 v[109:110], v[8:9], v[109:110]
	s_wait_loadcnt_dscnt 0x400
	v_mul_f64_e32 v[103:104], v[97:98], v[125:126]
	v_add_f64_e32 v[2:3], v[2:3], v[99:100]
	v_add_f64_e32 v[18:19], v[18:19], v[127:128]
	v_mul_f64_e32 v[99:100], v[95:96], v[125:126]
	v_fma_f64 v[101:102], v[8:9], v[107:108], v[101:102]
	v_fma_f64 v[105:106], v[6:7], v[107:108], -v[109:110]
	v_fma_f64 v[95:96], v[95:96], v[123:124], -v[103:104]
	v_add_f64_e32 v[2:3], v[2:3], v[91:92]
	v_add_f64_e32 v[18:19], v[18:19], v[93:94]
	ds_load_b128 v[6:9], v1 offset:992
	ds_load_b128 v[91:94], v1 offset:1008
	v_fma_f64 v[97:98], v[97:98], v[123:124], v[99:100]
	s_wait_loadcnt_dscnt 0x301
	v_mul_f64_e32 v[107:108], v[6:7], v[113:114]
	v_mul_f64_e32 v[109:110], v[8:9], v[113:114]
	s_wait_loadcnt_dscnt 0x200
	v_mul_f64_e32 v[99:100], v[91:92], v[12:13]
	v_mul_f64_e32 v[12:13], v[93:94], v[12:13]
	v_add_f64_e32 v[2:3], v[2:3], v[105:106]
	v_add_f64_e32 v[18:19], v[18:19], v[101:102]
	v_fma_f64 v[101:102], v[8:9], v[111:112], v[107:108]
	v_fma_f64 v[103:104], v[6:7], v[111:112], -v[109:110]
	v_fma_f64 v[93:94], v[93:94], v[10:11], v[99:100]
	v_fma_f64 v[10:11], v[91:92], v[10:11], -v[12:13]
	v_add_f64_e32 v[95:96], v[2:3], v[95:96]
	v_add_f64_e32 v[18:19], v[18:19], v[97:98]
	ds_load_b128 v[6:9], v1 offset:1024
	ds_load_b128 v[1:4], v1 offset:1040
	s_wait_loadcnt_dscnt 0x101
	v_mul_f64_e32 v[97:98], v[6:7], v[16:17]
	v_mul_f64_e32 v[16:17], v[8:9], v[16:17]
	s_wait_loadcnt_dscnt 0x0
	v_mul_f64_e32 v[91:92], v[1:2], v[89:90]
	v_mul_f64_e32 v[89:90], v[3:4], v[89:90]
	v_add_f64_e32 v[12:13], v[95:96], v[103:104]
	v_add_f64_e32 v[18:19], v[18:19], v[101:102]
	v_fma_f64 v[8:9], v[8:9], v[14:15], v[97:98]
	v_fma_f64 v[6:7], v[6:7], v[14:15], -v[16:17]
	v_fma_f64 v[3:4], v[3:4], v[87:88], v[91:92]
	v_fma_f64 v[1:2], v[1:2], v[87:88], -v[89:90]
	v_add_f64_e32 v[10:11], v[12:13], v[10:11]
	v_add_f64_e32 v[12:13], v[18:19], v[93:94]
	s_delay_alu instid0(VALU_DEP_2) | instskip(NEXT) | instid1(VALU_DEP_2)
	v_add_f64_e32 v[6:7], v[10:11], v[6:7]
	v_add_f64_e32 v[8:9], v[12:13], v[8:9]
	s_delay_alu instid0(VALU_DEP_2) | instskip(NEXT) | instid1(VALU_DEP_2)
	;; [unrolled: 3-line block ×3, first 2 shown]
	v_add_f64_e64 v[1:2], v[119:120], -v[1:2]
	v_add_f64_e64 v[3:4], v[121:122], -v[3:4]
	scratch_store_b128 off, v[1:4], off offset:304
	v_cmpx_lt_u32_e32 17, v0
	s_cbranch_execz .LBB32_177
; %bb.176:
	scratch_load_b128 v[1:4], off, s39
	v_mov_b32_e32 v6, 0
	s_delay_alu instid0(VALU_DEP_1)
	v_dual_mov_b32 v7, v6 :: v_dual_mov_b32 v8, v6
	v_mov_b32_e32 v9, v6
	scratch_store_b128 off, v[6:9], off offset:288
	s_wait_loadcnt 0x0
	ds_store_b128 v5, v[1:4]
.LBB32_177:
	s_wait_alu 0xfffe
	s_or_b32 exec_lo, exec_lo, s0
	s_wait_storecnt_dscnt 0x0
	s_barrier_signal -1
	s_barrier_wait -1
	global_inv scope:SCOPE_SE
	s_clause 0x7
	scratch_load_b128 v[6:9], off, off offset:304
	scratch_load_b128 v[10:13], off, off offset:320
	;; [unrolled: 1-line block ×8, first 2 shown]
	v_mov_b32_e32 v1, 0
	s_mov_b32 s0, exec_lo
	ds_load_b128 v[107:110], v1 offset:816
	s_clause 0x1
	scratch_load_b128 v[111:114], off, off offset:432
	scratch_load_b128 v[115:118], off, off offset:288
	ds_load_b128 v[119:122], v1 offset:832
	scratch_load_b128 v[123:126], off, off offset:448
	ds_load_b128 v[127:130], v1 offset:864
	s_wait_loadcnt_dscnt 0xa02
	v_mul_f64_e32 v[2:3], v[109:110], v[8:9]
	v_mul_f64_e32 v[8:9], v[107:108], v[8:9]
	s_delay_alu instid0(VALU_DEP_2) | instskip(NEXT) | instid1(VALU_DEP_2)
	v_fma_f64 v[2:3], v[107:108], v[6:7], -v[2:3]
	v_fma_f64 v[131:132], v[109:110], v[6:7], v[8:9]
	ds_load_b128 v[6:9], v1 offset:848
	s_wait_loadcnt_dscnt 0x902
	v_mul_f64_e32 v[18:19], v[119:120], v[12:13]
	v_mul_f64_e32 v[12:13], v[121:122], v[12:13]
	scratch_load_b128 v[107:110], off, off offset:464
	s_wait_loadcnt_dscnt 0x900
	v_mul_f64_e32 v[133:134], v[6:7], v[16:17]
	v_mul_f64_e32 v[16:17], v[8:9], v[16:17]
	v_add_f64_e32 v[2:3], 0, v[2:3]
	v_fma_f64 v[18:19], v[121:122], v[10:11], v[18:19]
	v_fma_f64 v[119:120], v[119:120], v[10:11], -v[12:13]
	v_add_f64_e32 v[121:122], 0, v[131:132]
	scratch_load_b128 v[10:13], off, off offset:480
	v_fma_f64 v[133:134], v[8:9], v[14:15], v[133:134]
	v_fma_f64 v[135:136], v[6:7], v[14:15], -v[16:17]
	ds_load_b128 v[6:9], v1 offset:880
	s_wait_loadcnt 0x9
	v_mul_f64_e32 v[131:132], v[127:128], v[89:90]
	v_mul_f64_e32 v[89:90], v[129:130], v[89:90]
	scratch_load_b128 v[14:17], off, off offset:496
	v_add_f64_e32 v[2:3], v[2:3], v[119:120]
	v_add_f64_e32 v[18:19], v[121:122], v[18:19]
	s_wait_loadcnt_dscnt 0x900
	v_mul_f64_e32 v[137:138], v[6:7], v[93:94]
	v_mul_f64_e32 v[93:94], v[8:9], v[93:94]
	ds_load_b128 v[119:122], v1 offset:896
	v_fma_f64 v[129:130], v[129:130], v[87:88], v[131:132]
	v_fma_f64 v[127:128], v[127:128], v[87:88], -v[89:90]
	scratch_load_b128 v[87:90], off, off offset:512
	v_add_f64_e32 v[2:3], v[2:3], v[135:136]
	v_add_f64_e32 v[18:19], v[18:19], v[133:134]
	v_fma_f64 v[133:134], v[8:9], v[91:92], v[137:138]
	v_fma_f64 v[135:136], v[6:7], v[91:92], -v[93:94]
	ds_load_b128 v[6:9], v1 offset:912
	s_wait_loadcnt_dscnt 0x901
	v_mul_f64_e32 v[131:132], v[119:120], v[97:98]
	v_mul_f64_e32 v[97:98], v[121:122], v[97:98]
	scratch_load_b128 v[91:94], off, off offset:528
	s_wait_loadcnt_dscnt 0x900
	v_mul_f64_e32 v[137:138], v[6:7], v[101:102]
	v_mul_f64_e32 v[101:102], v[8:9], v[101:102]
	v_add_f64_e32 v[2:3], v[2:3], v[127:128]
	v_add_f64_e32 v[18:19], v[18:19], v[129:130]
	ds_load_b128 v[127:130], v1 offset:928
	v_fma_f64 v[121:122], v[121:122], v[95:96], v[131:132]
	v_fma_f64 v[95:96], v[119:120], v[95:96], -v[97:98]
	s_wait_loadcnt_dscnt 0x800
	v_mul_f64_e32 v[119:120], v[127:128], v[105:106]
	v_mul_f64_e32 v[105:106], v[129:130], v[105:106]
	v_fma_f64 v[131:132], v[8:9], v[99:100], v[137:138]
	v_fma_f64 v[99:100], v[6:7], v[99:100], -v[101:102]
	v_add_f64_e32 v[2:3], v[2:3], v[135:136]
	v_add_f64_e32 v[18:19], v[18:19], v[133:134]
	v_fma_f64 v[119:120], v[129:130], v[103:104], v[119:120]
	v_fma_f64 v[103:104], v[127:128], v[103:104], -v[105:106]
	s_delay_alu instid0(VALU_DEP_4) | instskip(NEXT) | instid1(VALU_DEP_4)
	v_add_f64_e32 v[2:3], v[2:3], v[95:96]
	v_add_f64_e32 v[18:19], v[18:19], v[121:122]
	ds_load_b128 v[6:9], v1 offset:944
	ds_load_b128 v[95:98], v1 offset:960
	s_wait_loadcnt_dscnt 0x701
	v_mul_f64_e32 v[101:102], v[6:7], v[113:114]
	v_mul_f64_e32 v[113:114], v[8:9], v[113:114]
	s_wait_loadcnt_dscnt 0x500
	v_mul_f64_e32 v[105:106], v[95:96], v[125:126]
	v_mul_f64_e32 v[121:122], v[97:98], v[125:126]
	v_add_f64_e32 v[2:3], v[2:3], v[99:100]
	v_add_f64_e32 v[18:19], v[18:19], v[131:132]
	v_fma_f64 v[125:126], v[8:9], v[111:112], v[101:102]
	v_fma_f64 v[111:112], v[6:7], v[111:112], -v[113:114]
	ds_load_b128 v[6:9], v1 offset:976
	ds_load_b128 v[99:102], v1 offset:992
	v_fma_f64 v[97:98], v[97:98], v[123:124], v[105:106]
	v_fma_f64 v[95:96], v[95:96], v[123:124], -v[121:122]
	v_add_f64_e32 v[2:3], v[2:3], v[103:104]
	v_add_f64_e32 v[18:19], v[18:19], v[119:120]
	s_wait_loadcnt_dscnt 0x401
	v_mul_f64_e32 v[103:104], v[6:7], v[109:110]
	v_mul_f64_e32 v[109:110], v[8:9], v[109:110]
	s_delay_alu instid0(VALU_DEP_4) | instskip(NEXT) | instid1(VALU_DEP_4)
	v_add_f64_e32 v[2:3], v[2:3], v[111:112]
	v_add_f64_e32 v[18:19], v[18:19], v[125:126]
	s_delay_alu instid0(VALU_DEP_4)
	v_fma_f64 v[103:104], v[8:9], v[107:108], v[103:104]
	s_wait_loadcnt_dscnt 0x300
	v_mul_f64_e32 v[105:106], v[99:100], v[12:13]
	v_mul_f64_e32 v[12:13], v[101:102], v[12:13]
	v_fma_f64 v[107:108], v[6:7], v[107:108], -v[109:110]
	v_add_f64_e32 v[2:3], v[2:3], v[95:96]
	v_add_f64_e32 v[18:19], v[18:19], v[97:98]
	ds_load_b128 v[6:9], v1 offset:1008
	ds_load_b128 v[95:98], v1 offset:1024
	v_fma_f64 v[101:102], v[101:102], v[10:11], v[105:106]
	v_fma_f64 v[10:11], v[99:100], v[10:11], -v[12:13]
	s_wait_loadcnt_dscnt 0x201
	v_mul_f64_e32 v[109:110], v[6:7], v[16:17]
	v_mul_f64_e32 v[16:17], v[8:9], v[16:17]
	v_add_f64_e32 v[2:3], v[2:3], v[107:108]
	v_add_f64_e32 v[12:13], v[18:19], v[103:104]
	s_wait_loadcnt_dscnt 0x100
	v_mul_f64_e32 v[18:19], v[95:96], v[89:90]
	v_mul_f64_e32 v[89:90], v[97:98], v[89:90]
	v_fma_f64 v[99:100], v[8:9], v[14:15], v[109:110]
	v_fma_f64 v[14:15], v[6:7], v[14:15], -v[16:17]
	ds_load_b128 v[6:9], v1 offset:1040
	v_add_f64_e32 v[2:3], v[2:3], v[10:11]
	v_add_f64_e32 v[10:11], v[12:13], v[101:102]
	v_fma_f64 v[18:19], v[97:98], v[87:88], v[18:19]
	v_fma_f64 v[87:88], v[95:96], v[87:88], -v[89:90]
	s_wait_loadcnt_dscnt 0x0
	v_mul_f64_e32 v[12:13], v[6:7], v[93:94]
	v_mul_f64_e32 v[16:17], v[8:9], v[93:94]
	v_add_f64_e32 v[2:3], v[2:3], v[14:15]
	v_add_f64_e32 v[10:11], v[10:11], v[99:100]
	s_delay_alu instid0(VALU_DEP_4) | instskip(NEXT) | instid1(VALU_DEP_4)
	v_fma_f64 v[8:9], v[8:9], v[91:92], v[12:13]
	v_fma_f64 v[6:7], v[6:7], v[91:92], -v[16:17]
	s_delay_alu instid0(VALU_DEP_4) | instskip(NEXT) | instid1(VALU_DEP_4)
	v_add_f64_e32 v[2:3], v[2:3], v[87:88]
	v_add_f64_e32 v[10:11], v[10:11], v[18:19]
	s_delay_alu instid0(VALU_DEP_2) | instskip(NEXT) | instid1(VALU_DEP_2)
	v_add_f64_e32 v[2:3], v[2:3], v[6:7]
	v_add_f64_e32 v[8:9], v[10:11], v[8:9]
	s_delay_alu instid0(VALU_DEP_2) | instskip(NEXT) | instid1(VALU_DEP_2)
	v_add_f64_e64 v[6:7], v[115:116], -v[2:3]
	v_add_f64_e64 v[8:9], v[117:118], -v[8:9]
	scratch_store_b128 off, v[6:9], off offset:288
	v_cmpx_lt_u32_e32 16, v0
	s_cbranch_execz .LBB32_179
; %bb.178:
	scratch_load_b128 v[6:9], off, s12
	v_dual_mov_b32 v2, v1 :: v_dual_mov_b32 v3, v1
	v_mov_b32_e32 v4, v1
	scratch_store_b128 off, v[1:4], off offset:272
	s_wait_loadcnt 0x0
	ds_store_b128 v5, v[6:9]
.LBB32_179:
	s_wait_alu 0xfffe
	s_or_b32 exec_lo, exec_lo, s0
	s_wait_storecnt_dscnt 0x0
	s_barrier_signal -1
	s_barrier_wait -1
	global_inv scope:SCOPE_SE
	s_clause 0x8
	scratch_load_b128 v[6:9], off, off offset:288
	scratch_load_b128 v[10:13], off, off offset:304
	scratch_load_b128 v[14:17], off, off offset:320
	scratch_load_b128 v[87:90], off, off offset:336
	scratch_load_b128 v[91:94], off, off offset:352
	scratch_load_b128 v[95:98], off, off offset:368
	scratch_load_b128 v[99:102], off, off offset:384
	scratch_load_b128 v[103:106], off, off offset:400
	scratch_load_b128 v[107:110], off, off offset:416
	ds_load_b128 v[111:114], v1 offset:800
	ds_load_b128 v[115:118], v1 offset:816
	s_clause 0x1
	scratch_load_b128 v[119:122], off, off offset:272
	scratch_load_b128 v[123:126], off, off offset:432
	s_mov_b32 s0, exec_lo
	ds_load_b128 v[127:130], v1 offset:848
	s_wait_loadcnt_dscnt 0xa02
	v_mul_f64_e32 v[2:3], v[113:114], v[8:9]
	v_mul_f64_e32 v[8:9], v[111:112], v[8:9]
	s_wait_loadcnt_dscnt 0x901
	v_mul_f64_e32 v[18:19], v[115:116], v[12:13]
	v_mul_f64_e32 v[12:13], v[117:118], v[12:13]
	s_delay_alu instid0(VALU_DEP_4) | instskip(NEXT) | instid1(VALU_DEP_4)
	v_fma_f64 v[2:3], v[111:112], v[6:7], -v[2:3]
	v_fma_f64 v[131:132], v[113:114], v[6:7], v[8:9]
	ds_load_b128 v[6:9], v1 offset:832
	scratch_load_b128 v[111:114], off, off offset:448
	v_fma_f64 v[18:19], v[117:118], v[10:11], v[18:19]
	v_fma_f64 v[115:116], v[115:116], v[10:11], -v[12:13]
	scratch_load_b128 v[10:13], off, off offset:464
	s_wait_loadcnt_dscnt 0xa00
	v_mul_f64_e32 v[133:134], v[6:7], v[16:17]
	v_mul_f64_e32 v[16:17], v[8:9], v[16:17]
	v_add_f64_e32 v[2:3], 0, v[2:3]
	v_add_f64_e32 v[117:118], 0, v[131:132]
	s_wait_loadcnt 0x9
	v_mul_f64_e32 v[131:132], v[127:128], v[89:90]
	v_mul_f64_e32 v[89:90], v[129:130], v[89:90]
	v_fma_f64 v[133:134], v[8:9], v[14:15], v[133:134]
	v_fma_f64 v[135:136], v[6:7], v[14:15], -v[16:17]
	ds_load_b128 v[6:9], v1 offset:864
	scratch_load_b128 v[14:17], off, off offset:480
	v_add_f64_e32 v[2:3], v[2:3], v[115:116]
	v_add_f64_e32 v[18:19], v[117:118], v[18:19]
	ds_load_b128 v[115:118], v1 offset:880
	v_fma_f64 v[129:130], v[129:130], v[87:88], v[131:132]
	v_fma_f64 v[127:128], v[127:128], v[87:88], -v[89:90]
	scratch_load_b128 v[87:90], off, off offset:496
	s_wait_loadcnt_dscnt 0xa01
	v_mul_f64_e32 v[137:138], v[6:7], v[93:94]
	v_mul_f64_e32 v[93:94], v[8:9], v[93:94]
	s_wait_loadcnt_dscnt 0x900
	v_mul_f64_e32 v[131:132], v[115:116], v[97:98]
	v_mul_f64_e32 v[97:98], v[117:118], v[97:98]
	v_add_f64_e32 v[2:3], v[2:3], v[135:136]
	v_add_f64_e32 v[18:19], v[18:19], v[133:134]
	v_fma_f64 v[133:134], v[8:9], v[91:92], v[137:138]
	v_fma_f64 v[135:136], v[6:7], v[91:92], -v[93:94]
	ds_load_b128 v[6:9], v1 offset:896
	scratch_load_b128 v[91:94], off, off offset:512
	v_fma_f64 v[117:118], v[117:118], v[95:96], v[131:132]
	v_fma_f64 v[115:116], v[115:116], v[95:96], -v[97:98]
	scratch_load_b128 v[95:98], off, off offset:528
	v_add_f64_e32 v[2:3], v[2:3], v[127:128]
	v_add_f64_e32 v[18:19], v[18:19], v[129:130]
	ds_load_b128 v[127:130], v1 offset:912
	s_wait_loadcnt_dscnt 0xa01
	v_mul_f64_e32 v[137:138], v[6:7], v[101:102]
	v_mul_f64_e32 v[101:102], v[8:9], v[101:102]
	s_wait_loadcnt_dscnt 0x900
	v_mul_f64_e32 v[131:132], v[127:128], v[105:106]
	v_mul_f64_e32 v[105:106], v[129:130], v[105:106]
	v_add_f64_e32 v[2:3], v[2:3], v[135:136]
	v_add_f64_e32 v[18:19], v[18:19], v[133:134]
	v_fma_f64 v[133:134], v[8:9], v[99:100], v[137:138]
	v_fma_f64 v[135:136], v[6:7], v[99:100], -v[101:102]
	ds_load_b128 v[6:9], v1 offset:928
	ds_load_b128 v[99:102], v1 offset:944
	v_add_f64_e32 v[2:3], v[2:3], v[115:116]
	v_add_f64_e32 v[18:19], v[18:19], v[117:118]
	s_wait_loadcnt_dscnt 0x801
	v_mul_f64_e32 v[115:116], v[6:7], v[109:110]
	v_mul_f64_e32 v[109:110], v[8:9], v[109:110]
	v_fma_f64 v[117:118], v[129:130], v[103:104], v[131:132]
	v_fma_f64 v[103:104], v[127:128], v[103:104], -v[105:106]
	s_wait_loadcnt_dscnt 0x600
	v_mul_f64_e32 v[127:128], v[99:100], v[125:126]
	v_mul_f64_e32 v[125:126], v[101:102], v[125:126]
	v_add_f64_e32 v[2:3], v[2:3], v[135:136]
	v_add_f64_e32 v[18:19], v[18:19], v[133:134]
	v_fma_f64 v[115:116], v[8:9], v[107:108], v[115:116]
	v_fma_f64 v[107:108], v[6:7], v[107:108], -v[109:110]
	v_fma_f64 v[101:102], v[101:102], v[123:124], v[127:128]
	v_fma_f64 v[99:100], v[99:100], v[123:124], -v[125:126]
	v_add_f64_e32 v[2:3], v[2:3], v[103:104]
	v_add_f64_e32 v[18:19], v[18:19], v[117:118]
	ds_load_b128 v[6:9], v1 offset:960
	ds_load_b128 v[103:106], v1 offset:976
	s_wait_loadcnt_dscnt 0x501
	v_mul_f64_e32 v[109:110], v[6:7], v[113:114]
	v_mul_f64_e32 v[113:114], v[8:9], v[113:114]
	v_add_f64_e32 v[2:3], v[2:3], v[107:108]
	v_add_f64_e32 v[18:19], v[18:19], v[115:116]
	s_wait_loadcnt_dscnt 0x400
	v_mul_f64_e32 v[107:108], v[103:104], v[12:13]
	v_mul_f64_e32 v[12:13], v[105:106], v[12:13]
	v_fma_f64 v[109:110], v[8:9], v[111:112], v[109:110]
	v_fma_f64 v[111:112], v[6:7], v[111:112], -v[113:114]
	v_add_f64_e32 v[2:3], v[2:3], v[99:100]
	v_add_f64_e32 v[18:19], v[18:19], v[101:102]
	ds_load_b128 v[6:9], v1 offset:992
	ds_load_b128 v[99:102], v1 offset:1008
	v_fma_f64 v[105:106], v[105:106], v[10:11], v[107:108]
	v_fma_f64 v[10:11], v[103:104], v[10:11], -v[12:13]
	s_wait_loadcnt_dscnt 0x301
	v_mul_f64_e32 v[113:114], v[6:7], v[16:17]
	v_mul_f64_e32 v[16:17], v[8:9], v[16:17]
	v_add_f64_e32 v[2:3], v[2:3], v[111:112]
	v_add_f64_e32 v[12:13], v[18:19], v[109:110]
	s_wait_loadcnt_dscnt 0x200
	v_mul_f64_e32 v[18:19], v[99:100], v[89:90]
	v_mul_f64_e32 v[89:90], v[101:102], v[89:90]
	v_fma_f64 v[103:104], v[8:9], v[14:15], v[113:114]
	v_fma_f64 v[14:15], v[6:7], v[14:15], -v[16:17]
	v_add_f64_e32 v[10:11], v[2:3], v[10:11]
	v_add_f64_e32 v[12:13], v[12:13], v[105:106]
	ds_load_b128 v[6:9], v1 offset:1024
	ds_load_b128 v[1:4], v1 offset:1040
	v_fma_f64 v[18:19], v[101:102], v[87:88], v[18:19]
	v_fma_f64 v[87:88], v[99:100], v[87:88], -v[89:90]
	s_wait_loadcnt_dscnt 0x101
	v_mul_f64_e32 v[16:17], v[6:7], v[93:94]
	v_mul_f64_e32 v[93:94], v[8:9], v[93:94]
	s_wait_loadcnt_dscnt 0x0
	v_mul_f64_e32 v[89:90], v[3:4], v[97:98]
	v_add_f64_e32 v[10:11], v[10:11], v[14:15]
	v_add_f64_e32 v[12:13], v[12:13], v[103:104]
	v_mul_f64_e32 v[14:15], v[1:2], v[97:98]
	v_fma_f64 v[8:9], v[8:9], v[91:92], v[16:17]
	v_fma_f64 v[6:7], v[6:7], v[91:92], -v[93:94]
	v_fma_f64 v[1:2], v[1:2], v[95:96], -v[89:90]
	v_add_f64_e32 v[10:11], v[10:11], v[87:88]
	v_add_f64_e32 v[12:13], v[12:13], v[18:19]
	v_fma_f64 v[3:4], v[3:4], v[95:96], v[14:15]
	s_delay_alu instid0(VALU_DEP_3) | instskip(NEXT) | instid1(VALU_DEP_3)
	v_add_f64_e32 v[6:7], v[10:11], v[6:7]
	v_add_f64_e32 v[8:9], v[12:13], v[8:9]
	s_delay_alu instid0(VALU_DEP_2) | instskip(NEXT) | instid1(VALU_DEP_2)
	v_add_f64_e32 v[1:2], v[6:7], v[1:2]
	v_add_f64_e32 v[3:4], v[8:9], v[3:4]
	s_delay_alu instid0(VALU_DEP_2) | instskip(NEXT) | instid1(VALU_DEP_2)
	v_add_f64_e64 v[1:2], v[119:120], -v[1:2]
	v_add_f64_e64 v[3:4], v[121:122], -v[3:4]
	scratch_store_b128 off, v[1:4], off offset:272
	v_cmpx_lt_u32_e32 15, v0
	s_cbranch_execz .LBB32_181
; %bb.180:
	scratch_load_b128 v[1:4], off, s15
	v_mov_b32_e32 v6, 0
	s_delay_alu instid0(VALU_DEP_1)
	v_dual_mov_b32 v7, v6 :: v_dual_mov_b32 v8, v6
	v_mov_b32_e32 v9, v6
	scratch_store_b128 off, v[6:9], off offset:256
	s_wait_loadcnt 0x0
	ds_store_b128 v5, v[1:4]
.LBB32_181:
	s_wait_alu 0xfffe
	s_or_b32 exec_lo, exec_lo, s0
	s_wait_storecnt_dscnt 0x0
	s_barrier_signal -1
	s_barrier_wait -1
	global_inv scope:SCOPE_SE
	s_clause 0x7
	scratch_load_b128 v[6:9], off, off offset:272
	scratch_load_b128 v[10:13], off, off offset:288
	;; [unrolled: 1-line block ×8, first 2 shown]
	v_mov_b32_e32 v1, 0
	s_mov_b32 s0, exec_lo
	ds_load_b128 v[107:110], v1 offset:784
	s_clause 0x1
	scratch_load_b128 v[111:114], off, off offset:400
	scratch_load_b128 v[115:118], off, off offset:256
	ds_load_b128 v[119:122], v1 offset:800
	scratch_load_b128 v[123:126], off, off offset:416
	ds_load_b128 v[127:130], v1 offset:832
	s_wait_loadcnt_dscnt 0xa02
	v_mul_f64_e32 v[2:3], v[109:110], v[8:9]
	v_mul_f64_e32 v[8:9], v[107:108], v[8:9]
	s_delay_alu instid0(VALU_DEP_2) | instskip(NEXT) | instid1(VALU_DEP_2)
	v_fma_f64 v[2:3], v[107:108], v[6:7], -v[2:3]
	v_fma_f64 v[131:132], v[109:110], v[6:7], v[8:9]
	ds_load_b128 v[6:9], v1 offset:816
	s_wait_loadcnt_dscnt 0x902
	v_mul_f64_e32 v[18:19], v[119:120], v[12:13]
	v_mul_f64_e32 v[12:13], v[121:122], v[12:13]
	scratch_load_b128 v[107:110], off, off offset:432
	s_wait_loadcnt_dscnt 0x900
	v_mul_f64_e32 v[133:134], v[6:7], v[16:17]
	v_mul_f64_e32 v[16:17], v[8:9], v[16:17]
	v_add_f64_e32 v[2:3], 0, v[2:3]
	v_fma_f64 v[18:19], v[121:122], v[10:11], v[18:19]
	v_fma_f64 v[119:120], v[119:120], v[10:11], -v[12:13]
	v_add_f64_e32 v[121:122], 0, v[131:132]
	scratch_load_b128 v[10:13], off, off offset:448
	v_fma_f64 v[133:134], v[8:9], v[14:15], v[133:134]
	v_fma_f64 v[135:136], v[6:7], v[14:15], -v[16:17]
	ds_load_b128 v[6:9], v1 offset:848
	s_wait_loadcnt 0x9
	v_mul_f64_e32 v[131:132], v[127:128], v[89:90]
	v_mul_f64_e32 v[89:90], v[129:130], v[89:90]
	scratch_load_b128 v[14:17], off, off offset:464
	v_add_f64_e32 v[2:3], v[2:3], v[119:120]
	v_add_f64_e32 v[18:19], v[121:122], v[18:19]
	s_wait_loadcnt_dscnt 0x900
	v_mul_f64_e32 v[137:138], v[6:7], v[93:94]
	v_mul_f64_e32 v[93:94], v[8:9], v[93:94]
	ds_load_b128 v[119:122], v1 offset:864
	v_fma_f64 v[129:130], v[129:130], v[87:88], v[131:132]
	v_fma_f64 v[127:128], v[127:128], v[87:88], -v[89:90]
	scratch_load_b128 v[87:90], off, off offset:480
	v_add_f64_e32 v[2:3], v[2:3], v[135:136]
	v_add_f64_e32 v[18:19], v[18:19], v[133:134]
	v_fma_f64 v[133:134], v[8:9], v[91:92], v[137:138]
	v_fma_f64 v[135:136], v[6:7], v[91:92], -v[93:94]
	ds_load_b128 v[6:9], v1 offset:880
	s_wait_loadcnt_dscnt 0x901
	v_mul_f64_e32 v[131:132], v[119:120], v[97:98]
	v_mul_f64_e32 v[97:98], v[121:122], v[97:98]
	scratch_load_b128 v[91:94], off, off offset:496
	s_wait_loadcnt_dscnt 0x900
	v_mul_f64_e32 v[137:138], v[6:7], v[101:102]
	v_mul_f64_e32 v[101:102], v[8:9], v[101:102]
	v_add_f64_e32 v[2:3], v[2:3], v[127:128]
	v_add_f64_e32 v[18:19], v[18:19], v[129:130]
	ds_load_b128 v[127:130], v1 offset:896
	v_fma_f64 v[121:122], v[121:122], v[95:96], v[131:132]
	v_fma_f64 v[119:120], v[119:120], v[95:96], -v[97:98]
	scratch_load_b128 v[95:98], off, off offset:512
	v_add_f64_e32 v[2:3], v[2:3], v[135:136]
	v_add_f64_e32 v[18:19], v[18:19], v[133:134]
	v_fma_f64 v[133:134], v[8:9], v[99:100], v[137:138]
	v_fma_f64 v[135:136], v[6:7], v[99:100], -v[101:102]
	ds_load_b128 v[6:9], v1 offset:912
	s_wait_loadcnt_dscnt 0x901
	v_mul_f64_e32 v[131:132], v[127:128], v[105:106]
	v_mul_f64_e32 v[105:106], v[129:130], v[105:106]
	scratch_load_b128 v[99:102], off, off offset:528
	s_wait_loadcnt_dscnt 0x900
	v_mul_f64_e32 v[137:138], v[6:7], v[113:114]
	v_mul_f64_e32 v[113:114], v[8:9], v[113:114]
	v_add_f64_e32 v[2:3], v[2:3], v[119:120]
	v_add_f64_e32 v[18:19], v[18:19], v[121:122]
	ds_load_b128 v[119:122], v1 offset:928
	v_fma_f64 v[129:130], v[129:130], v[103:104], v[131:132]
	v_fma_f64 v[103:104], v[127:128], v[103:104], -v[105:106]
	s_wait_loadcnt_dscnt 0x700
	v_mul_f64_e32 v[127:128], v[119:120], v[125:126]
	v_mul_f64_e32 v[125:126], v[121:122], v[125:126]
	v_fma_f64 v[131:132], v[8:9], v[111:112], v[137:138]
	v_fma_f64 v[111:112], v[6:7], v[111:112], -v[113:114]
	v_add_f64_e32 v[2:3], v[2:3], v[135:136]
	v_add_f64_e32 v[18:19], v[18:19], v[133:134]
	v_fma_f64 v[121:122], v[121:122], v[123:124], v[127:128]
	v_fma_f64 v[119:120], v[119:120], v[123:124], -v[125:126]
	s_delay_alu instid0(VALU_DEP_4) | instskip(NEXT) | instid1(VALU_DEP_4)
	v_add_f64_e32 v[2:3], v[2:3], v[103:104]
	v_add_f64_e32 v[18:19], v[18:19], v[129:130]
	ds_load_b128 v[6:9], v1 offset:944
	ds_load_b128 v[103:106], v1 offset:960
	s_wait_loadcnt_dscnt 0x601
	v_mul_f64_e32 v[113:114], v[6:7], v[109:110]
	v_mul_f64_e32 v[109:110], v[8:9], v[109:110]
	v_add_f64_e32 v[2:3], v[2:3], v[111:112]
	v_add_f64_e32 v[18:19], v[18:19], v[131:132]
	s_wait_loadcnt_dscnt 0x500
	v_mul_f64_e32 v[111:112], v[103:104], v[12:13]
	v_mul_f64_e32 v[12:13], v[105:106], v[12:13]
	v_fma_f64 v[113:114], v[8:9], v[107:108], v[113:114]
	v_fma_f64 v[123:124], v[6:7], v[107:108], -v[109:110]
	ds_load_b128 v[6:9], v1 offset:976
	ds_load_b128 v[107:110], v1 offset:992
	v_add_f64_e32 v[2:3], v[2:3], v[119:120]
	v_add_f64_e32 v[18:19], v[18:19], v[121:122]
	s_wait_loadcnt_dscnt 0x401
	v_mul_f64_e32 v[119:120], v[6:7], v[16:17]
	v_mul_f64_e32 v[16:17], v[8:9], v[16:17]
	v_fma_f64 v[105:106], v[105:106], v[10:11], v[111:112]
	v_fma_f64 v[10:11], v[103:104], v[10:11], -v[12:13]
	v_add_f64_e32 v[2:3], v[2:3], v[123:124]
	v_add_f64_e32 v[12:13], v[18:19], v[113:114]
	s_wait_loadcnt_dscnt 0x300
	v_mul_f64_e32 v[18:19], v[107:108], v[89:90]
	v_mul_f64_e32 v[89:90], v[109:110], v[89:90]
	v_fma_f64 v[103:104], v[8:9], v[14:15], v[119:120]
	v_fma_f64 v[14:15], v[6:7], v[14:15], -v[16:17]
	v_add_f64_e32 v[2:3], v[2:3], v[10:11]
	v_add_f64_e32 v[16:17], v[12:13], v[105:106]
	ds_load_b128 v[6:9], v1 offset:1008
	ds_load_b128 v[10:13], v1 offset:1024
	v_fma_f64 v[18:19], v[109:110], v[87:88], v[18:19]
	v_fma_f64 v[87:88], v[107:108], v[87:88], -v[89:90]
	s_wait_loadcnt_dscnt 0x201
	v_mul_f64_e32 v[105:106], v[6:7], v[93:94]
	v_mul_f64_e32 v[93:94], v[8:9], v[93:94]
	s_wait_loadcnt_dscnt 0x100
	v_mul_f64_e32 v[89:90], v[12:13], v[97:98]
	v_add_f64_e32 v[2:3], v[2:3], v[14:15]
	v_add_f64_e32 v[14:15], v[16:17], v[103:104]
	v_mul_f64_e32 v[16:17], v[10:11], v[97:98]
	v_fma_f64 v[97:98], v[8:9], v[91:92], v[105:106]
	v_fma_f64 v[91:92], v[6:7], v[91:92], -v[93:94]
	ds_load_b128 v[6:9], v1 offset:1040
	v_fma_f64 v[10:11], v[10:11], v[95:96], -v[89:90]
	v_add_f64_e32 v[2:3], v[2:3], v[87:88]
	v_add_f64_e32 v[14:15], v[14:15], v[18:19]
	v_fma_f64 v[12:13], v[12:13], v[95:96], v[16:17]
	s_wait_loadcnt_dscnt 0x0
	v_mul_f64_e32 v[18:19], v[6:7], v[101:102]
	v_mul_f64_e32 v[87:88], v[8:9], v[101:102]
	v_add_f64_e32 v[2:3], v[2:3], v[91:92]
	v_add_f64_e32 v[14:15], v[14:15], v[97:98]
	s_delay_alu instid0(VALU_DEP_4) | instskip(NEXT) | instid1(VALU_DEP_4)
	v_fma_f64 v[8:9], v[8:9], v[99:100], v[18:19]
	v_fma_f64 v[6:7], v[6:7], v[99:100], -v[87:88]
	s_delay_alu instid0(VALU_DEP_4) | instskip(NEXT) | instid1(VALU_DEP_4)
	v_add_f64_e32 v[2:3], v[2:3], v[10:11]
	v_add_f64_e32 v[10:11], v[14:15], v[12:13]
	s_delay_alu instid0(VALU_DEP_2) | instskip(NEXT) | instid1(VALU_DEP_2)
	v_add_f64_e32 v[2:3], v[2:3], v[6:7]
	v_add_f64_e32 v[8:9], v[10:11], v[8:9]
	s_delay_alu instid0(VALU_DEP_2) | instskip(NEXT) | instid1(VALU_DEP_2)
	v_add_f64_e64 v[6:7], v[115:116], -v[2:3]
	v_add_f64_e64 v[8:9], v[117:118], -v[8:9]
	scratch_store_b128 off, v[6:9], off offset:256
	v_cmpx_lt_u32_e32 14, v0
	s_cbranch_execz .LBB32_183
; %bb.182:
	scratch_load_b128 v[6:9], off, s21
	v_dual_mov_b32 v2, v1 :: v_dual_mov_b32 v3, v1
	v_mov_b32_e32 v4, v1
	scratch_store_b128 off, v[1:4], off offset:240
	s_wait_loadcnt 0x0
	ds_store_b128 v5, v[6:9]
.LBB32_183:
	s_wait_alu 0xfffe
	s_or_b32 exec_lo, exec_lo, s0
	s_wait_storecnt_dscnt 0x0
	s_barrier_signal -1
	s_barrier_wait -1
	global_inv scope:SCOPE_SE
	s_clause 0x8
	scratch_load_b128 v[6:9], off, off offset:256
	scratch_load_b128 v[10:13], off, off offset:272
	;; [unrolled: 1-line block ×9, first 2 shown]
	ds_load_b128 v[111:114], v1 offset:768
	ds_load_b128 v[115:118], v1 offset:784
	s_clause 0x1
	scratch_load_b128 v[119:122], off, off offset:240
	scratch_load_b128 v[123:126], off, off offset:400
	s_mov_b32 s0, exec_lo
	ds_load_b128 v[127:130], v1 offset:816
	s_wait_loadcnt_dscnt 0xa02
	v_mul_f64_e32 v[2:3], v[113:114], v[8:9]
	v_mul_f64_e32 v[8:9], v[111:112], v[8:9]
	s_wait_loadcnt_dscnt 0x901
	v_mul_f64_e32 v[18:19], v[115:116], v[12:13]
	v_mul_f64_e32 v[12:13], v[117:118], v[12:13]
	s_delay_alu instid0(VALU_DEP_4) | instskip(NEXT) | instid1(VALU_DEP_4)
	v_fma_f64 v[2:3], v[111:112], v[6:7], -v[2:3]
	v_fma_f64 v[131:132], v[113:114], v[6:7], v[8:9]
	ds_load_b128 v[6:9], v1 offset:800
	scratch_load_b128 v[111:114], off, off offset:416
	v_fma_f64 v[18:19], v[117:118], v[10:11], v[18:19]
	v_fma_f64 v[115:116], v[115:116], v[10:11], -v[12:13]
	scratch_load_b128 v[10:13], off, off offset:432
	s_wait_loadcnt_dscnt 0xa00
	v_mul_f64_e32 v[133:134], v[6:7], v[16:17]
	v_mul_f64_e32 v[16:17], v[8:9], v[16:17]
	v_add_f64_e32 v[2:3], 0, v[2:3]
	v_add_f64_e32 v[117:118], 0, v[131:132]
	s_wait_loadcnt 0x9
	v_mul_f64_e32 v[131:132], v[127:128], v[89:90]
	v_mul_f64_e32 v[89:90], v[129:130], v[89:90]
	v_fma_f64 v[133:134], v[8:9], v[14:15], v[133:134]
	v_fma_f64 v[135:136], v[6:7], v[14:15], -v[16:17]
	ds_load_b128 v[6:9], v1 offset:832
	scratch_load_b128 v[14:17], off, off offset:448
	v_add_f64_e32 v[2:3], v[2:3], v[115:116]
	v_add_f64_e32 v[18:19], v[117:118], v[18:19]
	ds_load_b128 v[115:118], v1 offset:848
	v_fma_f64 v[129:130], v[129:130], v[87:88], v[131:132]
	v_fma_f64 v[127:128], v[127:128], v[87:88], -v[89:90]
	scratch_load_b128 v[87:90], off, off offset:464
	s_wait_loadcnt_dscnt 0xa01
	v_mul_f64_e32 v[137:138], v[6:7], v[93:94]
	v_mul_f64_e32 v[93:94], v[8:9], v[93:94]
	s_wait_loadcnt_dscnt 0x900
	v_mul_f64_e32 v[131:132], v[115:116], v[97:98]
	v_mul_f64_e32 v[97:98], v[117:118], v[97:98]
	v_add_f64_e32 v[2:3], v[2:3], v[135:136]
	v_add_f64_e32 v[18:19], v[18:19], v[133:134]
	v_fma_f64 v[133:134], v[8:9], v[91:92], v[137:138]
	v_fma_f64 v[135:136], v[6:7], v[91:92], -v[93:94]
	ds_load_b128 v[6:9], v1 offset:864
	scratch_load_b128 v[91:94], off, off offset:480
	v_fma_f64 v[117:118], v[117:118], v[95:96], v[131:132]
	v_fma_f64 v[115:116], v[115:116], v[95:96], -v[97:98]
	scratch_load_b128 v[95:98], off, off offset:496
	v_add_f64_e32 v[2:3], v[2:3], v[127:128]
	v_add_f64_e32 v[18:19], v[18:19], v[129:130]
	ds_load_b128 v[127:130], v1 offset:880
	s_wait_loadcnt_dscnt 0xa01
	v_mul_f64_e32 v[137:138], v[6:7], v[101:102]
	v_mul_f64_e32 v[101:102], v[8:9], v[101:102]
	s_wait_loadcnt_dscnt 0x900
	v_mul_f64_e32 v[131:132], v[127:128], v[105:106]
	v_mul_f64_e32 v[105:106], v[129:130], v[105:106]
	v_add_f64_e32 v[2:3], v[2:3], v[135:136]
	v_add_f64_e32 v[18:19], v[18:19], v[133:134]
	v_fma_f64 v[133:134], v[8:9], v[99:100], v[137:138]
	v_fma_f64 v[135:136], v[6:7], v[99:100], -v[101:102]
	ds_load_b128 v[6:9], v1 offset:896
	scratch_load_b128 v[99:102], off, off offset:512
	v_fma_f64 v[129:130], v[129:130], v[103:104], v[131:132]
	v_fma_f64 v[127:128], v[127:128], v[103:104], -v[105:106]
	scratch_load_b128 v[103:106], off, off offset:528
	v_add_f64_e32 v[2:3], v[2:3], v[115:116]
	v_add_f64_e32 v[18:19], v[18:19], v[117:118]
	ds_load_b128 v[115:118], v1 offset:912
	s_wait_loadcnt_dscnt 0xa01
	v_mul_f64_e32 v[137:138], v[6:7], v[109:110]
	v_mul_f64_e32 v[109:110], v[8:9], v[109:110]
	s_wait_loadcnt_dscnt 0x800
	v_mul_f64_e32 v[131:132], v[115:116], v[125:126]
	v_mul_f64_e32 v[125:126], v[117:118], v[125:126]
	v_add_f64_e32 v[2:3], v[2:3], v[135:136]
	v_add_f64_e32 v[18:19], v[18:19], v[133:134]
	v_fma_f64 v[133:134], v[8:9], v[107:108], v[137:138]
	v_fma_f64 v[135:136], v[6:7], v[107:108], -v[109:110]
	ds_load_b128 v[6:9], v1 offset:928
	ds_load_b128 v[107:110], v1 offset:944
	v_fma_f64 v[117:118], v[117:118], v[123:124], v[131:132]
	v_fma_f64 v[115:116], v[115:116], v[123:124], -v[125:126]
	v_add_f64_e32 v[2:3], v[2:3], v[127:128]
	v_add_f64_e32 v[18:19], v[18:19], v[129:130]
	s_wait_loadcnt_dscnt 0x701
	v_mul_f64_e32 v[127:128], v[6:7], v[113:114]
	v_mul_f64_e32 v[113:114], v[8:9], v[113:114]
	s_wait_loadcnt_dscnt 0x600
	v_mul_f64_e32 v[123:124], v[107:108], v[12:13]
	v_mul_f64_e32 v[12:13], v[109:110], v[12:13]
	v_add_f64_e32 v[2:3], v[2:3], v[135:136]
	v_add_f64_e32 v[18:19], v[18:19], v[133:134]
	v_fma_f64 v[125:126], v[8:9], v[111:112], v[127:128]
	v_fma_f64 v[127:128], v[6:7], v[111:112], -v[113:114]
	ds_load_b128 v[6:9], v1 offset:960
	ds_load_b128 v[111:114], v1 offset:976
	v_fma_f64 v[109:110], v[109:110], v[10:11], v[123:124]
	v_fma_f64 v[10:11], v[107:108], v[10:11], -v[12:13]
	v_add_f64_e32 v[2:3], v[2:3], v[115:116]
	v_add_f64_e32 v[18:19], v[18:19], v[117:118]
	s_wait_loadcnt_dscnt 0x501
	v_mul_f64_e32 v[115:116], v[6:7], v[16:17]
	v_mul_f64_e32 v[16:17], v[8:9], v[16:17]
	s_delay_alu instid0(VALU_DEP_4) | instskip(NEXT) | instid1(VALU_DEP_4)
	v_add_f64_e32 v[2:3], v[2:3], v[127:128]
	v_add_f64_e32 v[12:13], v[18:19], v[125:126]
	s_wait_loadcnt_dscnt 0x400
	v_mul_f64_e32 v[18:19], v[111:112], v[89:90]
	v_mul_f64_e32 v[89:90], v[113:114], v[89:90]
	v_fma_f64 v[107:108], v[8:9], v[14:15], v[115:116]
	v_fma_f64 v[14:15], v[6:7], v[14:15], -v[16:17]
	v_add_f64_e32 v[2:3], v[2:3], v[10:11]
	v_add_f64_e32 v[16:17], v[12:13], v[109:110]
	ds_load_b128 v[6:9], v1 offset:992
	ds_load_b128 v[10:13], v1 offset:1008
	v_fma_f64 v[18:19], v[113:114], v[87:88], v[18:19]
	v_fma_f64 v[87:88], v[111:112], v[87:88], -v[89:90]
	s_wait_loadcnt_dscnt 0x301
	v_mul_f64_e32 v[109:110], v[6:7], v[93:94]
	v_mul_f64_e32 v[93:94], v[8:9], v[93:94]
	s_wait_loadcnt_dscnt 0x200
	v_mul_f64_e32 v[89:90], v[12:13], v[97:98]
	v_add_f64_e32 v[2:3], v[2:3], v[14:15]
	v_add_f64_e32 v[14:15], v[16:17], v[107:108]
	v_mul_f64_e32 v[16:17], v[10:11], v[97:98]
	v_fma_f64 v[97:98], v[8:9], v[91:92], v[109:110]
	v_fma_f64 v[91:92], v[6:7], v[91:92], -v[93:94]
	v_fma_f64 v[10:11], v[10:11], v[95:96], -v[89:90]
	v_add_f64_e32 v[87:88], v[2:3], v[87:88]
	v_add_f64_e32 v[14:15], v[14:15], v[18:19]
	ds_load_b128 v[6:9], v1 offset:1024
	ds_load_b128 v[1:4], v1 offset:1040
	v_fma_f64 v[12:13], v[12:13], v[95:96], v[16:17]
	s_wait_loadcnt_dscnt 0x101
	v_mul_f64_e32 v[18:19], v[6:7], v[101:102]
	v_mul_f64_e32 v[93:94], v[8:9], v[101:102]
	s_wait_loadcnt_dscnt 0x0
	v_mul_f64_e32 v[89:90], v[3:4], v[105:106]
	v_add_f64_e32 v[16:17], v[87:88], v[91:92]
	v_add_f64_e32 v[14:15], v[14:15], v[97:98]
	v_mul_f64_e32 v[87:88], v[1:2], v[105:106]
	v_fma_f64 v[8:9], v[8:9], v[99:100], v[18:19]
	v_fma_f64 v[6:7], v[6:7], v[99:100], -v[93:94]
	v_fma_f64 v[1:2], v[1:2], v[103:104], -v[89:90]
	v_add_f64_e32 v[10:11], v[16:17], v[10:11]
	v_add_f64_e32 v[12:13], v[14:15], v[12:13]
	v_fma_f64 v[3:4], v[3:4], v[103:104], v[87:88]
	s_delay_alu instid0(VALU_DEP_3) | instskip(NEXT) | instid1(VALU_DEP_3)
	v_add_f64_e32 v[6:7], v[10:11], v[6:7]
	v_add_f64_e32 v[8:9], v[12:13], v[8:9]
	s_delay_alu instid0(VALU_DEP_2) | instskip(NEXT) | instid1(VALU_DEP_2)
	v_add_f64_e32 v[1:2], v[6:7], v[1:2]
	v_add_f64_e32 v[3:4], v[8:9], v[3:4]
	s_delay_alu instid0(VALU_DEP_2) | instskip(NEXT) | instid1(VALU_DEP_2)
	v_add_f64_e64 v[1:2], v[119:120], -v[1:2]
	v_add_f64_e64 v[3:4], v[121:122], -v[3:4]
	scratch_store_b128 off, v[1:4], off offset:240
	v_cmpx_lt_u32_e32 13, v0
	s_cbranch_execz .LBB32_185
; %bb.184:
	scratch_load_b128 v[1:4], off, s26
	v_mov_b32_e32 v6, 0
	s_delay_alu instid0(VALU_DEP_1)
	v_dual_mov_b32 v7, v6 :: v_dual_mov_b32 v8, v6
	v_mov_b32_e32 v9, v6
	scratch_store_b128 off, v[6:9], off offset:224
	s_wait_loadcnt 0x0
	ds_store_b128 v5, v[1:4]
.LBB32_185:
	s_wait_alu 0xfffe
	s_or_b32 exec_lo, exec_lo, s0
	s_wait_storecnt_dscnt 0x0
	s_barrier_signal -1
	s_barrier_wait -1
	global_inv scope:SCOPE_SE
	s_clause 0x7
	scratch_load_b128 v[6:9], off, off offset:240
	scratch_load_b128 v[10:13], off, off offset:256
	;; [unrolled: 1-line block ×8, first 2 shown]
	v_mov_b32_e32 v1, 0
	s_mov_b32 s0, exec_lo
	ds_load_b128 v[107:110], v1 offset:752
	s_clause 0x1
	scratch_load_b128 v[111:114], off, off offset:368
	scratch_load_b128 v[115:118], off, off offset:224
	ds_load_b128 v[119:122], v1 offset:768
	scratch_load_b128 v[123:126], off, off offset:384
	ds_load_b128 v[127:130], v1 offset:800
	s_wait_loadcnt_dscnt 0xa02
	v_mul_f64_e32 v[2:3], v[109:110], v[8:9]
	v_mul_f64_e32 v[8:9], v[107:108], v[8:9]
	s_delay_alu instid0(VALU_DEP_2) | instskip(NEXT) | instid1(VALU_DEP_2)
	v_fma_f64 v[2:3], v[107:108], v[6:7], -v[2:3]
	v_fma_f64 v[131:132], v[109:110], v[6:7], v[8:9]
	ds_load_b128 v[6:9], v1 offset:784
	s_wait_loadcnt_dscnt 0x902
	v_mul_f64_e32 v[18:19], v[119:120], v[12:13]
	v_mul_f64_e32 v[12:13], v[121:122], v[12:13]
	scratch_load_b128 v[107:110], off, off offset:400
	s_wait_loadcnt_dscnt 0x900
	v_mul_f64_e32 v[133:134], v[6:7], v[16:17]
	v_mul_f64_e32 v[16:17], v[8:9], v[16:17]
	v_add_f64_e32 v[2:3], 0, v[2:3]
	v_fma_f64 v[18:19], v[121:122], v[10:11], v[18:19]
	v_fma_f64 v[119:120], v[119:120], v[10:11], -v[12:13]
	v_add_f64_e32 v[121:122], 0, v[131:132]
	scratch_load_b128 v[10:13], off, off offset:416
	v_fma_f64 v[133:134], v[8:9], v[14:15], v[133:134]
	v_fma_f64 v[135:136], v[6:7], v[14:15], -v[16:17]
	ds_load_b128 v[6:9], v1 offset:816
	s_wait_loadcnt 0x9
	v_mul_f64_e32 v[131:132], v[127:128], v[89:90]
	v_mul_f64_e32 v[89:90], v[129:130], v[89:90]
	scratch_load_b128 v[14:17], off, off offset:432
	v_add_f64_e32 v[2:3], v[2:3], v[119:120]
	v_add_f64_e32 v[18:19], v[121:122], v[18:19]
	s_wait_loadcnt_dscnt 0x900
	v_mul_f64_e32 v[137:138], v[6:7], v[93:94]
	v_mul_f64_e32 v[93:94], v[8:9], v[93:94]
	ds_load_b128 v[119:122], v1 offset:832
	v_fma_f64 v[129:130], v[129:130], v[87:88], v[131:132]
	v_fma_f64 v[127:128], v[127:128], v[87:88], -v[89:90]
	scratch_load_b128 v[87:90], off, off offset:448
	v_add_f64_e32 v[2:3], v[2:3], v[135:136]
	v_add_f64_e32 v[18:19], v[18:19], v[133:134]
	v_fma_f64 v[133:134], v[8:9], v[91:92], v[137:138]
	v_fma_f64 v[135:136], v[6:7], v[91:92], -v[93:94]
	ds_load_b128 v[6:9], v1 offset:848
	s_wait_loadcnt_dscnt 0x901
	v_mul_f64_e32 v[131:132], v[119:120], v[97:98]
	v_mul_f64_e32 v[97:98], v[121:122], v[97:98]
	scratch_load_b128 v[91:94], off, off offset:464
	s_wait_loadcnt_dscnt 0x900
	v_mul_f64_e32 v[137:138], v[6:7], v[101:102]
	v_mul_f64_e32 v[101:102], v[8:9], v[101:102]
	v_add_f64_e32 v[2:3], v[2:3], v[127:128]
	v_add_f64_e32 v[18:19], v[18:19], v[129:130]
	ds_load_b128 v[127:130], v1 offset:864
	v_fma_f64 v[121:122], v[121:122], v[95:96], v[131:132]
	v_fma_f64 v[119:120], v[119:120], v[95:96], -v[97:98]
	scratch_load_b128 v[95:98], off, off offset:480
	v_add_f64_e32 v[2:3], v[2:3], v[135:136]
	v_add_f64_e32 v[18:19], v[18:19], v[133:134]
	v_fma_f64 v[133:134], v[8:9], v[99:100], v[137:138]
	v_fma_f64 v[135:136], v[6:7], v[99:100], -v[101:102]
	ds_load_b128 v[6:9], v1 offset:880
	s_wait_loadcnt_dscnt 0x901
	v_mul_f64_e32 v[131:132], v[127:128], v[105:106]
	v_mul_f64_e32 v[105:106], v[129:130], v[105:106]
	scratch_load_b128 v[99:102], off, off offset:496
	s_wait_loadcnt_dscnt 0x900
	v_mul_f64_e32 v[137:138], v[6:7], v[113:114]
	v_mul_f64_e32 v[113:114], v[8:9], v[113:114]
	v_add_f64_e32 v[2:3], v[2:3], v[119:120]
	v_add_f64_e32 v[18:19], v[18:19], v[121:122]
	ds_load_b128 v[119:122], v1 offset:896
	v_fma_f64 v[129:130], v[129:130], v[103:104], v[131:132]
	v_fma_f64 v[127:128], v[127:128], v[103:104], -v[105:106]
	scratch_load_b128 v[103:106], off, off offset:512
	v_add_f64_e32 v[2:3], v[2:3], v[135:136]
	v_add_f64_e32 v[18:19], v[18:19], v[133:134]
	v_fma_f64 v[135:136], v[8:9], v[111:112], v[137:138]
	v_fma_f64 v[137:138], v[6:7], v[111:112], -v[113:114]
	ds_load_b128 v[6:9], v1 offset:912
	s_wait_loadcnt_dscnt 0x801
	v_mul_f64_e32 v[131:132], v[119:120], v[125:126]
	v_mul_f64_e32 v[133:134], v[121:122], v[125:126]
	scratch_load_b128 v[111:114], off, off offset:528
	v_add_f64_e32 v[2:3], v[2:3], v[127:128]
	v_add_f64_e32 v[18:19], v[18:19], v[129:130]
	ds_load_b128 v[125:128], v1 offset:928
	v_fma_f64 v[121:122], v[121:122], v[123:124], v[131:132]
	v_fma_f64 v[119:120], v[119:120], v[123:124], -v[133:134]
	s_wait_loadcnt_dscnt 0x801
	v_mul_f64_e32 v[129:130], v[6:7], v[109:110]
	v_mul_f64_e32 v[109:110], v[8:9], v[109:110]
	v_add_f64_e32 v[2:3], v[2:3], v[137:138]
	v_add_f64_e32 v[18:19], v[18:19], v[135:136]
	s_delay_alu instid0(VALU_DEP_4)
	v_fma_f64 v[129:130], v[8:9], v[107:108], v[129:130]
	s_wait_loadcnt_dscnt 0x700
	v_mul_f64_e32 v[123:124], v[125:126], v[12:13]
	v_mul_f64_e32 v[12:13], v[127:128], v[12:13]
	v_fma_f64 v[131:132], v[6:7], v[107:108], -v[109:110]
	ds_load_b128 v[6:9], v1 offset:944
	ds_load_b128 v[107:110], v1 offset:960
	v_add_f64_e32 v[2:3], v[2:3], v[119:120]
	v_add_f64_e32 v[18:19], v[18:19], v[121:122]
	s_wait_loadcnt_dscnt 0x601
	v_mul_f64_e32 v[119:120], v[6:7], v[16:17]
	v_mul_f64_e32 v[16:17], v[8:9], v[16:17]
	v_fma_f64 v[121:122], v[127:128], v[10:11], v[123:124]
	v_fma_f64 v[10:11], v[125:126], v[10:11], -v[12:13]
	v_add_f64_e32 v[2:3], v[2:3], v[131:132]
	v_add_f64_e32 v[12:13], v[18:19], v[129:130]
	s_wait_loadcnt_dscnt 0x500
	v_mul_f64_e32 v[18:19], v[107:108], v[89:90]
	v_mul_f64_e32 v[89:90], v[109:110], v[89:90]
	v_fma_f64 v[119:120], v[8:9], v[14:15], v[119:120]
	v_fma_f64 v[14:15], v[6:7], v[14:15], -v[16:17]
	v_add_f64_e32 v[2:3], v[2:3], v[10:11]
	v_add_f64_e32 v[16:17], v[12:13], v[121:122]
	ds_load_b128 v[6:9], v1 offset:976
	ds_load_b128 v[10:13], v1 offset:992
	v_fma_f64 v[18:19], v[109:110], v[87:88], v[18:19]
	v_fma_f64 v[87:88], v[107:108], v[87:88], -v[89:90]
	s_wait_loadcnt_dscnt 0x401
	v_mul_f64_e32 v[121:122], v[6:7], v[93:94]
	v_mul_f64_e32 v[93:94], v[8:9], v[93:94]
	s_wait_loadcnt_dscnt 0x300
	v_mul_f64_e32 v[89:90], v[10:11], v[97:98]
	v_mul_f64_e32 v[97:98], v[12:13], v[97:98]
	v_add_f64_e32 v[2:3], v[2:3], v[14:15]
	v_add_f64_e32 v[14:15], v[16:17], v[119:120]
	v_fma_f64 v[107:108], v[8:9], v[91:92], v[121:122]
	v_fma_f64 v[91:92], v[6:7], v[91:92], -v[93:94]
	v_fma_f64 v[12:13], v[12:13], v[95:96], v[89:90]
	v_fma_f64 v[10:11], v[10:11], v[95:96], -v[97:98]
	v_add_f64_e32 v[2:3], v[2:3], v[87:88]
	v_add_f64_e32 v[18:19], v[14:15], v[18:19]
	ds_load_b128 v[6:9], v1 offset:1008
	ds_load_b128 v[14:17], v1 offset:1024
	s_wait_loadcnt_dscnt 0x201
	v_mul_f64_e32 v[87:88], v[6:7], v[101:102]
	v_mul_f64_e32 v[93:94], v[8:9], v[101:102]
	s_wait_loadcnt_dscnt 0x100
	v_mul_f64_e32 v[89:90], v[14:15], v[105:106]
	v_add_f64_e32 v[2:3], v[2:3], v[91:92]
	v_add_f64_e32 v[18:19], v[18:19], v[107:108]
	v_mul_f64_e32 v[91:92], v[16:17], v[105:106]
	v_fma_f64 v[87:88], v[8:9], v[99:100], v[87:88]
	v_fma_f64 v[93:94], v[6:7], v[99:100], -v[93:94]
	ds_load_b128 v[6:9], v1 offset:1040
	v_fma_f64 v[16:17], v[16:17], v[103:104], v[89:90]
	v_add_f64_e32 v[2:3], v[2:3], v[10:11]
	v_add_f64_e32 v[10:11], v[18:19], v[12:13]
	v_fma_f64 v[14:15], v[14:15], v[103:104], -v[91:92]
	s_wait_loadcnt_dscnt 0x0
	v_mul_f64_e32 v[12:13], v[6:7], v[113:114]
	v_mul_f64_e32 v[18:19], v[8:9], v[113:114]
	v_add_f64_e32 v[2:3], v[2:3], v[93:94]
	v_add_f64_e32 v[10:11], v[10:11], v[87:88]
	s_delay_alu instid0(VALU_DEP_4) | instskip(NEXT) | instid1(VALU_DEP_4)
	v_fma_f64 v[8:9], v[8:9], v[111:112], v[12:13]
	v_fma_f64 v[6:7], v[6:7], v[111:112], -v[18:19]
	s_delay_alu instid0(VALU_DEP_4) | instskip(NEXT) | instid1(VALU_DEP_4)
	v_add_f64_e32 v[2:3], v[2:3], v[14:15]
	v_add_f64_e32 v[10:11], v[10:11], v[16:17]
	s_delay_alu instid0(VALU_DEP_2) | instskip(NEXT) | instid1(VALU_DEP_2)
	v_add_f64_e32 v[2:3], v[2:3], v[6:7]
	v_add_f64_e32 v[8:9], v[10:11], v[8:9]
	s_delay_alu instid0(VALU_DEP_2) | instskip(NEXT) | instid1(VALU_DEP_2)
	v_add_f64_e64 v[6:7], v[115:116], -v[2:3]
	v_add_f64_e64 v[8:9], v[117:118], -v[8:9]
	scratch_store_b128 off, v[6:9], off offset:224
	v_cmpx_lt_u32_e32 12, v0
	s_cbranch_execz .LBB32_187
; %bb.186:
	scratch_load_b128 v[6:9], off, s28
	v_dual_mov_b32 v2, v1 :: v_dual_mov_b32 v3, v1
	v_mov_b32_e32 v4, v1
	scratch_store_b128 off, v[1:4], off offset:208
	s_wait_loadcnt 0x0
	ds_store_b128 v5, v[6:9]
.LBB32_187:
	s_wait_alu 0xfffe
	s_or_b32 exec_lo, exec_lo, s0
	s_wait_storecnt_dscnt 0x0
	s_barrier_signal -1
	s_barrier_wait -1
	global_inv scope:SCOPE_SE
	s_clause 0x8
	scratch_load_b128 v[6:9], off, off offset:224
	scratch_load_b128 v[10:13], off, off offset:240
	;; [unrolled: 1-line block ×9, first 2 shown]
	ds_load_b128 v[111:114], v1 offset:736
	ds_load_b128 v[115:118], v1 offset:752
	s_clause 0x1
	scratch_load_b128 v[119:122], off, off offset:208
	scratch_load_b128 v[123:126], off, off offset:368
	s_mov_b32 s0, exec_lo
	ds_load_b128 v[127:130], v1 offset:784
	s_wait_loadcnt_dscnt 0xa02
	v_mul_f64_e32 v[2:3], v[113:114], v[8:9]
	v_mul_f64_e32 v[8:9], v[111:112], v[8:9]
	s_wait_loadcnt_dscnt 0x901
	v_mul_f64_e32 v[18:19], v[115:116], v[12:13]
	v_mul_f64_e32 v[12:13], v[117:118], v[12:13]
	s_delay_alu instid0(VALU_DEP_4) | instskip(NEXT) | instid1(VALU_DEP_4)
	v_fma_f64 v[2:3], v[111:112], v[6:7], -v[2:3]
	v_fma_f64 v[131:132], v[113:114], v[6:7], v[8:9]
	ds_load_b128 v[6:9], v1 offset:768
	scratch_load_b128 v[111:114], off, off offset:384
	v_fma_f64 v[18:19], v[117:118], v[10:11], v[18:19]
	v_fma_f64 v[115:116], v[115:116], v[10:11], -v[12:13]
	scratch_load_b128 v[10:13], off, off offset:400
	s_wait_loadcnt_dscnt 0xa00
	v_mul_f64_e32 v[133:134], v[6:7], v[16:17]
	v_mul_f64_e32 v[16:17], v[8:9], v[16:17]
	v_add_f64_e32 v[2:3], 0, v[2:3]
	v_add_f64_e32 v[117:118], 0, v[131:132]
	s_wait_loadcnt 0x9
	v_mul_f64_e32 v[131:132], v[127:128], v[89:90]
	v_mul_f64_e32 v[89:90], v[129:130], v[89:90]
	v_fma_f64 v[133:134], v[8:9], v[14:15], v[133:134]
	v_fma_f64 v[135:136], v[6:7], v[14:15], -v[16:17]
	ds_load_b128 v[6:9], v1 offset:800
	scratch_load_b128 v[14:17], off, off offset:416
	v_add_f64_e32 v[2:3], v[2:3], v[115:116]
	v_add_f64_e32 v[18:19], v[117:118], v[18:19]
	ds_load_b128 v[115:118], v1 offset:816
	v_fma_f64 v[129:130], v[129:130], v[87:88], v[131:132]
	v_fma_f64 v[127:128], v[127:128], v[87:88], -v[89:90]
	scratch_load_b128 v[87:90], off, off offset:432
	s_wait_loadcnt_dscnt 0xa01
	v_mul_f64_e32 v[137:138], v[6:7], v[93:94]
	v_mul_f64_e32 v[93:94], v[8:9], v[93:94]
	s_wait_loadcnt_dscnt 0x900
	v_mul_f64_e32 v[131:132], v[115:116], v[97:98]
	v_mul_f64_e32 v[97:98], v[117:118], v[97:98]
	v_add_f64_e32 v[2:3], v[2:3], v[135:136]
	v_add_f64_e32 v[18:19], v[18:19], v[133:134]
	v_fma_f64 v[133:134], v[8:9], v[91:92], v[137:138]
	v_fma_f64 v[135:136], v[6:7], v[91:92], -v[93:94]
	ds_load_b128 v[6:9], v1 offset:832
	scratch_load_b128 v[91:94], off, off offset:448
	v_fma_f64 v[117:118], v[117:118], v[95:96], v[131:132]
	v_fma_f64 v[115:116], v[115:116], v[95:96], -v[97:98]
	scratch_load_b128 v[95:98], off, off offset:464
	v_add_f64_e32 v[2:3], v[2:3], v[127:128]
	v_add_f64_e32 v[18:19], v[18:19], v[129:130]
	ds_load_b128 v[127:130], v1 offset:848
	s_wait_loadcnt_dscnt 0xa01
	v_mul_f64_e32 v[137:138], v[6:7], v[101:102]
	v_mul_f64_e32 v[101:102], v[8:9], v[101:102]
	s_wait_loadcnt_dscnt 0x900
	v_mul_f64_e32 v[131:132], v[127:128], v[105:106]
	v_mul_f64_e32 v[105:106], v[129:130], v[105:106]
	v_add_f64_e32 v[2:3], v[2:3], v[135:136]
	v_add_f64_e32 v[18:19], v[18:19], v[133:134]
	v_fma_f64 v[133:134], v[8:9], v[99:100], v[137:138]
	v_fma_f64 v[135:136], v[6:7], v[99:100], -v[101:102]
	ds_load_b128 v[6:9], v1 offset:864
	scratch_load_b128 v[99:102], off, off offset:480
	v_fma_f64 v[129:130], v[129:130], v[103:104], v[131:132]
	v_fma_f64 v[127:128], v[127:128], v[103:104], -v[105:106]
	scratch_load_b128 v[103:106], off, off offset:496
	v_add_f64_e32 v[2:3], v[2:3], v[115:116]
	v_add_f64_e32 v[18:19], v[18:19], v[117:118]
	ds_load_b128 v[115:118], v1 offset:880
	s_wait_loadcnt_dscnt 0xa01
	v_mul_f64_e32 v[137:138], v[6:7], v[109:110]
	v_mul_f64_e32 v[109:110], v[8:9], v[109:110]
	s_wait_loadcnt_dscnt 0x800
	v_mul_f64_e32 v[131:132], v[115:116], v[125:126]
	v_add_f64_e32 v[2:3], v[2:3], v[135:136]
	v_add_f64_e32 v[18:19], v[18:19], v[133:134]
	v_mul_f64_e32 v[133:134], v[117:118], v[125:126]
	v_fma_f64 v[135:136], v[8:9], v[107:108], v[137:138]
	v_fma_f64 v[137:138], v[6:7], v[107:108], -v[109:110]
	ds_load_b128 v[6:9], v1 offset:896
	scratch_load_b128 v[107:110], off, off offset:512
	v_fma_f64 v[117:118], v[117:118], v[123:124], v[131:132]
	v_add_f64_e32 v[2:3], v[2:3], v[127:128]
	v_add_f64_e32 v[18:19], v[18:19], v[129:130]
	ds_load_b128 v[125:128], v1 offset:912
	v_fma_f64 v[123:124], v[115:116], v[123:124], -v[133:134]
	s_wait_loadcnt_dscnt 0x801
	v_mul_f64_e32 v[129:130], v[6:7], v[113:114]
	v_mul_f64_e32 v[139:140], v[8:9], v[113:114]
	scratch_load_b128 v[113:116], off, off offset:528
	s_wait_loadcnt_dscnt 0x800
	v_mul_f64_e32 v[133:134], v[125:126], v[12:13]
	v_mul_f64_e32 v[12:13], v[127:128], v[12:13]
	v_add_f64_e32 v[2:3], v[2:3], v[137:138]
	v_add_f64_e32 v[18:19], v[18:19], v[135:136]
	v_fma_f64 v[135:136], v[8:9], v[111:112], v[129:130]
	v_fma_f64 v[111:112], v[6:7], v[111:112], -v[139:140]
	ds_load_b128 v[6:9], v1 offset:928
	ds_load_b128 v[129:132], v1 offset:944
	v_add_f64_e32 v[2:3], v[2:3], v[123:124]
	v_add_f64_e32 v[18:19], v[18:19], v[117:118]
	v_fma_f64 v[123:124], v[127:128], v[10:11], v[133:134]
	s_wait_loadcnt_dscnt 0x701
	v_mul_f64_e32 v[117:118], v[6:7], v[16:17]
	v_mul_f64_e32 v[16:17], v[8:9], v[16:17]
	v_fma_f64 v[10:11], v[125:126], v[10:11], -v[12:13]
	v_add_f64_e32 v[2:3], v[2:3], v[111:112]
	v_add_f64_e32 v[12:13], v[18:19], v[135:136]
	s_wait_loadcnt_dscnt 0x600
	v_mul_f64_e32 v[18:19], v[129:130], v[89:90]
	v_mul_f64_e32 v[89:90], v[131:132], v[89:90]
	v_fma_f64 v[111:112], v[8:9], v[14:15], v[117:118]
	v_fma_f64 v[14:15], v[6:7], v[14:15], -v[16:17]
	v_add_f64_e32 v[2:3], v[2:3], v[10:11]
	v_add_f64_e32 v[16:17], v[12:13], v[123:124]
	ds_load_b128 v[6:9], v1 offset:960
	ds_load_b128 v[10:13], v1 offset:976
	v_fma_f64 v[18:19], v[131:132], v[87:88], v[18:19]
	v_fma_f64 v[87:88], v[129:130], v[87:88], -v[89:90]
	s_wait_loadcnt_dscnt 0x501
	v_mul_f64_e32 v[117:118], v[6:7], v[93:94]
	v_mul_f64_e32 v[93:94], v[8:9], v[93:94]
	s_wait_loadcnt_dscnt 0x400
	v_mul_f64_e32 v[89:90], v[10:11], v[97:98]
	v_mul_f64_e32 v[97:98], v[12:13], v[97:98]
	v_add_f64_e32 v[2:3], v[2:3], v[14:15]
	v_add_f64_e32 v[14:15], v[16:17], v[111:112]
	v_fma_f64 v[111:112], v[8:9], v[91:92], v[117:118]
	v_fma_f64 v[91:92], v[6:7], v[91:92], -v[93:94]
	v_fma_f64 v[12:13], v[12:13], v[95:96], v[89:90]
	v_fma_f64 v[10:11], v[10:11], v[95:96], -v[97:98]
	v_add_f64_e32 v[2:3], v[2:3], v[87:88]
	v_add_f64_e32 v[18:19], v[14:15], v[18:19]
	ds_load_b128 v[6:9], v1 offset:992
	ds_load_b128 v[14:17], v1 offset:1008
	s_wait_loadcnt_dscnt 0x301
	v_mul_f64_e32 v[87:88], v[6:7], v[101:102]
	v_mul_f64_e32 v[93:94], v[8:9], v[101:102]
	s_wait_loadcnt_dscnt 0x200
	v_mul_f64_e32 v[89:90], v[14:15], v[105:106]
	v_add_f64_e32 v[2:3], v[2:3], v[91:92]
	v_add_f64_e32 v[18:19], v[18:19], v[111:112]
	v_mul_f64_e32 v[91:92], v[16:17], v[105:106]
	v_fma_f64 v[87:88], v[8:9], v[99:100], v[87:88]
	v_fma_f64 v[93:94], v[6:7], v[99:100], -v[93:94]
	v_fma_f64 v[16:17], v[16:17], v[103:104], v[89:90]
	v_add_f64_e32 v[10:11], v[2:3], v[10:11]
	v_add_f64_e32 v[12:13], v[18:19], v[12:13]
	ds_load_b128 v[6:9], v1 offset:1024
	ds_load_b128 v[1:4], v1 offset:1040
	v_fma_f64 v[14:15], v[14:15], v[103:104], -v[91:92]
	s_wait_loadcnt_dscnt 0x101
	v_mul_f64_e32 v[18:19], v[6:7], v[109:110]
	v_mul_f64_e32 v[95:96], v[8:9], v[109:110]
	s_wait_loadcnt_dscnt 0x0
	v_mul_f64_e32 v[89:90], v[3:4], v[115:116]
	v_add_f64_e32 v[10:11], v[10:11], v[93:94]
	v_add_f64_e32 v[12:13], v[12:13], v[87:88]
	v_mul_f64_e32 v[87:88], v[1:2], v[115:116]
	v_fma_f64 v[8:9], v[8:9], v[107:108], v[18:19]
	v_fma_f64 v[6:7], v[6:7], v[107:108], -v[95:96]
	v_fma_f64 v[1:2], v[1:2], v[113:114], -v[89:90]
	v_add_f64_e32 v[10:11], v[10:11], v[14:15]
	v_add_f64_e32 v[12:13], v[12:13], v[16:17]
	v_fma_f64 v[3:4], v[3:4], v[113:114], v[87:88]
	s_delay_alu instid0(VALU_DEP_3) | instskip(NEXT) | instid1(VALU_DEP_3)
	v_add_f64_e32 v[6:7], v[10:11], v[6:7]
	v_add_f64_e32 v[8:9], v[12:13], v[8:9]
	s_delay_alu instid0(VALU_DEP_2) | instskip(NEXT) | instid1(VALU_DEP_2)
	v_add_f64_e32 v[1:2], v[6:7], v[1:2]
	v_add_f64_e32 v[3:4], v[8:9], v[3:4]
	s_delay_alu instid0(VALU_DEP_2) | instskip(NEXT) | instid1(VALU_DEP_2)
	v_add_f64_e64 v[1:2], v[119:120], -v[1:2]
	v_add_f64_e64 v[3:4], v[121:122], -v[3:4]
	scratch_store_b128 off, v[1:4], off offset:208
	v_cmpx_lt_u32_e32 11, v0
	s_cbranch_execz .LBB32_189
; %bb.188:
	scratch_load_b128 v[1:4], off, s30
	v_mov_b32_e32 v6, 0
	s_delay_alu instid0(VALU_DEP_1)
	v_dual_mov_b32 v7, v6 :: v_dual_mov_b32 v8, v6
	v_mov_b32_e32 v9, v6
	scratch_store_b128 off, v[6:9], off offset:192
	s_wait_loadcnt 0x0
	ds_store_b128 v5, v[1:4]
.LBB32_189:
	s_wait_alu 0xfffe
	s_or_b32 exec_lo, exec_lo, s0
	s_wait_storecnt_dscnt 0x0
	s_barrier_signal -1
	s_barrier_wait -1
	global_inv scope:SCOPE_SE
	s_clause 0x7
	scratch_load_b128 v[6:9], off, off offset:208
	scratch_load_b128 v[10:13], off, off offset:224
	;; [unrolled: 1-line block ×8, first 2 shown]
	v_mov_b32_e32 v1, 0
	s_mov_b32 s0, exec_lo
	ds_load_b128 v[107:110], v1 offset:720
	s_clause 0x1
	scratch_load_b128 v[111:114], off, off offset:336
	scratch_load_b128 v[115:118], off, off offset:192
	ds_load_b128 v[119:122], v1 offset:736
	scratch_load_b128 v[123:126], off, off offset:352
	ds_load_b128 v[127:130], v1 offset:768
	s_wait_loadcnt_dscnt 0xa02
	v_mul_f64_e32 v[2:3], v[109:110], v[8:9]
	v_mul_f64_e32 v[8:9], v[107:108], v[8:9]
	s_delay_alu instid0(VALU_DEP_2) | instskip(NEXT) | instid1(VALU_DEP_2)
	v_fma_f64 v[2:3], v[107:108], v[6:7], -v[2:3]
	v_fma_f64 v[131:132], v[109:110], v[6:7], v[8:9]
	ds_load_b128 v[6:9], v1 offset:752
	s_wait_loadcnt_dscnt 0x902
	v_mul_f64_e32 v[18:19], v[119:120], v[12:13]
	v_mul_f64_e32 v[12:13], v[121:122], v[12:13]
	scratch_load_b128 v[107:110], off, off offset:368
	s_wait_loadcnt_dscnt 0x900
	v_mul_f64_e32 v[133:134], v[6:7], v[16:17]
	v_mul_f64_e32 v[16:17], v[8:9], v[16:17]
	v_add_f64_e32 v[2:3], 0, v[2:3]
	v_fma_f64 v[18:19], v[121:122], v[10:11], v[18:19]
	v_fma_f64 v[119:120], v[119:120], v[10:11], -v[12:13]
	v_add_f64_e32 v[121:122], 0, v[131:132]
	scratch_load_b128 v[10:13], off, off offset:384
	v_fma_f64 v[133:134], v[8:9], v[14:15], v[133:134]
	v_fma_f64 v[135:136], v[6:7], v[14:15], -v[16:17]
	ds_load_b128 v[6:9], v1 offset:784
	s_wait_loadcnt 0x9
	v_mul_f64_e32 v[131:132], v[127:128], v[89:90]
	v_mul_f64_e32 v[89:90], v[129:130], v[89:90]
	scratch_load_b128 v[14:17], off, off offset:400
	v_add_f64_e32 v[2:3], v[2:3], v[119:120]
	v_add_f64_e32 v[18:19], v[121:122], v[18:19]
	s_wait_loadcnt_dscnt 0x900
	v_mul_f64_e32 v[137:138], v[6:7], v[93:94]
	v_mul_f64_e32 v[93:94], v[8:9], v[93:94]
	ds_load_b128 v[119:122], v1 offset:800
	v_fma_f64 v[129:130], v[129:130], v[87:88], v[131:132]
	v_fma_f64 v[127:128], v[127:128], v[87:88], -v[89:90]
	scratch_load_b128 v[87:90], off, off offset:416
	v_add_f64_e32 v[2:3], v[2:3], v[135:136]
	v_add_f64_e32 v[18:19], v[18:19], v[133:134]
	v_fma_f64 v[133:134], v[8:9], v[91:92], v[137:138]
	v_fma_f64 v[135:136], v[6:7], v[91:92], -v[93:94]
	ds_load_b128 v[6:9], v1 offset:816
	s_wait_loadcnt_dscnt 0x901
	v_mul_f64_e32 v[131:132], v[119:120], v[97:98]
	v_mul_f64_e32 v[97:98], v[121:122], v[97:98]
	scratch_load_b128 v[91:94], off, off offset:432
	s_wait_loadcnt_dscnt 0x900
	v_mul_f64_e32 v[137:138], v[6:7], v[101:102]
	v_mul_f64_e32 v[101:102], v[8:9], v[101:102]
	v_add_f64_e32 v[2:3], v[2:3], v[127:128]
	v_add_f64_e32 v[18:19], v[18:19], v[129:130]
	ds_load_b128 v[127:130], v1 offset:832
	v_fma_f64 v[121:122], v[121:122], v[95:96], v[131:132]
	v_fma_f64 v[119:120], v[119:120], v[95:96], -v[97:98]
	scratch_load_b128 v[95:98], off, off offset:448
	v_add_f64_e32 v[2:3], v[2:3], v[135:136]
	v_add_f64_e32 v[18:19], v[18:19], v[133:134]
	v_fma_f64 v[133:134], v[8:9], v[99:100], v[137:138]
	v_fma_f64 v[135:136], v[6:7], v[99:100], -v[101:102]
	ds_load_b128 v[6:9], v1 offset:848
	s_wait_loadcnt_dscnt 0x901
	v_mul_f64_e32 v[131:132], v[127:128], v[105:106]
	v_mul_f64_e32 v[105:106], v[129:130], v[105:106]
	scratch_load_b128 v[99:102], off, off offset:464
	s_wait_loadcnt_dscnt 0x900
	v_mul_f64_e32 v[137:138], v[6:7], v[113:114]
	v_mul_f64_e32 v[113:114], v[8:9], v[113:114]
	v_add_f64_e32 v[2:3], v[2:3], v[119:120]
	v_add_f64_e32 v[18:19], v[18:19], v[121:122]
	ds_load_b128 v[119:122], v1 offset:864
	v_fma_f64 v[129:130], v[129:130], v[103:104], v[131:132]
	v_fma_f64 v[127:128], v[127:128], v[103:104], -v[105:106]
	scratch_load_b128 v[103:106], off, off offset:480
	v_add_f64_e32 v[2:3], v[2:3], v[135:136]
	v_add_f64_e32 v[18:19], v[18:19], v[133:134]
	v_fma_f64 v[135:136], v[8:9], v[111:112], v[137:138]
	v_fma_f64 v[137:138], v[6:7], v[111:112], -v[113:114]
	ds_load_b128 v[6:9], v1 offset:880
	s_wait_loadcnt_dscnt 0x801
	v_mul_f64_e32 v[131:132], v[119:120], v[125:126]
	v_mul_f64_e32 v[133:134], v[121:122], v[125:126]
	scratch_load_b128 v[111:114], off, off offset:496
	v_add_f64_e32 v[2:3], v[2:3], v[127:128]
	v_add_f64_e32 v[18:19], v[18:19], v[129:130]
	ds_load_b128 v[125:128], v1 offset:896
	v_fma_f64 v[131:132], v[121:122], v[123:124], v[131:132]
	v_fma_f64 v[123:124], v[119:120], v[123:124], -v[133:134]
	scratch_load_b128 v[119:122], off, off offset:512
	s_wait_loadcnt_dscnt 0x901
	v_mul_f64_e32 v[129:130], v[6:7], v[109:110]
	v_mul_f64_e32 v[109:110], v[8:9], v[109:110]
	v_add_f64_e32 v[2:3], v[2:3], v[137:138]
	v_add_f64_e32 v[18:19], v[18:19], v[135:136]
	s_delay_alu instid0(VALU_DEP_4) | instskip(NEXT) | instid1(VALU_DEP_4)
	v_fma_f64 v[135:136], v[8:9], v[107:108], v[129:130]
	v_fma_f64 v[137:138], v[6:7], v[107:108], -v[109:110]
	ds_load_b128 v[6:9], v1 offset:912
	s_wait_loadcnt_dscnt 0x801
	v_mul_f64_e32 v[133:134], v[125:126], v[12:13]
	v_mul_f64_e32 v[12:13], v[127:128], v[12:13]
	scratch_load_b128 v[107:110], off, off offset:528
	v_add_f64_e32 v[2:3], v[2:3], v[123:124]
	v_add_f64_e32 v[18:19], v[18:19], v[131:132]
	s_wait_loadcnt_dscnt 0x800
	v_mul_f64_e32 v[123:124], v[6:7], v[16:17]
	v_mul_f64_e32 v[16:17], v[8:9], v[16:17]
	ds_load_b128 v[129:132], v1 offset:928
	v_fma_f64 v[127:128], v[127:128], v[10:11], v[133:134]
	v_fma_f64 v[10:11], v[125:126], v[10:11], -v[12:13]
	v_add_f64_e32 v[2:3], v[2:3], v[137:138]
	v_add_f64_e32 v[12:13], v[18:19], v[135:136]
	s_wait_loadcnt_dscnt 0x700
	v_mul_f64_e32 v[18:19], v[129:130], v[89:90]
	v_mul_f64_e32 v[89:90], v[131:132], v[89:90]
	v_fma_f64 v[123:124], v[8:9], v[14:15], v[123:124]
	v_fma_f64 v[14:15], v[6:7], v[14:15], -v[16:17]
	v_add_f64_e32 v[2:3], v[2:3], v[10:11]
	v_add_f64_e32 v[16:17], v[12:13], v[127:128]
	ds_load_b128 v[6:9], v1 offset:944
	ds_load_b128 v[10:13], v1 offset:960
	v_fma_f64 v[18:19], v[131:132], v[87:88], v[18:19]
	v_fma_f64 v[87:88], v[129:130], v[87:88], -v[89:90]
	s_wait_loadcnt_dscnt 0x601
	v_mul_f64_e32 v[125:126], v[6:7], v[93:94]
	v_mul_f64_e32 v[93:94], v[8:9], v[93:94]
	s_wait_loadcnt_dscnt 0x500
	v_mul_f64_e32 v[89:90], v[10:11], v[97:98]
	v_mul_f64_e32 v[97:98], v[12:13], v[97:98]
	v_add_f64_e32 v[2:3], v[2:3], v[14:15]
	v_add_f64_e32 v[14:15], v[16:17], v[123:124]
	v_fma_f64 v[123:124], v[8:9], v[91:92], v[125:126]
	v_fma_f64 v[91:92], v[6:7], v[91:92], -v[93:94]
	v_fma_f64 v[12:13], v[12:13], v[95:96], v[89:90]
	v_fma_f64 v[10:11], v[10:11], v[95:96], -v[97:98]
	v_add_f64_e32 v[2:3], v[2:3], v[87:88]
	v_add_f64_e32 v[18:19], v[14:15], v[18:19]
	ds_load_b128 v[6:9], v1 offset:976
	ds_load_b128 v[14:17], v1 offset:992
	s_wait_loadcnt_dscnt 0x401
	v_mul_f64_e32 v[87:88], v[6:7], v[101:102]
	v_mul_f64_e32 v[93:94], v[8:9], v[101:102]
	s_wait_loadcnt_dscnt 0x300
	v_mul_f64_e32 v[89:90], v[14:15], v[105:106]
	v_add_f64_e32 v[2:3], v[2:3], v[91:92]
	v_add_f64_e32 v[18:19], v[18:19], v[123:124]
	v_mul_f64_e32 v[91:92], v[16:17], v[105:106]
	v_fma_f64 v[87:88], v[8:9], v[99:100], v[87:88]
	v_fma_f64 v[93:94], v[6:7], v[99:100], -v[93:94]
	v_fma_f64 v[16:17], v[16:17], v[103:104], v[89:90]
	v_add_f64_e32 v[2:3], v[2:3], v[10:11]
	v_add_f64_e32 v[18:19], v[18:19], v[12:13]
	ds_load_b128 v[6:9], v1 offset:1008
	ds_load_b128 v[10:13], v1 offset:1024
	v_fma_f64 v[14:15], v[14:15], v[103:104], -v[91:92]
	s_wait_loadcnt_dscnt 0x201
	v_mul_f64_e32 v[95:96], v[6:7], v[113:114]
	v_mul_f64_e32 v[97:98], v[8:9], v[113:114]
	s_wait_loadcnt_dscnt 0x100
	v_mul_f64_e32 v[89:90], v[12:13], v[121:122]
	v_add_f64_e32 v[2:3], v[2:3], v[93:94]
	v_add_f64_e32 v[18:19], v[18:19], v[87:88]
	v_mul_f64_e32 v[87:88], v[10:11], v[121:122]
	v_fma_f64 v[91:92], v[8:9], v[111:112], v[95:96]
	v_fma_f64 v[93:94], v[6:7], v[111:112], -v[97:98]
	ds_load_b128 v[6:9], v1 offset:1040
	v_fma_f64 v[10:11], v[10:11], v[119:120], -v[89:90]
	v_add_f64_e32 v[2:3], v[2:3], v[14:15]
	v_add_f64_e32 v[14:15], v[18:19], v[16:17]
	v_fma_f64 v[12:13], v[12:13], v[119:120], v[87:88]
	s_wait_loadcnt_dscnt 0x0
	v_mul_f64_e32 v[16:17], v[6:7], v[109:110]
	v_mul_f64_e32 v[18:19], v[8:9], v[109:110]
	v_add_f64_e32 v[2:3], v[2:3], v[93:94]
	v_add_f64_e32 v[14:15], v[14:15], v[91:92]
	s_delay_alu instid0(VALU_DEP_4) | instskip(NEXT) | instid1(VALU_DEP_4)
	v_fma_f64 v[8:9], v[8:9], v[107:108], v[16:17]
	v_fma_f64 v[6:7], v[6:7], v[107:108], -v[18:19]
	s_delay_alu instid0(VALU_DEP_4) | instskip(NEXT) | instid1(VALU_DEP_4)
	v_add_f64_e32 v[2:3], v[2:3], v[10:11]
	v_add_f64_e32 v[10:11], v[14:15], v[12:13]
	s_delay_alu instid0(VALU_DEP_2) | instskip(NEXT) | instid1(VALU_DEP_2)
	v_add_f64_e32 v[2:3], v[2:3], v[6:7]
	v_add_f64_e32 v[8:9], v[10:11], v[8:9]
	s_delay_alu instid0(VALU_DEP_2) | instskip(NEXT) | instid1(VALU_DEP_2)
	v_add_f64_e64 v[6:7], v[115:116], -v[2:3]
	v_add_f64_e64 v[8:9], v[117:118], -v[8:9]
	scratch_store_b128 off, v[6:9], off offset:192
	v_cmpx_lt_u32_e32 10, v0
	s_cbranch_execz .LBB32_191
; %bb.190:
	scratch_load_b128 v[6:9], off, s33
	v_dual_mov_b32 v2, v1 :: v_dual_mov_b32 v3, v1
	v_mov_b32_e32 v4, v1
	scratch_store_b128 off, v[1:4], off offset:176
	s_wait_loadcnt 0x0
	ds_store_b128 v5, v[6:9]
.LBB32_191:
	s_wait_alu 0xfffe
	s_or_b32 exec_lo, exec_lo, s0
	s_wait_storecnt_dscnt 0x0
	s_barrier_signal -1
	s_barrier_wait -1
	global_inv scope:SCOPE_SE
	s_clause 0x8
	scratch_load_b128 v[6:9], off, off offset:192
	scratch_load_b128 v[10:13], off, off offset:208
	;; [unrolled: 1-line block ×9, first 2 shown]
	ds_load_b128 v[111:114], v1 offset:704
	ds_load_b128 v[115:118], v1 offset:720
	s_clause 0x1
	scratch_load_b128 v[119:122], off, off offset:176
	scratch_load_b128 v[123:126], off, off offset:336
	s_mov_b32 s0, exec_lo
	ds_load_b128 v[127:130], v1 offset:752
	s_wait_loadcnt_dscnt 0xa02
	v_mul_f64_e32 v[2:3], v[113:114], v[8:9]
	v_mul_f64_e32 v[8:9], v[111:112], v[8:9]
	s_wait_loadcnt_dscnt 0x901
	v_mul_f64_e32 v[18:19], v[115:116], v[12:13]
	v_mul_f64_e32 v[12:13], v[117:118], v[12:13]
	s_delay_alu instid0(VALU_DEP_4) | instskip(NEXT) | instid1(VALU_DEP_4)
	v_fma_f64 v[2:3], v[111:112], v[6:7], -v[2:3]
	v_fma_f64 v[131:132], v[113:114], v[6:7], v[8:9]
	ds_load_b128 v[6:9], v1 offset:736
	scratch_load_b128 v[111:114], off, off offset:352
	v_fma_f64 v[18:19], v[117:118], v[10:11], v[18:19]
	v_fma_f64 v[115:116], v[115:116], v[10:11], -v[12:13]
	scratch_load_b128 v[10:13], off, off offset:368
	s_wait_loadcnt_dscnt 0xa00
	v_mul_f64_e32 v[133:134], v[6:7], v[16:17]
	v_mul_f64_e32 v[16:17], v[8:9], v[16:17]
	v_add_f64_e32 v[2:3], 0, v[2:3]
	v_add_f64_e32 v[117:118], 0, v[131:132]
	s_wait_loadcnt 0x9
	v_mul_f64_e32 v[131:132], v[127:128], v[89:90]
	v_mul_f64_e32 v[89:90], v[129:130], v[89:90]
	v_fma_f64 v[133:134], v[8:9], v[14:15], v[133:134]
	v_fma_f64 v[135:136], v[6:7], v[14:15], -v[16:17]
	ds_load_b128 v[6:9], v1 offset:768
	scratch_load_b128 v[14:17], off, off offset:384
	v_add_f64_e32 v[2:3], v[2:3], v[115:116]
	v_add_f64_e32 v[18:19], v[117:118], v[18:19]
	ds_load_b128 v[115:118], v1 offset:784
	v_fma_f64 v[129:130], v[129:130], v[87:88], v[131:132]
	v_fma_f64 v[127:128], v[127:128], v[87:88], -v[89:90]
	scratch_load_b128 v[87:90], off, off offset:400
	s_wait_loadcnt_dscnt 0xa01
	v_mul_f64_e32 v[137:138], v[6:7], v[93:94]
	v_mul_f64_e32 v[93:94], v[8:9], v[93:94]
	s_wait_loadcnt_dscnt 0x900
	v_mul_f64_e32 v[131:132], v[115:116], v[97:98]
	v_mul_f64_e32 v[97:98], v[117:118], v[97:98]
	v_add_f64_e32 v[2:3], v[2:3], v[135:136]
	v_add_f64_e32 v[18:19], v[18:19], v[133:134]
	v_fma_f64 v[133:134], v[8:9], v[91:92], v[137:138]
	v_fma_f64 v[135:136], v[6:7], v[91:92], -v[93:94]
	ds_load_b128 v[6:9], v1 offset:800
	scratch_load_b128 v[91:94], off, off offset:416
	v_fma_f64 v[117:118], v[117:118], v[95:96], v[131:132]
	v_fma_f64 v[115:116], v[115:116], v[95:96], -v[97:98]
	scratch_load_b128 v[95:98], off, off offset:432
	v_add_f64_e32 v[2:3], v[2:3], v[127:128]
	v_add_f64_e32 v[18:19], v[18:19], v[129:130]
	ds_load_b128 v[127:130], v1 offset:816
	s_wait_loadcnt_dscnt 0xa01
	v_mul_f64_e32 v[137:138], v[6:7], v[101:102]
	v_mul_f64_e32 v[101:102], v[8:9], v[101:102]
	s_wait_loadcnt_dscnt 0x900
	v_mul_f64_e32 v[131:132], v[127:128], v[105:106]
	v_mul_f64_e32 v[105:106], v[129:130], v[105:106]
	v_add_f64_e32 v[2:3], v[2:3], v[135:136]
	v_add_f64_e32 v[18:19], v[18:19], v[133:134]
	v_fma_f64 v[133:134], v[8:9], v[99:100], v[137:138]
	v_fma_f64 v[135:136], v[6:7], v[99:100], -v[101:102]
	ds_load_b128 v[6:9], v1 offset:832
	scratch_load_b128 v[99:102], off, off offset:448
	v_fma_f64 v[129:130], v[129:130], v[103:104], v[131:132]
	v_fma_f64 v[127:128], v[127:128], v[103:104], -v[105:106]
	scratch_load_b128 v[103:106], off, off offset:464
	v_add_f64_e32 v[2:3], v[2:3], v[115:116]
	v_add_f64_e32 v[18:19], v[18:19], v[117:118]
	ds_load_b128 v[115:118], v1 offset:848
	s_wait_loadcnt_dscnt 0xa01
	v_mul_f64_e32 v[137:138], v[6:7], v[109:110]
	v_mul_f64_e32 v[109:110], v[8:9], v[109:110]
	s_wait_loadcnt_dscnt 0x800
	v_mul_f64_e32 v[131:132], v[115:116], v[125:126]
	v_add_f64_e32 v[2:3], v[2:3], v[135:136]
	v_add_f64_e32 v[18:19], v[18:19], v[133:134]
	v_mul_f64_e32 v[133:134], v[117:118], v[125:126]
	v_fma_f64 v[135:136], v[8:9], v[107:108], v[137:138]
	v_fma_f64 v[137:138], v[6:7], v[107:108], -v[109:110]
	ds_load_b128 v[6:9], v1 offset:864
	scratch_load_b128 v[107:110], off, off offset:480
	v_fma_f64 v[117:118], v[117:118], v[123:124], v[131:132]
	v_add_f64_e32 v[2:3], v[2:3], v[127:128]
	v_add_f64_e32 v[18:19], v[18:19], v[129:130]
	ds_load_b128 v[125:128], v1 offset:880
	v_fma_f64 v[123:124], v[115:116], v[123:124], -v[133:134]
	s_wait_loadcnt_dscnt 0x801
	v_mul_f64_e32 v[129:130], v[6:7], v[113:114]
	v_mul_f64_e32 v[139:140], v[8:9], v[113:114]
	scratch_load_b128 v[113:116], off, off offset:496
	v_add_f64_e32 v[2:3], v[2:3], v[137:138]
	v_add_f64_e32 v[18:19], v[18:19], v[135:136]
	s_wait_loadcnt_dscnt 0x800
	v_mul_f64_e32 v[137:138], v[125:126], v[12:13]
	v_mul_f64_e32 v[12:13], v[127:128], v[12:13]
	ds_load_b128 v[133:136], v1 offset:912
	v_fma_f64 v[141:142], v[8:9], v[111:112], v[129:130]
	v_fma_f64 v[111:112], v[6:7], v[111:112], -v[139:140]
	ds_load_b128 v[6:9], v1 offset:896
	scratch_load_b128 v[129:132], off, off offset:512
	v_add_f64_e32 v[2:3], v[2:3], v[123:124]
	v_add_f64_e32 v[18:19], v[18:19], v[117:118]
	v_fma_f64 v[123:124], v[127:128], v[10:11], v[137:138]
	s_wait_loadcnt_dscnt 0x800
	v_mul_f64_e32 v[117:118], v[6:7], v[16:17]
	v_mul_f64_e32 v[16:17], v[8:9], v[16:17]
	v_fma_f64 v[125:126], v[125:126], v[10:11], -v[12:13]
	scratch_load_b128 v[10:13], off, off offset:528
	v_add_f64_e32 v[2:3], v[2:3], v[111:112]
	v_add_f64_e32 v[18:19], v[18:19], v[141:142]
	s_wait_loadcnt 0x8
	v_mul_f64_e32 v[111:112], v[133:134], v[89:90]
	v_mul_f64_e32 v[89:90], v[135:136], v[89:90]
	v_fma_f64 v[117:118], v[8:9], v[14:15], v[117:118]
	v_fma_f64 v[127:128], v[6:7], v[14:15], -v[16:17]
	ds_load_b128 v[6:9], v1 offset:928
	ds_load_b128 v[14:17], v1 offset:944
	v_add_f64_e32 v[2:3], v[2:3], v[125:126]
	v_add_f64_e32 v[18:19], v[18:19], v[123:124]
	s_wait_loadcnt_dscnt 0x701
	v_mul_f64_e32 v[123:124], v[6:7], v[93:94]
	v_mul_f64_e32 v[93:94], v[8:9], v[93:94]
	v_fma_f64 v[111:112], v[135:136], v[87:88], v[111:112]
	v_fma_f64 v[87:88], v[133:134], v[87:88], -v[89:90]
	v_add_f64_e32 v[2:3], v[2:3], v[127:128]
	v_add_f64_e32 v[18:19], v[18:19], v[117:118]
	s_wait_loadcnt_dscnt 0x600
	v_mul_f64_e32 v[117:118], v[14:15], v[97:98]
	v_mul_f64_e32 v[97:98], v[16:17], v[97:98]
	v_fma_f64 v[123:124], v[8:9], v[91:92], v[123:124]
	v_fma_f64 v[91:92], v[6:7], v[91:92], -v[93:94]
	v_add_f64_e32 v[2:3], v[2:3], v[87:88]
	v_add_f64_e32 v[18:19], v[18:19], v[111:112]
	ds_load_b128 v[6:9], v1 offset:960
	ds_load_b128 v[87:90], v1 offset:976
	v_fma_f64 v[16:17], v[16:17], v[95:96], v[117:118]
	v_fma_f64 v[14:15], v[14:15], v[95:96], -v[97:98]
	s_wait_loadcnt_dscnt 0x501
	v_mul_f64_e32 v[93:94], v[6:7], v[101:102]
	v_mul_f64_e32 v[101:102], v[8:9], v[101:102]
	s_wait_loadcnt_dscnt 0x400
	v_mul_f64_e32 v[95:96], v[89:90], v[105:106]
	v_add_f64_e32 v[2:3], v[2:3], v[91:92]
	v_add_f64_e32 v[18:19], v[18:19], v[123:124]
	v_mul_f64_e32 v[91:92], v[87:88], v[105:106]
	v_fma_f64 v[93:94], v[8:9], v[99:100], v[93:94]
	v_fma_f64 v[97:98], v[6:7], v[99:100], -v[101:102]
	v_fma_f64 v[87:88], v[87:88], v[103:104], -v[95:96]
	v_add_f64_e32 v[2:3], v[2:3], v[14:15]
	v_add_f64_e32 v[18:19], v[18:19], v[16:17]
	ds_load_b128 v[6:9], v1 offset:992
	ds_load_b128 v[14:17], v1 offset:1008
	v_fma_f64 v[89:90], v[89:90], v[103:104], v[91:92]
	s_wait_loadcnt_dscnt 0x301
	v_mul_f64_e32 v[99:100], v[6:7], v[109:110]
	v_mul_f64_e32 v[101:102], v[8:9], v[109:110]
	s_wait_loadcnt_dscnt 0x200
	v_mul_f64_e32 v[91:92], v[14:15], v[115:116]
	v_add_f64_e32 v[2:3], v[2:3], v[97:98]
	v_add_f64_e32 v[18:19], v[18:19], v[93:94]
	v_mul_f64_e32 v[93:94], v[16:17], v[115:116]
	v_fma_f64 v[95:96], v[8:9], v[107:108], v[99:100]
	v_fma_f64 v[97:98], v[6:7], v[107:108], -v[101:102]
	v_fma_f64 v[16:17], v[16:17], v[113:114], v[91:92]
	v_add_f64_e32 v[87:88], v[2:3], v[87:88]
	v_add_f64_e32 v[18:19], v[18:19], v[89:90]
	ds_load_b128 v[6:9], v1 offset:1024
	ds_load_b128 v[1:4], v1 offset:1040
	v_fma_f64 v[14:15], v[14:15], v[113:114], -v[93:94]
	s_wait_loadcnt_dscnt 0x101
	v_mul_f64_e32 v[89:90], v[6:7], v[131:132]
	v_mul_f64_e32 v[99:100], v[8:9], v[131:132]
	s_wait_loadcnt_dscnt 0x0
	v_mul_f64_e32 v[91:92], v[1:2], v[12:13]
	v_mul_f64_e32 v[12:13], v[3:4], v[12:13]
	v_add_f64_e32 v[87:88], v[87:88], v[97:98]
	v_add_f64_e32 v[18:19], v[18:19], v[95:96]
	v_fma_f64 v[8:9], v[8:9], v[129:130], v[89:90]
	v_fma_f64 v[6:7], v[6:7], v[129:130], -v[99:100]
	v_fma_f64 v[3:4], v[3:4], v[10:11], v[91:92]
	v_fma_f64 v[1:2], v[1:2], v[10:11], -v[12:13]
	v_add_f64_e32 v[14:15], v[87:88], v[14:15]
	v_add_f64_e32 v[16:17], v[18:19], v[16:17]
	s_delay_alu instid0(VALU_DEP_2) | instskip(NEXT) | instid1(VALU_DEP_2)
	v_add_f64_e32 v[6:7], v[14:15], v[6:7]
	v_add_f64_e32 v[8:9], v[16:17], v[8:9]
	s_delay_alu instid0(VALU_DEP_2) | instskip(NEXT) | instid1(VALU_DEP_2)
	;; [unrolled: 3-line block ×3, first 2 shown]
	v_add_f64_e64 v[1:2], v[119:120], -v[1:2]
	v_add_f64_e64 v[3:4], v[121:122], -v[3:4]
	scratch_store_b128 off, v[1:4], off offset:176
	v_cmpx_lt_u32_e32 9, v0
	s_cbranch_execz .LBB32_193
; %bb.192:
	scratch_load_b128 v[1:4], off, s35
	v_mov_b32_e32 v6, 0
	s_delay_alu instid0(VALU_DEP_1)
	v_dual_mov_b32 v7, v6 :: v_dual_mov_b32 v8, v6
	v_mov_b32_e32 v9, v6
	scratch_store_b128 off, v[6:9], off offset:160
	s_wait_loadcnt 0x0
	ds_store_b128 v5, v[1:4]
.LBB32_193:
	s_wait_alu 0xfffe
	s_or_b32 exec_lo, exec_lo, s0
	s_wait_storecnt_dscnt 0x0
	s_barrier_signal -1
	s_barrier_wait -1
	global_inv scope:SCOPE_SE
	s_clause 0x7
	scratch_load_b128 v[6:9], off, off offset:176
	scratch_load_b128 v[10:13], off, off offset:192
	;; [unrolled: 1-line block ×8, first 2 shown]
	v_mov_b32_e32 v1, 0
	s_mov_b32 s0, exec_lo
	ds_load_b128 v[107:110], v1 offset:688
	s_clause 0x1
	scratch_load_b128 v[111:114], off, off offset:304
	scratch_load_b128 v[115:118], off, off offset:160
	ds_load_b128 v[119:122], v1 offset:704
	scratch_load_b128 v[123:126], off, off offset:320
	ds_load_b128 v[127:130], v1 offset:736
	s_wait_loadcnt_dscnt 0xa02
	v_mul_f64_e32 v[2:3], v[109:110], v[8:9]
	v_mul_f64_e32 v[8:9], v[107:108], v[8:9]
	s_delay_alu instid0(VALU_DEP_2) | instskip(NEXT) | instid1(VALU_DEP_2)
	v_fma_f64 v[2:3], v[107:108], v[6:7], -v[2:3]
	v_fma_f64 v[131:132], v[109:110], v[6:7], v[8:9]
	ds_load_b128 v[6:9], v1 offset:720
	s_wait_loadcnt_dscnt 0x902
	v_mul_f64_e32 v[18:19], v[119:120], v[12:13]
	v_mul_f64_e32 v[12:13], v[121:122], v[12:13]
	scratch_load_b128 v[107:110], off, off offset:336
	s_wait_loadcnt_dscnt 0x900
	v_mul_f64_e32 v[133:134], v[6:7], v[16:17]
	v_mul_f64_e32 v[16:17], v[8:9], v[16:17]
	v_add_f64_e32 v[2:3], 0, v[2:3]
	v_fma_f64 v[18:19], v[121:122], v[10:11], v[18:19]
	v_fma_f64 v[119:120], v[119:120], v[10:11], -v[12:13]
	v_add_f64_e32 v[121:122], 0, v[131:132]
	scratch_load_b128 v[10:13], off, off offset:352
	v_fma_f64 v[133:134], v[8:9], v[14:15], v[133:134]
	v_fma_f64 v[135:136], v[6:7], v[14:15], -v[16:17]
	ds_load_b128 v[6:9], v1 offset:752
	s_wait_loadcnt 0x9
	v_mul_f64_e32 v[131:132], v[127:128], v[89:90]
	v_mul_f64_e32 v[89:90], v[129:130], v[89:90]
	scratch_load_b128 v[14:17], off, off offset:368
	v_add_f64_e32 v[2:3], v[2:3], v[119:120]
	v_add_f64_e32 v[18:19], v[121:122], v[18:19]
	s_wait_loadcnt_dscnt 0x900
	v_mul_f64_e32 v[137:138], v[6:7], v[93:94]
	v_mul_f64_e32 v[93:94], v[8:9], v[93:94]
	ds_load_b128 v[119:122], v1 offset:768
	v_fma_f64 v[129:130], v[129:130], v[87:88], v[131:132]
	v_fma_f64 v[127:128], v[127:128], v[87:88], -v[89:90]
	scratch_load_b128 v[87:90], off, off offset:384
	v_add_f64_e32 v[2:3], v[2:3], v[135:136]
	v_add_f64_e32 v[18:19], v[18:19], v[133:134]
	v_fma_f64 v[133:134], v[8:9], v[91:92], v[137:138]
	v_fma_f64 v[135:136], v[6:7], v[91:92], -v[93:94]
	ds_load_b128 v[6:9], v1 offset:784
	s_wait_loadcnt_dscnt 0x901
	v_mul_f64_e32 v[131:132], v[119:120], v[97:98]
	v_mul_f64_e32 v[97:98], v[121:122], v[97:98]
	scratch_load_b128 v[91:94], off, off offset:400
	s_wait_loadcnt_dscnt 0x900
	v_mul_f64_e32 v[137:138], v[6:7], v[101:102]
	v_mul_f64_e32 v[101:102], v[8:9], v[101:102]
	v_add_f64_e32 v[2:3], v[2:3], v[127:128]
	v_add_f64_e32 v[18:19], v[18:19], v[129:130]
	ds_load_b128 v[127:130], v1 offset:800
	v_fma_f64 v[121:122], v[121:122], v[95:96], v[131:132]
	v_fma_f64 v[119:120], v[119:120], v[95:96], -v[97:98]
	scratch_load_b128 v[95:98], off, off offset:416
	v_add_f64_e32 v[2:3], v[2:3], v[135:136]
	v_add_f64_e32 v[18:19], v[18:19], v[133:134]
	v_fma_f64 v[133:134], v[8:9], v[99:100], v[137:138]
	v_fma_f64 v[135:136], v[6:7], v[99:100], -v[101:102]
	ds_load_b128 v[6:9], v1 offset:816
	s_wait_loadcnt_dscnt 0x901
	v_mul_f64_e32 v[131:132], v[127:128], v[105:106]
	v_mul_f64_e32 v[105:106], v[129:130], v[105:106]
	scratch_load_b128 v[99:102], off, off offset:432
	s_wait_loadcnt_dscnt 0x900
	v_mul_f64_e32 v[137:138], v[6:7], v[113:114]
	v_mul_f64_e32 v[113:114], v[8:9], v[113:114]
	v_add_f64_e32 v[2:3], v[2:3], v[119:120]
	v_add_f64_e32 v[18:19], v[18:19], v[121:122]
	ds_load_b128 v[119:122], v1 offset:832
	v_fma_f64 v[129:130], v[129:130], v[103:104], v[131:132]
	v_fma_f64 v[127:128], v[127:128], v[103:104], -v[105:106]
	scratch_load_b128 v[103:106], off, off offset:448
	v_add_f64_e32 v[2:3], v[2:3], v[135:136]
	v_add_f64_e32 v[18:19], v[18:19], v[133:134]
	v_fma_f64 v[135:136], v[8:9], v[111:112], v[137:138]
	v_fma_f64 v[137:138], v[6:7], v[111:112], -v[113:114]
	ds_load_b128 v[6:9], v1 offset:848
	s_wait_loadcnt_dscnt 0x801
	v_mul_f64_e32 v[131:132], v[119:120], v[125:126]
	v_mul_f64_e32 v[133:134], v[121:122], v[125:126]
	scratch_load_b128 v[111:114], off, off offset:464
	v_add_f64_e32 v[2:3], v[2:3], v[127:128]
	v_add_f64_e32 v[18:19], v[18:19], v[129:130]
	ds_load_b128 v[125:128], v1 offset:864
	v_fma_f64 v[131:132], v[121:122], v[123:124], v[131:132]
	v_fma_f64 v[123:124], v[119:120], v[123:124], -v[133:134]
	scratch_load_b128 v[119:122], off, off offset:480
	s_wait_loadcnt_dscnt 0x901
	v_mul_f64_e32 v[129:130], v[6:7], v[109:110]
	v_mul_f64_e32 v[109:110], v[8:9], v[109:110]
	v_add_f64_e32 v[2:3], v[2:3], v[137:138]
	v_add_f64_e32 v[18:19], v[18:19], v[135:136]
	s_delay_alu instid0(VALU_DEP_4) | instskip(NEXT) | instid1(VALU_DEP_4)
	v_fma_f64 v[135:136], v[8:9], v[107:108], v[129:130]
	v_fma_f64 v[137:138], v[6:7], v[107:108], -v[109:110]
	ds_load_b128 v[6:9], v1 offset:880
	s_wait_loadcnt_dscnt 0x801
	v_mul_f64_e32 v[133:134], v[125:126], v[12:13]
	v_mul_f64_e32 v[12:13], v[127:128], v[12:13]
	scratch_load_b128 v[107:110], off, off offset:496
	v_add_f64_e32 v[2:3], v[2:3], v[123:124]
	v_add_f64_e32 v[18:19], v[18:19], v[131:132]
	s_wait_loadcnt_dscnt 0x800
	v_mul_f64_e32 v[123:124], v[6:7], v[16:17]
	v_mul_f64_e32 v[16:17], v[8:9], v[16:17]
	ds_load_b128 v[129:132], v1 offset:896
	v_fma_f64 v[127:128], v[127:128], v[10:11], v[133:134]
	v_fma_f64 v[125:126], v[125:126], v[10:11], -v[12:13]
	scratch_load_b128 v[10:13], off, off offset:512
	v_add_f64_e32 v[2:3], v[2:3], v[137:138]
	v_add_f64_e32 v[18:19], v[18:19], v[135:136]
	v_fma_f64 v[135:136], v[8:9], v[14:15], v[123:124]
	v_fma_f64 v[137:138], v[6:7], v[14:15], -v[16:17]
	ds_load_b128 v[6:9], v1 offset:912
	s_wait_loadcnt_dscnt 0x801
	v_mul_f64_e32 v[133:134], v[129:130], v[89:90]
	v_mul_f64_e32 v[89:90], v[131:132], v[89:90]
	scratch_load_b128 v[14:17], off, off offset:528
	v_add_f64_e32 v[2:3], v[2:3], v[125:126]
	v_add_f64_e32 v[18:19], v[18:19], v[127:128]
	s_wait_loadcnt_dscnt 0x800
	v_mul_f64_e32 v[127:128], v[6:7], v[93:94]
	v_mul_f64_e32 v[93:94], v[8:9], v[93:94]
	ds_load_b128 v[123:126], v1 offset:928
	v_fma_f64 v[131:132], v[131:132], v[87:88], v[133:134]
	v_fma_f64 v[87:88], v[129:130], v[87:88], -v[89:90]
	s_wait_loadcnt_dscnt 0x700
	v_mul_f64_e32 v[129:130], v[123:124], v[97:98]
	v_mul_f64_e32 v[97:98], v[125:126], v[97:98]
	v_add_f64_e32 v[2:3], v[2:3], v[137:138]
	v_add_f64_e32 v[18:19], v[18:19], v[135:136]
	v_fma_f64 v[127:128], v[8:9], v[91:92], v[127:128]
	v_fma_f64 v[91:92], v[6:7], v[91:92], -v[93:94]
	v_fma_f64 v[125:126], v[125:126], v[95:96], v[129:130]
	v_fma_f64 v[95:96], v[123:124], v[95:96], -v[97:98]
	v_add_f64_e32 v[2:3], v[2:3], v[87:88]
	v_add_f64_e32 v[18:19], v[18:19], v[131:132]
	ds_load_b128 v[6:9], v1 offset:944
	ds_load_b128 v[87:90], v1 offset:960
	s_wait_loadcnt_dscnt 0x601
	v_mul_f64_e32 v[93:94], v[6:7], v[101:102]
	v_mul_f64_e32 v[101:102], v[8:9], v[101:102]
	s_wait_loadcnt_dscnt 0x500
	v_mul_f64_e32 v[97:98], v[87:88], v[105:106]
	v_mul_f64_e32 v[105:106], v[89:90], v[105:106]
	v_add_f64_e32 v[2:3], v[2:3], v[91:92]
	v_add_f64_e32 v[18:19], v[18:19], v[127:128]
	v_fma_f64 v[123:124], v[8:9], v[99:100], v[93:94]
	v_fma_f64 v[99:100], v[6:7], v[99:100], -v[101:102]
	ds_load_b128 v[6:9], v1 offset:976
	ds_load_b128 v[91:94], v1 offset:992
	v_fma_f64 v[89:90], v[89:90], v[103:104], v[97:98]
	v_fma_f64 v[87:88], v[87:88], v[103:104], -v[105:106]
	v_add_f64_e32 v[2:3], v[2:3], v[95:96]
	v_add_f64_e32 v[18:19], v[18:19], v[125:126]
	s_wait_loadcnt_dscnt 0x401
	v_mul_f64_e32 v[95:96], v[6:7], v[113:114]
	v_mul_f64_e32 v[101:102], v[8:9], v[113:114]
	s_wait_loadcnt_dscnt 0x300
	v_mul_f64_e32 v[97:98], v[91:92], v[121:122]
	v_add_f64_e32 v[2:3], v[2:3], v[99:100]
	v_add_f64_e32 v[18:19], v[18:19], v[123:124]
	v_mul_f64_e32 v[99:100], v[93:94], v[121:122]
	v_fma_f64 v[95:96], v[8:9], v[111:112], v[95:96]
	v_fma_f64 v[101:102], v[6:7], v[111:112], -v[101:102]
	v_fma_f64 v[93:94], v[93:94], v[119:120], v[97:98]
	v_add_f64_e32 v[2:3], v[2:3], v[87:88]
	v_add_f64_e32 v[18:19], v[18:19], v[89:90]
	ds_load_b128 v[6:9], v1 offset:1008
	ds_load_b128 v[87:90], v1 offset:1024
	v_fma_f64 v[91:92], v[91:92], v[119:120], -v[99:100]
	s_wait_loadcnt_dscnt 0x201
	v_mul_f64_e32 v[103:104], v[6:7], v[109:110]
	v_mul_f64_e32 v[105:106], v[8:9], v[109:110]
	v_add_f64_e32 v[2:3], v[2:3], v[101:102]
	v_add_f64_e32 v[18:19], v[18:19], v[95:96]
	s_wait_loadcnt_dscnt 0x100
	v_mul_f64_e32 v[95:96], v[87:88], v[12:13]
	v_mul_f64_e32 v[12:13], v[89:90], v[12:13]
	v_fma_f64 v[97:98], v[8:9], v[107:108], v[103:104]
	v_fma_f64 v[99:100], v[6:7], v[107:108], -v[105:106]
	ds_load_b128 v[6:9], v1 offset:1040
	v_add_f64_e32 v[2:3], v[2:3], v[91:92]
	v_add_f64_e32 v[18:19], v[18:19], v[93:94]
	v_fma_f64 v[89:90], v[89:90], v[10:11], v[95:96]
	v_fma_f64 v[10:11], v[87:88], v[10:11], -v[12:13]
	s_wait_loadcnt_dscnt 0x0
	v_mul_f64_e32 v[91:92], v[6:7], v[16:17]
	v_mul_f64_e32 v[16:17], v[8:9], v[16:17]
	v_add_f64_e32 v[2:3], v[2:3], v[99:100]
	v_add_f64_e32 v[12:13], v[18:19], v[97:98]
	s_delay_alu instid0(VALU_DEP_4) | instskip(NEXT) | instid1(VALU_DEP_4)
	v_fma_f64 v[8:9], v[8:9], v[14:15], v[91:92]
	v_fma_f64 v[6:7], v[6:7], v[14:15], -v[16:17]
	s_delay_alu instid0(VALU_DEP_4) | instskip(NEXT) | instid1(VALU_DEP_4)
	v_add_f64_e32 v[2:3], v[2:3], v[10:11]
	v_add_f64_e32 v[10:11], v[12:13], v[89:90]
	s_delay_alu instid0(VALU_DEP_2) | instskip(NEXT) | instid1(VALU_DEP_2)
	v_add_f64_e32 v[2:3], v[2:3], v[6:7]
	v_add_f64_e32 v[8:9], v[10:11], v[8:9]
	s_delay_alu instid0(VALU_DEP_2) | instskip(NEXT) | instid1(VALU_DEP_2)
	v_add_f64_e64 v[6:7], v[115:116], -v[2:3]
	v_add_f64_e64 v[8:9], v[117:118], -v[8:9]
	scratch_store_b128 off, v[6:9], off offset:160
	v_cmpx_lt_u32_e32 8, v0
	s_cbranch_execz .LBB32_195
; %bb.194:
	scratch_load_b128 v[6:9], off, s36
	v_dual_mov_b32 v2, v1 :: v_dual_mov_b32 v3, v1
	v_mov_b32_e32 v4, v1
	scratch_store_b128 off, v[1:4], off offset:144
	s_wait_loadcnt 0x0
	ds_store_b128 v5, v[6:9]
.LBB32_195:
	s_wait_alu 0xfffe
	s_or_b32 exec_lo, exec_lo, s0
	s_wait_storecnt_dscnt 0x0
	s_barrier_signal -1
	s_barrier_wait -1
	global_inv scope:SCOPE_SE
	s_clause 0x8
	scratch_load_b128 v[6:9], off, off offset:160
	scratch_load_b128 v[10:13], off, off offset:176
	;; [unrolled: 1-line block ×9, first 2 shown]
	ds_load_b128 v[111:114], v1 offset:672
	ds_load_b128 v[115:118], v1 offset:688
	s_clause 0x1
	scratch_load_b128 v[119:122], off, off offset:144
	scratch_load_b128 v[123:126], off, off offset:304
	s_mov_b32 s0, exec_lo
	ds_load_b128 v[127:130], v1 offset:720
	s_wait_loadcnt_dscnt 0xa02
	v_mul_f64_e32 v[2:3], v[113:114], v[8:9]
	v_mul_f64_e32 v[8:9], v[111:112], v[8:9]
	s_wait_loadcnt_dscnt 0x901
	v_mul_f64_e32 v[18:19], v[115:116], v[12:13]
	v_mul_f64_e32 v[12:13], v[117:118], v[12:13]
	s_delay_alu instid0(VALU_DEP_4) | instskip(NEXT) | instid1(VALU_DEP_4)
	v_fma_f64 v[2:3], v[111:112], v[6:7], -v[2:3]
	v_fma_f64 v[131:132], v[113:114], v[6:7], v[8:9]
	ds_load_b128 v[6:9], v1 offset:704
	scratch_load_b128 v[111:114], off, off offset:320
	v_fma_f64 v[18:19], v[117:118], v[10:11], v[18:19]
	v_fma_f64 v[115:116], v[115:116], v[10:11], -v[12:13]
	scratch_load_b128 v[10:13], off, off offset:336
	s_wait_loadcnt_dscnt 0xa00
	v_mul_f64_e32 v[133:134], v[6:7], v[16:17]
	v_mul_f64_e32 v[16:17], v[8:9], v[16:17]
	v_add_f64_e32 v[2:3], 0, v[2:3]
	v_add_f64_e32 v[117:118], 0, v[131:132]
	s_wait_loadcnt 0x9
	v_mul_f64_e32 v[131:132], v[127:128], v[89:90]
	v_mul_f64_e32 v[89:90], v[129:130], v[89:90]
	v_fma_f64 v[133:134], v[8:9], v[14:15], v[133:134]
	v_fma_f64 v[135:136], v[6:7], v[14:15], -v[16:17]
	ds_load_b128 v[6:9], v1 offset:736
	scratch_load_b128 v[14:17], off, off offset:352
	v_add_f64_e32 v[2:3], v[2:3], v[115:116]
	v_add_f64_e32 v[18:19], v[117:118], v[18:19]
	ds_load_b128 v[115:118], v1 offset:752
	v_fma_f64 v[129:130], v[129:130], v[87:88], v[131:132]
	v_fma_f64 v[127:128], v[127:128], v[87:88], -v[89:90]
	scratch_load_b128 v[87:90], off, off offset:368
	s_wait_loadcnt_dscnt 0xa01
	v_mul_f64_e32 v[137:138], v[6:7], v[93:94]
	v_mul_f64_e32 v[93:94], v[8:9], v[93:94]
	s_wait_loadcnt_dscnt 0x900
	v_mul_f64_e32 v[131:132], v[115:116], v[97:98]
	v_mul_f64_e32 v[97:98], v[117:118], v[97:98]
	v_add_f64_e32 v[2:3], v[2:3], v[135:136]
	v_add_f64_e32 v[18:19], v[18:19], v[133:134]
	v_fma_f64 v[133:134], v[8:9], v[91:92], v[137:138]
	v_fma_f64 v[135:136], v[6:7], v[91:92], -v[93:94]
	ds_load_b128 v[6:9], v1 offset:768
	scratch_load_b128 v[91:94], off, off offset:384
	v_fma_f64 v[117:118], v[117:118], v[95:96], v[131:132]
	v_fma_f64 v[115:116], v[115:116], v[95:96], -v[97:98]
	scratch_load_b128 v[95:98], off, off offset:400
	v_add_f64_e32 v[2:3], v[2:3], v[127:128]
	v_add_f64_e32 v[18:19], v[18:19], v[129:130]
	ds_load_b128 v[127:130], v1 offset:784
	s_wait_loadcnt_dscnt 0xa01
	v_mul_f64_e32 v[137:138], v[6:7], v[101:102]
	v_mul_f64_e32 v[101:102], v[8:9], v[101:102]
	s_wait_loadcnt_dscnt 0x900
	v_mul_f64_e32 v[131:132], v[127:128], v[105:106]
	v_mul_f64_e32 v[105:106], v[129:130], v[105:106]
	v_add_f64_e32 v[2:3], v[2:3], v[135:136]
	v_add_f64_e32 v[18:19], v[18:19], v[133:134]
	v_fma_f64 v[133:134], v[8:9], v[99:100], v[137:138]
	v_fma_f64 v[135:136], v[6:7], v[99:100], -v[101:102]
	ds_load_b128 v[6:9], v1 offset:800
	scratch_load_b128 v[99:102], off, off offset:416
	v_fma_f64 v[129:130], v[129:130], v[103:104], v[131:132]
	v_fma_f64 v[127:128], v[127:128], v[103:104], -v[105:106]
	scratch_load_b128 v[103:106], off, off offset:432
	v_add_f64_e32 v[2:3], v[2:3], v[115:116]
	v_add_f64_e32 v[18:19], v[18:19], v[117:118]
	ds_load_b128 v[115:118], v1 offset:816
	s_wait_loadcnt_dscnt 0xa01
	v_mul_f64_e32 v[137:138], v[6:7], v[109:110]
	v_mul_f64_e32 v[109:110], v[8:9], v[109:110]
	s_wait_loadcnt_dscnt 0x800
	v_mul_f64_e32 v[131:132], v[115:116], v[125:126]
	v_add_f64_e32 v[2:3], v[2:3], v[135:136]
	v_add_f64_e32 v[18:19], v[18:19], v[133:134]
	v_mul_f64_e32 v[133:134], v[117:118], v[125:126]
	v_fma_f64 v[135:136], v[8:9], v[107:108], v[137:138]
	v_fma_f64 v[137:138], v[6:7], v[107:108], -v[109:110]
	ds_load_b128 v[6:9], v1 offset:832
	scratch_load_b128 v[107:110], off, off offset:448
	v_fma_f64 v[117:118], v[117:118], v[123:124], v[131:132]
	v_add_f64_e32 v[2:3], v[2:3], v[127:128]
	v_add_f64_e32 v[18:19], v[18:19], v[129:130]
	ds_load_b128 v[125:128], v1 offset:848
	v_fma_f64 v[123:124], v[115:116], v[123:124], -v[133:134]
	s_wait_loadcnt_dscnt 0x801
	v_mul_f64_e32 v[129:130], v[6:7], v[113:114]
	v_mul_f64_e32 v[139:140], v[8:9], v[113:114]
	scratch_load_b128 v[113:116], off, off offset:464
	v_add_f64_e32 v[2:3], v[2:3], v[137:138]
	v_add_f64_e32 v[18:19], v[18:19], v[135:136]
	s_wait_loadcnt_dscnt 0x800
	v_mul_f64_e32 v[137:138], v[125:126], v[12:13]
	v_mul_f64_e32 v[12:13], v[127:128], v[12:13]
	ds_load_b128 v[133:136], v1 offset:880
	v_fma_f64 v[141:142], v[8:9], v[111:112], v[129:130]
	v_fma_f64 v[111:112], v[6:7], v[111:112], -v[139:140]
	ds_load_b128 v[6:9], v1 offset:864
	scratch_load_b128 v[129:132], off, off offset:480
	v_add_f64_e32 v[2:3], v[2:3], v[123:124]
	v_add_f64_e32 v[18:19], v[18:19], v[117:118]
	v_fma_f64 v[123:124], v[127:128], v[10:11], v[137:138]
	s_wait_loadcnt_dscnt 0x800
	v_mul_f64_e32 v[117:118], v[6:7], v[16:17]
	v_mul_f64_e32 v[16:17], v[8:9], v[16:17]
	v_fma_f64 v[125:126], v[125:126], v[10:11], -v[12:13]
	scratch_load_b128 v[10:13], off, off offset:496
	v_add_f64_e32 v[2:3], v[2:3], v[111:112]
	v_add_f64_e32 v[18:19], v[18:19], v[141:142]
	s_wait_loadcnt 0x8
	v_mul_f64_e32 v[111:112], v[133:134], v[89:90]
	v_mul_f64_e32 v[89:90], v[135:136], v[89:90]
	v_fma_f64 v[117:118], v[8:9], v[14:15], v[117:118]
	v_fma_f64 v[127:128], v[6:7], v[14:15], -v[16:17]
	ds_load_b128 v[6:9], v1 offset:896
	scratch_load_b128 v[14:17], off, off offset:512
	v_add_f64_e32 v[2:3], v[2:3], v[125:126]
	v_add_f64_e32 v[18:19], v[18:19], v[123:124]
	ds_load_b128 v[123:126], v1 offset:912
	s_wait_loadcnt_dscnt 0x801
	v_mul_f64_e32 v[137:138], v[6:7], v[93:94]
	v_mul_f64_e32 v[93:94], v[8:9], v[93:94]
	v_fma_f64 v[111:112], v[135:136], v[87:88], v[111:112]
	v_fma_f64 v[133:134], v[133:134], v[87:88], -v[89:90]
	scratch_load_b128 v[87:90], off, off offset:528
	v_add_f64_e32 v[2:3], v[2:3], v[127:128]
	v_add_f64_e32 v[18:19], v[18:19], v[117:118]
	s_wait_loadcnt_dscnt 0x800
	v_mul_f64_e32 v[117:118], v[123:124], v[97:98]
	v_mul_f64_e32 v[97:98], v[125:126], v[97:98]
	v_fma_f64 v[127:128], v[8:9], v[91:92], v[137:138]
	v_fma_f64 v[135:136], v[6:7], v[91:92], -v[93:94]
	ds_load_b128 v[6:9], v1 offset:928
	ds_load_b128 v[91:94], v1 offset:944
	v_add_f64_e32 v[2:3], v[2:3], v[133:134]
	v_add_f64_e32 v[18:19], v[18:19], v[111:112]
	s_wait_loadcnt_dscnt 0x701
	v_mul_f64_e32 v[111:112], v[6:7], v[101:102]
	v_mul_f64_e32 v[101:102], v[8:9], v[101:102]
	v_fma_f64 v[117:118], v[125:126], v[95:96], v[117:118]
	v_fma_f64 v[95:96], v[123:124], v[95:96], -v[97:98]
	s_wait_loadcnt_dscnt 0x600
	v_mul_f64_e32 v[123:124], v[91:92], v[105:106]
	v_mul_f64_e32 v[105:106], v[93:94], v[105:106]
	v_add_f64_e32 v[2:3], v[2:3], v[135:136]
	v_add_f64_e32 v[18:19], v[18:19], v[127:128]
	v_fma_f64 v[111:112], v[8:9], v[99:100], v[111:112]
	v_fma_f64 v[99:100], v[6:7], v[99:100], -v[101:102]
	v_fma_f64 v[93:94], v[93:94], v[103:104], v[123:124]
	v_fma_f64 v[91:92], v[91:92], v[103:104], -v[105:106]
	v_add_f64_e32 v[2:3], v[2:3], v[95:96]
	v_add_f64_e32 v[18:19], v[18:19], v[117:118]
	ds_load_b128 v[6:9], v1 offset:960
	ds_load_b128 v[95:98], v1 offset:976
	s_wait_loadcnt_dscnt 0x501
	v_mul_f64_e32 v[101:102], v[6:7], v[109:110]
	v_mul_f64_e32 v[109:110], v[8:9], v[109:110]
	s_wait_loadcnt_dscnt 0x400
	v_mul_f64_e32 v[103:104], v[97:98], v[115:116]
	v_add_f64_e32 v[2:3], v[2:3], v[99:100]
	v_add_f64_e32 v[18:19], v[18:19], v[111:112]
	v_mul_f64_e32 v[99:100], v[95:96], v[115:116]
	v_fma_f64 v[101:102], v[8:9], v[107:108], v[101:102]
	v_fma_f64 v[105:106], v[6:7], v[107:108], -v[109:110]
	v_fma_f64 v[95:96], v[95:96], v[113:114], -v[103:104]
	v_add_f64_e32 v[2:3], v[2:3], v[91:92]
	v_add_f64_e32 v[18:19], v[18:19], v[93:94]
	ds_load_b128 v[6:9], v1 offset:992
	ds_load_b128 v[91:94], v1 offset:1008
	v_fma_f64 v[97:98], v[97:98], v[113:114], v[99:100]
	s_wait_loadcnt_dscnt 0x301
	v_mul_f64_e32 v[107:108], v[6:7], v[131:132]
	v_mul_f64_e32 v[109:110], v[8:9], v[131:132]
	s_wait_loadcnt_dscnt 0x200
	v_mul_f64_e32 v[99:100], v[91:92], v[12:13]
	v_mul_f64_e32 v[12:13], v[93:94], v[12:13]
	v_add_f64_e32 v[2:3], v[2:3], v[105:106]
	v_add_f64_e32 v[18:19], v[18:19], v[101:102]
	v_fma_f64 v[101:102], v[8:9], v[129:130], v[107:108]
	v_fma_f64 v[103:104], v[6:7], v[129:130], -v[109:110]
	v_fma_f64 v[93:94], v[93:94], v[10:11], v[99:100]
	v_fma_f64 v[10:11], v[91:92], v[10:11], -v[12:13]
	v_add_f64_e32 v[95:96], v[2:3], v[95:96]
	v_add_f64_e32 v[18:19], v[18:19], v[97:98]
	ds_load_b128 v[6:9], v1 offset:1024
	ds_load_b128 v[1:4], v1 offset:1040
	s_wait_loadcnt_dscnt 0x101
	v_mul_f64_e32 v[97:98], v[6:7], v[16:17]
	v_mul_f64_e32 v[16:17], v[8:9], v[16:17]
	s_wait_loadcnt_dscnt 0x0
	v_mul_f64_e32 v[91:92], v[1:2], v[89:90]
	v_mul_f64_e32 v[89:90], v[3:4], v[89:90]
	v_add_f64_e32 v[12:13], v[95:96], v[103:104]
	v_add_f64_e32 v[18:19], v[18:19], v[101:102]
	v_fma_f64 v[8:9], v[8:9], v[14:15], v[97:98]
	v_fma_f64 v[6:7], v[6:7], v[14:15], -v[16:17]
	v_fma_f64 v[3:4], v[3:4], v[87:88], v[91:92]
	v_fma_f64 v[1:2], v[1:2], v[87:88], -v[89:90]
	v_add_f64_e32 v[10:11], v[12:13], v[10:11]
	v_add_f64_e32 v[12:13], v[18:19], v[93:94]
	s_delay_alu instid0(VALU_DEP_2) | instskip(NEXT) | instid1(VALU_DEP_2)
	v_add_f64_e32 v[6:7], v[10:11], v[6:7]
	v_add_f64_e32 v[8:9], v[12:13], v[8:9]
	s_delay_alu instid0(VALU_DEP_2) | instskip(NEXT) | instid1(VALU_DEP_2)
	;; [unrolled: 3-line block ×3, first 2 shown]
	v_add_f64_e64 v[1:2], v[119:120], -v[1:2]
	v_add_f64_e64 v[3:4], v[121:122], -v[3:4]
	scratch_store_b128 off, v[1:4], off offset:144
	v_cmpx_lt_u32_e32 7, v0
	s_cbranch_execz .LBB32_197
; %bb.196:
	scratch_load_b128 v[1:4], off, s38
	v_mov_b32_e32 v6, 0
	s_delay_alu instid0(VALU_DEP_1)
	v_dual_mov_b32 v7, v6 :: v_dual_mov_b32 v8, v6
	v_mov_b32_e32 v9, v6
	scratch_store_b128 off, v[6:9], off offset:128
	s_wait_loadcnt 0x0
	ds_store_b128 v5, v[1:4]
.LBB32_197:
	s_wait_alu 0xfffe
	s_or_b32 exec_lo, exec_lo, s0
	s_wait_storecnt_dscnt 0x0
	s_barrier_signal -1
	s_barrier_wait -1
	global_inv scope:SCOPE_SE
	s_clause 0x7
	scratch_load_b128 v[6:9], off, off offset:144
	scratch_load_b128 v[10:13], off, off offset:160
	;; [unrolled: 1-line block ×8, first 2 shown]
	v_mov_b32_e32 v1, 0
	s_mov_b32 s0, exec_lo
	ds_load_b128 v[107:110], v1 offset:656
	s_clause 0x1
	scratch_load_b128 v[111:114], off, off offset:272
	scratch_load_b128 v[115:118], off, off offset:128
	ds_load_b128 v[119:122], v1 offset:672
	scratch_load_b128 v[123:126], off, off offset:288
	ds_load_b128 v[127:130], v1 offset:704
	s_wait_loadcnt_dscnt 0xa02
	v_mul_f64_e32 v[2:3], v[109:110], v[8:9]
	v_mul_f64_e32 v[8:9], v[107:108], v[8:9]
	s_delay_alu instid0(VALU_DEP_2) | instskip(NEXT) | instid1(VALU_DEP_2)
	v_fma_f64 v[2:3], v[107:108], v[6:7], -v[2:3]
	v_fma_f64 v[131:132], v[109:110], v[6:7], v[8:9]
	ds_load_b128 v[6:9], v1 offset:688
	s_wait_loadcnt_dscnt 0x902
	v_mul_f64_e32 v[18:19], v[119:120], v[12:13]
	v_mul_f64_e32 v[12:13], v[121:122], v[12:13]
	scratch_load_b128 v[107:110], off, off offset:304
	s_wait_loadcnt_dscnt 0x900
	v_mul_f64_e32 v[133:134], v[6:7], v[16:17]
	v_mul_f64_e32 v[16:17], v[8:9], v[16:17]
	v_add_f64_e32 v[2:3], 0, v[2:3]
	v_fma_f64 v[18:19], v[121:122], v[10:11], v[18:19]
	v_fma_f64 v[119:120], v[119:120], v[10:11], -v[12:13]
	v_add_f64_e32 v[121:122], 0, v[131:132]
	scratch_load_b128 v[10:13], off, off offset:320
	v_fma_f64 v[133:134], v[8:9], v[14:15], v[133:134]
	v_fma_f64 v[135:136], v[6:7], v[14:15], -v[16:17]
	ds_load_b128 v[6:9], v1 offset:720
	s_wait_loadcnt 0x9
	v_mul_f64_e32 v[131:132], v[127:128], v[89:90]
	v_mul_f64_e32 v[89:90], v[129:130], v[89:90]
	scratch_load_b128 v[14:17], off, off offset:336
	v_add_f64_e32 v[2:3], v[2:3], v[119:120]
	v_add_f64_e32 v[18:19], v[121:122], v[18:19]
	s_wait_loadcnt_dscnt 0x900
	v_mul_f64_e32 v[137:138], v[6:7], v[93:94]
	v_mul_f64_e32 v[93:94], v[8:9], v[93:94]
	ds_load_b128 v[119:122], v1 offset:736
	v_fma_f64 v[129:130], v[129:130], v[87:88], v[131:132]
	v_fma_f64 v[127:128], v[127:128], v[87:88], -v[89:90]
	scratch_load_b128 v[87:90], off, off offset:352
	v_add_f64_e32 v[2:3], v[2:3], v[135:136]
	v_add_f64_e32 v[18:19], v[18:19], v[133:134]
	v_fma_f64 v[133:134], v[8:9], v[91:92], v[137:138]
	v_fma_f64 v[135:136], v[6:7], v[91:92], -v[93:94]
	ds_load_b128 v[6:9], v1 offset:752
	s_wait_loadcnt_dscnt 0x901
	v_mul_f64_e32 v[131:132], v[119:120], v[97:98]
	v_mul_f64_e32 v[97:98], v[121:122], v[97:98]
	scratch_load_b128 v[91:94], off, off offset:368
	s_wait_loadcnt_dscnt 0x900
	v_mul_f64_e32 v[137:138], v[6:7], v[101:102]
	v_mul_f64_e32 v[101:102], v[8:9], v[101:102]
	v_add_f64_e32 v[2:3], v[2:3], v[127:128]
	v_add_f64_e32 v[18:19], v[18:19], v[129:130]
	ds_load_b128 v[127:130], v1 offset:768
	v_fma_f64 v[121:122], v[121:122], v[95:96], v[131:132]
	v_fma_f64 v[119:120], v[119:120], v[95:96], -v[97:98]
	scratch_load_b128 v[95:98], off, off offset:384
	v_add_f64_e32 v[2:3], v[2:3], v[135:136]
	v_add_f64_e32 v[18:19], v[18:19], v[133:134]
	v_fma_f64 v[133:134], v[8:9], v[99:100], v[137:138]
	v_fma_f64 v[135:136], v[6:7], v[99:100], -v[101:102]
	ds_load_b128 v[6:9], v1 offset:784
	s_wait_loadcnt_dscnt 0x901
	v_mul_f64_e32 v[131:132], v[127:128], v[105:106]
	v_mul_f64_e32 v[105:106], v[129:130], v[105:106]
	scratch_load_b128 v[99:102], off, off offset:400
	s_wait_loadcnt_dscnt 0x900
	v_mul_f64_e32 v[137:138], v[6:7], v[113:114]
	v_mul_f64_e32 v[113:114], v[8:9], v[113:114]
	v_add_f64_e32 v[2:3], v[2:3], v[119:120]
	v_add_f64_e32 v[18:19], v[18:19], v[121:122]
	ds_load_b128 v[119:122], v1 offset:800
	v_fma_f64 v[129:130], v[129:130], v[103:104], v[131:132]
	v_fma_f64 v[127:128], v[127:128], v[103:104], -v[105:106]
	scratch_load_b128 v[103:106], off, off offset:416
	v_add_f64_e32 v[2:3], v[2:3], v[135:136]
	v_add_f64_e32 v[18:19], v[18:19], v[133:134]
	v_fma_f64 v[135:136], v[8:9], v[111:112], v[137:138]
	v_fma_f64 v[137:138], v[6:7], v[111:112], -v[113:114]
	ds_load_b128 v[6:9], v1 offset:816
	s_wait_loadcnt_dscnt 0x801
	v_mul_f64_e32 v[131:132], v[119:120], v[125:126]
	v_mul_f64_e32 v[133:134], v[121:122], v[125:126]
	scratch_load_b128 v[111:114], off, off offset:432
	v_add_f64_e32 v[2:3], v[2:3], v[127:128]
	v_add_f64_e32 v[18:19], v[18:19], v[129:130]
	ds_load_b128 v[125:128], v1 offset:832
	v_fma_f64 v[131:132], v[121:122], v[123:124], v[131:132]
	v_fma_f64 v[123:124], v[119:120], v[123:124], -v[133:134]
	scratch_load_b128 v[119:122], off, off offset:448
	s_wait_loadcnt_dscnt 0x901
	v_mul_f64_e32 v[129:130], v[6:7], v[109:110]
	v_mul_f64_e32 v[109:110], v[8:9], v[109:110]
	v_add_f64_e32 v[2:3], v[2:3], v[137:138]
	v_add_f64_e32 v[18:19], v[18:19], v[135:136]
	s_delay_alu instid0(VALU_DEP_4) | instskip(NEXT) | instid1(VALU_DEP_4)
	v_fma_f64 v[135:136], v[8:9], v[107:108], v[129:130]
	v_fma_f64 v[137:138], v[6:7], v[107:108], -v[109:110]
	ds_load_b128 v[6:9], v1 offset:848
	s_wait_loadcnt_dscnt 0x801
	v_mul_f64_e32 v[133:134], v[125:126], v[12:13]
	v_mul_f64_e32 v[12:13], v[127:128], v[12:13]
	scratch_load_b128 v[107:110], off, off offset:464
	v_add_f64_e32 v[2:3], v[2:3], v[123:124]
	v_add_f64_e32 v[18:19], v[18:19], v[131:132]
	s_wait_loadcnt_dscnt 0x800
	v_mul_f64_e32 v[123:124], v[6:7], v[16:17]
	v_mul_f64_e32 v[16:17], v[8:9], v[16:17]
	ds_load_b128 v[129:132], v1 offset:864
	v_fma_f64 v[127:128], v[127:128], v[10:11], v[133:134]
	v_fma_f64 v[125:126], v[125:126], v[10:11], -v[12:13]
	scratch_load_b128 v[10:13], off, off offset:480
	v_add_f64_e32 v[2:3], v[2:3], v[137:138]
	v_add_f64_e32 v[18:19], v[18:19], v[135:136]
	v_fma_f64 v[135:136], v[8:9], v[14:15], v[123:124]
	v_fma_f64 v[137:138], v[6:7], v[14:15], -v[16:17]
	ds_load_b128 v[6:9], v1 offset:880
	s_wait_loadcnt_dscnt 0x801
	v_mul_f64_e32 v[133:134], v[129:130], v[89:90]
	v_mul_f64_e32 v[89:90], v[131:132], v[89:90]
	scratch_load_b128 v[14:17], off, off offset:496
	v_add_f64_e32 v[2:3], v[2:3], v[125:126]
	v_add_f64_e32 v[18:19], v[18:19], v[127:128]
	s_wait_loadcnt_dscnt 0x800
	v_mul_f64_e32 v[127:128], v[6:7], v[93:94]
	v_mul_f64_e32 v[93:94], v[8:9], v[93:94]
	ds_load_b128 v[123:126], v1 offset:896
	v_fma_f64 v[131:132], v[131:132], v[87:88], v[133:134]
	v_fma_f64 v[129:130], v[129:130], v[87:88], -v[89:90]
	scratch_load_b128 v[87:90], off, off offset:512
	v_add_f64_e32 v[2:3], v[2:3], v[137:138]
	v_add_f64_e32 v[18:19], v[18:19], v[135:136]
	v_fma_f64 v[135:136], v[8:9], v[91:92], v[127:128]
	v_fma_f64 v[137:138], v[6:7], v[91:92], -v[93:94]
	ds_load_b128 v[6:9], v1 offset:912
	s_wait_loadcnt_dscnt 0x801
	v_mul_f64_e32 v[133:134], v[123:124], v[97:98]
	v_mul_f64_e32 v[97:98], v[125:126], v[97:98]
	scratch_load_b128 v[91:94], off, off offset:528
	v_add_f64_e32 v[2:3], v[2:3], v[129:130]
	v_add_f64_e32 v[18:19], v[18:19], v[131:132]
	s_wait_loadcnt_dscnt 0x800
	v_mul_f64_e32 v[131:132], v[6:7], v[101:102]
	v_mul_f64_e32 v[101:102], v[8:9], v[101:102]
	ds_load_b128 v[127:130], v1 offset:928
	v_fma_f64 v[125:126], v[125:126], v[95:96], v[133:134]
	v_fma_f64 v[95:96], v[123:124], v[95:96], -v[97:98]
	s_wait_loadcnt_dscnt 0x700
	v_mul_f64_e32 v[123:124], v[127:128], v[105:106]
	v_mul_f64_e32 v[105:106], v[129:130], v[105:106]
	v_add_f64_e32 v[2:3], v[2:3], v[137:138]
	v_add_f64_e32 v[18:19], v[18:19], v[135:136]
	v_fma_f64 v[131:132], v[8:9], v[99:100], v[131:132]
	v_fma_f64 v[99:100], v[6:7], v[99:100], -v[101:102]
	v_fma_f64 v[123:124], v[129:130], v[103:104], v[123:124]
	v_fma_f64 v[103:104], v[127:128], v[103:104], -v[105:106]
	v_add_f64_e32 v[2:3], v[2:3], v[95:96]
	v_add_f64_e32 v[18:19], v[18:19], v[125:126]
	ds_load_b128 v[6:9], v1 offset:944
	ds_load_b128 v[95:98], v1 offset:960
	s_wait_loadcnt_dscnt 0x601
	v_mul_f64_e32 v[101:102], v[6:7], v[113:114]
	v_mul_f64_e32 v[113:114], v[8:9], v[113:114]
	s_wait_loadcnt_dscnt 0x500
	v_mul_f64_e32 v[105:106], v[95:96], v[121:122]
	v_mul_f64_e32 v[121:122], v[97:98], v[121:122]
	v_add_f64_e32 v[2:3], v[2:3], v[99:100]
	v_add_f64_e32 v[18:19], v[18:19], v[131:132]
	v_fma_f64 v[125:126], v[8:9], v[111:112], v[101:102]
	v_fma_f64 v[111:112], v[6:7], v[111:112], -v[113:114]
	ds_load_b128 v[6:9], v1 offset:976
	ds_load_b128 v[99:102], v1 offset:992
	v_fma_f64 v[97:98], v[97:98], v[119:120], v[105:106]
	v_fma_f64 v[95:96], v[95:96], v[119:120], -v[121:122]
	v_add_f64_e32 v[2:3], v[2:3], v[103:104]
	v_add_f64_e32 v[18:19], v[18:19], v[123:124]
	s_wait_loadcnt_dscnt 0x401
	v_mul_f64_e32 v[103:104], v[6:7], v[109:110]
	v_mul_f64_e32 v[109:110], v[8:9], v[109:110]
	s_wait_loadcnt_dscnt 0x300
	v_mul_f64_e32 v[105:106], v[99:100], v[12:13]
	v_add_f64_e32 v[2:3], v[2:3], v[111:112]
	v_add_f64_e32 v[18:19], v[18:19], v[125:126]
	v_mul_f64_e32 v[12:13], v[101:102], v[12:13]
	v_fma_f64 v[103:104], v[8:9], v[107:108], v[103:104]
	v_fma_f64 v[107:108], v[6:7], v[107:108], -v[109:110]
	v_fma_f64 v[101:102], v[101:102], v[10:11], v[105:106]
	v_add_f64_e32 v[2:3], v[2:3], v[95:96]
	v_add_f64_e32 v[18:19], v[18:19], v[97:98]
	ds_load_b128 v[6:9], v1 offset:1008
	ds_load_b128 v[95:98], v1 offset:1024
	v_fma_f64 v[10:11], v[99:100], v[10:11], -v[12:13]
	s_wait_loadcnt_dscnt 0x201
	v_mul_f64_e32 v[109:110], v[6:7], v[16:17]
	v_mul_f64_e32 v[16:17], v[8:9], v[16:17]
	v_add_f64_e32 v[2:3], v[2:3], v[107:108]
	v_add_f64_e32 v[12:13], v[18:19], v[103:104]
	s_wait_loadcnt_dscnt 0x100
	v_mul_f64_e32 v[18:19], v[95:96], v[89:90]
	v_mul_f64_e32 v[89:90], v[97:98], v[89:90]
	v_fma_f64 v[99:100], v[8:9], v[14:15], v[109:110]
	v_fma_f64 v[14:15], v[6:7], v[14:15], -v[16:17]
	ds_load_b128 v[6:9], v1 offset:1040
	v_add_f64_e32 v[2:3], v[2:3], v[10:11]
	v_add_f64_e32 v[10:11], v[12:13], v[101:102]
	v_fma_f64 v[18:19], v[97:98], v[87:88], v[18:19]
	v_fma_f64 v[87:88], v[95:96], v[87:88], -v[89:90]
	s_wait_loadcnt_dscnt 0x0
	v_mul_f64_e32 v[12:13], v[6:7], v[93:94]
	v_mul_f64_e32 v[16:17], v[8:9], v[93:94]
	v_add_f64_e32 v[2:3], v[2:3], v[14:15]
	v_add_f64_e32 v[10:11], v[10:11], v[99:100]
	s_delay_alu instid0(VALU_DEP_4) | instskip(NEXT) | instid1(VALU_DEP_4)
	v_fma_f64 v[8:9], v[8:9], v[91:92], v[12:13]
	v_fma_f64 v[6:7], v[6:7], v[91:92], -v[16:17]
	s_delay_alu instid0(VALU_DEP_4) | instskip(NEXT) | instid1(VALU_DEP_4)
	v_add_f64_e32 v[2:3], v[2:3], v[87:88]
	v_add_f64_e32 v[10:11], v[10:11], v[18:19]
	s_delay_alu instid0(VALU_DEP_2) | instskip(NEXT) | instid1(VALU_DEP_2)
	v_add_f64_e32 v[2:3], v[2:3], v[6:7]
	v_add_f64_e32 v[8:9], v[10:11], v[8:9]
	s_delay_alu instid0(VALU_DEP_2) | instskip(NEXT) | instid1(VALU_DEP_2)
	v_add_f64_e64 v[6:7], v[115:116], -v[2:3]
	v_add_f64_e64 v[8:9], v[117:118], -v[8:9]
	scratch_store_b128 off, v[6:9], off offset:128
	v_cmpx_lt_u32_e32 6, v0
	s_cbranch_execz .LBB32_199
; %bb.198:
	scratch_load_b128 v[6:9], off, s40
	v_dual_mov_b32 v2, v1 :: v_dual_mov_b32 v3, v1
	v_mov_b32_e32 v4, v1
	scratch_store_b128 off, v[1:4], off offset:112
	s_wait_loadcnt 0x0
	ds_store_b128 v5, v[6:9]
.LBB32_199:
	s_wait_alu 0xfffe
	s_or_b32 exec_lo, exec_lo, s0
	s_wait_storecnt_dscnt 0x0
	s_barrier_signal -1
	s_barrier_wait -1
	global_inv scope:SCOPE_SE
	s_clause 0x8
	scratch_load_b128 v[6:9], off, off offset:128
	scratch_load_b128 v[10:13], off, off offset:144
	;; [unrolled: 1-line block ×9, first 2 shown]
	ds_load_b128 v[111:114], v1 offset:640
	ds_load_b128 v[115:118], v1 offset:656
	s_clause 0x1
	scratch_load_b128 v[119:122], off, off offset:112
	scratch_load_b128 v[123:126], off, off offset:272
	s_mov_b32 s0, exec_lo
	ds_load_b128 v[127:130], v1 offset:688
	s_wait_loadcnt_dscnt 0xa02
	v_mul_f64_e32 v[2:3], v[113:114], v[8:9]
	v_mul_f64_e32 v[8:9], v[111:112], v[8:9]
	s_wait_loadcnt_dscnt 0x901
	v_mul_f64_e32 v[18:19], v[115:116], v[12:13]
	v_mul_f64_e32 v[12:13], v[117:118], v[12:13]
	s_delay_alu instid0(VALU_DEP_4) | instskip(NEXT) | instid1(VALU_DEP_4)
	v_fma_f64 v[2:3], v[111:112], v[6:7], -v[2:3]
	v_fma_f64 v[131:132], v[113:114], v[6:7], v[8:9]
	ds_load_b128 v[6:9], v1 offset:672
	scratch_load_b128 v[111:114], off, off offset:288
	v_fma_f64 v[18:19], v[117:118], v[10:11], v[18:19]
	v_fma_f64 v[115:116], v[115:116], v[10:11], -v[12:13]
	scratch_load_b128 v[10:13], off, off offset:304
	s_wait_loadcnt_dscnt 0xa00
	v_mul_f64_e32 v[133:134], v[6:7], v[16:17]
	v_mul_f64_e32 v[16:17], v[8:9], v[16:17]
	v_add_f64_e32 v[2:3], 0, v[2:3]
	v_add_f64_e32 v[117:118], 0, v[131:132]
	s_wait_loadcnt 0x9
	v_mul_f64_e32 v[131:132], v[127:128], v[89:90]
	v_mul_f64_e32 v[89:90], v[129:130], v[89:90]
	v_fma_f64 v[133:134], v[8:9], v[14:15], v[133:134]
	v_fma_f64 v[135:136], v[6:7], v[14:15], -v[16:17]
	ds_load_b128 v[6:9], v1 offset:704
	scratch_load_b128 v[14:17], off, off offset:320
	v_add_f64_e32 v[2:3], v[2:3], v[115:116]
	v_add_f64_e32 v[18:19], v[117:118], v[18:19]
	ds_load_b128 v[115:118], v1 offset:720
	v_fma_f64 v[129:130], v[129:130], v[87:88], v[131:132]
	v_fma_f64 v[127:128], v[127:128], v[87:88], -v[89:90]
	scratch_load_b128 v[87:90], off, off offset:336
	s_wait_loadcnt_dscnt 0xa01
	v_mul_f64_e32 v[137:138], v[6:7], v[93:94]
	v_mul_f64_e32 v[93:94], v[8:9], v[93:94]
	s_wait_loadcnt_dscnt 0x900
	v_mul_f64_e32 v[131:132], v[115:116], v[97:98]
	v_mul_f64_e32 v[97:98], v[117:118], v[97:98]
	v_add_f64_e32 v[2:3], v[2:3], v[135:136]
	v_add_f64_e32 v[18:19], v[18:19], v[133:134]
	v_fma_f64 v[133:134], v[8:9], v[91:92], v[137:138]
	v_fma_f64 v[135:136], v[6:7], v[91:92], -v[93:94]
	ds_load_b128 v[6:9], v1 offset:736
	scratch_load_b128 v[91:94], off, off offset:352
	v_fma_f64 v[117:118], v[117:118], v[95:96], v[131:132]
	v_fma_f64 v[115:116], v[115:116], v[95:96], -v[97:98]
	scratch_load_b128 v[95:98], off, off offset:368
	v_add_f64_e32 v[2:3], v[2:3], v[127:128]
	v_add_f64_e32 v[18:19], v[18:19], v[129:130]
	ds_load_b128 v[127:130], v1 offset:752
	s_wait_loadcnt_dscnt 0xa01
	v_mul_f64_e32 v[137:138], v[6:7], v[101:102]
	v_mul_f64_e32 v[101:102], v[8:9], v[101:102]
	s_wait_loadcnt_dscnt 0x900
	v_mul_f64_e32 v[131:132], v[127:128], v[105:106]
	v_mul_f64_e32 v[105:106], v[129:130], v[105:106]
	v_add_f64_e32 v[2:3], v[2:3], v[135:136]
	v_add_f64_e32 v[18:19], v[18:19], v[133:134]
	v_fma_f64 v[133:134], v[8:9], v[99:100], v[137:138]
	v_fma_f64 v[135:136], v[6:7], v[99:100], -v[101:102]
	ds_load_b128 v[6:9], v1 offset:768
	scratch_load_b128 v[99:102], off, off offset:384
	v_fma_f64 v[129:130], v[129:130], v[103:104], v[131:132]
	v_fma_f64 v[127:128], v[127:128], v[103:104], -v[105:106]
	scratch_load_b128 v[103:106], off, off offset:400
	v_add_f64_e32 v[2:3], v[2:3], v[115:116]
	v_add_f64_e32 v[18:19], v[18:19], v[117:118]
	ds_load_b128 v[115:118], v1 offset:784
	s_wait_loadcnt_dscnt 0xa01
	v_mul_f64_e32 v[137:138], v[6:7], v[109:110]
	v_mul_f64_e32 v[109:110], v[8:9], v[109:110]
	s_wait_loadcnt_dscnt 0x800
	v_mul_f64_e32 v[131:132], v[115:116], v[125:126]
	v_add_f64_e32 v[2:3], v[2:3], v[135:136]
	v_add_f64_e32 v[18:19], v[18:19], v[133:134]
	v_mul_f64_e32 v[133:134], v[117:118], v[125:126]
	v_fma_f64 v[135:136], v[8:9], v[107:108], v[137:138]
	v_fma_f64 v[137:138], v[6:7], v[107:108], -v[109:110]
	ds_load_b128 v[6:9], v1 offset:800
	scratch_load_b128 v[107:110], off, off offset:416
	v_fma_f64 v[117:118], v[117:118], v[123:124], v[131:132]
	v_add_f64_e32 v[2:3], v[2:3], v[127:128]
	v_add_f64_e32 v[18:19], v[18:19], v[129:130]
	ds_load_b128 v[125:128], v1 offset:816
	v_fma_f64 v[123:124], v[115:116], v[123:124], -v[133:134]
	s_wait_loadcnt_dscnt 0x801
	v_mul_f64_e32 v[129:130], v[6:7], v[113:114]
	v_mul_f64_e32 v[139:140], v[8:9], v[113:114]
	scratch_load_b128 v[113:116], off, off offset:432
	v_add_f64_e32 v[2:3], v[2:3], v[137:138]
	v_add_f64_e32 v[18:19], v[18:19], v[135:136]
	s_wait_loadcnt_dscnt 0x800
	v_mul_f64_e32 v[137:138], v[125:126], v[12:13]
	v_mul_f64_e32 v[12:13], v[127:128], v[12:13]
	ds_load_b128 v[133:136], v1 offset:848
	v_fma_f64 v[141:142], v[8:9], v[111:112], v[129:130]
	v_fma_f64 v[111:112], v[6:7], v[111:112], -v[139:140]
	ds_load_b128 v[6:9], v1 offset:832
	scratch_load_b128 v[129:132], off, off offset:448
	v_add_f64_e32 v[2:3], v[2:3], v[123:124]
	v_add_f64_e32 v[18:19], v[18:19], v[117:118]
	v_fma_f64 v[123:124], v[127:128], v[10:11], v[137:138]
	s_wait_loadcnt_dscnt 0x800
	v_mul_f64_e32 v[117:118], v[6:7], v[16:17]
	v_mul_f64_e32 v[16:17], v[8:9], v[16:17]
	v_fma_f64 v[125:126], v[125:126], v[10:11], -v[12:13]
	scratch_load_b128 v[10:13], off, off offset:464
	v_add_f64_e32 v[2:3], v[2:3], v[111:112]
	v_add_f64_e32 v[18:19], v[18:19], v[141:142]
	s_wait_loadcnt 0x8
	v_mul_f64_e32 v[111:112], v[133:134], v[89:90]
	v_mul_f64_e32 v[89:90], v[135:136], v[89:90]
	v_fma_f64 v[117:118], v[8:9], v[14:15], v[117:118]
	v_fma_f64 v[127:128], v[6:7], v[14:15], -v[16:17]
	ds_load_b128 v[6:9], v1 offset:864
	scratch_load_b128 v[14:17], off, off offset:480
	v_add_f64_e32 v[2:3], v[2:3], v[125:126]
	v_add_f64_e32 v[18:19], v[18:19], v[123:124]
	ds_load_b128 v[123:126], v1 offset:880
	s_wait_loadcnt_dscnt 0x801
	v_mul_f64_e32 v[137:138], v[6:7], v[93:94]
	v_mul_f64_e32 v[93:94], v[8:9], v[93:94]
	v_fma_f64 v[111:112], v[135:136], v[87:88], v[111:112]
	v_fma_f64 v[133:134], v[133:134], v[87:88], -v[89:90]
	scratch_load_b128 v[87:90], off, off offset:496
	v_add_f64_e32 v[2:3], v[2:3], v[127:128]
	v_add_f64_e32 v[18:19], v[18:19], v[117:118]
	s_wait_loadcnt_dscnt 0x800
	v_mul_f64_e32 v[117:118], v[123:124], v[97:98]
	v_mul_f64_e32 v[97:98], v[125:126], v[97:98]
	v_fma_f64 v[127:128], v[8:9], v[91:92], v[137:138]
	v_fma_f64 v[137:138], v[6:7], v[91:92], -v[93:94]
	ds_load_b128 v[6:9], v1 offset:896
	scratch_load_b128 v[91:94], off, off offset:512
	v_add_f64_e32 v[2:3], v[2:3], v[133:134]
	v_add_f64_e32 v[18:19], v[18:19], v[111:112]
	ds_load_b128 v[133:136], v1 offset:912
	s_wait_loadcnt_dscnt 0x801
	v_mul_f64_e32 v[111:112], v[6:7], v[101:102]
	v_mul_f64_e32 v[101:102], v[8:9], v[101:102]
	v_fma_f64 v[117:118], v[125:126], v[95:96], v[117:118]
	v_fma_f64 v[123:124], v[123:124], v[95:96], -v[97:98]
	scratch_load_b128 v[95:98], off, off offset:528
	s_wait_loadcnt_dscnt 0x800
	v_mul_f64_e32 v[125:126], v[133:134], v[105:106]
	v_mul_f64_e32 v[105:106], v[135:136], v[105:106]
	v_add_f64_e32 v[2:3], v[2:3], v[137:138]
	v_add_f64_e32 v[18:19], v[18:19], v[127:128]
	v_fma_f64 v[111:112], v[8:9], v[99:100], v[111:112]
	v_fma_f64 v[127:128], v[6:7], v[99:100], -v[101:102]
	ds_load_b128 v[6:9], v1 offset:928
	ds_load_b128 v[99:102], v1 offset:944
	v_add_f64_e32 v[2:3], v[2:3], v[123:124]
	v_add_f64_e32 v[18:19], v[18:19], v[117:118]
	s_wait_loadcnt_dscnt 0x701
	v_mul_f64_e32 v[117:118], v[6:7], v[109:110]
	v_mul_f64_e32 v[109:110], v[8:9], v[109:110]
	v_fma_f64 v[123:124], v[135:136], v[103:104], v[125:126]
	v_fma_f64 v[103:104], v[133:134], v[103:104], -v[105:106]
	v_add_f64_e32 v[2:3], v[2:3], v[127:128]
	v_add_f64_e32 v[18:19], v[18:19], v[111:112]
	s_wait_loadcnt_dscnt 0x600
	v_mul_f64_e32 v[111:112], v[99:100], v[115:116]
	v_mul_f64_e32 v[115:116], v[101:102], v[115:116]
	v_fma_f64 v[117:118], v[8:9], v[107:108], v[117:118]
	v_fma_f64 v[107:108], v[6:7], v[107:108], -v[109:110]
	v_add_f64_e32 v[2:3], v[2:3], v[103:104]
	v_add_f64_e32 v[18:19], v[18:19], v[123:124]
	ds_load_b128 v[6:9], v1 offset:960
	ds_load_b128 v[103:106], v1 offset:976
	v_fma_f64 v[101:102], v[101:102], v[113:114], v[111:112]
	v_fma_f64 v[99:100], v[99:100], v[113:114], -v[115:116]
	s_wait_loadcnt_dscnt 0x501
	v_mul_f64_e32 v[109:110], v[6:7], v[131:132]
	v_mul_f64_e32 v[123:124], v[8:9], v[131:132]
	v_add_f64_e32 v[2:3], v[2:3], v[107:108]
	v_add_f64_e32 v[18:19], v[18:19], v[117:118]
	s_wait_loadcnt_dscnt 0x400
	v_mul_f64_e32 v[107:108], v[103:104], v[12:13]
	v_mul_f64_e32 v[12:13], v[105:106], v[12:13]
	v_fma_f64 v[109:110], v[8:9], v[129:130], v[109:110]
	v_fma_f64 v[111:112], v[6:7], v[129:130], -v[123:124]
	v_add_f64_e32 v[2:3], v[2:3], v[99:100]
	v_add_f64_e32 v[18:19], v[18:19], v[101:102]
	ds_load_b128 v[6:9], v1 offset:992
	ds_load_b128 v[99:102], v1 offset:1008
	v_fma_f64 v[105:106], v[105:106], v[10:11], v[107:108]
	v_fma_f64 v[10:11], v[103:104], v[10:11], -v[12:13]
	s_wait_loadcnt_dscnt 0x301
	v_mul_f64_e32 v[113:114], v[6:7], v[16:17]
	v_mul_f64_e32 v[16:17], v[8:9], v[16:17]
	;; [unrolled: 16-line block ×3, first 2 shown]
	s_wait_loadcnt_dscnt 0x0
	v_mul_f64_e32 v[89:90], v[3:4], v[97:98]
	v_add_f64_e32 v[10:11], v[10:11], v[14:15]
	v_add_f64_e32 v[12:13], v[12:13], v[103:104]
	v_mul_f64_e32 v[14:15], v[1:2], v[97:98]
	v_fma_f64 v[8:9], v[8:9], v[91:92], v[16:17]
	v_fma_f64 v[6:7], v[6:7], v[91:92], -v[93:94]
	v_fma_f64 v[1:2], v[1:2], v[95:96], -v[89:90]
	v_add_f64_e32 v[10:11], v[10:11], v[87:88]
	v_add_f64_e32 v[12:13], v[12:13], v[18:19]
	v_fma_f64 v[3:4], v[3:4], v[95:96], v[14:15]
	s_delay_alu instid0(VALU_DEP_3) | instskip(NEXT) | instid1(VALU_DEP_3)
	v_add_f64_e32 v[6:7], v[10:11], v[6:7]
	v_add_f64_e32 v[8:9], v[12:13], v[8:9]
	s_delay_alu instid0(VALU_DEP_2) | instskip(NEXT) | instid1(VALU_DEP_2)
	v_add_f64_e32 v[1:2], v[6:7], v[1:2]
	v_add_f64_e32 v[3:4], v[8:9], v[3:4]
	s_delay_alu instid0(VALU_DEP_2) | instskip(NEXT) | instid1(VALU_DEP_2)
	v_add_f64_e64 v[1:2], v[119:120], -v[1:2]
	v_add_f64_e64 v[3:4], v[121:122], -v[3:4]
	scratch_store_b128 off, v[1:4], off offset:112
	v_cmpx_lt_u32_e32 5, v0
	s_cbranch_execz .LBB32_201
; %bb.200:
	scratch_load_b128 v[1:4], off, s41
	v_mov_b32_e32 v6, 0
	s_delay_alu instid0(VALU_DEP_1)
	v_dual_mov_b32 v7, v6 :: v_dual_mov_b32 v8, v6
	v_mov_b32_e32 v9, v6
	scratch_store_b128 off, v[6:9], off offset:96
	s_wait_loadcnt 0x0
	ds_store_b128 v5, v[1:4]
.LBB32_201:
	s_wait_alu 0xfffe
	s_or_b32 exec_lo, exec_lo, s0
	s_wait_storecnt_dscnt 0x0
	s_barrier_signal -1
	s_barrier_wait -1
	global_inv scope:SCOPE_SE
	s_clause 0x7
	scratch_load_b128 v[6:9], off, off offset:112
	scratch_load_b128 v[10:13], off, off offset:128
	scratch_load_b128 v[14:17], off, off offset:144
	scratch_load_b128 v[87:90], off, off offset:160
	scratch_load_b128 v[91:94], off, off offset:176
	scratch_load_b128 v[95:98], off, off offset:192
	scratch_load_b128 v[99:102], off, off offset:208
	scratch_load_b128 v[103:106], off, off offset:224
	v_mov_b32_e32 v1, 0
	s_mov_b32 s0, exec_lo
	ds_load_b128 v[107:110], v1 offset:624
	s_clause 0x1
	scratch_load_b128 v[111:114], off, off offset:240
	scratch_load_b128 v[115:118], off, off offset:96
	ds_load_b128 v[119:122], v1 offset:640
	scratch_load_b128 v[123:126], off, off offset:256
	ds_load_b128 v[127:130], v1 offset:672
	s_wait_loadcnt_dscnt 0xa02
	v_mul_f64_e32 v[2:3], v[109:110], v[8:9]
	v_mul_f64_e32 v[8:9], v[107:108], v[8:9]
	s_delay_alu instid0(VALU_DEP_2) | instskip(NEXT) | instid1(VALU_DEP_2)
	v_fma_f64 v[2:3], v[107:108], v[6:7], -v[2:3]
	v_fma_f64 v[131:132], v[109:110], v[6:7], v[8:9]
	ds_load_b128 v[6:9], v1 offset:656
	s_wait_loadcnt_dscnt 0x902
	v_mul_f64_e32 v[18:19], v[119:120], v[12:13]
	v_mul_f64_e32 v[12:13], v[121:122], v[12:13]
	scratch_load_b128 v[107:110], off, off offset:272
	s_wait_loadcnt_dscnt 0x900
	v_mul_f64_e32 v[133:134], v[6:7], v[16:17]
	v_mul_f64_e32 v[16:17], v[8:9], v[16:17]
	v_add_f64_e32 v[2:3], 0, v[2:3]
	v_fma_f64 v[18:19], v[121:122], v[10:11], v[18:19]
	v_fma_f64 v[119:120], v[119:120], v[10:11], -v[12:13]
	v_add_f64_e32 v[121:122], 0, v[131:132]
	scratch_load_b128 v[10:13], off, off offset:288
	v_fma_f64 v[133:134], v[8:9], v[14:15], v[133:134]
	v_fma_f64 v[135:136], v[6:7], v[14:15], -v[16:17]
	ds_load_b128 v[6:9], v1 offset:688
	s_wait_loadcnt 0x9
	v_mul_f64_e32 v[131:132], v[127:128], v[89:90]
	v_mul_f64_e32 v[89:90], v[129:130], v[89:90]
	scratch_load_b128 v[14:17], off, off offset:304
	v_add_f64_e32 v[2:3], v[2:3], v[119:120]
	v_add_f64_e32 v[18:19], v[121:122], v[18:19]
	s_wait_loadcnt_dscnt 0x900
	v_mul_f64_e32 v[137:138], v[6:7], v[93:94]
	v_mul_f64_e32 v[93:94], v[8:9], v[93:94]
	ds_load_b128 v[119:122], v1 offset:704
	v_fma_f64 v[129:130], v[129:130], v[87:88], v[131:132]
	v_fma_f64 v[127:128], v[127:128], v[87:88], -v[89:90]
	scratch_load_b128 v[87:90], off, off offset:320
	v_add_f64_e32 v[2:3], v[2:3], v[135:136]
	v_add_f64_e32 v[18:19], v[18:19], v[133:134]
	v_fma_f64 v[133:134], v[8:9], v[91:92], v[137:138]
	v_fma_f64 v[135:136], v[6:7], v[91:92], -v[93:94]
	ds_load_b128 v[6:9], v1 offset:720
	s_wait_loadcnt_dscnt 0x901
	v_mul_f64_e32 v[131:132], v[119:120], v[97:98]
	v_mul_f64_e32 v[97:98], v[121:122], v[97:98]
	scratch_load_b128 v[91:94], off, off offset:336
	s_wait_loadcnt_dscnt 0x900
	v_mul_f64_e32 v[137:138], v[6:7], v[101:102]
	v_mul_f64_e32 v[101:102], v[8:9], v[101:102]
	v_add_f64_e32 v[2:3], v[2:3], v[127:128]
	v_add_f64_e32 v[18:19], v[18:19], v[129:130]
	ds_load_b128 v[127:130], v1 offset:736
	v_fma_f64 v[121:122], v[121:122], v[95:96], v[131:132]
	v_fma_f64 v[119:120], v[119:120], v[95:96], -v[97:98]
	scratch_load_b128 v[95:98], off, off offset:352
	v_add_f64_e32 v[2:3], v[2:3], v[135:136]
	v_add_f64_e32 v[18:19], v[18:19], v[133:134]
	v_fma_f64 v[133:134], v[8:9], v[99:100], v[137:138]
	v_fma_f64 v[135:136], v[6:7], v[99:100], -v[101:102]
	ds_load_b128 v[6:9], v1 offset:752
	s_wait_loadcnt_dscnt 0x901
	v_mul_f64_e32 v[131:132], v[127:128], v[105:106]
	v_mul_f64_e32 v[105:106], v[129:130], v[105:106]
	scratch_load_b128 v[99:102], off, off offset:368
	s_wait_loadcnt_dscnt 0x900
	v_mul_f64_e32 v[137:138], v[6:7], v[113:114]
	v_mul_f64_e32 v[113:114], v[8:9], v[113:114]
	v_add_f64_e32 v[2:3], v[2:3], v[119:120]
	v_add_f64_e32 v[18:19], v[18:19], v[121:122]
	ds_load_b128 v[119:122], v1 offset:768
	v_fma_f64 v[129:130], v[129:130], v[103:104], v[131:132]
	v_fma_f64 v[127:128], v[127:128], v[103:104], -v[105:106]
	scratch_load_b128 v[103:106], off, off offset:384
	v_add_f64_e32 v[2:3], v[2:3], v[135:136]
	v_add_f64_e32 v[18:19], v[18:19], v[133:134]
	v_fma_f64 v[135:136], v[8:9], v[111:112], v[137:138]
	v_fma_f64 v[137:138], v[6:7], v[111:112], -v[113:114]
	ds_load_b128 v[6:9], v1 offset:784
	s_wait_loadcnt_dscnt 0x801
	v_mul_f64_e32 v[131:132], v[119:120], v[125:126]
	v_mul_f64_e32 v[133:134], v[121:122], v[125:126]
	scratch_load_b128 v[111:114], off, off offset:400
	v_add_f64_e32 v[2:3], v[2:3], v[127:128]
	v_add_f64_e32 v[18:19], v[18:19], v[129:130]
	ds_load_b128 v[125:128], v1 offset:800
	v_fma_f64 v[131:132], v[121:122], v[123:124], v[131:132]
	v_fma_f64 v[123:124], v[119:120], v[123:124], -v[133:134]
	scratch_load_b128 v[119:122], off, off offset:416
	s_wait_loadcnt_dscnt 0x901
	v_mul_f64_e32 v[129:130], v[6:7], v[109:110]
	v_mul_f64_e32 v[109:110], v[8:9], v[109:110]
	v_add_f64_e32 v[2:3], v[2:3], v[137:138]
	v_add_f64_e32 v[18:19], v[18:19], v[135:136]
	s_delay_alu instid0(VALU_DEP_4) | instskip(NEXT) | instid1(VALU_DEP_4)
	v_fma_f64 v[135:136], v[8:9], v[107:108], v[129:130]
	v_fma_f64 v[137:138], v[6:7], v[107:108], -v[109:110]
	ds_load_b128 v[6:9], v1 offset:816
	s_wait_loadcnt_dscnt 0x801
	v_mul_f64_e32 v[133:134], v[125:126], v[12:13]
	v_mul_f64_e32 v[12:13], v[127:128], v[12:13]
	scratch_load_b128 v[107:110], off, off offset:432
	v_add_f64_e32 v[2:3], v[2:3], v[123:124]
	v_add_f64_e32 v[18:19], v[18:19], v[131:132]
	s_wait_loadcnt_dscnt 0x800
	v_mul_f64_e32 v[123:124], v[6:7], v[16:17]
	v_mul_f64_e32 v[16:17], v[8:9], v[16:17]
	ds_load_b128 v[129:132], v1 offset:832
	v_fma_f64 v[127:128], v[127:128], v[10:11], v[133:134]
	v_fma_f64 v[125:126], v[125:126], v[10:11], -v[12:13]
	scratch_load_b128 v[10:13], off, off offset:448
	v_add_f64_e32 v[2:3], v[2:3], v[137:138]
	v_add_f64_e32 v[18:19], v[18:19], v[135:136]
	v_fma_f64 v[135:136], v[8:9], v[14:15], v[123:124]
	v_fma_f64 v[137:138], v[6:7], v[14:15], -v[16:17]
	ds_load_b128 v[6:9], v1 offset:848
	s_wait_loadcnt_dscnt 0x801
	v_mul_f64_e32 v[133:134], v[129:130], v[89:90]
	v_mul_f64_e32 v[89:90], v[131:132], v[89:90]
	scratch_load_b128 v[14:17], off, off offset:464
	v_add_f64_e32 v[2:3], v[2:3], v[125:126]
	v_add_f64_e32 v[18:19], v[18:19], v[127:128]
	s_wait_loadcnt_dscnt 0x800
	v_mul_f64_e32 v[127:128], v[6:7], v[93:94]
	v_mul_f64_e32 v[93:94], v[8:9], v[93:94]
	ds_load_b128 v[123:126], v1 offset:864
	v_fma_f64 v[131:132], v[131:132], v[87:88], v[133:134]
	v_fma_f64 v[129:130], v[129:130], v[87:88], -v[89:90]
	scratch_load_b128 v[87:90], off, off offset:480
	v_add_f64_e32 v[2:3], v[2:3], v[137:138]
	v_add_f64_e32 v[18:19], v[18:19], v[135:136]
	;; [unrolled: 18-line block ×3, first 2 shown]
	v_fma_f64 v[131:132], v[8:9], v[99:100], v[131:132]
	v_fma_f64 v[135:136], v[6:7], v[99:100], -v[101:102]
	ds_load_b128 v[6:9], v1 offset:912
	s_wait_loadcnt_dscnt 0x801
	v_mul_f64_e32 v[133:134], v[127:128], v[105:106]
	v_mul_f64_e32 v[105:106], v[129:130], v[105:106]
	scratch_load_b128 v[99:102], off, off offset:528
	s_wait_loadcnt_dscnt 0x800
	v_mul_f64_e32 v[137:138], v[6:7], v[113:114]
	v_mul_f64_e32 v[113:114], v[8:9], v[113:114]
	v_add_f64_e32 v[2:3], v[2:3], v[123:124]
	v_add_f64_e32 v[18:19], v[18:19], v[125:126]
	ds_load_b128 v[123:126], v1 offset:928
	v_fma_f64 v[129:130], v[129:130], v[103:104], v[133:134]
	v_fma_f64 v[103:104], v[127:128], v[103:104], -v[105:106]
	s_wait_loadcnt_dscnt 0x700
	v_mul_f64_e32 v[127:128], v[123:124], v[121:122]
	v_mul_f64_e32 v[121:122], v[125:126], v[121:122]
	v_add_f64_e32 v[2:3], v[2:3], v[135:136]
	v_add_f64_e32 v[18:19], v[18:19], v[131:132]
	v_fma_f64 v[131:132], v[8:9], v[111:112], v[137:138]
	v_fma_f64 v[111:112], v[6:7], v[111:112], -v[113:114]
	v_fma_f64 v[125:126], v[125:126], v[119:120], v[127:128]
	v_fma_f64 v[119:120], v[123:124], v[119:120], -v[121:122]
	v_add_f64_e32 v[2:3], v[2:3], v[103:104]
	v_add_f64_e32 v[18:19], v[18:19], v[129:130]
	ds_load_b128 v[6:9], v1 offset:944
	ds_load_b128 v[103:106], v1 offset:960
	s_wait_loadcnt_dscnt 0x601
	v_mul_f64_e32 v[113:114], v[6:7], v[109:110]
	v_mul_f64_e32 v[109:110], v[8:9], v[109:110]
	v_add_f64_e32 v[2:3], v[2:3], v[111:112]
	v_add_f64_e32 v[18:19], v[18:19], v[131:132]
	s_wait_loadcnt_dscnt 0x500
	v_mul_f64_e32 v[111:112], v[103:104], v[12:13]
	v_mul_f64_e32 v[12:13], v[105:106], v[12:13]
	v_fma_f64 v[113:114], v[8:9], v[107:108], v[113:114]
	v_fma_f64 v[121:122], v[6:7], v[107:108], -v[109:110]
	ds_load_b128 v[6:9], v1 offset:976
	ds_load_b128 v[107:110], v1 offset:992
	v_add_f64_e32 v[2:3], v[2:3], v[119:120]
	v_add_f64_e32 v[18:19], v[18:19], v[125:126]
	v_fma_f64 v[105:106], v[105:106], v[10:11], v[111:112]
	v_fma_f64 v[10:11], v[103:104], v[10:11], -v[12:13]
	s_wait_loadcnt_dscnt 0x401
	v_mul_f64_e32 v[119:120], v[6:7], v[16:17]
	v_mul_f64_e32 v[16:17], v[8:9], v[16:17]
	v_add_f64_e32 v[2:3], v[2:3], v[121:122]
	v_add_f64_e32 v[12:13], v[18:19], v[113:114]
	s_wait_loadcnt_dscnt 0x300
	v_mul_f64_e32 v[18:19], v[107:108], v[89:90]
	v_mul_f64_e32 v[89:90], v[109:110], v[89:90]
	v_fma_f64 v[103:104], v[8:9], v[14:15], v[119:120]
	v_fma_f64 v[14:15], v[6:7], v[14:15], -v[16:17]
	v_add_f64_e32 v[2:3], v[2:3], v[10:11]
	v_add_f64_e32 v[16:17], v[12:13], v[105:106]
	ds_load_b128 v[6:9], v1 offset:1008
	ds_load_b128 v[10:13], v1 offset:1024
	v_fma_f64 v[18:19], v[109:110], v[87:88], v[18:19]
	v_fma_f64 v[87:88], v[107:108], v[87:88], -v[89:90]
	s_wait_loadcnt_dscnt 0x201
	v_mul_f64_e32 v[105:106], v[6:7], v[93:94]
	v_mul_f64_e32 v[93:94], v[8:9], v[93:94]
	s_wait_loadcnt_dscnt 0x100
	v_mul_f64_e32 v[89:90], v[12:13], v[97:98]
	v_add_f64_e32 v[2:3], v[2:3], v[14:15]
	v_add_f64_e32 v[14:15], v[16:17], v[103:104]
	v_mul_f64_e32 v[16:17], v[10:11], v[97:98]
	v_fma_f64 v[97:98], v[8:9], v[91:92], v[105:106]
	v_fma_f64 v[91:92], v[6:7], v[91:92], -v[93:94]
	ds_load_b128 v[6:9], v1 offset:1040
	v_fma_f64 v[10:11], v[10:11], v[95:96], -v[89:90]
	v_add_f64_e32 v[2:3], v[2:3], v[87:88]
	v_add_f64_e32 v[14:15], v[14:15], v[18:19]
	v_fma_f64 v[12:13], v[12:13], v[95:96], v[16:17]
	s_wait_loadcnt_dscnt 0x0
	v_mul_f64_e32 v[18:19], v[6:7], v[101:102]
	v_mul_f64_e32 v[87:88], v[8:9], v[101:102]
	v_add_f64_e32 v[2:3], v[2:3], v[91:92]
	v_add_f64_e32 v[14:15], v[14:15], v[97:98]
	s_delay_alu instid0(VALU_DEP_4) | instskip(NEXT) | instid1(VALU_DEP_4)
	v_fma_f64 v[8:9], v[8:9], v[99:100], v[18:19]
	v_fma_f64 v[6:7], v[6:7], v[99:100], -v[87:88]
	s_delay_alu instid0(VALU_DEP_4) | instskip(NEXT) | instid1(VALU_DEP_4)
	v_add_f64_e32 v[2:3], v[2:3], v[10:11]
	v_add_f64_e32 v[10:11], v[14:15], v[12:13]
	s_delay_alu instid0(VALU_DEP_2) | instskip(NEXT) | instid1(VALU_DEP_2)
	v_add_f64_e32 v[2:3], v[2:3], v[6:7]
	v_add_f64_e32 v[8:9], v[10:11], v[8:9]
	s_delay_alu instid0(VALU_DEP_2) | instskip(NEXT) | instid1(VALU_DEP_2)
	v_add_f64_e64 v[6:7], v[115:116], -v[2:3]
	v_add_f64_e64 v[8:9], v[117:118], -v[8:9]
	scratch_store_b128 off, v[6:9], off offset:96
	v_cmpx_lt_u32_e32 4, v0
	s_cbranch_execz .LBB32_203
; %bb.202:
	scratch_load_b128 v[6:9], off, s4
	v_dual_mov_b32 v2, v1 :: v_dual_mov_b32 v3, v1
	v_mov_b32_e32 v4, v1
	scratch_store_b128 off, v[1:4], off offset:80
	s_wait_loadcnt 0x0
	ds_store_b128 v5, v[6:9]
.LBB32_203:
	s_wait_alu 0xfffe
	s_or_b32 exec_lo, exec_lo, s0
	s_wait_storecnt_dscnt 0x0
	s_barrier_signal -1
	s_barrier_wait -1
	global_inv scope:SCOPE_SE
	s_clause 0x8
	scratch_load_b128 v[6:9], off, off offset:96
	scratch_load_b128 v[10:13], off, off offset:112
	;; [unrolled: 1-line block ×9, first 2 shown]
	ds_load_b128 v[111:114], v1 offset:608
	ds_load_b128 v[115:118], v1 offset:624
	s_clause 0x1
	scratch_load_b128 v[119:122], off, off offset:80
	scratch_load_b128 v[123:126], off, off offset:240
	s_mov_b32 s0, exec_lo
	ds_load_b128 v[127:130], v1 offset:656
	s_wait_loadcnt_dscnt 0xa02
	v_mul_f64_e32 v[2:3], v[113:114], v[8:9]
	v_mul_f64_e32 v[8:9], v[111:112], v[8:9]
	s_wait_loadcnt_dscnt 0x901
	v_mul_f64_e32 v[18:19], v[115:116], v[12:13]
	v_mul_f64_e32 v[12:13], v[117:118], v[12:13]
	s_delay_alu instid0(VALU_DEP_4) | instskip(NEXT) | instid1(VALU_DEP_4)
	v_fma_f64 v[2:3], v[111:112], v[6:7], -v[2:3]
	v_fma_f64 v[131:132], v[113:114], v[6:7], v[8:9]
	ds_load_b128 v[6:9], v1 offset:640
	scratch_load_b128 v[111:114], off, off offset:256
	v_fma_f64 v[18:19], v[117:118], v[10:11], v[18:19]
	v_fma_f64 v[115:116], v[115:116], v[10:11], -v[12:13]
	scratch_load_b128 v[10:13], off, off offset:272
	s_wait_loadcnt_dscnt 0xa00
	v_mul_f64_e32 v[133:134], v[6:7], v[16:17]
	v_mul_f64_e32 v[16:17], v[8:9], v[16:17]
	v_add_f64_e32 v[2:3], 0, v[2:3]
	v_add_f64_e32 v[117:118], 0, v[131:132]
	s_wait_loadcnt 0x9
	v_mul_f64_e32 v[131:132], v[127:128], v[89:90]
	v_mul_f64_e32 v[89:90], v[129:130], v[89:90]
	v_fma_f64 v[133:134], v[8:9], v[14:15], v[133:134]
	v_fma_f64 v[135:136], v[6:7], v[14:15], -v[16:17]
	ds_load_b128 v[6:9], v1 offset:672
	scratch_load_b128 v[14:17], off, off offset:288
	v_add_f64_e32 v[2:3], v[2:3], v[115:116]
	v_add_f64_e32 v[18:19], v[117:118], v[18:19]
	ds_load_b128 v[115:118], v1 offset:688
	v_fma_f64 v[129:130], v[129:130], v[87:88], v[131:132]
	v_fma_f64 v[127:128], v[127:128], v[87:88], -v[89:90]
	scratch_load_b128 v[87:90], off, off offset:304
	s_wait_loadcnt_dscnt 0xa01
	v_mul_f64_e32 v[137:138], v[6:7], v[93:94]
	v_mul_f64_e32 v[93:94], v[8:9], v[93:94]
	s_wait_loadcnt_dscnt 0x900
	v_mul_f64_e32 v[131:132], v[115:116], v[97:98]
	v_mul_f64_e32 v[97:98], v[117:118], v[97:98]
	v_add_f64_e32 v[2:3], v[2:3], v[135:136]
	v_add_f64_e32 v[18:19], v[18:19], v[133:134]
	v_fma_f64 v[133:134], v[8:9], v[91:92], v[137:138]
	v_fma_f64 v[135:136], v[6:7], v[91:92], -v[93:94]
	ds_load_b128 v[6:9], v1 offset:704
	scratch_load_b128 v[91:94], off, off offset:320
	v_fma_f64 v[117:118], v[117:118], v[95:96], v[131:132]
	v_fma_f64 v[115:116], v[115:116], v[95:96], -v[97:98]
	scratch_load_b128 v[95:98], off, off offset:336
	v_add_f64_e32 v[2:3], v[2:3], v[127:128]
	v_add_f64_e32 v[18:19], v[18:19], v[129:130]
	ds_load_b128 v[127:130], v1 offset:720
	s_wait_loadcnt_dscnt 0xa01
	v_mul_f64_e32 v[137:138], v[6:7], v[101:102]
	v_mul_f64_e32 v[101:102], v[8:9], v[101:102]
	s_wait_loadcnt_dscnt 0x900
	v_mul_f64_e32 v[131:132], v[127:128], v[105:106]
	v_mul_f64_e32 v[105:106], v[129:130], v[105:106]
	v_add_f64_e32 v[2:3], v[2:3], v[135:136]
	v_add_f64_e32 v[18:19], v[18:19], v[133:134]
	v_fma_f64 v[133:134], v[8:9], v[99:100], v[137:138]
	v_fma_f64 v[135:136], v[6:7], v[99:100], -v[101:102]
	ds_load_b128 v[6:9], v1 offset:736
	scratch_load_b128 v[99:102], off, off offset:352
	v_fma_f64 v[129:130], v[129:130], v[103:104], v[131:132]
	v_fma_f64 v[127:128], v[127:128], v[103:104], -v[105:106]
	scratch_load_b128 v[103:106], off, off offset:368
	v_add_f64_e32 v[2:3], v[2:3], v[115:116]
	v_add_f64_e32 v[18:19], v[18:19], v[117:118]
	ds_load_b128 v[115:118], v1 offset:752
	s_wait_loadcnt_dscnt 0xa01
	v_mul_f64_e32 v[137:138], v[6:7], v[109:110]
	v_mul_f64_e32 v[109:110], v[8:9], v[109:110]
	s_wait_loadcnt_dscnt 0x800
	v_mul_f64_e32 v[131:132], v[115:116], v[125:126]
	v_add_f64_e32 v[2:3], v[2:3], v[135:136]
	v_add_f64_e32 v[18:19], v[18:19], v[133:134]
	v_mul_f64_e32 v[133:134], v[117:118], v[125:126]
	v_fma_f64 v[135:136], v[8:9], v[107:108], v[137:138]
	v_fma_f64 v[137:138], v[6:7], v[107:108], -v[109:110]
	ds_load_b128 v[6:9], v1 offset:768
	scratch_load_b128 v[107:110], off, off offset:384
	v_fma_f64 v[117:118], v[117:118], v[123:124], v[131:132]
	v_add_f64_e32 v[2:3], v[2:3], v[127:128]
	v_add_f64_e32 v[18:19], v[18:19], v[129:130]
	ds_load_b128 v[125:128], v1 offset:784
	v_fma_f64 v[123:124], v[115:116], v[123:124], -v[133:134]
	s_wait_loadcnt_dscnt 0x801
	v_mul_f64_e32 v[129:130], v[6:7], v[113:114]
	v_mul_f64_e32 v[139:140], v[8:9], v[113:114]
	scratch_load_b128 v[113:116], off, off offset:400
	v_add_f64_e32 v[2:3], v[2:3], v[137:138]
	v_add_f64_e32 v[18:19], v[18:19], v[135:136]
	s_wait_loadcnt_dscnt 0x800
	v_mul_f64_e32 v[137:138], v[125:126], v[12:13]
	v_mul_f64_e32 v[12:13], v[127:128], v[12:13]
	ds_load_b128 v[133:136], v1 offset:816
	v_fma_f64 v[141:142], v[8:9], v[111:112], v[129:130]
	v_fma_f64 v[111:112], v[6:7], v[111:112], -v[139:140]
	ds_load_b128 v[6:9], v1 offset:800
	scratch_load_b128 v[129:132], off, off offset:416
	v_add_f64_e32 v[2:3], v[2:3], v[123:124]
	v_add_f64_e32 v[18:19], v[18:19], v[117:118]
	v_fma_f64 v[123:124], v[127:128], v[10:11], v[137:138]
	s_wait_loadcnt_dscnt 0x800
	v_mul_f64_e32 v[117:118], v[6:7], v[16:17]
	v_mul_f64_e32 v[16:17], v[8:9], v[16:17]
	v_fma_f64 v[125:126], v[125:126], v[10:11], -v[12:13]
	scratch_load_b128 v[10:13], off, off offset:432
	v_add_f64_e32 v[2:3], v[2:3], v[111:112]
	v_add_f64_e32 v[18:19], v[18:19], v[141:142]
	s_wait_loadcnt 0x8
	v_mul_f64_e32 v[111:112], v[133:134], v[89:90]
	v_mul_f64_e32 v[89:90], v[135:136], v[89:90]
	v_fma_f64 v[117:118], v[8:9], v[14:15], v[117:118]
	v_fma_f64 v[127:128], v[6:7], v[14:15], -v[16:17]
	ds_load_b128 v[6:9], v1 offset:832
	scratch_load_b128 v[14:17], off, off offset:448
	v_add_f64_e32 v[2:3], v[2:3], v[125:126]
	v_add_f64_e32 v[18:19], v[18:19], v[123:124]
	ds_load_b128 v[123:126], v1 offset:848
	s_wait_loadcnt_dscnt 0x801
	v_mul_f64_e32 v[137:138], v[6:7], v[93:94]
	v_mul_f64_e32 v[93:94], v[8:9], v[93:94]
	v_fma_f64 v[111:112], v[135:136], v[87:88], v[111:112]
	v_fma_f64 v[133:134], v[133:134], v[87:88], -v[89:90]
	scratch_load_b128 v[87:90], off, off offset:464
	v_add_f64_e32 v[2:3], v[2:3], v[127:128]
	v_add_f64_e32 v[18:19], v[18:19], v[117:118]
	s_wait_loadcnt_dscnt 0x800
	v_mul_f64_e32 v[117:118], v[123:124], v[97:98]
	v_mul_f64_e32 v[97:98], v[125:126], v[97:98]
	v_fma_f64 v[127:128], v[8:9], v[91:92], v[137:138]
	v_fma_f64 v[137:138], v[6:7], v[91:92], -v[93:94]
	ds_load_b128 v[6:9], v1 offset:864
	scratch_load_b128 v[91:94], off, off offset:480
	v_add_f64_e32 v[2:3], v[2:3], v[133:134]
	v_add_f64_e32 v[18:19], v[18:19], v[111:112]
	ds_load_b128 v[133:136], v1 offset:880
	s_wait_loadcnt_dscnt 0x801
	v_mul_f64_e32 v[111:112], v[6:7], v[101:102]
	v_mul_f64_e32 v[101:102], v[8:9], v[101:102]
	v_fma_f64 v[117:118], v[125:126], v[95:96], v[117:118]
	v_fma_f64 v[123:124], v[123:124], v[95:96], -v[97:98]
	scratch_load_b128 v[95:98], off, off offset:496
	v_add_f64_e32 v[2:3], v[2:3], v[137:138]
	v_add_f64_e32 v[18:19], v[18:19], v[127:128]
	s_wait_loadcnt_dscnt 0x800
	;; [unrolled: 18-line block ×3, first 2 shown]
	v_mul_f64_e32 v[111:112], v[123:124], v[115:116]
	v_mul_f64_e32 v[115:116], v[125:126], v[115:116]
	v_fma_f64 v[117:118], v[8:9], v[107:108], v[117:118]
	v_fma_f64 v[135:136], v[6:7], v[107:108], -v[109:110]
	ds_load_b128 v[6:9], v1 offset:928
	ds_load_b128 v[107:110], v1 offset:944
	v_add_f64_e32 v[2:3], v[2:3], v[133:134]
	v_add_f64_e32 v[18:19], v[18:19], v[127:128]
	s_wait_loadcnt_dscnt 0x701
	v_mul_f64_e32 v[127:128], v[6:7], v[131:132]
	v_mul_f64_e32 v[131:132], v[8:9], v[131:132]
	v_fma_f64 v[111:112], v[125:126], v[113:114], v[111:112]
	v_fma_f64 v[113:114], v[123:124], v[113:114], -v[115:116]
	s_wait_loadcnt_dscnt 0x600
	v_mul_f64_e32 v[115:116], v[107:108], v[12:13]
	v_mul_f64_e32 v[12:13], v[109:110], v[12:13]
	v_add_f64_e32 v[2:3], v[2:3], v[135:136]
	v_add_f64_e32 v[18:19], v[18:19], v[117:118]
	v_fma_f64 v[117:118], v[8:9], v[129:130], v[127:128]
	v_fma_f64 v[123:124], v[6:7], v[129:130], -v[131:132]
	v_fma_f64 v[109:110], v[109:110], v[10:11], v[115:116]
	v_fma_f64 v[10:11], v[107:108], v[10:11], -v[12:13]
	v_add_f64_e32 v[2:3], v[2:3], v[113:114]
	v_add_f64_e32 v[18:19], v[18:19], v[111:112]
	ds_load_b128 v[6:9], v1 offset:960
	ds_load_b128 v[111:114], v1 offset:976
	s_wait_loadcnt_dscnt 0x501
	v_mul_f64_e32 v[125:126], v[6:7], v[16:17]
	v_mul_f64_e32 v[16:17], v[8:9], v[16:17]
	v_add_f64_e32 v[2:3], v[2:3], v[123:124]
	v_add_f64_e32 v[12:13], v[18:19], v[117:118]
	s_wait_loadcnt_dscnt 0x400
	v_mul_f64_e32 v[18:19], v[111:112], v[89:90]
	v_mul_f64_e32 v[89:90], v[113:114], v[89:90]
	v_fma_f64 v[107:108], v[8:9], v[14:15], v[125:126]
	v_fma_f64 v[14:15], v[6:7], v[14:15], -v[16:17]
	v_add_f64_e32 v[2:3], v[2:3], v[10:11]
	v_add_f64_e32 v[16:17], v[12:13], v[109:110]
	ds_load_b128 v[6:9], v1 offset:992
	ds_load_b128 v[10:13], v1 offset:1008
	v_fma_f64 v[18:19], v[113:114], v[87:88], v[18:19]
	v_fma_f64 v[87:88], v[111:112], v[87:88], -v[89:90]
	s_wait_loadcnt_dscnt 0x301
	v_mul_f64_e32 v[109:110], v[6:7], v[93:94]
	v_mul_f64_e32 v[93:94], v[8:9], v[93:94]
	s_wait_loadcnt_dscnt 0x200
	v_mul_f64_e32 v[89:90], v[12:13], v[97:98]
	v_add_f64_e32 v[2:3], v[2:3], v[14:15]
	v_add_f64_e32 v[14:15], v[16:17], v[107:108]
	v_mul_f64_e32 v[16:17], v[10:11], v[97:98]
	v_fma_f64 v[97:98], v[8:9], v[91:92], v[109:110]
	v_fma_f64 v[91:92], v[6:7], v[91:92], -v[93:94]
	v_fma_f64 v[10:11], v[10:11], v[95:96], -v[89:90]
	v_add_f64_e32 v[87:88], v[2:3], v[87:88]
	v_add_f64_e32 v[14:15], v[14:15], v[18:19]
	ds_load_b128 v[6:9], v1 offset:1024
	ds_load_b128 v[1:4], v1 offset:1040
	v_fma_f64 v[12:13], v[12:13], v[95:96], v[16:17]
	s_wait_loadcnt_dscnt 0x101
	v_mul_f64_e32 v[18:19], v[6:7], v[101:102]
	v_mul_f64_e32 v[93:94], v[8:9], v[101:102]
	s_wait_loadcnt_dscnt 0x0
	v_mul_f64_e32 v[89:90], v[3:4], v[105:106]
	v_add_f64_e32 v[16:17], v[87:88], v[91:92]
	v_add_f64_e32 v[14:15], v[14:15], v[97:98]
	v_mul_f64_e32 v[87:88], v[1:2], v[105:106]
	v_fma_f64 v[8:9], v[8:9], v[99:100], v[18:19]
	v_fma_f64 v[6:7], v[6:7], v[99:100], -v[93:94]
	v_fma_f64 v[1:2], v[1:2], v[103:104], -v[89:90]
	v_add_f64_e32 v[10:11], v[16:17], v[10:11]
	v_add_f64_e32 v[12:13], v[14:15], v[12:13]
	v_fma_f64 v[3:4], v[3:4], v[103:104], v[87:88]
	s_delay_alu instid0(VALU_DEP_3) | instskip(NEXT) | instid1(VALU_DEP_3)
	v_add_f64_e32 v[6:7], v[10:11], v[6:7]
	v_add_f64_e32 v[8:9], v[12:13], v[8:9]
	s_delay_alu instid0(VALU_DEP_2) | instskip(NEXT) | instid1(VALU_DEP_2)
	v_add_f64_e32 v[1:2], v[6:7], v[1:2]
	v_add_f64_e32 v[3:4], v[8:9], v[3:4]
	s_delay_alu instid0(VALU_DEP_2) | instskip(NEXT) | instid1(VALU_DEP_2)
	v_add_f64_e64 v[1:2], v[119:120], -v[1:2]
	v_add_f64_e64 v[3:4], v[121:122], -v[3:4]
	scratch_store_b128 off, v[1:4], off offset:80
	v_cmpx_lt_u32_e32 3, v0
	s_cbranch_execz .LBB32_205
; %bb.204:
	scratch_load_b128 v[1:4], off, s5
	v_mov_b32_e32 v6, 0
	s_delay_alu instid0(VALU_DEP_1)
	v_dual_mov_b32 v7, v6 :: v_dual_mov_b32 v8, v6
	v_mov_b32_e32 v9, v6
	scratch_store_b128 off, v[6:9], off offset:64
	s_wait_loadcnt 0x0
	ds_store_b128 v5, v[1:4]
.LBB32_205:
	s_wait_alu 0xfffe
	s_or_b32 exec_lo, exec_lo, s0
	s_wait_storecnt_dscnt 0x0
	s_barrier_signal -1
	s_barrier_wait -1
	global_inv scope:SCOPE_SE
	s_clause 0x7
	scratch_load_b128 v[6:9], off, off offset:80
	scratch_load_b128 v[10:13], off, off offset:96
	;; [unrolled: 1-line block ×8, first 2 shown]
	v_mov_b32_e32 v1, 0
	s_mov_b32 s0, exec_lo
	ds_load_b128 v[107:110], v1 offset:592
	s_clause 0x1
	scratch_load_b128 v[111:114], off, off offset:208
	scratch_load_b128 v[115:118], off, off offset:64
	ds_load_b128 v[119:122], v1 offset:608
	scratch_load_b128 v[123:126], off, off offset:224
	ds_load_b128 v[127:130], v1 offset:640
	s_wait_loadcnt_dscnt 0xa02
	v_mul_f64_e32 v[2:3], v[109:110], v[8:9]
	v_mul_f64_e32 v[8:9], v[107:108], v[8:9]
	s_delay_alu instid0(VALU_DEP_2) | instskip(NEXT) | instid1(VALU_DEP_2)
	v_fma_f64 v[2:3], v[107:108], v[6:7], -v[2:3]
	v_fma_f64 v[131:132], v[109:110], v[6:7], v[8:9]
	ds_load_b128 v[6:9], v1 offset:624
	s_wait_loadcnt_dscnt 0x902
	v_mul_f64_e32 v[18:19], v[119:120], v[12:13]
	v_mul_f64_e32 v[12:13], v[121:122], v[12:13]
	scratch_load_b128 v[107:110], off, off offset:240
	s_wait_loadcnt_dscnt 0x900
	v_mul_f64_e32 v[133:134], v[6:7], v[16:17]
	v_mul_f64_e32 v[16:17], v[8:9], v[16:17]
	v_add_f64_e32 v[2:3], 0, v[2:3]
	v_fma_f64 v[18:19], v[121:122], v[10:11], v[18:19]
	v_fma_f64 v[119:120], v[119:120], v[10:11], -v[12:13]
	v_add_f64_e32 v[121:122], 0, v[131:132]
	scratch_load_b128 v[10:13], off, off offset:256
	v_fma_f64 v[133:134], v[8:9], v[14:15], v[133:134]
	v_fma_f64 v[135:136], v[6:7], v[14:15], -v[16:17]
	ds_load_b128 v[6:9], v1 offset:656
	s_wait_loadcnt 0x9
	v_mul_f64_e32 v[131:132], v[127:128], v[89:90]
	v_mul_f64_e32 v[89:90], v[129:130], v[89:90]
	scratch_load_b128 v[14:17], off, off offset:272
	v_add_f64_e32 v[2:3], v[2:3], v[119:120]
	v_add_f64_e32 v[18:19], v[121:122], v[18:19]
	s_wait_loadcnt_dscnt 0x900
	v_mul_f64_e32 v[137:138], v[6:7], v[93:94]
	v_mul_f64_e32 v[93:94], v[8:9], v[93:94]
	ds_load_b128 v[119:122], v1 offset:672
	v_fma_f64 v[129:130], v[129:130], v[87:88], v[131:132]
	v_fma_f64 v[127:128], v[127:128], v[87:88], -v[89:90]
	scratch_load_b128 v[87:90], off, off offset:288
	v_add_f64_e32 v[2:3], v[2:3], v[135:136]
	v_add_f64_e32 v[18:19], v[18:19], v[133:134]
	v_fma_f64 v[133:134], v[8:9], v[91:92], v[137:138]
	v_fma_f64 v[135:136], v[6:7], v[91:92], -v[93:94]
	ds_load_b128 v[6:9], v1 offset:688
	s_wait_loadcnt_dscnt 0x901
	v_mul_f64_e32 v[131:132], v[119:120], v[97:98]
	v_mul_f64_e32 v[97:98], v[121:122], v[97:98]
	scratch_load_b128 v[91:94], off, off offset:304
	s_wait_loadcnt_dscnt 0x900
	v_mul_f64_e32 v[137:138], v[6:7], v[101:102]
	v_mul_f64_e32 v[101:102], v[8:9], v[101:102]
	v_add_f64_e32 v[2:3], v[2:3], v[127:128]
	v_add_f64_e32 v[18:19], v[18:19], v[129:130]
	ds_load_b128 v[127:130], v1 offset:704
	v_fma_f64 v[121:122], v[121:122], v[95:96], v[131:132]
	v_fma_f64 v[119:120], v[119:120], v[95:96], -v[97:98]
	scratch_load_b128 v[95:98], off, off offset:320
	v_add_f64_e32 v[2:3], v[2:3], v[135:136]
	v_add_f64_e32 v[18:19], v[18:19], v[133:134]
	v_fma_f64 v[133:134], v[8:9], v[99:100], v[137:138]
	v_fma_f64 v[135:136], v[6:7], v[99:100], -v[101:102]
	ds_load_b128 v[6:9], v1 offset:720
	s_wait_loadcnt_dscnt 0x901
	v_mul_f64_e32 v[131:132], v[127:128], v[105:106]
	v_mul_f64_e32 v[105:106], v[129:130], v[105:106]
	scratch_load_b128 v[99:102], off, off offset:336
	s_wait_loadcnt_dscnt 0x900
	v_mul_f64_e32 v[137:138], v[6:7], v[113:114]
	v_mul_f64_e32 v[113:114], v[8:9], v[113:114]
	v_add_f64_e32 v[2:3], v[2:3], v[119:120]
	v_add_f64_e32 v[18:19], v[18:19], v[121:122]
	ds_load_b128 v[119:122], v1 offset:736
	v_fma_f64 v[129:130], v[129:130], v[103:104], v[131:132]
	v_fma_f64 v[127:128], v[127:128], v[103:104], -v[105:106]
	scratch_load_b128 v[103:106], off, off offset:352
	v_add_f64_e32 v[2:3], v[2:3], v[135:136]
	v_add_f64_e32 v[18:19], v[18:19], v[133:134]
	v_fma_f64 v[135:136], v[8:9], v[111:112], v[137:138]
	v_fma_f64 v[137:138], v[6:7], v[111:112], -v[113:114]
	ds_load_b128 v[6:9], v1 offset:752
	s_wait_loadcnt_dscnt 0x801
	v_mul_f64_e32 v[131:132], v[119:120], v[125:126]
	v_mul_f64_e32 v[133:134], v[121:122], v[125:126]
	scratch_load_b128 v[111:114], off, off offset:368
	v_add_f64_e32 v[2:3], v[2:3], v[127:128]
	v_add_f64_e32 v[18:19], v[18:19], v[129:130]
	ds_load_b128 v[125:128], v1 offset:768
	v_fma_f64 v[131:132], v[121:122], v[123:124], v[131:132]
	v_fma_f64 v[123:124], v[119:120], v[123:124], -v[133:134]
	scratch_load_b128 v[119:122], off, off offset:384
	s_wait_loadcnt_dscnt 0x901
	v_mul_f64_e32 v[129:130], v[6:7], v[109:110]
	v_mul_f64_e32 v[109:110], v[8:9], v[109:110]
	v_add_f64_e32 v[2:3], v[2:3], v[137:138]
	v_add_f64_e32 v[18:19], v[18:19], v[135:136]
	s_delay_alu instid0(VALU_DEP_4) | instskip(NEXT) | instid1(VALU_DEP_4)
	v_fma_f64 v[135:136], v[8:9], v[107:108], v[129:130]
	v_fma_f64 v[137:138], v[6:7], v[107:108], -v[109:110]
	ds_load_b128 v[6:9], v1 offset:784
	s_wait_loadcnt_dscnt 0x801
	v_mul_f64_e32 v[133:134], v[125:126], v[12:13]
	v_mul_f64_e32 v[12:13], v[127:128], v[12:13]
	scratch_load_b128 v[107:110], off, off offset:400
	v_add_f64_e32 v[2:3], v[2:3], v[123:124]
	v_add_f64_e32 v[18:19], v[18:19], v[131:132]
	s_wait_loadcnt_dscnt 0x800
	v_mul_f64_e32 v[123:124], v[6:7], v[16:17]
	v_mul_f64_e32 v[16:17], v[8:9], v[16:17]
	ds_load_b128 v[129:132], v1 offset:800
	v_fma_f64 v[127:128], v[127:128], v[10:11], v[133:134]
	v_fma_f64 v[125:126], v[125:126], v[10:11], -v[12:13]
	scratch_load_b128 v[10:13], off, off offset:416
	v_add_f64_e32 v[2:3], v[2:3], v[137:138]
	v_add_f64_e32 v[18:19], v[18:19], v[135:136]
	v_fma_f64 v[135:136], v[8:9], v[14:15], v[123:124]
	v_fma_f64 v[137:138], v[6:7], v[14:15], -v[16:17]
	ds_load_b128 v[6:9], v1 offset:816
	s_wait_loadcnt_dscnt 0x801
	v_mul_f64_e32 v[133:134], v[129:130], v[89:90]
	v_mul_f64_e32 v[89:90], v[131:132], v[89:90]
	scratch_load_b128 v[14:17], off, off offset:432
	v_add_f64_e32 v[2:3], v[2:3], v[125:126]
	v_add_f64_e32 v[18:19], v[18:19], v[127:128]
	s_wait_loadcnt_dscnt 0x800
	v_mul_f64_e32 v[127:128], v[6:7], v[93:94]
	v_mul_f64_e32 v[93:94], v[8:9], v[93:94]
	ds_load_b128 v[123:126], v1 offset:832
	v_fma_f64 v[131:132], v[131:132], v[87:88], v[133:134]
	v_fma_f64 v[129:130], v[129:130], v[87:88], -v[89:90]
	scratch_load_b128 v[87:90], off, off offset:448
	v_add_f64_e32 v[2:3], v[2:3], v[137:138]
	v_add_f64_e32 v[18:19], v[18:19], v[135:136]
	;; [unrolled: 18-line block ×3, first 2 shown]
	v_fma_f64 v[131:132], v[8:9], v[99:100], v[131:132]
	v_fma_f64 v[135:136], v[6:7], v[99:100], -v[101:102]
	ds_load_b128 v[6:9], v1 offset:880
	s_wait_loadcnt_dscnt 0x801
	v_mul_f64_e32 v[133:134], v[127:128], v[105:106]
	v_mul_f64_e32 v[105:106], v[129:130], v[105:106]
	scratch_load_b128 v[99:102], off, off offset:496
	s_wait_loadcnt_dscnt 0x800
	v_mul_f64_e32 v[137:138], v[6:7], v[113:114]
	v_mul_f64_e32 v[113:114], v[8:9], v[113:114]
	v_add_f64_e32 v[2:3], v[2:3], v[123:124]
	v_add_f64_e32 v[18:19], v[18:19], v[125:126]
	ds_load_b128 v[123:126], v1 offset:896
	v_fma_f64 v[129:130], v[129:130], v[103:104], v[133:134]
	v_fma_f64 v[127:128], v[127:128], v[103:104], -v[105:106]
	scratch_load_b128 v[103:106], off, off offset:512
	v_fma_f64 v[133:134], v[8:9], v[111:112], v[137:138]
	v_add_f64_e32 v[2:3], v[2:3], v[135:136]
	v_add_f64_e32 v[18:19], v[18:19], v[131:132]
	v_fma_f64 v[135:136], v[6:7], v[111:112], -v[113:114]
	ds_load_b128 v[6:9], v1 offset:912
	s_wait_loadcnt_dscnt 0x801
	v_mul_f64_e32 v[131:132], v[123:124], v[121:122]
	v_mul_f64_e32 v[121:122], v[125:126], v[121:122]
	scratch_load_b128 v[111:114], off, off offset:528
	s_wait_loadcnt_dscnt 0x800
	v_mul_f64_e32 v[137:138], v[6:7], v[109:110]
	v_add_f64_e32 v[2:3], v[2:3], v[127:128]
	v_add_f64_e32 v[18:19], v[18:19], v[129:130]
	v_mul_f64_e32 v[109:110], v[8:9], v[109:110]
	v_fma_f64 v[125:126], v[125:126], v[119:120], v[131:132]
	v_fma_f64 v[119:120], v[123:124], v[119:120], -v[121:122]
	ds_load_b128 v[127:130], v1 offset:928
	s_wait_loadcnt_dscnt 0x700
	v_mul_f64_e32 v[121:122], v[127:128], v[12:13]
	v_add_f64_e32 v[2:3], v[2:3], v[135:136]
	v_add_f64_e32 v[18:19], v[18:19], v[133:134]
	v_mul_f64_e32 v[12:13], v[129:130], v[12:13]
	v_fma_f64 v[123:124], v[8:9], v[107:108], v[137:138]
	v_fma_f64 v[131:132], v[6:7], v[107:108], -v[109:110]
	ds_load_b128 v[6:9], v1 offset:944
	ds_load_b128 v[107:110], v1 offset:960
	v_fma_f64 v[121:122], v[129:130], v[10:11], v[121:122]
	v_add_f64_e32 v[2:3], v[2:3], v[119:120]
	v_add_f64_e32 v[18:19], v[18:19], v[125:126]
	s_wait_loadcnt_dscnt 0x601
	v_mul_f64_e32 v[119:120], v[6:7], v[16:17]
	v_mul_f64_e32 v[16:17], v[8:9], v[16:17]
	v_fma_f64 v[10:11], v[127:128], v[10:11], -v[12:13]
	v_add_f64_e32 v[2:3], v[2:3], v[131:132]
	v_add_f64_e32 v[12:13], v[18:19], v[123:124]
	s_wait_loadcnt_dscnt 0x500
	v_mul_f64_e32 v[18:19], v[107:108], v[89:90]
	v_mul_f64_e32 v[89:90], v[109:110], v[89:90]
	v_fma_f64 v[119:120], v[8:9], v[14:15], v[119:120]
	v_fma_f64 v[14:15], v[6:7], v[14:15], -v[16:17]
	v_add_f64_e32 v[2:3], v[2:3], v[10:11]
	v_add_f64_e32 v[16:17], v[12:13], v[121:122]
	ds_load_b128 v[6:9], v1 offset:976
	ds_load_b128 v[10:13], v1 offset:992
	v_fma_f64 v[18:19], v[109:110], v[87:88], v[18:19]
	v_fma_f64 v[87:88], v[107:108], v[87:88], -v[89:90]
	s_wait_loadcnt_dscnt 0x401
	v_mul_f64_e32 v[121:122], v[6:7], v[93:94]
	v_mul_f64_e32 v[93:94], v[8:9], v[93:94]
	s_wait_loadcnt_dscnt 0x300
	v_mul_f64_e32 v[89:90], v[10:11], v[97:98]
	v_mul_f64_e32 v[97:98], v[12:13], v[97:98]
	v_add_f64_e32 v[2:3], v[2:3], v[14:15]
	v_add_f64_e32 v[14:15], v[16:17], v[119:120]
	v_fma_f64 v[107:108], v[8:9], v[91:92], v[121:122]
	v_fma_f64 v[91:92], v[6:7], v[91:92], -v[93:94]
	v_fma_f64 v[12:13], v[12:13], v[95:96], v[89:90]
	v_fma_f64 v[10:11], v[10:11], v[95:96], -v[97:98]
	v_add_f64_e32 v[2:3], v[2:3], v[87:88]
	v_add_f64_e32 v[18:19], v[14:15], v[18:19]
	ds_load_b128 v[6:9], v1 offset:1008
	ds_load_b128 v[14:17], v1 offset:1024
	s_wait_loadcnt_dscnt 0x201
	v_mul_f64_e32 v[87:88], v[6:7], v[101:102]
	v_mul_f64_e32 v[93:94], v[8:9], v[101:102]
	s_wait_loadcnt_dscnt 0x100
	v_mul_f64_e32 v[89:90], v[14:15], v[105:106]
	v_add_f64_e32 v[2:3], v[2:3], v[91:92]
	v_add_f64_e32 v[18:19], v[18:19], v[107:108]
	v_mul_f64_e32 v[91:92], v[16:17], v[105:106]
	v_fma_f64 v[87:88], v[8:9], v[99:100], v[87:88]
	v_fma_f64 v[93:94], v[6:7], v[99:100], -v[93:94]
	ds_load_b128 v[6:9], v1 offset:1040
	v_fma_f64 v[16:17], v[16:17], v[103:104], v[89:90]
	v_add_f64_e32 v[2:3], v[2:3], v[10:11]
	v_add_f64_e32 v[10:11], v[18:19], v[12:13]
	v_fma_f64 v[14:15], v[14:15], v[103:104], -v[91:92]
	s_wait_loadcnt_dscnt 0x0
	v_mul_f64_e32 v[12:13], v[6:7], v[113:114]
	v_mul_f64_e32 v[18:19], v[8:9], v[113:114]
	v_add_f64_e32 v[2:3], v[2:3], v[93:94]
	v_add_f64_e32 v[10:11], v[10:11], v[87:88]
	s_delay_alu instid0(VALU_DEP_4) | instskip(NEXT) | instid1(VALU_DEP_4)
	v_fma_f64 v[8:9], v[8:9], v[111:112], v[12:13]
	v_fma_f64 v[6:7], v[6:7], v[111:112], -v[18:19]
	s_delay_alu instid0(VALU_DEP_4) | instskip(NEXT) | instid1(VALU_DEP_4)
	v_add_f64_e32 v[2:3], v[2:3], v[14:15]
	v_add_f64_e32 v[10:11], v[10:11], v[16:17]
	s_delay_alu instid0(VALU_DEP_2) | instskip(NEXT) | instid1(VALU_DEP_2)
	v_add_f64_e32 v[2:3], v[2:3], v[6:7]
	v_add_f64_e32 v[8:9], v[10:11], v[8:9]
	s_delay_alu instid0(VALU_DEP_2) | instskip(NEXT) | instid1(VALU_DEP_2)
	v_add_f64_e64 v[6:7], v[115:116], -v[2:3]
	v_add_f64_e64 v[8:9], v[117:118], -v[8:9]
	scratch_store_b128 off, v[6:9], off offset:64
	v_cmpx_lt_u32_e32 2, v0
	s_cbranch_execz .LBB32_207
; %bb.206:
	scratch_load_b128 v[6:9], off, s8
	v_dual_mov_b32 v2, v1 :: v_dual_mov_b32 v3, v1
	v_mov_b32_e32 v4, v1
	scratch_store_b128 off, v[1:4], off offset:48
	s_wait_loadcnt 0x0
	ds_store_b128 v5, v[6:9]
.LBB32_207:
	s_wait_alu 0xfffe
	s_or_b32 exec_lo, exec_lo, s0
	s_wait_storecnt_dscnt 0x0
	s_barrier_signal -1
	s_barrier_wait -1
	global_inv scope:SCOPE_SE
	s_clause 0x8
	scratch_load_b128 v[6:9], off, off offset:64
	scratch_load_b128 v[10:13], off, off offset:80
	;; [unrolled: 1-line block ×9, first 2 shown]
	ds_load_b128 v[111:114], v1 offset:576
	ds_load_b128 v[115:118], v1 offset:592
	s_clause 0x1
	scratch_load_b128 v[119:122], off, off offset:48
	scratch_load_b128 v[123:126], off, off offset:208
	s_mov_b32 s0, exec_lo
	ds_load_b128 v[127:130], v1 offset:624
	s_wait_loadcnt_dscnt 0xa02
	v_mul_f64_e32 v[2:3], v[113:114], v[8:9]
	v_mul_f64_e32 v[8:9], v[111:112], v[8:9]
	s_wait_loadcnt_dscnt 0x901
	v_mul_f64_e32 v[18:19], v[115:116], v[12:13]
	v_mul_f64_e32 v[12:13], v[117:118], v[12:13]
	s_delay_alu instid0(VALU_DEP_4) | instskip(NEXT) | instid1(VALU_DEP_4)
	v_fma_f64 v[2:3], v[111:112], v[6:7], -v[2:3]
	v_fma_f64 v[131:132], v[113:114], v[6:7], v[8:9]
	ds_load_b128 v[6:9], v1 offset:608
	scratch_load_b128 v[111:114], off, off offset:224
	v_fma_f64 v[18:19], v[117:118], v[10:11], v[18:19]
	v_fma_f64 v[115:116], v[115:116], v[10:11], -v[12:13]
	scratch_load_b128 v[10:13], off, off offset:240
	s_wait_loadcnt_dscnt 0xa00
	v_mul_f64_e32 v[133:134], v[6:7], v[16:17]
	v_mul_f64_e32 v[16:17], v[8:9], v[16:17]
	v_add_f64_e32 v[2:3], 0, v[2:3]
	v_add_f64_e32 v[117:118], 0, v[131:132]
	s_wait_loadcnt 0x9
	v_mul_f64_e32 v[131:132], v[127:128], v[89:90]
	v_mul_f64_e32 v[89:90], v[129:130], v[89:90]
	v_fma_f64 v[133:134], v[8:9], v[14:15], v[133:134]
	v_fma_f64 v[135:136], v[6:7], v[14:15], -v[16:17]
	ds_load_b128 v[6:9], v1 offset:640
	scratch_load_b128 v[14:17], off, off offset:256
	v_add_f64_e32 v[2:3], v[2:3], v[115:116]
	v_add_f64_e32 v[18:19], v[117:118], v[18:19]
	ds_load_b128 v[115:118], v1 offset:656
	v_fma_f64 v[129:130], v[129:130], v[87:88], v[131:132]
	v_fma_f64 v[127:128], v[127:128], v[87:88], -v[89:90]
	scratch_load_b128 v[87:90], off, off offset:272
	s_wait_loadcnt_dscnt 0xa01
	v_mul_f64_e32 v[137:138], v[6:7], v[93:94]
	v_mul_f64_e32 v[93:94], v[8:9], v[93:94]
	s_wait_loadcnt_dscnt 0x900
	v_mul_f64_e32 v[131:132], v[115:116], v[97:98]
	v_mul_f64_e32 v[97:98], v[117:118], v[97:98]
	v_add_f64_e32 v[2:3], v[2:3], v[135:136]
	v_add_f64_e32 v[18:19], v[18:19], v[133:134]
	v_fma_f64 v[133:134], v[8:9], v[91:92], v[137:138]
	v_fma_f64 v[135:136], v[6:7], v[91:92], -v[93:94]
	ds_load_b128 v[6:9], v1 offset:672
	scratch_load_b128 v[91:94], off, off offset:288
	v_fma_f64 v[117:118], v[117:118], v[95:96], v[131:132]
	v_fma_f64 v[115:116], v[115:116], v[95:96], -v[97:98]
	scratch_load_b128 v[95:98], off, off offset:304
	v_add_f64_e32 v[2:3], v[2:3], v[127:128]
	v_add_f64_e32 v[18:19], v[18:19], v[129:130]
	ds_load_b128 v[127:130], v1 offset:688
	s_wait_loadcnt_dscnt 0xa01
	v_mul_f64_e32 v[137:138], v[6:7], v[101:102]
	v_mul_f64_e32 v[101:102], v[8:9], v[101:102]
	s_wait_loadcnt_dscnt 0x900
	v_mul_f64_e32 v[131:132], v[127:128], v[105:106]
	v_mul_f64_e32 v[105:106], v[129:130], v[105:106]
	v_add_f64_e32 v[2:3], v[2:3], v[135:136]
	v_add_f64_e32 v[18:19], v[18:19], v[133:134]
	v_fma_f64 v[133:134], v[8:9], v[99:100], v[137:138]
	v_fma_f64 v[135:136], v[6:7], v[99:100], -v[101:102]
	ds_load_b128 v[6:9], v1 offset:704
	scratch_load_b128 v[99:102], off, off offset:320
	v_fma_f64 v[129:130], v[129:130], v[103:104], v[131:132]
	v_fma_f64 v[127:128], v[127:128], v[103:104], -v[105:106]
	scratch_load_b128 v[103:106], off, off offset:336
	v_add_f64_e32 v[2:3], v[2:3], v[115:116]
	v_add_f64_e32 v[18:19], v[18:19], v[117:118]
	ds_load_b128 v[115:118], v1 offset:720
	s_wait_loadcnt_dscnt 0xa01
	v_mul_f64_e32 v[137:138], v[6:7], v[109:110]
	v_mul_f64_e32 v[109:110], v[8:9], v[109:110]
	s_wait_loadcnt_dscnt 0x800
	v_mul_f64_e32 v[131:132], v[115:116], v[125:126]
	v_add_f64_e32 v[2:3], v[2:3], v[135:136]
	v_add_f64_e32 v[18:19], v[18:19], v[133:134]
	v_mul_f64_e32 v[133:134], v[117:118], v[125:126]
	v_fma_f64 v[135:136], v[8:9], v[107:108], v[137:138]
	v_fma_f64 v[137:138], v[6:7], v[107:108], -v[109:110]
	ds_load_b128 v[6:9], v1 offset:736
	scratch_load_b128 v[107:110], off, off offset:352
	v_fma_f64 v[117:118], v[117:118], v[123:124], v[131:132]
	v_add_f64_e32 v[2:3], v[2:3], v[127:128]
	v_add_f64_e32 v[18:19], v[18:19], v[129:130]
	ds_load_b128 v[125:128], v1 offset:752
	v_fma_f64 v[123:124], v[115:116], v[123:124], -v[133:134]
	s_wait_loadcnt_dscnt 0x801
	v_mul_f64_e32 v[129:130], v[6:7], v[113:114]
	v_mul_f64_e32 v[139:140], v[8:9], v[113:114]
	scratch_load_b128 v[113:116], off, off offset:368
	v_add_f64_e32 v[2:3], v[2:3], v[137:138]
	v_add_f64_e32 v[18:19], v[18:19], v[135:136]
	s_wait_loadcnt_dscnt 0x800
	v_mul_f64_e32 v[137:138], v[125:126], v[12:13]
	v_mul_f64_e32 v[12:13], v[127:128], v[12:13]
	ds_load_b128 v[133:136], v1 offset:784
	v_fma_f64 v[141:142], v[8:9], v[111:112], v[129:130]
	v_fma_f64 v[111:112], v[6:7], v[111:112], -v[139:140]
	ds_load_b128 v[6:9], v1 offset:768
	scratch_load_b128 v[129:132], off, off offset:384
	v_add_f64_e32 v[2:3], v[2:3], v[123:124]
	v_add_f64_e32 v[18:19], v[18:19], v[117:118]
	v_fma_f64 v[123:124], v[127:128], v[10:11], v[137:138]
	s_wait_loadcnt_dscnt 0x800
	v_mul_f64_e32 v[117:118], v[6:7], v[16:17]
	v_mul_f64_e32 v[16:17], v[8:9], v[16:17]
	v_fma_f64 v[125:126], v[125:126], v[10:11], -v[12:13]
	scratch_load_b128 v[10:13], off, off offset:400
	v_add_f64_e32 v[2:3], v[2:3], v[111:112]
	v_add_f64_e32 v[18:19], v[18:19], v[141:142]
	s_wait_loadcnt 0x8
	v_mul_f64_e32 v[111:112], v[133:134], v[89:90]
	v_mul_f64_e32 v[89:90], v[135:136], v[89:90]
	v_fma_f64 v[117:118], v[8:9], v[14:15], v[117:118]
	v_fma_f64 v[127:128], v[6:7], v[14:15], -v[16:17]
	ds_load_b128 v[6:9], v1 offset:800
	scratch_load_b128 v[14:17], off, off offset:416
	v_add_f64_e32 v[2:3], v[2:3], v[125:126]
	v_add_f64_e32 v[18:19], v[18:19], v[123:124]
	ds_load_b128 v[123:126], v1 offset:816
	s_wait_loadcnt_dscnt 0x801
	v_mul_f64_e32 v[137:138], v[6:7], v[93:94]
	v_mul_f64_e32 v[93:94], v[8:9], v[93:94]
	v_fma_f64 v[111:112], v[135:136], v[87:88], v[111:112]
	v_fma_f64 v[133:134], v[133:134], v[87:88], -v[89:90]
	scratch_load_b128 v[87:90], off, off offset:432
	v_add_f64_e32 v[2:3], v[2:3], v[127:128]
	v_add_f64_e32 v[18:19], v[18:19], v[117:118]
	s_wait_loadcnt_dscnt 0x800
	v_mul_f64_e32 v[117:118], v[123:124], v[97:98]
	v_mul_f64_e32 v[97:98], v[125:126], v[97:98]
	v_fma_f64 v[127:128], v[8:9], v[91:92], v[137:138]
	v_fma_f64 v[137:138], v[6:7], v[91:92], -v[93:94]
	ds_load_b128 v[6:9], v1 offset:832
	scratch_load_b128 v[91:94], off, off offset:448
	v_add_f64_e32 v[2:3], v[2:3], v[133:134]
	v_add_f64_e32 v[18:19], v[18:19], v[111:112]
	ds_load_b128 v[133:136], v1 offset:848
	s_wait_loadcnt_dscnt 0x801
	v_mul_f64_e32 v[111:112], v[6:7], v[101:102]
	v_mul_f64_e32 v[101:102], v[8:9], v[101:102]
	v_fma_f64 v[117:118], v[125:126], v[95:96], v[117:118]
	v_fma_f64 v[123:124], v[123:124], v[95:96], -v[97:98]
	scratch_load_b128 v[95:98], off, off offset:464
	v_add_f64_e32 v[2:3], v[2:3], v[137:138]
	v_add_f64_e32 v[18:19], v[18:19], v[127:128]
	s_wait_loadcnt_dscnt 0x800
	v_mul_f64_e32 v[127:128], v[133:134], v[105:106]
	v_mul_f64_e32 v[105:106], v[135:136], v[105:106]
	v_fma_f64 v[111:112], v[8:9], v[99:100], v[111:112]
	v_fma_f64 v[137:138], v[6:7], v[99:100], -v[101:102]
	ds_load_b128 v[6:9], v1 offset:864
	scratch_load_b128 v[99:102], off, off offset:480
	v_add_f64_e32 v[2:3], v[2:3], v[123:124]
	v_add_f64_e32 v[18:19], v[18:19], v[117:118]
	ds_load_b128 v[123:126], v1 offset:880
	s_wait_loadcnt_dscnt 0x801
	v_mul_f64_e32 v[117:118], v[6:7], v[109:110]
	v_mul_f64_e32 v[109:110], v[8:9], v[109:110]
	v_fma_f64 v[127:128], v[135:136], v[103:104], v[127:128]
	v_fma_f64 v[133:134], v[133:134], v[103:104], -v[105:106]
	scratch_load_b128 v[103:106], off, off offset:496
	s_wait_loadcnt_dscnt 0x800
	v_mul_f64_e32 v[135:136], v[125:126], v[115:116]
	v_add_f64_e32 v[2:3], v[2:3], v[137:138]
	v_add_f64_e32 v[18:19], v[18:19], v[111:112]
	v_mul_f64_e32 v[111:112], v[123:124], v[115:116]
	v_fma_f64 v[137:138], v[8:9], v[107:108], v[117:118]
	v_fma_f64 v[139:140], v[6:7], v[107:108], -v[109:110]
	ds_load_b128 v[6:9], v1 offset:896
	ds_load_b128 v[115:118], v1 offset:912
	scratch_load_b128 v[107:110], off, off offset:512
	v_fma_f64 v[123:124], v[123:124], v[113:114], -v[135:136]
	v_add_f64_e32 v[2:3], v[2:3], v[133:134]
	v_add_f64_e32 v[18:19], v[18:19], v[127:128]
	s_wait_loadcnt_dscnt 0x801
	v_mul_f64_e32 v[127:128], v[6:7], v[131:132]
	v_mul_f64_e32 v[131:132], v[8:9], v[131:132]
	v_fma_f64 v[125:126], v[125:126], v[113:114], v[111:112]
	scratch_load_b128 v[111:114], off, off offset:528
	s_wait_loadcnt_dscnt 0x800
	v_mul_f64_e32 v[133:134], v[115:116], v[12:13]
	v_mul_f64_e32 v[12:13], v[117:118], v[12:13]
	v_add_f64_e32 v[2:3], v[2:3], v[139:140]
	v_add_f64_e32 v[18:19], v[18:19], v[137:138]
	v_fma_f64 v[127:128], v[8:9], v[129:130], v[127:128]
	v_fma_f64 v[129:130], v[6:7], v[129:130], -v[131:132]
	v_fma_f64 v[117:118], v[117:118], v[10:11], v[133:134]
	v_fma_f64 v[10:11], v[115:116], v[10:11], -v[12:13]
	v_add_f64_e32 v[2:3], v[2:3], v[123:124]
	v_add_f64_e32 v[18:19], v[18:19], v[125:126]
	ds_load_b128 v[6:9], v1 offset:928
	ds_load_b128 v[123:126], v1 offset:944
	s_wait_loadcnt_dscnt 0x701
	v_mul_f64_e32 v[131:132], v[6:7], v[16:17]
	v_mul_f64_e32 v[16:17], v[8:9], v[16:17]
	v_add_f64_e32 v[2:3], v[2:3], v[129:130]
	v_add_f64_e32 v[12:13], v[18:19], v[127:128]
	s_wait_loadcnt_dscnt 0x600
	v_mul_f64_e32 v[18:19], v[123:124], v[89:90]
	v_mul_f64_e32 v[89:90], v[125:126], v[89:90]
	v_fma_f64 v[115:116], v[8:9], v[14:15], v[131:132]
	v_fma_f64 v[14:15], v[6:7], v[14:15], -v[16:17]
	v_add_f64_e32 v[2:3], v[2:3], v[10:11]
	v_add_f64_e32 v[16:17], v[12:13], v[117:118]
	ds_load_b128 v[6:9], v1 offset:960
	ds_load_b128 v[10:13], v1 offset:976
	v_fma_f64 v[18:19], v[125:126], v[87:88], v[18:19]
	v_fma_f64 v[87:88], v[123:124], v[87:88], -v[89:90]
	s_wait_loadcnt_dscnt 0x501
	v_mul_f64_e32 v[117:118], v[6:7], v[93:94]
	v_mul_f64_e32 v[93:94], v[8:9], v[93:94]
	s_wait_loadcnt_dscnt 0x400
	v_mul_f64_e32 v[89:90], v[10:11], v[97:98]
	v_mul_f64_e32 v[97:98], v[12:13], v[97:98]
	v_add_f64_e32 v[2:3], v[2:3], v[14:15]
	v_add_f64_e32 v[14:15], v[16:17], v[115:116]
	v_fma_f64 v[115:116], v[8:9], v[91:92], v[117:118]
	v_fma_f64 v[91:92], v[6:7], v[91:92], -v[93:94]
	v_fma_f64 v[12:13], v[12:13], v[95:96], v[89:90]
	v_fma_f64 v[10:11], v[10:11], v[95:96], -v[97:98]
	v_add_f64_e32 v[2:3], v[2:3], v[87:88]
	v_add_f64_e32 v[18:19], v[14:15], v[18:19]
	ds_load_b128 v[6:9], v1 offset:992
	ds_load_b128 v[14:17], v1 offset:1008
	s_wait_loadcnt_dscnt 0x301
	v_mul_f64_e32 v[87:88], v[6:7], v[101:102]
	v_mul_f64_e32 v[93:94], v[8:9], v[101:102]
	s_wait_loadcnt_dscnt 0x200
	v_mul_f64_e32 v[89:90], v[14:15], v[105:106]
	v_add_f64_e32 v[2:3], v[2:3], v[91:92]
	v_add_f64_e32 v[18:19], v[18:19], v[115:116]
	v_mul_f64_e32 v[91:92], v[16:17], v[105:106]
	v_fma_f64 v[87:88], v[8:9], v[99:100], v[87:88]
	v_fma_f64 v[93:94], v[6:7], v[99:100], -v[93:94]
	v_fma_f64 v[16:17], v[16:17], v[103:104], v[89:90]
	v_add_f64_e32 v[10:11], v[2:3], v[10:11]
	v_add_f64_e32 v[12:13], v[18:19], v[12:13]
	ds_load_b128 v[6:9], v1 offset:1024
	ds_load_b128 v[1:4], v1 offset:1040
	v_fma_f64 v[14:15], v[14:15], v[103:104], -v[91:92]
	s_wait_loadcnt_dscnt 0x101
	v_mul_f64_e32 v[18:19], v[6:7], v[109:110]
	v_mul_f64_e32 v[95:96], v[8:9], v[109:110]
	s_wait_loadcnt_dscnt 0x0
	v_mul_f64_e32 v[89:90], v[3:4], v[113:114]
	v_add_f64_e32 v[10:11], v[10:11], v[93:94]
	v_add_f64_e32 v[12:13], v[12:13], v[87:88]
	v_mul_f64_e32 v[87:88], v[1:2], v[113:114]
	v_fma_f64 v[8:9], v[8:9], v[107:108], v[18:19]
	v_fma_f64 v[6:7], v[6:7], v[107:108], -v[95:96]
	v_fma_f64 v[1:2], v[1:2], v[111:112], -v[89:90]
	v_add_f64_e32 v[10:11], v[10:11], v[14:15]
	v_add_f64_e32 v[12:13], v[12:13], v[16:17]
	v_fma_f64 v[3:4], v[3:4], v[111:112], v[87:88]
	s_delay_alu instid0(VALU_DEP_3) | instskip(NEXT) | instid1(VALU_DEP_3)
	v_add_f64_e32 v[6:7], v[10:11], v[6:7]
	v_add_f64_e32 v[8:9], v[12:13], v[8:9]
	s_delay_alu instid0(VALU_DEP_2) | instskip(NEXT) | instid1(VALU_DEP_2)
	v_add_f64_e32 v[1:2], v[6:7], v[1:2]
	v_add_f64_e32 v[3:4], v[8:9], v[3:4]
	s_delay_alu instid0(VALU_DEP_2) | instskip(NEXT) | instid1(VALU_DEP_2)
	v_add_f64_e64 v[1:2], v[119:120], -v[1:2]
	v_add_f64_e64 v[3:4], v[121:122], -v[3:4]
	scratch_store_b128 off, v[1:4], off offset:48
	v_cmpx_lt_u32_e32 1, v0
	s_cbranch_execz .LBB32_209
; %bb.208:
	scratch_load_b128 v[1:4], off, s9
	v_mov_b32_e32 v6, 0
	s_delay_alu instid0(VALU_DEP_1)
	v_dual_mov_b32 v7, v6 :: v_dual_mov_b32 v8, v6
	v_mov_b32_e32 v9, v6
	scratch_store_b128 off, v[6:9], off offset:32
	s_wait_loadcnt 0x0
	ds_store_b128 v5, v[1:4]
.LBB32_209:
	s_wait_alu 0xfffe
	s_or_b32 exec_lo, exec_lo, s0
	s_wait_storecnt_dscnt 0x0
	s_barrier_signal -1
	s_barrier_wait -1
	global_inv scope:SCOPE_SE
	s_clause 0x7
	scratch_load_b128 v[6:9], off, off offset:48
	scratch_load_b128 v[10:13], off, off offset:64
	scratch_load_b128 v[14:17], off, off offset:80
	scratch_load_b128 v[87:90], off, off offset:96
	scratch_load_b128 v[91:94], off, off offset:112
	scratch_load_b128 v[95:98], off, off offset:128
	scratch_load_b128 v[99:102], off, off offset:144
	scratch_load_b128 v[103:106], off, off offset:160
	v_mov_b32_e32 v1, 0
	s_mov_b32 s0, exec_lo
	ds_load_b128 v[107:110], v1 offset:560
	s_clause 0x1
	scratch_load_b128 v[111:114], off, off offset:176
	scratch_load_b128 v[115:118], off, off offset:32
	ds_load_b128 v[119:122], v1 offset:576
	scratch_load_b128 v[123:126], off, off offset:192
	ds_load_b128 v[127:130], v1 offset:608
	s_wait_loadcnt_dscnt 0xa02
	v_mul_f64_e32 v[2:3], v[109:110], v[8:9]
	v_mul_f64_e32 v[8:9], v[107:108], v[8:9]
	s_delay_alu instid0(VALU_DEP_2) | instskip(NEXT) | instid1(VALU_DEP_2)
	v_fma_f64 v[2:3], v[107:108], v[6:7], -v[2:3]
	v_fma_f64 v[131:132], v[109:110], v[6:7], v[8:9]
	ds_load_b128 v[6:9], v1 offset:592
	s_wait_loadcnt_dscnt 0x902
	v_mul_f64_e32 v[18:19], v[119:120], v[12:13]
	v_mul_f64_e32 v[12:13], v[121:122], v[12:13]
	scratch_load_b128 v[107:110], off, off offset:208
	s_wait_loadcnt_dscnt 0x900
	v_mul_f64_e32 v[133:134], v[6:7], v[16:17]
	v_mul_f64_e32 v[16:17], v[8:9], v[16:17]
	v_add_f64_e32 v[2:3], 0, v[2:3]
	v_fma_f64 v[18:19], v[121:122], v[10:11], v[18:19]
	v_fma_f64 v[119:120], v[119:120], v[10:11], -v[12:13]
	v_add_f64_e32 v[121:122], 0, v[131:132]
	scratch_load_b128 v[10:13], off, off offset:224
	v_fma_f64 v[133:134], v[8:9], v[14:15], v[133:134]
	v_fma_f64 v[135:136], v[6:7], v[14:15], -v[16:17]
	ds_load_b128 v[6:9], v1 offset:624
	s_wait_loadcnt 0x9
	v_mul_f64_e32 v[131:132], v[127:128], v[89:90]
	v_mul_f64_e32 v[89:90], v[129:130], v[89:90]
	scratch_load_b128 v[14:17], off, off offset:240
	v_add_f64_e32 v[2:3], v[2:3], v[119:120]
	v_add_f64_e32 v[18:19], v[121:122], v[18:19]
	s_wait_loadcnt_dscnt 0x900
	v_mul_f64_e32 v[137:138], v[6:7], v[93:94]
	v_mul_f64_e32 v[93:94], v[8:9], v[93:94]
	ds_load_b128 v[119:122], v1 offset:640
	v_fma_f64 v[129:130], v[129:130], v[87:88], v[131:132]
	v_fma_f64 v[127:128], v[127:128], v[87:88], -v[89:90]
	scratch_load_b128 v[87:90], off, off offset:256
	v_add_f64_e32 v[2:3], v[2:3], v[135:136]
	v_add_f64_e32 v[18:19], v[18:19], v[133:134]
	v_fma_f64 v[133:134], v[8:9], v[91:92], v[137:138]
	v_fma_f64 v[135:136], v[6:7], v[91:92], -v[93:94]
	ds_load_b128 v[6:9], v1 offset:656
	s_wait_loadcnt_dscnt 0x901
	v_mul_f64_e32 v[131:132], v[119:120], v[97:98]
	v_mul_f64_e32 v[97:98], v[121:122], v[97:98]
	scratch_load_b128 v[91:94], off, off offset:272
	s_wait_loadcnt_dscnt 0x900
	v_mul_f64_e32 v[137:138], v[6:7], v[101:102]
	v_mul_f64_e32 v[101:102], v[8:9], v[101:102]
	v_add_f64_e32 v[2:3], v[2:3], v[127:128]
	v_add_f64_e32 v[18:19], v[18:19], v[129:130]
	ds_load_b128 v[127:130], v1 offset:672
	v_fma_f64 v[121:122], v[121:122], v[95:96], v[131:132]
	v_fma_f64 v[119:120], v[119:120], v[95:96], -v[97:98]
	scratch_load_b128 v[95:98], off, off offset:288
	v_add_f64_e32 v[2:3], v[2:3], v[135:136]
	v_add_f64_e32 v[18:19], v[18:19], v[133:134]
	v_fma_f64 v[133:134], v[8:9], v[99:100], v[137:138]
	v_fma_f64 v[135:136], v[6:7], v[99:100], -v[101:102]
	ds_load_b128 v[6:9], v1 offset:688
	s_wait_loadcnt_dscnt 0x901
	v_mul_f64_e32 v[131:132], v[127:128], v[105:106]
	v_mul_f64_e32 v[105:106], v[129:130], v[105:106]
	scratch_load_b128 v[99:102], off, off offset:304
	s_wait_loadcnt_dscnt 0x900
	v_mul_f64_e32 v[137:138], v[6:7], v[113:114]
	v_mul_f64_e32 v[113:114], v[8:9], v[113:114]
	v_add_f64_e32 v[2:3], v[2:3], v[119:120]
	v_add_f64_e32 v[18:19], v[18:19], v[121:122]
	ds_load_b128 v[119:122], v1 offset:704
	v_fma_f64 v[129:130], v[129:130], v[103:104], v[131:132]
	v_fma_f64 v[127:128], v[127:128], v[103:104], -v[105:106]
	scratch_load_b128 v[103:106], off, off offset:320
	v_add_f64_e32 v[2:3], v[2:3], v[135:136]
	v_add_f64_e32 v[18:19], v[18:19], v[133:134]
	v_fma_f64 v[135:136], v[8:9], v[111:112], v[137:138]
	v_fma_f64 v[137:138], v[6:7], v[111:112], -v[113:114]
	ds_load_b128 v[6:9], v1 offset:720
	s_wait_loadcnt_dscnt 0x801
	v_mul_f64_e32 v[131:132], v[119:120], v[125:126]
	v_mul_f64_e32 v[133:134], v[121:122], v[125:126]
	scratch_load_b128 v[111:114], off, off offset:336
	v_add_f64_e32 v[2:3], v[2:3], v[127:128]
	v_add_f64_e32 v[18:19], v[18:19], v[129:130]
	ds_load_b128 v[125:128], v1 offset:736
	v_fma_f64 v[131:132], v[121:122], v[123:124], v[131:132]
	v_fma_f64 v[123:124], v[119:120], v[123:124], -v[133:134]
	scratch_load_b128 v[119:122], off, off offset:352
	s_wait_loadcnt_dscnt 0x901
	v_mul_f64_e32 v[129:130], v[6:7], v[109:110]
	v_mul_f64_e32 v[109:110], v[8:9], v[109:110]
	v_add_f64_e32 v[2:3], v[2:3], v[137:138]
	v_add_f64_e32 v[18:19], v[18:19], v[135:136]
	s_delay_alu instid0(VALU_DEP_4) | instskip(NEXT) | instid1(VALU_DEP_4)
	v_fma_f64 v[135:136], v[8:9], v[107:108], v[129:130]
	v_fma_f64 v[137:138], v[6:7], v[107:108], -v[109:110]
	ds_load_b128 v[6:9], v1 offset:752
	s_wait_loadcnt_dscnt 0x801
	v_mul_f64_e32 v[133:134], v[125:126], v[12:13]
	v_mul_f64_e32 v[12:13], v[127:128], v[12:13]
	scratch_load_b128 v[107:110], off, off offset:368
	v_add_f64_e32 v[2:3], v[2:3], v[123:124]
	v_add_f64_e32 v[18:19], v[18:19], v[131:132]
	s_wait_loadcnt_dscnt 0x800
	v_mul_f64_e32 v[123:124], v[6:7], v[16:17]
	v_mul_f64_e32 v[16:17], v[8:9], v[16:17]
	ds_load_b128 v[129:132], v1 offset:768
	v_fma_f64 v[127:128], v[127:128], v[10:11], v[133:134]
	v_fma_f64 v[125:126], v[125:126], v[10:11], -v[12:13]
	scratch_load_b128 v[10:13], off, off offset:384
	v_add_f64_e32 v[2:3], v[2:3], v[137:138]
	v_add_f64_e32 v[18:19], v[18:19], v[135:136]
	v_fma_f64 v[135:136], v[8:9], v[14:15], v[123:124]
	v_fma_f64 v[137:138], v[6:7], v[14:15], -v[16:17]
	ds_load_b128 v[6:9], v1 offset:784
	s_wait_loadcnt_dscnt 0x801
	v_mul_f64_e32 v[133:134], v[129:130], v[89:90]
	v_mul_f64_e32 v[89:90], v[131:132], v[89:90]
	scratch_load_b128 v[14:17], off, off offset:400
	v_add_f64_e32 v[2:3], v[2:3], v[125:126]
	v_add_f64_e32 v[18:19], v[18:19], v[127:128]
	s_wait_loadcnt_dscnt 0x800
	v_mul_f64_e32 v[127:128], v[6:7], v[93:94]
	v_mul_f64_e32 v[93:94], v[8:9], v[93:94]
	ds_load_b128 v[123:126], v1 offset:800
	v_fma_f64 v[131:132], v[131:132], v[87:88], v[133:134]
	v_fma_f64 v[129:130], v[129:130], v[87:88], -v[89:90]
	scratch_load_b128 v[87:90], off, off offset:416
	v_add_f64_e32 v[2:3], v[2:3], v[137:138]
	v_add_f64_e32 v[18:19], v[18:19], v[135:136]
	;; [unrolled: 18-line block ×3, first 2 shown]
	v_fma_f64 v[131:132], v[8:9], v[99:100], v[131:132]
	v_fma_f64 v[135:136], v[6:7], v[99:100], -v[101:102]
	ds_load_b128 v[6:9], v1 offset:848
	s_wait_loadcnt_dscnt 0x801
	v_mul_f64_e32 v[133:134], v[127:128], v[105:106]
	v_mul_f64_e32 v[105:106], v[129:130], v[105:106]
	scratch_load_b128 v[99:102], off, off offset:464
	s_wait_loadcnt_dscnt 0x800
	v_mul_f64_e32 v[137:138], v[6:7], v[113:114]
	v_mul_f64_e32 v[113:114], v[8:9], v[113:114]
	v_add_f64_e32 v[2:3], v[2:3], v[123:124]
	v_add_f64_e32 v[18:19], v[18:19], v[125:126]
	ds_load_b128 v[123:126], v1 offset:864
	v_fma_f64 v[129:130], v[129:130], v[103:104], v[133:134]
	v_fma_f64 v[127:128], v[127:128], v[103:104], -v[105:106]
	scratch_load_b128 v[103:106], off, off offset:480
	v_fma_f64 v[133:134], v[8:9], v[111:112], v[137:138]
	v_add_f64_e32 v[2:3], v[2:3], v[135:136]
	v_add_f64_e32 v[18:19], v[18:19], v[131:132]
	v_fma_f64 v[135:136], v[6:7], v[111:112], -v[113:114]
	ds_load_b128 v[6:9], v1 offset:880
	s_wait_loadcnt_dscnt 0x801
	v_mul_f64_e32 v[131:132], v[123:124], v[121:122]
	v_mul_f64_e32 v[121:122], v[125:126], v[121:122]
	scratch_load_b128 v[111:114], off, off offset:496
	s_wait_loadcnt_dscnt 0x800
	v_mul_f64_e32 v[137:138], v[6:7], v[109:110]
	v_add_f64_e32 v[2:3], v[2:3], v[127:128]
	v_add_f64_e32 v[18:19], v[18:19], v[129:130]
	v_mul_f64_e32 v[109:110], v[8:9], v[109:110]
	v_fma_f64 v[125:126], v[125:126], v[119:120], v[131:132]
	v_fma_f64 v[123:124], v[123:124], v[119:120], -v[121:122]
	ds_load_b128 v[127:130], v1 offset:896
	scratch_load_b128 v[119:122], off, off offset:512
	v_add_f64_e32 v[2:3], v[2:3], v[135:136]
	v_add_f64_e32 v[18:19], v[18:19], v[133:134]
	v_fma_f64 v[133:134], v[8:9], v[107:108], v[137:138]
	v_fma_f64 v[135:136], v[6:7], v[107:108], -v[109:110]
	ds_load_b128 v[6:9], v1 offset:912
	s_wait_loadcnt_dscnt 0x801
	v_mul_f64_e32 v[131:132], v[127:128], v[12:13]
	v_mul_f64_e32 v[12:13], v[129:130], v[12:13]
	scratch_load_b128 v[107:110], off, off offset:528
	s_wait_loadcnt_dscnt 0x800
	v_mul_f64_e32 v[137:138], v[6:7], v[16:17]
	v_mul_f64_e32 v[16:17], v[8:9], v[16:17]
	v_add_f64_e32 v[2:3], v[2:3], v[123:124]
	v_add_f64_e32 v[18:19], v[18:19], v[125:126]
	ds_load_b128 v[123:126], v1 offset:928
	v_fma_f64 v[129:130], v[129:130], v[10:11], v[131:132]
	v_fma_f64 v[10:11], v[127:128], v[10:11], -v[12:13]
	v_fma_f64 v[127:128], v[8:9], v[14:15], v[137:138]
	v_fma_f64 v[14:15], v[6:7], v[14:15], -v[16:17]
	v_add_f64_e32 v[2:3], v[2:3], v[135:136]
	v_add_f64_e32 v[12:13], v[18:19], v[133:134]
	s_wait_loadcnt_dscnt 0x700
	v_mul_f64_e32 v[18:19], v[123:124], v[89:90]
	v_mul_f64_e32 v[89:90], v[125:126], v[89:90]
	s_delay_alu instid0(VALU_DEP_4) | instskip(NEXT) | instid1(VALU_DEP_4)
	v_add_f64_e32 v[2:3], v[2:3], v[10:11]
	v_add_f64_e32 v[16:17], v[12:13], v[129:130]
	ds_load_b128 v[6:9], v1 offset:944
	ds_load_b128 v[10:13], v1 offset:960
	v_fma_f64 v[18:19], v[125:126], v[87:88], v[18:19]
	v_fma_f64 v[87:88], v[123:124], v[87:88], -v[89:90]
	s_wait_loadcnt_dscnt 0x601
	v_mul_f64_e32 v[129:130], v[6:7], v[93:94]
	v_mul_f64_e32 v[93:94], v[8:9], v[93:94]
	s_wait_loadcnt_dscnt 0x500
	v_mul_f64_e32 v[89:90], v[10:11], v[97:98]
	v_mul_f64_e32 v[97:98], v[12:13], v[97:98]
	v_add_f64_e32 v[2:3], v[2:3], v[14:15]
	v_add_f64_e32 v[14:15], v[16:17], v[127:128]
	v_fma_f64 v[123:124], v[8:9], v[91:92], v[129:130]
	v_fma_f64 v[91:92], v[6:7], v[91:92], -v[93:94]
	v_fma_f64 v[12:13], v[12:13], v[95:96], v[89:90]
	v_fma_f64 v[10:11], v[10:11], v[95:96], -v[97:98]
	v_add_f64_e32 v[2:3], v[2:3], v[87:88]
	v_add_f64_e32 v[18:19], v[14:15], v[18:19]
	ds_load_b128 v[6:9], v1 offset:976
	ds_load_b128 v[14:17], v1 offset:992
	s_wait_loadcnt_dscnt 0x401
	v_mul_f64_e32 v[87:88], v[6:7], v[101:102]
	v_mul_f64_e32 v[93:94], v[8:9], v[101:102]
	s_wait_loadcnt_dscnt 0x300
	v_mul_f64_e32 v[89:90], v[14:15], v[105:106]
	v_add_f64_e32 v[2:3], v[2:3], v[91:92]
	v_add_f64_e32 v[18:19], v[18:19], v[123:124]
	v_mul_f64_e32 v[91:92], v[16:17], v[105:106]
	v_fma_f64 v[87:88], v[8:9], v[99:100], v[87:88]
	v_fma_f64 v[93:94], v[6:7], v[99:100], -v[93:94]
	v_fma_f64 v[16:17], v[16:17], v[103:104], v[89:90]
	v_add_f64_e32 v[2:3], v[2:3], v[10:11]
	v_add_f64_e32 v[18:19], v[18:19], v[12:13]
	ds_load_b128 v[6:9], v1 offset:1008
	ds_load_b128 v[10:13], v1 offset:1024
	v_fma_f64 v[14:15], v[14:15], v[103:104], -v[91:92]
	s_wait_loadcnt_dscnt 0x201
	v_mul_f64_e32 v[95:96], v[6:7], v[113:114]
	v_mul_f64_e32 v[97:98], v[8:9], v[113:114]
	s_wait_loadcnt_dscnt 0x100
	v_mul_f64_e32 v[89:90], v[12:13], v[121:122]
	v_add_f64_e32 v[2:3], v[2:3], v[93:94]
	v_add_f64_e32 v[18:19], v[18:19], v[87:88]
	v_mul_f64_e32 v[87:88], v[10:11], v[121:122]
	v_fma_f64 v[91:92], v[8:9], v[111:112], v[95:96]
	v_fma_f64 v[93:94], v[6:7], v[111:112], -v[97:98]
	ds_load_b128 v[6:9], v1 offset:1040
	v_fma_f64 v[10:11], v[10:11], v[119:120], -v[89:90]
	v_add_f64_e32 v[2:3], v[2:3], v[14:15]
	v_add_f64_e32 v[14:15], v[18:19], v[16:17]
	v_fma_f64 v[12:13], v[12:13], v[119:120], v[87:88]
	s_wait_loadcnt_dscnt 0x0
	v_mul_f64_e32 v[16:17], v[6:7], v[109:110]
	v_mul_f64_e32 v[18:19], v[8:9], v[109:110]
	v_add_f64_e32 v[2:3], v[2:3], v[93:94]
	v_add_f64_e32 v[14:15], v[14:15], v[91:92]
	s_delay_alu instid0(VALU_DEP_4) | instskip(NEXT) | instid1(VALU_DEP_4)
	v_fma_f64 v[8:9], v[8:9], v[107:108], v[16:17]
	v_fma_f64 v[6:7], v[6:7], v[107:108], -v[18:19]
	s_delay_alu instid0(VALU_DEP_4) | instskip(NEXT) | instid1(VALU_DEP_4)
	v_add_f64_e32 v[2:3], v[2:3], v[10:11]
	v_add_f64_e32 v[10:11], v[14:15], v[12:13]
	s_delay_alu instid0(VALU_DEP_2) | instskip(NEXT) | instid1(VALU_DEP_2)
	v_add_f64_e32 v[2:3], v[2:3], v[6:7]
	v_add_f64_e32 v[8:9], v[10:11], v[8:9]
	s_delay_alu instid0(VALU_DEP_2) | instskip(NEXT) | instid1(VALU_DEP_2)
	v_add_f64_e64 v[6:7], v[115:116], -v[2:3]
	v_add_f64_e64 v[8:9], v[117:118], -v[8:9]
	scratch_store_b128 off, v[6:9], off offset:32
	v_cmpx_ne_u32_e32 0, v0
	s_cbranch_execz .LBB32_211
; %bb.210:
	scratch_load_b128 v[6:9], off, off offset:16
	v_dual_mov_b32 v2, v1 :: v_dual_mov_b32 v3, v1
	v_mov_b32_e32 v4, v1
	scratch_store_b128 off, v[1:4], off offset:16
	s_wait_loadcnt 0x0
	ds_store_b128 v5, v[6:9]
.LBB32_211:
	s_wait_alu 0xfffe
	s_or_b32 exec_lo, exec_lo, s0
	s_wait_storecnt_dscnt 0x0
	s_barrier_signal -1
	s_barrier_wait -1
	global_inv scope:SCOPE_SE
	s_clause 0x8
	scratch_load_b128 v[2:5], off, off offset:32
	scratch_load_b128 v[6:9], off, off offset:48
	;; [unrolled: 1-line block ×9, first 2 shown]
	ds_load_b128 v[107:110], v1 offset:544
	ds_load_b128 v[111:114], v1 offset:560
	s_clause 0x1
	scratch_load_b128 v[115:118], off, off offset:16
	scratch_load_b128 v[119:122], off, off offset:176
	s_and_b32 vcc_lo, exec_lo, s18
	ds_load_b128 v[123:126], v1 offset:592
	s_wait_loadcnt_dscnt 0xa02
	v_mul_f64_e32 v[18:19], v[109:110], v[4:5]
	v_mul_f64_e32 v[4:5], v[107:108], v[4:5]
	s_wait_loadcnt_dscnt 0x901
	v_mul_f64_e32 v[127:128], v[111:112], v[8:9]
	v_mul_f64_e32 v[8:9], v[113:114], v[8:9]
	s_wait_loadcnt_dscnt 0x700
	v_mul_f64_e32 v[133:134], v[125:126], v[16:17]
	v_fma_f64 v[18:19], v[107:108], v[2:3], -v[18:19]
	v_fma_f64 v[129:130], v[109:110], v[2:3], v[4:5]
	ds_load_b128 v[2:5], v1 offset:576
	scratch_load_b128 v[107:110], off, off offset:192
	v_fma_f64 v[113:114], v[113:114], v[6:7], v[127:128]
	v_fma_f64 v[111:112], v[111:112], v[6:7], -v[8:9]
	scratch_load_b128 v[6:9], off, off offset:208
	s_wait_dscnt 0x0
	v_mul_f64_e32 v[131:132], v[2:3], v[12:13]
	v_mul_f64_e32 v[12:13], v[4:5], v[12:13]
	v_add_f64_e32 v[18:19], 0, v[18:19]
	v_add_f64_e32 v[127:128], 0, v[129:130]
	v_mul_f64_e32 v[129:130], v[123:124], v[16:17]
	v_fma_f64 v[131:132], v[4:5], v[10:11], v[131:132]
	v_fma_f64 v[135:136], v[2:3], v[10:11], -v[12:13]
	ds_load_b128 v[2:5], v1 offset:608
	scratch_load_b128 v[10:13], off, off offset:224
	v_add_f64_e32 v[111:112], v[18:19], v[111:112]
	v_add_f64_e32 v[113:114], v[127:128], v[113:114]
	ds_load_b128 v[16:19], v1 offset:624
	v_fma_f64 v[125:126], v[125:126], v[14:15], v[129:130]
	v_fma_f64 v[14:15], v[123:124], v[14:15], -v[133:134]
	s_wait_loadcnt_dscnt 0x901
	v_mul_f64_e32 v[127:128], v[2:3], v[89:90]
	v_mul_f64_e32 v[89:90], v[4:5], v[89:90]
	v_add_f64_e32 v[123:124], v[111:112], v[135:136]
	v_add_f64_e32 v[129:130], v[113:114], v[131:132]
	scratch_load_b128 v[111:114], off, off offset:240
	s_wait_loadcnt_dscnt 0x900
	v_mul_f64_e32 v[131:132], v[16:17], v[93:94]
	v_mul_f64_e32 v[93:94], v[18:19], v[93:94]
	v_fma_f64 v[127:128], v[4:5], v[87:88], v[127:128]
	v_fma_f64 v[133:134], v[2:3], v[87:88], -v[89:90]
	ds_load_b128 v[2:5], v1 offset:640
	scratch_load_b128 v[87:90], off, off offset:256
	v_add_f64_e32 v[14:15], v[123:124], v[14:15]
	v_add_f64_e32 v[129:130], v[129:130], v[125:126]
	ds_load_b128 v[123:126], v1 offset:656
	s_wait_loadcnt_dscnt 0x901
	v_mul_f64_e32 v[135:136], v[2:3], v[97:98]
	v_mul_f64_e32 v[97:98], v[4:5], v[97:98]
	v_fma_f64 v[18:19], v[18:19], v[91:92], v[131:132]
	v_fma_f64 v[91:92], v[16:17], v[91:92], -v[93:94]
	v_add_f64_e32 v[93:94], v[14:15], v[133:134]
	v_add_f64_e32 v[127:128], v[129:130], v[127:128]
	scratch_load_b128 v[14:17], off, off offset:272
	s_wait_loadcnt_dscnt 0x900
	v_mul_f64_e32 v[129:130], v[123:124], v[101:102]
	v_mul_f64_e32 v[101:102], v[125:126], v[101:102]
	v_fma_f64 v[131:132], v[4:5], v[95:96], v[135:136]
	v_fma_f64 v[133:134], v[2:3], v[95:96], -v[97:98]
	ds_load_b128 v[2:5], v1 offset:672
	ds_load_b128 v[95:98], v1 offset:688
	v_add_f64_e32 v[135:136], v[93:94], v[91:92]
	v_add_f64_e32 v[18:19], v[127:128], v[18:19]
	scratch_load_b128 v[91:94], off, off offset:288
	s_wait_loadcnt_dscnt 0x901
	v_mul_f64_e32 v[127:128], v[2:3], v[105:106]
	v_mul_f64_e32 v[105:106], v[4:5], v[105:106]
	v_fma_f64 v[125:126], v[125:126], v[99:100], v[129:130]
	v_fma_f64 v[123:124], v[123:124], v[99:100], -v[101:102]
	scratch_load_b128 v[99:102], off, off offset:304
	v_add_f64_e32 v[129:130], v[135:136], v[133:134]
	v_add_f64_e32 v[18:19], v[18:19], v[131:132]
	s_wait_loadcnt_dscnt 0x800
	v_mul_f64_e32 v[131:132], v[95:96], v[121:122]
	v_mul_f64_e32 v[133:134], v[97:98], v[121:122]
	v_fma_f64 v[127:128], v[4:5], v[103:104], v[127:128]
	v_fma_f64 v[135:136], v[2:3], v[103:104], -v[105:106]
	ds_load_b128 v[2:5], v1 offset:704
	scratch_load_b128 v[103:106], off, off offset:320
	v_add_f64_e32 v[129:130], v[129:130], v[123:124]
	v_add_f64_e32 v[18:19], v[18:19], v[125:126]
	ds_load_b128 v[121:124], v1 offset:720
	v_fma_f64 v[131:132], v[97:98], v[119:120], v[131:132]
	v_fma_f64 v[119:120], v[95:96], v[119:120], -v[133:134]
	scratch_load_b128 v[95:98], off, off offset:336
	s_wait_loadcnt_dscnt 0x901
	v_mul_f64_e32 v[125:126], v[2:3], v[109:110]
	v_mul_f64_e32 v[109:110], v[4:5], v[109:110]
	s_wait_loadcnt_dscnt 0x800
	v_mul_f64_e32 v[133:134], v[121:122], v[8:9]
	v_mul_f64_e32 v[8:9], v[123:124], v[8:9]
	v_add_f64_e32 v[129:130], v[129:130], v[135:136]
	v_add_f64_e32 v[18:19], v[18:19], v[127:128]
	v_fma_f64 v[135:136], v[4:5], v[107:108], v[125:126]
	v_fma_f64 v[137:138], v[2:3], v[107:108], -v[109:110]
	ds_load_b128 v[2:5], v1 offset:736
	ds_load_b128 v[125:128], v1 offset:752
	scratch_load_b128 v[107:110], off, off offset:352
	v_fma_f64 v[123:124], v[123:124], v[6:7], v[133:134]
	v_fma_f64 v[121:122], v[121:122], v[6:7], -v[8:9]
	scratch_load_b128 v[6:9], off, off offset:368
	v_add_f64_e32 v[119:120], v[129:130], v[119:120]
	v_add_f64_e32 v[18:19], v[18:19], v[131:132]
	s_wait_loadcnt_dscnt 0x901
	v_mul_f64_e32 v[129:130], v[2:3], v[12:13]
	v_mul_f64_e32 v[12:13], v[4:5], v[12:13]
	s_delay_alu instid0(VALU_DEP_4) | instskip(NEXT) | instid1(VALU_DEP_4)
	v_add_f64_e32 v[119:120], v[119:120], v[137:138]
	v_add_f64_e32 v[18:19], v[18:19], v[135:136]
	s_delay_alu instid0(VALU_DEP_4) | instskip(NEXT) | instid1(VALU_DEP_4)
	v_fma_f64 v[129:130], v[4:5], v[10:11], v[129:130]
	v_fma_f64 v[133:134], v[2:3], v[10:11], -v[12:13]
	ds_load_b128 v[2:5], v1 offset:768
	scratch_load_b128 v[10:13], off, off offset:384
	s_wait_loadcnt_dscnt 0x901
	v_mul_f64_e32 v[131:132], v[125:126], v[113:114]
	v_mul_f64_e32 v[113:114], v[127:128], v[113:114]
	v_add_f64_e32 v[135:136], v[119:120], v[121:122]
	v_add_f64_e32 v[18:19], v[18:19], v[123:124]
	ds_load_b128 v[119:122], v1 offset:784
	s_wait_loadcnt_dscnt 0x801
	v_mul_f64_e32 v[123:124], v[2:3], v[89:90]
	v_mul_f64_e32 v[89:90], v[4:5], v[89:90]
	v_fma_f64 v[127:128], v[127:128], v[111:112], v[131:132]
	v_fma_f64 v[125:126], v[125:126], v[111:112], -v[113:114]
	scratch_load_b128 v[111:114], off, off offset:400
	v_add_f64_e32 v[131:132], v[135:136], v[133:134]
	v_add_f64_e32 v[18:19], v[18:19], v[129:130]
	v_fma_f64 v[123:124], v[4:5], v[87:88], v[123:124]
	v_fma_f64 v[135:136], v[2:3], v[87:88], -v[89:90]
	ds_load_b128 v[2:5], v1 offset:800
	ds_load_b128 v[87:90], v1 offset:816
	s_wait_loadcnt_dscnt 0x802
	v_mul_f64_e32 v[129:130], v[119:120], v[16:17]
	v_mul_f64_e32 v[133:134], v[121:122], v[16:17]
	v_add_f64_e32 v[125:126], v[131:132], v[125:126]
	v_add_f64_e32 v[127:128], v[18:19], v[127:128]
	scratch_load_b128 v[16:19], off, off offset:416
	s_wait_loadcnt_dscnt 0x801
	v_mul_f64_e32 v[131:132], v[2:3], v[93:94]
	v_mul_f64_e32 v[93:94], v[4:5], v[93:94]
	v_fma_f64 v[129:130], v[121:122], v[14:15], v[129:130]
	v_fma_f64 v[14:15], v[119:120], v[14:15], -v[133:134]
	scratch_load_b128 v[119:122], off, off offset:432
	v_add_f64_e32 v[125:126], v[125:126], v[135:136]
	v_add_f64_e32 v[123:124], v[127:128], v[123:124]
	s_wait_loadcnt_dscnt 0x800
	v_mul_f64_e32 v[127:128], v[87:88], v[101:102]
	v_mul_f64_e32 v[101:102], v[89:90], v[101:102]
	v_fma_f64 v[131:132], v[4:5], v[91:92], v[131:132]
	v_fma_f64 v[133:134], v[2:3], v[91:92], -v[93:94]
	ds_load_b128 v[2:5], v1 offset:832
	scratch_load_b128 v[91:94], off, off offset:448
	v_add_f64_e32 v[14:15], v[125:126], v[14:15]
	v_add_f64_e32 v[129:130], v[123:124], v[129:130]
	ds_load_b128 v[123:126], v1 offset:848
	s_wait_loadcnt_dscnt 0x801
	v_mul_f64_e32 v[135:136], v[2:3], v[105:106]
	v_mul_f64_e32 v[105:106], v[4:5], v[105:106]
	v_fma_f64 v[127:128], v[89:90], v[99:100], v[127:128]
	v_fma_f64 v[99:100], v[87:88], v[99:100], -v[101:102]
	scratch_load_b128 v[87:90], off, off offset:464
	v_add_f64_e32 v[14:15], v[14:15], v[133:134]
	v_add_f64_e32 v[101:102], v[129:130], v[131:132]
	s_wait_loadcnt_dscnt 0x800
	v_mul_f64_e32 v[129:130], v[123:124], v[97:98]
	v_mul_f64_e32 v[131:132], v[125:126], v[97:98]
	v_fma_f64 v[133:134], v[4:5], v[103:104], v[135:136]
	v_fma_f64 v[105:106], v[2:3], v[103:104], -v[105:106]
	ds_load_b128 v[2:5], v1 offset:864
	v_add_f64_e32 v[14:15], v[14:15], v[99:100]
	v_add_f64_e32 v[127:128], v[101:102], v[127:128]
	scratch_load_b128 v[97:100], off, off offset:480
	ds_load_b128 v[101:104], v1 offset:880
	s_wait_loadcnt_dscnt 0x801
	v_mul_f64_e32 v[135:136], v[2:3], v[109:110]
	v_mul_f64_e32 v[109:110], v[4:5], v[109:110]
	v_fma_f64 v[129:130], v[125:126], v[95:96], v[129:130]
	v_fma_f64 v[95:96], v[123:124], v[95:96], -v[131:132]
	scratch_load_b128 v[123:126], off, off offset:496
	s_wait_loadcnt_dscnt 0x800
	v_mul_f64_e32 v[131:132], v[101:102], v[8:9]
	v_mul_f64_e32 v[8:9], v[103:104], v[8:9]
	v_add_f64_e32 v[14:15], v[14:15], v[105:106]
	v_add_f64_e32 v[105:106], v[127:128], v[133:134]
	v_fma_f64 v[133:134], v[4:5], v[107:108], v[135:136]
	v_fma_f64 v[109:110], v[2:3], v[107:108], -v[109:110]
	ds_load_b128 v[2:5], v1 offset:896
	v_fma_f64 v[103:104], v[103:104], v[6:7], v[131:132]
	v_fma_f64 v[101:102], v[101:102], v[6:7], -v[8:9]
	scratch_load_b128 v[6:9], off, off offset:528
	v_add_f64_e32 v[14:15], v[14:15], v[95:96]
	v_add_f64_e32 v[95:96], v[105:106], v[129:130]
	scratch_load_b128 v[105:108], off, off offset:512
	ds_load_b128 v[127:130], v1 offset:912
	s_wait_loadcnt_dscnt 0x901
	v_mul_f64_e32 v[135:136], v[2:3], v[12:13]
	v_mul_f64_e32 v[12:13], v[4:5], v[12:13]
	v_add_f64_e32 v[14:15], v[14:15], v[109:110]
	v_add_f64_e32 v[95:96], v[95:96], v[133:134]
	s_wait_loadcnt_dscnt 0x800
	v_mul_f64_e32 v[109:110], v[127:128], v[113:114]
	v_mul_f64_e32 v[113:114], v[129:130], v[113:114]
	v_fma_f64 v[131:132], v[4:5], v[10:11], v[135:136]
	v_fma_f64 v[133:134], v[2:3], v[10:11], -v[12:13]
	ds_load_b128 v[2:5], v1 offset:928
	ds_load_b128 v[10:13], v1 offset:944
	v_add_f64_e32 v[14:15], v[14:15], v[101:102]
	v_add_f64_e32 v[95:96], v[95:96], v[103:104]
	v_fma_f64 v[103:104], v[129:130], v[111:112], v[109:110]
	v_fma_f64 v[109:110], v[127:128], v[111:112], -v[113:114]
	s_wait_loadcnt_dscnt 0x701
	v_mul_f64_e32 v[101:102], v[2:3], v[18:19]
	v_mul_f64_e32 v[18:19], v[4:5], v[18:19]
	s_wait_loadcnt_dscnt 0x600
	v_mul_f64_e32 v[111:112], v[10:11], v[121:122]
	v_add_f64_e32 v[14:15], v[14:15], v[133:134]
	v_add_f64_e32 v[95:96], v[95:96], v[131:132]
	v_mul_f64_e32 v[113:114], v[12:13], v[121:122]
	v_fma_f64 v[101:102], v[4:5], v[16:17], v[101:102]
	v_fma_f64 v[18:19], v[2:3], v[16:17], -v[18:19]
	v_fma_f64 v[12:13], v[12:13], v[119:120], v[111:112]
	v_add_f64_e32 v[109:110], v[14:15], v[109:110]
	v_add_f64_e32 v[95:96], v[95:96], v[103:104]
	ds_load_b128 v[2:5], v1 offset:960
	ds_load_b128 v[14:17], v1 offset:976
	v_fma_f64 v[10:11], v[10:11], v[119:120], -v[113:114]
	s_wait_loadcnt_dscnt 0x501
	v_mul_f64_e32 v[103:104], v[2:3], v[93:94]
	v_mul_f64_e32 v[93:94], v[4:5], v[93:94]
	v_add_f64_e32 v[18:19], v[109:110], v[18:19]
	v_add_f64_e32 v[95:96], v[95:96], v[101:102]
	s_wait_loadcnt_dscnt 0x400
	v_mul_f64_e32 v[101:102], v[14:15], v[89:90]
	v_mul_f64_e32 v[89:90], v[16:17], v[89:90]
	v_fma_f64 v[103:104], v[4:5], v[91:92], v[103:104]
	v_fma_f64 v[91:92], v[2:3], v[91:92], -v[93:94]
	v_add_f64_e32 v[18:19], v[18:19], v[10:11]
	v_add_f64_e32 v[93:94], v[95:96], v[12:13]
	ds_load_b128 v[2:5], v1 offset:992
	ds_load_b128 v[10:13], v1 offset:1008
	v_fma_f64 v[16:17], v[16:17], v[87:88], v[101:102]
	v_fma_f64 v[14:15], v[14:15], v[87:88], -v[89:90]
	s_wait_loadcnt_dscnt 0x301
	v_mul_f64_e32 v[95:96], v[2:3], v[99:100]
	v_mul_f64_e32 v[99:100], v[4:5], v[99:100]
	s_wait_loadcnt_dscnt 0x200
	v_mul_f64_e32 v[89:90], v[10:11], v[125:126]
	v_add_f64_e32 v[18:19], v[18:19], v[91:92]
	v_add_f64_e32 v[87:88], v[93:94], v[103:104]
	v_mul_f64_e32 v[91:92], v[12:13], v[125:126]
	v_fma_f64 v[93:94], v[4:5], v[97:98], v[95:96]
	v_fma_f64 v[95:96], v[2:3], v[97:98], -v[99:100]
	v_fma_f64 v[12:13], v[12:13], v[123:124], v[89:90]
	v_add_f64_e32 v[18:19], v[18:19], v[14:15]
	v_add_f64_e32 v[87:88], v[87:88], v[16:17]
	ds_load_b128 v[2:5], v1 offset:1024
	ds_load_b128 v[14:17], v1 offset:1040
	v_fma_f64 v[10:11], v[10:11], v[123:124], -v[91:92]
	s_wait_loadcnt_dscnt 0x1
	v_mul_f64_e32 v[0:1], v[2:3], v[107:108]
	v_mul_f64_e32 v[97:98], v[4:5], v[107:108]
	s_wait_dscnt 0x0
	v_mul_f64_e32 v[89:90], v[14:15], v[8:9]
	v_mul_f64_e32 v[8:9], v[16:17], v[8:9]
	v_add_f64_e32 v[18:19], v[18:19], v[95:96]
	v_add_f64_e32 v[87:88], v[87:88], v[93:94]
	v_fma_f64 v[0:1], v[4:5], v[105:106], v[0:1]
	v_fma_f64 v[2:3], v[2:3], v[105:106], -v[97:98]
	s_delay_alu instid0(VALU_DEP_4) | instskip(NEXT) | instid1(VALU_DEP_4)
	v_add_f64_e32 v[4:5], v[18:19], v[10:11]
	v_add_f64_e32 v[10:11], v[87:88], v[12:13]
	v_fma_f64 v[12:13], v[16:17], v[6:7], v[89:90]
	v_fma_f64 v[6:7], v[14:15], v[6:7], -v[8:9]
	s_delay_alu instid0(VALU_DEP_4) | instskip(NEXT) | instid1(VALU_DEP_4)
	v_add_f64_e32 v[2:3], v[4:5], v[2:3]
	v_add_f64_e32 v[0:1], v[10:11], v[0:1]
	s_delay_alu instid0(VALU_DEP_2) | instskip(NEXT) | instid1(VALU_DEP_2)
	v_add_f64_e32 v[2:3], v[2:3], v[6:7]
	v_add_f64_e32 v[4:5], v[0:1], v[12:13]
	s_delay_alu instid0(VALU_DEP_2) | instskip(NEXT) | instid1(VALU_DEP_2)
	v_add_f64_e64 v[0:1], v[115:116], -v[2:3]
	v_add_f64_e64 v[2:3], v[117:118], -v[4:5]
	scratch_store_b128 off, v[0:3], off offset:16
	s_wait_alu 0xfffe
	s_cbranch_vccz .LBB32_276
; %bb.212:
	v_mov_b32_e32 v0, 0
	global_load_b32 v1, v0, s[2:3] offset:124
	s_wait_loadcnt 0x0
	v_cmp_ne_u32_e32 vcc_lo, 32, v1
	s_cbranch_vccz .LBB32_214
; %bb.213:
	v_lshlrev_b32_e32 v1, 4, v1
	s_delay_alu instid0(VALU_DEP_1)
	v_add_nc_u32_e32 v9, 16, v1
	s_clause 0x1
	scratch_load_b128 v[1:4], v9, off offset:-16
	scratch_load_b128 v[5:8], off, s14
	s_wait_loadcnt 0x1
	scratch_store_b128 off, v[1:4], s14
	s_wait_loadcnt 0x0
	scratch_store_b128 v9, v[5:8], off offset:-16
.LBB32_214:
	global_load_b32 v0, v0, s[2:3] offset:120
	s_wait_loadcnt 0x0
	v_cmp_eq_u32_e32 vcc_lo, 31, v0
	s_cbranch_vccnz .LBB32_216
; %bb.215:
	v_lshlrev_b32_e32 v0, 4, v0
	s_delay_alu instid0(VALU_DEP_1)
	v_add_nc_u32_e32 v8, 16, v0
	s_clause 0x1
	scratch_load_b128 v[0:3], v8, off offset:-16
	scratch_load_b128 v[4:7], off, s24
	s_wait_loadcnt 0x1
	scratch_store_b128 off, v[0:3], s24
	s_wait_loadcnt 0x0
	scratch_store_b128 v8, v[4:7], off offset:-16
.LBB32_216:
	v_mov_b32_e32 v0, 0
	global_load_b32 v1, v0, s[2:3] offset:116
	s_wait_loadcnt 0x0
	v_cmp_eq_u32_e32 vcc_lo, 30, v1
	s_cbranch_vccnz .LBB32_218
; %bb.217:
	v_lshlrev_b32_e32 v1, 4, v1
	s_delay_alu instid0(VALU_DEP_1)
	v_add_nc_u32_e32 v9, 16, v1
	s_clause 0x1
	scratch_load_b128 v[1:4], v9, off offset:-16
	scratch_load_b128 v[5:8], off, s11
	s_wait_loadcnt 0x1
	scratch_store_b128 off, v[1:4], s11
	s_wait_loadcnt 0x0
	scratch_store_b128 v9, v[5:8], off offset:-16
.LBB32_218:
	global_load_b32 v0, v0, s[2:3] offset:112
	s_wait_loadcnt 0x0
	v_cmp_eq_u32_e32 vcc_lo, 29, v0
	s_cbranch_vccnz .LBB32_220
; %bb.219:
	v_lshlrev_b32_e32 v0, 4, v0
	s_delay_alu instid0(VALU_DEP_1)
	v_add_nc_u32_e32 v8, 16, v0
	s_clause 0x1
	scratch_load_b128 v[0:3], v8, off offset:-16
	scratch_load_b128 v[4:7], off, s23
	s_wait_loadcnt 0x1
	scratch_store_b128 off, v[0:3], s23
	s_wait_loadcnt 0x0
	scratch_store_b128 v8, v[4:7], off offset:-16
.LBB32_220:
	v_mov_b32_e32 v0, 0
	global_load_b32 v1, v0, s[2:3] offset:108
	s_wait_loadcnt 0x0
	v_cmp_eq_u32_e32 vcc_lo, 28, v1
	s_cbranch_vccnz .LBB32_222
; %bb.221:
	v_lshlrev_b32_e32 v1, 4, v1
	s_delay_alu instid0(VALU_DEP_1)
	v_add_nc_u32_e32 v9, 16, v1
	s_clause 0x1
	scratch_load_b128 v[1:4], v9, off offset:-16
	scratch_load_b128 v[5:8], off, s10
	s_wait_loadcnt 0x1
	scratch_store_b128 off, v[1:4], s10
	s_wait_loadcnt 0x0
	scratch_store_b128 v9, v[5:8], off offset:-16
.LBB32_222:
	;; [unrolled: 33-line block ×15, first 2 shown]
	global_load_b32 v0, v0, s[2:3]
	s_wait_loadcnt 0x0
	v_cmp_eq_u32_e32 vcc_lo, 1, v0
	s_cbranch_vccnz .LBB32_276
; %bb.275:
	v_lshlrev_b32_e32 v0, 4, v0
	s_delay_alu instid0(VALU_DEP_1)
	v_add_nc_u32_e32 v8, 16, v0
	scratch_load_b128 v[0:3], v8, off offset:-16
	scratch_load_b128 v[4:7], off, off offset:16
	s_wait_loadcnt 0x1
	scratch_store_b128 off, v[0:3], off offset:16
	s_wait_loadcnt 0x0
	scratch_store_b128 v8, v[4:7], off offset:-16
.LBB32_276:
	scratch_load_b128 v[0:3], off, off offset:16
	s_clause 0xf
	scratch_load_b128 v[4:7], off, s9
	scratch_load_b128 v[8:11], off, s8
	;; [unrolled: 1-line block ×16, first 2 shown]
	s_wait_loadcnt 0x10
	global_store_b128 v[21:22], v[0:3], off
	s_clause 0x1
	scratch_load_b128 v[0:3], off, s39
	scratch_load_b128 v[135:138], off, s37
	s_wait_loadcnt 0x11
	global_store_b128 v[23:24], v[4:7], off
	s_clause 0x1
	scratch_load_b128 v[4:7], off, s34
	scratch_load_b128 v[20:23], off, s31
	;; [unrolled: 5-line block ×3, first 2 shown]
	s_wait_loadcnt 0x13
	global_store_b128 v[27:28], v[12:15], off
	s_wait_loadcnt 0x12
	global_store_b128 v[29:30], v[16:19], off
	s_clause 0x1
	scratch_load_b128 v[12:15], off, s19
	scratch_load_b128 v[16:19], off, s22
	s_wait_loadcnt 0x13
	global_store_b128 v[31:32], v[87:90], off
	s_clause 0x1
	scratch_load_b128 v[24:27], off, s13
	scratch_load_b128 v[28:31], off, s20
	;; [unrolled: 5-line block ×3, first 2 shown]
	s_wait_loadcnt 0x15
	global_store_b128 v[35:36], v[95:98], off
	s_wait_loadcnt 0x14
	global_store_b128 v[37:38], v[99:102], off
	s_clause 0x1
	scratch_load_b128 v[32:35], off, s11
	scratch_load_b128 v[95:98], off, s24
	s_wait_loadcnt 0x15
	global_store_b128 v[39:40], v[103:106], off
	s_clause 0x1
	scratch_load_b128 v[36:39], off, s14
	scratch_load_b128 v[99:102], off, s25
	s_wait_loadcnt 0x16
	global_store_b128 v[41:42], v[107:110], off
	s_wait_loadcnt 0x15
	global_store_b128 v[43:44], v[111:114], off
	;; [unrolled: 2-line block ×23, first 2 shown]
	s_nop 0
	s_sendmsg sendmsg(MSG_DEALLOC_VGPRS)
	s_endpgm
	.section	.rodata,"a",@progbits
	.p2align	6, 0x0
	.amdhsa_kernel _ZN9rocsolver6v33100L18getri_kernel_smallILi33E19rocblas_complex_numIdEPS3_EEvT1_iilPiilS6_bb
		.amdhsa_group_segment_fixed_size 1064
		.amdhsa_private_segment_fixed_size 560
		.amdhsa_kernarg_size 60
		.amdhsa_user_sgpr_count 2
		.amdhsa_user_sgpr_dispatch_ptr 0
		.amdhsa_user_sgpr_queue_ptr 0
		.amdhsa_user_sgpr_kernarg_segment_ptr 1
		.amdhsa_user_sgpr_dispatch_id 0
		.amdhsa_user_sgpr_private_segment_size 0
		.amdhsa_wavefront_size32 1
		.amdhsa_uses_dynamic_stack 0
		.amdhsa_enable_private_segment 1
		.amdhsa_system_sgpr_workgroup_id_x 1
		.amdhsa_system_sgpr_workgroup_id_y 0
		.amdhsa_system_sgpr_workgroup_id_z 0
		.amdhsa_system_sgpr_workgroup_info 0
		.amdhsa_system_vgpr_workitem_id 0
		.amdhsa_next_free_vgpr 143
		.amdhsa_next_free_sgpr 45
		.amdhsa_reserve_vcc 1
		.amdhsa_float_round_mode_32 0
		.amdhsa_float_round_mode_16_64 0
		.amdhsa_float_denorm_mode_32 3
		.amdhsa_float_denorm_mode_16_64 3
		.amdhsa_fp16_overflow 0
		.amdhsa_workgroup_processor_mode 1
		.amdhsa_memory_ordered 1
		.amdhsa_forward_progress 1
		.amdhsa_inst_pref_size 255
		.amdhsa_round_robin_scheduling 0
		.amdhsa_exception_fp_ieee_invalid_op 0
		.amdhsa_exception_fp_denorm_src 0
		.amdhsa_exception_fp_ieee_div_zero 0
		.amdhsa_exception_fp_ieee_overflow 0
		.amdhsa_exception_fp_ieee_underflow 0
		.amdhsa_exception_fp_ieee_inexact 0
		.amdhsa_exception_int_div_zero 0
	.end_amdhsa_kernel
	.section	.text._ZN9rocsolver6v33100L18getri_kernel_smallILi33E19rocblas_complex_numIdEPS3_EEvT1_iilPiilS6_bb,"axG",@progbits,_ZN9rocsolver6v33100L18getri_kernel_smallILi33E19rocblas_complex_numIdEPS3_EEvT1_iilPiilS6_bb,comdat
.Lfunc_end32:
	.size	_ZN9rocsolver6v33100L18getri_kernel_smallILi33E19rocblas_complex_numIdEPS3_EEvT1_iilPiilS6_bb, .Lfunc_end32-_ZN9rocsolver6v33100L18getri_kernel_smallILi33E19rocblas_complex_numIdEPS3_EEvT1_iilPiilS6_bb
                                        ; -- End function
	.set _ZN9rocsolver6v33100L18getri_kernel_smallILi33E19rocblas_complex_numIdEPS3_EEvT1_iilPiilS6_bb.num_vgpr, 143
	.set _ZN9rocsolver6v33100L18getri_kernel_smallILi33E19rocblas_complex_numIdEPS3_EEvT1_iilPiilS6_bb.num_agpr, 0
	.set _ZN9rocsolver6v33100L18getri_kernel_smallILi33E19rocblas_complex_numIdEPS3_EEvT1_iilPiilS6_bb.numbered_sgpr, 45
	.set _ZN9rocsolver6v33100L18getri_kernel_smallILi33E19rocblas_complex_numIdEPS3_EEvT1_iilPiilS6_bb.num_named_barrier, 0
	.set _ZN9rocsolver6v33100L18getri_kernel_smallILi33E19rocblas_complex_numIdEPS3_EEvT1_iilPiilS6_bb.private_seg_size, 560
	.set _ZN9rocsolver6v33100L18getri_kernel_smallILi33E19rocblas_complex_numIdEPS3_EEvT1_iilPiilS6_bb.uses_vcc, 1
	.set _ZN9rocsolver6v33100L18getri_kernel_smallILi33E19rocblas_complex_numIdEPS3_EEvT1_iilPiilS6_bb.uses_flat_scratch, 1
	.set _ZN9rocsolver6v33100L18getri_kernel_smallILi33E19rocblas_complex_numIdEPS3_EEvT1_iilPiilS6_bb.has_dyn_sized_stack, 0
	.set _ZN9rocsolver6v33100L18getri_kernel_smallILi33E19rocblas_complex_numIdEPS3_EEvT1_iilPiilS6_bb.has_recursion, 0
	.set _ZN9rocsolver6v33100L18getri_kernel_smallILi33E19rocblas_complex_numIdEPS3_EEvT1_iilPiilS6_bb.has_indirect_call, 0
	.section	.AMDGPU.csdata,"",@progbits
; Kernel info:
; codeLenInByte = 51876
; TotalNumSgprs: 47
; NumVgprs: 143
; ScratchSize: 560
; MemoryBound: 0
; FloatMode: 240
; IeeeMode: 1
; LDSByteSize: 1064 bytes/workgroup (compile time only)
; SGPRBlocks: 0
; VGPRBlocks: 17
; NumSGPRsForWavesPerEU: 47
; NumVGPRsForWavesPerEU: 143
; Occupancy: 10
; WaveLimiterHint : 1
; COMPUTE_PGM_RSRC2:SCRATCH_EN: 1
; COMPUTE_PGM_RSRC2:USER_SGPR: 2
; COMPUTE_PGM_RSRC2:TRAP_HANDLER: 0
; COMPUTE_PGM_RSRC2:TGID_X_EN: 1
; COMPUTE_PGM_RSRC2:TGID_Y_EN: 0
; COMPUTE_PGM_RSRC2:TGID_Z_EN: 0
; COMPUTE_PGM_RSRC2:TIDIG_COMP_CNT: 0
	.section	.text._ZN9rocsolver6v33100L18getri_kernel_smallILi34E19rocblas_complex_numIdEPS3_EEvT1_iilPiilS6_bb,"axG",@progbits,_ZN9rocsolver6v33100L18getri_kernel_smallILi34E19rocblas_complex_numIdEPS3_EEvT1_iilPiilS6_bb,comdat
	.globl	_ZN9rocsolver6v33100L18getri_kernel_smallILi34E19rocblas_complex_numIdEPS3_EEvT1_iilPiilS6_bb ; -- Begin function _ZN9rocsolver6v33100L18getri_kernel_smallILi34E19rocblas_complex_numIdEPS3_EEvT1_iilPiilS6_bb
	.p2align	8
	.type	_ZN9rocsolver6v33100L18getri_kernel_smallILi34E19rocblas_complex_numIdEPS3_EEvT1_iilPiilS6_bb,@function
_ZN9rocsolver6v33100L18getri_kernel_smallILi34E19rocblas_complex_numIdEPS3_EEvT1_iilPiilS6_bb: ; @_ZN9rocsolver6v33100L18getri_kernel_smallILi34E19rocblas_complex_numIdEPS3_EEvT1_iilPiilS6_bb
; %bb.0:
	s_mov_b32 s2, exec_lo
	v_cmpx_gt_u32_e32 34, v0
	s_cbranch_execz .LBB33_150
; %bb.1:
	s_clause 0x2
	s_load_b32 s2, s[0:1], 0x38
	s_load_b128 s[12:15], s[0:1], 0x10
	s_load_b128 s[4:7], s[0:1], 0x28
	s_mov_b32 s16, ttmp9
	s_wait_kmcnt 0x0
	s_bitcmp1_b32 s2, 8
	s_cselect_b32 s18, -1, 0
	s_bfe_u32 s2, s2, 0x10008
	s_ashr_i32 s17, ttmp9, 31
	s_cmp_eq_u32 s2, 0
                                        ; implicit-def: $sgpr2_sgpr3
	s_cbranch_scc1 .LBB33_3
; %bb.2:
	s_load_b32 s2, s[0:1], 0x20
	s_mul_u64 s[4:5], s[4:5], s[16:17]
	s_delay_alu instid0(SALU_CYCLE_1) | instskip(NEXT) | instid1(SALU_CYCLE_1)
	s_lshl_b64 s[4:5], s[4:5], 2
	s_add_nc_u64 s[4:5], s[14:15], s[4:5]
	s_wait_kmcnt 0x0
	s_ashr_i32 s3, s2, 31
	s_delay_alu instid0(SALU_CYCLE_1) | instskip(NEXT) | instid1(SALU_CYCLE_1)
	s_lshl_b64 s[2:3], s[2:3], 2
	s_add_nc_u64 s[2:3], s[4:5], s[2:3]
.LBB33_3:
	s_clause 0x1
	s_load_b128 s[8:11], s[0:1], 0x0
	s_load_b32 s43, s[0:1], 0x38
	s_mul_u64 s[0:1], s[12:13], s[16:17]
	v_lshlrev_b32_e32 v13, 4, v0
	s_lshl_b64 s[0:1], s[0:1], 4
	s_movk_i32 s12, 0xd0
	s_movk_i32 s19, 0x110
	s_movk_i32 s13, 0xe0
	s_movk_i32 s21, 0x130
	s_add_co_i32 s33, s12, 16
	s_movk_i32 s14, 0xf0
	s_movk_i32 s20, 0x120
	s_movk_i32 s22, 0x140
	s_movk_i32 s23, 0x150
	s_add_co_i32 s31, s13, 16
	;; [unrolled: 5-line block ×3, first 2 shown]
	s_wait_kmcnt 0x0
	v_add3_u32 v5, s11, s11, v0
	s_ashr_i32 s5, s10, 31
	s_mov_b32 s4, s10
	s_add_nc_u64 s[0:1], s[8:9], s[0:1]
	s_lshl_b64 s[4:5], s[4:5], 4
	v_add_nc_u32_e32 v7, s11, v5
	v_ashrrev_i32_e32 v6, 31, v5
	s_add_nc_u64 s[0:1], s[0:1], s[4:5]
	s_ashr_i32 s9, s11, 31
	v_add_co_u32 v24, s4, s0, v13
	v_add_nc_u32_e32 v9, s11, v7
	s_mov_b32 s8, s11
	v_lshlrev_b64_e32 v[5:6], 4, v[5:6]
	v_add_co_ci_u32_e64 v25, null, s1, 0, s4
	s_delay_alu instid0(VALU_DEP_3)
	v_add_nc_u32_e32 v14, s11, v9
	v_ashrrev_i32_e32 v8, 31, v7
	s_lshl_b64 s[8:9], s[8:9], 4
	v_ashrrev_i32_e32 v10, 31, v9
	v_add_co_u32 v26, vcc_lo, v24, s8
	v_add_nc_u32_e32 v22, s11, v14
	v_ashrrev_i32_e32 v15, 31, v14
	v_add_co_ci_u32_e64 v27, null, s9, v25, vcc_lo
	v_lshlrev_b64_e32 v[7:8], 4, v[7:8]
	s_delay_alu instid0(VALU_DEP_4) | instskip(SKIP_3) | instid1(VALU_DEP_3)
	v_ashrrev_i32_e32 v23, 31, v22
	v_add_co_u32 v28, vcc_lo, s0, v5
	s_wait_alu 0xfffd
	v_add_co_ci_u32_e64 v29, null, s1, v6, vcc_lo
	v_lshlrev_b64_e32 v[36:37], 4, v[22:23]
	v_add_nc_u32_e32 v22, s11, v22
	v_lshlrev_b64_e32 v[5:6], 4, v[9:10]
	v_lshlrev_b64_e32 v[34:35], 4, v[14:15]
	v_add_co_u32 v30, vcc_lo, s0, v7
	s_delay_alu instid0(VALU_DEP_4)
	v_add_nc_u32_e32 v38, s11, v22
	v_ashrrev_i32_e32 v23, 31, v22
	s_wait_alu 0xfffd
	v_add_co_ci_u32_e64 v31, null, s1, v8, vcc_lo
	v_add_co_u32 v32, vcc_lo, s0, v5
	v_add_nc_u32_e32 v40, s11, v38
	v_lshlrev_b64_e32 v[22:23], 4, v[22:23]
	v_ashrrev_i32_e32 v39, 31, v38
	s_wait_alu 0xfffd
	v_add_co_ci_u32_e64 v33, null, s1, v6, vcc_lo
	v_add_co_u32 v34, vcc_lo, s0, v34
	v_ashrrev_i32_e32 v41, 31, v40
	s_wait_alu 0xfffd
	v_add_co_ci_u32_e64 v35, null, s1, v35, vcc_lo
	v_add_co_u32 v36, vcc_lo, s0, v36
	v_add_nc_u32_e32 v44, s11, v40
	s_wait_alu 0xfffd
	v_add_co_ci_u32_e64 v37, null, s1, v37, vcc_lo
	v_lshlrev_b64_e32 v[42:43], 4, v[38:39]
	v_add_co_u32 v38, vcc_lo, s0, v22
	s_wait_alu 0xfffd
	v_add_co_ci_u32_e64 v39, null, s1, v23, vcc_lo
	v_lshlrev_b64_e32 v[22:23], 4, v[40:41]
	v_add_nc_u32_e32 v46, s11, v44
	v_add_co_u32 v40, vcc_lo, s0, v42
	s_wait_alu 0xfffd
	v_add_co_ci_u32_e64 v41, null, s1, v43, vcc_lo
	s_delay_alu instid0(VALU_DEP_4)
	v_add_co_u32 v42, vcc_lo, s0, v22
	v_add_nc_u32_e32 v22, s11, v46
	s_clause 0x4
	global_load_b128 v[1:4], v13, s[0:1]
	global_load_b128 v[5:8], v[26:27], off
	global_load_b128 v[9:12], v[28:29], off
	;; [unrolled: 1-line block ×4, first 2 shown]
	v_ashrrev_i32_e32 v45, 31, v44
	v_add_nc_u32_e32 v48, s11, v22
	s_clause 0x1
	global_load_b128 v[76:79], v[34:35], off
	global_load_b128 v[80:83], v[36:37], off
	v_ashrrev_i32_e32 v47, 31, v46
	s_wait_alu 0xfffd
	v_add_co_ci_u32_e64 v43, null, s1, v23, vcc_lo
	s_clause 0x1
	global_load_b128 v[84:87], v[38:39], off
	global_load_b128 v[88:91], v[40:41], off
	v_ashrrev_i32_e32 v23, 31, v22
	v_lshlrev_b64_e32 v[44:45], 4, v[44:45]
	v_add_nc_u32_e32 v50, s11, v48
	v_lshlrev_b64_e32 v[46:47], 4, v[46:47]
	v_ashrrev_i32_e32 v49, 31, v48
	v_lshlrev_b64_e32 v[22:23], 4, v[22:23]
	s_movk_i32 s10, 0xb0
	v_add_nc_u32_e32 v54, s11, v50
	v_add_co_u32 v44, vcc_lo, s0, v44
	v_ashrrev_i32_e32 v51, 31, v50
	s_wait_alu 0xfffd
	v_add_co_ci_u32_e64 v45, null, s1, v45, vcc_lo
	v_add_co_u32 v46, vcc_lo, s0, v46
	s_wait_alu 0xfffd
	v_add_co_ci_u32_e64 v47, null, s1, v47, vcc_lo
	v_lshlrev_b64_e32 v[52:53], 4, v[48:49]
	v_add_co_u32 v48, vcc_lo, s0, v22
	v_add_nc_u32_e32 v58, s11, v54
	s_wait_alu 0xfffd
	v_add_co_ci_u32_e64 v49, null, s1, v23, vcc_lo
	v_lshlrev_b64_e32 v[22:23], 4, v[50:51]
	v_ashrrev_i32_e32 v55, 31, v54
	v_ashrrev_i32_e32 v59, 31, v58
	v_add_co_u32 v50, vcc_lo, s0, v52
	s_wait_alu 0xfffd
	v_add_co_ci_u32_e64 v51, null, s1, v53, vcc_lo
	v_lshlrev_b64_e32 v[54:55], 4, v[54:55]
	v_add_co_u32 v52, vcc_lo, s0, v22
	s_wait_alu 0xfffd
	v_add_co_ci_u32_e64 v53, null, s1, v23, vcc_lo
	v_lshlrev_b64_e32 v[22:23], 4, v[58:59]
	s_delay_alu instid0(VALU_DEP_4)
	v_add_co_u32 v54, vcc_lo, s0, v54
	s_wait_alu 0xfffd
	v_add_co_ci_u32_e64 v55, null, s1, v55, vcc_lo
	s_clause 0x1
	global_load_b128 v[92:95], v[42:43], off
	global_load_b128 v[96:99], v[44:45], off
	v_add_co_u32 v56, vcc_lo, s0, v22
	s_wait_alu 0xfffd
	v_add_co_ci_u32_e64 v57, null, s1, v23, vcc_lo
	s_clause 0x5
	global_load_b128 v[100:103], v[46:47], off
	global_load_b128 v[104:107], v[48:49], off
	;; [unrolled: 1-line block ×6, first 2 shown]
	v_add_nc_u32_e32 v22, s11, v58
	s_movk_i32 s5, 0x80
	s_wait_alu 0xfffe
	s_add_co_i32 s35, s10, 16
	s_movk_i32 s4, 0x70
	s_add_co_i32 s39, s5, 16
	v_add_nc_u32_e32 v58, s11, v22
	v_ashrrev_i32_e32 v23, 31, v22
	s_add_co_i32 s5, s19, 16
	s_movk_i32 s8, 0x90
	s_wait_alu 0xfffe
	s_add_co_i32 s40, s4, 16
	v_add_nc_u32_e32 v60, s11, v58
	v_lshlrev_b64_e32 v[22:23], 4, v[22:23]
	v_ashrrev_i32_e32 v59, 31, v58
	s_add_co_i32 s4, s21, 16
	s_movk_i32 s9, 0xa0
	v_add_nc_u32_e32 v64, s11, v60
	v_ashrrev_i32_e32 v61, 31, v60
	v_lshlrev_b64_e32 v[62:63], 4, v[58:59]
	v_add_co_u32 v58, vcc_lo, s0, v22
	s_delay_alu instid0(VALU_DEP_4)
	v_add_nc_u32_e32 v66, s11, v64
	s_wait_alu 0xfffd
	v_add_co_ci_u32_e64 v59, null, s1, v23, vcc_lo
	v_lshlrev_b64_e32 v[22:23], 4, v[60:61]
	v_ashrrev_i32_e32 v65, 31, v64
	v_add_nc_u32_e32 v68, s11, v66
	v_ashrrev_i32_e32 v67, 31, v66
	v_add_co_u32 v60, vcc_lo, s0, v62
	s_wait_alu 0xfffd
	v_add_co_ci_u32_e64 v61, null, s1, v63, vcc_lo
	v_lshlrev_b64_e32 v[64:65], 4, v[64:65]
	v_add_co_u32 v62, vcc_lo, s0, v22
	v_add_nc_u32_e32 v70, s11, v68
	s_wait_alu 0xfffd
	v_add_co_ci_u32_e64 v63, null, s1, v23, vcc_lo
	v_lshlrev_b64_e32 v[22:23], 4, v[66:67]
	v_ashrrev_i32_e32 v69, 31, v68
	v_ashrrev_i32_e32 v71, 31, v70
	v_add_co_u32 v64, vcc_lo, s0, v64
	v_add_nc_u32_e32 v72, s11, v70
	s_wait_alu 0xfffd
	v_add_co_ci_u32_e64 v65, null, s1, v65, vcc_lo
	v_lshlrev_b64_e32 v[68:69], 4, v[68:69]
	v_add_co_u32 v66, vcc_lo, s0, v22
	s_wait_alu 0xfffd
	v_add_co_ci_u32_e64 v67, null, s1, v23, vcc_lo
	v_lshlrev_b64_e32 v[22:23], 4, v[70:71]
	v_add_nc_u32_e32 v74, s11, v72
	v_add_co_u32 v68, vcc_lo, s0, v68
	s_wait_alu 0xfffd
	v_add_co_ci_u32_e64 v69, null, s1, v69, vcc_lo
	s_delay_alu instid0(VALU_DEP_4)
	v_add_co_u32 v70, vcc_lo, s0, v22
	v_add_nc_u32_e32 v22, s11, v74
	v_ashrrev_i32_e32 v73, 31, v72
	v_ashrrev_i32_e32 v75, 31, v74
	s_wait_alu 0xfffd
	v_add_co_ci_u32_e64 v71, null, s1, v23, vcc_lo
	v_add_nc_u32_e32 v140, s11, v22
	v_lshlrev_b64_e32 v[72:73], 4, v[72:73]
	v_ashrrev_i32_e32 v23, 31, v22
	v_lshlrev_b64_e32 v[74:75], 4, v[74:75]
	s_clause 0x1
	global_load_b128 v[124:127], v[58:59], off
	global_load_b128 v[128:131], v[60:61], off
	v_add_nc_u32_e32 v142, s11, v140
	v_ashrrev_i32_e32 v141, 31, v140
	v_add_co_u32 v72, vcc_lo, s0, v72
	v_lshlrev_b64_e32 v[22:23], 4, v[22:23]
	s_delay_alu instid0(VALU_DEP_4)
	v_add_nc_u32_e32 v144, s11, v142
	s_wait_alu 0xfffd
	v_add_co_ci_u32_e64 v73, null, s1, v73, vcc_lo
	v_ashrrev_i32_e32 v143, 31, v142
	s_clause 0x1
	global_load_b128 v[132:135], v[62:63], off
	global_load_b128 v[136:139], v[64:65], off
	v_add_co_u32 v74, vcc_lo, s0, v74
	v_add_nc_u32_e32 v146, s11, v144
	s_wait_alu 0xfffd
	v_add_co_ci_u32_e64 v75, null, s1, v75, vcc_lo
	v_ashrrev_i32_e32 v145, 31, v144
	s_add_co_i32 s37, s8, 16
	v_ashrrev_i32_e32 v147, 31, v146
	s_add_co_i32 s8, s20, 16
	s_add_co_i32 s20, s22, 16
	s_add_co_i32 s14, s23, 16
	s_wait_alu 0xfffe
	s_add_co_i32 s36, s9, 16
	s_add_co_i32 s29, s15, 16
	;; [unrolled: 1-line block ×4, first 2 shown]
	s_mov_b32 s28, 32
	s_mov_b32 s27, 48
	;; [unrolled: 1-line block ×3, first 2 shown]
	s_movk_i32 s25, 0x50
	s_wait_loadcnt 0x14
	scratch_store_b128 off, v[1:4], off offset:16
	s_wait_loadcnt 0x13
	scratch_store_b128 off, v[5:8], off offset:32
	s_clause 0x1
	global_load_b128 v[1:4], v[66:67], off
	global_load_b128 v[5:8], v[68:69], off
	s_wait_loadcnt 0x14
	scratch_store_b128 off, v[9:12], off offset:48
	s_wait_loadcnt 0x13
	scratch_store_b128 off, v[14:17], off offset:64
	;; [unrolled: 2-line block ×3, first 2 shown]
	s_clause 0x1
	global_load_b128 v[9:12], v[70:71], off
	global_load_b128 v[14:17], v[72:73], off
	v_lshlrev_b64_e32 v[18:19], 4, v[140:141]
	s_wait_loadcnt 0x13
	scratch_store_b128 off, v[76:79], off offset:96
	v_add_co_u32 v76, vcc_lo, s0, v22
	s_wait_alu 0xfffd
	v_add_co_ci_u32_e64 v77, null, s1, v23, vcc_lo
	v_lshlrev_b64_e32 v[22:23], 4, v[142:143]
	s_wait_loadcnt 0x12
	scratch_store_b128 off, v[80:83], off offset:112
	s_wait_loadcnt 0x11
	scratch_store_b128 off, v[84:87], off offset:128
	v_add_nc_u32_e32 v84, s11, v146
	v_add_co_u32 v78, vcc_lo, s0, v18
	s_wait_alu 0xfffd
	v_add_co_ci_u32_e64 v79, null, s1, v19, vcc_lo
	v_add_co_u32 v80, vcc_lo, s0, v22
	v_add_nc_u32_e32 v22, s11, v84
	s_clause 0x1
	global_load_b128 v[18:21], v[74:75], off
	global_load_b128 v[140:143], v[76:77], off
	s_wait_loadcnt 0x12
	scratch_store_b128 off, v[88:91], off offset:144
	v_ashrrev_i32_e32 v85, 31, v84
	v_lshlrev_b64_e32 v[82:83], 4, v[144:145]
	v_add_nc_u32_e32 v90, s11, v22
	s_wait_alu 0xfffd
	v_add_co_ci_u32_e64 v81, null, s1, v23, vcc_lo
	v_ashrrev_i32_e32 v23, 31, v22
	v_lshlrev_b64_e32 v[86:87], 4, v[146:147]
	v_ashrrev_i32_e32 v91, 31, v90
	v_lshlrev_b64_e32 v[88:89], 4, v[84:85]
	v_add_co_u32 v82, vcc_lo, s0, v82
	v_lshlrev_b64_e32 v[22:23], 4, v[22:23]
	s_wait_alu 0xfffd
	v_add_co_ci_u32_e64 v83, null, s1, v83, vcc_lo
	v_add_co_u32 v84, vcc_lo, s0, v86
	v_lshlrev_b64_e32 v[90:91], 4, v[90:91]
	s_wait_alu 0xfffd
	v_add_co_ci_u32_e64 v85, null, s1, v87, vcc_lo
	v_add_co_u32 v86, vcc_lo, s0, v88
	s_wait_alu 0xfffd
	v_add_co_ci_u32_e64 v87, null, s1, v89, vcc_lo
	v_add_co_u32 v88, vcc_lo, s0, v22
	;; [unrolled: 3-line block ×3, first 2 shown]
	s_wait_alu 0xfffd
	v_add_co_ci_u32_e64 v91, null, s1, v91, vcc_lo
	s_wait_loadcnt 0x11
	scratch_store_b128 off, v[92:95], off offset:160
	s_wait_loadcnt 0x10
	scratch_store_b128 off, v[96:99], off offset:176
	s_clause 0x1
	global_load_b128 v[92:95], v[78:79], off
	global_load_b128 v[96:99], v[80:81], off
	s_wait_loadcnt 0x11
	scratch_store_b128 off, v[100:103], off offset:192
	s_wait_loadcnt 0x10
	scratch_store_b128 off, v[104:107], off offset:208
	;; [unrolled: 2-line block ×3, first 2 shown]
	s_clause 0x1
	global_load_b128 v[100:103], v[82:83], off
	global_load_b128 v[104:107], v[84:85], off
	s_wait_loadcnt 0x10
	scratch_store_b128 off, v[112:115], off offset:240
	s_wait_loadcnt 0xf
	scratch_store_b128 off, v[116:119], off offset:256
	s_clause 0x2
	global_load_b128 v[108:111], v[86:87], off
	global_load_b128 v[112:115], v[88:89], off
	;; [unrolled: 1-line block ×3, first 2 shown]
	s_movk_i32 s0, 0x50
	s_movk_i32 s1, 0x60
	s_wait_alu 0xfffe
	s_add_co_i32 s42, s0, 16
	s_movk_i32 s0, 0x190
	s_add_co_i32 s41, s1, 16
	s_wait_alu 0xfffe
	s_add_co_i32 s10, s0, 16
	s_movk_i32 s0, 0x1a0
	s_movk_i32 s1, 0x1b0
	s_wait_alu 0xfffe
	s_add_co_i32 s19, s0, 16
	s_add_co_i32 s12, s1, 16
	s_movk_i32 s0, 0x1c0
	s_movk_i32 s1, 0x1d0
	s_wait_alu 0xfffe
	s_add_co_i32 s21, s0, 16
	s_add_co_i32 s13, s1, 16
	s_movk_i32 s0, 0x1e0
	s_movk_i32 s1, 0x1f0
	;; [unrolled: 1-line block ×3, first 2 shown]
	s_wait_alu 0xfffe
	s_add_co_i32 s23, s0, 16
	s_add_co_i32 s22, s1, 16
	s_movk_i32 s0, 0x200
	s_movk_i32 s1, 0x210
	s_add_co_i32 s34, s11, 16
	s_add_co_i32 s11, s44, 16
	s_wait_alu 0xfffe
	s_add_co_i32 s24, s0, 16
	s_add_co_i32 s38, s1, 16
	s_mov_b32 s1, -1
	s_bitcmp0_b32 s43, 0
	s_wait_loadcnt 0x11
	scratch_store_b128 off, v[120:123], off offset:272
	s_wait_loadcnt 0x10
	scratch_store_b128 off, v[124:127], off offset:288
	;; [unrolled: 2-line block ×18, first 2 shown]
	s_cbranch_scc1 .LBB33_148
; %bb.4:
	v_cmp_eq_u32_e64 s0, 0, v0
	s_and_saveexec_b32 s1, s0
; %bb.5:
	v_mov_b32_e32 v1, 0
	ds_store_b32 v1, v1 offset:1088
; %bb.6:
	s_wait_alu 0xfffe
	s_or_b32 exec_lo, exec_lo, s1
	s_wait_storecnt_dscnt 0x0
	s_barrier_signal -1
	s_barrier_wait -1
	global_inv scope:SCOPE_SE
	scratch_load_b128 v[1:4], v13, off offset:16
	s_wait_loadcnt 0x0
	v_cmp_eq_f64_e32 vcc_lo, 0, v[1:2]
	v_cmp_eq_f64_e64 s1, 0, v[3:4]
	s_and_b32 s1, vcc_lo, s1
	s_wait_alu 0xfffe
	s_and_saveexec_b32 s43, s1
	s_cbranch_execz .LBB33_10
; %bb.7:
	v_mov_b32_e32 v1, 0
	s_mov_b32 s44, 0
	ds_load_b32 v2, v1 offset:1088
	s_wait_dscnt 0x0
	v_readfirstlane_b32 s1, v2
	v_add_nc_u32_e32 v2, 1, v0
	s_cmp_eq_u32 s1, 0
	s_delay_alu instid0(VALU_DEP_1) | instskip(SKIP_1) | instid1(SALU_CYCLE_1)
	v_cmp_gt_i32_e32 vcc_lo, s1, v2
	s_cselect_b32 s45, -1, 0
	s_or_b32 s45, s45, vcc_lo
	s_delay_alu instid0(SALU_CYCLE_1)
	s_and_b32 exec_lo, exec_lo, s45
	s_cbranch_execz .LBB33_10
; %bb.8:
	v_mov_b32_e32 v3, s1
.LBB33_9:                               ; =>This Inner Loop Header: Depth=1
	ds_cmpstore_rtn_b32 v3, v1, v2, v3 offset:1088
	s_wait_dscnt 0x0
	v_cmp_ne_u32_e32 vcc_lo, 0, v3
	v_cmp_le_i32_e64 s1, v3, v2
	s_and_b32 s1, vcc_lo, s1
	s_wait_alu 0xfffe
	s_and_b32 s1, exec_lo, s1
	s_wait_alu 0xfffe
	s_or_b32 s44, s1, s44
	s_delay_alu instid0(SALU_CYCLE_1)
	s_and_not1_b32 exec_lo, exec_lo, s44
	s_cbranch_execnz .LBB33_9
.LBB33_10:
	s_or_b32 exec_lo, exec_lo, s43
	v_mov_b32_e32 v1, 0
	s_barrier_signal -1
	s_barrier_wait -1
	global_inv scope:SCOPE_SE
	ds_load_b32 v2, v1 offset:1088
	s_and_saveexec_b32 s1, s0
	s_cbranch_execz .LBB33_12
; %bb.11:
	s_lshl_b64 s[44:45], s[16:17], 2
	s_delay_alu instid0(SALU_CYCLE_1)
	s_add_nc_u64 s[44:45], s[6:7], s[44:45]
	s_wait_dscnt 0x0
	global_store_b32 v1, v2, s[44:45]
.LBB33_12:
	s_wait_alu 0xfffe
	s_or_b32 exec_lo, exec_lo, s1
	s_wait_dscnt 0x0
	v_cmp_ne_u32_e32 vcc_lo, 0, v2
	s_mov_b32 s1, 0
	s_cbranch_vccnz .LBB33_148
; %bb.13:
	v_add_nc_u32_e32 v14, 16, v13
                                        ; implicit-def: $vgpr1_vgpr2
                                        ; implicit-def: $vgpr9_vgpr10
	scratch_load_b128 v[5:8], v14, off
	s_wait_loadcnt 0x0
	v_cmp_ngt_f64_e64 s1, |v[5:6]|, |v[7:8]|
	s_wait_alu 0xfffe
	s_and_saveexec_b32 s43, s1
	s_delay_alu instid0(SALU_CYCLE_1)
	s_xor_b32 s1, exec_lo, s43
	s_cbranch_execz .LBB33_15
; %bb.14:
	v_div_scale_f64 v[1:2], null, v[7:8], v[7:8], v[5:6]
	v_div_scale_f64 v[11:12], vcc_lo, v[5:6], v[7:8], v[5:6]
	s_delay_alu instid0(VALU_DEP_2) | instskip(NEXT) | instid1(TRANS32_DEP_1)
	v_rcp_f64_e32 v[3:4], v[1:2]
	v_fma_f64 v[9:10], -v[1:2], v[3:4], 1.0
	s_delay_alu instid0(VALU_DEP_1) | instskip(NEXT) | instid1(VALU_DEP_1)
	v_fma_f64 v[3:4], v[3:4], v[9:10], v[3:4]
	v_fma_f64 v[9:10], -v[1:2], v[3:4], 1.0
	s_delay_alu instid0(VALU_DEP_1) | instskip(NEXT) | instid1(VALU_DEP_1)
	v_fma_f64 v[3:4], v[3:4], v[9:10], v[3:4]
	v_mul_f64_e32 v[9:10], v[11:12], v[3:4]
	s_delay_alu instid0(VALU_DEP_1) | instskip(SKIP_1) | instid1(VALU_DEP_1)
	v_fma_f64 v[1:2], -v[1:2], v[9:10], v[11:12]
	s_wait_alu 0xfffd
	v_div_fmas_f64 v[1:2], v[1:2], v[3:4], v[9:10]
	s_delay_alu instid0(VALU_DEP_1) | instskip(NEXT) | instid1(VALU_DEP_1)
	v_div_fixup_f64 v[1:2], v[1:2], v[7:8], v[5:6]
	v_fma_f64 v[3:4], v[5:6], v[1:2], v[7:8]
	s_delay_alu instid0(VALU_DEP_1) | instskip(SKIP_1) | instid1(VALU_DEP_2)
	v_div_scale_f64 v[5:6], null, v[3:4], v[3:4], 1.0
	v_div_scale_f64 v[11:12], vcc_lo, 1.0, v[3:4], 1.0
	v_rcp_f64_e32 v[7:8], v[5:6]
	s_delay_alu instid0(TRANS32_DEP_1) | instskip(NEXT) | instid1(VALU_DEP_1)
	v_fma_f64 v[9:10], -v[5:6], v[7:8], 1.0
	v_fma_f64 v[7:8], v[7:8], v[9:10], v[7:8]
	s_delay_alu instid0(VALU_DEP_1) | instskip(NEXT) | instid1(VALU_DEP_1)
	v_fma_f64 v[9:10], -v[5:6], v[7:8], 1.0
	v_fma_f64 v[7:8], v[7:8], v[9:10], v[7:8]
	s_delay_alu instid0(VALU_DEP_1) | instskip(NEXT) | instid1(VALU_DEP_1)
	v_mul_f64_e32 v[9:10], v[11:12], v[7:8]
	v_fma_f64 v[5:6], -v[5:6], v[9:10], v[11:12]
	s_wait_alu 0xfffd
	s_delay_alu instid0(VALU_DEP_1) | instskip(NEXT) | instid1(VALU_DEP_1)
	v_div_fmas_f64 v[5:6], v[5:6], v[7:8], v[9:10]
	v_div_fixup_f64 v[3:4], v[5:6], v[3:4], 1.0
                                        ; implicit-def: $vgpr5_vgpr6
	s_delay_alu instid0(VALU_DEP_1) | instskip(SKIP_1) | instid1(VALU_DEP_2)
	v_mul_f64_e32 v[1:2], v[1:2], v[3:4]
	v_xor_b32_e32 v4, 0x80000000, v4
	v_xor_b32_e32 v10, 0x80000000, v2
	s_delay_alu instid0(VALU_DEP_3)
	v_mov_b32_e32 v9, v1
.LBB33_15:
	s_wait_alu 0xfffe
	s_and_not1_saveexec_b32 s1, s1
	s_cbranch_execz .LBB33_17
; %bb.16:
	v_div_scale_f64 v[1:2], null, v[5:6], v[5:6], v[7:8]
	v_div_scale_f64 v[11:12], vcc_lo, v[7:8], v[5:6], v[7:8]
	s_delay_alu instid0(VALU_DEP_2) | instskip(NEXT) | instid1(TRANS32_DEP_1)
	v_rcp_f64_e32 v[3:4], v[1:2]
	v_fma_f64 v[9:10], -v[1:2], v[3:4], 1.0
	s_delay_alu instid0(VALU_DEP_1) | instskip(NEXT) | instid1(VALU_DEP_1)
	v_fma_f64 v[3:4], v[3:4], v[9:10], v[3:4]
	v_fma_f64 v[9:10], -v[1:2], v[3:4], 1.0
	s_delay_alu instid0(VALU_DEP_1) | instskip(NEXT) | instid1(VALU_DEP_1)
	v_fma_f64 v[3:4], v[3:4], v[9:10], v[3:4]
	v_mul_f64_e32 v[9:10], v[11:12], v[3:4]
	s_delay_alu instid0(VALU_DEP_1) | instskip(SKIP_1) | instid1(VALU_DEP_1)
	v_fma_f64 v[1:2], -v[1:2], v[9:10], v[11:12]
	s_wait_alu 0xfffd
	v_div_fmas_f64 v[1:2], v[1:2], v[3:4], v[9:10]
	s_delay_alu instid0(VALU_DEP_1) | instskip(NEXT) | instid1(VALU_DEP_1)
	v_div_fixup_f64 v[3:4], v[1:2], v[5:6], v[7:8]
	v_fma_f64 v[1:2], v[7:8], v[3:4], v[5:6]
	s_delay_alu instid0(VALU_DEP_1) | instskip(NEXT) | instid1(VALU_DEP_1)
	v_div_scale_f64 v[5:6], null, v[1:2], v[1:2], 1.0
	v_rcp_f64_e32 v[7:8], v[5:6]
	s_delay_alu instid0(TRANS32_DEP_1) | instskip(NEXT) | instid1(VALU_DEP_1)
	v_fma_f64 v[9:10], -v[5:6], v[7:8], 1.0
	v_fma_f64 v[7:8], v[7:8], v[9:10], v[7:8]
	s_delay_alu instid0(VALU_DEP_1) | instskip(NEXT) | instid1(VALU_DEP_1)
	v_fma_f64 v[9:10], -v[5:6], v[7:8], 1.0
	v_fma_f64 v[7:8], v[7:8], v[9:10], v[7:8]
	v_div_scale_f64 v[9:10], vcc_lo, 1.0, v[1:2], 1.0
	s_delay_alu instid0(VALU_DEP_1) | instskip(NEXT) | instid1(VALU_DEP_1)
	v_mul_f64_e32 v[11:12], v[9:10], v[7:8]
	v_fma_f64 v[5:6], -v[5:6], v[11:12], v[9:10]
	s_wait_alu 0xfffd
	s_delay_alu instid0(VALU_DEP_1) | instskip(NEXT) | instid1(VALU_DEP_1)
	v_div_fmas_f64 v[5:6], v[5:6], v[7:8], v[11:12]
	v_div_fixup_f64 v[1:2], v[5:6], v[1:2], 1.0
	s_delay_alu instid0(VALU_DEP_1)
	v_mul_f64_e64 v[3:4], v[3:4], -v[1:2]
	v_xor_b32_e32 v10, 0x80000000, v2
	v_mov_b32_e32 v9, v1
.LBB33_17:
	s_wait_alu 0xfffe
	s_or_b32 exec_lo, exec_lo, s1
	scratch_store_b128 v14, v[1:4], off
	scratch_load_b128 v[15:18], off, s28
	v_xor_b32_e32 v12, 0x80000000, v4
	v_mov_b32_e32 v11, v3
	v_add_nc_u32_e32 v5, 0x220, v13
	ds_store_b128 v13, v[9:12]
	s_wait_loadcnt 0x0
	ds_store_b128 v13, v[15:18] offset:544
	s_wait_storecnt_dscnt 0x0
	s_barrier_signal -1
	s_barrier_wait -1
	global_inv scope:SCOPE_SE
	s_and_saveexec_b32 s1, s0
	s_cbranch_execz .LBB33_19
; %bb.18:
	scratch_load_b128 v[1:4], v14, off
	ds_load_b128 v[6:9], v5
	v_mov_b32_e32 v10, 0
	ds_load_b128 v[15:18], v10 offset:16
	s_wait_loadcnt_dscnt 0x1
	v_mul_f64_e32 v[10:11], v[6:7], v[3:4]
	v_mul_f64_e32 v[3:4], v[8:9], v[3:4]
	s_delay_alu instid0(VALU_DEP_2) | instskip(NEXT) | instid1(VALU_DEP_2)
	v_fma_f64 v[8:9], v[8:9], v[1:2], v[10:11]
	v_fma_f64 v[1:2], v[6:7], v[1:2], -v[3:4]
	s_delay_alu instid0(VALU_DEP_2) | instskip(NEXT) | instid1(VALU_DEP_2)
	v_add_f64_e32 v[3:4], 0, v[8:9]
	v_add_f64_e32 v[1:2], 0, v[1:2]
	s_wait_dscnt 0x0
	s_delay_alu instid0(VALU_DEP_2) | instskip(NEXT) | instid1(VALU_DEP_2)
	v_mul_f64_e32 v[6:7], v[3:4], v[17:18]
	v_mul_f64_e32 v[8:9], v[1:2], v[17:18]
	s_delay_alu instid0(VALU_DEP_2) | instskip(NEXT) | instid1(VALU_DEP_2)
	v_fma_f64 v[1:2], v[1:2], v[15:16], -v[6:7]
	v_fma_f64 v[3:4], v[3:4], v[15:16], v[8:9]
	scratch_store_b128 off, v[1:4], off offset:32
.LBB33_19:
	s_wait_alu 0xfffe
	s_or_b32 exec_lo, exec_lo, s1
	s_wait_loadcnt 0x0
	s_wait_storecnt 0x0
	s_barrier_signal -1
	s_barrier_wait -1
	global_inv scope:SCOPE_SE
	scratch_load_b128 v[1:4], off, s27
	s_mov_b32 s1, exec_lo
	s_wait_loadcnt 0x0
	ds_store_b128 v5, v[1:4]
	s_wait_dscnt 0x0
	s_barrier_signal -1
	s_barrier_wait -1
	global_inv scope:SCOPE_SE
	v_cmpx_gt_u32_e32 2, v0
	s_cbranch_execz .LBB33_23
; %bb.20:
	scratch_load_b128 v[1:4], v14, off
	ds_load_b128 v[6:9], v5
	s_wait_loadcnt_dscnt 0x0
	v_mul_f64_e32 v[10:11], v[8:9], v[3:4]
	v_mul_f64_e32 v[3:4], v[6:7], v[3:4]
	s_delay_alu instid0(VALU_DEP_2) | instskip(NEXT) | instid1(VALU_DEP_2)
	v_fma_f64 v[6:7], v[6:7], v[1:2], -v[10:11]
	v_fma_f64 v[3:4], v[8:9], v[1:2], v[3:4]
	s_delay_alu instid0(VALU_DEP_2) | instskip(NEXT) | instid1(VALU_DEP_2)
	v_add_f64_e32 v[1:2], 0, v[6:7]
	v_add_f64_e32 v[3:4], 0, v[3:4]
	s_and_saveexec_b32 s43, s0
	s_cbranch_execz .LBB33_22
; %bb.21:
	scratch_load_b128 v[6:9], off, off offset:32
	v_mov_b32_e32 v10, 0
	ds_load_b128 v[15:18], v10 offset:560
	s_wait_loadcnt_dscnt 0x0
	v_mul_f64_e32 v[10:11], v[15:16], v[8:9]
	v_mul_f64_e32 v[8:9], v[17:18], v[8:9]
	s_delay_alu instid0(VALU_DEP_2) | instskip(NEXT) | instid1(VALU_DEP_2)
	v_fma_f64 v[10:11], v[17:18], v[6:7], v[10:11]
	v_fma_f64 v[6:7], v[15:16], v[6:7], -v[8:9]
	s_delay_alu instid0(VALU_DEP_2) | instskip(NEXT) | instid1(VALU_DEP_2)
	v_add_f64_e32 v[3:4], v[3:4], v[10:11]
	v_add_f64_e32 v[1:2], v[1:2], v[6:7]
.LBB33_22:
	s_or_b32 exec_lo, exec_lo, s43
	v_mov_b32_e32 v6, 0
	ds_load_b128 v[6:9], v6 offset:32
	s_wait_dscnt 0x0
	v_mul_f64_e32 v[10:11], v[3:4], v[8:9]
	v_mul_f64_e32 v[8:9], v[1:2], v[8:9]
	s_delay_alu instid0(VALU_DEP_2) | instskip(NEXT) | instid1(VALU_DEP_2)
	v_fma_f64 v[1:2], v[1:2], v[6:7], -v[10:11]
	v_fma_f64 v[3:4], v[3:4], v[6:7], v[8:9]
	scratch_store_b128 off, v[1:4], off offset:48
.LBB33_23:
	s_wait_alu 0xfffe
	s_or_b32 exec_lo, exec_lo, s1
	s_wait_loadcnt 0x0
	s_wait_storecnt 0x0
	s_barrier_signal -1
	s_barrier_wait -1
	global_inv scope:SCOPE_SE
	scratch_load_b128 v[1:4], off, s26
	v_add_nc_u32_e32 v6, -1, v0
	s_mov_b32 s0, exec_lo
	s_wait_loadcnt 0x0
	ds_store_b128 v5, v[1:4]
	s_wait_dscnt 0x0
	s_barrier_signal -1
	s_barrier_wait -1
	global_inv scope:SCOPE_SE
	v_cmpx_gt_u32_e32 3, v0
	s_cbranch_execz .LBB33_27
; %bb.24:
	v_dual_mov_b32 v1, 0 :: v_dual_add_nc_u32 v8, 0x220, v13
	v_mov_b32_e32 v3, 0
	v_dual_mov_b32 v2, 0 :: v_dual_add_nc_u32 v7, -1, v0
	v_mov_b32_e32 v4, 0
	v_or_b32_e32 v9, 8, v14
	s_mov_b32 s1, 0
.LBB33_25:                              ; =>This Inner Loop Header: Depth=1
	scratch_load_b128 v[15:18], v9, off offset:-8
	ds_load_b128 v[19:22], v8
	v_add_nc_u32_e32 v7, 1, v7
	v_add_nc_u32_e32 v8, 16, v8
	v_add_nc_u32_e32 v9, 16, v9
	s_delay_alu instid0(VALU_DEP_3)
	v_cmp_lt_u32_e32 vcc_lo, 1, v7
	s_wait_alu 0xfffe
	s_or_b32 s1, vcc_lo, s1
	s_wait_loadcnt_dscnt 0x0
	v_mul_f64_e32 v[10:11], v[21:22], v[17:18]
	v_mul_f64_e32 v[17:18], v[19:20], v[17:18]
	s_delay_alu instid0(VALU_DEP_2) | instskip(NEXT) | instid1(VALU_DEP_2)
	v_fma_f64 v[10:11], v[19:20], v[15:16], -v[10:11]
	v_fma_f64 v[15:16], v[21:22], v[15:16], v[17:18]
	s_delay_alu instid0(VALU_DEP_2) | instskip(NEXT) | instid1(VALU_DEP_2)
	v_add_f64_e32 v[3:4], v[3:4], v[10:11]
	v_add_f64_e32 v[1:2], v[1:2], v[15:16]
	s_wait_alu 0xfffe
	s_and_not1_b32 exec_lo, exec_lo, s1
	s_cbranch_execnz .LBB33_25
; %bb.26:
	s_or_b32 exec_lo, exec_lo, s1
	v_mov_b32_e32 v7, 0
	ds_load_b128 v[7:10], v7 offset:48
	s_wait_dscnt 0x0
	v_mul_f64_e32 v[11:12], v[1:2], v[9:10]
	v_mul_f64_e32 v[15:16], v[3:4], v[9:10]
	s_delay_alu instid0(VALU_DEP_2) | instskip(NEXT) | instid1(VALU_DEP_2)
	v_fma_f64 v[9:10], v[3:4], v[7:8], -v[11:12]
	v_fma_f64 v[11:12], v[1:2], v[7:8], v[15:16]
	scratch_store_b128 off, v[9:12], off offset:64
.LBB33_27:
	s_wait_alu 0xfffe
	s_or_b32 exec_lo, exec_lo, s0
	s_wait_loadcnt 0x0
	s_wait_storecnt 0x0
	s_barrier_signal -1
	s_barrier_wait -1
	global_inv scope:SCOPE_SE
	scratch_load_b128 v[1:4], off, s25
	s_mov_b32 s0, exec_lo
	s_wait_loadcnt 0x0
	ds_store_b128 v5, v[1:4]
	s_wait_dscnt 0x0
	s_barrier_signal -1
	s_barrier_wait -1
	global_inv scope:SCOPE_SE
	v_cmpx_gt_u32_e32 4, v0
	s_cbranch_execz .LBB33_31
; %bb.28:
	v_dual_mov_b32 v1, 0 :: v_dual_add_nc_u32 v8, 0x220, v13
	v_mov_b32_e32 v3, 0
	v_dual_mov_b32 v2, 0 :: v_dual_add_nc_u32 v7, -1, v0
	v_mov_b32_e32 v4, 0
	v_or_b32_e32 v9, 8, v14
	s_mov_b32 s1, 0
.LBB33_29:                              ; =>This Inner Loop Header: Depth=1
	scratch_load_b128 v[15:18], v9, off offset:-8
	ds_load_b128 v[19:22], v8
	v_add_nc_u32_e32 v7, 1, v7
	v_add_nc_u32_e32 v8, 16, v8
	v_add_nc_u32_e32 v9, 16, v9
	s_delay_alu instid0(VALU_DEP_3)
	v_cmp_lt_u32_e32 vcc_lo, 2, v7
	s_wait_alu 0xfffe
	s_or_b32 s1, vcc_lo, s1
	s_wait_loadcnt_dscnt 0x0
	v_mul_f64_e32 v[10:11], v[21:22], v[17:18]
	v_mul_f64_e32 v[17:18], v[19:20], v[17:18]
	s_delay_alu instid0(VALU_DEP_2) | instskip(NEXT) | instid1(VALU_DEP_2)
	v_fma_f64 v[10:11], v[19:20], v[15:16], -v[10:11]
	v_fma_f64 v[15:16], v[21:22], v[15:16], v[17:18]
	s_delay_alu instid0(VALU_DEP_2) | instskip(NEXT) | instid1(VALU_DEP_2)
	v_add_f64_e32 v[3:4], v[3:4], v[10:11]
	v_add_f64_e32 v[1:2], v[1:2], v[15:16]
	s_wait_alu 0xfffe
	s_and_not1_b32 exec_lo, exec_lo, s1
	s_cbranch_execnz .LBB33_29
; %bb.30:
	s_or_b32 exec_lo, exec_lo, s1
	v_mov_b32_e32 v7, 0
	ds_load_b128 v[7:10], v7 offset:64
	s_wait_dscnt 0x0
	v_mul_f64_e32 v[11:12], v[1:2], v[9:10]
	v_mul_f64_e32 v[15:16], v[3:4], v[9:10]
	s_delay_alu instid0(VALU_DEP_2) | instskip(NEXT) | instid1(VALU_DEP_2)
	v_fma_f64 v[9:10], v[3:4], v[7:8], -v[11:12]
	v_fma_f64 v[11:12], v[1:2], v[7:8], v[15:16]
	scratch_store_b128 off, v[9:12], off offset:80
.LBB33_31:
	s_wait_alu 0xfffe
	s_or_b32 exec_lo, exec_lo, s0
	s_wait_loadcnt 0x0
	s_wait_storecnt 0x0
	s_barrier_signal -1
	s_barrier_wait -1
	global_inv scope:SCOPE_SE
	scratch_load_b128 v[1:4], off, s42
	s_mov_b32 s0, exec_lo
	s_wait_loadcnt 0x0
	ds_store_b128 v5, v[1:4]
	s_wait_dscnt 0x0
	s_barrier_signal -1
	s_barrier_wait -1
	global_inv scope:SCOPE_SE
	v_cmpx_gt_u32_e32 5, v0
	s_cbranch_execz .LBB33_35
; %bb.32:
	v_dual_mov_b32 v1, 0 :: v_dual_add_nc_u32 v8, 0x220, v13
	v_mov_b32_e32 v3, 0
	v_dual_mov_b32 v2, 0 :: v_dual_add_nc_u32 v7, -1, v0
	v_mov_b32_e32 v4, 0
	v_or_b32_e32 v9, 8, v14
	s_mov_b32 s1, 0
.LBB33_33:                              ; =>This Inner Loop Header: Depth=1
	scratch_load_b128 v[15:18], v9, off offset:-8
	ds_load_b128 v[19:22], v8
	v_add_nc_u32_e32 v7, 1, v7
	v_add_nc_u32_e32 v8, 16, v8
	v_add_nc_u32_e32 v9, 16, v9
	s_delay_alu instid0(VALU_DEP_3)
	v_cmp_lt_u32_e32 vcc_lo, 3, v7
	s_wait_alu 0xfffe
	s_or_b32 s1, vcc_lo, s1
	s_wait_loadcnt_dscnt 0x0
	v_mul_f64_e32 v[10:11], v[21:22], v[17:18]
	v_mul_f64_e32 v[17:18], v[19:20], v[17:18]
	s_delay_alu instid0(VALU_DEP_2) | instskip(NEXT) | instid1(VALU_DEP_2)
	v_fma_f64 v[10:11], v[19:20], v[15:16], -v[10:11]
	v_fma_f64 v[15:16], v[21:22], v[15:16], v[17:18]
	s_delay_alu instid0(VALU_DEP_2) | instskip(NEXT) | instid1(VALU_DEP_2)
	v_add_f64_e32 v[3:4], v[3:4], v[10:11]
	v_add_f64_e32 v[1:2], v[1:2], v[15:16]
	s_wait_alu 0xfffe
	s_and_not1_b32 exec_lo, exec_lo, s1
	s_cbranch_execnz .LBB33_33
; %bb.34:
	s_or_b32 exec_lo, exec_lo, s1
	v_mov_b32_e32 v7, 0
	ds_load_b128 v[7:10], v7 offset:80
	s_wait_dscnt 0x0
	v_mul_f64_e32 v[11:12], v[1:2], v[9:10]
	v_mul_f64_e32 v[15:16], v[3:4], v[9:10]
	s_delay_alu instid0(VALU_DEP_2) | instskip(NEXT) | instid1(VALU_DEP_2)
	v_fma_f64 v[9:10], v[3:4], v[7:8], -v[11:12]
	v_fma_f64 v[11:12], v[1:2], v[7:8], v[15:16]
	scratch_store_b128 off, v[9:12], off offset:96
.LBB33_35:
	s_wait_alu 0xfffe
	s_or_b32 exec_lo, exec_lo, s0
	s_wait_loadcnt 0x0
	s_wait_storecnt 0x0
	s_barrier_signal -1
	s_barrier_wait -1
	global_inv scope:SCOPE_SE
	scratch_load_b128 v[1:4], off, s41
	s_mov_b32 s0, exec_lo
	s_wait_loadcnt 0x0
	ds_store_b128 v5, v[1:4]
	s_wait_dscnt 0x0
	s_barrier_signal -1
	s_barrier_wait -1
	global_inv scope:SCOPE_SE
	v_cmpx_gt_u32_e32 6, v0
	s_cbranch_execz .LBB33_39
; %bb.36:
	v_dual_mov_b32 v1, 0 :: v_dual_add_nc_u32 v8, 0x220, v13
	v_mov_b32_e32 v3, 0
	v_dual_mov_b32 v2, 0 :: v_dual_add_nc_u32 v7, -1, v0
	v_mov_b32_e32 v4, 0
	v_or_b32_e32 v9, 8, v14
	s_mov_b32 s1, 0
.LBB33_37:                              ; =>This Inner Loop Header: Depth=1
	scratch_load_b128 v[15:18], v9, off offset:-8
	ds_load_b128 v[19:22], v8
	v_add_nc_u32_e32 v7, 1, v7
	v_add_nc_u32_e32 v8, 16, v8
	v_add_nc_u32_e32 v9, 16, v9
	s_delay_alu instid0(VALU_DEP_3)
	v_cmp_lt_u32_e32 vcc_lo, 4, v7
	s_wait_alu 0xfffe
	s_or_b32 s1, vcc_lo, s1
	s_wait_loadcnt_dscnt 0x0
	v_mul_f64_e32 v[10:11], v[21:22], v[17:18]
	v_mul_f64_e32 v[17:18], v[19:20], v[17:18]
	s_delay_alu instid0(VALU_DEP_2) | instskip(NEXT) | instid1(VALU_DEP_2)
	v_fma_f64 v[10:11], v[19:20], v[15:16], -v[10:11]
	v_fma_f64 v[15:16], v[21:22], v[15:16], v[17:18]
	s_delay_alu instid0(VALU_DEP_2) | instskip(NEXT) | instid1(VALU_DEP_2)
	v_add_f64_e32 v[3:4], v[3:4], v[10:11]
	v_add_f64_e32 v[1:2], v[1:2], v[15:16]
	s_wait_alu 0xfffe
	s_and_not1_b32 exec_lo, exec_lo, s1
	s_cbranch_execnz .LBB33_37
; %bb.38:
	s_or_b32 exec_lo, exec_lo, s1
	v_mov_b32_e32 v7, 0
	ds_load_b128 v[7:10], v7 offset:96
	s_wait_dscnt 0x0
	v_mul_f64_e32 v[11:12], v[1:2], v[9:10]
	v_mul_f64_e32 v[15:16], v[3:4], v[9:10]
	s_delay_alu instid0(VALU_DEP_2) | instskip(NEXT) | instid1(VALU_DEP_2)
	v_fma_f64 v[9:10], v[3:4], v[7:8], -v[11:12]
	v_fma_f64 v[11:12], v[1:2], v[7:8], v[15:16]
	scratch_store_b128 off, v[9:12], off offset:112
.LBB33_39:
	s_wait_alu 0xfffe
	s_or_b32 exec_lo, exec_lo, s0
	s_wait_loadcnt 0x0
	s_wait_storecnt 0x0
	s_barrier_signal -1
	s_barrier_wait -1
	global_inv scope:SCOPE_SE
	scratch_load_b128 v[1:4], off, s40
	s_mov_b32 s0, exec_lo
	s_wait_loadcnt 0x0
	ds_store_b128 v5, v[1:4]
	s_wait_dscnt 0x0
	s_barrier_signal -1
	s_barrier_wait -1
	global_inv scope:SCOPE_SE
	v_cmpx_gt_u32_e32 7, v0
	s_cbranch_execz .LBB33_43
; %bb.40:
	v_dual_mov_b32 v1, 0 :: v_dual_add_nc_u32 v8, 0x220, v13
	v_mov_b32_e32 v3, 0
	v_dual_mov_b32 v2, 0 :: v_dual_add_nc_u32 v7, -1, v0
	v_mov_b32_e32 v4, 0
	v_or_b32_e32 v9, 8, v14
	s_mov_b32 s1, 0
.LBB33_41:                              ; =>This Inner Loop Header: Depth=1
	scratch_load_b128 v[15:18], v9, off offset:-8
	ds_load_b128 v[19:22], v8
	v_add_nc_u32_e32 v7, 1, v7
	v_add_nc_u32_e32 v8, 16, v8
	v_add_nc_u32_e32 v9, 16, v9
	s_delay_alu instid0(VALU_DEP_3)
	v_cmp_lt_u32_e32 vcc_lo, 5, v7
	s_wait_alu 0xfffe
	s_or_b32 s1, vcc_lo, s1
	s_wait_loadcnt_dscnt 0x0
	v_mul_f64_e32 v[10:11], v[21:22], v[17:18]
	v_mul_f64_e32 v[17:18], v[19:20], v[17:18]
	s_delay_alu instid0(VALU_DEP_2) | instskip(NEXT) | instid1(VALU_DEP_2)
	v_fma_f64 v[10:11], v[19:20], v[15:16], -v[10:11]
	v_fma_f64 v[15:16], v[21:22], v[15:16], v[17:18]
	s_delay_alu instid0(VALU_DEP_2) | instskip(NEXT) | instid1(VALU_DEP_2)
	v_add_f64_e32 v[3:4], v[3:4], v[10:11]
	v_add_f64_e32 v[1:2], v[1:2], v[15:16]
	s_wait_alu 0xfffe
	s_and_not1_b32 exec_lo, exec_lo, s1
	s_cbranch_execnz .LBB33_41
; %bb.42:
	s_or_b32 exec_lo, exec_lo, s1
	v_mov_b32_e32 v7, 0
	ds_load_b128 v[7:10], v7 offset:112
	s_wait_dscnt 0x0
	v_mul_f64_e32 v[11:12], v[1:2], v[9:10]
	v_mul_f64_e32 v[15:16], v[3:4], v[9:10]
	s_delay_alu instid0(VALU_DEP_2) | instskip(NEXT) | instid1(VALU_DEP_2)
	v_fma_f64 v[9:10], v[3:4], v[7:8], -v[11:12]
	v_fma_f64 v[11:12], v[1:2], v[7:8], v[15:16]
	scratch_store_b128 off, v[9:12], off offset:128
.LBB33_43:
	s_wait_alu 0xfffe
	s_or_b32 exec_lo, exec_lo, s0
	s_wait_loadcnt 0x0
	s_wait_storecnt 0x0
	s_barrier_signal -1
	s_barrier_wait -1
	global_inv scope:SCOPE_SE
	scratch_load_b128 v[1:4], off, s39
	s_mov_b32 s0, exec_lo
	s_wait_loadcnt 0x0
	ds_store_b128 v5, v[1:4]
	s_wait_dscnt 0x0
	s_barrier_signal -1
	s_barrier_wait -1
	global_inv scope:SCOPE_SE
	v_cmpx_gt_u32_e32 8, v0
	s_cbranch_execz .LBB33_47
; %bb.44:
	v_dual_mov_b32 v1, 0 :: v_dual_add_nc_u32 v8, 0x220, v13
	v_mov_b32_e32 v3, 0
	v_dual_mov_b32 v2, 0 :: v_dual_add_nc_u32 v7, -1, v0
	v_mov_b32_e32 v4, 0
	v_or_b32_e32 v9, 8, v14
	s_mov_b32 s1, 0
.LBB33_45:                              ; =>This Inner Loop Header: Depth=1
	scratch_load_b128 v[15:18], v9, off offset:-8
	ds_load_b128 v[19:22], v8
	v_add_nc_u32_e32 v7, 1, v7
	v_add_nc_u32_e32 v8, 16, v8
	v_add_nc_u32_e32 v9, 16, v9
	s_delay_alu instid0(VALU_DEP_3)
	v_cmp_lt_u32_e32 vcc_lo, 6, v7
	s_wait_alu 0xfffe
	s_or_b32 s1, vcc_lo, s1
	s_wait_loadcnt_dscnt 0x0
	v_mul_f64_e32 v[10:11], v[21:22], v[17:18]
	v_mul_f64_e32 v[17:18], v[19:20], v[17:18]
	s_delay_alu instid0(VALU_DEP_2) | instskip(NEXT) | instid1(VALU_DEP_2)
	v_fma_f64 v[10:11], v[19:20], v[15:16], -v[10:11]
	v_fma_f64 v[15:16], v[21:22], v[15:16], v[17:18]
	s_delay_alu instid0(VALU_DEP_2) | instskip(NEXT) | instid1(VALU_DEP_2)
	v_add_f64_e32 v[3:4], v[3:4], v[10:11]
	v_add_f64_e32 v[1:2], v[1:2], v[15:16]
	s_wait_alu 0xfffe
	s_and_not1_b32 exec_lo, exec_lo, s1
	s_cbranch_execnz .LBB33_45
; %bb.46:
	s_or_b32 exec_lo, exec_lo, s1
	v_mov_b32_e32 v7, 0
	ds_load_b128 v[7:10], v7 offset:128
	s_wait_dscnt 0x0
	v_mul_f64_e32 v[11:12], v[1:2], v[9:10]
	v_mul_f64_e32 v[15:16], v[3:4], v[9:10]
	s_delay_alu instid0(VALU_DEP_2) | instskip(NEXT) | instid1(VALU_DEP_2)
	v_fma_f64 v[9:10], v[3:4], v[7:8], -v[11:12]
	v_fma_f64 v[11:12], v[1:2], v[7:8], v[15:16]
	scratch_store_b128 off, v[9:12], off offset:144
.LBB33_47:
	s_wait_alu 0xfffe
	s_or_b32 exec_lo, exec_lo, s0
	s_wait_loadcnt 0x0
	s_wait_storecnt 0x0
	s_barrier_signal -1
	s_barrier_wait -1
	global_inv scope:SCOPE_SE
	scratch_load_b128 v[1:4], off, s37
	s_mov_b32 s0, exec_lo
	s_wait_loadcnt 0x0
	ds_store_b128 v5, v[1:4]
	s_wait_dscnt 0x0
	s_barrier_signal -1
	s_barrier_wait -1
	global_inv scope:SCOPE_SE
	v_cmpx_gt_u32_e32 9, v0
	s_cbranch_execz .LBB33_51
; %bb.48:
	v_dual_mov_b32 v1, 0 :: v_dual_add_nc_u32 v8, 0x220, v13
	v_mov_b32_e32 v3, 0
	v_dual_mov_b32 v2, 0 :: v_dual_add_nc_u32 v7, -1, v0
	v_mov_b32_e32 v4, 0
	v_or_b32_e32 v9, 8, v14
	s_mov_b32 s1, 0
.LBB33_49:                              ; =>This Inner Loop Header: Depth=1
	scratch_load_b128 v[15:18], v9, off offset:-8
	ds_load_b128 v[19:22], v8
	v_add_nc_u32_e32 v7, 1, v7
	v_add_nc_u32_e32 v8, 16, v8
	v_add_nc_u32_e32 v9, 16, v9
	s_delay_alu instid0(VALU_DEP_3)
	v_cmp_lt_u32_e32 vcc_lo, 7, v7
	s_wait_alu 0xfffe
	s_or_b32 s1, vcc_lo, s1
	s_wait_loadcnt_dscnt 0x0
	v_mul_f64_e32 v[10:11], v[21:22], v[17:18]
	v_mul_f64_e32 v[17:18], v[19:20], v[17:18]
	s_delay_alu instid0(VALU_DEP_2) | instskip(NEXT) | instid1(VALU_DEP_2)
	v_fma_f64 v[10:11], v[19:20], v[15:16], -v[10:11]
	v_fma_f64 v[15:16], v[21:22], v[15:16], v[17:18]
	s_delay_alu instid0(VALU_DEP_2) | instskip(NEXT) | instid1(VALU_DEP_2)
	v_add_f64_e32 v[3:4], v[3:4], v[10:11]
	v_add_f64_e32 v[1:2], v[1:2], v[15:16]
	s_wait_alu 0xfffe
	s_and_not1_b32 exec_lo, exec_lo, s1
	s_cbranch_execnz .LBB33_49
; %bb.50:
	s_or_b32 exec_lo, exec_lo, s1
	v_mov_b32_e32 v7, 0
	ds_load_b128 v[7:10], v7 offset:144
	s_wait_dscnt 0x0
	v_mul_f64_e32 v[11:12], v[1:2], v[9:10]
	v_mul_f64_e32 v[15:16], v[3:4], v[9:10]
	s_delay_alu instid0(VALU_DEP_2) | instskip(NEXT) | instid1(VALU_DEP_2)
	v_fma_f64 v[9:10], v[3:4], v[7:8], -v[11:12]
	v_fma_f64 v[11:12], v[1:2], v[7:8], v[15:16]
	scratch_store_b128 off, v[9:12], off offset:160
.LBB33_51:
	s_wait_alu 0xfffe
	s_or_b32 exec_lo, exec_lo, s0
	s_wait_loadcnt 0x0
	s_wait_storecnt 0x0
	s_barrier_signal -1
	s_barrier_wait -1
	global_inv scope:SCOPE_SE
	scratch_load_b128 v[1:4], off, s36
	s_mov_b32 s0, exec_lo
	s_wait_loadcnt 0x0
	ds_store_b128 v5, v[1:4]
	s_wait_dscnt 0x0
	s_barrier_signal -1
	s_barrier_wait -1
	global_inv scope:SCOPE_SE
	v_cmpx_gt_u32_e32 10, v0
	s_cbranch_execz .LBB33_55
; %bb.52:
	v_dual_mov_b32 v1, 0 :: v_dual_add_nc_u32 v8, 0x220, v13
	v_mov_b32_e32 v3, 0
	v_dual_mov_b32 v2, 0 :: v_dual_add_nc_u32 v7, -1, v0
	v_mov_b32_e32 v4, 0
	v_or_b32_e32 v9, 8, v14
	s_mov_b32 s1, 0
.LBB33_53:                              ; =>This Inner Loop Header: Depth=1
	scratch_load_b128 v[15:18], v9, off offset:-8
	ds_load_b128 v[19:22], v8
	v_add_nc_u32_e32 v7, 1, v7
	v_add_nc_u32_e32 v8, 16, v8
	v_add_nc_u32_e32 v9, 16, v9
	s_delay_alu instid0(VALU_DEP_3)
	v_cmp_lt_u32_e32 vcc_lo, 8, v7
	s_wait_alu 0xfffe
	s_or_b32 s1, vcc_lo, s1
	s_wait_loadcnt_dscnt 0x0
	v_mul_f64_e32 v[10:11], v[21:22], v[17:18]
	v_mul_f64_e32 v[17:18], v[19:20], v[17:18]
	s_delay_alu instid0(VALU_DEP_2) | instskip(NEXT) | instid1(VALU_DEP_2)
	v_fma_f64 v[10:11], v[19:20], v[15:16], -v[10:11]
	v_fma_f64 v[15:16], v[21:22], v[15:16], v[17:18]
	s_delay_alu instid0(VALU_DEP_2) | instskip(NEXT) | instid1(VALU_DEP_2)
	v_add_f64_e32 v[3:4], v[3:4], v[10:11]
	v_add_f64_e32 v[1:2], v[1:2], v[15:16]
	s_wait_alu 0xfffe
	s_and_not1_b32 exec_lo, exec_lo, s1
	s_cbranch_execnz .LBB33_53
; %bb.54:
	s_or_b32 exec_lo, exec_lo, s1
	v_mov_b32_e32 v7, 0
	ds_load_b128 v[7:10], v7 offset:160
	s_wait_dscnt 0x0
	v_mul_f64_e32 v[11:12], v[1:2], v[9:10]
	v_mul_f64_e32 v[15:16], v[3:4], v[9:10]
	s_delay_alu instid0(VALU_DEP_2) | instskip(NEXT) | instid1(VALU_DEP_2)
	v_fma_f64 v[9:10], v[3:4], v[7:8], -v[11:12]
	v_fma_f64 v[11:12], v[1:2], v[7:8], v[15:16]
	scratch_store_b128 off, v[9:12], off offset:176
.LBB33_55:
	s_wait_alu 0xfffe
	s_or_b32 exec_lo, exec_lo, s0
	s_wait_loadcnt 0x0
	s_wait_storecnt 0x0
	s_barrier_signal -1
	s_barrier_wait -1
	global_inv scope:SCOPE_SE
	scratch_load_b128 v[1:4], off, s35
	s_mov_b32 s0, exec_lo
	s_wait_loadcnt 0x0
	ds_store_b128 v5, v[1:4]
	s_wait_dscnt 0x0
	s_barrier_signal -1
	s_barrier_wait -1
	global_inv scope:SCOPE_SE
	v_cmpx_gt_u32_e32 11, v0
	s_cbranch_execz .LBB33_59
; %bb.56:
	v_dual_mov_b32 v1, 0 :: v_dual_add_nc_u32 v8, 0x220, v13
	v_mov_b32_e32 v3, 0
	v_dual_mov_b32 v2, 0 :: v_dual_add_nc_u32 v7, -1, v0
	v_mov_b32_e32 v4, 0
	v_or_b32_e32 v9, 8, v14
	s_mov_b32 s1, 0
.LBB33_57:                              ; =>This Inner Loop Header: Depth=1
	scratch_load_b128 v[15:18], v9, off offset:-8
	ds_load_b128 v[19:22], v8
	v_add_nc_u32_e32 v7, 1, v7
	v_add_nc_u32_e32 v8, 16, v8
	v_add_nc_u32_e32 v9, 16, v9
	s_delay_alu instid0(VALU_DEP_3)
	v_cmp_lt_u32_e32 vcc_lo, 9, v7
	s_wait_alu 0xfffe
	s_or_b32 s1, vcc_lo, s1
	s_wait_loadcnt_dscnt 0x0
	v_mul_f64_e32 v[10:11], v[21:22], v[17:18]
	v_mul_f64_e32 v[17:18], v[19:20], v[17:18]
	s_delay_alu instid0(VALU_DEP_2) | instskip(NEXT) | instid1(VALU_DEP_2)
	v_fma_f64 v[10:11], v[19:20], v[15:16], -v[10:11]
	v_fma_f64 v[15:16], v[21:22], v[15:16], v[17:18]
	s_delay_alu instid0(VALU_DEP_2) | instskip(NEXT) | instid1(VALU_DEP_2)
	v_add_f64_e32 v[3:4], v[3:4], v[10:11]
	v_add_f64_e32 v[1:2], v[1:2], v[15:16]
	s_wait_alu 0xfffe
	s_and_not1_b32 exec_lo, exec_lo, s1
	s_cbranch_execnz .LBB33_57
; %bb.58:
	s_or_b32 exec_lo, exec_lo, s1
	v_mov_b32_e32 v7, 0
	ds_load_b128 v[7:10], v7 offset:176
	s_wait_dscnt 0x0
	v_mul_f64_e32 v[11:12], v[1:2], v[9:10]
	v_mul_f64_e32 v[15:16], v[3:4], v[9:10]
	s_delay_alu instid0(VALU_DEP_2) | instskip(NEXT) | instid1(VALU_DEP_2)
	v_fma_f64 v[9:10], v[3:4], v[7:8], -v[11:12]
	v_fma_f64 v[11:12], v[1:2], v[7:8], v[15:16]
	scratch_store_b128 off, v[9:12], off offset:192
.LBB33_59:
	s_wait_alu 0xfffe
	s_or_b32 exec_lo, exec_lo, s0
	s_wait_loadcnt 0x0
	s_wait_storecnt 0x0
	s_barrier_signal -1
	s_barrier_wait -1
	global_inv scope:SCOPE_SE
	scratch_load_b128 v[1:4], off, s34
	s_mov_b32 s0, exec_lo
	s_wait_loadcnt 0x0
	ds_store_b128 v5, v[1:4]
	s_wait_dscnt 0x0
	s_barrier_signal -1
	s_barrier_wait -1
	global_inv scope:SCOPE_SE
	v_cmpx_gt_u32_e32 12, v0
	s_cbranch_execz .LBB33_63
; %bb.60:
	v_dual_mov_b32 v1, 0 :: v_dual_add_nc_u32 v8, 0x220, v13
	v_mov_b32_e32 v3, 0
	v_dual_mov_b32 v2, 0 :: v_dual_add_nc_u32 v7, -1, v0
	v_mov_b32_e32 v4, 0
	v_or_b32_e32 v9, 8, v14
	s_mov_b32 s1, 0
.LBB33_61:                              ; =>This Inner Loop Header: Depth=1
	scratch_load_b128 v[15:18], v9, off offset:-8
	ds_load_b128 v[19:22], v8
	v_add_nc_u32_e32 v7, 1, v7
	v_add_nc_u32_e32 v8, 16, v8
	v_add_nc_u32_e32 v9, 16, v9
	s_delay_alu instid0(VALU_DEP_3)
	v_cmp_lt_u32_e32 vcc_lo, 10, v7
	s_wait_alu 0xfffe
	s_or_b32 s1, vcc_lo, s1
	s_wait_loadcnt_dscnt 0x0
	v_mul_f64_e32 v[10:11], v[21:22], v[17:18]
	v_mul_f64_e32 v[17:18], v[19:20], v[17:18]
	s_delay_alu instid0(VALU_DEP_2) | instskip(NEXT) | instid1(VALU_DEP_2)
	v_fma_f64 v[10:11], v[19:20], v[15:16], -v[10:11]
	v_fma_f64 v[15:16], v[21:22], v[15:16], v[17:18]
	s_delay_alu instid0(VALU_DEP_2) | instskip(NEXT) | instid1(VALU_DEP_2)
	v_add_f64_e32 v[3:4], v[3:4], v[10:11]
	v_add_f64_e32 v[1:2], v[1:2], v[15:16]
	s_wait_alu 0xfffe
	s_and_not1_b32 exec_lo, exec_lo, s1
	s_cbranch_execnz .LBB33_61
; %bb.62:
	s_or_b32 exec_lo, exec_lo, s1
	v_mov_b32_e32 v7, 0
	ds_load_b128 v[7:10], v7 offset:192
	s_wait_dscnt 0x0
	v_mul_f64_e32 v[11:12], v[1:2], v[9:10]
	v_mul_f64_e32 v[15:16], v[3:4], v[9:10]
	s_delay_alu instid0(VALU_DEP_2) | instskip(NEXT) | instid1(VALU_DEP_2)
	v_fma_f64 v[9:10], v[3:4], v[7:8], -v[11:12]
	v_fma_f64 v[11:12], v[1:2], v[7:8], v[15:16]
	scratch_store_b128 off, v[9:12], off offset:208
.LBB33_63:
	s_wait_alu 0xfffe
	s_or_b32 exec_lo, exec_lo, s0
	s_wait_loadcnt 0x0
	s_wait_storecnt 0x0
	s_barrier_signal -1
	s_barrier_wait -1
	global_inv scope:SCOPE_SE
	scratch_load_b128 v[1:4], off, s33
	s_mov_b32 s0, exec_lo
	s_wait_loadcnt 0x0
	ds_store_b128 v5, v[1:4]
	s_wait_dscnt 0x0
	s_barrier_signal -1
	s_barrier_wait -1
	global_inv scope:SCOPE_SE
	v_cmpx_gt_u32_e32 13, v0
	s_cbranch_execz .LBB33_67
; %bb.64:
	v_dual_mov_b32 v1, 0 :: v_dual_add_nc_u32 v8, 0x220, v13
	v_mov_b32_e32 v3, 0
	v_dual_mov_b32 v2, 0 :: v_dual_add_nc_u32 v7, -1, v0
	v_mov_b32_e32 v4, 0
	v_or_b32_e32 v9, 8, v14
	s_mov_b32 s1, 0
.LBB33_65:                              ; =>This Inner Loop Header: Depth=1
	scratch_load_b128 v[15:18], v9, off offset:-8
	ds_load_b128 v[19:22], v8
	v_add_nc_u32_e32 v7, 1, v7
	v_add_nc_u32_e32 v8, 16, v8
	v_add_nc_u32_e32 v9, 16, v9
	s_delay_alu instid0(VALU_DEP_3)
	v_cmp_lt_u32_e32 vcc_lo, 11, v7
	s_wait_alu 0xfffe
	s_or_b32 s1, vcc_lo, s1
	s_wait_loadcnt_dscnt 0x0
	v_mul_f64_e32 v[10:11], v[21:22], v[17:18]
	v_mul_f64_e32 v[17:18], v[19:20], v[17:18]
	s_delay_alu instid0(VALU_DEP_2) | instskip(NEXT) | instid1(VALU_DEP_2)
	v_fma_f64 v[10:11], v[19:20], v[15:16], -v[10:11]
	v_fma_f64 v[15:16], v[21:22], v[15:16], v[17:18]
	s_delay_alu instid0(VALU_DEP_2) | instskip(NEXT) | instid1(VALU_DEP_2)
	v_add_f64_e32 v[3:4], v[3:4], v[10:11]
	v_add_f64_e32 v[1:2], v[1:2], v[15:16]
	s_wait_alu 0xfffe
	s_and_not1_b32 exec_lo, exec_lo, s1
	s_cbranch_execnz .LBB33_65
; %bb.66:
	s_or_b32 exec_lo, exec_lo, s1
	v_mov_b32_e32 v7, 0
	ds_load_b128 v[7:10], v7 offset:208
	s_wait_dscnt 0x0
	v_mul_f64_e32 v[11:12], v[1:2], v[9:10]
	v_mul_f64_e32 v[15:16], v[3:4], v[9:10]
	s_delay_alu instid0(VALU_DEP_2) | instskip(NEXT) | instid1(VALU_DEP_2)
	v_fma_f64 v[9:10], v[3:4], v[7:8], -v[11:12]
	v_fma_f64 v[11:12], v[1:2], v[7:8], v[15:16]
	scratch_store_b128 off, v[9:12], off offset:224
.LBB33_67:
	s_wait_alu 0xfffe
	s_or_b32 exec_lo, exec_lo, s0
	s_wait_loadcnt 0x0
	s_wait_storecnt 0x0
	s_barrier_signal -1
	s_barrier_wait -1
	global_inv scope:SCOPE_SE
	scratch_load_b128 v[1:4], off, s31
	s_mov_b32 s0, exec_lo
	s_wait_loadcnt 0x0
	ds_store_b128 v5, v[1:4]
	s_wait_dscnt 0x0
	s_barrier_signal -1
	s_barrier_wait -1
	global_inv scope:SCOPE_SE
	v_cmpx_gt_u32_e32 14, v0
	s_cbranch_execz .LBB33_71
; %bb.68:
	v_dual_mov_b32 v1, 0 :: v_dual_add_nc_u32 v8, 0x220, v13
	v_mov_b32_e32 v3, 0
	v_dual_mov_b32 v2, 0 :: v_dual_add_nc_u32 v7, -1, v0
	v_mov_b32_e32 v4, 0
	v_or_b32_e32 v9, 8, v14
	s_mov_b32 s1, 0
.LBB33_69:                              ; =>This Inner Loop Header: Depth=1
	scratch_load_b128 v[15:18], v9, off offset:-8
	ds_load_b128 v[19:22], v8
	v_add_nc_u32_e32 v7, 1, v7
	v_add_nc_u32_e32 v8, 16, v8
	v_add_nc_u32_e32 v9, 16, v9
	s_delay_alu instid0(VALU_DEP_3)
	v_cmp_lt_u32_e32 vcc_lo, 12, v7
	s_wait_alu 0xfffe
	s_or_b32 s1, vcc_lo, s1
	s_wait_loadcnt_dscnt 0x0
	v_mul_f64_e32 v[10:11], v[21:22], v[17:18]
	v_mul_f64_e32 v[17:18], v[19:20], v[17:18]
	s_delay_alu instid0(VALU_DEP_2) | instskip(NEXT) | instid1(VALU_DEP_2)
	v_fma_f64 v[10:11], v[19:20], v[15:16], -v[10:11]
	v_fma_f64 v[15:16], v[21:22], v[15:16], v[17:18]
	s_delay_alu instid0(VALU_DEP_2) | instskip(NEXT) | instid1(VALU_DEP_2)
	v_add_f64_e32 v[3:4], v[3:4], v[10:11]
	v_add_f64_e32 v[1:2], v[1:2], v[15:16]
	s_wait_alu 0xfffe
	s_and_not1_b32 exec_lo, exec_lo, s1
	s_cbranch_execnz .LBB33_69
; %bb.70:
	s_or_b32 exec_lo, exec_lo, s1
	v_mov_b32_e32 v7, 0
	ds_load_b128 v[7:10], v7 offset:224
	s_wait_dscnt 0x0
	v_mul_f64_e32 v[11:12], v[1:2], v[9:10]
	v_mul_f64_e32 v[15:16], v[3:4], v[9:10]
	s_delay_alu instid0(VALU_DEP_2) | instskip(NEXT) | instid1(VALU_DEP_2)
	v_fma_f64 v[9:10], v[3:4], v[7:8], -v[11:12]
	v_fma_f64 v[11:12], v[1:2], v[7:8], v[15:16]
	scratch_store_b128 off, v[9:12], off offset:240
.LBB33_71:
	s_wait_alu 0xfffe
	s_or_b32 exec_lo, exec_lo, s0
	s_wait_loadcnt 0x0
	s_wait_storecnt 0x0
	s_barrier_signal -1
	s_barrier_wait -1
	global_inv scope:SCOPE_SE
	scratch_load_b128 v[1:4], off, s30
	s_mov_b32 s0, exec_lo
	s_wait_loadcnt 0x0
	ds_store_b128 v5, v[1:4]
	s_wait_dscnt 0x0
	s_barrier_signal -1
	s_barrier_wait -1
	global_inv scope:SCOPE_SE
	v_cmpx_gt_u32_e32 15, v0
	s_cbranch_execz .LBB33_75
; %bb.72:
	v_dual_mov_b32 v1, 0 :: v_dual_add_nc_u32 v8, 0x220, v13
	v_mov_b32_e32 v3, 0
	v_dual_mov_b32 v2, 0 :: v_dual_add_nc_u32 v7, -1, v0
	v_mov_b32_e32 v4, 0
	v_or_b32_e32 v9, 8, v14
	s_mov_b32 s1, 0
.LBB33_73:                              ; =>This Inner Loop Header: Depth=1
	scratch_load_b128 v[15:18], v9, off offset:-8
	ds_load_b128 v[19:22], v8
	v_add_nc_u32_e32 v7, 1, v7
	v_add_nc_u32_e32 v8, 16, v8
	v_add_nc_u32_e32 v9, 16, v9
	s_delay_alu instid0(VALU_DEP_3)
	v_cmp_lt_u32_e32 vcc_lo, 13, v7
	s_wait_alu 0xfffe
	s_or_b32 s1, vcc_lo, s1
	s_wait_loadcnt_dscnt 0x0
	v_mul_f64_e32 v[10:11], v[21:22], v[17:18]
	v_mul_f64_e32 v[17:18], v[19:20], v[17:18]
	s_delay_alu instid0(VALU_DEP_2) | instskip(NEXT) | instid1(VALU_DEP_2)
	v_fma_f64 v[10:11], v[19:20], v[15:16], -v[10:11]
	v_fma_f64 v[15:16], v[21:22], v[15:16], v[17:18]
	s_delay_alu instid0(VALU_DEP_2) | instskip(NEXT) | instid1(VALU_DEP_2)
	v_add_f64_e32 v[3:4], v[3:4], v[10:11]
	v_add_f64_e32 v[1:2], v[1:2], v[15:16]
	s_wait_alu 0xfffe
	s_and_not1_b32 exec_lo, exec_lo, s1
	s_cbranch_execnz .LBB33_73
; %bb.74:
	s_or_b32 exec_lo, exec_lo, s1
	v_mov_b32_e32 v7, 0
	ds_load_b128 v[7:10], v7 offset:240
	s_wait_dscnt 0x0
	v_mul_f64_e32 v[11:12], v[1:2], v[9:10]
	v_mul_f64_e32 v[15:16], v[3:4], v[9:10]
	s_delay_alu instid0(VALU_DEP_2) | instskip(NEXT) | instid1(VALU_DEP_2)
	v_fma_f64 v[9:10], v[3:4], v[7:8], -v[11:12]
	v_fma_f64 v[11:12], v[1:2], v[7:8], v[15:16]
	scratch_store_b128 off, v[9:12], off offset:256
.LBB33_75:
	s_wait_alu 0xfffe
	s_or_b32 exec_lo, exec_lo, s0
	s_wait_loadcnt 0x0
	s_wait_storecnt 0x0
	s_barrier_signal -1
	s_barrier_wait -1
	global_inv scope:SCOPE_SE
	scratch_load_b128 v[1:4], off, s29
	s_mov_b32 s0, exec_lo
	s_wait_loadcnt 0x0
	ds_store_b128 v5, v[1:4]
	s_wait_dscnt 0x0
	s_barrier_signal -1
	s_barrier_wait -1
	global_inv scope:SCOPE_SE
	v_cmpx_gt_u32_e32 16, v0
	s_cbranch_execz .LBB33_79
; %bb.76:
	v_dual_mov_b32 v1, 0 :: v_dual_add_nc_u32 v8, 0x220, v13
	v_mov_b32_e32 v3, 0
	v_dual_mov_b32 v2, 0 :: v_dual_add_nc_u32 v7, -1, v0
	v_mov_b32_e32 v4, 0
	v_or_b32_e32 v9, 8, v14
	s_mov_b32 s1, 0
.LBB33_77:                              ; =>This Inner Loop Header: Depth=1
	scratch_load_b128 v[15:18], v9, off offset:-8
	ds_load_b128 v[19:22], v8
	v_add_nc_u32_e32 v7, 1, v7
	v_add_nc_u32_e32 v8, 16, v8
	v_add_nc_u32_e32 v9, 16, v9
	s_delay_alu instid0(VALU_DEP_3)
	v_cmp_lt_u32_e32 vcc_lo, 14, v7
	s_wait_alu 0xfffe
	s_or_b32 s1, vcc_lo, s1
	s_wait_loadcnt_dscnt 0x0
	v_mul_f64_e32 v[10:11], v[21:22], v[17:18]
	v_mul_f64_e32 v[17:18], v[19:20], v[17:18]
	s_delay_alu instid0(VALU_DEP_2) | instskip(NEXT) | instid1(VALU_DEP_2)
	v_fma_f64 v[10:11], v[19:20], v[15:16], -v[10:11]
	v_fma_f64 v[15:16], v[21:22], v[15:16], v[17:18]
	s_delay_alu instid0(VALU_DEP_2) | instskip(NEXT) | instid1(VALU_DEP_2)
	v_add_f64_e32 v[3:4], v[3:4], v[10:11]
	v_add_f64_e32 v[1:2], v[1:2], v[15:16]
	s_wait_alu 0xfffe
	s_and_not1_b32 exec_lo, exec_lo, s1
	s_cbranch_execnz .LBB33_77
; %bb.78:
	s_or_b32 exec_lo, exec_lo, s1
	v_mov_b32_e32 v7, 0
	ds_load_b128 v[7:10], v7 offset:256
	s_wait_dscnt 0x0
	v_mul_f64_e32 v[11:12], v[1:2], v[9:10]
	v_mul_f64_e32 v[15:16], v[3:4], v[9:10]
	s_delay_alu instid0(VALU_DEP_2) | instskip(NEXT) | instid1(VALU_DEP_2)
	v_fma_f64 v[9:10], v[3:4], v[7:8], -v[11:12]
	v_fma_f64 v[11:12], v[1:2], v[7:8], v[15:16]
	scratch_store_b128 off, v[9:12], off offset:272
.LBB33_79:
	s_wait_alu 0xfffe
	s_or_b32 exec_lo, exec_lo, s0
	s_wait_loadcnt 0x0
	s_wait_storecnt 0x0
	s_barrier_signal -1
	s_barrier_wait -1
	global_inv scope:SCOPE_SE
	scratch_load_b128 v[1:4], off, s5
	s_mov_b32 s0, exec_lo
	s_wait_loadcnt 0x0
	ds_store_b128 v5, v[1:4]
	s_wait_dscnt 0x0
	s_barrier_signal -1
	s_barrier_wait -1
	global_inv scope:SCOPE_SE
	v_cmpx_gt_u32_e32 17, v0
	s_cbranch_execz .LBB33_83
; %bb.80:
	v_dual_mov_b32 v1, 0 :: v_dual_add_nc_u32 v8, 0x220, v13
	v_mov_b32_e32 v3, 0
	v_dual_mov_b32 v2, 0 :: v_dual_add_nc_u32 v7, -1, v0
	v_mov_b32_e32 v4, 0
	v_or_b32_e32 v9, 8, v14
	s_mov_b32 s1, 0
.LBB33_81:                              ; =>This Inner Loop Header: Depth=1
	scratch_load_b128 v[15:18], v9, off offset:-8
	ds_load_b128 v[19:22], v8
	v_add_nc_u32_e32 v7, 1, v7
	v_add_nc_u32_e32 v8, 16, v8
	v_add_nc_u32_e32 v9, 16, v9
	s_delay_alu instid0(VALU_DEP_3)
	v_cmp_lt_u32_e32 vcc_lo, 15, v7
	s_wait_alu 0xfffe
	s_or_b32 s1, vcc_lo, s1
	s_wait_loadcnt_dscnt 0x0
	v_mul_f64_e32 v[10:11], v[21:22], v[17:18]
	v_mul_f64_e32 v[17:18], v[19:20], v[17:18]
	s_delay_alu instid0(VALU_DEP_2) | instskip(NEXT) | instid1(VALU_DEP_2)
	v_fma_f64 v[10:11], v[19:20], v[15:16], -v[10:11]
	v_fma_f64 v[15:16], v[21:22], v[15:16], v[17:18]
	s_delay_alu instid0(VALU_DEP_2) | instskip(NEXT) | instid1(VALU_DEP_2)
	v_add_f64_e32 v[3:4], v[3:4], v[10:11]
	v_add_f64_e32 v[1:2], v[1:2], v[15:16]
	s_wait_alu 0xfffe
	s_and_not1_b32 exec_lo, exec_lo, s1
	s_cbranch_execnz .LBB33_81
; %bb.82:
	s_or_b32 exec_lo, exec_lo, s1
	v_mov_b32_e32 v7, 0
	ds_load_b128 v[7:10], v7 offset:272
	s_wait_dscnt 0x0
	v_mul_f64_e32 v[11:12], v[1:2], v[9:10]
	v_mul_f64_e32 v[15:16], v[3:4], v[9:10]
	s_delay_alu instid0(VALU_DEP_2) | instskip(NEXT) | instid1(VALU_DEP_2)
	v_fma_f64 v[9:10], v[3:4], v[7:8], -v[11:12]
	v_fma_f64 v[11:12], v[1:2], v[7:8], v[15:16]
	scratch_store_b128 off, v[9:12], off offset:288
.LBB33_83:
	s_wait_alu 0xfffe
	s_or_b32 exec_lo, exec_lo, s0
	s_wait_loadcnt 0x0
	s_wait_storecnt 0x0
	s_barrier_signal -1
	s_barrier_wait -1
	global_inv scope:SCOPE_SE
	scratch_load_b128 v[1:4], off, s8
	s_mov_b32 s0, exec_lo
	s_wait_loadcnt 0x0
	ds_store_b128 v5, v[1:4]
	s_wait_dscnt 0x0
	s_barrier_signal -1
	s_barrier_wait -1
	global_inv scope:SCOPE_SE
	v_cmpx_gt_u32_e32 18, v0
	s_cbranch_execz .LBB33_87
; %bb.84:
	v_dual_mov_b32 v1, 0 :: v_dual_add_nc_u32 v8, 0x220, v13
	v_mov_b32_e32 v3, 0
	v_dual_mov_b32 v2, 0 :: v_dual_add_nc_u32 v7, -1, v0
	v_mov_b32_e32 v4, 0
	v_or_b32_e32 v9, 8, v14
	s_mov_b32 s1, 0
.LBB33_85:                              ; =>This Inner Loop Header: Depth=1
	scratch_load_b128 v[15:18], v9, off offset:-8
	ds_load_b128 v[19:22], v8
	v_add_nc_u32_e32 v7, 1, v7
	v_add_nc_u32_e32 v8, 16, v8
	v_add_nc_u32_e32 v9, 16, v9
	s_delay_alu instid0(VALU_DEP_3)
	v_cmp_lt_u32_e32 vcc_lo, 16, v7
	s_wait_alu 0xfffe
	s_or_b32 s1, vcc_lo, s1
	s_wait_loadcnt_dscnt 0x0
	v_mul_f64_e32 v[10:11], v[21:22], v[17:18]
	v_mul_f64_e32 v[17:18], v[19:20], v[17:18]
	s_delay_alu instid0(VALU_DEP_2) | instskip(NEXT) | instid1(VALU_DEP_2)
	v_fma_f64 v[10:11], v[19:20], v[15:16], -v[10:11]
	v_fma_f64 v[15:16], v[21:22], v[15:16], v[17:18]
	s_delay_alu instid0(VALU_DEP_2) | instskip(NEXT) | instid1(VALU_DEP_2)
	v_add_f64_e32 v[3:4], v[3:4], v[10:11]
	v_add_f64_e32 v[1:2], v[1:2], v[15:16]
	s_wait_alu 0xfffe
	s_and_not1_b32 exec_lo, exec_lo, s1
	s_cbranch_execnz .LBB33_85
; %bb.86:
	s_or_b32 exec_lo, exec_lo, s1
	v_mov_b32_e32 v7, 0
	ds_load_b128 v[7:10], v7 offset:288
	s_wait_dscnt 0x0
	v_mul_f64_e32 v[11:12], v[1:2], v[9:10]
	v_mul_f64_e32 v[15:16], v[3:4], v[9:10]
	s_delay_alu instid0(VALU_DEP_2) | instskip(NEXT) | instid1(VALU_DEP_2)
	v_fma_f64 v[9:10], v[3:4], v[7:8], -v[11:12]
	v_fma_f64 v[11:12], v[1:2], v[7:8], v[15:16]
	scratch_store_b128 off, v[9:12], off offset:304
.LBB33_87:
	s_wait_alu 0xfffe
	s_or_b32 exec_lo, exec_lo, s0
	s_wait_loadcnt 0x0
	s_wait_storecnt 0x0
	s_barrier_signal -1
	s_barrier_wait -1
	global_inv scope:SCOPE_SE
	scratch_load_b128 v[1:4], off, s4
	s_mov_b32 s0, exec_lo
	s_wait_loadcnt 0x0
	ds_store_b128 v5, v[1:4]
	s_wait_dscnt 0x0
	s_barrier_signal -1
	s_barrier_wait -1
	global_inv scope:SCOPE_SE
	v_cmpx_gt_u32_e32 19, v0
	s_cbranch_execz .LBB33_91
; %bb.88:
	v_dual_mov_b32 v1, 0 :: v_dual_add_nc_u32 v8, 0x220, v13
	v_mov_b32_e32 v3, 0
	v_dual_mov_b32 v2, 0 :: v_dual_add_nc_u32 v7, -1, v0
	v_mov_b32_e32 v4, 0
	v_or_b32_e32 v9, 8, v14
	s_mov_b32 s1, 0
.LBB33_89:                              ; =>This Inner Loop Header: Depth=1
	scratch_load_b128 v[15:18], v9, off offset:-8
	ds_load_b128 v[19:22], v8
	v_add_nc_u32_e32 v7, 1, v7
	v_add_nc_u32_e32 v8, 16, v8
	v_add_nc_u32_e32 v9, 16, v9
	s_delay_alu instid0(VALU_DEP_3)
	v_cmp_lt_u32_e32 vcc_lo, 17, v7
	s_wait_alu 0xfffe
	s_or_b32 s1, vcc_lo, s1
	s_wait_loadcnt_dscnt 0x0
	v_mul_f64_e32 v[10:11], v[21:22], v[17:18]
	v_mul_f64_e32 v[17:18], v[19:20], v[17:18]
	s_delay_alu instid0(VALU_DEP_2) | instskip(NEXT) | instid1(VALU_DEP_2)
	v_fma_f64 v[10:11], v[19:20], v[15:16], -v[10:11]
	v_fma_f64 v[15:16], v[21:22], v[15:16], v[17:18]
	s_delay_alu instid0(VALU_DEP_2) | instskip(NEXT) | instid1(VALU_DEP_2)
	v_add_f64_e32 v[3:4], v[3:4], v[10:11]
	v_add_f64_e32 v[1:2], v[1:2], v[15:16]
	s_wait_alu 0xfffe
	s_and_not1_b32 exec_lo, exec_lo, s1
	s_cbranch_execnz .LBB33_89
; %bb.90:
	s_or_b32 exec_lo, exec_lo, s1
	v_mov_b32_e32 v7, 0
	ds_load_b128 v[7:10], v7 offset:304
	s_wait_dscnt 0x0
	v_mul_f64_e32 v[11:12], v[1:2], v[9:10]
	v_mul_f64_e32 v[15:16], v[3:4], v[9:10]
	s_delay_alu instid0(VALU_DEP_2) | instskip(NEXT) | instid1(VALU_DEP_2)
	v_fma_f64 v[9:10], v[3:4], v[7:8], -v[11:12]
	v_fma_f64 v[11:12], v[1:2], v[7:8], v[15:16]
	scratch_store_b128 off, v[9:12], off offset:320
.LBB33_91:
	s_wait_alu 0xfffe
	s_or_b32 exec_lo, exec_lo, s0
	s_wait_loadcnt 0x0
	s_wait_storecnt 0x0
	s_barrier_signal -1
	s_barrier_wait -1
	global_inv scope:SCOPE_SE
	scratch_load_b128 v[1:4], off, s20
	s_mov_b32 s0, exec_lo
	s_wait_loadcnt 0x0
	ds_store_b128 v5, v[1:4]
	s_wait_dscnt 0x0
	s_barrier_signal -1
	s_barrier_wait -1
	global_inv scope:SCOPE_SE
	v_cmpx_gt_u32_e32 20, v0
	s_cbranch_execz .LBB33_95
; %bb.92:
	v_dual_mov_b32 v1, 0 :: v_dual_add_nc_u32 v8, 0x220, v13
	v_mov_b32_e32 v3, 0
	v_dual_mov_b32 v2, 0 :: v_dual_add_nc_u32 v7, -1, v0
	v_mov_b32_e32 v4, 0
	v_or_b32_e32 v9, 8, v14
	s_mov_b32 s1, 0
.LBB33_93:                              ; =>This Inner Loop Header: Depth=1
	scratch_load_b128 v[15:18], v9, off offset:-8
	ds_load_b128 v[19:22], v8
	v_add_nc_u32_e32 v7, 1, v7
	v_add_nc_u32_e32 v8, 16, v8
	v_add_nc_u32_e32 v9, 16, v9
	s_delay_alu instid0(VALU_DEP_3)
	v_cmp_lt_u32_e32 vcc_lo, 18, v7
	s_wait_alu 0xfffe
	s_or_b32 s1, vcc_lo, s1
	s_wait_loadcnt_dscnt 0x0
	v_mul_f64_e32 v[10:11], v[21:22], v[17:18]
	v_mul_f64_e32 v[17:18], v[19:20], v[17:18]
	s_delay_alu instid0(VALU_DEP_2) | instskip(NEXT) | instid1(VALU_DEP_2)
	v_fma_f64 v[10:11], v[19:20], v[15:16], -v[10:11]
	v_fma_f64 v[15:16], v[21:22], v[15:16], v[17:18]
	s_delay_alu instid0(VALU_DEP_2) | instskip(NEXT) | instid1(VALU_DEP_2)
	v_add_f64_e32 v[3:4], v[3:4], v[10:11]
	v_add_f64_e32 v[1:2], v[1:2], v[15:16]
	s_wait_alu 0xfffe
	s_and_not1_b32 exec_lo, exec_lo, s1
	s_cbranch_execnz .LBB33_93
; %bb.94:
	s_or_b32 exec_lo, exec_lo, s1
	v_mov_b32_e32 v7, 0
	ds_load_b128 v[7:10], v7 offset:320
	s_wait_dscnt 0x0
	v_mul_f64_e32 v[11:12], v[1:2], v[9:10]
	v_mul_f64_e32 v[15:16], v[3:4], v[9:10]
	s_delay_alu instid0(VALU_DEP_2) | instskip(NEXT) | instid1(VALU_DEP_2)
	v_fma_f64 v[9:10], v[3:4], v[7:8], -v[11:12]
	v_fma_f64 v[11:12], v[1:2], v[7:8], v[15:16]
	scratch_store_b128 off, v[9:12], off offset:336
.LBB33_95:
	s_wait_alu 0xfffe
	s_or_b32 exec_lo, exec_lo, s0
	s_wait_loadcnt 0x0
	s_wait_storecnt 0x0
	s_barrier_signal -1
	s_barrier_wait -1
	global_inv scope:SCOPE_SE
	scratch_load_b128 v[1:4], off, s14
	s_mov_b32 s0, exec_lo
	s_wait_loadcnt 0x0
	ds_store_b128 v5, v[1:4]
	s_wait_dscnt 0x0
	s_barrier_signal -1
	s_barrier_wait -1
	global_inv scope:SCOPE_SE
	v_cmpx_gt_u32_e32 21, v0
	s_cbranch_execz .LBB33_99
; %bb.96:
	v_dual_mov_b32 v1, 0 :: v_dual_add_nc_u32 v8, 0x220, v13
	v_mov_b32_e32 v3, 0
	v_dual_mov_b32 v2, 0 :: v_dual_add_nc_u32 v7, -1, v0
	v_mov_b32_e32 v4, 0
	v_or_b32_e32 v9, 8, v14
	s_mov_b32 s1, 0
.LBB33_97:                              ; =>This Inner Loop Header: Depth=1
	scratch_load_b128 v[15:18], v9, off offset:-8
	ds_load_b128 v[19:22], v8
	v_add_nc_u32_e32 v7, 1, v7
	v_add_nc_u32_e32 v8, 16, v8
	v_add_nc_u32_e32 v9, 16, v9
	s_delay_alu instid0(VALU_DEP_3)
	v_cmp_lt_u32_e32 vcc_lo, 19, v7
	s_wait_alu 0xfffe
	s_or_b32 s1, vcc_lo, s1
	s_wait_loadcnt_dscnt 0x0
	v_mul_f64_e32 v[10:11], v[21:22], v[17:18]
	v_mul_f64_e32 v[17:18], v[19:20], v[17:18]
	s_delay_alu instid0(VALU_DEP_2) | instskip(NEXT) | instid1(VALU_DEP_2)
	v_fma_f64 v[10:11], v[19:20], v[15:16], -v[10:11]
	v_fma_f64 v[15:16], v[21:22], v[15:16], v[17:18]
	s_delay_alu instid0(VALU_DEP_2) | instskip(NEXT) | instid1(VALU_DEP_2)
	v_add_f64_e32 v[3:4], v[3:4], v[10:11]
	v_add_f64_e32 v[1:2], v[1:2], v[15:16]
	s_wait_alu 0xfffe
	s_and_not1_b32 exec_lo, exec_lo, s1
	s_cbranch_execnz .LBB33_97
; %bb.98:
	s_or_b32 exec_lo, exec_lo, s1
	v_mov_b32_e32 v7, 0
	ds_load_b128 v[7:10], v7 offset:336
	s_wait_dscnt 0x0
	v_mul_f64_e32 v[11:12], v[1:2], v[9:10]
	v_mul_f64_e32 v[15:16], v[3:4], v[9:10]
	s_delay_alu instid0(VALU_DEP_2) | instskip(NEXT) | instid1(VALU_DEP_2)
	v_fma_f64 v[9:10], v[3:4], v[7:8], -v[11:12]
	v_fma_f64 v[11:12], v[1:2], v[7:8], v[15:16]
	scratch_store_b128 off, v[9:12], off offset:352
.LBB33_99:
	s_wait_alu 0xfffe
	s_or_b32 exec_lo, exec_lo, s0
	s_wait_loadcnt 0x0
	s_wait_storecnt 0x0
	s_barrier_signal -1
	s_barrier_wait -1
	global_inv scope:SCOPE_SE
	scratch_load_b128 v[1:4], off, s15
	s_mov_b32 s0, exec_lo
	s_wait_loadcnt 0x0
	ds_store_b128 v5, v[1:4]
	s_wait_dscnt 0x0
	s_barrier_signal -1
	s_barrier_wait -1
	global_inv scope:SCOPE_SE
	v_cmpx_gt_u32_e32 22, v0
	s_cbranch_execz .LBB33_103
; %bb.100:
	v_dual_mov_b32 v1, 0 :: v_dual_add_nc_u32 v8, 0x220, v13
	v_mov_b32_e32 v3, 0
	v_dual_mov_b32 v2, 0 :: v_dual_add_nc_u32 v7, -1, v0
	v_mov_b32_e32 v4, 0
	v_or_b32_e32 v9, 8, v14
	s_mov_b32 s1, 0
.LBB33_101:                             ; =>This Inner Loop Header: Depth=1
	scratch_load_b128 v[15:18], v9, off offset:-8
	ds_load_b128 v[19:22], v8
	v_add_nc_u32_e32 v7, 1, v7
	v_add_nc_u32_e32 v8, 16, v8
	v_add_nc_u32_e32 v9, 16, v9
	s_delay_alu instid0(VALU_DEP_3)
	v_cmp_lt_u32_e32 vcc_lo, 20, v7
	s_wait_alu 0xfffe
	s_or_b32 s1, vcc_lo, s1
	s_wait_loadcnt_dscnt 0x0
	v_mul_f64_e32 v[10:11], v[21:22], v[17:18]
	v_mul_f64_e32 v[17:18], v[19:20], v[17:18]
	s_delay_alu instid0(VALU_DEP_2) | instskip(NEXT) | instid1(VALU_DEP_2)
	v_fma_f64 v[10:11], v[19:20], v[15:16], -v[10:11]
	v_fma_f64 v[15:16], v[21:22], v[15:16], v[17:18]
	s_delay_alu instid0(VALU_DEP_2) | instskip(NEXT) | instid1(VALU_DEP_2)
	v_add_f64_e32 v[3:4], v[3:4], v[10:11]
	v_add_f64_e32 v[1:2], v[1:2], v[15:16]
	s_wait_alu 0xfffe
	s_and_not1_b32 exec_lo, exec_lo, s1
	s_cbranch_execnz .LBB33_101
; %bb.102:
	s_or_b32 exec_lo, exec_lo, s1
	v_mov_b32_e32 v7, 0
	ds_load_b128 v[7:10], v7 offset:352
	s_wait_dscnt 0x0
	v_mul_f64_e32 v[11:12], v[1:2], v[9:10]
	v_mul_f64_e32 v[15:16], v[3:4], v[9:10]
	s_delay_alu instid0(VALU_DEP_2) | instskip(NEXT) | instid1(VALU_DEP_2)
	v_fma_f64 v[9:10], v[3:4], v[7:8], -v[11:12]
	v_fma_f64 v[11:12], v[1:2], v[7:8], v[15:16]
	scratch_store_b128 off, v[9:12], off offset:368
.LBB33_103:
	s_wait_alu 0xfffe
	s_or_b32 exec_lo, exec_lo, s0
	s_wait_loadcnt 0x0
	s_wait_storecnt 0x0
	s_barrier_signal -1
	s_barrier_wait -1
	global_inv scope:SCOPE_SE
	scratch_load_b128 v[1:4], off, s9
	s_mov_b32 s0, exec_lo
	s_wait_loadcnt 0x0
	ds_store_b128 v5, v[1:4]
	s_wait_dscnt 0x0
	s_barrier_signal -1
	s_barrier_wait -1
	global_inv scope:SCOPE_SE
	v_cmpx_gt_u32_e32 23, v0
	s_cbranch_execz .LBB33_107
; %bb.104:
	v_dual_mov_b32 v1, 0 :: v_dual_add_nc_u32 v8, 0x220, v13
	v_mov_b32_e32 v3, 0
	v_dual_mov_b32 v2, 0 :: v_dual_add_nc_u32 v7, -1, v0
	v_mov_b32_e32 v4, 0
	v_or_b32_e32 v9, 8, v14
	s_mov_b32 s1, 0
.LBB33_105:                             ; =>This Inner Loop Header: Depth=1
	scratch_load_b128 v[15:18], v9, off offset:-8
	ds_load_b128 v[19:22], v8
	v_add_nc_u32_e32 v7, 1, v7
	v_add_nc_u32_e32 v8, 16, v8
	v_add_nc_u32_e32 v9, 16, v9
	s_delay_alu instid0(VALU_DEP_3)
	v_cmp_lt_u32_e32 vcc_lo, 21, v7
	s_wait_alu 0xfffe
	s_or_b32 s1, vcc_lo, s1
	s_wait_loadcnt_dscnt 0x0
	v_mul_f64_e32 v[10:11], v[21:22], v[17:18]
	v_mul_f64_e32 v[17:18], v[19:20], v[17:18]
	s_delay_alu instid0(VALU_DEP_2) | instskip(NEXT) | instid1(VALU_DEP_2)
	v_fma_f64 v[10:11], v[19:20], v[15:16], -v[10:11]
	v_fma_f64 v[15:16], v[21:22], v[15:16], v[17:18]
	s_delay_alu instid0(VALU_DEP_2) | instskip(NEXT) | instid1(VALU_DEP_2)
	v_add_f64_e32 v[3:4], v[3:4], v[10:11]
	v_add_f64_e32 v[1:2], v[1:2], v[15:16]
	s_wait_alu 0xfffe
	s_and_not1_b32 exec_lo, exec_lo, s1
	s_cbranch_execnz .LBB33_105
; %bb.106:
	s_or_b32 exec_lo, exec_lo, s1
	v_mov_b32_e32 v7, 0
	ds_load_b128 v[7:10], v7 offset:368
	s_wait_dscnt 0x0
	v_mul_f64_e32 v[11:12], v[1:2], v[9:10]
	v_mul_f64_e32 v[15:16], v[3:4], v[9:10]
	s_delay_alu instid0(VALU_DEP_2) | instskip(NEXT) | instid1(VALU_DEP_2)
	v_fma_f64 v[9:10], v[3:4], v[7:8], -v[11:12]
	v_fma_f64 v[11:12], v[1:2], v[7:8], v[15:16]
	scratch_store_b128 off, v[9:12], off offset:384
.LBB33_107:
	s_wait_alu 0xfffe
	s_or_b32 exec_lo, exec_lo, s0
	s_wait_loadcnt 0x0
	s_wait_storecnt 0x0
	s_barrier_signal -1
	s_barrier_wait -1
	global_inv scope:SCOPE_SE
	scratch_load_b128 v[1:4], off, s11
	;; [unrolled: 58-line block ×11, first 2 shown]
	s_mov_b32 s0, exec_lo
	s_wait_loadcnt 0x0
	ds_store_b128 v5, v[1:4]
	s_wait_dscnt 0x0
	s_barrier_signal -1
	s_barrier_wait -1
	global_inv scope:SCOPE_SE
	v_cmpx_ne_u32_e32 33, v0
	s_cbranch_execz .LBB33_147
; %bb.144:
	v_mov_b32_e32 v1, 0
	v_dual_mov_b32 v2, 0 :: v_dual_mov_b32 v3, 0
	v_mov_b32_e32 v4, 0
	v_or_b32_e32 v7, 8, v14
	s_mov_b32 s1, 0
.LBB33_145:                             ; =>This Inner Loop Header: Depth=1
	scratch_load_b128 v[8:11], v7, off offset:-8
	ds_load_b128 v[12:15], v5
	v_add_nc_u32_e32 v6, 1, v6
	v_add_nc_u32_e32 v5, 16, v5
	;; [unrolled: 1-line block ×3, first 2 shown]
	s_delay_alu instid0(VALU_DEP_3)
	v_cmp_lt_u32_e32 vcc_lo, 31, v6
	s_wait_alu 0xfffe
	s_or_b32 s1, vcc_lo, s1
	s_wait_loadcnt_dscnt 0x0
	v_mul_f64_e32 v[16:17], v[14:15], v[10:11]
	v_mul_f64_e32 v[10:11], v[12:13], v[10:11]
	s_delay_alu instid0(VALU_DEP_2) | instskip(NEXT) | instid1(VALU_DEP_2)
	v_fma_f64 v[12:13], v[12:13], v[8:9], -v[16:17]
	v_fma_f64 v[8:9], v[14:15], v[8:9], v[10:11]
	s_delay_alu instid0(VALU_DEP_2) | instskip(NEXT) | instid1(VALU_DEP_2)
	v_add_f64_e32 v[3:4], v[3:4], v[12:13]
	v_add_f64_e32 v[1:2], v[1:2], v[8:9]
	s_wait_alu 0xfffe
	s_and_not1_b32 exec_lo, exec_lo, s1
	s_cbranch_execnz .LBB33_145
; %bb.146:
	s_or_b32 exec_lo, exec_lo, s1
	v_mov_b32_e32 v5, 0
	ds_load_b128 v[5:8], v5 offset:528
	s_wait_dscnt 0x0
	v_mul_f64_e32 v[9:10], v[1:2], v[7:8]
	v_mul_f64_e32 v[7:8], v[3:4], v[7:8]
	s_delay_alu instid0(VALU_DEP_2) | instskip(NEXT) | instid1(VALU_DEP_2)
	v_fma_f64 v[3:4], v[3:4], v[5:6], -v[9:10]
	v_fma_f64 v[5:6], v[1:2], v[5:6], v[7:8]
	scratch_store_b128 off, v[3:6], off offset:544
.LBB33_147:
	s_wait_alu 0xfffe
	s_or_b32 exec_lo, exec_lo, s0
	s_mov_b32 s1, -1
	s_wait_loadcnt 0x0
	s_wait_storecnt 0x0
	s_barrier_signal -1
	s_barrier_wait -1
	global_inv scope:SCOPE_SE
.LBB33_148:
	s_wait_alu 0xfffe
	s_and_b32 vcc_lo, exec_lo, s1
	s_wait_alu 0xfffe
	s_cbranch_vccz .LBB33_150
; %bb.149:
	v_mov_b32_e32 v1, 0
	s_lshl_b64 s[0:1], s[16:17], 2
	s_wait_alu 0xfffe
	s_add_nc_u64 s[0:1], s[6:7], s[0:1]
	global_load_b32 v1, v1, s[0:1]
	s_wait_loadcnt 0x0
	v_cmp_ne_u32_e32 vcc_lo, 0, v1
	s_cbranch_vccz .LBB33_151
.LBB33_150:
	s_nop 0
	s_sendmsg sendmsg(MSG_DEALLOC_VGPRS)
	s_endpgm
.LBB33_151:
	v_lshl_add_u32 v10, v0, 4, 0x220
	s_mov_b32 s0, exec_lo
	v_cmpx_eq_u32_e32 33, v0
	s_cbranch_execz .LBB33_153
; %bb.152:
	scratch_load_b128 v[1:4], off, s24
	v_mov_b32_e32 v5, 0
	s_delay_alu instid0(VALU_DEP_1)
	v_dual_mov_b32 v6, v5 :: v_dual_mov_b32 v7, v5
	v_mov_b32_e32 v8, v5
	scratch_store_b128 off, v[5:8], off offset:528
	s_wait_loadcnt 0x0
	ds_store_b128 v10, v[1:4]
.LBB33_153:
	s_wait_alu 0xfffe
	s_or_b32 exec_lo, exec_lo, s0
	s_wait_storecnt_dscnt 0x0
	s_barrier_signal -1
	s_barrier_wait -1
	global_inv scope:SCOPE_SE
	s_clause 0x1
	scratch_load_b128 v[2:5], off, off offset:544
	scratch_load_b128 v[6:9], off, off offset:528
	v_mov_b32_e32 v1, 0
	s_mov_b32 s0, exec_lo
	ds_load_b128 v[11:14], v1 offset:1072
	s_wait_loadcnt_dscnt 0x100
	v_mul_f64_e32 v[15:16], v[13:14], v[4:5]
	v_mul_f64_e32 v[4:5], v[11:12], v[4:5]
	s_delay_alu instid0(VALU_DEP_2) | instskip(NEXT) | instid1(VALU_DEP_2)
	v_fma_f64 v[11:12], v[11:12], v[2:3], -v[15:16]
	v_fma_f64 v[2:3], v[13:14], v[2:3], v[4:5]
	s_delay_alu instid0(VALU_DEP_2) | instskip(NEXT) | instid1(VALU_DEP_2)
	v_add_f64_e32 v[4:5], 0, v[11:12]
	v_add_f64_e32 v[11:12], 0, v[2:3]
	s_wait_loadcnt 0x0
	s_delay_alu instid0(VALU_DEP_2) | instskip(NEXT) | instid1(VALU_DEP_2)
	v_add_f64_e64 v[2:3], v[6:7], -v[4:5]
	v_add_f64_e64 v[4:5], v[8:9], -v[11:12]
	scratch_store_b128 off, v[2:5], off offset:528
	v_cmpx_lt_u32_e32 31, v0
	s_cbranch_execz .LBB33_155
; %bb.154:
	scratch_load_b128 v[5:8], off, s22
	v_dual_mov_b32 v2, v1 :: v_dual_mov_b32 v3, v1
	v_mov_b32_e32 v4, v1
	scratch_store_b128 off, v[1:4], off offset:512
	s_wait_loadcnt 0x0
	ds_store_b128 v10, v[5:8]
.LBB33_155:
	s_wait_alu 0xfffe
	s_or_b32 exec_lo, exec_lo, s0
	s_wait_storecnt_dscnt 0x0
	s_barrier_signal -1
	s_barrier_wait -1
	global_inv scope:SCOPE_SE
	s_clause 0x2
	scratch_load_b128 v[2:5], off, off offset:528
	scratch_load_b128 v[6:9], off, off offset:544
	scratch_load_b128 v[11:14], off, off offset:512
	ds_load_b128 v[15:18], v1 offset:1056
	ds_load_b128 v[19:22], v1 offset:1072
	s_mov_b32 s0, exec_lo
	s_wait_loadcnt_dscnt 0x201
	v_mul_f64_e32 v[92:93], v[17:18], v[4:5]
	v_mul_f64_e32 v[4:5], v[15:16], v[4:5]
	s_wait_loadcnt_dscnt 0x100
	v_mul_f64_e32 v[94:95], v[19:20], v[8:9]
	v_mul_f64_e32 v[8:9], v[21:22], v[8:9]
	s_delay_alu instid0(VALU_DEP_4) | instskip(NEXT) | instid1(VALU_DEP_4)
	v_fma_f64 v[15:16], v[15:16], v[2:3], -v[92:93]
	v_fma_f64 v[1:2], v[17:18], v[2:3], v[4:5]
	s_delay_alu instid0(VALU_DEP_4) | instskip(NEXT) | instid1(VALU_DEP_4)
	v_fma_f64 v[3:4], v[21:22], v[6:7], v[94:95]
	v_fma_f64 v[5:6], v[19:20], v[6:7], -v[8:9]
	s_delay_alu instid0(VALU_DEP_4) | instskip(NEXT) | instid1(VALU_DEP_4)
	v_add_f64_e32 v[7:8], 0, v[15:16]
	v_add_f64_e32 v[1:2], 0, v[1:2]
	s_delay_alu instid0(VALU_DEP_2) | instskip(NEXT) | instid1(VALU_DEP_2)
	v_add_f64_e32 v[5:6], v[7:8], v[5:6]
	v_add_f64_e32 v[3:4], v[1:2], v[3:4]
	s_wait_loadcnt 0x0
	s_delay_alu instid0(VALU_DEP_2) | instskip(NEXT) | instid1(VALU_DEP_2)
	v_add_f64_e64 v[1:2], v[11:12], -v[5:6]
	v_add_f64_e64 v[3:4], v[13:14], -v[3:4]
	scratch_store_b128 off, v[1:4], off offset:512
	v_cmpx_lt_u32_e32 30, v0
	s_cbranch_execz .LBB33_157
; %bb.156:
	scratch_load_b128 v[1:4], off, s23
	v_mov_b32_e32 v5, 0
	s_delay_alu instid0(VALU_DEP_1)
	v_dual_mov_b32 v6, v5 :: v_dual_mov_b32 v7, v5
	v_mov_b32_e32 v8, v5
	scratch_store_b128 off, v[5:8], off offset:496
	s_wait_loadcnt 0x0
	ds_store_b128 v10, v[1:4]
.LBB33_157:
	s_wait_alu 0xfffe
	s_or_b32 exec_lo, exec_lo, s0
	s_wait_storecnt_dscnt 0x0
	s_barrier_signal -1
	s_barrier_wait -1
	global_inv scope:SCOPE_SE
	s_clause 0x3
	scratch_load_b128 v[2:5], off, off offset:512
	scratch_load_b128 v[6:9], off, off offset:528
	;; [unrolled: 1-line block ×4, first 2 shown]
	v_mov_b32_e32 v1, 0
	ds_load_b128 v[19:22], v1 offset:1040
	ds_load_b128 v[92:95], v1 offset:1056
	s_mov_b32 s0, exec_lo
	s_wait_loadcnt_dscnt 0x301
	v_mul_f64_e32 v[96:97], v[21:22], v[4:5]
	v_mul_f64_e32 v[4:5], v[19:20], v[4:5]
	s_wait_loadcnt_dscnt 0x200
	v_mul_f64_e32 v[98:99], v[92:93], v[8:9]
	v_mul_f64_e32 v[8:9], v[94:95], v[8:9]
	s_delay_alu instid0(VALU_DEP_4) | instskip(NEXT) | instid1(VALU_DEP_4)
	v_fma_f64 v[19:20], v[19:20], v[2:3], -v[96:97]
	v_fma_f64 v[21:22], v[21:22], v[2:3], v[4:5]
	ds_load_b128 v[2:5], v1 offset:1072
	v_fma_f64 v[94:95], v[94:95], v[6:7], v[98:99]
	v_fma_f64 v[6:7], v[92:93], v[6:7], -v[8:9]
	s_wait_loadcnt_dscnt 0x100
	v_mul_f64_e32 v[96:97], v[2:3], v[13:14]
	v_mul_f64_e32 v[13:14], v[4:5], v[13:14]
	v_add_f64_e32 v[8:9], 0, v[19:20]
	v_add_f64_e32 v[19:20], 0, v[21:22]
	s_delay_alu instid0(VALU_DEP_4) | instskip(NEXT) | instid1(VALU_DEP_4)
	v_fma_f64 v[4:5], v[4:5], v[11:12], v[96:97]
	v_fma_f64 v[2:3], v[2:3], v[11:12], -v[13:14]
	s_delay_alu instid0(VALU_DEP_4) | instskip(NEXT) | instid1(VALU_DEP_4)
	v_add_f64_e32 v[6:7], v[8:9], v[6:7]
	v_add_f64_e32 v[8:9], v[19:20], v[94:95]
	s_delay_alu instid0(VALU_DEP_2) | instskip(NEXT) | instid1(VALU_DEP_2)
	v_add_f64_e32 v[2:3], v[6:7], v[2:3]
	v_add_f64_e32 v[4:5], v[8:9], v[4:5]
	s_wait_loadcnt 0x0
	s_delay_alu instid0(VALU_DEP_2) | instskip(NEXT) | instid1(VALU_DEP_2)
	v_add_f64_e64 v[2:3], v[15:16], -v[2:3]
	v_add_f64_e64 v[4:5], v[17:18], -v[4:5]
	scratch_store_b128 off, v[2:5], off offset:496
	v_cmpx_lt_u32_e32 29, v0
	s_cbranch_execz .LBB33_159
; %bb.158:
	scratch_load_b128 v[5:8], off, s13
	v_dual_mov_b32 v2, v1 :: v_dual_mov_b32 v3, v1
	v_mov_b32_e32 v4, v1
	scratch_store_b128 off, v[1:4], off offset:480
	s_wait_loadcnt 0x0
	ds_store_b128 v10, v[5:8]
.LBB33_159:
	s_wait_alu 0xfffe
	s_or_b32 exec_lo, exec_lo, s0
	s_wait_storecnt_dscnt 0x0
	s_barrier_signal -1
	s_barrier_wait -1
	global_inv scope:SCOPE_SE
	s_clause 0x4
	scratch_load_b128 v[2:5], off, off offset:496
	scratch_load_b128 v[6:9], off, off offset:512
	;; [unrolled: 1-line block ×5, first 2 shown]
	ds_load_b128 v[92:95], v1 offset:1024
	ds_load_b128 v[96:99], v1 offset:1040
	s_mov_b32 s0, exec_lo
	s_wait_loadcnt_dscnt 0x401
	v_mul_f64_e32 v[100:101], v[94:95], v[4:5]
	v_mul_f64_e32 v[4:5], v[92:93], v[4:5]
	s_wait_loadcnt_dscnt 0x300
	v_mul_f64_e32 v[102:103], v[96:97], v[8:9]
	v_mul_f64_e32 v[8:9], v[98:99], v[8:9]
	s_delay_alu instid0(VALU_DEP_4) | instskip(NEXT) | instid1(VALU_DEP_4)
	v_fma_f64 v[100:101], v[92:93], v[2:3], -v[100:101]
	v_fma_f64 v[104:105], v[94:95], v[2:3], v[4:5]
	ds_load_b128 v[2:5], v1 offset:1056
	ds_load_b128 v[92:95], v1 offset:1072
	v_fma_f64 v[98:99], v[98:99], v[6:7], v[102:103]
	v_fma_f64 v[6:7], v[96:97], v[6:7], -v[8:9]
	s_wait_loadcnt_dscnt 0x201
	v_mul_f64_e32 v[106:107], v[2:3], v[13:14]
	v_mul_f64_e32 v[13:14], v[4:5], v[13:14]
	v_add_f64_e32 v[8:9], 0, v[100:101]
	v_add_f64_e32 v[96:97], 0, v[104:105]
	s_wait_loadcnt_dscnt 0x100
	v_mul_f64_e32 v[100:101], v[92:93], v[17:18]
	v_mul_f64_e32 v[17:18], v[94:95], v[17:18]
	v_fma_f64 v[4:5], v[4:5], v[11:12], v[106:107]
	v_fma_f64 v[1:2], v[2:3], v[11:12], -v[13:14]
	v_add_f64_e32 v[6:7], v[8:9], v[6:7]
	v_add_f64_e32 v[8:9], v[96:97], v[98:99]
	v_fma_f64 v[11:12], v[94:95], v[15:16], v[100:101]
	v_fma_f64 v[13:14], v[92:93], v[15:16], -v[17:18]
	s_delay_alu instid0(VALU_DEP_4) | instskip(NEXT) | instid1(VALU_DEP_4)
	v_add_f64_e32 v[1:2], v[6:7], v[1:2]
	v_add_f64_e32 v[3:4], v[8:9], v[4:5]
	s_delay_alu instid0(VALU_DEP_2) | instskip(NEXT) | instid1(VALU_DEP_2)
	v_add_f64_e32 v[1:2], v[1:2], v[13:14]
	v_add_f64_e32 v[3:4], v[3:4], v[11:12]
	s_wait_loadcnt 0x0
	s_delay_alu instid0(VALU_DEP_2) | instskip(NEXT) | instid1(VALU_DEP_2)
	v_add_f64_e64 v[1:2], v[19:20], -v[1:2]
	v_add_f64_e64 v[3:4], v[21:22], -v[3:4]
	scratch_store_b128 off, v[1:4], off offset:480
	v_cmpx_lt_u32_e32 28, v0
	s_cbranch_execz .LBB33_161
; %bb.160:
	scratch_load_b128 v[1:4], off, s21
	v_mov_b32_e32 v5, 0
	s_delay_alu instid0(VALU_DEP_1)
	v_dual_mov_b32 v6, v5 :: v_dual_mov_b32 v7, v5
	v_mov_b32_e32 v8, v5
	scratch_store_b128 off, v[5:8], off offset:464
	s_wait_loadcnt 0x0
	ds_store_b128 v10, v[1:4]
.LBB33_161:
	s_wait_alu 0xfffe
	s_or_b32 exec_lo, exec_lo, s0
	s_wait_storecnt_dscnt 0x0
	s_barrier_signal -1
	s_barrier_wait -1
	global_inv scope:SCOPE_SE
	s_clause 0x5
	scratch_load_b128 v[2:5], off, off offset:480
	scratch_load_b128 v[6:9], off, off offset:496
	;; [unrolled: 1-line block ×6, first 2 shown]
	v_mov_b32_e32 v1, 0
	ds_load_b128 v[96:99], v1 offset:1008
	ds_load_b128 v[100:103], v1 offset:1024
	s_mov_b32 s0, exec_lo
	s_wait_loadcnt_dscnt 0x501
	v_mul_f64_e32 v[104:105], v[98:99], v[4:5]
	v_mul_f64_e32 v[4:5], v[96:97], v[4:5]
	s_wait_loadcnt_dscnt 0x400
	v_mul_f64_e32 v[106:107], v[100:101], v[8:9]
	v_mul_f64_e32 v[8:9], v[102:103], v[8:9]
	s_delay_alu instid0(VALU_DEP_4) | instskip(NEXT) | instid1(VALU_DEP_4)
	v_fma_f64 v[104:105], v[96:97], v[2:3], -v[104:105]
	v_fma_f64 v[108:109], v[98:99], v[2:3], v[4:5]
	ds_load_b128 v[2:5], v1 offset:1040
	ds_load_b128 v[96:99], v1 offset:1056
	v_fma_f64 v[102:103], v[102:103], v[6:7], v[106:107]
	v_fma_f64 v[6:7], v[100:101], v[6:7], -v[8:9]
	s_wait_loadcnt_dscnt 0x301
	v_mul_f64_e32 v[110:111], v[2:3], v[13:14]
	v_mul_f64_e32 v[13:14], v[4:5], v[13:14]
	v_add_f64_e32 v[8:9], 0, v[104:105]
	v_add_f64_e32 v[100:101], 0, v[108:109]
	s_wait_loadcnt_dscnt 0x200
	v_mul_f64_e32 v[104:105], v[96:97], v[17:18]
	v_mul_f64_e32 v[17:18], v[98:99], v[17:18]
	v_fma_f64 v[106:107], v[4:5], v[11:12], v[110:111]
	v_fma_f64 v[11:12], v[2:3], v[11:12], -v[13:14]
	ds_load_b128 v[2:5], v1 offset:1072
	v_add_f64_e32 v[6:7], v[8:9], v[6:7]
	v_add_f64_e32 v[8:9], v[100:101], v[102:103]
	v_fma_f64 v[98:99], v[98:99], v[15:16], v[104:105]
	v_fma_f64 v[15:16], v[96:97], v[15:16], -v[17:18]
	s_wait_loadcnt_dscnt 0x100
	v_mul_f64_e32 v[13:14], v[2:3], v[21:22]
	v_mul_f64_e32 v[21:22], v[4:5], v[21:22]
	v_add_f64_e32 v[6:7], v[6:7], v[11:12]
	v_add_f64_e32 v[8:9], v[8:9], v[106:107]
	s_delay_alu instid0(VALU_DEP_4) | instskip(NEXT) | instid1(VALU_DEP_4)
	v_fma_f64 v[4:5], v[4:5], v[19:20], v[13:14]
	v_fma_f64 v[2:3], v[2:3], v[19:20], -v[21:22]
	s_delay_alu instid0(VALU_DEP_4) | instskip(NEXT) | instid1(VALU_DEP_4)
	v_add_f64_e32 v[6:7], v[6:7], v[15:16]
	v_add_f64_e32 v[8:9], v[8:9], v[98:99]
	s_delay_alu instid0(VALU_DEP_2) | instskip(NEXT) | instid1(VALU_DEP_2)
	v_add_f64_e32 v[2:3], v[6:7], v[2:3]
	v_add_f64_e32 v[4:5], v[8:9], v[4:5]
	s_wait_loadcnt 0x0
	s_delay_alu instid0(VALU_DEP_2) | instskip(NEXT) | instid1(VALU_DEP_2)
	v_add_f64_e64 v[2:3], v[92:93], -v[2:3]
	v_add_f64_e64 v[4:5], v[94:95], -v[4:5]
	scratch_store_b128 off, v[2:5], off offset:464
	v_cmpx_lt_u32_e32 27, v0
	s_cbranch_execz .LBB33_163
; %bb.162:
	scratch_load_b128 v[5:8], off, s12
	v_dual_mov_b32 v2, v1 :: v_dual_mov_b32 v3, v1
	v_mov_b32_e32 v4, v1
	scratch_store_b128 off, v[1:4], off offset:448
	s_wait_loadcnt 0x0
	ds_store_b128 v10, v[5:8]
.LBB33_163:
	s_wait_alu 0xfffe
	s_or_b32 exec_lo, exec_lo, s0
	s_wait_storecnt_dscnt 0x0
	s_barrier_signal -1
	s_barrier_wait -1
	global_inv scope:SCOPE_SE
	s_clause 0x5
	scratch_load_b128 v[2:5], off, off offset:464
	scratch_load_b128 v[6:9], off, off offset:480
	scratch_load_b128 v[11:14], off, off offset:496
	scratch_load_b128 v[15:18], off, off offset:512
	scratch_load_b128 v[19:22], off, off offset:528
	scratch_load_b128 v[92:95], off, off offset:544
	ds_load_b128 v[96:99], v1 offset:992
	ds_load_b128 v[104:107], v1 offset:1008
	scratch_load_b128 v[100:103], off, off offset:448
	s_mov_b32 s0, exec_lo
	s_wait_loadcnt_dscnt 0x601
	v_mul_f64_e32 v[108:109], v[98:99], v[4:5]
	v_mul_f64_e32 v[4:5], v[96:97], v[4:5]
	s_wait_loadcnt_dscnt 0x500
	v_mul_f64_e32 v[110:111], v[104:105], v[8:9]
	v_mul_f64_e32 v[8:9], v[106:107], v[8:9]
	s_delay_alu instid0(VALU_DEP_4) | instskip(NEXT) | instid1(VALU_DEP_4)
	v_fma_f64 v[108:109], v[96:97], v[2:3], -v[108:109]
	v_fma_f64 v[112:113], v[98:99], v[2:3], v[4:5]
	ds_load_b128 v[2:5], v1 offset:1024
	ds_load_b128 v[96:99], v1 offset:1040
	v_fma_f64 v[106:107], v[106:107], v[6:7], v[110:111]
	v_fma_f64 v[6:7], v[104:105], v[6:7], -v[8:9]
	s_wait_loadcnt_dscnt 0x401
	v_mul_f64_e32 v[114:115], v[2:3], v[13:14]
	v_mul_f64_e32 v[13:14], v[4:5], v[13:14]
	v_add_f64_e32 v[8:9], 0, v[108:109]
	v_add_f64_e32 v[104:105], 0, v[112:113]
	s_wait_loadcnt_dscnt 0x300
	v_mul_f64_e32 v[108:109], v[96:97], v[17:18]
	v_mul_f64_e32 v[17:18], v[98:99], v[17:18]
	v_fma_f64 v[110:111], v[4:5], v[11:12], v[114:115]
	v_fma_f64 v[11:12], v[2:3], v[11:12], -v[13:14]
	v_add_f64_e32 v[13:14], v[8:9], v[6:7]
	v_add_f64_e32 v[104:105], v[104:105], v[106:107]
	ds_load_b128 v[2:5], v1 offset:1056
	ds_load_b128 v[6:9], v1 offset:1072
	v_fma_f64 v[98:99], v[98:99], v[15:16], v[108:109]
	v_fma_f64 v[15:16], v[96:97], v[15:16], -v[17:18]
	s_wait_loadcnt_dscnt 0x201
	v_mul_f64_e32 v[106:107], v[2:3], v[21:22]
	v_mul_f64_e32 v[21:22], v[4:5], v[21:22]
	s_wait_loadcnt_dscnt 0x100
	v_mul_f64_e32 v[17:18], v[6:7], v[94:95]
	v_mul_f64_e32 v[94:95], v[8:9], v[94:95]
	v_add_f64_e32 v[11:12], v[13:14], v[11:12]
	v_add_f64_e32 v[13:14], v[104:105], v[110:111]
	v_fma_f64 v[4:5], v[4:5], v[19:20], v[106:107]
	v_fma_f64 v[1:2], v[2:3], v[19:20], -v[21:22]
	v_fma_f64 v[8:9], v[8:9], v[92:93], v[17:18]
	v_fma_f64 v[6:7], v[6:7], v[92:93], -v[94:95]
	v_add_f64_e32 v[11:12], v[11:12], v[15:16]
	v_add_f64_e32 v[13:14], v[13:14], v[98:99]
	s_delay_alu instid0(VALU_DEP_2) | instskip(NEXT) | instid1(VALU_DEP_2)
	v_add_f64_e32 v[1:2], v[11:12], v[1:2]
	v_add_f64_e32 v[3:4], v[13:14], v[4:5]
	s_delay_alu instid0(VALU_DEP_2) | instskip(NEXT) | instid1(VALU_DEP_2)
	v_add_f64_e32 v[1:2], v[1:2], v[6:7]
	v_add_f64_e32 v[3:4], v[3:4], v[8:9]
	s_wait_loadcnt 0x0
	s_delay_alu instid0(VALU_DEP_2) | instskip(NEXT) | instid1(VALU_DEP_2)
	v_add_f64_e64 v[1:2], v[100:101], -v[1:2]
	v_add_f64_e64 v[3:4], v[102:103], -v[3:4]
	scratch_store_b128 off, v[1:4], off offset:448
	v_cmpx_lt_u32_e32 26, v0
	s_cbranch_execz .LBB33_165
; %bb.164:
	scratch_load_b128 v[1:4], off, s19
	v_mov_b32_e32 v5, 0
	s_delay_alu instid0(VALU_DEP_1)
	v_dual_mov_b32 v6, v5 :: v_dual_mov_b32 v7, v5
	v_mov_b32_e32 v8, v5
	scratch_store_b128 off, v[5:8], off offset:432
	s_wait_loadcnt 0x0
	ds_store_b128 v10, v[1:4]
.LBB33_165:
	s_wait_alu 0xfffe
	s_or_b32 exec_lo, exec_lo, s0
	s_wait_storecnt_dscnt 0x0
	s_barrier_signal -1
	s_barrier_wait -1
	global_inv scope:SCOPE_SE
	s_clause 0x6
	scratch_load_b128 v[2:5], off, off offset:448
	scratch_load_b128 v[6:9], off, off offset:464
	;; [unrolled: 1-line block ×7, first 2 shown]
	v_mov_b32_e32 v1, 0
	scratch_load_b128 v[108:111], off, off offset:432
	s_mov_b32 s0, exec_lo
	ds_load_b128 v[100:103], v1 offset:976
	ds_load_b128 v[104:107], v1 offset:992
	s_wait_loadcnt_dscnt 0x701
	v_mul_f64_e32 v[112:113], v[102:103], v[4:5]
	v_mul_f64_e32 v[4:5], v[100:101], v[4:5]
	s_wait_loadcnt_dscnt 0x600
	v_mul_f64_e32 v[114:115], v[104:105], v[8:9]
	v_mul_f64_e32 v[8:9], v[106:107], v[8:9]
	s_delay_alu instid0(VALU_DEP_4) | instskip(NEXT) | instid1(VALU_DEP_4)
	v_fma_f64 v[100:101], v[100:101], v[2:3], -v[112:113]
	v_fma_f64 v[102:103], v[102:103], v[2:3], v[4:5]
	ds_load_b128 v[2:5], v1 offset:1008
	v_fma_f64 v[106:107], v[106:107], v[6:7], v[114:115]
	v_fma_f64 v[104:105], v[104:105], v[6:7], -v[8:9]
	ds_load_b128 v[6:9], v1 offset:1024
	s_wait_loadcnt_dscnt 0x501
	v_mul_f64_e32 v[112:113], v[2:3], v[13:14]
	v_mul_f64_e32 v[13:14], v[4:5], v[13:14]
	s_wait_loadcnt_dscnt 0x400
	v_mul_f64_e32 v[114:115], v[6:7], v[17:18]
	v_mul_f64_e32 v[17:18], v[8:9], v[17:18]
	v_add_f64_e32 v[100:101], 0, v[100:101]
	v_add_f64_e32 v[102:103], 0, v[102:103]
	v_fma_f64 v[112:113], v[4:5], v[11:12], v[112:113]
	v_fma_f64 v[11:12], v[2:3], v[11:12], -v[13:14]
	ds_load_b128 v[2:5], v1 offset:1040
	v_add_f64_e32 v[13:14], v[100:101], v[104:105]
	v_add_f64_e32 v[100:101], v[102:103], v[106:107]
	v_fma_f64 v[104:105], v[8:9], v[15:16], v[114:115]
	v_fma_f64 v[15:16], v[6:7], v[15:16], -v[17:18]
	ds_load_b128 v[6:9], v1 offset:1056
	s_wait_loadcnt_dscnt 0x301
	v_mul_f64_e32 v[102:103], v[2:3], v[21:22]
	v_mul_f64_e32 v[21:22], v[4:5], v[21:22]
	s_wait_loadcnt_dscnt 0x200
	v_mul_f64_e32 v[17:18], v[6:7], v[94:95]
	v_mul_f64_e32 v[94:95], v[8:9], v[94:95]
	v_add_f64_e32 v[11:12], v[13:14], v[11:12]
	v_add_f64_e32 v[13:14], v[100:101], v[112:113]
	v_fma_f64 v[100:101], v[4:5], v[19:20], v[102:103]
	v_fma_f64 v[19:20], v[2:3], v[19:20], -v[21:22]
	ds_load_b128 v[2:5], v1 offset:1072
	v_fma_f64 v[8:9], v[8:9], v[92:93], v[17:18]
	v_fma_f64 v[6:7], v[6:7], v[92:93], -v[94:95]
	s_wait_loadcnt_dscnt 0x100
	v_mul_f64_e32 v[21:22], v[4:5], v[98:99]
	v_add_f64_e32 v[11:12], v[11:12], v[15:16]
	v_add_f64_e32 v[13:14], v[13:14], v[104:105]
	v_mul_f64_e32 v[15:16], v[2:3], v[98:99]
	s_delay_alu instid0(VALU_DEP_4) | instskip(NEXT) | instid1(VALU_DEP_4)
	v_fma_f64 v[2:3], v[2:3], v[96:97], -v[21:22]
	v_add_f64_e32 v[11:12], v[11:12], v[19:20]
	s_delay_alu instid0(VALU_DEP_4) | instskip(NEXT) | instid1(VALU_DEP_4)
	v_add_f64_e32 v[13:14], v[13:14], v[100:101]
	v_fma_f64 v[4:5], v[4:5], v[96:97], v[15:16]
	s_delay_alu instid0(VALU_DEP_3) | instskip(NEXT) | instid1(VALU_DEP_3)
	v_add_f64_e32 v[6:7], v[11:12], v[6:7]
	v_add_f64_e32 v[8:9], v[13:14], v[8:9]
	s_delay_alu instid0(VALU_DEP_2) | instskip(NEXT) | instid1(VALU_DEP_2)
	v_add_f64_e32 v[2:3], v[6:7], v[2:3]
	v_add_f64_e32 v[4:5], v[8:9], v[4:5]
	s_wait_loadcnt 0x0
	s_delay_alu instid0(VALU_DEP_2) | instskip(NEXT) | instid1(VALU_DEP_2)
	v_add_f64_e64 v[2:3], v[108:109], -v[2:3]
	v_add_f64_e64 v[4:5], v[110:111], -v[4:5]
	scratch_store_b128 off, v[2:5], off offset:432
	v_cmpx_lt_u32_e32 25, v0
	s_cbranch_execz .LBB33_167
; %bb.166:
	scratch_load_b128 v[5:8], off, s10
	v_dual_mov_b32 v2, v1 :: v_dual_mov_b32 v3, v1
	v_mov_b32_e32 v4, v1
	scratch_store_b128 off, v[1:4], off offset:416
	s_wait_loadcnt 0x0
	ds_store_b128 v10, v[5:8]
.LBB33_167:
	s_wait_alu 0xfffe
	s_or_b32 exec_lo, exec_lo, s0
	s_wait_storecnt_dscnt 0x0
	s_barrier_signal -1
	s_barrier_wait -1
	global_inv scope:SCOPE_SE
	s_clause 0x7
	scratch_load_b128 v[2:5], off, off offset:432
	scratch_load_b128 v[6:9], off, off offset:448
	;; [unrolled: 1-line block ×8, first 2 shown]
	ds_load_b128 v[104:107], v1 offset:960
	ds_load_b128 v[108:111], v1 offset:976
	s_mov_b32 s0, exec_lo
	s_wait_loadcnt_dscnt 0x701
	v_mul_f64_e32 v[112:113], v[106:107], v[4:5]
	v_mul_f64_e32 v[4:5], v[104:105], v[4:5]
	s_wait_loadcnt_dscnt 0x600
	v_mul_f64_e32 v[114:115], v[108:109], v[8:9]
	v_mul_f64_e32 v[8:9], v[110:111], v[8:9]
	s_delay_alu instid0(VALU_DEP_4) | instskip(NEXT) | instid1(VALU_DEP_4)
	v_fma_f64 v[112:113], v[104:105], v[2:3], -v[112:113]
	v_fma_f64 v[116:117], v[106:107], v[2:3], v[4:5]
	ds_load_b128 v[2:5], v1 offset:992
	scratch_load_b128 v[104:107], off, off offset:416
	v_fma_f64 v[110:111], v[110:111], v[6:7], v[114:115]
	v_fma_f64 v[108:109], v[108:109], v[6:7], -v[8:9]
	ds_load_b128 v[6:9], v1 offset:1008
	s_wait_loadcnt_dscnt 0x601
	v_mul_f64_e32 v[118:119], v[2:3], v[13:14]
	v_mul_f64_e32 v[13:14], v[4:5], v[13:14]
	v_add_f64_e32 v[112:113], 0, v[112:113]
	v_add_f64_e32 v[114:115], 0, v[116:117]
	s_wait_loadcnt_dscnt 0x500
	v_mul_f64_e32 v[116:117], v[6:7], v[17:18]
	v_mul_f64_e32 v[17:18], v[8:9], v[17:18]
	v_fma_f64 v[118:119], v[4:5], v[11:12], v[118:119]
	v_fma_f64 v[11:12], v[2:3], v[11:12], -v[13:14]
	ds_load_b128 v[2:5], v1 offset:1024
	v_add_f64_e32 v[13:14], v[112:113], v[108:109]
	v_add_f64_e32 v[108:109], v[114:115], v[110:111]
	v_fma_f64 v[112:113], v[8:9], v[15:16], v[116:117]
	v_fma_f64 v[15:16], v[6:7], v[15:16], -v[17:18]
	ds_load_b128 v[6:9], v1 offset:1040
	s_wait_loadcnt_dscnt 0x401
	v_mul_f64_e32 v[110:111], v[2:3], v[21:22]
	v_mul_f64_e32 v[21:22], v[4:5], v[21:22]
	s_wait_loadcnt_dscnt 0x300
	v_mul_f64_e32 v[17:18], v[6:7], v[94:95]
	v_mul_f64_e32 v[94:95], v[8:9], v[94:95]
	v_add_f64_e32 v[11:12], v[13:14], v[11:12]
	v_add_f64_e32 v[13:14], v[108:109], v[118:119]
	v_fma_f64 v[108:109], v[4:5], v[19:20], v[110:111]
	v_fma_f64 v[19:20], v[2:3], v[19:20], -v[21:22]
	ds_load_b128 v[2:5], v1 offset:1056
	v_fma_f64 v[17:18], v[8:9], v[92:93], v[17:18]
	v_fma_f64 v[92:93], v[6:7], v[92:93], -v[94:95]
	ds_load_b128 v[6:9], v1 offset:1072
	s_wait_loadcnt_dscnt 0x201
	v_mul_f64_e32 v[21:22], v[4:5], v[98:99]
	v_add_f64_e32 v[11:12], v[11:12], v[15:16]
	v_add_f64_e32 v[13:14], v[13:14], v[112:113]
	v_mul_f64_e32 v[15:16], v[2:3], v[98:99]
	s_wait_loadcnt_dscnt 0x100
	v_mul_f64_e32 v[94:95], v[8:9], v[102:103]
	v_fma_f64 v[1:2], v[2:3], v[96:97], -v[21:22]
	v_add_f64_e32 v[11:12], v[11:12], v[19:20]
	v_add_f64_e32 v[13:14], v[13:14], v[108:109]
	v_mul_f64_e32 v[19:20], v[6:7], v[102:103]
	v_fma_f64 v[4:5], v[4:5], v[96:97], v[15:16]
	v_fma_f64 v[6:7], v[6:7], v[100:101], -v[94:95]
	v_add_f64_e32 v[11:12], v[11:12], v[92:93]
	v_add_f64_e32 v[13:14], v[13:14], v[17:18]
	v_fma_f64 v[8:9], v[8:9], v[100:101], v[19:20]
	s_delay_alu instid0(VALU_DEP_3) | instskip(NEXT) | instid1(VALU_DEP_3)
	v_add_f64_e32 v[1:2], v[11:12], v[1:2]
	v_add_f64_e32 v[3:4], v[13:14], v[4:5]
	s_delay_alu instid0(VALU_DEP_2) | instskip(NEXT) | instid1(VALU_DEP_2)
	v_add_f64_e32 v[1:2], v[1:2], v[6:7]
	v_add_f64_e32 v[3:4], v[3:4], v[8:9]
	s_wait_loadcnt 0x0
	s_delay_alu instid0(VALU_DEP_2) | instskip(NEXT) | instid1(VALU_DEP_2)
	v_add_f64_e64 v[1:2], v[104:105], -v[1:2]
	v_add_f64_e64 v[3:4], v[106:107], -v[3:4]
	scratch_store_b128 off, v[1:4], off offset:416
	v_cmpx_lt_u32_e32 24, v0
	s_cbranch_execz .LBB33_169
; %bb.168:
	scratch_load_b128 v[1:4], off, s11
	v_mov_b32_e32 v5, 0
	s_delay_alu instid0(VALU_DEP_1)
	v_dual_mov_b32 v6, v5 :: v_dual_mov_b32 v7, v5
	v_mov_b32_e32 v8, v5
	scratch_store_b128 off, v[5:8], off offset:400
	s_wait_loadcnt 0x0
	ds_store_b128 v10, v[1:4]
.LBB33_169:
	s_wait_alu 0xfffe
	s_or_b32 exec_lo, exec_lo, s0
	s_wait_storecnt_dscnt 0x0
	s_barrier_signal -1
	s_barrier_wait -1
	global_inv scope:SCOPE_SE
	s_clause 0x7
	scratch_load_b128 v[2:5], off, off offset:416
	scratch_load_b128 v[6:9], off, off offset:432
	;; [unrolled: 1-line block ×8, first 2 shown]
	v_mov_b32_e32 v1, 0
	s_mov_b32 s0, exec_lo
	ds_load_b128 v[104:107], v1 offset:944
	s_clause 0x1
	scratch_load_b128 v[108:111], off, off offset:544
	scratch_load_b128 v[112:115], off, off offset:400
	ds_load_b128 v[116:119], v1 offset:960
	s_wait_loadcnt_dscnt 0x901
	v_mul_f64_e32 v[120:121], v[106:107], v[4:5]
	v_mul_f64_e32 v[4:5], v[104:105], v[4:5]
	s_wait_loadcnt_dscnt 0x800
	v_mul_f64_e32 v[122:123], v[116:117], v[8:9]
	v_mul_f64_e32 v[8:9], v[118:119], v[8:9]
	s_delay_alu instid0(VALU_DEP_4) | instskip(NEXT) | instid1(VALU_DEP_4)
	v_fma_f64 v[120:121], v[104:105], v[2:3], -v[120:121]
	v_fma_f64 v[124:125], v[106:107], v[2:3], v[4:5]
	ds_load_b128 v[2:5], v1 offset:976
	ds_load_b128 v[104:107], v1 offset:992
	v_fma_f64 v[118:119], v[118:119], v[6:7], v[122:123]
	v_fma_f64 v[6:7], v[116:117], v[6:7], -v[8:9]
	s_wait_loadcnt_dscnt 0x701
	v_mul_f64_e32 v[126:127], v[2:3], v[13:14]
	v_mul_f64_e32 v[13:14], v[4:5], v[13:14]
	v_add_f64_e32 v[8:9], 0, v[120:121]
	v_add_f64_e32 v[116:117], 0, v[124:125]
	s_wait_loadcnt_dscnt 0x600
	v_mul_f64_e32 v[120:121], v[104:105], v[17:18]
	v_mul_f64_e32 v[17:18], v[106:107], v[17:18]
	v_fma_f64 v[122:123], v[4:5], v[11:12], v[126:127]
	v_fma_f64 v[11:12], v[2:3], v[11:12], -v[13:14]
	v_add_f64_e32 v[13:14], v[8:9], v[6:7]
	v_add_f64_e32 v[116:117], v[116:117], v[118:119]
	ds_load_b128 v[2:5], v1 offset:1008
	ds_load_b128 v[6:9], v1 offset:1024
	v_fma_f64 v[106:107], v[106:107], v[15:16], v[120:121]
	v_fma_f64 v[15:16], v[104:105], v[15:16], -v[17:18]
	s_wait_loadcnt_dscnt 0x501
	v_mul_f64_e32 v[118:119], v[2:3], v[21:22]
	v_mul_f64_e32 v[21:22], v[4:5], v[21:22]
	s_wait_loadcnt_dscnt 0x400
	v_mul_f64_e32 v[17:18], v[6:7], v[94:95]
	v_mul_f64_e32 v[94:95], v[8:9], v[94:95]
	v_add_f64_e32 v[11:12], v[13:14], v[11:12]
	v_add_f64_e32 v[13:14], v[116:117], v[122:123]
	v_fma_f64 v[104:105], v[4:5], v[19:20], v[118:119]
	v_fma_f64 v[19:20], v[2:3], v[19:20], -v[21:22]
	v_fma_f64 v[8:9], v[8:9], v[92:93], v[17:18]
	v_fma_f64 v[6:7], v[6:7], v[92:93], -v[94:95]
	v_add_f64_e32 v[15:16], v[11:12], v[15:16]
	v_add_f64_e32 v[21:22], v[13:14], v[106:107]
	ds_load_b128 v[2:5], v1 offset:1040
	ds_load_b128 v[11:14], v1 offset:1056
	s_wait_loadcnt_dscnt 0x301
	v_mul_f64_e32 v[106:107], v[2:3], v[98:99]
	v_mul_f64_e32 v[98:99], v[4:5], v[98:99]
	v_add_f64_e32 v[15:16], v[15:16], v[19:20]
	v_add_f64_e32 v[17:18], v[21:22], v[104:105]
	s_wait_loadcnt_dscnt 0x200
	v_mul_f64_e32 v[19:20], v[11:12], v[102:103]
	v_mul_f64_e32 v[21:22], v[13:14], v[102:103]
	v_fma_f64 v[92:93], v[4:5], v[96:97], v[106:107]
	v_fma_f64 v[94:95], v[2:3], v[96:97], -v[98:99]
	ds_load_b128 v[2:5], v1 offset:1072
	v_add_f64_e32 v[6:7], v[15:16], v[6:7]
	v_add_f64_e32 v[8:9], v[17:18], v[8:9]
	v_fma_f64 v[13:14], v[13:14], v[100:101], v[19:20]
	v_fma_f64 v[11:12], v[11:12], v[100:101], -v[21:22]
	s_wait_loadcnt_dscnt 0x100
	v_mul_f64_e32 v[15:16], v[2:3], v[110:111]
	v_mul_f64_e32 v[17:18], v[4:5], v[110:111]
	v_add_f64_e32 v[6:7], v[6:7], v[94:95]
	v_add_f64_e32 v[8:9], v[8:9], v[92:93]
	s_delay_alu instid0(VALU_DEP_4) | instskip(NEXT) | instid1(VALU_DEP_4)
	v_fma_f64 v[4:5], v[4:5], v[108:109], v[15:16]
	v_fma_f64 v[2:3], v[2:3], v[108:109], -v[17:18]
	s_delay_alu instid0(VALU_DEP_4) | instskip(NEXT) | instid1(VALU_DEP_4)
	v_add_f64_e32 v[6:7], v[6:7], v[11:12]
	v_add_f64_e32 v[8:9], v[8:9], v[13:14]
	s_delay_alu instid0(VALU_DEP_2) | instskip(NEXT) | instid1(VALU_DEP_2)
	v_add_f64_e32 v[2:3], v[6:7], v[2:3]
	v_add_f64_e32 v[4:5], v[8:9], v[4:5]
	s_wait_loadcnt 0x0
	s_delay_alu instid0(VALU_DEP_2) | instskip(NEXT) | instid1(VALU_DEP_2)
	v_add_f64_e64 v[2:3], v[112:113], -v[2:3]
	v_add_f64_e64 v[4:5], v[114:115], -v[4:5]
	scratch_store_b128 off, v[2:5], off offset:400
	v_cmpx_lt_u32_e32 23, v0
	s_cbranch_execz .LBB33_171
; %bb.170:
	scratch_load_b128 v[5:8], off, s9
	v_dual_mov_b32 v2, v1 :: v_dual_mov_b32 v3, v1
	v_mov_b32_e32 v4, v1
	scratch_store_b128 off, v[1:4], off offset:384
	s_wait_loadcnt 0x0
	ds_store_b128 v10, v[5:8]
.LBB33_171:
	s_wait_alu 0xfffe
	s_or_b32 exec_lo, exec_lo, s0
	s_wait_storecnt_dscnt 0x0
	s_barrier_signal -1
	s_barrier_wait -1
	global_inv scope:SCOPE_SE
	s_clause 0x8
	scratch_load_b128 v[2:5], off, off offset:400
	scratch_load_b128 v[6:9], off, off offset:416
	;; [unrolled: 1-line block ×9, first 2 shown]
	ds_load_b128 v[108:111], v1 offset:928
	ds_load_b128 v[112:115], v1 offset:944
	s_clause 0x1
	scratch_load_b128 v[116:119], off, off offset:384
	scratch_load_b128 v[120:123], off, off offset:544
	s_mov_b32 s0, exec_lo
	s_wait_loadcnt_dscnt 0xa01
	v_mul_f64_e32 v[124:125], v[110:111], v[4:5]
	v_mul_f64_e32 v[4:5], v[108:109], v[4:5]
	s_wait_loadcnt_dscnt 0x900
	v_mul_f64_e32 v[126:127], v[112:113], v[8:9]
	v_mul_f64_e32 v[8:9], v[114:115], v[8:9]
	s_delay_alu instid0(VALU_DEP_4) | instskip(NEXT) | instid1(VALU_DEP_4)
	v_fma_f64 v[124:125], v[108:109], v[2:3], -v[124:125]
	v_fma_f64 v[128:129], v[110:111], v[2:3], v[4:5]
	ds_load_b128 v[2:5], v1 offset:960
	ds_load_b128 v[108:111], v1 offset:976
	v_fma_f64 v[114:115], v[114:115], v[6:7], v[126:127]
	v_fma_f64 v[6:7], v[112:113], v[6:7], -v[8:9]
	s_wait_loadcnt_dscnt 0x801
	v_mul_f64_e32 v[130:131], v[2:3], v[13:14]
	v_mul_f64_e32 v[13:14], v[4:5], v[13:14]
	v_add_f64_e32 v[8:9], 0, v[124:125]
	v_add_f64_e32 v[112:113], 0, v[128:129]
	s_wait_loadcnt_dscnt 0x700
	v_mul_f64_e32 v[124:125], v[108:109], v[17:18]
	v_mul_f64_e32 v[17:18], v[110:111], v[17:18]
	v_fma_f64 v[126:127], v[4:5], v[11:12], v[130:131]
	v_fma_f64 v[11:12], v[2:3], v[11:12], -v[13:14]
	v_add_f64_e32 v[13:14], v[8:9], v[6:7]
	v_add_f64_e32 v[112:113], v[112:113], v[114:115]
	ds_load_b128 v[2:5], v1 offset:992
	ds_load_b128 v[6:9], v1 offset:1008
	v_fma_f64 v[110:111], v[110:111], v[15:16], v[124:125]
	v_fma_f64 v[15:16], v[108:109], v[15:16], -v[17:18]
	s_wait_loadcnt_dscnt 0x601
	v_mul_f64_e32 v[114:115], v[2:3], v[21:22]
	v_mul_f64_e32 v[21:22], v[4:5], v[21:22]
	s_wait_loadcnt_dscnt 0x500
	v_mul_f64_e32 v[17:18], v[6:7], v[94:95]
	v_mul_f64_e32 v[94:95], v[8:9], v[94:95]
	v_add_f64_e32 v[11:12], v[13:14], v[11:12]
	v_add_f64_e32 v[13:14], v[112:113], v[126:127]
	v_fma_f64 v[108:109], v[4:5], v[19:20], v[114:115]
	v_fma_f64 v[19:20], v[2:3], v[19:20], -v[21:22]
	v_fma_f64 v[8:9], v[8:9], v[92:93], v[17:18]
	v_fma_f64 v[6:7], v[6:7], v[92:93], -v[94:95]
	v_add_f64_e32 v[15:16], v[11:12], v[15:16]
	v_add_f64_e32 v[21:22], v[13:14], v[110:111]
	ds_load_b128 v[2:5], v1 offset:1024
	ds_load_b128 v[11:14], v1 offset:1040
	s_wait_loadcnt_dscnt 0x401
	v_mul_f64_e32 v[110:111], v[2:3], v[98:99]
	v_mul_f64_e32 v[98:99], v[4:5], v[98:99]
	v_add_f64_e32 v[15:16], v[15:16], v[19:20]
	v_add_f64_e32 v[17:18], v[21:22], v[108:109]
	s_wait_loadcnt_dscnt 0x300
	v_mul_f64_e32 v[19:20], v[11:12], v[102:103]
	v_mul_f64_e32 v[21:22], v[13:14], v[102:103]
	v_fma_f64 v[92:93], v[4:5], v[96:97], v[110:111]
	v_fma_f64 v[94:95], v[2:3], v[96:97], -v[98:99]
	v_add_f64_e32 v[15:16], v[15:16], v[6:7]
	v_add_f64_e32 v[17:18], v[17:18], v[8:9]
	ds_load_b128 v[2:5], v1 offset:1056
	ds_load_b128 v[6:9], v1 offset:1072
	v_fma_f64 v[13:14], v[13:14], v[100:101], v[19:20]
	v_fma_f64 v[11:12], v[11:12], v[100:101], -v[21:22]
	s_wait_loadcnt_dscnt 0x201
	v_mul_f64_e32 v[96:97], v[2:3], v[106:107]
	v_mul_f64_e32 v[98:99], v[4:5], v[106:107]
	s_wait_loadcnt_dscnt 0x0
	v_mul_f64_e32 v[19:20], v[6:7], v[122:123]
	v_mul_f64_e32 v[21:22], v[8:9], v[122:123]
	v_add_f64_e32 v[15:16], v[15:16], v[94:95]
	v_add_f64_e32 v[17:18], v[17:18], v[92:93]
	v_fma_f64 v[4:5], v[4:5], v[104:105], v[96:97]
	v_fma_f64 v[1:2], v[2:3], v[104:105], -v[98:99]
	v_fma_f64 v[8:9], v[8:9], v[120:121], v[19:20]
	v_fma_f64 v[6:7], v[6:7], v[120:121], -v[21:22]
	v_add_f64_e32 v[11:12], v[15:16], v[11:12]
	v_add_f64_e32 v[13:14], v[17:18], v[13:14]
	s_delay_alu instid0(VALU_DEP_2) | instskip(NEXT) | instid1(VALU_DEP_2)
	v_add_f64_e32 v[1:2], v[11:12], v[1:2]
	v_add_f64_e32 v[3:4], v[13:14], v[4:5]
	s_delay_alu instid0(VALU_DEP_2) | instskip(NEXT) | instid1(VALU_DEP_2)
	;; [unrolled: 3-line block ×3, first 2 shown]
	v_add_f64_e64 v[1:2], v[116:117], -v[1:2]
	v_add_f64_e64 v[3:4], v[118:119], -v[3:4]
	scratch_store_b128 off, v[1:4], off offset:384
	v_cmpx_lt_u32_e32 22, v0
	s_cbranch_execz .LBB33_173
; %bb.172:
	scratch_load_b128 v[1:4], off, s15
	v_mov_b32_e32 v5, 0
	s_delay_alu instid0(VALU_DEP_1)
	v_dual_mov_b32 v6, v5 :: v_dual_mov_b32 v7, v5
	v_mov_b32_e32 v8, v5
	scratch_store_b128 off, v[5:8], off offset:368
	s_wait_loadcnt 0x0
	ds_store_b128 v10, v[1:4]
.LBB33_173:
	s_wait_alu 0xfffe
	s_or_b32 exec_lo, exec_lo, s0
	s_wait_storecnt_dscnt 0x0
	s_barrier_signal -1
	s_barrier_wait -1
	global_inv scope:SCOPE_SE
	s_clause 0x7
	scratch_load_b128 v[2:5], off, off offset:384
	scratch_load_b128 v[6:9], off, off offset:400
	;; [unrolled: 1-line block ×8, first 2 shown]
	v_mov_b32_e32 v1, 0
	s_mov_b32 s0, exec_lo
	ds_load_b128 v[104:107], v1 offset:912
	s_clause 0x1
	scratch_load_b128 v[108:111], off, off offset:512
	scratch_load_b128 v[112:115], off, off offset:368
	ds_load_b128 v[116:119], v1 offset:928
	scratch_load_b128 v[120:123], off, off offset:528
	s_wait_loadcnt_dscnt 0xa01
	v_mul_f64_e32 v[124:125], v[106:107], v[4:5]
	v_mul_f64_e32 v[4:5], v[104:105], v[4:5]
	s_delay_alu instid0(VALU_DEP_2) | instskip(NEXT) | instid1(VALU_DEP_2)
	v_fma_f64 v[130:131], v[104:105], v[2:3], -v[124:125]
	v_fma_f64 v[132:133], v[106:107], v[2:3], v[4:5]
	ds_load_b128 v[2:5], v1 offset:944
	s_wait_loadcnt_dscnt 0x901
	v_mul_f64_e32 v[128:129], v[116:117], v[8:9]
	v_mul_f64_e32 v[8:9], v[118:119], v[8:9]
	scratch_load_b128 v[104:107], off, off offset:544
	ds_load_b128 v[124:127], v1 offset:960
	s_wait_loadcnt_dscnt 0x901
	v_mul_f64_e32 v[134:135], v[2:3], v[13:14]
	v_mul_f64_e32 v[13:14], v[4:5], v[13:14]
	v_fma_f64 v[118:119], v[118:119], v[6:7], v[128:129]
	v_fma_f64 v[6:7], v[116:117], v[6:7], -v[8:9]
	v_add_f64_e32 v[8:9], 0, v[130:131]
	v_add_f64_e32 v[116:117], 0, v[132:133]
	s_wait_loadcnt_dscnt 0x800
	v_mul_f64_e32 v[128:129], v[124:125], v[17:18]
	v_mul_f64_e32 v[17:18], v[126:127], v[17:18]
	v_fma_f64 v[130:131], v[4:5], v[11:12], v[134:135]
	v_fma_f64 v[11:12], v[2:3], v[11:12], -v[13:14]
	v_add_f64_e32 v[13:14], v[8:9], v[6:7]
	v_add_f64_e32 v[116:117], v[116:117], v[118:119]
	ds_load_b128 v[2:5], v1 offset:976
	ds_load_b128 v[6:9], v1 offset:992
	v_fma_f64 v[126:127], v[126:127], v[15:16], v[128:129]
	v_fma_f64 v[15:16], v[124:125], v[15:16], -v[17:18]
	s_wait_loadcnt_dscnt 0x701
	v_mul_f64_e32 v[118:119], v[2:3], v[21:22]
	v_mul_f64_e32 v[21:22], v[4:5], v[21:22]
	s_wait_loadcnt_dscnt 0x600
	v_mul_f64_e32 v[17:18], v[6:7], v[94:95]
	v_mul_f64_e32 v[94:95], v[8:9], v[94:95]
	v_add_f64_e32 v[11:12], v[13:14], v[11:12]
	v_add_f64_e32 v[13:14], v[116:117], v[130:131]
	v_fma_f64 v[116:117], v[4:5], v[19:20], v[118:119]
	v_fma_f64 v[19:20], v[2:3], v[19:20], -v[21:22]
	v_fma_f64 v[8:9], v[8:9], v[92:93], v[17:18]
	v_fma_f64 v[6:7], v[6:7], v[92:93], -v[94:95]
	v_add_f64_e32 v[15:16], v[11:12], v[15:16]
	v_add_f64_e32 v[21:22], v[13:14], v[126:127]
	ds_load_b128 v[2:5], v1 offset:1008
	ds_load_b128 v[11:14], v1 offset:1024
	s_wait_loadcnt_dscnt 0x501
	v_mul_f64_e32 v[118:119], v[2:3], v[98:99]
	v_mul_f64_e32 v[98:99], v[4:5], v[98:99]
	v_add_f64_e32 v[15:16], v[15:16], v[19:20]
	v_add_f64_e32 v[17:18], v[21:22], v[116:117]
	s_wait_loadcnt_dscnt 0x400
	v_mul_f64_e32 v[19:20], v[11:12], v[102:103]
	v_mul_f64_e32 v[21:22], v[13:14], v[102:103]
	v_fma_f64 v[92:93], v[4:5], v[96:97], v[118:119]
	v_fma_f64 v[94:95], v[2:3], v[96:97], -v[98:99]
	v_add_f64_e32 v[15:16], v[15:16], v[6:7]
	v_add_f64_e32 v[17:18], v[17:18], v[8:9]
	ds_load_b128 v[2:5], v1 offset:1040
	ds_load_b128 v[6:9], v1 offset:1056
	v_fma_f64 v[13:14], v[13:14], v[100:101], v[19:20]
	v_fma_f64 v[11:12], v[11:12], v[100:101], -v[21:22]
	s_wait_loadcnt_dscnt 0x301
	v_mul_f64_e32 v[96:97], v[2:3], v[110:111]
	v_mul_f64_e32 v[98:99], v[4:5], v[110:111]
	s_wait_loadcnt_dscnt 0x100
	v_mul_f64_e32 v[19:20], v[6:7], v[122:123]
	v_mul_f64_e32 v[21:22], v[8:9], v[122:123]
	v_add_f64_e32 v[15:16], v[15:16], v[94:95]
	v_add_f64_e32 v[17:18], v[17:18], v[92:93]
	v_fma_f64 v[92:93], v[4:5], v[108:109], v[96:97]
	v_fma_f64 v[94:95], v[2:3], v[108:109], -v[98:99]
	ds_load_b128 v[2:5], v1 offset:1072
	v_fma_f64 v[8:9], v[8:9], v[120:121], v[19:20]
	v_fma_f64 v[6:7], v[6:7], v[120:121], -v[21:22]
	v_add_f64_e32 v[11:12], v[15:16], v[11:12]
	v_add_f64_e32 v[13:14], v[17:18], v[13:14]
	s_wait_loadcnt_dscnt 0x0
	v_mul_f64_e32 v[15:16], v[2:3], v[106:107]
	v_mul_f64_e32 v[17:18], v[4:5], v[106:107]
	s_delay_alu instid0(VALU_DEP_4) | instskip(NEXT) | instid1(VALU_DEP_4)
	v_add_f64_e32 v[11:12], v[11:12], v[94:95]
	v_add_f64_e32 v[13:14], v[13:14], v[92:93]
	s_delay_alu instid0(VALU_DEP_4) | instskip(NEXT) | instid1(VALU_DEP_4)
	v_fma_f64 v[4:5], v[4:5], v[104:105], v[15:16]
	v_fma_f64 v[2:3], v[2:3], v[104:105], -v[17:18]
	s_delay_alu instid0(VALU_DEP_4) | instskip(NEXT) | instid1(VALU_DEP_4)
	v_add_f64_e32 v[6:7], v[11:12], v[6:7]
	v_add_f64_e32 v[8:9], v[13:14], v[8:9]
	s_delay_alu instid0(VALU_DEP_2) | instskip(NEXT) | instid1(VALU_DEP_2)
	v_add_f64_e32 v[2:3], v[6:7], v[2:3]
	v_add_f64_e32 v[4:5], v[8:9], v[4:5]
	s_delay_alu instid0(VALU_DEP_2) | instskip(NEXT) | instid1(VALU_DEP_2)
	v_add_f64_e64 v[2:3], v[112:113], -v[2:3]
	v_add_f64_e64 v[4:5], v[114:115], -v[4:5]
	scratch_store_b128 off, v[2:5], off offset:368
	v_cmpx_lt_u32_e32 21, v0
	s_cbranch_execz .LBB33_175
; %bb.174:
	scratch_load_b128 v[5:8], off, s14
	v_dual_mov_b32 v2, v1 :: v_dual_mov_b32 v3, v1
	v_mov_b32_e32 v4, v1
	scratch_store_b128 off, v[1:4], off offset:352
	s_wait_loadcnt 0x0
	ds_store_b128 v10, v[5:8]
.LBB33_175:
	s_wait_alu 0xfffe
	s_or_b32 exec_lo, exec_lo, s0
	s_wait_storecnt_dscnt 0x0
	s_barrier_signal -1
	s_barrier_wait -1
	global_inv scope:SCOPE_SE
	s_clause 0x8
	scratch_load_b128 v[2:5], off, off offset:368
	scratch_load_b128 v[6:9], off, off offset:384
	;; [unrolled: 1-line block ×9, first 2 shown]
	ds_load_b128 v[108:111], v1 offset:896
	ds_load_b128 v[112:115], v1 offset:912
	s_clause 0x1
	scratch_load_b128 v[116:119], off, off offset:352
	scratch_load_b128 v[120:123], off, off offset:512
	s_mov_b32 s0, exec_lo
	s_wait_loadcnt_dscnt 0xa01
	v_mul_f64_e32 v[124:125], v[110:111], v[4:5]
	v_mul_f64_e32 v[4:5], v[108:109], v[4:5]
	s_wait_loadcnt_dscnt 0x900
	v_mul_f64_e32 v[128:129], v[112:113], v[8:9]
	v_mul_f64_e32 v[8:9], v[114:115], v[8:9]
	s_delay_alu instid0(VALU_DEP_4) | instskip(NEXT) | instid1(VALU_DEP_4)
	v_fma_f64 v[130:131], v[108:109], v[2:3], -v[124:125]
	v_fma_f64 v[132:133], v[110:111], v[2:3], v[4:5]
	ds_load_b128 v[2:5], v1 offset:928
	ds_load_b128 v[124:127], v1 offset:944
	scratch_load_b128 v[108:111], off, off offset:528
	v_fma_f64 v[114:115], v[114:115], v[6:7], v[128:129]
	v_fma_f64 v[112:113], v[112:113], v[6:7], -v[8:9]
	scratch_load_b128 v[6:9], off, off offset:544
	s_wait_loadcnt_dscnt 0xa01
	v_mul_f64_e32 v[134:135], v[2:3], v[13:14]
	v_mul_f64_e32 v[13:14], v[4:5], v[13:14]
	v_add_f64_e32 v[128:129], 0, v[130:131]
	v_add_f64_e32 v[130:131], 0, v[132:133]
	s_wait_loadcnt_dscnt 0x900
	v_mul_f64_e32 v[132:133], v[124:125], v[17:18]
	v_mul_f64_e32 v[17:18], v[126:127], v[17:18]
	v_fma_f64 v[134:135], v[4:5], v[11:12], v[134:135]
	v_fma_f64 v[136:137], v[2:3], v[11:12], -v[13:14]
	ds_load_b128 v[2:5], v1 offset:960
	ds_load_b128 v[11:14], v1 offset:976
	v_add_f64_e32 v[112:113], v[128:129], v[112:113]
	v_add_f64_e32 v[114:115], v[130:131], v[114:115]
	v_fma_f64 v[126:127], v[126:127], v[15:16], v[132:133]
	v_fma_f64 v[15:16], v[124:125], v[15:16], -v[17:18]
	s_wait_loadcnt_dscnt 0x801
	v_mul_f64_e32 v[128:129], v[2:3], v[21:22]
	v_mul_f64_e32 v[21:22], v[4:5], v[21:22]
	v_add_f64_e32 v[17:18], v[112:113], v[136:137]
	v_add_f64_e32 v[112:113], v[114:115], v[134:135]
	s_wait_loadcnt_dscnt 0x700
	v_mul_f64_e32 v[114:115], v[11:12], v[94:95]
	v_mul_f64_e32 v[94:95], v[13:14], v[94:95]
	v_fma_f64 v[124:125], v[4:5], v[19:20], v[128:129]
	v_fma_f64 v[19:20], v[2:3], v[19:20], -v[21:22]
	v_add_f64_e32 v[21:22], v[17:18], v[15:16]
	v_add_f64_e32 v[112:113], v[112:113], v[126:127]
	ds_load_b128 v[2:5], v1 offset:992
	ds_load_b128 v[15:18], v1 offset:1008
	v_fma_f64 v[13:14], v[13:14], v[92:93], v[114:115]
	v_fma_f64 v[11:12], v[11:12], v[92:93], -v[94:95]
	s_wait_loadcnt_dscnt 0x601
	v_mul_f64_e32 v[126:127], v[2:3], v[98:99]
	v_mul_f64_e32 v[98:99], v[4:5], v[98:99]
	s_wait_loadcnt_dscnt 0x500
	v_mul_f64_e32 v[92:93], v[15:16], v[102:103]
	v_mul_f64_e32 v[94:95], v[17:18], v[102:103]
	v_add_f64_e32 v[19:20], v[21:22], v[19:20]
	v_add_f64_e32 v[21:22], v[112:113], v[124:125]
	v_fma_f64 v[102:103], v[4:5], v[96:97], v[126:127]
	v_fma_f64 v[96:97], v[2:3], v[96:97], -v[98:99]
	v_fma_f64 v[17:18], v[17:18], v[100:101], v[92:93]
	v_fma_f64 v[15:16], v[15:16], v[100:101], -v[94:95]
	v_add_f64_e32 v[19:20], v[19:20], v[11:12]
	v_add_f64_e32 v[21:22], v[21:22], v[13:14]
	ds_load_b128 v[2:5], v1 offset:1024
	ds_load_b128 v[11:14], v1 offset:1040
	s_wait_loadcnt_dscnt 0x401
	v_mul_f64_e32 v[98:99], v[2:3], v[106:107]
	v_mul_f64_e32 v[106:107], v[4:5], v[106:107]
	s_wait_loadcnt_dscnt 0x200
	v_mul_f64_e32 v[92:93], v[11:12], v[122:123]
	v_mul_f64_e32 v[94:95], v[13:14], v[122:123]
	v_add_f64_e32 v[19:20], v[19:20], v[96:97]
	v_add_f64_e32 v[21:22], v[21:22], v[102:103]
	v_fma_f64 v[96:97], v[4:5], v[104:105], v[98:99]
	v_fma_f64 v[98:99], v[2:3], v[104:105], -v[106:107]
	v_fma_f64 v[13:14], v[13:14], v[120:121], v[92:93]
	v_fma_f64 v[11:12], v[11:12], v[120:121], -v[94:95]
	v_add_f64_e32 v[19:20], v[19:20], v[15:16]
	v_add_f64_e32 v[21:22], v[21:22], v[17:18]
	ds_load_b128 v[2:5], v1 offset:1056
	ds_load_b128 v[15:18], v1 offset:1072
	s_wait_loadcnt_dscnt 0x101
	v_mul_f64_e32 v[100:101], v[2:3], v[110:111]
	v_mul_f64_e32 v[102:103], v[4:5], v[110:111]
	s_wait_loadcnt_dscnt 0x0
	v_mul_f64_e32 v[92:93], v[15:16], v[8:9]
	v_mul_f64_e32 v[8:9], v[17:18], v[8:9]
	v_add_f64_e32 v[19:20], v[19:20], v[98:99]
	v_add_f64_e32 v[21:22], v[21:22], v[96:97]
	v_fma_f64 v[4:5], v[4:5], v[108:109], v[100:101]
	v_fma_f64 v[1:2], v[2:3], v[108:109], -v[102:103]
	v_fma_f64 v[17:18], v[17:18], v[6:7], v[92:93]
	v_fma_f64 v[6:7], v[15:16], v[6:7], -v[8:9]
	v_add_f64_e32 v[11:12], v[19:20], v[11:12]
	v_add_f64_e32 v[13:14], v[21:22], v[13:14]
	s_delay_alu instid0(VALU_DEP_2) | instskip(NEXT) | instid1(VALU_DEP_2)
	v_add_f64_e32 v[1:2], v[11:12], v[1:2]
	v_add_f64_e32 v[3:4], v[13:14], v[4:5]
	s_delay_alu instid0(VALU_DEP_2) | instskip(NEXT) | instid1(VALU_DEP_2)
	;; [unrolled: 3-line block ×3, first 2 shown]
	v_add_f64_e64 v[1:2], v[116:117], -v[1:2]
	v_add_f64_e64 v[3:4], v[118:119], -v[3:4]
	scratch_store_b128 off, v[1:4], off offset:352
	v_cmpx_lt_u32_e32 20, v0
	s_cbranch_execz .LBB33_177
; %bb.176:
	scratch_load_b128 v[1:4], off, s20
	v_mov_b32_e32 v5, 0
	s_delay_alu instid0(VALU_DEP_1)
	v_dual_mov_b32 v6, v5 :: v_dual_mov_b32 v7, v5
	v_mov_b32_e32 v8, v5
	scratch_store_b128 off, v[5:8], off offset:336
	s_wait_loadcnt 0x0
	ds_store_b128 v10, v[1:4]
.LBB33_177:
	s_wait_alu 0xfffe
	s_or_b32 exec_lo, exec_lo, s0
	s_wait_storecnt_dscnt 0x0
	s_barrier_signal -1
	s_barrier_wait -1
	global_inv scope:SCOPE_SE
	s_clause 0x7
	scratch_load_b128 v[2:5], off, off offset:352
	scratch_load_b128 v[6:9], off, off offset:368
	;; [unrolled: 1-line block ×8, first 2 shown]
	v_mov_b32_e32 v1, 0
	s_mov_b32 s0, exec_lo
	ds_load_b128 v[104:107], v1 offset:880
	s_clause 0x1
	scratch_load_b128 v[108:111], off, off offset:480
	scratch_load_b128 v[112:115], off, off offset:336
	ds_load_b128 v[116:119], v1 offset:896
	scratch_load_b128 v[120:123], off, off offset:496
	s_wait_loadcnt_dscnt 0xa01
	v_mul_f64_e32 v[124:125], v[106:107], v[4:5]
	v_mul_f64_e32 v[4:5], v[104:105], v[4:5]
	s_delay_alu instid0(VALU_DEP_2) | instskip(NEXT) | instid1(VALU_DEP_2)
	v_fma_f64 v[130:131], v[104:105], v[2:3], -v[124:125]
	v_fma_f64 v[132:133], v[106:107], v[2:3], v[4:5]
	ds_load_b128 v[2:5], v1 offset:912
	s_wait_loadcnt_dscnt 0x901
	v_mul_f64_e32 v[128:129], v[116:117], v[8:9]
	v_mul_f64_e32 v[8:9], v[118:119], v[8:9]
	scratch_load_b128 v[104:107], off, off offset:512
	ds_load_b128 v[124:127], v1 offset:928
	s_wait_loadcnt_dscnt 0x901
	v_mul_f64_e32 v[134:135], v[2:3], v[13:14]
	v_mul_f64_e32 v[13:14], v[4:5], v[13:14]
	v_fma_f64 v[118:119], v[118:119], v[6:7], v[128:129]
	v_fma_f64 v[116:117], v[116:117], v[6:7], -v[8:9]
	v_add_f64_e32 v[128:129], 0, v[130:131]
	v_add_f64_e32 v[130:131], 0, v[132:133]
	scratch_load_b128 v[6:9], off, off offset:528
	v_fma_f64 v[134:135], v[4:5], v[11:12], v[134:135]
	v_fma_f64 v[136:137], v[2:3], v[11:12], -v[13:14]
	ds_load_b128 v[2:5], v1 offset:944
	s_wait_loadcnt_dscnt 0x901
	v_mul_f64_e32 v[132:133], v[124:125], v[17:18]
	v_mul_f64_e32 v[17:18], v[126:127], v[17:18]
	scratch_load_b128 v[11:14], off, off offset:544
	v_add_f64_e32 v[128:129], v[128:129], v[116:117]
	v_add_f64_e32 v[130:131], v[130:131], v[118:119]
	s_wait_loadcnt_dscnt 0x900
	v_mul_f64_e32 v[138:139], v[2:3], v[21:22]
	v_mul_f64_e32 v[21:22], v[4:5], v[21:22]
	ds_load_b128 v[116:119], v1 offset:960
	v_fma_f64 v[126:127], v[126:127], v[15:16], v[132:133]
	v_fma_f64 v[15:16], v[124:125], v[15:16], -v[17:18]
	v_add_f64_e32 v[17:18], v[128:129], v[136:137]
	v_add_f64_e32 v[124:125], v[130:131], v[134:135]
	s_wait_loadcnt_dscnt 0x800
	v_mul_f64_e32 v[128:129], v[116:117], v[94:95]
	v_mul_f64_e32 v[94:95], v[118:119], v[94:95]
	v_fma_f64 v[130:131], v[4:5], v[19:20], v[138:139]
	v_fma_f64 v[19:20], v[2:3], v[19:20], -v[21:22]
	v_add_f64_e32 v[21:22], v[17:18], v[15:16]
	v_add_f64_e32 v[124:125], v[124:125], v[126:127]
	ds_load_b128 v[2:5], v1 offset:976
	ds_load_b128 v[15:18], v1 offset:992
	v_fma_f64 v[118:119], v[118:119], v[92:93], v[128:129]
	v_fma_f64 v[92:93], v[116:117], v[92:93], -v[94:95]
	s_wait_loadcnt_dscnt 0x701
	v_mul_f64_e32 v[126:127], v[2:3], v[98:99]
	v_mul_f64_e32 v[98:99], v[4:5], v[98:99]
	s_wait_loadcnt_dscnt 0x600
	v_mul_f64_e32 v[94:95], v[15:16], v[102:103]
	v_mul_f64_e32 v[102:103], v[17:18], v[102:103]
	v_add_f64_e32 v[19:20], v[21:22], v[19:20]
	v_add_f64_e32 v[21:22], v[124:125], v[130:131]
	v_fma_f64 v[116:117], v[4:5], v[96:97], v[126:127]
	v_fma_f64 v[96:97], v[2:3], v[96:97], -v[98:99]
	v_fma_f64 v[17:18], v[17:18], v[100:101], v[94:95]
	v_fma_f64 v[15:16], v[15:16], v[100:101], -v[102:103]
	v_add_f64_e32 v[92:93], v[19:20], v[92:93]
	v_add_f64_e32 v[98:99], v[21:22], v[118:119]
	ds_load_b128 v[2:5], v1 offset:1008
	ds_load_b128 v[19:22], v1 offset:1024
	s_wait_loadcnt_dscnt 0x501
	v_mul_f64_e32 v[118:119], v[2:3], v[110:111]
	v_mul_f64_e32 v[110:111], v[4:5], v[110:111]
	v_add_f64_e32 v[92:93], v[92:93], v[96:97]
	v_add_f64_e32 v[94:95], v[98:99], v[116:117]
	s_wait_loadcnt_dscnt 0x300
	v_mul_f64_e32 v[96:97], v[19:20], v[122:123]
	v_mul_f64_e32 v[98:99], v[21:22], v[122:123]
	v_fma_f64 v[100:101], v[4:5], v[108:109], v[118:119]
	v_fma_f64 v[102:103], v[2:3], v[108:109], -v[110:111]
	v_add_f64_e32 v[92:93], v[92:93], v[15:16]
	v_add_f64_e32 v[94:95], v[94:95], v[17:18]
	ds_load_b128 v[2:5], v1 offset:1040
	ds_load_b128 v[15:18], v1 offset:1056
	v_fma_f64 v[21:22], v[21:22], v[120:121], v[96:97]
	v_fma_f64 v[19:20], v[19:20], v[120:121], -v[98:99]
	s_wait_loadcnt_dscnt 0x201
	v_mul_f64_e32 v[108:109], v[2:3], v[106:107]
	v_mul_f64_e32 v[106:107], v[4:5], v[106:107]
	v_add_f64_e32 v[92:93], v[92:93], v[102:103]
	v_add_f64_e32 v[94:95], v[94:95], v[100:101]
	s_wait_loadcnt_dscnt 0x100
	v_mul_f64_e32 v[96:97], v[15:16], v[8:9]
	v_mul_f64_e32 v[8:9], v[17:18], v[8:9]
	v_fma_f64 v[98:99], v[4:5], v[104:105], v[108:109]
	v_fma_f64 v[100:101], v[2:3], v[104:105], -v[106:107]
	ds_load_b128 v[2:5], v1 offset:1072
	v_add_f64_e32 v[19:20], v[92:93], v[19:20]
	v_add_f64_e32 v[21:22], v[94:95], v[21:22]
	s_wait_loadcnt_dscnt 0x0
	v_mul_f64_e32 v[92:93], v[2:3], v[13:14]
	v_mul_f64_e32 v[13:14], v[4:5], v[13:14]
	v_fma_f64 v[17:18], v[17:18], v[6:7], v[96:97]
	v_fma_f64 v[6:7], v[15:16], v[6:7], -v[8:9]
	v_add_f64_e32 v[8:9], v[19:20], v[100:101]
	v_add_f64_e32 v[15:16], v[21:22], v[98:99]
	v_fma_f64 v[4:5], v[4:5], v[11:12], v[92:93]
	v_fma_f64 v[2:3], v[2:3], v[11:12], -v[13:14]
	s_delay_alu instid0(VALU_DEP_4) | instskip(NEXT) | instid1(VALU_DEP_4)
	v_add_f64_e32 v[6:7], v[8:9], v[6:7]
	v_add_f64_e32 v[8:9], v[15:16], v[17:18]
	s_delay_alu instid0(VALU_DEP_2) | instskip(NEXT) | instid1(VALU_DEP_2)
	v_add_f64_e32 v[2:3], v[6:7], v[2:3]
	v_add_f64_e32 v[4:5], v[8:9], v[4:5]
	s_delay_alu instid0(VALU_DEP_2) | instskip(NEXT) | instid1(VALU_DEP_2)
	v_add_f64_e64 v[2:3], v[112:113], -v[2:3]
	v_add_f64_e64 v[4:5], v[114:115], -v[4:5]
	scratch_store_b128 off, v[2:5], off offset:336
	v_cmpx_lt_u32_e32 19, v0
	s_cbranch_execz .LBB33_179
; %bb.178:
	scratch_load_b128 v[5:8], off, s4
	v_dual_mov_b32 v2, v1 :: v_dual_mov_b32 v3, v1
	v_mov_b32_e32 v4, v1
	scratch_store_b128 off, v[1:4], off offset:320
	s_wait_loadcnt 0x0
	ds_store_b128 v10, v[5:8]
.LBB33_179:
	s_wait_alu 0xfffe
	s_or_b32 exec_lo, exec_lo, s0
	s_wait_storecnt_dscnt 0x0
	s_barrier_signal -1
	s_barrier_wait -1
	global_inv scope:SCOPE_SE
	s_clause 0x8
	scratch_load_b128 v[2:5], off, off offset:336
	scratch_load_b128 v[6:9], off, off offset:352
	;; [unrolled: 1-line block ×9, first 2 shown]
	ds_load_b128 v[108:111], v1 offset:864
	ds_load_b128 v[112:115], v1 offset:880
	s_clause 0x1
	scratch_load_b128 v[116:119], off, off offset:320
	scratch_load_b128 v[120:123], off, off offset:480
	s_mov_b32 s0, exec_lo
	s_wait_loadcnt_dscnt 0xa01
	v_mul_f64_e32 v[124:125], v[110:111], v[4:5]
	v_mul_f64_e32 v[4:5], v[108:109], v[4:5]
	s_wait_loadcnt_dscnt 0x900
	v_mul_f64_e32 v[128:129], v[112:113], v[8:9]
	v_mul_f64_e32 v[8:9], v[114:115], v[8:9]
	s_delay_alu instid0(VALU_DEP_4) | instskip(NEXT) | instid1(VALU_DEP_4)
	v_fma_f64 v[130:131], v[108:109], v[2:3], -v[124:125]
	v_fma_f64 v[132:133], v[110:111], v[2:3], v[4:5]
	ds_load_b128 v[2:5], v1 offset:896
	ds_load_b128 v[124:127], v1 offset:912
	scratch_load_b128 v[108:111], off, off offset:496
	v_fma_f64 v[114:115], v[114:115], v[6:7], v[128:129]
	v_fma_f64 v[112:113], v[112:113], v[6:7], -v[8:9]
	scratch_load_b128 v[6:9], off, off offset:512
	s_wait_loadcnt_dscnt 0xa01
	v_mul_f64_e32 v[134:135], v[2:3], v[13:14]
	v_mul_f64_e32 v[13:14], v[4:5], v[13:14]
	v_add_f64_e32 v[128:129], 0, v[130:131]
	v_add_f64_e32 v[130:131], 0, v[132:133]
	s_wait_loadcnt_dscnt 0x900
	v_mul_f64_e32 v[132:133], v[124:125], v[17:18]
	v_mul_f64_e32 v[17:18], v[126:127], v[17:18]
	v_fma_f64 v[134:135], v[4:5], v[11:12], v[134:135]
	v_fma_f64 v[136:137], v[2:3], v[11:12], -v[13:14]
	ds_load_b128 v[2:5], v1 offset:928
	scratch_load_b128 v[11:14], off, off offset:528
	v_add_f64_e32 v[128:129], v[128:129], v[112:113]
	v_add_f64_e32 v[130:131], v[130:131], v[114:115]
	ds_load_b128 v[112:115], v1 offset:944
	v_fma_f64 v[126:127], v[126:127], v[15:16], v[132:133]
	v_fma_f64 v[124:125], v[124:125], v[15:16], -v[17:18]
	scratch_load_b128 v[15:18], off, off offset:544
	s_wait_loadcnt_dscnt 0xa01
	v_mul_f64_e32 v[138:139], v[2:3], v[21:22]
	v_mul_f64_e32 v[21:22], v[4:5], v[21:22]
	s_wait_loadcnt_dscnt 0x900
	v_mul_f64_e32 v[132:133], v[112:113], v[94:95]
	v_mul_f64_e32 v[94:95], v[114:115], v[94:95]
	v_add_f64_e32 v[128:129], v[128:129], v[136:137]
	v_add_f64_e32 v[130:131], v[130:131], v[134:135]
	v_fma_f64 v[134:135], v[4:5], v[19:20], v[138:139]
	v_fma_f64 v[136:137], v[2:3], v[19:20], -v[21:22]
	ds_load_b128 v[2:5], v1 offset:960
	ds_load_b128 v[19:22], v1 offset:976
	v_fma_f64 v[114:115], v[114:115], v[92:93], v[132:133]
	v_fma_f64 v[92:93], v[112:113], v[92:93], -v[94:95]
	v_add_f64_e32 v[124:125], v[128:129], v[124:125]
	v_add_f64_e32 v[126:127], v[130:131], v[126:127]
	s_wait_loadcnt_dscnt 0x801
	v_mul_f64_e32 v[128:129], v[2:3], v[98:99]
	v_mul_f64_e32 v[98:99], v[4:5], v[98:99]
	s_delay_alu instid0(VALU_DEP_4) | instskip(NEXT) | instid1(VALU_DEP_4)
	v_add_f64_e32 v[94:95], v[124:125], v[136:137]
	v_add_f64_e32 v[112:113], v[126:127], v[134:135]
	s_wait_loadcnt_dscnt 0x700
	v_mul_f64_e32 v[124:125], v[19:20], v[102:103]
	v_mul_f64_e32 v[102:103], v[21:22], v[102:103]
	v_fma_f64 v[126:127], v[4:5], v[96:97], v[128:129]
	v_fma_f64 v[96:97], v[2:3], v[96:97], -v[98:99]
	v_add_f64_e32 v[98:99], v[94:95], v[92:93]
	v_add_f64_e32 v[112:113], v[112:113], v[114:115]
	ds_load_b128 v[2:5], v1 offset:992
	ds_load_b128 v[92:95], v1 offset:1008
	v_fma_f64 v[21:22], v[21:22], v[100:101], v[124:125]
	v_fma_f64 v[19:20], v[19:20], v[100:101], -v[102:103]
	s_wait_loadcnt_dscnt 0x601
	v_mul_f64_e32 v[114:115], v[2:3], v[106:107]
	v_mul_f64_e32 v[106:107], v[4:5], v[106:107]
	s_wait_loadcnt_dscnt 0x400
	v_mul_f64_e32 v[100:101], v[92:93], v[122:123]
	v_mul_f64_e32 v[102:103], v[94:95], v[122:123]
	v_add_f64_e32 v[96:97], v[98:99], v[96:97]
	v_add_f64_e32 v[98:99], v[112:113], v[126:127]
	v_fma_f64 v[112:113], v[4:5], v[104:105], v[114:115]
	v_fma_f64 v[104:105], v[2:3], v[104:105], -v[106:107]
	v_fma_f64 v[94:95], v[94:95], v[120:121], v[100:101]
	v_fma_f64 v[92:93], v[92:93], v[120:121], -v[102:103]
	v_add_f64_e32 v[96:97], v[96:97], v[19:20]
	v_add_f64_e32 v[98:99], v[98:99], v[21:22]
	ds_load_b128 v[2:5], v1 offset:1024
	ds_load_b128 v[19:22], v1 offset:1040
	s_wait_loadcnt_dscnt 0x301
	v_mul_f64_e32 v[106:107], v[2:3], v[110:111]
	v_mul_f64_e32 v[110:111], v[4:5], v[110:111]
	s_wait_loadcnt_dscnt 0x200
	v_mul_f64_e32 v[100:101], v[19:20], v[8:9]
	v_mul_f64_e32 v[8:9], v[21:22], v[8:9]
	v_add_f64_e32 v[96:97], v[96:97], v[104:105]
	v_add_f64_e32 v[98:99], v[98:99], v[112:113]
	v_fma_f64 v[102:103], v[4:5], v[108:109], v[106:107]
	v_fma_f64 v[104:105], v[2:3], v[108:109], -v[110:111]
	v_fma_f64 v[21:22], v[21:22], v[6:7], v[100:101]
	v_fma_f64 v[6:7], v[19:20], v[6:7], -v[8:9]
	v_add_f64_e32 v[96:97], v[96:97], v[92:93]
	v_add_f64_e32 v[98:99], v[98:99], v[94:95]
	ds_load_b128 v[2:5], v1 offset:1056
	ds_load_b128 v[92:95], v1 offset:1072
	s_wait_loadcnt_dscnt 0x101
	v_mul_f64_e32 v[106:107], v[2:3], v[13:14]
	v_mul_f64_e32 v[13:14], v[4:5], v[13:14]
	v_add_f64_e32 v[8:9], v[96:97], v[104:105]
	v_add_f64_e32 v[19:20], v[98:99], v[102:103]
	s_wait_loadcnt_dscnt 0x0
	v_mul_f64_e32 v[96:97], v[92:93], v[17:18]
	v_mul_f64_e32 v[17:18], v[94:95], v[17:18]
	v_fma_f64 v[4:5], v[4:5], v[11:12], v[106:107]
	v_fma_f64 v[1:2], v[2:3], v[11:12], -v[13:14]
	v_add_f64_e32 v[6:7], v[8:9], v[6:7]
	v_add_f64_e32 v[8:9], v[19:20], v[21:22]
	v_fma_f64 v[11:12], v[94:95], v[15:16], v[96:97]
	v_fma_f64 v[13:14], v[92:93], v[15:16], -v[17:18]
	s_delay_alu instid0(VALU_DEP_4) | instskip(NEXT) | instid1(VALU_DEP_4)
	v_add_f64_e32 v[1:2], v[6:7], v[1:2]
	v_add_f64_e32 v[3:4], v[8:9], v[4:5]
	s_delay_alu instid0(VALU_DEP_2) | instskip(NEXT) | instid1(VALU_DEP_2)
	v_add_f64_e32 v[1:2], v[1:2], v[13:14]
	v_add_f64_e32 v[3:4], v[3:4], v[11:12]
	s_delay_alu instid0(VALU_DEP_2) | instskip(NEXT) | instid1(VALU_DEP_2)
	v_add_f64_e64 v[1:2], v[116:117], -v[1:2]
	v_add_f64_e64 v[3:4], v[118:119], -v[3:4]
	scratch_store_b128 off, v[1:4], off offset:320
	v_cmpx_lt_u32_e32 18, v0
	s_cbranch_execz .LBB33_181
; %bb.180:
	scratch_load_b128 v[1:4], off, s8
	v_mov_b32_e32 v5, 0
	s_delay_alu instid0(VALU_DEP_1)
	v_dual_mov_b32 v6, v5 :: v_dual_mov_b32 v7, v5
	v_mov_b32_e32 v8, v5
	scratch_store_b128 off, v[5:8], off offset:304
	s_wait_loadcnt 0x0
	ds_store_b128 v10, v[1:4]
.LBB33_181:
	s_wait_alu 0xfffe
	s_or_b32 exec_lo, exec_lo, s0
	s_wait_storecnt_dscnt 0x0
	s_barrier_signal -1
	s_barrier_wait -1
	global_inv scope:SCOPE_SE
	s_clause 0x7
	scratch_load_b128 v[2:5], off, off offset:320
	scratch_load_b128 v[6:9], off, off offset:336
	;; [unrolled: 1-line block ×8, first 2 shown]
	v_mov_b32_e32 v1, 0
	s_mov_b32 s0, exec_lo
	ds_load_b128 v[104:107], v1 offset:848
	s_clause 0x1
	scratch_load_b128 v[108:111], off, off offset:448
	scratch_load_b128 v[112:115], off, off offset:304
	ds_load_b128 v[116:119], v1 offset:864
	scratch_load_b128 v[120:123], off, off offset:464
	s_wait_loadcnt_dscnt 0xa01
	v_mul_f64_e32 v[124:125], v[106:107], v[4:5]
	v_mul_f64_e32 v[4:5], v[104:105], v[4:5]
	s_delay_alu instid0(VALU_DEP_2) | instskip(NEXT) | instid1(VALU_DEP_2)
	v_fma_f64 v[130:131], v[104:105], v[2:3], -v[124:125]
	v_fma_f64 v[132:133], v[106:107], v[2:3], v[4:5]
	ds_load_b128 v[2:5], v1 offset:880
	s_wait_loadcnt_dscnt 0x901
	v_mul_f64_e32 v[128:129], v[116:117], v[8:9]
	v_mul_f64_e32 v[8:9], v[118:119], v[8:9]
	scratch_load_b128 v[104:107], off, off offset:480
	ds_load_b128 v[124:127], v1 offset:896
	s_wait_loadcnt_dscnt 0x901
	v_mul_f64_e32 v[134:135], v[2:3], v[13:14]
	v_mul_f64_e32 v[13:14], v[4:5], v[13:14]
	v_fma_f64 v[118:119], v[118:119], v[6:7], v[128:129]
	v_fma_f64 v[116:117], v[116:117], v[6:7], -v[8:9]
	v_add_f64_e32 v[128:129], 0, v[130:131]
	v_add_f64_e32 v[130:131], 0, v[132:133]
	scratch_load_b128 v[6:9], off, off offset:496
	v_fma_f64 v[134:135], v[4:5], v[11:12], v[134:135]
	v_fma_f64 v[136:137], v[2:3], v[11:12], -v[13:14]
	ds_load_b128 v[2:5], v1 offset:912
	s_wait_loadcnt_dscnt 0x901
	v_mul_f64_e32 v[132:133], v[124:125], v[17:18]
	v_mul_f64_e32 v[17:18], v[126:127], v[17:18]
	scratch_load_b128 v[11:14], off, off offset:512
	v_add_f64_e32 v[128:129], v[128:129], v[116:117]
	v_add_f64_e32 v[130:131], v[130:131], v[118:119]
	s_wait_loadcnt_dscnt 0x900
	v_mul_f64_e32 v[138:139], v[2:3], v[21:22]
	v_mul_f64_e32 v[21:22], v[4:5], v[21:22]
	ds_load_b128 v[116:119], v1 offset:928
	v_fma_f64 v[126:127], v[126:127], v[15:16], v[132:133]
	v_fma_f64 v[124:125], v[124:125], v[15:16], -v[17:18]
	scratch_load_b128 v[15:18], off, off offset:528
	v_add_f64_e32 v[128:129], v[128:129], v[136:137]
	v_add_f64_e32 v[130:131], v[130:131], v[134:135]
	v_fma_f64 v[134:135], v[4:5], v[19:20], v[138:139]
	v_fma_f64 v[136:137], v[2:3], v[19:20], -v[21:22]
	ds_load_b128 v[2:5], v1 offset:944
	s_wait_loadcnt_dscnt 0x901
	v_mul_f64_e32 v[132:133], v[116:117], v[94:95]
	v_mul_f64_e32 v[94:95], v[118:119], v[94:95]
	scratch_load_b128 v[19:22], off, off offset:544
	s_wait_loadcnt_dscnt 0x900
	v_mul_f64_e32 v[138:139], v[2:3], v[98:99]
	v_mul_f64_e32 v[98:99], v[4:5], v[98:99]
	v_add_f64_e32 v[128:129], v[128:129], v[124:125]
	v_add_f64_e32 v[130:131], v[130:131], v[126:127]
	ds_load_b128 v[124:127], v1 offset:960
	v_fma_f64 v[118:119], v[118:119], v[92:93], v[132:133]
	v_fma_f64 v[92:93], v[116:117], v[92:93], -v[94:95]
	v_add_f64_e32 v[94:95], v[128:129], v[136:137]
	v_add_f64_e32 v[116:117], v[130:131], v[134:135]
	s_wait_loadcnt_dscnt 0x800
	v_mul_f64_e32 v[128:129], v[124:125], v[102:103]
	v_mul_f64_e32 v[102:103], v[126:127], v[102:103]
	v_fma_f64 v[130:131], v[4:5], v[96:97], v[138:139]
	v_fma_f64 v[96:97], v[2:3], v[96:97], -v[98:99]
	v_add_f64_e32 v[98:99], v[94:95], v[92:93]
	v_add_f64_e32 v[116:117], v[116:117], v[118:119]
	ds_load_b128 v[2:5], v1 offset:976
	ds_load_b128 v[92:95], v1 offset:992
	v_fma_f64 v[126:127], v[126:127], v[100:101], v[128:129]
	v_fma_f64 v[100:101], v[124:125], v[100:101], -v[102:103]
	s_wait_loadcnt_dscnt 0x701
	v_mul_f64_e32 v[118:119], v[2:3], v[110:111]
	v_mul_f64_e32 v[110:111], v[4:5], v[110:111]
	s_wait_loadcnt_dscnt 0x500
	v_mul_f64_e32 v[102:103], v[92:93], v[122:123]
	v_add_f64_e32 v[96:97], v[98:99], v[96:97]
	v_add_f64_e32 v[98:99], v[116:117], v[130:131]
	v_mul_f64_e32 v[116:117], v[94:95], v[122:123]
	v_fma_f64 v[118:119], v[4:5], v[108:109], v[118:119]
	v_fma_f64 v[108:109], v[2:3], v[108:109], -v[110:111]
	v_fma_f64 v[94:95], v[94:95], v[120:121], v[102:103]
	v_add_f64_e32 v[100:101], v[96:97], v[100:101]
	v_add_f64_e32 v[110:111], v[98:99], v[126:127]
	ds_load_b128 v[2:5], v1 offset:1008
	ds_load_b128 v[96:99], v1 offset:1024
	v_fma_f64 v[92:93], v[92:93], v[120:121], -v[116:117]
	s_wait_loadcnt_dscnt 0x401
	v_mul_f64_e32 v[122:123], v[2:3], v[106:107]
	v_mul_f64_e32 v[106:107], v[4:5], v[106:107]
	v_add_f64_e32 v[100:101], v[100:101], v[108:109]
	v_add_f64_e32 v[102:103], v[110:111], v[118:119]
	s_wait_loadcnt_dscnt 0x300
	v_mul_f64_e32 v[108:109], v[96:97], v[8:9]
	v_mul_f64_e32 v[8:9], v[98:99], v[8:9]
	v_fma_f64 v[110:111], v[4:5], v[104:105], v[122:123]
	v_fma_f64 v[104:105], v[2:3], v[104:105], -v[106:107]
	v_add_f64_e32 v[100:101], v[100:101], v[92:93]
	v_add_f64_e32 v[102:103], v[102:103], v[94:95]
	ds_load_b128 v[2:5], v1 offset:1040
	ds_load_b128 v[92:95], v1 offset:1056
	v_fma_f64 v[98:99], v[98:99], v[6:7], v[108:109]
	v_fma_f64 v[6:7], v[96:97], v[6:7], -v[8:9]
	s_wait_loadcnt_dscnt 0x201
	v_mul_f64_e32 v[106:107], v[2:3], v[13:14]
	v_mul_f64_e32 v[13:14], v[4:5], v[13:14]
	v_add_f64_e32 v[8:9], v[100:101], v[104:105]
	v_add_f64_e32 v[96:97], v[102:103], v[110:111]
	s_wait_loadcnt_dscnt 0x100
	v_mul_f64_e32 v[100:101], v[92:93], v[17:18]
	v_mul_f64_e32 v[17:18], v[94:95], v[17:18]
	v_fma_f64 v[102:103], v[4:5], v[11:12], v[106:107]
	v_fma_f64 v[11:12], v[2:3], v[11:12], -v[13:14]
	ds_load_b128 v[2:5], v1 offset:1072
	v_add_f64_e32 v[6:7], v[8:9], v[6:7]
	v_add_f64_e32 v[8:9], v[96:97], v[98:99]
	v_fma_f64 v[94:95], v[94:95], v[15:16], v[100:101]
	v_fma_f64 v[15:16], v[92:93], v[15:16], -v[17:18]
	s_wait_loadcnt_dscnt 0x0
	v_mul_f64_e32 v[13:14], v[2:3], v[21:22]
	v_mul_f64_e32 v[21:22], v[4:5], v[21:22]
	v_add_f64_e32 v[6:7], v[6:7], v[11:12]
	v_add_f64_e32 v[8:9], v[8:9], v[102:103]
	s_delay_alu instid0(VALU_DEP_4) | instskip(NEXT) | instid1(VALU_DEP_4)
	v_fma_f64 v[4:5], v[4:5], v[19:20], v[13:14]
	v_fma_f64 v[2:3], v[2:3], v[19:20], -v[21:22]
	s_delay_alu instid0(VALU_DEP_4) | instskip(NEXT) | instid1(VALU_DEP_4)
	v_add_f64_e32 v[6:7], v[6:7], v[15:16]
	v_add_f64_e32 v[8:9], v[8:9], v[94:95]
	s_delay_alu instid0(VALU_DEP_2) | instskip(NEXT) | instid1(VALU_DEP_2)
	v_add_f64_e32 v[2:3], v[6:7], v[2:3]
	v_add_f64_e32 v[4:5], v[8:9], v[4:5]
	s_delay_alu instid0(VALU_DEP_2) | instskip(NEXT) | instid1(VALU_DEP_2)
	v_add_f64_e64 v[2:3], v[112:113], -v[2:3]
	v_add_f64_e64 v[4:5], v[114:115], -v[4:5]
	scratch_store_b128 off, v[2:5], off offset:304
	v_cmpx_lt_u32_e32 17, v0
	s_cbranch_execz .LBB33_183
; %bb.182:
	scratch_load_b128 v[5:8], off, s5
	v_dual_mov_b32 v2, v1 :: v_dual_mov_b32 v3, v1
	v_mov_b32_e32 v4, v1
	scratch_store_b128 off, v[1:4], off offset:288
	s_wait_loadcnt 0x0
	ds_store_b128 v10, v[5:8]
.LBB33_183:
	s_wait_alu 0xfffe
	s_or_b32 exec_lo, exec_lo, s0
	s_wait_storecnt_dscnt 0x0
	s_barrier_signal -1
	s_barrier_wait -1
	global_inv scope:SCOPE_SE
	s_clause 0x8
	scratch_load_b128 v[2:5], off, off offset:304
	scratch_load_b128 v[6:9], off, off offset:320
	;; [unrolled: 1-line block ×9, first 2 shown]
	ds_load_b128 v[108:111], v1 offset:832
	ds_load_b128 v[112:115], v1 offset:848
	s_clause 0x1
	scratch_load_b128 v[116:119], off, off offset:288
	scratch_load_b128 v[120:123], off, off offset:448
	s_mov_b32 s0, exec_lo
	s_wait_loadcnt_dscnt 0xa01
	v_mul_f64_e32 v[124:125], v[110:111], v[4:5]
	v_mul_f64_e32 v[4:5], v[108:109], v[4:5]
	s_wait_loadcnt_dscnt 0x900
	v_mul_f64_e32 v[128:129], v[112:113], v[8:9]
	v_mul_f64_e32 v[8:9], v[114:115], v[8:9]
	s_delay_alu instid0(VALU_DEP_4) | instskip(NEXT) | instid1(VALU_DEP_4)
	v_fma_f64 v[130:131], v[108:109], v[2:3], -v[124:125]
	v_fma_f64 v[132:133], v[110:111], v[2:3], v[4:5]
	ds_load_b128 v[2:5], v1 offset:864
	ds_load_b128 v[124:127], v1 offset:880
	scratch_load_b128 v[108:111], off, off offset:464
	v_fma_f64 v[114:115], v[114:115], v[6:7], v[128:129]
	v_fma_f64 v[112:113], v[112:113], v[6:7], -v[8:9]
	scratch_load_b128 v[6:9], off, off offset:480
	s_wait_loadcnt_dscnt 0xa01
	v_mul_f64_e32 v[134:135], v[2:3], v[13:14]
	v_mul_f64_e32 v[13:14], v[4:5], v[13:14]
	v_add_f64_e32 v[128:129], 0, v[130:131]
	v_add_f64_e32 v[130:131], 0, v[132:133]
	s_wait_loadcnt_dscnt 0x900
	v_mul_f64_e32 v[132:133], v[124:125], v[17:18]
	v_mul_f64_e32 v[17:18], v[126:127], v[17:18]
	v_fma_f64 v[134:135], v[4:5], v[11:12], v[134:135]
	v_fma_f64 v[136:137], v[2:3], v[11:12], -v[13:14]
	ds_load_b128 v[2:5], v1 offset:896
	scratch_load_b128 v[11:14], off, off offset:496
	v_add_f64_e32 v[128:129], v[128:129], v[112:113]
	v_add_f64_e32 v[130:131], v[130:131], v[114:115]
	ds_load_b128 v[112:115], v1 offset:912
	v_fma_f64 v[126:127], v[126:127], v[15:16], v[132:133]
	v_fma_f64 v[124:125], v[124:125], v[15:16], -v[17:18]
	scratch_load_b128 v[15:18], off, off offset:512
	s_wait_loadcnt_dscnt 0xa01
	v_mul_f64_e32 v[138:139], v[2:3], v[21:22]
	v_mul_f64_e32 v[21:22], v[4:5], v[21:22]
	s_wait_loadcnt_dscnt 0x900
	v_mul_f64_e32 v[132:133], v[112:113], v[94:95]
	v_mul_f64_e32 v[94:95], v[114:115], v[94:95]
	v_add_f64_e32 v[128:129], v[128:129], v[136:137]
	v_add_f64_e32 v[130:131], v[130:131], v[134:135]
	v_fma_f64 v[134:135], v[4:5], v[19:20], v[138:139]
	v_fma_f64 v[136:137], v[2:3], v[19:20], -v[21:22]
	ds_load_b128 v[2:5], v1 offset:928
	scratch_load_b128 v[19:22], off, off offset:528
	v_fma_f64 v[114:115], v[114:115], v[92:93], v[132:133]
	v_fma_f64 v[112:113], v[112:113], v[92:93], -v[94:95]
	scratch_load_b128 v[92:95], off, off offset:544
	v_add_f64_e32 v[128:129], v[128:129], v[124:125]
	v_add_f64_e32 v[130:131], v[130:131], v[126:127]
	ds_load_b128 v[124:127], v1 offset:944
	s_wait_loadcnt_dscnt 0xa01
	v_mul_f64_e32 v[138:139], v[2:3], v[98:99]
	v_mul_f64_e32 v[98:99], v[4:5], v[98:99]
	s_wait_loadcnt_dscnt 0x900
	v_mul_f64_e32 v[132:133], v[124:125], v[102:103]
	v_mul_f64_e32 v[102:103], v[126:127], v[102:103]
	v_add_f64_e32 v[128:129], v[128:129], v[136:137]
	v_add_f64_e32 v[130:131], v[130:131], v[134:135]
	v_fma_f64 v[134:135], v[4:5], v[96:97], v[138:139]
	v_fma_f64 v[136:137], v[2:3], v[96:97], -v[98:99]
	ds_load_b128 v[2:5], v1 offset:960
	ds_load_b128 v[96:99], v1 offset:976
	v_fma_f64 v[126:127], v[126:127], v[100:101], v[132:133]
	v_fma_f64 v[100:101], v[124:125], v[100:101], -v[102:103]
	v_add_f64_e32 v[112:113], v[128:129], v[112:113]
	v_add_f64_e32 v[114:115], v[130:131], v[114:115]
	s_wait_loadcnt_dscnt 0x801
	v_mul_f64_e32 v[128:129], v[2:3], v[106:107]
	v_mul_f64_e32 v[106:107], v[4:5], v[106:107]
	s_delay_alu instid0(VALU_DEP_4) | instskip(NEXT) | instid1(VALU_DEP_4)
	v_add_f64_e32 v[102:103], v[112:113], v[136:137]
	v_add_f64_e32 v[112:113], v[114:115], v[134:135]
	s_wait_loadcnt_dscnt 0x600
	v_mul_f64_e32 v[114:115], v[96:97], v[122:123]
	v_mul_f64_e32 v[122:123], v[98:99], v[122:123]
	v_fma_f64 v[124:125], v[4:5], v[104:105], v[128:129]
	v_fma_f64 v[104:105], v[2:3], v[104:105], -v[106:107]
	v_add_f64_e32 v[106:107], v[102:103], v[100:101]
	v_add_f64_e32 v[112:113], v[112:113], v[126:127]
	ds_load_b128 v[2:5], v1 offset:992
	ds_load_b128 v[100:103], v1 offset:1008
	v_fma_f64 v[98:99], v[98:99], v[120:121], v[114:115]
	v_fma_f64 v[96:97], v[96:97], v[120:121], -v[122:123]
	s_wait_loadcnt_dscnt 0x501
	v_mul_f64_e32 v[126:127], v[2:3], v[110:111]
	v_mul_f64_e32 v[110:111], v[4:5], v[110:111]
	v_add_f64_e32 v[104:105], v[106:107], v[104:105]
	v_add_f64_e32 v[106:107], v[112:113], v[124:125]
	s_wait_loadcnt_dscnt 0x400
	v_mul_f64_e32 v[112:113], v[100:101], v[8:9]
	v_mul_f64_e32 v[8:9], v[102:103], v[8:9]
	v_fma_f64 v[114:115], v[4:5], v[108:109], v[126:127]
	v_fma_f64 v[108:109], v[2:3], v[108:109], -v[110:111]
	v_add_f64_e32 v[104:105], v[104:105], v[96:97]
	v_add_f64_e32 v[106:107], v[106:107], v[98:99]
	ds_load_b128 v[2:5], v1 offset:1024
	ds_load_b128 v[96:99], v1 offset:1040
	v_fma_f64 v[102:103], v[102:103], v[6:7], v[112:113]
	v_fma_f64 v[6:7], v[100:101], v[6:7], -v[8:9]
	s_wait_loadcnt_dscnt 0x301
	v_mul_f64_e32 v[110:111], v[2:3], v[13:14]
	v_mul_f64_e32 v[13:14], v[4:5], v[13:14]
	;; [unrolled: 16-line block ×3, first 2 shown]
	s_wait_loadcnt_dscnt 0x0
	v_mul_f64_e32 v[17:18], v[6:7], v[94:95]
	v_mul_f64_e32 v[94:95], v[8:9], v[94:95]
	v_add_f64_e32 v[11:12], v[13:14], v[11:12]
	v_add_f64_e32 v[13:14], v[100:101], v[106:107]
	v_fma_f64 v[4:5], v[4:5], v[19:20], v[102:103]
	v_fma_f64 v[1:2], v[2:3], v[19:20], -v[21:22]
	v_fma_f64 v[8:9], v[8:9], v[92:93], v[17:18]
	v_fma_f64 v[6:7], v[6:7], v[92:93], -v[94:95]
	v_add_f64_e32 v[11:12], v[11:12], v[15:16]
	v_add_f64_e32 v[13:14], v[13:14], v[98:99]
	s_delay_alu instid0(VALU_DEP_2) | instskip(NEXT) | instid1(VALU_DEP_2)
	v_add_f64_e32 v[1:2], v[11:12], v[1:2]
	v_add_f64_e32 v[3:4], v[13:14], v[4:5]
	s_delay_alu instid0(VALU_DEP_2) | instskip(NEXT) | instid1(VALU_DEP_2)
	;; [unrolled: 3-line block ×3, first 2 shown]
	v_add_f64_e64 v[1:2], v[116:117], -v[1:2]
	v_add_f64_e64 v[3:4], v[118:119], -v[3:4]
	scratch_store_b128 off, v[1:4], off offset:288
	v_cmpx_lt_u32_e32 16, v0
	s_cbranch_execz .LBB33_185
; %bb.184:
	scratch_load_b128 v[1:4], off, s29
	v_mov_b32_e32 v5, 0
	s_delay_alu instid0(VALU_DEP_1)
	v_dual_mov_b32 v6, v5 :: v_dual_mov_b32 v7, v5
	v_mov_b32_e32 v8, v5
	scratch_store_b128 off, v[5:8], off offset:272
	s_wait_loadcnt 0x0
	ds_store_b128 v10, v[1:4]
.LBB33_185:
	s_wait_alu 0xfffe
	s_or_b32 exec_lo, exec_lo, s0
	s_wait_storecnt_dscnt 0x0
	s_barrier_signal -1
	s_barrier_wait -1
	global_inv scope:SCOPE_SE
	s_clause 0x7
	scratch_load_b128 v[2:5], off, off offset:288
	scratch_load_b128 v[6:9], off, off offset:304
	;; [unrolled: 1-line block ×8, first 2 shown]
	v_mov_b32_e32 v1, 0
	s_mov_b32 s0, exec_lo
	ds_load_b128 v[104:107], v1 offset:816
	s_clause 0x1
	scratch_load_b128 v[108:111], off, off offset:416
	scratch_load_b128 v[112:115], off, off offset:272
	ds_load_b128 v[116:119], v1 offset:832
	scratch_load_b128 v[120:123], off, off offset:432
	s_wait_loadcnt_dscnt 0xa01
	v_mul_f64_e32 v[124:125], v[106:107], v[4:5]
	v_mul_f64_e32 v[4:5], v[104:105], v[4:5]
	s_delay_alu instid0(VALU_DEP_2) | instskip(NEXT) | instid1(VALU_DEP_2)
	v_fma_f64 v[130:131], v[104:105], v[2:3], -v[124:125]
	v_fma_f64 v[132:133], v[106:107], v[2:3], v[4:5]
	ds_load_b128 v[2:5], v1 offset:848
	s_wait_loadcnt_dscnt 0x901
	v_mul_f64_e32 v[128:129], v[116:117], v[8:9]
	v_mul_f64_e32 v[8:9], v[118:119], v[8:9]
	scratch_load_b128 v[104:107], off, off offset:448
	ds_load_b128 v[124:127], v1 offset:864
	s_wait_loadcnt_dscnt 0x901
	v_mul_f64_e32 v[134:135], v[2:3], v[13:14]
	v_mul_f64_e32 v[13:14], v[4:5], v[13:14]
	v_fma_f64 v[118:119], v[118:119], v[6:7], v[128:129]
	v_fma_f64 v[116:117], v[116:117], v[6:7], -v[8:9]
	v_add_f64_e32 v[128:129], 0, v[130:131]
	v_add_f64_e32 v[130:131], 0, v[132:133]
	scratch_load_b128 v[6:9], off, off offset:464
	v_fma_f64 v[134:135], v[4:5], v[11:12], v[134:135]
	v_fma_f64 v[136:137], v[2:3], v[11:12], -v[13:14]
	ds_load_b128 v[2:5], v1 offset:880
	s_wait_loadcnt_dscnt 0x901
	v_mul_f64_e32 v[132:133], v[124:125], v[17:18]
	v_mul_f64_e32 v[17:18], v[126:127], v[17:18]
	scratch_load_b128 v[11:14], off, off offset:480
	v_add_f64_e32 v[128:129], v[128:129], v[116:117]
	v_add_f64_e32 v[130:131], v[130:131], v[118:119]
	s_wait_loadcnt_dscnt 0x900
	v_mul_f64_e32 v[138:139], v[2:3], v[21:22]
	v_mul_f64_e32 v[21:22], v[4:5], v[21:22]
	ds_load_b128 v[116:119], v1 offset:896
	v_fma_f64 v[126:127], v[126:127], v[15:16], v[132:133]
	v_fma_f64 v[124:125], v[124:125], v[15:16], -v[17:18]
	scratch_load_b128 v[15:18], off, off offset:496
	v_add_f64_e32 v[128:129], v[128:129], v[136:137]
	v_add_f64_e32 v[130:131], v[130:131], v[134:135]
	v_fma_f64 v[134:135], v[4:5], v[19:20], v[138:139]
	v_fma_f64 v[136:137], v[2:3], v[19:20], -v[21:22]
	ds_load_b128 v[2:5], v1 offset:912
	s_wait_loadcnt_dscnt 0x901
	v_mul_f64_e32 v[132:133], v[116:117], v[94:95]
	v_mul_f64_e32 v[94:95], v[118:119], v[94:95]
	scratch_load_b128 v[19:22], off, off offset:512
	s_wait_loadcnt_dscnt 0x900
	v_mul_f64_e32 v[138:139], v[2:3], v[98:99]
	v_mul_f64_e32 v[98:99], v[4:5], v[98:99]
	v_add_f64_e32 v[128:129], v[128:129], v[124:125]
	v_add_f64_e32 v[130:131], v[130:131], v[126:127]
	ds_load_b128 v[124:127], v1 offset:928
	v_fma_f64 v[118:119], v[118:119], v[92:93], v[132:133]
	v_fma_f64 v[116:117], v[116:117], v[92:93], -v[94:95]
	scratch_load_b128 v[92:95], off, off offset:528
	v_add_f64_e32 v[128:129], v[128:129], v[136:137]
	v_add_f64_e32 v[130:131], v[130:131], v[134:135]
	v_fma_f64 v[134:135], v[4:5], v[96:97], v[138:139]
	v_fma_f64 v[136:137], v[2:3], v[96:97], -v[98:99]
	ds_load_b128 v[2:5], v1 offset:944
	s_wait_loadcnt_dscnt 0x901
	v_mul_f64_e32 v[132:133], v[124:125], v[102:103]
	v_mul_f64_e32 v[102:103], v[126:127], v[102:103]
	scratch_load_b128 v[96:99], off, off offset:544
	s_wait_loadcnt_dscnt 0x900
	v_mul_f64_e32 v[138:139], v[2:3], v[110:111]
	v_mul_f64_e32 v[110:111], v[4:5], v[110:111]
	v_add_f64_e32 v[128:129], v[128:129], v[116:117]
	v_add_f64_e32 v[130:131], v[130:131], v[118:119]
	ds_load_b128 v[116:119], v1 offset:960
	v_fma_f64 v[126:127], v[126:127], v[100:101], v[132:133]
	v_fma_f64 v[100:101], v[124:125], v[100:101], -v[102:103]
	v_add_f64_e32 v[102:103], v[128:129], v[136:137]
	v_add_f64_e32 v[124:125], v[130:131], v[134:135]
	s_wait_loadcnt_dscnt 0x700
	v_mul_f64_e32 v[128:129], v[116:117], v[122:123]
	v_mul_f64_e32 v[122:123], v[118:119], v[122:123]
	v_fma_f64 v[130:131], v[4:5], v[108:109], v[138:139]
	v_fma_f64 v[108:109], v[2:3], v[108:109], -v[110:111]
	v_add_f64_e32 v[110:111], v[102:103], v[100:101]
	v_add_f64_e32 v[124:125], v[124:125], v[126:127]
	ds_load_b128 v[2:5], v1 offset:976
	ds_load_b128 v[100:103], v1 offset:992
	v_fma_f64 v[118:119], v[118:119], v[120:121], v[128:129]
	v_fma_f64 v[116:117], v[116:117], v[120:121], -v[122:123]
	s_wait_loadcnt_dscnt 0x601
	v_mul_f64_e32 v[126:127], v[2:3], v[106:107]
	v_mul_f64_e32 v[106:107], v[4:5], v[106:107]
	v_add_f64_e32 v[108:109], v[110:111], v[108:109]
	v_add_f64_e32 v[110:111], v[124:125], v[130:131]
	s_wait_loadcnt_dscnt 0x500
	v_mul_f64_e32 v[120:121], v[100:101], v[8:9]
	v_mul_f64_e32 v[8:9], v[102:103], v[8:9]
	v_fma_f64 v[122:123], v[4:5], v[104:105], v[126:127]
	v_fma_f64 v[124:125], v[2:3], v[104:105], -v[106:107]
	ds_load_b128 v[2:5], v1 offset:1008
	ds_load_b128 v[104:107], v1 offset:1024
	v_add_f64_e32 v[108:109], v[108:109], v[116:117]
	v_add_f64_e32 v[110:111], v[110:111], v[118:119]
	s_wait_loadcnt_dscnt 0x401
	v_mul_f64_e32 v[116:117], v[2:3], v[13:14]
	v_mul_f64_e32 v[13:14], v[4:5], v[13:14]
	v_fma_f64 v[102:103], v[102:103], v[6:7], v[120:121]
	v_fma_f64 v[6:7], v[100:101], v[6:7], -v[8:9]
	v_add_f64_e32 v[8:9], v[108:109], v[124:125]
	v_add_f64_e32 v[100:101], v[110:111], v[122:123]
	s_wait_loadcnt_dscnt 0x300
	v_mul_f64_e32 v[108:109], v[104:105], v[17:18]
	v_mul_f64_e32 v[17:18], v[106:107], v[17:18]
	v_fma_f64 v[110:111], v[4:5], v[11:12], v[116:117]
	v_fma_f64 v[11:12], v[2:3], v[11:12], -v[13:14]
	v_add_f64_e32 v[13:14], v[8:9], v[6:7]
	v_add_f64_e32 v[100:101], v[100:101], v[102:103]
	ds_load_b128 v[2:5], v1 offset:1040
	ds_load_b128 v[6:9], v1 offset:1056
	v_fma_f64 v[106:107], v[106:107], v[15:16], v[108:109]
	v_fma_f64 v[15:16], v[104:105], v[15:16], -v[17:18]
	s_wait_loadcnt_dscnt 0x201
	v_mul_f64_e32 v[102:103], v[2:3], v[21:22]
	v_mul_f64_e32 v[21:22], v[4:5], v[21:22]
	s_wait_loadcnt_dscnt 0x100
	v_mul_f64_e32 v[17:18], v[6:7], v[94:95]
	v_mul_f64_e32 v[94:95], v[8:9], v[94:95]
	v_add_f64_e32 v[11:12], v[13:14], v[11:12]
	v_add_f64_e32 v[13:14], v[100:101], v[110:111]
	v_fma_f64 v[100:101], v[4:5], v[19:20], v[102:103]
	v_fma_f64 v[19:20], v[2:3], v[19:20], -v[21:22]
	ds_load_b128 v[2:5], v1 offset:1072
	v_fma_f64 v[8:9], v[8:9], v[92:93], v[17:18]
	v_fma_f64 v[6:7], v[6:7], v[92:93], -v[94:95]
	v_add_f64_e32 v[11:12], v[11:12], v[15:16]
	v_add_f64_e32 v[13:14], v[13:14], v[106:107]
	s_wait_loadcnt_dscnt 0x0
	v_mul_f64_e32 v[15:16], v[2:3], v[98:99]
	v_mul_f64_e32 v[21:22], v[4:5], v[98:99]
	s_delay_alu instid0(VALU_DEP_4) | instskip(NEXT) | instid1(VALU_DEP_4)
	v_add_f64_e32 v[11:12], v[11:12], v[19:20]
	v_add_f64_e32 v[13:14], v[13:14], v[100:101]
	s_delay_alu instid0(VALU_DEP_4) | instskip(NEXT) | instid1(VALU_DEP_4)
	v_fma_f64 v[4:5], v[4:5], v[96:97], v[15:16]
	v_fma_f64 v[2:3], v[2:3], v[96:97], -v[21:22]
	s_delay_alu instid0(VALU_DEP_4) | instskip(NEXT) | instid1(VALU_DEP_4)
	v_add_f64_e32 v[6:7], v[11:12], v[6:7]
	v_add_f64_e32 v[8:9], v[13:14], v[8:9]
	s_delay_alu instid0(VALU_DEP_2) | instskip(NEXT) | instid1(VALU_DEP_2)
	v_add_f64_e32 v[2:3], v[6:7], v[2:3]
	v_add_f64_e32 v[4:5], v[8:9], v[4:5]
	s_delay_alu instid0(VALU_DEP_2) | instskip(NEXT) | instid1(VALU_DEP_2)
	v_add_f64_e64 v[2:3], v[112:113], -v[2:3]
	v_add_f64_e64 v[4:5], v[114:115], -v[4:5]
	scratch_store_b128 off, v[2:5], off offset:272
	v_cmpx_lt_u32_e32 15, v0
	s_cbranch_execz .LBB33_187
; %bb.186:
	scratch_load_b128 v[5:8], off, s30
	v_dual_mov_b32 v2, v1 :: v_dual_mov_b32 v3, v1
	v_mov_b32_e32 v4, v1
	scratch_store_b128 off, v[1:4], off offset:256
	s_wait_loadcnt 0x0
	ds_store_b128 v10, v[5:8]
.LBB33_187:
	s_wait_alu 0xfffe
	s_or_b32 exec_lo, exec_lo, s0
	s_wait_storecnt_dscnt 0x0
	s_barrier_signal -1
	s_barrier_wait -1
	global_inv scope:SCOPE_SE
	s_clause 0x8
	scratch_load_b128 v[2:5], off, off offset:272
	scratch_load_b128 v[6:9], off, off offset:288
	;; [unrolled: 1-line block ×9, first 2 shown]
	ds_load_b128 v[108:111], v1 offset:800
	ds_load_b128 v[112:115], v1 offset:816
	s_clause 0x1
	scratch_load_b128 v[116:119], off, off offset:256
	scratch_load_b128 v[120:123], off, off offset:416
	s_mov_b32 s0, exec_lo
	s_wait_loadcnt_dscnt 0xa01
	v_mul_f64_e32 v[124:125], v[110:111], v[4:5]
	v_mul_f64_e32 v[4:5], v[108:109], v[4:5]
	s_wait_loadcnt_dscnt 0x900
	v_mul_f64_e32 v[128:129], v[112:113], v[8:9]
	v_mul_f64_e32 v[8:9], v[114:115], v[8:9]
	s_delay_alu instid0(VALU_DEP_4) | instskip(NEXT) | instid1(VALU_DEP_4)
	v_fma_f64 v[130:131], v[108:109], v[2:3], -v[124:125]
	v_fma_f64 v[132:133], v[110:111], v[2:3], v[4:5]
	ds_load_b128 v[2:5], v1 offset:832
	ds_load_b128 v[124:127], v1 offset:848
	scratch_load_b128 v[108:111], off, off offset:432
	v_fma_f64 v[114:115], v[114:115], v[6:7], v[128:129]
	v_fma_f64 v[112:113], v[112:113], v[6:7], -v[8:9]
	scratch_load_b128 v[6:9], off, off offset:448
	s_wait_loadcnt_dscnt 0xa01
	v_mul_f64_e32 v[134:135], v[2:3], v[13:14]
	v_mul_f64_e32 v[13:14], v[4:5], v[13:14]
	v_add_f64_e32 v[128:129], 0, v[130:131]
	v_add_f64_e32 v[130:131], 0, v[132:133]
	s_wait_loadcnt_dscnt 0x900
	v_mul_f64_e32 v[132:133], v[124:125], v[17:18]
	v_mul_f64_e32 v[17:18], v[126:127], v[17:18]
	v_fma_f64 v[134:135], v[4:5], v[11:12], v[134:135]
	v_fma_f64 v[136:137], v[2:3], v[11:12], -v[13:14]
	ds_load_b128 v[2:5], v1 offset:864
	scratch_load_b128 v[11:14], off, off offset:464
	v_add_f64_e32 v[128:129], v[128:129], v[112:113]
	v_add_f64_e32 v[130:131], v[130:131], v[114:115]
	ds_load_b128 v[112:115], v1 offset:880
	v_fma_f64 v[126:127], v[126:127], v[15:16], v[132:133]
	v_fma_f64 v[124:125], v[124:125], v[15:16], -v[17:18]
	scratch_load_b128 v[15:18], off, off offset:480
	s_wait_loadcnt_dscnt 0xa01
	v_mul_f64_e32 v[138:139], v[2:3], v[21:22]
	v_mul_f64_e32 v[21:22], v[4:5], v[21:22]
	s_wait_loadcnt_dscnt 0x900
	v_mul_f64_e32 v[132:133], v[112:113], v[94:95]
	v_mul_f64_e32 v[94:95], v[114:115], v[94:95]
	v_add_f64_e32 v[128:129], v[128:129], v[136:137]
	v_add_f64_e32 v[130:131], v[130:131], v[134:135]
	v_fma_f64 v[134:135], v[4:5], v[19:20], v[138:139]
	v_fma_f64 v[136:137], v[2:3], v[19:20], -v[21:22]
	ds_load_b128 v[2:5], v1 offset:896
	scratch_load_b128 v[19:22], off, off offset:496
	v_fma_f64 v[114:115], v[114:115], v[92:93], v[132:133]
	v_fma_f64 v[112:113], v[112:113], v[92:93], -v[94:95]
	scratch_load_b128 v[92:95], off, off offset:512
	v_add_f64_e32 v[128:129], v[128:129], v[124:125]
	v_add_f64_e32 v[130:131], v[130:131], v[126:127]
	ds_load_b128 v[124:127], v1 offset:912
	s_wait_loadcnt_dscnt 0xa01
	v_mul_f64_e32 v[138:139], v[2:3], v[98:99]
	v_mul_f64_e32 v[98:99], v[4:5], v[98:99]
	s_wait_loadcnt_dscnt 0x900
	v_mul_f64_e32 v[132:133], v[124:125], v[102:103]
	v_mul_f64_e32 v[102:103], v[126:127], v[102:103]
	v_add_f64_e32 v[128:129], v[128:129], v[136:137]
	v_add_f64_e32 v[130:131], v[130:131], v[134:135]
	v_fma_f64 v[134:135], v[4:5], v[96:97], v[138:139]
	v_fma_f64 v[136:137], v[2:3], v[96:97], -v[98:99]
	ds_load_b128 v[2:5], v1 offset:928
	scratch_load_b128 v[96:99], off, off offset:528
	v_fma_f64 v[126:127], v[126:127], v[100:101], v[132:133]
	v_fma_f64 v[124:125], v[124:125], v[100:101], -v[102:103]
	scratch_load_b128 v[100:103], off, off offset:544
	v_add_f64_e32 v[128:129], v[128:129], v[112:113]
	v_add_f64_e32 v[130:131], v[130:131], v[114:115]
	ds_load_b128 v[112:115], v1 offset:944
	s_wait_loadcnt_dscnt 0xa01
	v_mul_f64_e32 v[138:139], v[2:3], v[106:107]
	v_mul_f64_e32 v[106:107], v[4:5], v[106:107]
	s_wait_loadcnt_dscnt 0x800
	v_mul_f64_e32 v[132:133], v[112:113], v[122:123]
	v_mul_f64_e32 v[122:123], v[114:115], v[122:123]
	v_add_f64_e32 v[128:129], v[128:129], v[136:137]
	v_add_f64_e32 v[130:131], v[130:131], v[134:135]
	v_fma_f64 v[134:135], v[4:5], v[104:105], v[138:139]
	v_fma_f64 v[136:137], v[2:3], v[104:105], -v[106:107]
	ds_load_b128 v[2:5], v1 offset:960
	ds_load_b128 v[104:107], v1 offset:976
	v_fma_f64 v[114:115], v[114:115], v[120:121], v[132:133]
	v_fma_f64 v[112:113], v[112:113], v[120:121], -v[122:123]
	v_add_f64_e32 v[124:125], v[128:129], v[124:125]
	v_add_f64_e32 v[126:127], v[130:131], v[126:127]
	s_wait_loadcnt_dscnt 0x701
	v_mul_f64_e32 v[128:129], v[2:3], v[110:111]
	v_mul_f64_e32 v[110:111], v[4:5], v[110:111]
	s_delay_alu instid0(VALU_DEP_4) | instskip(NEXT) | instid1(VALU_DEP_4)
	v_add_f64_e32 v[120:121], v[124:125], v[136:137]
	v_add_f64_e32 v[122:123], v[126:127], v[134:135]
	s_wait_loadcnt_dscnt 0x600
	v_mul_f64_e32 v[124:125], v[104:105], v[8:9]
	v_mul_f64_e32 v[8:9], v[106:107], v[8:9]
	v_fma_f64 v[126:127], v[4:5], v[108:109], v[128:129]
	v_fma_f64 v[128:129], v[2:3], v[108:109], -v[110:111]
	ds_load_b128 v[2:5], v1 offset:992
	ds_load_b128 v[108:111], v1 offset:1008
	v_add_f64_e32 v[112:113], v[120:121], v[112:113]
	v_add_f64_e32 v[114:115], v[122:123], v[114:115]
	v_fma_f64 v[106:107], v[106:107], v[6:7], v[124:125]
	s_wait_loadcnt_dscnt 0x501
	v_mul_f64_e32 v[120:121], v[2:3], v[13:14]
	v_mul_f64_e32 v[13:14], v[4:5], v[13:14]
	v_fma_f64 v[6:7], v[104:105], v[6:7], -v[8:9]
	v_add_f64_e32 v[8:9], v[112:113], v[128:129]
	v_add_f64_e32 v[104:105], v[114:115], v[126:127]
	s_wait_loadcnt_dscnt 0x400
	v_mul_f64_e32 v[112:113], v[108:109], v[17:18]
	v_mul_f64_e32 v[17:18], v[110:111], v[17:18]
	v_fma_f64 v[114:115], v[4:5], v[11:12], v[120:121]
	v_fma_f64 v[11:12], v[2:3], v[11:12], -v[13:14]
	v_add_f64_e32 v[13:14], v[8:9], v[6:7]
	v_add_f64_e32 v[104:105], v[104:105], v[106:107]
	ds_load_b128 v[2:5], v1 offset:1024
	ds_load_b128 v[6:9], v1 offset:1040
	v_fma_f64 v[110:111], v[110:111], v[15:16], v[112:113]
	v_fma_f64 v[15:16], v[108:109], v[15:16], -v[17:18]
	s_wait_loadcnt_dscnt 0x301
	v_mul_f64_e32 v[106:107], v[2:3], v[21:22]
	v_mul_f64_e32 v[21:22], v[4:5], v[21:22]
	s_wait_loadcnt_dscnt 0x200
	v_mul_f64_e32 v[17:18], v[6:7], v[94:95]
	v_mul_f64_e32 v[94:95], v[8:9], v[94:95]
	v_add_f64_e32 v[11:12], v[13:14], v[11:12]
	v_add_f64_e32 v[13:14], v[104:105], v[114:115]
	v_fma_f64 v[104:105], v[4:5], v[19:20], v[106:107]
	v_fma_f64 v[19:20], v[2:3], v[19:20], -v[21:22]
	v_fma_f64 v[8:9], v[8:9], v[92:93], v[17:18]
	v_fma_f64 v[6:7], v[6:7], v[92:93], -v[94:95]
	v_add_f64_e32 v[15:16], v[11:12], v[15:16]
	v_add_f64_e32 v[21:22], v[13:14], v[110:111]
	ds_load_b128 v[2:5], v1 offset:1056
	ds_load_b128 v[11:14], v1 offset:1072
	s_wait_loadcnt_dscnt 0x101
	v_mul_f64_e32 v[106:107], v[2:3], v[98:99]
	v_mul_f64_e32 v[98:99], v[4:5], v[98:99]
	v_add_f64_e32 v[15:16], v[15:16], v[19:20]
	v_add_f64_e32 v[17:18], v[21:22], v[104:105]
	s_wait_loadcnt_dscnt 0x0
	v_mul_f64_e32 v[19:20], v[11:12], v[102:103]
	v_mul_f64_e32 v[21:22], v[13:14], v[102:103]
	v_fma_f64 v[4:5], v[4:5], v[96:97], v[106:107]
	v_fma_f64 v[1:2], v[2:3], v[96:97], -v[98:99]
	v_add_f64_e32 v[6:7], v[15:16], v[6:7]
	v_add_f64_e32 v[8:9], v[17:18], v[8:9]
	v_fma_f64 v[13:14], v[13:14], v[100:101], v[19:20]
	v_fma_f64 v[11:12], v[11:12], v[100:101], -v[21:22]
	s_delay_alu instid0(VALU_DEP_4) | instskip(NEXT) | instid1(VALU_DEP_4)
	v_add_f64_e32 v[1:2], v[6:7], v[1:2]
	v_add_f64_e32 v[3:4], v[8:9], v[4:5]
	s_delay_alu instid0(VALU_DEP_2) | instskip(NEXT) | instid1(VALU_DEP_2)
	v_add_f64_e32 v[1:2], v[1:2], v[11:12]
	v_add_f64_e32 v[3:4], v[3:4], v[13:14]
	s_delay_alu instid0(VALU_DEP_2) | instskip(NEXT) | instid1(VALU_DEP_2)
	v_add_f64_e64 v[1:2], v[116:117], -v[1:2]
	v_add_f64_e64 v[3:4], v[118:119], -v[3:4]
	scratch_store_b128 off, v[1:4], off offset:256
	v_cmpx_lt_u32_e32 14, v0
	s_cbranch_execz .LBB33_189
; %bb.188:
	scratch_load_b128 v[1:4], off, s31
	v_mov_b32_e32 v5, 0
	s_delay_alu instid0(VALU_DEP_1)
	v_dual_mov_b32 v6, v5 :: v_dual_mov_b32 v7, v5
	v_mov_b32_e32 v8, v5
	scratch_store_b128 off, v[5:8], off offset:240
	s_wait_loadcnt 0x0
	ds_store_b128 v10, v[1:4]
.LBB33_189:
	s_wait_alu 0xfffe
	s_or_b32 exec_lo, exec_lo, s0
	s_wait_storecnt_dscnt 0x0
	s_barrier_signal -1
	s_barrier_wait -1
	global_inv scope:SCOPE_SE
	s_clause 0x7
	scratch_load_b128 v[2:5], off, off offset:256
	scratch_load_b128 v[6:9], off, off offset:272
	;; [unrolled: 1-line block ×8, first 2 shown]
	v_mov_b32_e32 v1, 0
	s_mov_b32 s0, exec_lo
	ds_load_b128 v[104:107], v1 offset:784
	s_clause 0x1
	scratch_load_b128 v[108:111], off, off offset:384
	scratch_load_b128 v[112:115], off, off offset:240
	ds_load_b128 v[116:119], v1 offset:800
	scratch_load_b128 v[120:123], off, off offset:400
	s_wait_loadcnt_dscnt 0xa01
	v_mul_f64_e32 v[124:125], v[106:107], v[4:5]
	v_mul_f64_e32 v[4:5], v[104:105], v[4:5]
	s_delay_alu instid0(VALU_DEP_2) | instskip(NEXT) | instid1(VALU_DEP_2)
	v_fma_f64 v[130:131], v[104:105], v[2:3], -v[124:125]
	v_fma_f64 v[132:133], v[106:107], v[2:3], v[4:5]
	ds_load_b128 v[2:5], v1 offset:816
	s_wait_loadcnt_dscnt 0x901
	v_mul_f64_e32 v[128:129], v[116:117], v[8:9]
	v_mul_f64_e32 v[8:9], v[118:119], v[8:9]
	scratch_load_b128 v[104:107], off, off offset:416
	ds_load_b128 v[124:127], v1 offset:832
	s_wait_loadcnt_dscnt 0x901
	v_mul_f64_e32 v[134:135], v[2:3], v[13:14]
	v_mul_f64_e32 v[13:14], v[4:5], v[13:14]
	v_fma_f64 v[118:119], v[118:119], v[6:7], v[128:129]
	v_fma_f64 v[116:117], v[116:117], v[6:7], -v[8:9]
	v_add_f64_e32 v[128:129], 0, v[130:131]
	v_add_f64_e32 v[130:131], 0, v[132:133]
	scratch_load_b128 v[6:9], off, off offset:432
	v_fma_f64 v[134:135], v[4:5], v[11:12], v[134:135]
	v_fma_f64 v[136:137], v[2:3], v[11:12], -v[13:14]
	ds_load_b128 v[2:5], v1 offset:848
	s_wait_loadcnt_dscnt 0x901
	v_mul_f64_e32 v[132:133], v[124:125], v[17:18]
	v_mul_f64_e32 v[17:18], v[126:127], v[17:18]
	scratch_load_b128 v[11:14], off, off offset:448
	v_add_f64_e32 v[128:129], v[128:129], v[116:117]
	v_add_f64_e32 v[130:131], v[130:131], v[118:119]
	s_wait_loadcnt_dscnt 0x900
	v_mul_f64_e32 v[138:139], v[2:3], v[21:22]
	v_mul_f64_e32 v[21:22], v[4:5], v[21:22]
	ds_load_b128 v[116:119], v1 offset:864
	v_fma_f64 v[126:127], v[126:127], v[15:16], v[132:133]
	v_fma_f64 v[124:125], v[124:125], v[15:16], -v[17:18]
	scratch_load_b128 v[15:18], off, off offset:464
	v_add_f64_e32 v[128:129], v[128:129], v[136:137]
	v_add_f64_e32 v[130:131], v[130:131], v[134:135]
	v_fma_f64 v[134:135], v[4:5], v[19:20], v[138:139]
	v_fma_f64 v[136:137], v[2:3], v[19:20], -v[21:22]
	ds_load_b128 v[2:5], v1 offset:880
	s_wait_loadcnt_dscnt 0x901
	v_mul_f64_e32 v[132:133], v[116:117], v[94:95]
	v_mul_f64_e32 v[94:95], v[118:119], v[94:95]
	scratch_load_b128 v[19:22], off, off offset:480
	s_wait_loadcnt_dscnt 0x900
	v_mul_f64_e32 v[138:139], v[2:3], v[98:99]
	v_mul_f64_e32 v[98:99], v[4:5], v[98:99]
	v_add_f64_e32 v[128:129], v[128:129], v[124:125]
	v_add_f64_e32 v[130:131], v[130:131], v[126:127]
	ds_load_b128 v[124:127], v1 offset:896
	v_fma_f64 v[118:119], v[118:119], v[92:93], v[132:133]
	v_fma_f64 v[116:117], v[116:117], v[92:93], -v[94:95]
	scratch_load_b128 v[92:95], off, off offset:496
	v_add_f64_e32 v[128:129], v[128:129], v[136:137]
	v_add_f64_e32 v[130:131], v[130:131], v[134:135]
	v_fma_f64 v[134:135], v[4:5], v[96:97], v[138:139]
	v_fma_f64 v[136:137], v[2:3], v[96:97], -v[98:99]
	ds_load_b128 v[2:5], v1 offset:912
	s_wait_loadcnt_dscnt 0x901
	v_mul_f64_e32 v[132:133], v[124:125], v[102:103]
	v_mul_f64_e32 v[102:103], v[126:127], v[102:103]
	scratch_load_b128 v[96:99], off, off offset:512
	s_wait_loadcnt_dscnt 0x900
	v_mul_f64_e32 v[138:139], v[2:3], v[110:111]
	v_mul_f64_e32 v[110:111], v[4:5], v[110:111]
	v_add_f64_e32 v[128:129], v[128:129], v[116:117]
	v_add_f64_e32 v[130:131], v[130:131], v[118:119]
	ds_load_b128 v[116:119], v1 offset:928
	v_fma_f64 v[126:127], v[126:127], v[100:101], v[132:133]
	v_fma_f64 v[124:125], v[124:125], v[100:101], -v[102:103]
	scratch_load_b128 v[100:103], off, off offset:528
	v_add_f64_e32 v[128:129], v[128:129], v[136:137]
	v_add_f64_e32 v[130:131], v[130:131], v[134:135]
	v_fma_f64 v[136:137], v[4:5], v[108:109], v[138:139]
	v_fma_f64 v[138:139], v[2:3], v[108:109], -v[110:111]
	ds_load_b128 v[2:5], v1 offset:944
	s_wait_loadcnt_dscnt 0x801
	v_mul_f64_e32 v[132:133], v[116:117], v[122:123]
	v_mul_f64_e32 v[134:135], v[118:119], v[122:123]
	scratch_load_b128 v[108:111], off, off offset:544
	v_add_f64_e32 v[128:129], v[128:129], v[124:125]
	v_add_f64_e32 v[126:127], v[130:131], v[126:127]
	ds_load_b128 v[122:125], v1 offset:960
	v_fma_f64 v[118:119], v[118:119], v[120:121], v[132:133]
	v_fma_f64 v[116:117], v[116:117], v[120:121], -v[134:135]
	s_wait_loadcnt_dscnt 0x801
	v_mul_f64_e32 v[130:131], v[2:3], v[106:107]
	v_mul_f64_e32 v[106:107], v[4:5], v[106:107]
	v_add_f64_e32 v[120:121], v[128:129], v[138:139]
	v_add_f64_e32 v[126:127], v[126:127], v[136:137]
	s_delay_alu instid0(VALU_DEP_4) | instskip(NEXT) | instid1(VALU_DEP_4)
	v_fma_f64 v[130:131], v[4:5], v[104:105], v[130:131]
	v_fma_f64 v[132:133], v[2:3], v[104:105], -v[106:107]
	s_wait_loadcnt_dscnt 0x700
	v_mul_f64_e32 v[128:129], v[122:123], v[8:9]
	v_mul_f64_e32 v[8:9], v[124:125], v[8:9]
	ds_load_b128 v[2:5], v1 offset:976
	ds_load_b128 v[104:107], v1 offset:992
	v_add_f64_e32 v[116:117], v[120:121], v[116:117]
	v_add_f64_e32 v[118:119], v[126:127], v[118:119]
	s_wait_loadcnt_dscnt 0x601
	v_mul_f64_e32 v[120:121], v[2:3], v[13:14]
	v_mul_f64_e32 v[13:14], v[4:5], v[13:14]
	v_fma_f64 v[124:125], v[124:125], v[6:7], v[128:129]
	v_fma_f64 v[6:7], v[122:123], v[6:7], -v[8:9]
	v_add_f64_e32 v[8:9], v[116:117], v[132:133]
	v_add_f64_e32 v[116:117], v[118:119], v[130:131]
	s_wait_loadcnt_dscnt 0x500
	v_mul_f64_e32 v[118:119], v[104:105], v[17:18]
	v_mul_f64_e32 v[17:18], v[106:107], v[17:18]
	v_fma_f64 v[120:121], v[4:5], v[11:12], v[120:121]
	v_fma_f64 v[11:12], v[2:3], v[11:12], -v[13:14]
	v_add_f64_e32 v[13:14], v[8:9], v[6:7]
	v_add_f64_e32 v[116:117], v[116:117], v[124:125]
	ds_load_b128 v[2:5], v1 offset:1008
	ds_load_b128 v[6:9], v1 offset:1024
	v_fma_f64 v[106:107], v[106:107], v[15:16], v[118:119]
	v_fma_f64 v[15:16], v[104:105], v[15:16], -v[17:18]
	s_wait_loadcnt_dscnt 0x401
	v_mul_f64_e32 v[122:123], v[2:3], v[21:22]
	v_mul_f64_e32 v[21:22], v[4:5], v[21:22]
	s_wait_loadcnt_dscnt 0x300
	v_mul_f64_e32 v[17:18], v[6:7], v[94:95]
	v_mul_f64_e32 v[94:95], v[8:9], v[94:95]
	v_add_f64_e32 v[11:12], v[13:14], v[11:12]
	v_add_f64_e32 v[13:14], v[116:117], v[120:121]
	v_fma_f64 v[104:105], v[4:5], v[19:20], v[122:123]
	v_fma_f64 v[19:20], v[2:3], v[19:20], -v[21:22]
	v_fma_f64 v[8:9], v[8:9], v[92:93], v[17:18]
	v_fma_f64 v[6:7], v[6:7], v[92:93], -v[94:95]
	v_add_f64_e32 v[15:16], v[11:12], v[15:16]
	v_add_f64_e32 v[21:22], v[13:14], v[106:107]
	ds_load_b128 v[2:5], v1 offset:1040
	ds_load_b128 v[11:14], v1 offset:1056
	s_wait_loadcnt_dscnt 0x201
	v_mul_f64_e32 v[106:107], v[2:3], v[98:99]
	v_mul_f64_e32 v[98:99], v[4:5], v[98:99]
	v_add_f64_e32 v[15:16], v[15:16], v[19:20]
	v_add_f64_e32 v[17:18], v[21:22], v[104:105]
	s_wait_loadcnt_dscnt 0x100
	v_mul_f64_e32 v[19:20], v[11:12], v[102:103]
	v_mul_f64_e32 v[21:22], v[13:14], v[102:103]
	v_fma_f64 v[92:93], v[4:5], v[96:97], v[106:107]
	v_fma_f64 v[94:95], v[2:3], v[96:97], -v[98:99]
	ds_load_b128 v[2:5], v1 offset:1072
	v_add_f64_e32 v[6:7], v[15:16], v[6:7]
	v_add_f64_e32 v[8:9], v[17:18], v[8:9]
	v_fma_f64 v[13:14], v[13:14], v[100:101], v[19:20]
	v_fma_f64 v[11:12], v[11:12], v[100:101], -v[21:22]
	s_wait_loadcnt_dscnt 0x0
	v_mul_f64_e32 v[15:16], v[2:3], v[110:111]
	v_mul_f64_e32 v[17:18], v[4:5], v[110:111]
	v_add_f64_e32 v[6:7], v[6:7], v[94:95]
	v_add_f64_e32 v[8:9], v[8:9], v[92:93]
	s_delay_alu instid0(VALU_DEP_4) | instskip(NEXT) | instid1(VALU_DEP_4)
	v_fma_f64 v[4:5], v[4:5], v[108:109], v[15:16]
	v_fma_f64 v[2:3], v[2:3], v[108:109], -v[17:18]
	s_delay_alu instid0(VALU_DEP_4) | instskip(NEXT) | instid1(VALU_DEP_4)
	v_add_f64_e32 v[6:7], v[6:7], v[11:12]
	v_add_f64_e32 v[8:9], v[8:9], v[13:14]
	s_delay_alu instid0(VALU_DEP_2) | instskip(NEXT) | instid1(VALU_DEP_2)
	v_add_f64_e32 v[2:3], v[6:7], v[2:3]
	v_add_f64_e32 v[4:5], v[8:9], v[4:5]
	s_delay_alu instid0(VALU_DEP_2) | instskip(NEXT) | instid1(VALU_DEP_2)
	v_add_f64_e64 v[2:3], v[112:113], -v[2:3]
	v_add_f64_e64 v[4:5], v[114:115], -v[4:5]
	scratch_store_b128 off, v[2:5], off offset:240
	v_cmpx_lt_u32_e32 13, v0
	s_cbranch_execz .LBB33_191
; %bb.190:
	scratch_load_b128 v[5:8], off, s33
	v_dual_mov_b32 v2, v1 :: v_dual_mov_b32 v3, v1
	v_mov_b32_e32 v4, v1
	scratch_store_b128 off, v[1:4], off offset:224
	s_wait_loadcnt 0x0
	ds_store_b128 v10, v[5:8]
.LBB33_191:
	s_wait_alu 0xfffe
	s_or_b32 exec_lo, exec_lo, s0
	s_wait_storecnt_dscnt 0x0
	s_barrier_signal -1
	s_barrier_wait -1
	global_inv scope:SCOPE_SE
	s_clause 0x8
	scratch_load_b128 v[2:5], off, off offset:240
	scratch_load_b128 v[6:9], off, off offset:256
	;; [unrolled: 1-line block ×9, first 2 shown]
	ds_load_b128 v[108:111], v1 offset:768
	ds_load_b128 v[112:115], v1 offset:784
	s_clause 0x1
	scratch_load_b128 v[116:119], off, off offset:224
	scratch_load_b128 v[120:123], off, off offset:384
	s_mov_b32 s0, exec_lo
	s_wait_loadcnt_dscnt 0xa01
	v_mul_f64_e32 v[124:125], v[110:111], v[4:5]
	v_mul_f64_e32 v[4:5], v[108:109], v[4:5]
	s_wait_loadcnt_dscnt 0x900
	v_mul_f64_e32 v[128:129], v[112:113], v[8:9]
	v_mul_f64_e32 v[8:9], v[114:115], v[8:9]
	s_delay_alu instid0(VALU_DEP_4) | instskip(NEXT) | instid1(VALU_DEP_4)
	v_fma_f64 v[130:131], v[108:109], v[2:3], -v[124:125]
	v_fma_f64 v[132:133], v[110:111], v[2:3], v[4:5]
	ds_load_b128 v[2:5], v1 offset:800
	ds_load_b128 v[124:127], v1 offset:816
	scratch_load_b128 v[108:111], off, off offset:400
	v_fma_f64 v[114:115], v[114:115], v[6:7], v[128:129]
	v_fma_f64 v[112:113], v[112:113], v[6:7], -v[8:9]
	scratch_load_b128 v[6:9], off, off offset:416
	s_wait_loadcnt_dscnt 0xa01
	v_mul_f64_e32 v[134:135], v[2:3], v[13:14]
	v_mul_f64_e32 v[13:14], v[4:5], v[13:14]
	v_add_f64_e32 v[128:129], 0, v[130:131]
	v_add_f64_e32 v[130:131], 0, v[132:133]
	s_wait_loadcnt_dscnt 0x900
	v_mul_f64_e32 v[132:133], v[124:125], v[17:18]
	v_mul_f64_e32 v[17:18], v[126:127], v[17:18]
	v_fma_f64 v[134:135], v[4:5], v[11:12], v[134:135]
	v_fma_f64 v[136:137], v[2:3], v[11:12], -v[13:14]
	ds_load_b128 v[2:5], v1 offset:832
	scratch_load_b128 v[11:14], off, off offset:432
	v_add_f64_e32 v[128:129], v[128:129], v[112:113]
	v_add_f64_e32 v[130:131], v[130:131], v[114:115]
	ds_load_b128 v[112:115], v1 offset:848
	v_fma_f64 v[126:127], v[126:127], v[15:16], v[132:133]
	v_fma_f64 v[124:125], v[124:125], v[15:16], -v[17:18]
	scratch_load_b128 v[15:18], off, off offset:448
	s_wait_loadcnt_dscnt 0xa01
	v_mul_f64_e32 v[138:139], v[2:3], v[21:22]
	v_mul_f64_e32 v[21:22], v[4:5], v[21:22]
	s_wait_loadcnt_dscnt 0x900
	v_mul_f64_e32 v[132:133], v[112:113], v[94:95]
	v_mul_f64_e32 v[94:95], v[114:115], v[94:95]
	v_add_f64_e32 v[128:129], v[128:129], v[136:137]
	v_add_f64_e32 v[130:131], v[130:131], v[134:135]
	v_fma_f64 v[134:135], v[4:5], v[19:20], v[138:139]
	v_fma_f64 v[136:137], v[2:3], v[19:20], -v[21:22]
	ds_load_b128 v[2:5], v1 offset:864
	scratch_load_b128 v[19:22], off, off offset:464
	v_fma_f64 v[114:115], v[114:115], v[92:93], v[132:133]
	v_fma_f64 v[112:113], v[112:113], v[92:93], -v[94:95]
	scratch_load_b128 v[92:95], off, off offset:480
	v_add_f64_e32 v[128:129], v[128:129], v[124:125]
	v_add_f64_e32 v[130:131], v[130:131], v[126:127]
	ds_load_b128 v[124:127], v1 offset:880
	s_wait_loadcnt_dscnt 0xa01
	v_mul_f64_e32 v[138:139], v[2:3], v[98:99]
	v_mul_f64_e32 v[98:99], v[4:5], v[98:99]
	s_wait_loadcnt_dscnt 0x900
	v_mul_f64_e32 v[132:133], v[124:125], v[102:103]
	v_mul_f64_e32 v[102:103], v[126:127], v[102:103]
	v_add_f64_e32 v[128:129], v[128:129], v[136:137]
	v_add_f64_e32 v[130:131], v[130:131], v[134:135]
	v_fma_f64 v[134:135], v[4:5], v[96:97], v[138:139]
	v_fma_f64 v[136:137], v[2:3], v[96:97], -v[98:99]
	ds_load_b128 v[2:5], v1 offset:896
	scratch_load_b128 v[96:99], off, off offset:496
	v_fma_f64 v[126:127], v[126:127], v[100:101], v[132:133]
	v_fma_f64 v[124:125], v[124:125], v[100:101], -v[102:103]
	scratch_load_b128 v[100:103], off, off offset:512
	v_add_f64_e32 v[128:129], v[128:129], v[112:113]
	v_add_f64_e32 v[130:131], v[130:131], v[114:115]
	ds_load_b128 v[112:115], v1 offset:912
	s_wait_loadcnt_dscnt 0xa01
	v_mul_f64_e32 v[138:139], v[2:3], v[106:107]
	v_mul_f64_e32 v[106:107], v[4:5], v[106:107]
	s_wait_loadcnt_dscnt 0x800
	v_mul_f64_e32 v[132:133], v[112:113], v[122:123]
	v_add_f64_e32 v[128:129], v[128:129], v[136:137]
	v_add_f64_e32 v[130:131], v[130:131], v[134:135]
	v_mul_f64_e32 v[134:135], v[114:115], v[122:123]
	v_fma_f64 v[136:137], v[4:5], v[104:105], v[138:139]
	v_fma_f64 v[138:139], v[2:3], v[104:105], -v[106:107]
	ds_load_b128 v[2:5], v1 offset:928
	scratch_load_b128 v[104:107], off, off offset:528
	v_fma_f64 v[114:115], v[114:115], v[120:121], v[132:133]
	v_add_f64_e32 v[128:129], v[128:129], v[124:125]
	v_add_f64_e32 v[126:127], v[130:131], v[126:127]
	ds_load_b128 v[122:125], v1 offset:944
	v_fma_f64 v[120:121], v[112:113], v[120:121], -v[134:135]
	s_wait_loadcnt_dscnt 0x801
	v_mul_f64_e32 v[130:131], v[2:3], v[110:111]
	v_mul_f64_e32 v[140:141], v[4:5], v[110:111]
	scratch_load_b128 v[110:113], off, off offset:544
	s_wait_loadcnt_dscnt 0x800
	v_mul_f64_e32 v[132:133], v[122:123], v[8:9]
	v_mul_f64_e32 v[8:9], v[124:125], v[8:9]
	v_add_f64_e32 v[128:129], v[128:129], v[138:139]
	v_add_f64_e32 v[126:127], v[126:127], v[136:137]
	v_fma_f64 v[130:131], v[4:5], v[108:109], v[130:131]
	v_fma_f64 v[108:109], v[2:3], v[108:109], -v[140:141]
	v_fma_f64 v[124:125], v[124:125], v[6:7], v[132:133]
	v_fma_f64 v[6:7], v[122:123], v[6:7], -v[8:9]
	v_add_f64_e32 v[120:121], v[128:129], v[120:121]
	v_add_f64_e32 v[114:115], v[126:127], v[114:115]
	ds_load_b128 v[2:5], v1 offset:960
	ds_load_b128 v[126:129], v1 offset:976
	s_wait_loadcnt_dscnt 0x701
	v_mul_f64_e32 v[134:135], v[2:3], v[13:14]
	v_mul_f64_e32 v[13:14], v[4:5], v[13:14]
	v_add_f64_e32 v[8:9], v[120:121], v[108:109]
	v_add_f64_e32 v[108:109], v[114:115], v[130:131]
	s_wait_loadcnt_dscnt 0x600
	v_mul_f64_e32 v[114:115], v[126:127], v[17:18]
	v_mul_f64_e32 v[17:18], v[128:129], v[17:18]
	v_fma_f64 v[120:121], v[4:5], v[11:12], v[134:135]
	v_fma_f64 v[11:12], v[2:3], v[11:12], -v[13:14]
	v_add_f64_e32 v[13:14], v[8:9], v[6:7]
	v_add_f64_e32 v[108:109], v[108:109], v[124:125]
	ds_load_b128 v[2:5], v1 offset:992
	ds_load_b128 v[6:9], v1 offset:1008
	v_fma_f64 v[114:115], v[128:129], v[15:16], v[114:115]
	v_fma_f64 v[15:16], v[126:127], v[15:16], -v[17:18]
	s_wait_loadcnt_dscnt 0x501
	v_mul_f64_e32 v[122:123], v[2:3], v[21:22]
	v_mul_f64_e32 v[21:22], v[4:5], v[21:22]
	s_wait_loadcnt_dscnt 0x400
	v_mul_f64_e32 v[17:18], v[6:7], v[94:95]
	v_mul_f64_e32 v[94:95], v[8:9], v[94:95]
	v_add_f64_e32 v[11:12], v[13:14], v[11:12]
	v_add_f64_e32 v[13:14], v[108:109], v[120:121]
	v_fma_f64 v[108:109], v[4:5], v[19:20], v[122:123]
	v_fma_f64 v[19:20], v[2:3], v[19:20], -v[21:22]
	v_fma_f64 v[8:9], v[8:9], v[92:93], v[17:18]
	v_fma_f64 v[6:7], v[6:7], v[92:93], -v[94:95]
	v_add_f64_e32 v[15:16], v[11:12], v[15:16]
	v_add_f64_e32 v[21:22], v[13:14], v[114:115]
	ds_load_b128 v[2:5], v1 offset:1024
	ds_load_b128 v[11:14], v1 offset:1040
	s_wait_loadcnt_dscnt 0x301
	v_mul_f64_e32 v[114:115], v[2:3], v[98:99]
	v_mul_f64_e32 v[98:99], v[4:5], v[98:99]
	v_add_f64_e32 v[15:16], v[15:16], v[19:20]
	v_add_f64_e32 v[17:18], v[21:22], v[108:109]
	s_wait_loadcnt_dscnt 0x200
	v_mul_f64_e32 v[19:20], v[11:12], v[102:103]
	v_mul_f64_e32 v[21:22], v[13:14], v[102:103]
	v_fma_f64 v[92:93], v[4:5], v[96:97], v[114:115]
	v_fma_f64 v[94:95], v[2:3], v[96:97], -v[98:99]
	v_add_f64_e32 v[15:16], v[15:16], v[6:7]
	v_add_f64_e32 v[17:18], v[17:18], v[8:9]
	ds_load_b128 v[2:5], v1 offset:1056
	ds_load_b128 v[6:9], v1 offset:1072
	v_fma_f64 v[13:14], v[13:14], v[100:101], v[19:20]
	v_fma_f64 v[11:12], v[11:12], v[100:101], -v[21:22]
	s_wait_loadcnt_dscnt 0x101
	v_mul_f64_e32 v[96:97], v[2:3], v[106:107]
	v_mul_f64_e32 v[98:99], v[4:5], v[106:107]
	s_wait_loadcnt_dscnt 0x0
	v_mul_f64_e32 v[19:20], v[6:7], v[112:113]
	v_add_f64_e32 v[15:16], v[15:16], v[94:95]
	v_add_f64_e32 v[17:18], v[17:18], v[92:93]
	v_mul_f64_e32 v[21:22], v[8:9], v[112:113]
	v_fma_f64 v[4:5], v[4:5], v[104:105], v[96:97]
	v_fma_f64 v[1:2], v[2:3], v[104:105], -v[98:99]
	v_fma_f64 v[8:9], v[8:9], v[110:111], v[19:20]
	v_add_f64_e32 v[11:12], v[15:16], v[11:12]
	v_add_f64_e32 v[13:14], v[17:18], v[13:14]
	v_fma_f64 v[6:7], v[6:7], v[110:111], -v[21:22]
	s_delay_alu instid0(VALU_DEP_3) | instskip(NEXT) | instid1(VALU_DEP_3)
	v_add_f64_e32 v[1:2], v[11:12], v[1:2]
	v_add_f64_e32 v[3:4], v[13:14], v[4:5]
	s_delay_alu instid0(VALU_DEP_2) | instskip(NEXT) | instid1(VALU_DEP_2)
	v_add_f64_e32 v[1:2], v[1:2], v[6:7]
	v_add_f64_e32 v[3:4], v[3:4], v[8:9]
	s_delay_alu instid0(VALU_DEP_2) | instskip(NEXT) | instid1(VALU_DEP_2)
	v_add_f64_e64 v[1:2], v[116:117], -v[1:2]
	v_add_f64_e64 v[3:4], v[118:119], -v[3:4]
	scratch_store_b128 off, v[1:4], off offset:224
	v_cmpx_lt_u32_e32 12, v0
	s_cbranch_execz .LBB33_193
; %bb.192:
	scratch_load_b128 v[1:4], off, s34
	v_mov_b32_e32 v5, 0
	s_delay_alu instid0(VALU_DEP_1)
	v_dual_mov_b32 v6, v5 :: v_dual_mov_b32 v7, v5
	v_mov_b32_e32 v8, v5
	scratch_store_b128 off, v[5:8], off offset:208
	s_wait_loadcnt 0x0
	ds_store_b128 v10, v[1:4]
.LBB33_193:
	s_wait_alu 0xfffe
	s_or_b32 exec_lo, exec_lo, s0
	s_wait_storecnt_dscnt 0x0
	s_barrier_signal -1
	s_barrier_wait -1
	global_inv scope:SCOPE_SE
	s_clause 0x7
	scratch_load_b128 v[2:5], off, off offset:224
	scratch_load_b128 v[6:9], off, off offset:240
	scratch_load_b128 v[11:14], off, off offset:256
	scratch_load_b128 v[15:18], off, off offset:272
	scratch_load_b128 v[19:22], off, off offset:288
	scratch_load_b128 v[92:95], off, off offset:304
	scratch_load_b128 v[96:99], off, off offset:320
	scratch_load_b128 v[100:103], off, off offset:336
	v_mov_b32_e32 v1, 0
	s_mov_b32 s0, exec_lo
	ds_load_b128 v[104:107], v1 offset:752
	s_clause 0x1
	scratch_load_b128 v[108:111], off, off offset:352
	scratch_load_b128 v[112:115], off, off offset:208
	ds_load_b128 v[116:119], v1 offset:768
	scratch_load_b128 v[120:123], off, off offset:368
	s_wait_loadcnt_dscnt 0xa01
	v_mul_f64_e32 v[124:125], v[106:107], v[4:5]
	v_mul_f64_e32 v[4:5], v[104:105], v[4:5]
	s_delay_alu instid0(VALU_DEP_2) | instskip(NEXT) | instid1(VALU_DEP_2)
	v_fma_f64 v[130:131], v[104:105], v[2:3], -v[124:125]
	v_fma_f64 v[132:133], v[106:107], v[2:3], v[4:5]
	ds_load_b128 v[2:5], v1 offset:784
	s_wait_loadcnt_dscnt 0x901
	v_mul_f64_e32 v[128:129], v[116:117], v[8:9]
	v_mul_f64_e32 v[8:9], v[118:119], v[8:9]
	scratch_load_b128 v[104:107], off, off offset:384
	ds_load_b128 v[124:127], v1 offset:800
	s_wait_loadcnt_dscnt 0x901
	v_mul_f64_e32 v[134:135], v[2:3], v[13:14]
	v_mul_f64_e32 v[13:14], v[4:5], v[13:14]
	v_fma_f64 v[118:119], v[118:119], v[6:7], v[128:129]
	v_fma_f64 v[116:117], v[116:117], v[6:7], -v[8:9]
	v_add_f64_e32 v[128:129], 0, v[130:131]
	v_add_f64_e32 v[130:131], 0, v[132:133]
	scratch_load_b128 v[6:9], off, off offset:400
	v_fma_f64 v[134:135], v[4:5], v[11:12], v[134:135]
	v_fma_f64 v[136:137], v[2:3], v[11:12], -v[13:14]
	ds_load_b128 v[2:5], v1 offset:816
	s_wait_loadcnt_dscnt 0x901
	v_mul_f64_e32 v[132:133], v[124:125], v[17:18]
	v_mul_f64_e32 v[17:18], v[126:127], v[17:18]
	scratch_load_b128 v[11:14], off, off offset:416
	v_add_f64_e32 v[128:129], v[128:129], v[116:117]
	v_add_f64_e32 v[130:131], v[130:131], v[118:119]
	s_wait_loadcnt_dscnt 0x900
	v_mul_f64_e32 v[138:139], v[2:3], v[21:22]
	v_mul_f64_e32 v[21:22], v[4:5], v[21:22]
	ds_load_b128 v[116:119], v1 offset:832
	v_fma_f64 v[126:127], v[126:127], v[15:16], v[132:133]
	v_fma_f64 v[124:125], v[124:125], v[15:16], -v[17:18]
	scratch_load_b128 v[15:18], off, off offset:432
	v_add_f64_e32 v[128:129], v[128:129], v[136:137]
	v_add_f64_e32 v[130:131], v[130:131], v[134:135]
	v_fma_f64 v[134:135], v[4:5], v[19:20], v[138:139]
	v_fma_f64 v[136:137], v[2:3], v[19:20], -v[21:22]
	ds_load_b128 v[2:5], v1 offset:848
	s_wait_loadcnt_dscnt 0x901
	v_mul_f64_e32 v[132:133], v[116:117], v[94:95]
	v_mul_f64_e32 v[94:95], v[118:119], v[94:95]
	scratch_load_b128 v[19:22], off, off offset:448
	s_wait_loadcnt_dscnt 0x900
	v_mul_f64_e32 v[138:139], v[2:3], v[98:99]
	v_mul_f64_e32 v[98:99], v[4:5], v[98:99]
	v_add_f64_e32 v[128:129], v[128:129], v[124:125]
	v_add_f64_e32 v[130:131], v[130:131], v[126:127]
	ds_load_b128 v[124:127], v1 offset:864
	v_fma_f64 v[118:119], v[118:119], v[92:93], v[132:133]
	v_fma_f64 v[116:117], v[116:117], v[92:93], -v[94:95]
	scratch_load_b128 v[92:95], off, off offset:464
	v_add_f64_e32 v[128:129], v[128:129], v[136:137]
	v_add_f64_e32 v[130:131], v[130:131], v[134:135]
	v_fma_f64 v[134:135], v[4:5], v[96:97], v[138:139]
	v_fma_f64 v[136:137], v[2:3], v[96:97], -v[98:99]
	ds_load_b128 v[2:5], v1 offset:880
	s_wait_loadcnt_dscnt 0x901
	v_mul_f64_e32 v[132:133], v[124:125], v[102:103]
	v_mul_f64_e32 v[102:103], v[126:127], v[102:103]
	scratch_load_b128 v[96:99], off, off offset:480
	s_wait_loadcnt_dscnt 0x900
	v_mul_f64_e32 v[138:139], v[2:3], v[110:111]
	v_mul_f64_e32 v[110:111], v[4:5], v[110:111]
	v_add_f64_e32 v[128:129], v[128:129], v[116:117]
	v_add_f64_e32 v[130:131], v[130:131], v[118:119]
	ds_load_b128 v[116:119], v1 offset:896
	v_fma_f64 v[126:127], v[126:127], v[100:101], v[132:133]
	v_fma_f64 v[124:125], v[124:125], v[100:101], -v[102:103]
	scratch_load_b128 v[100:103], off, off offset:496
	v_add_f64_e32 v[128:129], v[128:129], v[136:137]
	v_add_f64_e32 v[130:131], v[130:131], v[134:135]
	v_fma_f64 v[136:137], v[4:5], v[108:109], v[138:139]
	v_fma_f64 v[138:139], v[2:3], v[108:109], -v[110:111]
	ds_load_b128 v[2:5], v1 offset:912
	s_wait_loadcnt_dscnt 0x801
	v_mul_f64_e32 v[132:133], v[116:117], v[122:123]
	v_mul_f64_e32 v[134:135], v[118:119], v[122:123]
	scratch_load_b128 v[108:111], off, off offset:512
	v_add_f64_e32 v[128:129], v[128:129], v[124:125]
	v_add_f64_e32 v[126:127], v[130:131], v[126:127]
	ds_load_b128 v[122:125], v1 offset:928
	v_fma_f64 v[132:133], v[118:119], v[120:121], v[132:133]
	v_fma_f64 v[120:121], v[116:117], v[120:121], -v[134:135]
	scratch_load_b128 v[116:119], off, off offset:528
	s_wait_loadcnt_dscnt 0x901
	v_mul_f64_e32 v[130:131], v[2:3], v[106:107]
	v_mul_f64_e32 v[106:107], v[4:5], v[106:107]
	v_add_f64_e32 v[128:129], v[128:129], v[138:139]
	v_add_f64_e32 v[126:127], v[126:127], v[136:137]
	s_delay_alu instid0(VALU_DEP_4) | instskip(NEXT) | instid1(VALU_DEP_4)
	v_fma_f64 v[130:131], v[4:5], v[104:105], v[130:131]
	v_fma_f64 v[136:137], v[2:3], v[104:105], -v[106:107]
	ds_load_b128 v[2:5], v1 offset:944
	s_wait_loadcnt_dscnt 0x801
	v_mul_f64_e32 v[134:135], v[122:123], v[8:9]
	v_mul_f64_e32 v[8:9], v[124:125], v[8:9]
	scratch_load_b128 v[104:107], off, off offset:544
	s_wait_loadcnt_dscnt 0x800
	v_mul_f64_e32 v[138:139], v[2:3], v[13:14]
	v_add_f64_e32 v[120:121], v[128:129], v[120:121]
	v_add_f64_e32 v[132:133], v[126:127], v[132:133]
	v_mul_f64_e32 v[13:14], v[4:5], v[13:14]
	ds_load_b128 v[126:129], v1 offset:960
	v_fma_f64 v[124:125], v[124:125], v[6:7], v[134:135]
	v_fma_f64 v[6:7], v[122:123], v[6:7], -v[8:9]
	s_wait_loadcnt_dscnt 0x700
	v_mul_f64_e32 v[122:123], v[126:127], v[17:18]
	v_add_f64_e32 v[8:9], v[120:121], v[136:137]
	v_add_f64_e32 v[120:121], v[132:133], v[130:131]
	v_mul_f64_e32 v[17:18], v[128:129], v[17:18]
	v_fma_f64 v[130:131], v[4:5], v[11:12], v[138:139]
	v_fma_f64 v[11:12], v[2:3], v[11:12], -v[13:14]
	v_fma_f64 v[122:123], v[128:129], v[15:16], v[122:123]
	v_add_f64_e32 v[13:14], v[8:9], v[6:7]
	v_add_f64_e32 v[120:121], v[120:121], v[124:125]
	ds_load_b128 v[2:5], v1 offset:976
	ds_load_b128 v[6:9], v1 offset:992
	v_fma_f64 v[15:16], v[126:127], v[15:16], -v[17:18]
	s_wait_loadcnt_dscnt 0x601
	v_mul_f64_e32 v[124:125], v[2:3], v[21:22]
	v_mul_f64_e32 v[21:22], v[4:5], v[21:22]
	s_wait_loadcnt_dscnt 0x500
	v_mul_f64_e32 v[17:18], v[6:7], v[94:95]
	v_mul_f64_e32 v[94:95], v[8:9], v[94:95]
	v_add_f64_e32 v[11:12], v[13:14], v[11:12]
	v_add_f64_e32 v[13:14], v[120:121], v[130:131]
	v_fma_f64 v[120:121], v[4:5], v[19:20], v[124:125]
	v_fma_f64 v[19:20], v[2:3], v[19:20], -v[21:22]
	v_fma_f64 v[8:9], v[8:9], v[92:93], v[17:18]
	v_fma_f64 v[6:7], v[6:7], v[92:93], -v[94:95]
	v_add_f64_e32 v[15:16], v[11:12], v[15:16]
	v_add_f64_e32 v[21:22], v[13:14], v[122:123]
	ds_load_b128 v[2:5], v1 offset:1008
	ds_load_b128 v[11:14], v1 offset:1024
	s_wait_loadcnt_dscnt 0x401
	v_mul_f64_e32 v[122:123], v[2:3], v[98:99]
	v_mul_f64_e32 v[98:99], v[4:5], v[98:99]
	v_add_f64_e32 v[15:16], v[15:16], v[19:20]
	v_add_f64_e32 v[17:18], v[21:22], v[120:121]
	s_wait_loadcnt_dscnt 0x300
	v_mul_f64_e32 v[19:20], v[11:12], v[102:103]
	v_mul_f64_e32 v[21:22], v[13:14], v[102:103]
	v_fma_f64 v[92:93], v[4:5], v[96:97], v[122:123]
	v_fma_f64 v[94:95], v[2:3], v[96:97], -v[98:99]
	v_add_f64_e32 v[15:16], v[15:16], v[6:7]
	v_add_f64_e32 v[17:18], v[17:18], v[8:9]
	ds_load_b128 v[2:5], v1 offset:1040
	ds_load_b128 v[6:9], v1 offset:1056
	v_fma_f64 v[13:14], v[13:14], v[100:101], v[19:20]
	v_fma_f64 v[11:12], v[11:12], v[100:101], -v[21:22]
	s_wait_loadcnt_dscnt 0x201
	v_mul_f64_e32 v[96:97], v[2:3], v[110:111]
	v_mul_f64_e32 v[98:99], v[4:5], v[110:111]
	s_wait_loadcnt_dscnt 0x100
	v_mul_f64_e32 v[19:20], v[6:7], v[118:119]
	v_mul_f64_e32 v[21:22], v[8:9], v[118:119]
	v_add_f64_e32 v[15:16], v[15:16], v[94:95]
	v_add_f64_e32 v[17:18], v[17:18], v[92:93]
	v_fma_f64 v[92:93], v[4:5], v[108:109], v[96:97]
	v_fma_f64 v[94:95], v[2:3], v[108:109], -v[98:99]
	ds_load_b128 v[2:5], v1 offset:1072
	v_fma_f64 v[8:9], v[8:9], v[116:117], v[19:20]
	v_fma_f64 v[6:7], v[6:7], v[116:117], -v[21:22]
	v_add_f64_e32 v[11:12], v[15:16], v[11:12]
	v_add_f64_e32 v[13:14], v[17:18], v[13:14]
	s_wait_loadcnt_dscnt 0x0
	v_mul_f64_e32 v[15:16], v[2:3], v[106:107]
	v_mul_f64_e32 v[17:18], v[4:5], v[106:107]
	s_delay_alu instid0(VALU_DEP_4) | instskip(NEXT) | instid1(VALU_DEP_4)
	v_add_f64_e32 v[11:12], v[11:12], v[94:95]
	v_add_f64_e32 v[13:14], v[13:14], v[92:93]
	s_delay_alu instid0(VALU_DEP_4) | instskip(NEXT) | instid1(VALU_DEP_4)
	v_fma_f64 v[4:5], v[4:5], v[104:105], v[15:16]
	v_fma_f64 v[2:3], v[2:3], v[104:105], -v[17:18]
	s_delay_alu instid0(VALU_DEP_4) | instskip(NEXT) | instid1(VALU_DEP_4)
	v_add_f64_e32 v[6:7], v[11:12], v[6:7]
	v_add_f64_e32 v[8:9], v[13:14], v[8:9]
	s_delay_alu instid0(VALU_DEP_2) | instskip(NEXT) | instid1(VALU_DEP_2)
	v_add_f64_e32 v[2:3], v[6:7], v[2:3]
	v_add_f64_e32 v[4:5], v[8:9], v[4:5]
	s_delay_alu instid0(VALU_DEP_2) | instskip(NEXT) | instid1(VALU_DEP_2)
	v_add_f64_e64 v[2:3], v[112:113], -v[2:3]
	v_add_f64_e64 v[4:5], v[114:115], -v[4:5]
	scratch_store_b128 off, v[2:5], off offset:208
	v_cmpx_lt_u32_e32 11, v0
	s_cbranch_execz .LBB33_195
; %bb.194:
	scratch_load_b128 v[5:8], off, s35
	v_dual_mov_b32 v2, v1 :: v_dual_mov_b32 v3, v1
	v_mov_b32_e32 v4, v1
	scratch_store_b128 off, v[1:4], off offset:192
	s_wait_loadcnt 0x0
	ds_store_b128 v10, v[5:8]
.LBB33_195:
	s_wait_alu 0xfffe
	s_or_b32 exec_lo, exec_lo, s0
	s_wait_storecnt_dscnt 0x0
	s_barrier_signal -1
	s_barrier_wait -1
	global_inv scope:SCOPE_SE
	s_clause 0x8
	scratch_load_b128 v[2:5], off, off offset:208
	scratch_load_b128 v[6:9], off, off offset:224
	;; [unrolled: 1-line block ×9, first 2 shown]
	ds_load_b128 v[108:111], v1 offset:736
	ds_load_b128 v[112:115], v1 offset:752
	s_clause 0x1
	scratch_load_b128 v[116:119], off, off offset:192
	scratch_load_b128 v[120:123], off, off offset:352
	s_mov_b32 s0, exec_lo
	s_wait_loadcnt_dscnt 0xa01
	v_mul_f64_e32 v[124:125], v[110:111], v[4:5]
	v_mul_f64_e32 v[4:5], v[108:109], v[4:5]
	s_wait_loadcnt_dscnt 0x900
	v_mul_f64_e32 v[128:129], v[112:113], v[8:9]
	v_mul_f64_e32 v[8:9], v[114:115], v[8:9]
	s_delay_alu instid0(VALU_DEP_4) | instskip(NEXT) | instid1(VALU_DEP_4)
	v_fma_f64 v[130:131], v[108:109], v[2:3], -v[124:125]
	v_fma_f64 v[132:133], v[110:111], v[2:3], v[4:5]
	ds_load_b128 v[2:5], v1 offset:768
	ds_load_b128 v[124:127], v1 offset:784
	scratch_load_b128 v[108:111], off, off offset:368
	v_fma_f64 v[114:115], v[114:115], v[6:7], v[128:129]
	v_fma_f64 v[112:113], v[112:113], v[6:7], -v[8:9]
	scratch_load_b128 v[6:9], off, off offset:384
	s_wait_loadcnt_dscnt 0xa01
	v_mul_f64_e32 v[134:135], v[2:3], v[13:14]
	v_mul_f64_e32 v[13:14], v[4:5], v[13:14]
	v_add_f64_e32 v[128:129], 0, v[130:131]
	v_add_f64_e32 v[130:131], 0, v[132:133]
	s_wait_loadcnt_dscnt 0x900
	v_mul_f64_e32 v[132:133], v[124:125], v[17:18]
	v_mul_f64_e32 v[17:18], v[126:127], v[17:18]
	v_fma_f64 v[134:135], v[4:5], v[11:12], v[134:135]
	v_fma_f64 v[136:137], v[2:3], v[11:12], -v[13:14]
	ds_load_b128 v[2:5], v1 offset:800
	scratch_load_b128 v[11:14], off, off offset:400
	v_add_f64_e32 v[128:129], v[128:129], v[112:113]
	v_add_f64_e32 v[130:131], v[130:131], v[114:115]
	ds_load_b128 v[112:115], v1 offset:816
	v_fma_f64 v[126:127], v[126:127], v[15:16], v[132:133]
	v_fma_f64 v[124:125], v[124:125], v[15:16], -v[17:18]
	scratch_load_b128 v[15:18], off, off offset:416
	s_wait_loadcnt_dscnt 0xa01
	v_mul_f64_e32 v[138:139], v[2:3], v[21:22]
	v_mul_f64_e32 v[21:22], v[4:5], v[21:22]
	s_wait_loadcnt_dscnt 0x900
	v_mul_f64_e32 v[132:133], v[112:113], v[94:95]
	v_mul_f64_e32 v[94:95], v[114:115], v[94:95]
	v_add_f64_e32 v[128:129], v[128:129], v[136:137]
	v_add_f64_e32 v[130:131], v[130:131], v[134:135]
	v_fma_f64 v[134:135], v[4:5], v[19:20], v[138:139]
	v_fma_f64 v[136:137], v[2:3], v[19:20], -v[21:22]
	ds_load_b128 v[2:5], v1 offset:832
	scratch_load_b128 v[19:22], off, off offset:432
	v_fma_f64 v[114:115], v[114:115], v[92:93], v[132:133]
	v_fma_f64 v[112:113], v[112:113], v[92:93], -v[94:95]
	scratch_load_b128 v[92:95], off, off offset:448
	v_add_f64_e32 v[128:129], v[128:129], v[124:125]
	v_add_f64_e32 v[130:131], v[130:131], v[126:127]
	ds_load_b128 v[124:127], v1 offset:848
	s_wait_loadcnt_dscnt 0xa01
	v_mul_f64_e32 v[138:139], v[2:3], v[98:99]
	v_mul_f64_e32 v[98:99], v[4:5], v[98:99]
	s_wait_loadcnt_dscnt 0x900
	v_mul_f64_e32 v[132:133], v[124:125], v[102:103]
	v_mul_f64_e32 v[102:103], v[126:127], v[102:103]
	v_add_f64_e32 v[128:129], v[128:129], v[136:137]
	v_add_f64_e32 v[130:131], v[130:131], v[134:135]
	v_fma_f64 v[134:135], v[4:5], v[96:97], v[138:139]
	v_fma_f64 v[136:137], v[2:3], v[96:97], -v[98:99]
	ds_load_b128 v[2:5], v1 offset:864
	scratch_load_b128 v[96:99], off, off offset:464
	v_fma_f64 v[126:127], v[126:127], v[100:101], v[132:133]
	v_fma_f64 v[124:125], v[124:125], v[100:101], -v[102:103]
	scratch_load_b128 v[100:103], off, off offset:480
	v_add_f64_e32 v[128:129], v[128:129], v[112:113]
	v_add_f64_e32 v[130:131], v[130:131], v[114:115]
	ds_load_b128 v[112:115], v1 offset:880
	s_wait_loadcnt_dscnt 0xa01
	v_mul_f64_e32 v[138:139], v[2:3], v[106:107]
	v_mul_f64_e32 v[106:107], v[4:5], v[106:107]
	s_wait_loadcnt_dscnt 0x800
	v_mul_f64_e32 v[132:133], v[112:113], v[122:123]
	v_add_f64_e32 v[128:129], v[128:129], v[136:137]
	v_add_f64_e32 v[130:131], v[130:131], v[134:135]
	v_mul_f64_e32 v[134:135], v[114:115], v[122:123]
	v_fma_f64 v[136:137], v[4:5], v[104:105], v[138:139]
	v_fma_f64 v[138:139], v[2:3], v[104:105], -v[106:107]
	ds_load_b128 v[2:5], v1 offset:896
	scratch_load_b128 v[104:107], off, off offset:496
	v_fma_f64 v[114:115], v[114:115], v[120:121], v[132:133]
	v_add_f64_e32 v[128:129], v[128:129], v[124:125]
	v_add_f64_e32 v[126:127], v[130:131], v[126:127]
	ds_load_b128 v[122:125], v1 offset:912
	v_fma_f64 v[120:121], v[112:113], v[120:121], -v[134:135]
	s_wait_loadcnt_dscnt 0x801
	v_mul_f64_e32 v[130:131], v[2:3], v[110:111]
	v_mul_f64_e32 v[140:141], v[4:5], v[110:111]
	scratch_load_b128 v[110:113], off, off offset:512
	s_wait_loadcnt_dscnt 0x800
	v_mul_f64_e32 v[134:135], v[122:123], v[8:9]
	v_mul_f64_e32 v[8:9], v[124:125], v[8:9]
	v_add_f64_e32 v[128:129], v[128:129], v[138:139]
	v_add_f64_e32 v[126:127], v[126:127], v[136:137]
	v_fma_f64 v[136:137], v[4:5], v[108:109], v[130:131]
	v_fma_f64 v[108:109], v[2:3], v[108:109], -v[140:141]
	ds_load_b128 v[2:5], v1 offset:928
	ds_load_b128 v[130:133], v1 offset:944
	v_fma_f64 v[124:125], v[124:125], v[6:7], v[134:135]
	v_fma_f64 v[122:123], v[122:123], v[6:7], -v[8:9]
	scratch_load_b128 v[6:9], off, off offset:544
	v_add_f64_e32 v[120:121], v[128:129], v[120:121]
	v_add_f64_e32 v[114:115], v[126:127], v[114:115]
	scratch_load_b128 v[126:129], off, off offset:528
	s_wait_loadcnt_dscnt 0x901
	v_mul_f64_e32 v[138:139], v[2:3], v[13:14]
	v_mul_f64_e32 v[13:14], v[4:5], v[13:14]
	v_add_f64_e32 v[108:109], v[120:121], v[108:109]
	v_add_f64_e32 v[114:115], v[114:115], v[136:137]
	s_wait_loadcnt_dscnt 0x800
	v_mul_f64_e32 v[120:121], v[130:131], v[17:18]
	v_mul_f64_e32 v[17:18], v[132:133], v[17:18]
	v_fma_f64 v[134:135], v[4:5], v[11:12], v[138:139]
	v_fma_f64 v[136:137], v[2:3], v[11:12], -v[13:14]
	ds_load_b128 v[2:5], v1 offset:960
	ds_load_b128 v[11:14], v1 offset:976
	v_add_f64_e32 v[108:109], v[108:109], v[122:123]
	v_add_f64_e32 v[114:115], v[114:115], v[124:125]
	s_wait_loadcnt_dscnt 0x701
	v_mul_f64_e32 v[122:123], v[2:3], v[21:22]
	v_mul_f64_e32 v[21:22], v[4:5], v[21:22]
	v_fma_f64 v[120:121], v[132:133], v[15:16], v[120:121]
	v_fma_f64 v[15:16], v[130:131], v[15:16], -v[17:18]
	v_add_f64_e32 v[17:18], v[108:109], v[136:137]
	v_add_f64_e32 v[108:109], v[114:115], v[134:135]
	s_wait_loadcnt_dscnt 0x600
	v_mul_f64_e32 v[114:115], v[11:12], v[94:95]
	v_mul_f64_e32 v[94:95], v[13:14], v[94:95]
	v_fma_f64 v[122:123], v[4:5], v[19:20], v[122:123]
	v_fma_f64 v[19:20], v[2:3], v[19:20], -v[21:22]
	v_add_f64_e32 v[21:22], v[17:18], v[15:16]
	v_add_f64_e32 v[108:109], v[108:109], v[120:121]
	ds_load_b128 v[2:5], v1 offset:992
	ds_load_b128 v[15:18], v1 offset:1008
	v_fma_f64 v[13:14], v[13:14], v[92:93], v[114:115]
	v_fma_f64 v[11:12], v[11:12], v[92:93], -v[94:95]
	s_wait_loadcnt_dscnt 0x501
	v_mul_f64_e32 v[120:121], v[2:3], v[98:99]
	v_mul_f64_e32 v[98:99], v[4:5], v[98:99]
	s_wait_loadcnt_dscnt 0x400
	v_mul_f64_e32 v[92:93], v[15:16], v[102:103]
	v_mul_f64_e32 v[94:95], v[17:18], v[102:103]
	v_add_f64_e32 v[19:20], v[21:22], v[19:20]
	v_add_f64_e32 v[21:22], v[108:109], v[122:123]
	v_fma_f64 v[102:103], v[4:5], v[96:97], v[120:121]
	v_fma_f64 v[96:97], v[2:3], v[96:97], -v[98:99]
	v_fma_f64 v[17:18], v[17:18], v[100:101], v[92:93]
	v_fma_f64 v[15:16], v[15:16], v[100:101], -v[94:95]
	v_add_f64_e32 v[19:20], v[19:20], v[11:12]
	v_add_f64_e32 v[21:22], v[21:22], v[13:14]
	ds_load_b128 v[2:5], v1 offset:1024
	ds_load_b128 v[11:14], v1 offset:1040
	s_wait_loadcnt_dscnt 0x301
	v_mul_f64_e32 v[98:99], v[2:3], v[106:107]
	v_mul_f64_e32 v[106:107], v[4:5], v[106:107]
	s_wait_loadcnt_dscnt 0x200
	v_mul_f64_e32 v[92:93], v[11:12], v[112:113]
	v_add_f64_e32 v[19:20], v[19:20], v[96:97]
	v_add_f64_e32 v[21:22], v[21:22], v[102:103]
	v_mul_f64_e32 v[94:95], v[13:14], v[112:113]
	v_fma_f64 v[96:97], v[4:5], v[104:105], v[98:99]
	v_fma_f64 v[98:99], v[2:3], v[104:105], -v[106:107]
	v_fma_f64 v[13:14], v[13:14], v[110:111], v[92:93]
	v_add_f64_e32 v[19:20], v[19:20], v[15:16]
	v_add_f64_e32 v[21:22], v[21:22], v[17:18]
	ds_load_b128 v[2:5], v1 offset:1056
	ds_load_b128 v[15:18], v1 offset:1072
	v_fma_f64 v[11:12], v[11:12], v[110:111], -v[94:95]
	s_wait_loadcnt_dscnt 0x1
	v_mul_f64_e32 v[100:101], v[2:3], v[128:129]
	v_mul_f64_e32 v[102:103], v[4:5], v[128:129]
	s_wait_dscnt 0x0
	v_mul_f64_e32 v[92:93], v[15:16], v[8:9]
	v_mul_f64_e32 v[8:9], v[17:18], v[8:9]
	v_add_f64_e32 v[19:20], v[19:20], v[98:99]
	v_add_f64_e32 v[21:22], v[21:22], v[96:97]
	v_fma_f64 v[4:5], v[4:5], v[126:127], v[100:101]
	v_fma_f64 v[1:2], v[2:3], v[126:127], -v[102:103]
	v_fma_f64 v[17:18], v[17:18], v[6:7], v[92:93]
	v_fma_f64 v[6:7], v[15:16], v[6:7], -v[8:9]
	v_add_f64_e32 v[11:12], v[19:20], v[11:12]
	v_add_f64_e32 v[13:14], v[21:22], v[13:14]
	s_delay_alu instid0(VALU_DEP_2) | instskip(NEXT) | instid1(VALU_DEP_2)
	v_add_f64_e32 v[1:2], v[11:12], v[1:2]
	v_add_f64_e32 v[3:4], v[13:14], v[4:5]
	s_delay_alu instid0(VALU_DEP_2) | instskip(NEXT) | instid1(VALU_DEP_2)
	;; [unrolled: 3-line block ×3, first 2 shown]
	v_add_f64_e64 v[1:2], v[116:117], -v[1:2]
	v_add_f64_e64 v[3:4], v[118:119], -v[3:4]
	scratch_store_b128 off, v[1:4], off offset:192
	v_cmpx_lt_u32_e32 10, v0
	s_cbranch_execz .LBB33_197
; %bb.196:
	scratch_load_b128 v[1:4], off, s36
	v_mov_b32_e32 v5, 0
	s_delay_alu instid0(VALU_DEP_1)
	v_dual_mov_b32 v6, v5 :: v_dual_mov_b32 v7, v5
	v_mov_b32_e32 v8, v5
	scratch_store_b128 off, v[5:8], off offset:176
	s_wait_loadcnt 0x0
	ds_store_b128 v10, v[1:4]
.LBB33_197:
	s_wait_alu 0xfffe
	s_or_b32 exec_lo, exec_lo, s0
	s_wait_storecnt_dscnt 0x0
	s_barrier_signal -1
	s_barrier_wait -1
	global_inv scope:SCOPE_SE
	s_clause 0x7
	scratch_load_b128 v[2:5], off, off offset:192
	scratch_load_b128 v[6:9], off, off offset:208
	;; [unrolled: 1-line block ×8, first 2 shown]
	v_mov_b32_e32 v1, 0
	s_mov_b32 s0, exec_lo
	ds_load_b128 v[104:107], v1 offset:720
	s_clause 0x1
	scratch_load_b128 v[108:111], off, off offset:320
	scratch_load_b128 v[112:115], off, off offset:176
	ds_load_b128 v[116:119], v1 offset:736
	scratch_load_b128 v[120:123], off, off offset:336
	s_wait_loadcnt_dscnt 0xa01
	v_mul_f64_e32 v[124:125], v[106:107], v[4:5]
	v_mul_f64_e32 v[4:5], v[104:105], v[4:5]
	s_delay_alu instid0(VALU_DEP_2) | instskip(NEXT) | instid1(VALU_DEP_2)
	v_fma_f64 v[130:131], v[104:105], v[2:3], -v[124:125]
	v_fma_f64 v[132:133], v[106:107], v[2:3], v[4:5]
	ds_load_b128 v[2:5], v1 offset:752
	s_wait_loadcnt_dscnt 0x901
	v_mul_f64_e32 v[128:129], v[116:117], v[8:9]
	v_mul_f64_e32 v[8:9], v[118:119], v[8:9]
	scratch_load_b128 v[104:107], off, off offset:352
	ds_load_b128 v[124:127], v1 offset:768
	s_wait_loadcnt_dscnt 0x901
	v_mul_f64_e32 v[134:135], v[2:3], v[13:14]
	v_mul_f64_e32 v[13:14], v[4:5], v[13:14]
	v_fma_f64 v[118:119], v[118:119], v[6:7], v[128:129]
	v_fma_f64 v[116:117], v[116:117], v[6:7], -v[8:9]
	v_add_f64_e32 v[128:129], 0, v[130:131]
	v_add_f64_e32 v[130:131], 0, v[132:133]
	scratch_load_b128 v[6:9], off, off offset:368
	v_fma_f64 v[134:135], v[4:5], v[11:12], v[134:135]
	v_fma_f64 v[136:137], v[2:3], v[11:12], -v[13:14]
	ds_load_b128 v[2:5], v1 offset:784
	s_wait_loadcnt_dscnt 0x901
	v_mul_f64_e32 v[132:133], v[124:125], v[17:18]
	v_mul_f64_e32 v[17:18], v[126:127], v[17:18]
	scratch_load_b128 v[11:14], off, off offset:384
	v_add_f64_e32 v[128:129], v[128:129], v[116:117]
	v_add_f64_e32 v[130:131], v[130:131], v[118:119]
	s_wait_loadcnt_dscnt 0x900
	v_mul_f64_e32 v[138:139], v[2:3], v[21:22]
	v_mul_f64_e32 v[21:22], v[4:5], v[21:22]
	ds_load_b128 v[116:119], v1 offset:800
	v_fma_f64 v[126:127], v[126:127], v[15:16], v[132:133]
	v_fma_f64 v[124:125], v[124:125], v[15:16], -v[17:18]
	scratch_load_b128 v[15:18], off, off offset:400
	v_add_f64_e32 v[128:129], v[128:129], v[136:137]
	v_add_f64_e32 v[130:131], v[130:131], v[134:135]
	v_fma_f64 v[134:135], v[4:5], v[19:20], v[138:139]
	v_fma_f64 v[136:137], v[2:3], v[19:20], -v[21:22]
	ds_load_b128 v[2:5], v1 offset:816
	s_wait_loadcnt_dscnt 0x901
	v_mul_f64_e32 v[132:133], v[116:117], v[94:95]
	v_mul_f64_e32 v[94:95], v[118:119], v[94:95]
	scratch_load_b128 v[19:22], off, off offset:416
	s_wait_loadcnt_dscnt 0x900
	v_mul_f64_e32 v[138:139], v[2:3], v[98:99]
	v_mul_f64_e32 v[98:99], v[4:5], v[98:99]
	v_add_f64_e32 v[128:129], v[128:129], v[124:125]
	v_add_f64_e32 v[130:131], v[130:131], v[126:127]
	ds_load_b128 v[124:127], v1 offset:832
	v_fma_f64 v[118:119], v[118:119], v[92:93], v[132:133]
	v_fma_f64 v[116:117], v[116:117], v[92:93], -v[94:95]
	scratch_load_b128 v[92:95], off, off offset:432
	v_add_f64_e32 v[128:129], v[128:129], v[136:137]
	v_add_f64_e32 v[130:131], v[130:131], v[134:135]
	v_fma_f64 v[134:135], v[4:5], v[96:97], v[138:139]
	v_fma_f64 v[136:137], v[2:3], v[96:97], -v[98:99]
	ds_load_b128 v[2:5], v1 offset:848
	s_wait_loadcnt_dscnt 0x901
	v_mul_f64_e32 v[132:133], v[124:125], v[102:103]
	v_mul_f64_e32 v[102:103], v[126:127], v[102:103]
	scratch_load_b128 v[96:99], off, off offset:448
	s_wait_loadcnt_dscnt 0x900
	v_mul_f64_e32 v[138:139], v[2:3], v[110:111]
	v_mul_f64_e32 v[110:111], v[4:5], v[110:111]
	v_add_f64_e32 v[128:129], v[128:129], v[116:117]
	v_add_f64_e32 v[130:131], v[130:131], v[118:119]
	ds_load_b128 v[116:119], v1 offset:864
	v_fma_f64 v[126:127], v[126:127], v[100:101], v[132:133]
	v_fma_f64 v[124:125], v[124:125], v[100:101], -v[102:103]
	scratch_load_b128 v[100:103], off, off offset:464
	v_add_f64_e32 v[128:129], v[128:129], v[136:137]
	v_add_f64_e32 v[130:131], v[130:131], v[134:135]
	v_fma_f64 v[136:137], v[4:5], v[108:109], v[138:139]
	v_fma_f64 v[138:139], v[2:3], v[108:109], -v[110:111]
	ds_load_b128 v[2:5], v1 offset:880
	s_wait_loadcnt_dscnt 0x801
	v_mul_f64_e32 v[132:133], v[116:117], v[122:123]
	v_mul_f64_e32 v[134:135], v[118:119], v[122:123]
	scratch_load_b128 v[108:111], off, off offset:480
	v_add_f64_e32 v[128:129], v[128:129], v[124:125]
	v_add_f64_e32 v[126:127], v[130:131], v[126:127]
	ds_load_b128 v[122:125], v1 offset:896
	v_fma_f64 v[132:133], v[118:119], v[120:121], v[132:133]
	v_fma_f64 v[120:121], v[116:117], v[120:121], -v[134:135]
	scratch_load_b128 v[116:119], off, off offset:496
	s_wait_loadcnt_dscnt 0x901
	v_mul_f64_e32 v[130:131], v[2:3], v[106:107]
	v_mul_f64_e32 v[106:107], v[4:5], v[106:107]
	v_add_f64_e32 v[128:129], v[128:129], v[138:139]
	v_add_f64_e32 v[126:127], v[126:127], v[136:137]
	s_delay_alu instid0(VALU_DEP_4) | instskip(NEXT) | instid1(VALU_DEP_4)
	v_fma_f64 v[130:131], v[4:5], v[104:105], v[130:131]
	v_fma_f64 v[136:137], v[2:3], v[104:105], -v[106:107]
	ds_load_b128 v[2:5], v1 offset:912
	s_wait_loadcnt_dscnt 0x801
	v_mul_f64_e32 v[134:135], v[122:123], v[8:9]
	v_mul_f64_e32 v[8:9], v[124:125], v[8:9]
	scratch_load_b128 v[104:107], off, off offset:512
	s_wait_loadcnt_dscnt 0x800
	v_mul_f64_e32 v[138:139], v[2:3], v[13:14]
	v_add_f64_e32 v[120:121], v[128:129], v[120:121]
	v_add_f64_e32 v[132:133], v[126:127], v[132:133]
	v_mul_f64_e32 v[13:14], v[4:5], v[13:14]
	ds_load_b128 v[126:129], v1 offset:928
	v_fma_f64 v[124:125], v[124:125], v[6:7], v[134:135]
	v_fma_f64 v[122:123], v[122:123], v[6:7], -v[8:9]
	scratch_load_b128 v[6:9], off, off offset:528
	v_fma_f64 v[134:135], v[4:5], v[11:12], v[138:139]
	v_add_f64_e32 v[120:121], v[120:121], v[136:137]
	v_add_f64_e32 v[130:131], v[132:133], v[130:131]
	v_fma_f64 v[136:137], v[2:3], v[11:12], -v[13:14]
	ds_load_b128 v[2:5], v1 offset:944
	s_wait_loadcnt_dscnt 0x801
	v_mul_f64_e32 v[132:133], v[126:127], v[17:18]
	v_mul_f64_e32 v[17:18], v[128:129], v[17:18]
	scratch_load_b128 v[11:14], off, off offset:544
	v_add_f64_e32 v[138:139], v[120:121], v[122:123]
	v_add_f64_e32 v[124:125], v[130:131], v[124:125]
	s_wait_loadcnt_dscnt 0x800
	v_mul_f64_e32 v[130:131], v[2:3], v[21:22]
	v_mul_f64_e32 v[21:22], v[4:5], v[21:22]
	v_fma_f64 v[128:129], v[128:129], v[15:16], v[132:133]
	v_fma_f64 v[15:16], v[126:127], v[15:16], -v[17:18]
	ds_load_b128 v[120:123], v1 offset:960
	s_wait_loadcnt_dscnt 0x700
	v_mul_f64_e32 v[126:127], v[120:121], v[94:95]
	v_mul_f64_e32 v[94:95], v[122:123], v[94:95]
	v_add_f64_e32 v[17:18], v[138:139], v[136:137]
	v_add_f64_e32 v[124:125], v[124:125], v[134:135]
	v_fma_f64 v[130:131], v[4:5], v[19:20], v[130:131]
	v_fma_f64 v[19:20], v[2:3], v[19:20], -v[21:22]
	v_fma_f64 v[122:123], v[122:123], v[92:93], v[126:127]
	v_fma_f64 v[92:93], v[120:121], v[92:93], -v[94:95]
	v_add_f64_e32 v[21:22], v[17:18], v[15:16]
	v_add_f64_e32 v[124:125], v[124:125], v[128:129]
	ds_load_b128 v[2:5], v1 offset:976
	ds_load_b128 v[15:18], v1 offset:992
	s_wait_loadcnt_dscnt 0x601
	v_mul_f64_e32 v[128:129], v[2:3], v[98:99]
	v_mul_f64_e32 v[98:99], v[4:5], v[98:99]
	s_wait_loadcnt_dscnt 0x500
	v_mul_f64_e32 v[94:95], v[15:16], v[102:103]
	v_mul_f64_e32 v[102:103], v[17:18], v[102:103]
	v_add_f64_e32 v[19:20], v[21:22], v[19:20]
	v_add_f64_e32 v[21:22], v[124:125], v[130:131]
	v_fma_f64 v[120:121], v[4:5], v[96:97], v[128:129]
	v_fma_f64 v[96:97], v[2:3], v[96:97], -v[98:99]
	v_fma_f64 v[17:18], v[17:18], v[100:101], v[94:95]
	v_fma_f64 v[15:16], v[15:16], v[100:101], -v[102:103]
	v_add_f64_e32 v[92:93], v[19:20], v[92:93]
	v_add_f64_e32 v[98:99], v[21:22], v[122:123]
	ds_load_b128 v[2:5], v1 offset:1008
	ds_load_b128 v[19:22], v1 offset:1024
	s_wait_loadcnt_dscnt 0x401
	v_mul_f64_e32 v[122:123], v[2:3], v[110:111]
	v_mul_f64_e32 v[110:111], v[4:5], v[110:111]
	v_add_f64_e32 v[92:93], v[92:93], v[96:97]
	v_add_f64_e32 v[94:95], v[98:99], v[120:121]
	s_wait_loadcnt_dscnt 0x300
	v_mul_f64_e32 v[96:97], v[19:20], v[118:119]
	v_mul_f64_e32 v[98:99], v[21:22], v[118:119]
	v_fma_f64 v[100:101], v[4:5], v[108:109], v[122:123]
	v_fma_f64 v[102:103], v[2:3], v[108:109], -v[110:111]
	v_add_f64_e32 v[92:93], v[92:93], v[15:16]
	v_add_f64_e32 v[94:95], v[94:95], v[17:18]
	ds_load_b128 v[2:5], v1 offset:1040
	ds_load_b128 v[15:18], v1 offset:1056
	v_fma_f64 v[21:22], v[21:22], v[116:117], v[96:97]
	v_fma_f64 v[19:20], v[19:20], v[116:117], -v[98:99]
	s_wait_loadcnt_dscnt 0x201
	v_mul_f64_e32 v[108:109], v[2:3], v[106:107]
	v_mul_f64_e32 v[106:107], v[4:5], v[106:107]
	s_wait_loadcnt_dscnt 0x100
	v_mul_f64_e32 v[96:97], v[15:16], v[8:9]
	v_mul_f64_e32 v[8:9], v[17:18], v[8:9]
	v_add_f64_e32 v[92:93], v[92:93], v[102:103]
	v_add_f64_e32 v[94:95], v[94:95], v[100:101]
	v_fma_f64 v[98:99], v[4:5], v[104:105], v[108:109]
	v_fma_f64 v[100:101], v[2:3], v[104:105], -v[106:107]
	ds_load_b128 v[2:5], v1 offset:1072
	v_fma_f64 v[17:18], v[17:18], v[6:7], v[96:97]
	v_fma_f64 v[6:7], v[15:16], v[6:7], -v[8:9]
	v_add_f64_e32 v[19:20], v[92:93], v[19:20]
	v_add_f64_e32 v[21:22], v[94:95], v[21:22]
	s_wait_loadcnt_dscnt 0x0
	v_mul_f64_e32 v[92:93], v[2:3], v[13:14]
	v_mul_f64_e32 v[13:14], v[4:5], v[13:14]
	s_delay_alu instid0(VALU_DEP_4) | instskip(NEXT) | instid1(VALU_DEP_4)
	v_add_f64_e32 v[8:9], v[19:20], v[100:101]
	v_add_f64_e32 v[15:16], v[21:22], v[98:99]
	s_delay_alu instid0(VALU_DEP_4) | instskip(NEXT) | instid1(VALU_DEP_4)
	v_fma_f64 v[4:5], v[4:5], v[11:12], v[92:93]
	v_fma_f64 v[2:3], v[2:3], v[11:12], -v[13:14]
	s_delay_alu instid0(VALU_DEP_4) | instskip(NEXT) | instid1(VALU_DEP_4)
	v_add_f64_e32 v[6:7], v[8:9], v[6:7]
	v_add_f64_e32 v[8:9], v[15:16], v[17:18]
	s_delay_alu instid0(VALU_DEP_2) | instskip(NEXT) | instid1(VALU_DEP_2)
	v_add_f64_e32 v[2:3], v[6:7], v[2:3]
	v_add_f64_e32 v[4:5], v[8:9], v[4:5]
	s_delay_alu instid0(VALU_DEP_2) | instskip(NEXT) | instid1(VALU_DEP_2)
	v_add_f64_e64 v[2:3], v[112:113], -v[2:3]
	v_add_f64_e64 v[4:5], v[114:115], -v[4:5]
	scratch_store_b128 off, v[2:5], off offset:176
	v_cmpx_lt_u32_e32 9, v0
	s_cbranch_execz .LBB33_199
; %bb.198:
	scratch_load_b128 v[5:8], off, s37
	v_dual_mov_b32 v2, v1 :: v_dual_mov_b32 v3, v1
	v_mov_b32_e32 v4, v1
	scratch_store_b128 off, v[1:4], off offset:160
	s_wait_loadcnt 0x0
	ds_store_b128 v10, v[5:8]
.LBB33_199:
	s_wait_alu 0xfffe
	s_or_b32 exec_lo, exec_lo, s0
	s_wait_storecnt_dscnt 0x0
	s_barrier_signal -1
	s_barrier_wait -1
	global_inv scope:SCOPE_SE
	s_clause 0x8
	scratch_load_b128 v[2:5], off, off offset:176
	scratch_load_b128 v[6:9], off, off offset:192
	scratch_load_b128 v[11:14], off, off offset:208
	scratch_load_b128 v[15:18], off, off offset:224
	scratch_load_b128 v[19:22], off, off offset:240
	scratch_load_b128 v[92:95], off, off offset:256
	scratch_load_b128 v[96:99], off, off offset:272
	scratch_load_b128 v[100:103], off, off offset:288
	scratch_load_b128 v[104:107], off, off offset:304
	ds_load_b128 v[108:111], v1 offset:704
	ds_load_b128 v[112:115], v1 offset:720
	s_clause 0x1
	scratch_load_b128 v[116:119], off, off offset:160
	scratch_load_b128 v[120:123], off, off offset:320
	s_mov_b32 s0, exec_lo
	s_wait_loadcnt_dscnt 0xa01
	v_mul_f64_e32 v[124:125], v[110:111], v[4:5]
	v_mul_f64_e32 v[4:5], v[108:109], v[4:5]
	s_wait_loadcnt_dscnt 0x900
	v_mul_f64_e32 v[128:129], v[112:113], v[8:9]
	v_mul_f64_e32 v[8:9], v[114:115], v[8:9]
	s_delay_alu instid0(VALU_DEP_4) | instskip(NEXT) | instid1(VALU_DEP_4)
	v_fma_f64 v[130:131], v[108:109], v[2:3], -v[124:125]
	v_fma_f64 v[132:133], v[110:111], v[2:3], v[4:5]
	ds_load_b128 v[2:5], v1 offset:736
	ds_load_b128 v[124:127], v1 offset:752
	scratch_load_b128 v[108:111], off, off offset:336
	v_fma_f64 v[114:115], v[114:115], v[6:7], v[128:129]
	v_fma_f64 v[112:113], v[112:113], v[6:7], -v[8:9]
	scratch_load_b128 v[6:9], off, off offset:352
	s_wait_loadcnt_dscnt 0xa01
	v_mul_f64_e32 v[134:135], v[2:3], v[13:14]
	v_mul_f64_e32 v[13:14], v[4:5], v[13:14]
	v_add_f64_e32 v[128:129], 0, v[130:131]
	v_add_f64_e32 v[130:131], 0, v[132:133]
	s_wait_loadcnt_dscnt 0x900
	v_mul_f64_e32 v[132:133], v[124:125], v[17:18]
	v_mul_f64_e32 v[17:18], v[126:127], v[17:18]
	v_fma_f64 v[134:135], v[4:5], v[11:12], v[134:135]
	v_fma_f64 v[136:137], v[2:3], v[11:12], -v[13:14]
	ds_load_b128 v[2:5], v1 offset:768
	scratch_load_b128 v[11:14], off, off offset:368
	v_add_f64_e32 v[128:129], v[128:129], v[112:113]
	v_add_f64_e32 v[130:131], v[130:131], v[114:115]
	ds_load_b128 v[112:115], v1 offset:784
	v_fma_f64 v[126:127], v[126:127], v[15:16], v[132:133]
	v_fma_f64 v[124:125], v[124:125], v[15:16], -v[17:18]
	scratch_load_b128 v[15:18], off, off offset:384
	s_wait_loadcnt_dscnt 0xa01
	v_mul_f64_e32 v[138:139], v[2:3], v[21:22]
	v_mul_f64_e32 v[21:22], v[4:5], v[21:22]
	s_wait_loadcnt_dscnt 0x900
	v_mul_f64_e32 v[132:133], v[112:113], v[94:95]
	v_mul_f64_e32 v[94:95], v[114:115], v[94:95]
	v_add_f64_e32 v[128:129], v[128:129], v[136:137]
	v_add_f64_e32 v[130:131], v[130:131], v[134:135]
	v_fma_f64 v[134:135], v[4:5], v[19:20], v[138:139]
	v_fma_f64 v[136:137], v[2:3], v[19:20], -v[21:22]
	ds_load_b128 v[2:5], v1 offset:800
	scratch_load_b128 v[19:22], off, off offset:400
	v_fma_f64 v[114:115], v[114:115], v[92:93], v[132:133]
	v_fma_f64 v[112:113], v[112:113], v[92:93], -v[94:95]
	scratch_load_b128 v[92:95], off, off offset:416
	v_add_f64_e32 v[128:129], v[128:129], v[124:125]
	v_add_f64_e32 v[130:131], v[130:131], v[126:127]
	ds_load_b128 v[124:127], v1 offset:816
	s_wait_loadcnt_dscnt 0xa01
	v_mul_f64_e32 v[138:139], v[2:3], v[98:99]
	v_mul_f64_e32 v[98:99], v[4:5], v[98:99]
	s_wait_loadcnt_dscnt 0x900
	v_mul_f64_e32 v[132:133], v[124:125], v[102:103]
	v_mul_f64_e32 v[102:103], v[126:127], v[102:103]
	v_add_f64_e32 v[128:129], v[128:129], v[136:137]
	v_add_f64_e32 v[130:131], v[130:131], v[134:135]
	v_fma_f64 v[134:135], v[4:5], v[96:97], v[138:139]
	v_fma_f64 v[136:137], v[2:3], v[96:97], -v[98:99]
	ds_load_b128 v[2:5], v1 offset:832
	scratch_load_b128 v[96:99], off, off offset:432
	v_fma_f64 v[126:127], v[126:127], v[100:101], v[132:133]
	v_fma_f64 v[124:125], v[124:125], v[100:101], -v[102:103]
	scratch_load_b128 v[100:103], off, off offset:448
	v_add_f64_e32 v[128:129], v[128:129], v[112:113]
	v_add_f64_e32 v[130:131], v[130:131], v[114:115]
	ds_load_b128 v[112:115], v1 offset:848
	s_wait_loadcnt_dscnt 0xa01
	v_mul_f64_e32 v[138:139], v[2:3], v[106:107]
	v_mul_f64_e32 v[106:107], v[4:5], v[106:107]
	s_wait_loadcnt_dscnt 0x800
	v_mul_f64_e32 v[132:133], v[112:113], v[122:123]
	v_add_f64_e32 v[128:129], v[128:129], v[136:137]
	v_add_f64_e32 v[130:131], v[130:131], v[134:135]
	v_mul_f64_e32 v[134:135], v[114:115], v[122:123]
	v_fma_f64 v[136:137], v[4:5], v[104:105], v[138:139]
	v_fma_f64 v[138:139], v[2:3], v[104:105], -v[106:107]
	ds_load_b128 v[2:5], v1 offset:864
	scratch_load_b128 v[104:107], off, off offset:464
	v_fma_f64 v[114:115], v[114:115], v[120:121], v[132:133]
	v_add_f64_e32 v[128:129], v[128:129], v[124:125]
	v_add_f64_e32 v[126:127], v[130:131], v[126:127]
	ds_load_b128 v[122:125], v1 offset:880
	v_fma_f64 v[120:121], v[112:113], v[120:121], -v[134:135]
	s_wait_loadcnt_dscnt 0x801
	v_mul_f64_e32 v[130:131], v[2:3], v[110:111]
	v_mul_f64_e32 v[140:141], v[4:5], v[110:111]
	scratch_load_b128 v[110:113], off, off offset:480
	s_wait_loadcnt_dscnt 0x800
	v_mul_f64_e32 v[134:135], v[122:123], v[8:9]
	v_mul_f64_e32 v[8:9], v[124:125], v[8:9]
	v_add_f64_e32 v[128:129], v[128:129], v[138:139]
	v_add_f64_e32 v[126:127], v[126:127], v[136:137]
	v_fma_f64 v[136:137], v[4:5], v[108:109], v[130:131]
	v_fma_f64 v[108:109], v[2:3], v[108:109], -v[140:141]
	ds_load_b128 v[2:5], v1 offset:896
	ds_load_b128 v[130:133], v1 offset:912
	v_fma_f64 v[124:125], v[124:125], v[6:7], v[134:135]
	v_fma_f64 v[122:123], v[122:123], v[6:7], -v[8:9]
	scratch_load_b128 v[6:9], off, off offset:512
	v_add_f64_e32 v[120:121], v[128:129], v[120:121]
	v_add_f64_e32 v[114:115], v[126:127], v[114:115]
	scratch_load_b128 v[126:129], off, off offset:496
	s_wait_loadcnt_dscnt 0x901
	v_mul_f64_e32 v[138:139], v[2:3], v[13:14]
	v_mul_f64_e32 v[13:14], v[4:5], v[13:14]
	s_wait_loadcnt_dscnt 0x800
	v_mul_f64_e32 v[134:135], v[130:131], v[17:18]
	v_mul_f64_e32 v[17:18], v[132:133], v[17:18]
	v_add_f64_e32 v[108:109], v[120:121], v[108:109]
	v_add_f64_e32 v[114:115], v[114:115], v[136:137]
	v_fma_f64 v[136:137], v[4:5], v[11:12], v[138:139]
	v_fma_f64 v[138:139], v[2:3], v[11:12], -v[13:14]
	ds_load_b128 v[2:5], v1 offset:928
	scratch_load_b128 v[11:14], off, off offset:528
	v_fma_f64 v[132:133], v[132:133], v[15:16], v[134:135]
	v_fma_f64 v[130:131], v[130:131], v[15:16], -v[17:18]
	scratch_load_b128 v[15:18], off, off offset:544
	v_add_f64_e32 v[108:109], v[108:109], v[122:123]
	v_add_f64_e32 v[114:115], v[114:115], v[124:125]
	ds_load_b128 v[120:123], v1 offset:944
	s_wait_loadcnt_dscnt 0x901
	v_mul_f64_e32 v[124:125], v[2:3], v[21:22]
	v_mul_f64_e32 v[21:22], v[4:5], v[21:22]
	s_wait_loadcnt_dscnt 0x800
	v_mul_f64_e32 v[134:135], v[120:121], v[94:95]
	v_mul_f64_e32 v[94:95], v[122:123], v[94:95]
	v_add_f64_e32 v[108:109], v[108:109], v[138:139]
	v_add_f64_e32 v[114:115], v[114:115], v[136:137]
	v_fma_f64 v[124:125], v[4:5], v[19:20], v[124:125]
	v_fma_f64 v[136:137], v[2:3], v[19:20], -v[21:22]
	ds_load_b128 v[2:5], v1 offset:960
	ds_load_b128 v[19:22], v1 offset:976
	v_fma_f64 v[122:123], v[122:123], v[92:93], v[134:135]
	v_fma_f64 v[92:93], v[120:121], v[92:93], -v[94:95]
	v_add_f64_e32 v[108:109], v[108:109], v[130:131]
	v_add_f64_e32 v[114:115], v[114:115], v[132:133]
	s_wait_loadcnt_dscnt 0x701
	v_mul_f64_e32 v[130:131], v[2:3], v[98:99]
	v_mul_f64_e32 v[98:99], v[4:5], v[98:99]
	s_delay_alu instid0(VALU_DEP_4) | instskip(NEXT) | instid1(VALU_DEP_4)
	v_add_f64_e32 v[94:95], v[108:109], v[136:137]
	v_add_f64_e32 v[108:109], v[114:115], v[124:125]
	s_wait_loadcnt_dscnt 0x600
	v_mul_f64_e32 v[114:115], v[19:20], v[102:103]
	v_mul_f64_e32 v[102:103], v[21:22], v[102:103]
	v_fma_f64 v[120:121], v[4:5], v[96:97], v[130:131]
	v_fma_f64 v[96:97], v[2:3], v[96:97], -v[98:99]
	v_add_f64_e32 v[98:99], v[94:95], v[92:93]
	v_add_f64_e32 v[108:109], v[108:109], v[122:123]
	ds_load_b128 v[2:5], v1 offset:992
	ds_load_b128 v[92:95], v1 offset:1008
	v_fma_f64 v[21:22], v[21:22], v[100:101], v[114:115]
	v_fma_f64 v[19:20], v[19:20], v[100:101], -v[102:103]
	s_wait_loadcnt_dscnt 0x501
	v_mul_f64_e32 v[122:123], v[2:3], v[106:107]
	v_mul_f64_e32 v[106:107], v[4:5], v[106:107]
	s_wait_loadcnt_dscnt 0x400
	v_mul_f64_e32 v[100:101], v[92:93], v[112:113]
	v_add_f64_e32 v[96:97], v[98:99], v[96:97]
	v_add_f64_e32 v[98:99], v[108:109], v[120:121]
	v_mul_f64_e32 v[102:103], v[94:95], v[112:113]
	v_fma_f64 v[108:109], v[4:5], v[104:105], v[122:123]
	v_fma_f64 v[104:105], v[2:3], v[104:105], -v[106:107]
	v_fma_f64 v[94:95], v[94:95], v[110:111], v[100:101]
	v_add_f64_e32 v[96:97], v[96:97], v[19:20]
	v_add_f64_e32 v[98:99], v[98:99], v[21:22]
	ds_load_b128 v[2:5], v1 offset:1024
	ds_load_b128 v[19:22], v1 offset:1040
	v_fma_f64 v[92:93], v[92:93], v[110:111], -v[102:103]
	s_wait_loadcnt_dscnt 0x201
	v_mul_f64_e32 v[106:107], v[2:3], v[128:129]
	v_mul_f64_e32 v[112:113], v[4:5], v[128:129]
	s_wait_dscnt 0x0
	v_mul_f64_e32 v[100:101], v[19:20], v[8:9]
	v_mul_f64_e32 v[8:9], v[21:22], v[8:9]
	v_add_f64_e32 v[96:97], v[96:97], v[104:105]
	v_add_f64_e32 v[98:99], v[98:99], v[108:109]
	v_fma_f64 v[102:103], v[4:5], v[126:127], v[106:107]
	v_fma_f64 v[104:105], v[2:3], v[126:127], -v[112:113]
	v_fma_f64 v[21:22], v[21:22], v[6:7], v[100:101]
	v_fma_f64 v[6:7], v[19:20], v[6:7], -v[8:9]
	v_add_f64_e32 v[96:97], v[96:97], v[92:93]
	v_add_f64_e32 v[98:99], v[98:99], v[94:95]
	ds_load_b128 v[2:5], v1 offset:1056
	ds_load_b128 v[92:95], v1 offset:1072
	s_wait_loadcnt_dscnt 0x101
	v_mul_f64_e32 v[106:107], v[2:3], v[13:14]
	v_mul_f64_e32 v[13:14], v[4:5], v[13:14]
	v_add_f64_e32 v[8:9], v[96:97], v[104:105]
	v_add_f64_e32 v[19:20], v[98:99], v[102:103]
	s_wait_loadcnt_dscnt 0x0
	v_mul_f64_e32 v[96:97], v[92:93], v[17:18]
	v_mul_f64_e32 v[17:18], v[94:95], v[17:18]
	v_fma_f64 v[4:5], v[4:5], v[11:12], v[106:107]
	v_fma_f64 v[1:2], v[2:3], v[11:12], -v[13:14]
	v_add_f64_e32 v[6:7], v[8:9], v[6:7]
	v_add_f64_e32 v[8:9], v[19:20], v[21:22]
	v_fma_f64 v[11:12], v[94:95], v[15:16], v[96:97]
	v_fma_f64 v[13:14], v[92:93], v[15:16], -v[17:18]
	s_delay_alu instid0(VALU_DEP_4) | instskip(NEXT) | instid1(VALU_DEP_4)
	v_add_f64_e32 v[1:2], v[6:7], v[1:2]
	v_add_f64_e32 v[3:4], v[8:9], v[4:5]
	s_delay_alu instid0(VALU_DEP_2) | instskip(NEXT) | instid1(VALU_DEP_2)
	v_add_f64_e32 v[1:2], v[1:2], v[13:14]
	v_add_f64_e32 v[3:4], v[3:4], v[11:12]
	s_delay_alu instid0(VALU_DEP_2) | instskip(NEXT) | instid1(VALU_DEP_2)
	v_add_f64_e64 v[1:2], v[116:117], -v[1:2]
	v_add_f64_e64 v[3:4], v[118:119], -v[3:4]
	scratch_store_b128 off, v[1:4], off offset:160
	v_cmpx_lt_u32_e32 8, v0
	s_cbranch_execz .LBB33_201
; %bb.200:
	scratch_load_b128 v[1:4], off, s39
	v_mov_b32_e32 v5, 0
	s_delay_alu instid0(VALU_DEP_1)
	v_dual_mov_b32 v6, v5 :: v_dual_mov_b32 v7, v5
	v_mov_b32_e32 v8, v5
	scratch_store_b128 off, v[5:8], off offset:144
	s_wait_loadcnt 0x0
	ds_store_b128 v10, v[1:4]
.LBB33_201:
	s_wait_alu 0xfffe
	s_or_b32 exec_lo, exec_lo, s0
	s_wait_storecnt_dscnt 0x0
	s_barrier_signal -1
	s_barrier_wait -1
	global_inv scope:SCOPE_SE
	s_clause 0x7
	scratch_load_b128 v[2:5], off, off offset:160
	scratch_load_b128 v[6:9], off, off offset:176
	;; [unrolled: 1-line block ×8, first 2 shown]
	v_mov_b32_e32 v1, 0
	s_mov_b32 s0, exec_lo
	ds_load_b128 v[104:107], v1 offset:688
	s_clause 0x1
	scratch_load_b128 v[108:111], off, off offset:288
	scratch_load_b128 v[112:115], off, off offset:144
	ds_load_b128 v[116:119], v1 offset:704
	scratch_load_b128 v[120:123], off, off offset:304
	s_wait_loadcnt_dscnt 0xa01
	v_mul_f64_e32 v[124:125], v[106:107], v[4:5]
	v_mul_f64_e32 v[4:5], v[104:105], v[4:5]
	s_delay_alu instid0(VALU_DEP_2) | instskip(NEXT) | instid1(VALU_DEP_2)
	v_fma_f64 v[130:131], v[104:105], v[2:3], -v[124:125]
	v_fma_f64 v[132:133], v[106:107], v[2:3], v[4:5]
	ds_load_b128 v[2:5], v1 offset:720
	s_wait_loadcnt_dscnt 0x901
	v_mul_f64_e32 v[128:129], v[116:117], v[8:9]
	v_mul_f64_e32 v[8:9], v[118:119], v[8:9]
	scratch_load_b128 v[104:107], off, off offset:320
	ds_load_b128 v[124:127], v1 offset:736
	s_wait_loadcnt_dscnt 0x901
	v_mul_f64_e32 v[134:135], v[2:3], v[13:14]
	v_mul_f64_e32 v[13:14], v[4:5], v[13:14]
	v_fma_f64 v[118:119], v[118:119], v[6:7], v[128:129]
	v_fma_f64 v[116:117], v[116:117], v[6:7], -v[8:9]
	v_add_f64_e32 v[128:129], 0, v[130:131]
	v_add_f64_e32 v[130:131], 0, v[132:133]
	scratch_load_b128 v[6:9], off, off offset:336
	v_fma_f64 v[134:135], v[4:5], v[11:12], v[134:135]
	v_fma_f64 v[136:137], v[2:3], v[11:12], -v[13:14]
	ds_load_b128 v[2:5], v1 offset:752
	s_wait_loadcnt_dscnt 0x901
	v_mul_f64_e32 v[132:133], v[124:125], v[17:18]
	v_mul_f64_e32 v[17:18], v[126:127], v[17:18]
	scratch_load_b128 v[11:14], off, off offset:352
	v_add_f64_e32 v[128:129], v[128:129], v[116:117]
	v_add_f64_e32 v[130:131], v[130:131], v[118:119]
	s_wait_loadcnt_dscnt 0x900
	v_mul_f64_e32 v[138:139], v[2:3], v[21:22]
	v_mul_f64_e32 v[21:22], v[4:5], v[21:22]
	ds_load_b128 v[116:119], v1 offset:768
	v_fma_f64 v[126:127], v[126:127], v[15:16], v[132:133]
	v_fma_f64 v[124:125], v[124:125], v[15:16], -v[17:18]
	scratch_load_b128 v[15:18], off, off offset:368
	v_add_f64_e32 v[128:129], v[128:129], v[136:137]
	v_add_f64_e32 v[130:131], v[130:131], v[134:135]
	v_fma_f64 v[134:135], v[4:5], v[19:20], v[138:139]
	v_fma_f64 v[136:137], v[2:3], v[19:20], -v[21:22]
	ds_load_b128 v[2:5], v1 offset:784
	s_wait_loadcnt_dscnt 0x901
	v_mul_f64_e32 v[132:133], v[116:117], v[94:95]
	v_mul_f64_e32 v[94:95], v[118:119], v[94:95]
	scratch_load_b128 v[19:22], off, off offset:384
	s_wait_loadcnt_dscnt 0x900
	v_mul_f64_e32 v[138:139], v[2:3], v[98:99]
	v_mul_f64_e32 v[98:99], v[4:5], v[98:99]
	v_add_f64_e32 v[128:129], v[128:129], v[124:125]
	v_add_f64_e32 v[130:131], v[130:131], v[126:127]
	ds_load_b128 v[124:127], v1 offset:800
	v_fma_f64 v[118:119], v[118:119], v[92:93], v[132:133]
	v_fma_f64 v[116:117], v[116:117], v[92:93], -v[94:95]
	scratch_load_b128 v[92:95], off, off offset:400
	v_add_f64_e32 v[128:129], v[128:129], v[136:137]
	v_add_f64_e32 v[130:131], v[130:131], v[134:135]
	v_fma_f64 v[134:135], v[4:5], v[96:97], v[138:139]
	v_fma_f64 v[136:137], v[2:3], v[96:97], -v[98:99]
	ds_load_b128 v[2:5], v1 offset:816
	s_wait_loadcnt_dscnt 0x901
	v_mul_f64_e32 v[132:133], v[124:125], v[102:103]
	v_mul_f64_e32 v[102:103], v[126:127], v[102:103]
	scratch_load_b128 v[96:99], off, off offset:416
	s_wait_loadcnt_dscnt 0x900
	v_mul_f64_e32 v[138:139], v[2:3], v[110:111]
	v_mul_f64_e32 v[110:111], v[4:5], v[110:111]
	v_add_f64_e32 v[128:129], v[128:129], v[116:117]
	v_add_f64_e32 v[130:131], v[130:131], v[118:119]
	ds_load_b128 v[116:119], v1 offset:832
	v_fma_f64 v[126:127], v[126:127], v[100:101], v[132:133]
	v_fma_f64 v[124:125], v[124:125], v[100:101], -v[102:103]
	scratch_load_b128 v[100:103], off, off offset:432
	v_add_f64_e32 v[128:129], v[128:129], v[136:137]
	v_add_f64_e32 v[130:131], v[130:131], v[134:135]
	v_fma_f64 v[136:137], v[4:5], v[108:109], v[138:139]
	v_fma_f64 v[138:139], v[2:3], v[108:109], -v[110:111]
	ds_load_b128 v[2:5], v1 offset:848
	s_wait_loadcnt_dscnt 0x801
	v_mul_f64_e32 v[132:133], v[116:117], v[122:123]
	v_mul_f64_e32 v[134:135], v[118:119], v[122:123]
	scratch_load_b128 v[108:111], off, off offset:448
	v_add_f64_e32 v[128:129], v[128:129], v[124:125]
	v_add_f64_e32 v[126:127], v[130:131], v[126:127]
	ds_load_b128 v[122:125], v1 offset:864
	v_fma_f64 v[132:133], v[118:119], v[120:121], v[132:133]
	v_fma_f64 v[120:121], v[116:117], v[120:121], -v[134:135]
	scratch_load_b128 v[116:119], off, off offset:464
	s_wait_loadcnt_dscnt 0x901
	v_mul_f64_e32 v[130:131], v[2:3], v[106:107]
	v_mul_f64_e32 v[106:107], v[4:5], v[106:107]
	v_add_f64_e32 v[128:129], v[128:129], v[138:139]
	v_add_f64_e32 v[126:127], v[126:127], v[136:137]
	s_delay_alu instid0(VALU_DEP_4) | instskip(NEXT) | instid1(VALU_DEP_4)
	v_fma_f64 v[130:131], v[4:5], v[104:105], v[130:131]
	v_fma_f64 v[136:137], v[2:3], v[104:105], -v[106:107]
	ds_load_b128 v[2:5], v1 offset:880
	s_wait_loadcnt_dscnt 0x801
	v_mul_f64_e32 v[134:135], v[122:123], v[8:9]
	v_mul_f64_e32 v[8:9], v[124:125], v[8:9]
	scratch_load_b128 v[104:107], off, off offset:480
	s_wait_loadcnt_dscnt 0x800
	v_mul_f64_e32 v[138:139], v[2:3], v[13:14]
	v_add_f64_e32 v[120:121], v[128:129], v[120:121]
	v_add_f64_e32 v[132:133], v[126:127], v[132:133]
	v_mul_f64_e32 v[13:14], v[4:5], v[13:14]
	ds_load_b128 v[126:129], v1 offset:896
	v_fma_f64 v[124:125], v[124:125], v[6:7], v[134:135]
	v_fma_f64 v[122:123], v[122:123], v[6:7], -v[8:9]
	scratch_load_b128 v[6:9], off, off offset:496
	v_fma_f64 v[134:135], v[4:5], v[11:12], v[138:139]
	v_add_f64_e32 v[120:121], v[120:121], v[136:137]
	v_add_f64_e32 v[130:131], v[132:133], v[130:131]
	v_fma_f64 v[136:137], v[2:3], v[11:12], -v[13:14]
	ds_load_b128 v[2:5], v1 offset:912
	s_wait_loadcnt_dscnt 0x801
	v_mul_f64_e32 v[132:133], v[126:127], v[17:18]
	v_mul_f64_e32 v[17:18], v[128:129], v[17:18]
	scratch_load_b128 v[11:14], off, off offset:512
	v_add_f64_e32 v[138:139], v[120:121], v[122:123]
	v_add_f64_e32 v[124:125], v[130:131], v[124:125]
	s_wait_loadcnt_dscnt 0x800
	v_mul_f64_e32 v[130:131], v[2:3], v[21:22]
	v_mul_f64_e32 v[21:22], v[4:5], v[21:22]
	v_fma_f64 v[128:129], v[128:129], v[15:16], v[132:133]
	v_fma_f64 v[126:127], v[126:127], v[15:16], -v[17:18]
	ds_load_b128 v[120:123], v1 offset:928
	scratch_load_b128 v[15:18], off, off offset:528
	v_add_f64_e32 v[132:133], v[138:139], v[136:137]
	v_add_f64_e32 v[124:125], v[124:125], v[134:135]
	v_fma_f64 v[130:131], v[4:5], v[19:20], v[130:131]
	v_fma_f64 v[136:137], v[2:3], v[19:20], -v[21:22]
	ds_load_b128 v[2:5], v1 offset:944
	s_wait_loadcnt_dscnt 0x801
	v_mul_f64_e32 v[134:135], v[120:121], v[94:95]
	v_mul_f64_e32 v[94:95], v[122:123], v[94:95]
	scratch_load_b128 v[19:22], off, off offset:544
	s_wait_loadcnt_dscnt 0x800
	v_mul_f64_e32 v[138:139], v[2:3], v[98:99]
	v_mul_f64_e32 v[98:99], v[4:5], v[98:99]
	v_add_f64_e32 v[132:133], v[132:133], v[126:127]
	v_add_f64_e32 v[128:129], v[124:125], v[128:129]
	ds_load_b128 v[124:127], v1 offset:960
	v_fma_f64 v[122:123], v[122:123], v[92:93], v[134:135]
	v_fma_f64 v[92:93], v[120:121], v[92:93], -v[94:95]
	v_add_f64_e32 v[94:95], v[132:133], v[136:137]
	v_add_f64_e32 v[120:121], v[128:129], v[130:131]
	s_wait_loadcnt_dscnt 0x700
	v_mul_f64_e32 v[128:129], v[124:125], v[102:103]
	v_mul_f64_e32 v[102:103], v[126:127], v[102:103]
	v_fma_f64 v[130:131], v[4:5], v[96:97], v[138:139]
	v_fma_f64 v[96:97], v[2:3], v[96:97], -v[98:99]
	v_add_f64_e32 v[98:99], v[94:95], v[92:93]
	v_add_f64_e32 v[120:121], v[120:121], v[122:123]
	ds_load_b128 v[2:5], v1 offset:976
	ds_load_b128 v[92:95], v1 offset:992
	v_fma_f64 v[126:127], v[126:127], v[100:101], v[128:129]
	v_fma_f64 v[100:101], v[124:125], v[100:101], -v[102:103]
	s_wait_loadcnt_dscnt 0x601
	v_mul_f64_e32 v[122:123], v[2:3], v[110:111]
	v_mul_f64_e32 v[110:111], v[4:5], v[110:111]
	s_wait_loadcnt_dscnt 0x500
	v_mul_f64_e32 v[102:103], v[92:93], v[118:119]
	v_mul_f64_e32 v[118:119], v[94:95], v[118:119]
	v_add_f64_e32 v[96:97], v[98:99], v[96:97]
	v_add_f64_e32 v[98:99], v[120:121], v[130:131]
	v_fma_f64 v[120:121], v[4:5], v[108:109], v[122:123]
	v_fma_f64 v[108:109], v[2:3], v[108:109], -v[110:111]
	v_fma_f64 v[94:95], v[94:95], v[116:117], v[102:103]
	v_fma_f64 v[92:93], v[92:93], v[116:117], -v[118:119]
	v_add_f64_e32 v[100:101], v[96:97], v[100:101]
	v_add_f64_e32 v[110:111], v[98:99], v[126:127]
	ds_load_b128 v[2:5], v1 offset:1008
	ds_load_b128 v[96:99], v1 offset:1024
	s_wait_loadcnt_dscnt 0x401
	v_mul_f64_e32 v[122:123], v[2:3], v[106:107]
	v_mul_f64_e32 v[106:107], v[4:5], v[106:107]
	v_add_f64_e32 v[100:101], v[100:101], v[108:109]
	v_add_f64_e32 v[102:103], v[110:111], v[120:121]
	s_wait_loadcnt_dscnt 0x300
	v_mul_f64_e32 v[108:109], v[96:97], v[8:9]
	v_mul_f64_e32 v[8:9], v[98:99], v[8:9]
	v_fma_f64 v[110:111], v[4:5], v[104:105], v[122:123]
	v_fma_f64 v[104:105], v[2:3], v[104:105], -v[106:107]
	v_add_f64_e32 v[100:101], v[100:101], v[92:93]
	v_add_f64_e32 v[102:103], v[102:103], v[94:95]
	ds_load_b128 v[2:5], v1 offset:1040
	ds_load_b128 v[92:95], v1 offset:1056
	v_fma_f64 v[98:99], v[98:99], v[6:7], v[108:109]
	v_fma_f64 v[6:7], v[96:97], v[6:7], -v[8:9]
	s_wait_loadcnt_dscnt 0x201
	v_mul_f64_e32 v[106:107], v[2:3], v[13:14]
	v_mul_f64_e32 v[13:14], v[4:5], v[13:14]
	v_add_f64_e32 v[8:9], v[100:101], v[104:105]
	v_add_f64_e32 v[96:97], v[102:103], v[110:111]
	s_wait_loadcnt_dscnt 0x100
	v_mul_f64_e32 v[100:101], v[92:93], v[17:18]
	v_mul_f64_e32 v[17:18], v[94:95], v[17:18]
	v_fma_f64 v[102:103], v[4:5], v[11:12], v[106:107]
	v_fma_f64 v[11:12], v[2:3], v[11:12], -v[13:14]
	ds_load_b128 v[2:5], v1 offset:1072
	v_add_f64_e32 v[6:7], v[8:9], v[6:7]
	v_add_f64_e32 v[8:9], v[96:97], v[98:99]
	v_fma_f64 v[94:95], v[94:95], v[15:16], v[100:101]
	v_fma_f64 v[15:16], v[92:93], v[15:16], -v[17:18]
	s_wait_loadcnt_dscnt 0x0
	v_mul_f64_e32 v[13:14], v[2:3], v[21:22]
	v_mul_f64_e32 v[21:22], v[4:5], v[21:22]
	v_add_f64_e32 v[6:7], v[6:7], v[11:12]
	v_add_f64_e32 v[8:9], v[8:9], v[102:103]
	s_delay_alu instid0(VALU_DEP_4) | instskip(NEXT) | instid1(VALU_DEP_4)
	v_fma_f64 v[4:5], v[4:5], v[19:20], v[13:14]
	v_fma_f64 v[2:3], v[2:3], v[19:20], -v[21:22]
	s_delay_alu instid0(VALU_DEP_4) | instskip(NEXT) | instid1(VALU_DEP_4)
	v_add_f64_e32 v[6:7], v[6:7], v[15:16]
	v_add_f64_e32 v[8:9], v[8:9], v[94:95]
	s_delay_alu instid0(VALU_DEP_2) | instskip(NEXT) | instid1(VALU_DEP_2)
	v_add_f64_e32 v[2:3], v[6:7], v[2:3]
	v_add_f64_e32 v[4:5], v[8:9], v[4:5]
	s_delay_alu instid0(VALU_DEP_2) | instskip(NEXT) | instid1(VALU_DEP_2)
	v_add_f64_e64 v[2:3], v[112:113], -v[2:3]
	v_add_f64_e64 v[4:5], v[114:115], -v[4:5]
	scratch_store_b128 off, v[2:5], off offset:144
	v_cmpx_lt_u32_e32 7, v0
	s_cbranch_execz .LBB33_203
; %bb.202:
	scratch_load_b128 v[5:8], off, s40
	v_dual_mov_b32 v2, v1 :: v_dual_mov_b32 v3, v1
	v_mov_b32_e32 v4, v1
	scratch_store_b128 off, v[1:4], off offset:128
	s_wait_loadcnt 0x0
	ds_store_b128 v10, v[5:8]
.LBB33_203:
	s_wait_alu 0xfffe
	s_or_b32 exec_lo, exec_lo, s0
	s_wait_storecnt_dscnt 0x0
	s_barrier_signal -1
	s_barrier_wait -1
	global_inv scope:SCOPE_SE
	s_clause 0x8
	scratch_load_b128 v[2:5], off, off offset:144
	scratch_load_b128 v[6:9], off, off offset:160
	;; [unrolled: 1-line block ×9, first 2 shown]
	ds_load_b128 v[108:111], v1 offset:672
	ds_load_b128 v[112:115], v1 offset:688
	s_clause 0x1
	scratch_load_b128 v[116:119], off, off offset:128
	scratch_load_b128 v[120:123], off, off offset:288
	s_mov_b32 s0, exec_lo
	s_wait_loadcnt_dscnt 0xa01
	v_mul_f64_e32 v[124:125], v[110:111], v[4:5]
	v_mul_f64_e32 v[4:5], v[108:109], v[4:5]
	s_wait_loadcnt_dscnt 0x900
	v_mul_f64_e32 v[128:129], v[112:113], v[8:9]
	v_mul_f64_e32 v[8:9], v[114:115], v[8:9]
	s_delay_alu instid0(VALU_DEP_4) | instskip(NEXT) | instid1(VALU_DEP_4)
	v_fma_f64 v[130:131], v[108:109], v[2:3], -v[124:125]
	v_fma_f64 v[132:133], v[110:111], v[2:3], v[4:5]
	ds_load_b128 v[2:5], v1 offset:704
	ds_load_b128 v[124:127], v1 offset:720
	scratch_load_b128 v[108:111], off, off offset:304
	v_fma_f64 v[114:115], v[114:115], v[6:7], v[128:129]
	v_fma_f64 v[112:113], v[112:113], v[6:7], -v[8:9]
	scratch_load_b128 v[6:9], off, off offset:320
	s_wait_loadcnt_dscnt 0xa01
	v_mul_f64_e32 v[134:135], v[2:3], v[13:14]
	v_mul_f64_e32 v[13:14], v[4:5], v[13:14]
	v_add_f64_e32 v[128:129], 0, v[130:131]
	v_add_f64_e32 v[130:131], 0, v[132:133]
	s_wait_loadcnt_dscnt 0x900
	v_mul_f64_e32 v[132:133], v[124:125], v[17:18]
	v_mul_f64_e32 v[17:18], v[126:127], v[17:18]
	v_fma_f64 v[134:135], v[4:5], v[11:12], v[134:135]
	v_fma_f64 v[136:137], v[2:3], v[11:12], -v[13:14]
	ds_load_b128 v[2:5], v1 offset:736
	scratch_load_b128 v[11:14], off, off offset:336
	v_add_f64_e32 v[128:129], v[128:129], v[112:113]
	v_add_f64_e32 v[130:131], v[130:131], v[114:115]
	ds_load_b128 v[112:115], v1 offset:752
	v_fma_f64 v[126:127], v[126:127], v[15:16], v[132:133]
	v_fma_f64 v[124:125], v[124:125], v[15:16], -v[17:18]
	scratch_load_b128 v[15:18], off, off offset:352
	s_wait_loadcnt_dscnt 0xa01
	v_mul_f64_e32 v[138:139], v[2:3], v[21:22]
	v_mul_f64_e32 v[21:22], v[4:5], v[21:22]
	s_wait_loadcnt_dscnt 0x900
	v_mul_f64_e32 v[132:133], v[112:113], v[94:95]
	v_mul_f64_e32 v[94:95], v[114:115], v[94:95]
	v_add_f64_e32 v[128:129], v[128:129], v[136:137]
	v_add_f64_e32 v[130:131], v[130:131], v[134:135]
	v_fma_f64 v[134:135], v[4:5], v[19:20], v[138:139]
	v_fma_f64 v[136:137], v[2:3], v[19:20], -v[21:22]
	ds_load_b128 v[2:5], v1 offset:768
	scratch_load_b128 v[19:22], off, off offset:368
	v_fma_f64 v[114:115], v[114:115], v[92:93], v[132:133]
	v_fma_f64 v[112:113], v[112:113], v[92:93], -v[94:95]
	scratch_load_b128 v[92:95], off, off offset:384
	v_add_f64_e32 v[128:129], v[128:129], v[124:125]
	v_add_f64_e32 v[130:131], v[130:131], v[126:127]
	ds_load_b128 v[124:127], v1 offset:784
	s_wait_loadcnt_dscnt 0xa01
	v_mul_f64_e32 v[138:139], v[2:3], v[98:99]
	v_mul_f64_e32 v[98:99], v[4:5], v[98:99]
	s_wait_loadcnt_dscnt 0x900
	v_mul_f64_e32 v[132:133], v[124:125], v[102:103]
	v_mul_f64_e32 v[102:103], v[126:127], v[102:103]
	v_add_f64_e32 v[128:129], v[128:129], v[136:137]
	v_add_f64_e32 v[130:131], v[130:131], v[134:135]
	v_fma_f64 v[134:135], v[4:5], v[96:97], v[138:139]
	v_fma_f64 v[136:137], v[2:3], v[96:97], -v[98:99]
	ds_load_b128 v[2:5], v1 offset:800
	scratch_load_b128 v[96:99], off, off offset:400
	v_fma_f64 v[126:127], v[126:127], v[100:101], v[132:133]
	v_fma_f64 v[124:125], v[124:125], v[100:101], -v[102:103]
	scratch_load_b128 v[100:103], off, off offset:416
	v_add_f64_e32 v[128:129], v[128:129], v[112:113]
	v_add_f64_e32 v[130:131], v[130:131], v[114:115]
	ds_load_b128 v[112:115], v1 offset:816
	s_wait_loadcnt_dscnt 0xa01
	v_mul_f64_e32 v[138:139], v[2:3], v[106:107]
	v_mul_f64_e32 v[106:107], v[4:5], v[106:107]
	s_wait_loadcnt_dscnt 0x800
	v_mul_f64_e32 v[132:133], v[112:113], v[122:123]
	v_add_f64_e32 v[128:129], v[128:129], v[136:137]
	v_add_f64_e32 v[130:131], v[130:131], v[134:135]
	v_mul_f64_e32 v[134:135], v[114:115], v[122:123]
	v_fma_f64 v[136:137], v[4:5], v[104:105], v[138:139]
	v_fma_f64 v[138:139], v[2:3], v[104:105], -v[106:107]
	ds_load_b128 v[2:5], v1 offset:832
	scratch_load_b128 v[104:107], off, off offset:432
	v_fma_f64 v[114:115], v[114:115], v[120:121], v[132:133]
	v_add_f64_e32 v[128:129], v[128:129], v[124:125]
	v_add_f64_e32 v[126:127], v[130:131], v[126:127]
	ds_load_b128 v[122:125], v1 offset:848
	v_fma_f64 v[120:121], v[112:113], v[120:121], -v[134:135]
	s_wait_loadcnt_dscnt 0x801
	v_mul_f64_e32 v[130:131], v[2:3], v[110:111]
	v_mul_f64_e32 v[140:141], v[4:5], v[110:111]
	scratch_load_b128 v[110:113], off, off offset:448
	s_wait_loadcnt_dscnt 0x800
	v_mul_f64_e32 v[134:135], v[122:123], v[8:9]
	v_mul_f64_e32 v[8:9], v[124:125], v[8:9]
	v_add_f64_e32 v[128:129], v[128:129], v[138:139]
	v_add_f64_e32 v[126:127], v[126:127], v[136:137]
	v_fma_f64 v[136:137], v[4:5], v[108:109], v[130:131]
	v_fma_f64 v[108:109], v[2:3], v[108:109], -v[140:141]
	ds_load_b128 v[2:5], v1 offset:864
	ds_load_b128 v[130:133], v1 offset:880
	v_fma_f64 v[124:125], v[124:125], v[6:7], v[134:135]
	v_fma_f64 v[122:123], v[122:123], v[6:7], -v[8:9]
	scratch_load_b128 v[6:9], off, off offset:480
	v_add_f64_e32 v[120:121], v[128:129], v[120:121]
	v_add_f64_e32 v[114:115], v[126:127], v[114:115]
	scratch_load_b128 v[126:129], off, off offset:464
	s_wait_loadcnt_dscnt 0x901
	v_mul_f64_e32 v[138:139], v[2:3], v[13:14]
	v_mul_f64_e32 v[13:14], v[4:5], v[13:14]
	s_wait_loadcnt_dscnt 0x800
	v_mul_f64_e32 v[134:135], v[130:131], v[17:18]
	v_mul_f64_e32 v[17:18], v[132:133], v[17:18]
	v_add_f64_e32 v[108:109], v[120:121], v[108:109]
	v_add_f64_e32 v[114:115], v[114:115], v[136:137]
	v_fma_f64 v[136:137], v[4:5], v[11:12], v[138:139]
	v_fma_f64 v[138:139], v[2:3], v[11:12], -v[13:14]
	ds_load_b128 v[2:5], v1 offset:896
	scratch_load_b128 v[11:14], off, off offset:496
	v_fma_f64 v[132:133], v[132:133], v[15:16], v[134:135]
	v_fma_f64 v[130:131], v[130:131], v[15:16], -v[17:18]
	scratch_load_b128 v[15:18], off, off offset:512
	v_add_f64_e32 v[108:109], v[108:109], v[122:123]
	v_add_f64_e32 v[114:115], v[114:115], v[124:125]
	ds_load_b128 v[120:123], v1 offset:912
	s_wait_loadcnt_dscnt 0x901
	v_mul_f64_e32 v[124:125], v[2:3], v[21:22]
	v_mul_f64_e32 v[21:22], v[4:5], v[21:22]
	s_wait_loadcnt_dscnt 0x800
	v_mul_f64_e32 v[134:135], v[120:121], v[94:95]
	v_mul_f64_e32 v[94:95], v[122:123], v[94:95]
	v_add_f64_e32 v[108:109], v[108:109], v[138:139]
	v_add_f64_e32 v[114:115], v[114:115], v[136:137]
	v_fma_f64 v[124:125], v[4:5], v[19:20], v[124:125]
	v_fma_f64 v[136:137], v[2:3], v[19:20], -v[21:22]
	ds_load_b128 v[2:5], v1 offset:928
	scratch_load_b128 v[19:22], off, off offset:528
	v_fma_f64 v[122:123], v[122:123], v[92:93], v[134:135]
	v_fma_f64 v[120:121], v[120:121], v[92:93], -v[94:95]
	scratch_load_b128 v[92:95], off, off offset:544
	v_add_f64_e32 v[108:109], v[108:109], v[130:131]
	v_add_f64_e32 v[114:115], v[114:115], v[132:133]
	ds_load_b128 v[130:133], v1 offset:944
	s_wait_loadcnt_dscnt 0x901
	v_mul_f64_e32 v[138:139], v[2:3], v[98:99]
	v_mul_f64_e32 v[98:99], v[4:5], v[98:99]
	v_add_f64_e32 v[108:109], v[108:109], v[136:137]
	v_add_f64_e32 v[114:115], v[114:115], v[124:125]
	s_wait_loadcnt_dscnt 0x800
	v_mul_f64_e32 v[124:125], v[130:131], v[102:103]
	v_mul_f64_e32 v[102:103], v[132:133], v[102:103]
	v_fma_f64 v[134:135], v[4:5], v[96:97], v[138:139]
	v_fma_f64 v[136:137], v[2:3], v[96:97], -v[98:99]
	ds_load_b128 v[2:5], v1 offset:960
	ds_load_b128 v[96:99], v1 offset:976
	v_add_f64_e32 v[108:109], v[108:109], v[120:121]
	v_add_f64_e32 v[114:115], v[114:115], v[122:123]
	s_wait_loadcnt_dscnt 0x701
	v_mul_f64_e32 v[120:121], v[2:3], v[106:107]
	v_mul_f64_e32 v[106:107], v[4:5], v[106:107]
	v_fma_f64 v[122:123], v[132:133], v[100:101], v[124:125]
	v_fma_f64 v[100:101], v[130:131], v[100:101], -v[102:103]
	v_add_f64_e32 v[102:103], v[108:109], v[136:137]
	v_add_f64_e32 v[108:109], v[114:115], v[134:135]
	s_wait_loadcnt_dscnt 0x600
	v_mul_f64_e32 v[114:115], v[96:97], v[112:113]
	v_mul_f64_e32 v[112:113], v[98:99], v[112:113]
	v_fma_f64 v[120:121], v[4:5], v[104:105], v[120:121]
	v_fma_f64 v[104:105], v[2:3], v[104:105], -v[106:107]
	v_add_f64_e32 v[106:107], v[102:103], v[100:101]
	v_add_f64_e32 v[108:109], v[108:109], v[122:123]
	ds_load_b128 v[2:5], v1 offset:992
	ds_load_b128 v[100:103], v1 offset:1008
	v_fma_f64 v[98:99], v[98:99], v[110:111], v[114:115]
	v_fma_f64 v[96:97], v[96:97], v[110:111], -v[112:113]
	s_wait_loadcnt_dscnt 0x401
	v_mul_f64_e32 v[122:123], v[2:3], v[128:129]
	v_mul_f64_e32 v[124:125], v[4:5], v[128:129]
	v_add_f64_e32 v[104:105], v[106:107], v[104:105]
	v_add_f64_e32 v[106:107], v[108:109], v[120:121]
	s_wait_dscnt 0x0
	v_mul_f64_e32 v[108:109], v[100:101], v[8:9]
	v_mul_f64_e32 v[8:9], v[102:103], v[8:9]
	v_fma_f64 v[110:111], v[4:5], v[126:127], v[122:123]
	v_fma_f64 v[112:113], v[2:3], v[126:127], -v[124:125]
	v_add_f64_e32 v[104:105], v[104:105], v[96:97]
	v_add_f64_e32 v[106:107], v[106:107], v[98:99]
	ds_load_b128 v[2:5], v1 offset:1024
	ds_load_b128 v[96:99], v1 offset:1040
	v_fma_f64 v[102:103], v[102:103], v[6:7], v[108:109]
	v_fma_f64 v[6:7], v[100:101], v[6:7], -v[8:9]
	s_wait_loadcnt_dscnt 0x301
	v_mul_f64_e32 v[114:115], v[2:3], v[13:14]
	v_mul_f64_e32 v[13:14], v[4:5], v[13:14]
	v_add_f64_e32 v[8:9], v[104:105], v[112:113]
	v_add_f64_e32 v[100:101], v[106:107], v[110:111]
	s_wait_loadcnt_dscnt 0x200
	v_mul_f64_e32 v[104:105], v[96:97], v[17:18]
	v_mul_f64_e32 v[17:18], v[98:99], v[17:18]
	v_fma_f64 v[106:107], v[4:5], v[11:12], v[114:115]
	v_fma_f64 v[11:12], v[2:3], v[11:12], -v[13:14]
	v_add_f64_e32 v[13:14], v[8:9], v[6:7]
	v_add_f64_e32 v[100:101], v[100:101], v[102:103]
	ds_load_b128 v[2:5], v1 offset:1056
	ds_load_b128 v[6:9], v1 offset:1072
	v_fma_f64 v[98:99], v[98:99], v[15:16], v[104:105]
	v_fma_f64 v[15:16], v[96:97], v[15:16], -v[17:18]
	s_wait_loadcnt_dscnt 0x101
	v_mul_f64_e32 v[102:103], v[2:3], v[21:22]
	v_mul_f64_e32 v[21:22], v[4:5], v[21:22]
	s_wait_loadcnt_dscnt 0x0
	v_mul_f64_e32 v[17:18], v[6:7], v[94:95]
	v_mul_f64_e32 v[94:95], v[8:9], v[94:95]
	v_add_f64_e32 v[11:12], v[13:14], v[11:12]
	v_add_f64_e32 v[13:14], v[100:101], v[106:107]
	v_fma_f64 v[4:5], v[4:5], v[19:20], v[102:103]
	v_fma_f64 v[1:2], v[2:3], v[19:20], -v[21:22]
	v_fma_f64 v[8:9], v[8:9], v[92:93], v[17:18]
	v_fma_f64 v[6:7], v[6:7], v[92:93], -v[94:95]
	v_add_f64_e32 v[11:12], v[11:12], v[15:16]
	v_add_f64_e32 v[13:14], v[13:14], v[98:99]
	s_delay_alu instid0(VALU_DEP_2) | instskip(NEXT) | instid1(VALU_DEP_2)
	v_add_f64_e32 v[1:2], v[11:12], v[1:2]
	v_add_f64_e32 v[3:4], v[13:14], v[4:5]
	s_delay_alu instid0(VALU_DEP_2) | instskip(NEXT) | instid1(VALU_DEP_2)
	;; [unrolled: 3-line block ×3, first 2 shown]
	v_add_f64_e64 v[1:2], v[116:117], -v[1:2]
	v_add_f64_e64 v[3:4], v[118:119], -v[3:4]
	scratch_store_b128 off, v[1:4], off offset:128
	v_cmpx_lt_u32_e32 6, v0
	s_cbranch_execz .LBB33_205
; %bb.204:
	scratch_load_b128 v[1:4], off, s41
	v_mov_b32_e32 v5, 0
	s_delay_alu instid0(VALU_DEP_1)
	v_dual_mov_b32 v6, v5 :: v_dual_mov_b32 v7, v5
	v_mov_b32_e32 v8, v5
	scratch_store_b128 off, v[5:8], off offset:112
	s_wait_loadcnt 0x0
	ds_store_b128 v10, v[1:4]
.LBB33_205:
	s_wait_alu 0xfffe
	s_or_b32 exec_lo, exec_lo, s0
	s_wait_storecnt_dscnt 0x0
	s_barrier_signal -1
	s_barrier_wait -1
	global_inv scope:SCOPE_SE
	s_clause 0x7
	scratch_load_b128 v[2:5], off, off offset:128
	scratch_load_b128 v[6:9], off, off offset:144
	;; [unrolled: 1-line block ×8, first 2 shown]
	v_mov_b32_e32 v1, 0
	s_mov_b32 s0, exec_lo
	ds_load_b128 v[104:107], v1 offset:656
	s_clause 0x1
	scratch_load_b128 v[108:111], off, off offset:256
	scratch_load_b128 v[112:115], off, off offset:112
	ds_load_b128 v[116:119], v1 offset:672
	scratch_load_b128 v[120:123], off, off offset:272
	s_wait_loadcnt_dscnt 0xa01
	v_mul_f64_e32 v[124:125], v[106:107], v[4:5]
	v_mul_f64_e32 v[4:5], v[104:105], v[4:5]
	s_delay_alu instid0(VALU_DEP_2) | instskip(NEXT) | instid1(VALU_DEP_2)
	v_fma_f64 v[130:131], v[104:105], v[2:3], -v[124:125]
	v_fma_f64 v[132:133], v[106:107], v[2:3], v[4:5]
	ds_load_b128 v[2:5], v1 offset:688
	s_wait_loadcnt_dscnt 0x901
	v_mul_f64_e32 v[128:129], v[116:117], v[8:9]
	v_mul_f64_e32 v[8:9], v[118:119], v[8:9]
	scratch_load_b128 v[104:107], off, off offset:288
	ds_load_b128 v[124:127], v1 offset:704
	s_wait_loadcnt_dscnt 0x901
	v_mul_f64_e32 v[134:135], v[2:3], v[13:14]
	v_mul_f64_e32 v[13:14], v[4:5], v[13:14]
	v_fma_f64 v[118:119], v[118:119], v[6:7], v[128:129]
	v_fma_f64 v[116:117], v[116:117], v[6:7], -v[8:9]
	v_add_f64_e32 v[128:129], 0, v[130:131]
	v_add_f64_e32 v[130:131], 0, v[132:133]
	scratch_load_b128 v[6:9], off, off offset:304
	v_fma_f64 v[134:135], v[4:5], v[11:12], v[134:135]
	v_fma_f64 v[136:137], v[2:3], v[11:12], -v[13:14]
	ds_load_b128 v[2:5], v1 offset:720
	s_wait_loadcnt_dscnt 0x901
	v_mul_f64_e32 v[132:133], v[124:125], v[17:18]
	v_mul_f64_e32 v[17:18], v[126:127], v[17:18]
	scratch_load_b128 v[11:14], off, off offset:320
	v_add_f64_e32 v[128:129], v[128:129], v[116:117]
	v_add_f64_e32 v[130:131], v[130:131], v[118:119]
	s_wait_loadcnt_dscnt 0x900
	v_mul_f64_e32 v[138:139], v[2:3], v[21:22]
	v_mul_f64_e32 v[21:22], v[4:5], v[21:22]
	ds_load_b128 v[116:119], v1 offset:736
	v_fma_f64 v[126:127], v[126:127], v[15:16], v[132:133]
	v_fma_f64 v[124:125], v[124:125], v[15:16], -v[17:18]
	scratch_load_b128 v[15:18], off, off offset:336
	v_add_f64_e32 v[128:129], v[128:129], v[136:137]
	v_add_f64_e32 v[130:131], v[130:131], v[134:135]
	v_fma_f64 v[134:135], v[4:5], v[19:20], v[138:139]
	v_fma_f64 v[136:137], v[2:3], v[19:20], -v[21:22]
	ds_load_b128 v[2:5], v1 offset:752
	s_wait_loadcnt_dscnt 0x901
	v_mul_f64_e32 v[132:133], v[116:117], v[94:95]
	v_mul_f64_e32 v[94:95], v[118:119], v[94:95]
	scratch_load_b128 v[19:22], off, off offset:352
	s_wait_loadcnt_dscnt 0x900
	v_mul_f64_e32 v[138:139], v[2:3], v[98:99]
	v_mul_f64_e32 v[98:99], v[4:5], v[98:99]
	v_add_f64_e32 v[128:129], v[128:129], v[124:125]
	v_add_f64_e32 v[130:131], v[130:131], v[126:127]
	ds_load_b128 v[124:127], v1 offset:768
	v_fma_f64 v[118:119], v[118:119], v[92:93], v[132:133]
	v_fma_f64 v[116:117], v[116:117], v[92:93], -v[94:95]
	scratch_load_b128 v[92:95], off, off offset:368
	v_add_f64_e32 v[128:129], v[128:129], v[136:137]
	v_add_f64_e32 v[130:131], v[130:131], v[134:135]
	v_fma_f64 v[134:135], v[4:5], v[96:97], v[138:139]
	v_fma_f64 v[136:137], v[2:3], v[96:97], -v[98:99]
	ds_load_b128 v[2:5], v1 offset:784
	s_wait_loadcnt_dscnt 0x901
	v_mul_f64_e32 v[132:133], v[124:125], v[102:103]
	v_mul_f64_e32 v[102:103], v[126:127], v[102:103]
	scratch_load_b128 v[96:99], off, off offset:384
	s_wait_loadcnt_dscnt 0x900
	v_mul_f64_e32 v[138:139], v[2:3], v[110:111]
	v_mul_f64_e32 v[110:111], v[4:5], v[110:111]
	v_add_f64_e32 v[128:129], v[128:129], v[116:117]
	v_add_f64_e32 v[130:131], v[130:131], v[118:119]
	ds_load_b128 v[116:119], v1 offset:800
	v_fma_f64 v[126:127], v[126:127], v[100:101], v[132:133]
	v_fma_f64 v[124:125], v[124:125], v[100:101], -v[102:103]
	scratch_load_b128 v[100:103], off, off offset:400
	v_add_f64_e32 v[128:129], v[128:129], v[136:137]
	v_add_f64_e32 v[130:131], v[130:131], v[134:135]
	v_fma_f64 v[136:137], v[4:5], v[108:109], v[138:139]
	v_fma_f64 v[138:139], v[2:3], v[108:109], -v[110:111]
	ds_load_b128 v[2:5], v1 offset:816
	s_wait_loadcnt_dscnt 0x801
	v_mul_f64_e32 v[132:133], v[116:117], v[122:123]
	v_mul_f64_e32 v[134:135], v[118:119], v[122:123]
	scratch_load_b128 v[108:111], off, off offset:416
	v_add_f64_e32 v[128:129], v[128:129], v[124:125]
	v_add_f64_e32 v[126:127], v[130:131], v[126:127]
	ds_load_b128 v[122:125], v1 offset:832
	v_fma_f64 v[132:133], v[118:119], v[120:121], v[132:133]
	v_fma_f64 v[120:121], v[116:117], v[120:121], -v[134:135]
	scratch_load_b128 v[116:119], off, off offset:432
	s_wait_loadcnt_dscnt 0x901
	v_mul_f64_e32 v[130:131], v[2:3], v[106:107]
	v_mul_f64_e32 v[106:107], v[4:5], v[106:107]
	v_add_f64_e32 v[128:129], v[128:129], v[138:139]
	v_add_f64_e32 v[126:127], v[126:127], v[136:137]
	s_delay_alu instid0(VALU_DEP_4) | instskip(NEXT) | instid1(VALU_DEP_4)
	v_fma_f64 v[130:131], v[4:5], v[104:105], v[130:131]
	v_fma_f64 v[136:137], v[2:3], v[104:105], -v[106:107]
	ds_load_b128 v[2:5], v1 offset:848
	s_wait_loadcnt_dscnt 0x801
	v_mul_f64_e32 v[134:135], v[122:123], v[8:9]
	v_mul_f64_e32 v[8:9], v[124:125], v[8:9]
	scratch_load_b128 v[104:107], off, off offset:448
	s_wait_loadcnt_dscnt 0x800
	v_mul_f64_e32 v[138:139], v[2:3], v[13:14]
	v_add_f64_e32 v[120:121], v[128:129], v[120:121]
	v_add_f64_e32 v[132:133], v[126:127], v[132:133]
	v_mul_f64_e32 v[13:14], v[4:5], v[13:14]
	ds_load_b128 v[126:129], v1 offset:864
	v_fma_f64 v[124:125], v[124:125], v[6:7], v[134:135]
	v_fma_f64 v[122:123], v[122:123], v[6:7], -v[8:9]
	scratch_load_b128 v[6:9], off, off offset:464
	v_fma_f64 v[134:135], v[4:5], v[11:12], v[138:139]
	v_add_f64_e32 v[120:121], v[120:121], v[136:137]
	v_add_f64_e32 v[130:131], v[132:133], v[130:131]
	v_fma_f64 v[136:137], v[2:3], v[11:12], -v[13:14]
	ds_load_b128 v[2:5], v1 offset:880
	s_wait_loadcnt_dscnt 0x801
	v_mul_f64_e32 v[132:133], v[126:127], v[17:18]
	v_mul_f64_e32 v[17:18], v[128:129], v[17:18]
	scratch_load_b128 v[11:14], off, off offset:480
	v_add_f64_e32 v[138:139], v[120:121], v[122:123]
	v_add_f64_e32 v[124:125], v[130:131], v[124:125]
	s_wait_loadcnt_dscnt 0x800
	v_mul_f64_e32 v[130:131], v[2:3], v[21:22]
	v_mul_f64_e32 v[21:22], v[4:5], v[21:22]
	v_fma_f64 v[128:129], v[128:129], v[15:16], v[132:133]
	v_fma_f64 v[126:127], v[126:127], v[15:16], -v[17:18]
	ds_load_b128 v[120:123], v1 offset:896
	scratch_load_b128 v[15:18], off, off offset:496
	v_add_f64_e32 v[132:133], v[138:139], v[136:137]
	v_add_f64_e32 v[124:125], v[124:125], v[134:135]
	v_fma_f64 v[130:131], v[4:5], v[19:20], v[130:131]
	v_fma_f64 v[136:137], v[2:3], v[19:20], -v[21:22]
	ds_load_b128 v[2:5], v1 offset:912
	s_wait_loadcnt_dscnt 0x801
	v_mul_f64_e32 v[134:135], v[120:121], v[94:95]
	v_mul_f64_e32 v[94:95], v[122:123], v[94:95]
	scratch_load_b128 v[19:22], off, off offset:512
	s_wait_loadcnt_dscnt 0x800
	v_mul_f64_e32 v[138:139], v[2:3], v[98:99]
	v_mul_f64_e32 v[98:99], v[4:5], v[98:99]
	v_add_f64_e32 v[132:133], v[132:133], v[126:127]
	v_add_f64_e32 v[128:129], v[124:125], v[128:129]
	ds_load_b128 v[124:127], v1 offset:928
	v_fma_f64 v[122:123], v[122:123], v[92:93], v[134:135]
	v_fma_f64 v[120:121], v[120:121], v[92:93], -v[94:95]
	scratch_load_b128 v[92:95], off, off offset:528
	v_fma_f64 v[134:135], v[4:5], v[96:97], v[138:139]
	v_add_f64_e32 v[132:133], v[132:133], v[136:137]
	v_add_f64_e32 v[128:129], v[128:129], v[130:131]
	v_fma_f64 v[136:137], v[2:3], v[96:97], -v[98:99]
	ds_load_b128 v[2:5], v1 offset:944
	s_wait_loadcnt_dscnt 0x801
	v_mul_f64_e32 v[130:131], v[124:125], v[102:103]
	v_mul_f64_e32 v[102:103], v[126:127], v[102:103]
	scratch_load_b128 v[96:99], off, off offset:544
	s_wait_loadcnt_dscnt 0x800
	v_mul_f64_e32 v[138:139], v[2:3], v[110:111]
	v_mul_f64_e32 v[110:111], v[4:5], v[110:111]
	v_add_f64_e32 v[132:133], v[132:133], v[120:121]
	v_add_f64_e32 v[128:129], v[128:129], v[122:123]
	ds_load_b128 v[120:123], v1 offset:960
	v_fma_f64 v[126:127], v[126:127], v[100:101], v[130:131]
	v_fma_f64 v[100:101], v[124:125], v[100:101], -v[102:103]
	v_fma_f64 v[130:131], v[4:5], v[108:109], v[138:139]
	v_fma_f64 v[108:109], v[2:3], v[108:109], -v[110:111]
	v_add_f64_e32 v[102:103], v[132:133], v[136:137]
	v_add_f64_e32 v[124:125], v[128:129], v[134:135]
	s_wait_loadcnt_dscnt 0x700
	v_mul_f64_e32 v[128:129], v[120:121], v[118:119]
	v_mul_f64_e32 v[118:119], v[122:123], v[118:119]
	s_delay_alu instid0(VALU_DEP_4) | instskip(NEXT) | instid1(VALU_DEP_4)
	v_add_f64_e32 v[110:111], v[102:103], v[100:101]
	v_add_f64_e32 v[124:125], v[124:125], v[126:127]
	ds_load_b128 v[2:5], v1 offset:976
	ds_load_b128 v[100:103], v1 offset:992
	v_fma_f64 v[122:123], v[122:123], v[116:117], v[128:129]
	v_fma_f64 v[116:117], v[120:121], v[116:117], -v[118:119]
	s_wait_loadcnt_dscnt 0x601
	v_mul_f64_e32 v[126:127], v[2:3], v[106:107]
	v_mul_f64_e32 v[106:107], v[4:5], v[106:107]
	s_wait_loadcnt_dscnt 0x500
	v_mul_f64_e32 v[118:119], v[100:101], v[8:9]
	v_mul_f64_e32 v[8:9], v[102:103], v[8:9]
	v_add_f64_e32 v[108:109], v[110:111], v[108:109]
	v_add_f64_e32 v[110:111], v[124:125], v[130:131]
	v_fma_f64 v[120:121], v[4:5], v[104:105], v[126:127]
	v_fma_f64 v[124:125], v[2:3], v[104:105], -v[106:107]
	ds_load_b128 v[2:5], v1 offset:1008
	ds_load_b128 v[104:107], v1 offset:1024
	v_fma_f64 v[102:103], v[102:103], v[6:7], v[118:119]
	v_fma_f64 v[6:7], v[100:101], v[6:7], -v[8:9]
	v_add_f64_e32 v[108:109], v[108:109], v[116:117]
	v_add_f64_e32 v[110:111], v[110:111], v[122:123]
	s_wait_loadcnt_dscnt 0x401
	v_mul_f64_e32 v[116:117], v[2:3], v[13:14]
	v_mul_f64_e32 v[13:14], v[4:5], v[13:14]
	s_delay_alu instid0(VALU_DEP_4) | instskip(NEXT) | instid1(VALU_DEP_4)
	v_add_f64_e32 v[8:9], v[108:109], v[124:125]
	v_add_f64_e32 v[100:101], v[110:111], v[120:121]
	s_wait_loadcnt_dscnt 0x300
	v_mul_f64_e32 v[108:109], v[104:105], v[17:18]
	v_mul_f64_e32 v[17:18], v[106:107], v[17:18]
	v_fma_f64 v[110:111], v[4:5], v[11:12], v[116:117]
	v_fma_f64 v[11:12], v[2:3], v[11:12], -v[13:14]
	v_add_f64_e32 v[13:14], v[8:9], v[6:7]
	v_add_f64_e32 v[100:101], v[100:101], v[102:103]
	ds_load_b128 v[2:5], v1 offset:1040
	ds_load_b128 v[6:9], v1 offset:1056
	v_fma_f64 v[106:107], v[106:107], v[15:16], v[108:109]
	v_fma_f64 v[15:16], v[104:105], v[15:16], -v[17:18]
	s_wait_loadcnt_dscnt 0x201
	v_mul_f64_e32 v[102:103], v[2:3], v[21:22]
	v_mul_f64_e32 v[21:22], v[4:5], v[21:22]
	s_wait_loadcnt_dscnt 0x100
	v_mul_f64_e32 v[17:18], v[6:7], v[94:95]
	v_mul_f64_e32 v[94:95], v[8:9], v[94:95]
	v_add_f64_e32 v[11:12], v[13:14], v[11:12]
	v_add_f64_e32 v[13:14], v[100:101], v[110:111]
	v_fma_f64 v[100:101], v[4:5], v[19:20], v[102:103]
	v_fma_f64 v[19:20], v[2:3], v[19:20], -v[21:22]
	ds_load_b128 v[2:5], v1 offset:1072
	v_fma_f64 v[8:9], v[8:9], v[92:93], v[17:18]
	v_fma_f64 v[6:7], v[6:7], v[92:93], -v[94:95]
	v_add_f64_e32 v[11:12], v[11:12], v[15:16]
	v_add_f64_e32 v[13:14], v[13:14], v[106:107]
	s_wait_loadcnt_dscnt 0x0
	v_mul_f64_e32 v[15:16], v[2:3], v[98:99]
	v_mul_f64_e32 v[21:22], v[4:5], v[98:99]
	s_delay_alu instid0(VALU_DEP_4) | instskip(NEXT) | instid1(VALU_DEP_4)
	v_add_f64_e32 v[11:12], v[11:12], v[19:20]
	v_add_f64_e32 v[13:14], v[13:14], v[100:101]
	s_delay_alu instid0(VALU_DEP_4) | instskip(NEXT) | instid1(VALU_DEP_4)
	v_fma_f64 v[4:5], v[4:5], v[96:97], v[15:16]
	v_fma_f64 v[2:3], v[2:3], v[96:97], -v[21:22]
	s_delay_alu instid0(VALU_DEP_4) | instskip(NEXT) | instid1(VALU_DEP_4)
	v_add_f64_e32 v[6:7], v[11:12], v[6:7]
	v_add_f64_e32 v[8:9], v[13:14], v[8:9]
	s_delay_alu instid0(VALU_DEP_2) | instskip(NEXT) | instid1(VALU_DEP_2)
	v_add_f64_e32 v[2:3], v[6:7], v[2:3]
	v_add_f64_e32 v[4:5], v[8:9], v[4:5]
	s_delay_alu instid0(VALU_DEP_2) | instskip(NEXT) | instid1(VALU_DEP_2)
	v_add_f64_e64 v[2:3], v[112:113], -v[2:3]
	v_add_f64_e64 v[4:5], v[114:115], -v[4:5]
	scratch_store_b128 off, v[2:5], off offset:112
	v_cmpx_lt_u32_e32 5, v0
	s_cbranch_execz .LBB33_207
; %bb.206:
	scratch_load_b128 v[5:8], off, s42
	v_dual_mov_b32 v2, v1 :: v_dual_mov_b32 v3, v1
	v_mov_b32_e32 v4, v1
	scratch_store_b128 off, v[1:4], off offset:96
	s_wait_loadcnt 0x0
	ds_store_b128 v10, v[5:8]
.LBB33_207:
	s_wait_alu 0xfffe
	s_or_b32 exec_lo, exec_lo, s0
	s_wait_storecnt_dscnt 0x0
	s_barrier_signal -1
	s_barrier_wait -1
	global_inv scope:SCOPE_SE
	s_clause 0x8
	scratch_load_b128 v[2:5], off, off offset:112
	scratch_load_b128 v[6:9], off, off offset:128
	;; [unrolled: 1-line block ×9, first 2 shown]
	ds_load_b128 v[108:111], v1 offset:640
	ds_load_b128 v[112:115], v1 offset:656
	s_clause 0x1
	scratch_load_b128 v[116:119], off, off offset:96
	scratch_load_b128 v[120:123], off, off offset:256
	s_mov_b32 s0, exec_lo
	s_wait_loadcnt_dscnt 0xa01
	v_mul_f64_e32 v[124:125], v[110:111], v[4:5]
	v_mul_f64_e32 v[4:5], v[108:109], v[4:5]
	s_wait_loadcnt_dscnt 0x900
	v_mul_f64_e32 v[128:129], v[112:113], v[8:9]
	v_mul_f64_e32 v[8:9], v[114:115], v[8:9]
	s_delay_alu instid0(VALU_DEP_4) | instskip(NEXT) | instid1(VALU_DEP_4)
	v_fma_f64 v[130:131], v[108:109], v[2:3], -v[124:125]
	v_fma_f64 v[132:133], v[110:111], v[2:3], v[4:5]
	ds_load_b128 v[2:5], v1 offset:672
	ds_load_b128 v[124:127], v1 offset:688
	scratch_load_b128 v[108:111], off, off offset:272
	v_fma_f64 v[114:115], v[114:115], v[6:7], v[128:129]
	v_fma_f64 v[112:113], v[112:113], v[6:7], -v[8:9]
	scratch_load_b128 v[6:9], off, off offset:288
	s_wait_loadcnt_dscnt 0xa01
	v_mul_f64_e32 v[134:135], v[2:3], v[13:14]
	v_mul_f64_e32 v[13:14], v[4:5], v[13:14]
	v_add_f64_e32 v[128:129], 0, v[130:131]
	v_add_f64_e32 v[130:131], 0, v[132:133]
	s_wait_loadcnt_dscnt 0x900
	v_mul_f64_e32 v[132:133], v[124:125], v[17:18]
	v_mul_f64_e32 v[17:18], v[126:127], v[17:18]
	v_fma_f64 v[134:135], v[4:5], v[11:12], v[134:135]
	v_fma_f64 v[136:137], v[2:3], v[11:12], -v[13:14]
	ds_load_b128 v[2:5], v1 offset:704
	scratch_load_b128 v[11:14], off, off offset:304
	v_add_f64_e32 v[128:129], v[128:129], v[112:113]
	v_add_f64_e32 v[130:131], v[130:131], v[114:115]
	ds_load_b128 v[112:115], v1 offset:720
	v_fma_f64 v[126:127], v[126:127], v[15:16], v[132:133]
	v_fma_f64 v[124:125], v[124:125], v[15:16], -v[17:18]
	scratch_load_b128 v[15:18], off, off offset:320
	s_wait_loadcnt_dscnt 0xa01
	v_mul_f64_e32 v[138:139], v[2:3], v[21:22]
	v_mul_f64_e32 v[21:22], v[4:5], v[21:22]
	s_wait_loadcnt_dscnt 0x900
	v_mul_f64_e32 v[132:133], v[112:113], v[94:95]
	v_mul_f64_e32 v[94:95], v[114:115], v[94:95]
	v_add_f64_e32 v[128:129], v[128:129], v[136:137]
	v_add_f64_e32 v[130:131], v[130:131], v[134:135]
	v_fma_f64 v[134:135], v[4:5], v[19:20], v[138:139]
	v_fma_f64 v[136:137], v[2:3], v[19:20], -v[21:22]
	ds_load_b128 v[2:5], v1 offset:736
	scratch_load_b128 v[19:22], off, off offset:336
	v_fma_f64 v[114:115], v[114:115], v[92:93], v[132:133]
	v_fma_f64 v[112:113], v[112:113], v[92:93], -v[94:95]
	scratch_load_b128 v[92:95], off, off offset:352
	v_add_f64_e32 v[128:129], v[128:129], v[124:125]
	v_add_f64_e32 v[130:131], v[130:131], v[126:127]
	ds_load_b128 v[124:127], v1 offset:752
	s_wait_loadcnt_dscnt 0xa01
	v_mul_f64_e32 v[138:139], v[2:3], v[98:99]
	v_mul_f64_e32 v[98:99], v[4:5], v[98:99]
	s_wait_loadcnt_dscnt 0x900
	v_mul_f64_e32 v[132:133], v[124:125], v[102:103]
	v_mul_f64_e32 v[102:103], v[126:127], v[102:103]
	v_add_f64_e32 v[128:129], v[128:129], v[136:137]
	v_add_f64_e32 v[130:131], v[130:131], v[134:135]
	v_fma_f64 v[134:135], v[4:5], v[96:97], v[138:139]
	v_fma_f64 v[136:137], v[2:3], v[96:97], -v[98:99]
	ds_load_b128 v[2:5], v1 offset:768
	scratch_load_b128 v[96:99], off, off offset:368
	v_fma_f64 v[126:127], v[126:127], v[100:101], v[132:133]
	v_fma_f64 v[124:125], v[124:125], v[100:101], -v[102:103]
	scratch_load_b128 v[100:103], off, off offset:384
	v_add_f64_e32 v[128:129], v[128:129], v[112:113]
	v_add_f64_e32 v[130:131], v[130:131], v[114:115]
	ds_load_b128 v[112:115], v1 offset:784
	s_wait_loadcnt_dscnt 0xa01
	v_mul_f64_e32 v[138:139], v[2:3], v[106:107]
	v_mul_f64_e32 v[106:107], v[4:5], v[106:107]
	s_wait_loadcnt_dscnt 0x800
	v_mul_f64_e32 v[132:133], v[112:113], v[122:123]
	v_add_f64_e32 v[128:129], v[128:129], v[136:137]
	v_add_f64_e32 v[130:131], v[130:131], v[134:135]
	v_mul_f64_e32 v[134:135], v[114:115], v[122:123]
	v_fma_f64 v[136:137], v[4:5], v[104:105], v[138:139]
	v_fma_f64 v[138:139], v[2:3], v[104:105], -v[106:107]
	ds_load_b128 v[2:5], v1 offset:800
	scratch_load_b128 v[104:107], off, off offset:400
	v_fma_f64 v[114:115], v[114:115], v[120:121], v[132:133]
	v_add_f64_e32 v[128:129], v[128:129], v[124:125]
	v_add_f64_e32 v[126:127], v[130:131], v[126:127]
	ds_load_b128 v[122:125], v1 offset:816
	v_fma_f64 v[120:121], v[112:113], v[120:121], -v[134:135]
	s_wait_loadcnt_dscnt 0x801
	v_mul_f64_e32 v[130:131], v[2:3], v[110:111]
	v_mul_f64_e32 v[140:141], v[4:5], v[110:111]
	scratch_load_b128 v[110:113], off, off offset:416
	s_wait_loadcnt_dscnt 0x800
	v_mul_f64_e32 v[134:135], v[122:123], v[8:9]
	v_mul_f64_e32 v[8:9], v[124:125], v[8:9]
	v_add_f64_e32 v[128:129], v[128:129], v[138:139]
	v_add_f64_e32 v[126:127], v[126:127], v[136:137]
	v_fma_f64 v[136:137], v[4:5], v[108:109], v[130:131]
	v_fma_f64 v[108:109], v[2:3], v[108:109], -v[140:141]
	ds_load_b128 v[2:5], v1 offset:832
	ds_load_b128 v[130:133], v1 offset:848
	v_fma_f64 v[124:125], v[124:125], v[6:7], v[134:135]
	v_fma_f64 v[122:123], v[122:123], v[6:7], -v[8:9]
	scratch_load_b128 v[6:9], off, off offset:448
	v_add_f64_e32 v[120:121], v[128:129], v[120:121]
	v_add_f64_e32 v[114:115], v[126:127], v[114:115]
	scratch_load_b128 v[126:129], off, off offset:432
	s_wait_loadcnt_dscnt 0x901
	v_mul_f64_e32 v[138:139], v[2:3], v[13:14]
	v_mul_f64_e32 v[13:14], v[4:5], v[13:14]
	s_wait_loadcnt_dscnt 0x800
	v_mul_f64_e32 v[134:135], v[130:131], v[17:18]
	v_mul_f64_e32 v[17:18], v[132:133], v[17:18]
	v_add_f64_e32 v[108:109], v[120:121], v[108:109]
	v_add_f64_e32 v[114:115], v[114:115], v[136:137]
	v_fma_f64 v[136:137], v[4:5], v[11:12], v[138:139]
	v_fma_f64 v[138:139], v[2:3], v[11:12], -v[13:14]
	ds_load_b128 v[2:5], v1 offset:864
	scratch_load_b128 v[11:14], off, off offset:464
	v_fma_f64 v[132:133], v[132:133], v[15:16], v[134:135]
	v_fma_f64 v[130:131], v[130:131], v[15:16], -v[17:18]
	scratch_load_b128 v[15:18], off, off offset:480
	v_add_f64_e32 v[108:109], v[108:109], v[122:123]
	v_add_f64_e32 v[114:115], v[114:115], v[124:125]
	ds_load_b128 v[120:123], v1 offset:880
	s_wait_loadcnt_dscnt 0x901
	v_mul_f64_e32 v[124:125], v[2:3], v[21:22]
	v_mul_f64_e32 v[21:22], v[4:5], v[21:22]
	s_wait_loadcnt_dscnt 0x800
	v_mul_f64_e32 v[134:135], v[120:121], v[94:95]
	v_mul_f64_e32 v[94:95], v[122:123], v[94:95]
	v_add_f64_e32 v[108:109], v[108:109], v[138:139]
	v_add_f64_e32 v[114:115], v[114:115], v[136:137]
	v_fma_f64 v[124:125], v[4:5], v[19:20], v[124:125]
	v_fma_f64 v[136:137], v[2:3], v[19:20], -v[21:22]
	ds_load_b128 v[2:5], v1 offset:896
	scratch_load_b128 v[19:22], off, off offset:496
	v_fma_f64 v[122:123], v[122:123], v[92:93], v[134:135]
	v_fma_f64 v[120:121], v[120:121], v[92:93], -v[94:95]
	scratch_load_b128 v[92:95], off, off offset:512
	v_add_f64_e32 v[108:109], v[108:109], v[130:131]
	v_add_f64_e32 v[114:115], v[114:115], v[132:133]
	ds_load_b128 v[130:133], v1 offset:912
	s_wait_loadcnt_dscnt 0x901
	v_mul_f64_e32 v[138:139], v[2:3], v[98:99]
	v_mul_f64_e32 v[98:99], v[4:5], v[98:99]
	v_add_f64_e32 v[108:109], v[108:109], v[136:137]
	v_add_f64_e32 v[114:115], v[114:115], v[124:125]
	s_wait_loadcnt_dscnt 0x800
	v_mul_f64_e32 v[124:125], v[130:131], v[102:103]
	v_mul_f64_e32 v[102:103], v[132:133], v[102:103]
	v_fma_f64 v[134:135], v[4:5], v[96:97], v[138:139]
	v_fma_f64 v[136:137], v[2:3], v[96:97], -v[98:99]
	ds_load_b128 v[2:5], v1 offset:928
	scratch_load_b128 v[96:99], off, off offset:528
	v_add_f64_e32 v[108:109], v[108:109], v[120:121]
	v_add_f64_e32 v[114:115], v[114:115], v[122:123]
	ds_load_b128 v[120:123], v1 offset:944
	s_wait_loadcnt_dscnt 0x801
	v_mul_f64_e32 v[138:139], v[2:3], v[106:107]
	v_mul_f64_e32 v[106:107], v[4:5], v[106:107]
	v_fma_f64 v[124:125], v[132:133], v[100:101], v[124:125]
	v_fma_f64 v[130:131], v[130:131], v[100:101], -v[102:103]
	scratch_load_b128 v[100:103], off, off offset:544
	s_wait_loadcnt_dscnt 0x800
	v_mul_f64_e32 v[132:133], v[120:121], v[112:113]
	v_add_f64_e32 v[108:109], v[108:109], v[136:137]
	v_add_f64_e32 v[114:115], v[114:115], v[134:135]
	v_mul_f64_e32 v[112:113], v[122:123], v[112:113]
	v_fma_f64 v[134:135], v[4:5], v[104:105], v[138:139]
	v_fma_f64 v[136:137], v[2:3], v[104:105], -v[106:107]
	ds_load_b128 v[2:5], v1 offset:960
	ds_load_b128 v[104:107], v1 offset:976
	v_fma_f64 v[122:123], v[122:123], v[110:111], v[132:133]
	v_add_f64_e32 v[108:109], v[108:109], v[130:131]
	v_add_f64_e32 v[114:115], v[114:115], v[124:125]
	v_fma_f64 v[110:111], v[120:121], v[110:111], -v[112:113]
	s_wait_loadcnt_dscnt 0x601
	v_mul_f64_e32 v[124:125], v[2:3], v[128:129]
	v_mul_f64_e32 v[128:129], v[4:5], v[128:129]
	v_add_f64_e32 v[108:109], v[108:109], v[136:137]
	v_add_f64_e32 v[112:113], v[114:115], v[134:135]
	s_wait_dscnt 0x0
	v_mul_f64_e32 v[114:115], v[104:105], v[8:9]
	v_mul_f64_e32 v[8:9], v[106:107], v[8:9]
	v_fma_f64 v[120:121], v[4:5], v[126:127], v[124:125]
	v_fma_f64 v[124:125], v[2:3], v[126:127], -v[128:129]
	v_add_f64_e32 v[126:127], v[108:109], v[110:111]
	v_add_f64_e32 v[112:113], v[112:113], v[122:123]
	ds_load_b128 v[2:5], v1 offset:992
	ds_load_b128 v[108:111], v1 offset:1008
	v_fma_f64 v[106:107], v[106:107], v[6:7], v[114:115]
	v_fma_f64 v[6:7], v[104:105], v[6:7], -v[8:9]
	s_wait_loadcnt_dscnt 0x501
	v_mul_f64_e32 v[122:123], v[2:3], v[13:14]
	v_mul_f64_e32 v[13:14], v[4:5], v[13:14]
	v_add_f64_e32 v[8:9], v[126:127], v[124:125]
	v_add_f64_e32 v[104:105], v[112:113], v[120:121]
	s_wait_loadcnt_dscnt 0x400
	v_mul_f64_e32 v[112:113], v[108:109], v[17:18]
	v_mul_f64_e32 v[17:18], v[110:111], v[17:18]
	v_fma_f64 v[114:115], v[4:5], v[11:12], v[122:123]
	v_fma_f64 v[11:12], v[2:3], v[11:12], -v[13:14]
	v_add_f64_e32 v[13:14], v[8:9], v[6:7]
	v_add_f64_e32 v[104:105], v[104:105], v[106:107]
	ds_load_b128 v[2:5], v1 offset:1024
	ds_load_b128 v[6:9], v1 offset:1040
	v_fma_f64 v[110:111], v[110:111], v[15:16], v[112:113]
	v_fma_f64 v[15:16], v[108:109], v[15:16], -v[17:18]
	s_wait_loadcnt_dscnt 0x301
	v_mul_f64_e32 v[106:107], v[2:3], v[21:22]
	v_mul_f64_e32 v[21:22], v[4:5], v[21:22]
	s_wait_loadcnt_dscnt 0x200
	v_mul_f64_e32 v[17:18], v[6:7], v[94:95]
	v_mul_f64_e32 v[94:95], v[8:9], v[94:95]
	v_add_f64_e32 v[11:12], v[13:14], v[11:12]
	v_add_f64_e32 v[13:14], v[104:105], v[114:115]
	v_fma_f64 v[104:105], v[4:5], v[19:20], v[106:107]
	v_fma_f64 v[19:20], v[2:3], v[19:20], -v[21:22]
	v_fma_f64 v[8:9], v[8:9], v[92:93], v[17:18]
	v_fma_f64 v[6:7], v[6:7], v[92:93], -v[94:95]
	v_add_f64_e32 v[15:16], v[11:12], v[15:16]
	v_add_f64_e32 v[21:22], v[13:14], v[110:111]
	ds_load_b128 v[2:5], v1 offset:1056
	ds_load_b128 v[11:14], v1 offset:1072
	s_wait_loadcnt_dscnt 0x101
	v_mul_f64_e32 v[106:107], v[2:3], v[98:99]
	v_mul_f64_e32 v[98:99], v[4:5], v[98:99]
	v_add_f64_e32 v[15:16], v[15:16], v[19:20]
	v_add_f64_e32 v[17:18], v[21:22], v[104:105]
	s_wait_loadcnt_dscnt 0x0
	v_mul_f64_e32 v[19:20], v[11:12], v[102:103]
	v_mul_f64_e32 v[21:22], v[13:14], v[102:103]
	v_fma_f64 v[4:5], v[4:5], v[96:97], v[106:107]
	v_fma_f64 v[1:2], v[2:3], v[96:97], -v[98:99]
	v_add_f64_e32 v[6:7], v[15:16], v[6:7]
	v_add_f64_e32 v[8:9], v[17:18], v[8:9]
	v_fma_f64 v[13:14], v[13:14], v[100:101], v[19:20]
	v_fma_f64 v[11:12], v[11:12], v[100:101], -v[21:22]
	s_delay_alu instid0(VALU_DEP_4) | instskip(NEXT) | instid1(VALU_DEP_4)
	v_add_f64_e32 v[1:2], v[6:7], v[1:2]
	v_add_f64_e32 v[3:4], v[8:9], v[4:5]
	s_delay_alu instid0(VALU_DEP_2) | instskip(NEXT) | instid1(VALU_DEP_2)
	v_add_f64_e32 v[1:2], v[1:2], v[11:12]
	v_add_f64_e32 v[3:4], v[3:4], v[13:14]
	s_delay_alu instid0(VALU_DEP_2) | instskip(NEXT) | instid1(VALU_DEP_2)
	v_add_f64_e64 v[1:2], v[116:117], -v[1:2]
	v_add_f64_e64 v[3:4], v[118:119], -v[3:4]
	scratch_store_b128 off, v[1:4], off offset:96
	v_cmpx_lt_u32_e32 4, v0
	s_cbranch_execz .LBB33_209
; %bb.208:
	scratch_load_b128 v[1:4], off, s25
	v_mov_b32_e32 v5, 0
	s_delay_alu instid0(VALU_DEP_1)
	v_dual_mov_b32 v6, v5 :: v_dual_mov_b32 v7, v5
	v_mov_b32_e32 v8, v5
	scratch_store_b128 off, v[5:8], off offset:80
	s_wait_loadcnt 0x0
	ds_store_b128 v10, v[1:4]
.LBB33_209:
	s_wait_alu 0xfffe
	s_or_b32 exec_lo, exec_lo, s0
	s_wait_storecnt_dscnt 0x0
	s_barrier_signal -1
	s_barrier_wait -1
	global_inv scope:SCOPE_SE
	s_clause 0x7
	scratch_load_b128 v[2:5], off, off offset:96
	scratch_load_b128 v[6:9], off, off offset:112
	;; [unrolled: 1-line block ×8, first 2 shown]
	v_mov_b32_e32 v1, 0
	s_mov_b32 s0, exec_lo
	ds_load_b128 v[104:107], v1 offset:624
	s_clause 0x1
	scratch_load_b128 v[108:111], off, off offset:224
	scratch_load_b128 v[112:115], off, off offset:80
	ds_load_b128 v[116:119], v1 offset:640
	scratch_load_b128 v[120:123], off, off offset:240
	s_wait_loadcnt_dscnt 0xa01
	v_mul_f64_e32 v[124:125], v[106:107], v[4:5]
	v_mul_f64_e32 v[4:5], v[104:105], v[4:5]
	s_delay_alu instid0(VALU_DEP_2) | instskip(NEXT) | instid1(VALU_DEP_2)
	v_fma_f64 v[130:131], v[104:105], v[2:3], -v[124:125]
	v_fma_f64 v[132:133], v[106:107], v[2:3], v[4:5]
	ds_load_b128 v[2:5], v1 offset:656
	s_wait_loadcnt_dscnt 0x901
	v_mul_f64_e32 v[128:129], v[116:117], v[8:9]
	v_mul_f64_e32 v[8:9], v[118:119], v[8:9]
	scratch_load_b128 v[104:107], off, off offset:256
	ds_load_b128 v[124:127], v1 offset:672
	s_wait_loadcnt_dscnt 0x901
	v_mul_f64_e32 v[134:135], v[2:3], v[13:14]
	v_mul_f64_e32 v[13:14], v[4:5], v[13:14]
	v_fma_f64 v[118:119], v[118:119], v[6:7], v[128:129]
	v_fma_f64 v[116:117], v[116:117], v[6:7], -v[8:9]
	v_add_f64_e32 v[128:129], 0, v[130:131]
	v_add_f64_e32 v[130:131], 0, v[132:133]
	scratch_load_b128 v[6:9], off, off offset:272
	v_fma_f64 v[134:135], v[4:5], v[11:12], v[134:135]
	v_fma_f64 v[136:137], v[2:3], v[11:12], -v[13:14]
	ds_load_b128 v[2:5], v1 offset:688
	s_wait_loadcnt_dscnt 0x901
	v_mul_f64_e32 v[132:133], v[124:125], v[17:18]
	v_mul_f64_e32 v[17:18], v[126:127], v[17:18]
	scratch_load_b128 v[11:14], off, off offset:288
	v_add_f64_e32 v[128:129], v[128:129], v[116:117]
	v_add_f64_e32 v[130:131], v[130:131], v[118:119]
	s_wait_loadcnt_dscnt 0x900
	v_mul_f64_e32 v[138:139], v[2:3], v[21:22]
	v_mul_f64_e32 v[21:22], v[4:5], v[21:22]
	ds_load_b128 v[116:119], v1 offset:704
	v_fma_f64 v[126:127], v[126:127], v[15:16], v[132:133]
	v_fma_f64 v[124:125], v[124:125], v[15:16], -v[17:18]
	scratch_load_b128 v[15:18], off, off offset:304
	v_add_f64_e32 v[128:129], v[128:129], v[136:137]
	v_add_f64_e32 v[130:131], v[130:131], v[134:135]
	v_fma_f64 v[134:135], v[4:5], v[19:20], v[138:139]
	v_fma_f64 v[136:137], v[2:3], v[19:20], -v[21:22]
	ds_load_b128 v[2:5], v1 offset:720
	s_wait_loadcnt_dscnt 0x901
	v_mul_f64_e32 v[132:133], v[116:117], v[94:95]
	v_mul_f64_e32 v[94:95], v[118:119], v[94:95]
	scratch_load_b128 v[19:22], off, off offset:320
	s_wait_loadcnt_dscnt 0x900
	v_mul_f64_e32 v[138:139], v[2:3], v[98:99]
	v_mul_f64_e32 v[98:99], v[4:5], v[98:99]
	v_add_f64_e32 v[128:129], v[128:129], v[124:125]
	v_add_f64_e32 v[130:131], v[130:131], v[126:127]
	ds_load_b128 v[124:127], v1 offset:736
	v_fma_f64 v[118:119], v[118:119], v[92:93], v[132:133]
	v_fma_f64 v[116:117], v[116:117], v[92:93], -v[94:95]
	scratch_load_b128 v[92:95], off, off offset:336
	v_add_f64_e32 v[128:129], v[128:129], v[136:137]
	v_add_f64_e32 v[130:131], v[130:131], v[134:135]
	v_fma_f64 v[134:135], v[4:5], v[96:97], v[138:139]
	v_fma_f64 v[136:137], v[2:3], v[96:97], -v[98:99]
	ds_load_b128 v[2:5], v1 offset:752
	s_wait_loadcnt_dscnt 0x901
	v_mul_f64_e32 v[132:133], v[124:125], v[102:103]
	v_mul_f64_e32 v[102:103], v[126:127], v[102:103]
	scratch_load_b128 v[96:99], off, off offset:352
	s_wait_loadcnt_dscnt 0x900
	v_mul_f64_e32 v[138:139], v[2:3], v[110:111]
	v_mul_f64_e32 v[110:111], v[4:5], v[110:111]
	v_add_f64_e32 v[128:129], v[128:129], v[116:117]
	v_add_f64_e32 v[130:131], v[130:131], v[118:119]
	ds_load_b128 v[116:119], v1 offset:768
	v_fma_f64 v[126:127], v[126:127], v[100:101], v[132:133]
	v_fma_f64 v[124:125], v[124:125], v[100:101], -v[102:103]
	scratch_load_b128 v[100:103], off, off offset:368
	v_add_f64_e32 v[128:129], v[128:129], v[136:137]
	v_add_f64_e32 v[130:131], v[130:131], v[134:135]
	v_fma_f64 v[136:137], v[4:5], v[108:109], v[138:139]
	v_fma_f64 v[138:139], v[2:3], v[108:109], -v[110:111]
	ds_load_b128 v[2:5], v1 offset:784
	s_wait_loadcnt_dscnt 0x801
	v_mul_f64_e32 v[132:133], v[116:117], v[122:123]
	v_mul_f64_e32 v[134:135], v[118:119], v[122:123]
	scratch_load_b128 v[108:111], off, off offset:384
	v_add_f64_e32 v[128:129], v[128:129], v[124:125]
	v_add_f64_e32 v[126:127], v[130:131], v[126:127]
	ds_load_b128 v[122:125], v1 offset:800
	v_fma_f64 v[132:133], v[118:119], v[120:121], v[132:133]
	v_fma_f64 v[120:121], v[116:117], v[120:121], -v[134:135]
	scratch_load_b128 v[116:119], off, off offset:400
	s_wait_loadcnt_dscnt 0x901
	v_mul_f64_e32 v[130:131], v[2:3], v[106:107]
	v_mul_f64_e32 v[106:107], v[4:5], v[106:107]
	v_add_f64_e32 v[128:129], v[128:129], v[138:139]
	v_add_f64_e32 v[126:127], v[126:127], v[136:137]
	s_delay_alu instid0(VALU_DEP_4) | instskip(NEXT) | instid1(VALU_DEP_4)
	v_fma_f64 v[130:131], v[4:5], v[104:105], v[130:131]
	v_fma_f64 v[136:137], v[2:3], v[104:105], -v[106:107]
	ds_load_b128 v[2:5], v1 offset:816
	s_wait_loadcnt_dscnt 0x801
	v_mul_f64_e32 v[134:135], v[122:123], v[8:9]
	v_mul_f64_e32 v[8:9], v[124:125], v[8:9]
	scratch_load_b128 v[104:107], off, off offset:416
	s_wait_loadcnt_dscnt 0x800
	v_mul_f64_e32 v[138:139], v[2:3], v[13:14]
	v_add_f64_e32 v[120:121], v[128:129], v[120:121]
	v_add_f64_e32 v[132:133], v[126:127], v[132:133]
	v_mul_f64_e32 v[13:14], v[4:5], v[13:14]
	ds_load_b128 v[126:129], v1 offset:832
	v_fma_f64 v[124:125], v[124:125], v[6:7], v[134:135]
	v_fma_f64 v[122:123], v[122:123], v[6:7], -v[8:9]
	scratch_load_b128 v[6:9], off, off offset:432
	v_fma_f64 v[134:135], v[4:5], v[11:12], v[138:139]
	v_add_f64_e32 v[120:121], v[120:121], v[136:137]
	v_add_f64_e32 v[130:131], v[132:133], v[130:131]
	v_fma_f64 v[136:137], v[2:3], v[11:12], -v[13:14]
	ds_load_b128 v[2:5], v1 offset:848
	s_wait_loadcnt_dscnt 0x801
	v_mul_f64_e32 v[132:133], v[126:127], v[17:18]
	v_mul_f64_e32 v[17:18], v[128:129], v[17:18]
	scratch_load_b128 v[11:14], off, off offset:448
	v_add_f64_e32 v[138:139], v[120:121], v[122:123]
	v_add_f64_e32 v[124:125], v[130:131], v[124:125]
	s_wait_loadcnt_dscnt 0x800
	v_mul_f64_e32 v[130:131], v[2:3], v[21:22]
	v_mul_f64_e32 v[21:22], v[4:5], v[21:22]
	v_fma_f64 v[128:129], v[128:129], v[15:16], v[132:133]
	v_fma_f64 v[126:127], v[126:127], v[15:16], -v[17:18]
	ds_load_b128 v[120:123], v1 offset:864
	scratch_load_b128 v[15:18], off, off offset:464
	v_add_f64_e32 v[132:133], v[138:139], v[136:137]
	v_add_f64_e32 v[124:125], v[124:125], v[134:135]
	v_fma_f64 v[130:131], v[4:5], v[19:20], v[130:131]
	v_fma_f64 v[136:137], v[2:3], v[19:20], -v[21:22]
	ds_load_b128 v[2:5], v1 offset:880
	s_wait_loadcnt_dscnt 0x801
	v_mul_f64_e32 v[134:135], v[120:121], v[94:95]
	v_mul_f64_e32 v[94:95], v[122:123], v[94:95]
	scratch_load_b128 v[19:22], off, off offset:480
	s_wait_loadcnt_dscnt 0x800
	v_mul_f64_e32 v[138:139], v[2:3], v[98:99]
	v_mul_f64_e32 v[98:99], v[4:5], v[98:99]
	v_add_f64_e32 v[132:133], v[132:133], v[126:127]
	v_add_f64_e32 v[128:129], v[124:125], v[128:129]
	ds_load_b128 v[124:127], v1 offset:896
	v_fma_f64 v[122:123], v[122:123], v[92:93], v[134:135]
	v_fma_f64 v[120:121], v[120:121], v[92:93], -v[94:95]
	scratch_load_b128 v[92:95], off, off offset:496
	v_fma_f64 v[134:135], v[4:5], v[96:97], v[138:139]
	v_add_f64_e32 v[132:133], v[132:133], v[136:137]
	v_add_f64_e32 v[128:129], v[128:129], v[130:131]
	v_fma_f64 v[136:137], v[2:3], v[96:97], -v[98:99]
	ds_load_b128 v[2:5], v1 offset:912
	s_wait_loadcnt_dscnt 0x801
	v_mul_f64_e32 v[130:131], v[124:125], v[102:103]
	v_mul_f64_e32 v[102:103], v[126:127], v[102:103]
	scratch_load_b128 v[96:99], off, off offset:512
	s_wait_loadcnt_dscnt 0x800
	v_mul_f64_e32 v[138:139], v[2:3], v[110:111]
	v_mul_f64_e32 v[110:111], v[4:5], v[110:111]
	v_add_f64_e32 v[132:133], v[132:133], v[120:121]
	v_add_f64_e32 v[128:129], v[128:129], v[122:123]
	ds_load_b128 v[120:123], v1 offset:928
	v_fma_f64 v[126:127], v[126:127], v[100:101], v[130:131]
	v_fma_f64 v[124:125], v[124:125], v[100:101], -v[102:103]
	scratch_load_b128 v[100:103], off, off offset:528
	v_add_f64_e32 v[130:131], v[132:133], v[136:137]
	v_add_f64_e32 v[128:129], v[128:129], v[134:135]
	v_fma_f64 v[134:135], v[4:5], v[108:109], v[138:139]
	v_fma_f64 v[136:137], v[2:3], v[108:109], -v[110:111]
	ds_load_b128 v[2:5], v1 offset:944
	s_wait_loadcnt_dscnt 0x801
	v_mul_f64_e32 v[132:133], v[120:121], v[118:119]
	v_mul_f64_e32 v[118:119], v[122:123], v[118:119]
	scratch_load_b128 v[108:111], off, off offset:544
	s_wait_loadcnt_dscnt 0x800
	v_mul_f64_e32 v[138:139], v[2:3], v[106:107]
	v_mul_f64_e32 v[106:107], v[4:5], v[106:107]
	v_add_f64_e32 v[130:131], v[130:131], v[124:125]
	v_add_f64_e32 v[128:129], v[128:129], v[126:127]
	ds_load_b128 v[124:127], v1 offset:960
	v_fma_f64 v[122:123], v[122:123], v[116:117], v[132:133]
	v_fma_f64 v[116:117], v[120:121], v[116:117], -v[118:119]
	v_fma_f64 v[132:133], v[2:3], v[104:105], -v[106:107]
	v_add_f64_e32 v[118:119], v[130:131], v[136:137]
	v_add_f64_e32 v[120:121], v[128:129], v[134:135]
	s_wait_loadcnt_dscnt 0x700
	v_mul_f64_e32 v[128:129], v[124:125], v[8:9]
	v_mul_f64_e32 v[8:9], v[126:127], v[8:9]
	v_fma_f64 v[130:131], v[4:5], v[104:105], v[138:139]
	ds_load_b128 v[2:5], v1 offset:976
	ds_load_b128 v[104:107], v1 offset:992
	v_add_f64_e32 v[116:117], v[118:119], v[116:117]
	v_add_f64_e32 v[118:119], v[120:121], v[122:123]
	s_wait_loadcnt_dscnt 0x601
	v_mul_f64_e32 v[120:121], v[2:3], v[13:14]
	v_mul_f64_e32 v[13:14], v[4:5], v[13:14]
	v_fma_f64 v[122:123], v[126:127], v[6:7], v[128:129]
	v_fma_f64 v[6:7], v[124:125], v[6:7], -v[8:9]
	v_add_f64_e32 v[8:9], v[116:117], v[132:133]
	v_add_f64_e32 v[116:117], v[118:119], v[130:131]
	s_wait_loadcnt_dscnt 0x500
	v_mul_f64_e32 v[118:119], v[104:105], v[17:18]
	v_mul_f64_e32 v[17:18], v[106:107], v[17:18]
	v_fma_f64 v[120:121], v[4:5], v[11:12], v[120:121]
	v_fma_f64 v[11:12], v[2:3], v[11:12], -v[13:14]
	v_add_f64_e32 v[13:14], v[8:9], v[6:7]
	v_add_f64_e32 v[116:117], v[116:117], v[122:123]
	ds_load_b128 v[2:5], v1 offset:1008
	ds_load_b128 v[6:9], v1 offset:1024
	v_fma_f64 v[106:107], v[106:107], v[15:16], v[118:119]
	v_fma_f64 v[15:16], v[104:105], v[15:16], -v[17:18]
	s_wait_loadcnt_dscnt 0x401
	v_mul_f64_e32 v[122:123], v[2:3], v[21:22]
	v_mul_f64_e32 v[21:22], v[4:5], v[21:22]
	s_wait_loadcnt_dscnt 0x300
	v_mul_f64_e32 v[17:18], v[6:7], v[94:95]
	v_mul_f64_e32 v[94:95], v[8:9], v[94:95]
	v_add_f64_e32 v[11:12], v[13:14], v[11:12]
	v_add_f64_e32 v[13:14], v[116:117], v[120:121]
	v_fma_f64 v[104:105], v[4:5], v[19:20], v[122:123]
	v_fma_f64 v[19:20], v[2:3], v[19:20], -v[21:22]
	v_fma_f64 v[8:9], v[8:9], v[92:93], v[17:18]
	v_fma_f64 v[6:7], v[6:7], v[92:93], -v[94:95]
	v_add_f64_e32 v[15:16], v[11:12], v[15:16]
	v_add_f64_e32 v[21:22], v[13:14], v[106:107]
	ds_load_b128 v[2:5], v1 offset:1040
	ds_load_b128 v[11:14], v1 offset:1056
	s_wait_loadcnt_dscnt 0x201
	v_mul_f64_e32 v[106:107], v[2:3], v[98:99]
	v_mul_f64_e32 v[98:99], v[4:5], v[98:99]
	v_add_f64_e32 v[15:16], v[15:16], v[19:20]
	v_add_f64_e32 v[17:18], v[21:22], v[104:105]
	s_wait_loadcnt_dscnt 0x100
	v_mul_f64_e32 v[19:20], v[11:12], v[102:103]
	v_mul_f64_e32 v[21:22], v[13:14], v[102:103]
	v_fma_f64 v[92:93], v[4:5], v[96:97], v[106:107]
	v_fma_f64 v[94:95], v[2:3], v[96:97], -v[98:99]
	ds_load_b128 v[2:5], v1 offset:1072
	v_add_f64_e32 v[6:7], v[15:16], v[6:7]
	v_add_f64_e32 v[8:9], v[17:18], v[8:9]
	v_fma_f64 v[13:14], v[13:14], v[100:101], v[19:20]
	v_fma_f64 v[11:12], v[11:12], v[100:101], -v[21:22]
	s_wait_loadcnt_dscnt 0x0
	v_mul_f64_e32 v[15:16], v[2:3], v[110:111]
	v_mul_f64_e32 v[17:18], v[4:5], v[110:111]
	v_add_f64_e32 v[6:7], v[6:7], v[94:95]
	v_add_f64_e32 v[8:9], v[8:9], v[92:93]
	s_delay_alu instid0(VALU_DEP_4) | instskip(NEXT) | instid1(VALU_DEP_4)
	v_fma_f64 v[4:5], v[4:5], v[108:109], v[15:16]
	v_fma_f64 v[2:3], v[2:3], v[108:109], -v[17:18]
	s_delay_alu instid0(VALU_DEP_4) | instskip(NEXT) | instid1(VALU_DEP_4)
	v_add_f64_e32 v[6:7], v[6:7], v[11:12]
	v_add_f64_e32 v[8:9], v[8:9], v[13:14]
	s_delay_alu instid0(VALU_DEP_2) | instskip(NEXT) | instid1(VALU_DEP_2)
	v_add_f64_e32 v[2:3], v[6:7], v[2:3]
	v_add_f64_e32 v[4:5], v[8:9], v[4:5]
	s_delay_alu instid0(VALU_DEP_2) | instskip(NEXT) | instid1(VALU_DEP_2)
	v_add_f64_e64 v[2:3], v[112:113], -v[2:3]
	v_add_f64_e64 v[4:5], v[114:115], -v[4:5]
	scratch_store_b128 off, v[2:5], off offset:80
	v_cmpx_lt_u32_e32 3, v0
	s_cbranch_execz .LBB33_211
; %bb.210:
	scratch_load_b128 v[5:8], off, s26
	v_dual_mov_b32 v2, v1 :: v_dual_mov_b32 v3, v1
	v_mov_b32_e32 v4, v1
	scratch_store_b128 off, v[1:4], off offset:64
	s_wait_loadcnt 0x0
	ds_store_b128 v10, v[5:8]
.LBB33_211:
	s_wait_alu 0xfffe
	s_or_b32 exec_lo, exec_lo, s0
	s_wait_storecnt_dscnt 0x0
	s_barrier_signal -1
	s_barrier_wait -1
	global_inv scope:SCOPE_SE
	s_clause 0x8
	scratch_load_b128 v[2:5], off, off offset:80
	scratch_load_b128 v[6:9], off, off offset:96
	;; [unrolled: 1-line block ×9, first 2 shown]
	ds_load_b128 v[108:111], v1 offset:608
	ds_load_b128 v[112:115], v1 offset:624
	s_clause 0x1
	scratch_load_b128 v[116:119], off, off offset:64
	scratch_load_b128 v[120:123], off, off offset:224
	s_mov_b32 s0, exec_lo
	s_wait_loadcnt_dscnt 0xa01
	v_mul_f64_e32 v[124:125], v[110:111], v[4:5]
	v_mul_f64_e32 v[4:5], v[108:109], v[4:5]
	s_wait_loadcnt_dscnt 0x900
	v_mul_f64_e32 v[128:129], v[112:113], v[8:9]
	v_mul_f64_e32 v[8:9], v[114:115], v[8:9]
	s_delay_alu instid0(VALU_DEP_4) | instskip(NEXT) | instid1(VALU_DEP_4)
	v_fma_f64 v[130:131], v[108:109], v[2:3], -v[124:125]
	v_fma_f64 v[132:133], v[110:111], v[2:3], v[4:5]
	ds_load_b128 v[2:5], v1 offset:640
	ds_load_b128 v[124:127], v1 offset:656
	scratch_load_b128 v[108:111], off, off offset:240
	v_fma_f64 v[114:115], v[114:115], v[6:7], v[128:129]
	v_fma_f64 v[112:113], v[112:113], v[6:7], -v[8:9]
	scratch_load_b128 v[6:9], off, off offset:256
	s_wait_loadcnt_dscnt 0xa01
	v_mul_f64_e32 v[134:135], v[2:3], v[13:14]
	v_mul_f64_e32 v[13:14], v[4:5], v[13:14]
	v_add_f64_e32 v[128:129], 0, v[130:131]
	v_add_f64_e32 v[130:131], 0, v[132:133]
	s_wait_loadcnt_dscnt 0x900
	v_mul_f64_e32 v[132:133], v[124:125], v[17:18]
	v_mul_f64_e32 v[17:18], v[126:127], v[17:18]
	v_fma_f64 v[134:135], v[4:5], v[11:12], v[134:135]
	v_fma_f64 v[136:137], v[2:3], v[11:12], -v[13:14]
	ds_load_b128 v[2:5], v1 offset:672
	scratch_load_b128 v[11:14], off, off offset:272
	v_add_f64_e32 v[128:129], v[128:129], v[112:113]
	v_add_f64_e32 v[130:131], v[130:131], v[114:115]
	ds_load_b128 v[112:115], v1 offset:688
	v_fma_f64 v[126:127], v[126:127], v[15:16], v[132:133]
	v_fma_f64 v[124:125], v[124:125], v[15:16], -v[17:18]
	scratch_load_b128 v[15:18], off, off offset:288
	s_wait_loadcnt_dscnt 0xa01
	v_mul_f64_e32 v[138:139], v[2:3], v[21:22]
	v_mul_f64_e32 v[21:22], v[4:5], v[21:22]
	s_wait_loadcnt_dscnt 0x900
	v_mul_f64_e32 v[132:133], v[112:113], v[94:95]
	v_mul_f64_e32 v[94:95], v[114:115], v[94:95]
	v_add_f64_e32 v[128:129], v[128:129], v[136:137]
	v_add_f64_e32 v[130:131], v[130:131], v[134:135]
	v_fma_f64 v[134:135], v[4:5], v[19:20], v[138:139]
	v_fma_f64 v[136:137], v[2:3], v[19:20], -v[21:22]
	ds_load_b128 v[2:5], v1 offset:704
	scratch_load_b128 v[19:22], off, off offset:304
	v_fma_f64 v[114:115], v[114:115], v[92:93], v[132:133]
	v_fma_f64 v[112:113], v[112:113], v[92:93], -v[94:95]
	scratch_load_b128 v[92:95], off, off offset:320
	v_add_f64_e32 v[128:129], v[128:129], v[124:125]
	v_add_f64_e32 v[130:131], v[130:131], v[126:127]
	ds_load_b128 v[124:127], v1 offset:720
	s_wait_loadcnt_dscnt 0xa01
	v_mul_f64_e32 v[138:139], v[2:3], v[98:99]
	v_mul_f64_e32 v[98:99], v[4:5], v[98:99]
	s_wait_loadcnt_dscnt 0x900
	v_mul_f64_e32 v[132:133], v[124:125], v[102:103]
	v_mul_f64_e32 v[102:103], v[126:127], v[102:103]
	v_add_f64_e32 v[128:129], v[128:129], v[136:137]
	v_add_f64_e32 v[130:131], v[130:131], v[134:135]
	v_fma_f64 v[134:135], v[4:5], v[96:97], v[138:139]
	v_fma_f64 v[136:137], v[2:3], v[96:97], -v[98:99]
	ds_load_b128 v[2:5], v1 offset:736
	scratch_load_b128 v[96:99], off, off offset:336
	v_fma_f64 v[126:127], v[126:127], v[100:101], v[132:133]
	v_fma_f64 v[124:125], v[124:125], v[100:101], -v[102:103]
	scratch_load_b128 v[100:103], off, off offset:352
	v_add_f64_e32 v[128:129], v[128:129], v[112:113]
	v_add_f64_e32 v[130:131], v[130:131], v[114:115]
	ds_load_b128 v[112:115], v1 offset:752
	s_wait_loadcnt_dscnt 0xa01
	v_mul_f64_e32 v[138:139], v[2:3], v[106:107]
	v_mul_f64_e32 v[106:107], v[4:5], v[106:107]
	s_wait_loadcnt_dscnt 0x800
	v_mul_f64_e32 v[132:133], v[112:113], v[122:123]
	v_add_f64_e32 v[128:129], v[128:129], v[136:137]
	v_add_f64_e32 v[130:131], v[130:131], v[134:135]
	v_mul_f64_e32 v[134:135], v[114:115], v[122:123]
	v_fma_f64 v[136:137], v[4:5], v[104:105], v[138:139]
	v_fma_f64 v[138:139], v[2:3], v[104:105], -v[106:107]
	ds_load_b128 v[2:5], v1 offset:768
	scratch_load_b128 v[104:107], off, off offset:368
	v_fma_f64 v[114:115], v[114:115], v[120:121], v[132:133]
	v_add_f64_e32 v[128:129], v[128:129], v[124:125]
	v_add_f64_e32 v[126:127], v[130:131], v[126:127]
	ds_load_b128 v[122:125], v1 offset:784
	v_fma_f64 v[120:121], v[112:113], v[120:121], -v[134:135]
	s_wait_loadcnt_dscnt 0x801
	v_mul_f64_e32 v[130:131], v[2:3], v[110:111]
	v_mul_f64_e32 v[140:141], v[4:5], v[110:111]
	scratch_load_b128 v[110:113], off, off offset:384
	s_wait_loadcnt_dscnt 0x800
	v_mul_f64_e32 v[134:135], v[122:123], v[8:9]
	v_mul_f64_e32 v[8:9], v[124:125], v[8:9]
	v_add_f64_e32 v[128:129], v[128:129], v[138:139]
	v_add_f64_e32 v[126:127], v[126:127], v[136:137]
	v_fma_f64 v[136:137], v[4:5], v[108:109], v[130:131]
	v_fma_f64 v[108:109], v[2:3], v[108:109], -v[140:141]
	ds_load_b128 v[2:5], v1 offset:800
	ds_load_b128 v[130:133], v1 offset:816
	v_fma_f64 v[124:125], v[124:125], v[6:7], v[134:135]
	v_fma_f64 v[122:123], v[122:123], v[6:7], -v[8:9]
	scratch_load_b128 v[6:9], off, off offset:416
	v_add_f64_e32 v[120:121], v[128:129], v[120:121]
	v_add_f64_e32 v[114:115], v[126:127], v[114:115]
	scratch_load_b128 v[126:129], off, off offset:400
	s_wait_loadcnt_dscnt 0x901
	v_mul_f64_e32 v[138:139], v[2:3], v[13:14]
	v_mul_f64_e32 v[13:14], v[4:5], v[13:14]
	s_wait_loadcnt_dscnt 0x800
	v_mul_f64_e32 v[134:135], v[130:131], v[17:18]
	v_mul_f64_e32 v[17:18], v[132:133], v[17:18]
	v_add_f64_e32 v[108:109], v[120:121], v[108:109]
	v_add_f64_e32 v[114:115], v[114:115], v[136:137]
	v_fma_f64 v[136:137], v[4:5], v[11:12], v[138:139]
	v_fma_f64 v[138:139], v[2:3], v[11:12], -v[13:14]
	ds_load_b128 v[2:5], v1 offset:832
	scratch_load_b128 v[11:14], off, off offset:432
	v_fma_f64 v[132:133], v[132:133], v[15:16], v[134:135]
	v_fma_f64 v[130:131], v[130:131], v[15:16], -v[17:18]
	scratch_load_b128 v[15:18], off, off offset:448
	v_add_f64_e32 v[108:109], v[108:109], v[122:123]
	v_add_f64_e32 v[114:115], v[114:115], v[124:125]
	ds_load_b128 v[120:123], v1 offset:848
	s_wait_loadcnt_dscnt 0x901
	v_mul_f64_e32 v[124:125], v[2:3], v[21:22]
	v_mul_f64_e32 v[21:22], v[4:5], v[21:22]
	s_wait_loadcnt_dscnt 0x800
	v_mul_f64_e32 v[134:135], v[120:121], v[94:95]
	v_mul_f64_e32 v[94:95], v[122:123], v[94:95]
	v_add_f64_e32 v[108:109], v[108:109], v[138:139]
	v_add_f64_e32 v[114:115], v[114:115], v[136:137]
	v_fma_f64 v[124:125], v[4:5], v[19:20], v[124:125]
	v_fma_f64 v[136:137], v[2:3], v[19:20], -v[21:22]
	ds_load_b128 v[2:5], v1 offset:864
	scratch_load_b128 v[19:22], off, off offset:464
	v_fma_f64 v[122:123], v[122:123], v[92:93], v[134:135]
	v_fma_f64 v[120:121], v[120:121], v[92:93], -v[94:95]
	scratch_load_b128 v[92:95], off, off offset:480
	v_add_f64_e32 v[108:109], v[108:109], v[130:131]
	v_add_f64_e32 v[114:115], v[114:115], v[132:133]
	ds_load_b128 v[130:133], v1 offset:880
	s_wait_loadcnt_dscnt 0x901
	v_mul_f64_e32 v[138:139], v[2:3], v[98:99]
	v_mul_f64_e32 v[98:99], v[4:5], v[98:99]
	v_add_f64_e32 v[108:109], v[108:109], v[136:137]
	v_add_f64_e32 v[114:115], v[114:115], v[124:125]
	s_wait_loadcnt_dscnt 0x800
	v_mul_f64_e32 v[124:125], v[130:131], v[102:103]
	v_mul_f64_e32 v[102:103], v[132:133], v[102:103]
	v_fma_f64 v[134:135], v[4:5], v[96:97], v[138:139]
	v_fma_f64 v[136:137], v[2:3], v[96:97], -v[98:99]
	ds_load_b128 v[2:5], v1 offset:896
	scratch_load_b128 v[96:99], off, off offset:496
	v_add_f64_e32 v[108:109], v[108:109], v[120:121]
	v_add_f64_e32 v[114:115], v[114:115], v[122:123]
	ds_load_b128 v[120:123], v1 offset:912
	s_wait_loadcnt_dscnt 0x801
	v_mul_f64_e32 v[138:139], v[2:3], v[106:107]
	v_mul_f64_e32 v[106:107], v[4:5], v[106:107]
	v_fma_f64 v[124:125], v[132:133], v[100:101], v[124:125]
	v_fma_f64 v[130:131], v[130:131], v[100:101], -v[102:103]
	scratch_load_b128 v[100:103], off, off offset:512
	s_wait_loadcnt_dscnt 0x800
	v_mul_f64_e32 v[132:133], v[120:121], v[112:113]
	v_add_f64_e32 v[108:109], v[108:109], v[136:137]
	v_add_f64_e32 v[114:115], v[114:115], v[134:135]
	v_mul_f64_e32 v[134:135], v[122:123], v[112:113]
	v_fma_f64 v[136:137], v[4:5], v[104:105], v[138:139]
	v_fma_f64 v[138:139], v[2:3], v[104:105], -v[106:107]
	ds_load_b128 v[2:5], v1 offset:928
	scratch_load_b128 v[104:107], off, off offset:528
	v_fma_f64 v[122:123], v[122:123], v[110:111], v[132:133]
	v_add_f64_e32 v[108:109], v[108:109], v[130:131]
	v_add_f64_e32 v[124:125], v[114:115], v[124:125]
	ds_load_b128 v[112:115], v1 offset:944
	v_fma_f64 v[120:121], v[120:121], v[110:111], -v[134:135]
	s_wait_loadcnt_dscnt 0x701
	v_mul_f64_e32 v[130:131], v[2:3], v[128:129]
	v_mul_f64_e32 v[128:129], v[4:5], v[128:129]
	s_wait_dscnt 0x0
	v_mul_f64_e32 v[134:135], v[112:113], v[8:9]
	v_mul_f64_e32 v[8:9], v[114:115], v[8:9]
	v_add_f64_e32 v[132:133], v[108:109], v[138:139]
	v_add_f64_e32 v[124:125], v[124:125], v[136:137]
	scratch_load_b128 v[108:111], off, off offset:544
	v_fma_f64 v[130:131], v[4:5], v[126:127], v[130:131]
	v_fma_f64 v[126:127], v[2:3], v[126:127], -v[128:129]
	v_fma_f64 v[114:115], v[114:115], v[6:7], v[134:135]
	v_fma_f64 v[6:7], v[112:113], v[6:7], -v[8:9]
	v_add_f64_e32 v[128:129], v[132:133], v[120:121]
	v_add_f64_e32 v[124:125], v[124:125], v[122:123]
	ds_load_b128 v[2:5], v1 offset:960
	ds_load_b128 v[120:123], v1 offset:976
	s_wait_loadcnt_dscnt 0x701
	v_mul_f64_e32 v[132:133], v[2:3], v[13:14]
	v_mul_f64_e32 v[13:14], v[4:5], v[13:14]
	v_add_f64_e32 v[8:9], v[128:129], v[126:127]
	v_add_f64_e32 v[112:113], v[124:125], v[130:131]
	s_wait_loadcnt_dscnt 0x600
	v_mul_f64_e32 v[124:125], v[120:121], v[17:18]
	v_mul_f64_e32 v[17:18], v[122:123], v[17:18]
	v_fma_f64 v[126:127], v[4:5], v[11:12], v[132:133]
	v_fma_f64 v[11:12], v[2:3], v[11:12], -v[13:14]
	v_add_f64_e32 v[13:14], v[8:9], v[6:7]
	v_add_f64_e32 v[112:113], v[112:113], v[114:115]
	ds_load_b128 v[2:5], v1 offset:992
	ds_load_b128 v[6:9], v1 offset:1008
	v_fma_f64 v[122:123], v[122:123], v[15:16], v[124:125]
	v_fma_f64 v[15:16], v[120:121], v[15:16], -v[17:18]
	s_wait_loadcnt_dscnt 0x501
	v_mul_f64_e32 v[114:115], v[2:3], v[21:22]
	v_mul_f64_e32 v[21:22], v[4:5], v[21:22]
	s_wait_loadcnt_dscnt 0x400
	v_mul_f64_e32 v[17:18], v[6:7], v[94:95]
	v_mul_f64_e32 v[94:95], v[8:9], v[94:95]
	v_add_f64_e32 v[11:12], v[13:14], v[11:12]
	v_add_f64_e32 v[13:14], v[112:113], v[126:127]
	v_fma_f64 v[112:113], v[4:5], v[19:20], v[114:115]
	v_fma_f64 v[19:20], v[2:3], v[19:20], -v[21:22]
	v_fma_f64 v[8:9], v[8:9], v[92:93], v[17:18]
	v_fma_f64 v[6:7], v[6:7], v[92:93], -v[94:95]
	v_add_f64_e32 v[15:16], v[11:12], v[15:16]
	v_add_f64_e32 v[21:22], v[13:14], v[122:123]
	ds_load_b128 v[2:5], v1 offset:1024
	ds_load_b128 v[11:14], v1 offset:1040
	s_wait_loadcnt_dscnt 0x301
	v_mul_f64_e32 v[114:115], v[2:3], v[98:99]
	v_mul_f64_e32 v[98:99], v[4:5], v[98:99]
	v_add_f64_e32 v[15:16], v[15:16], v[19:20]
	v_add_f64_e32 v[17:18], v[21:22], v[112:113]
	s_wait_loadcnt_dscnt 0x200
	v_mul_f64_e32 v[19:20], v[11:12], v[102:103]
	v_mul_f64_e32 v[21:22], v[13:14], v[102:103]
	v_fma_f64 v[92:93], v[4:5], v[96:97], v[114:115]
	v_fma_f64 v[94:95], v[2:3], v[96:97], -v[98:99]
	v_add_f64_e32 v[15:16], v[15:16], v[6:7]
	v_add_f64_e32 v[17:18], v[17:18], v[8:9]
	ds_load_b128 v[2:5], v1 offset:1056
	ds_load_b128 v[6:9], v1 offset:1072
	v_fma_f64 v[13:14], v[13:14], v[100:101], v[19:20]
	v_fma_f64 v[11:12], v[11:12], v[100:101], -v[21:22]
	s_wait_loadcnt_dscnt 0x101
	v_mul_f64_e32 v[96:97], v[2:3], v[106:107]
	v_mul_f64_e32 v[98:99], v[4:5], v[106:107]
	v_add_f64_e32 v[15:16], v[15:16], v[94:95]
	v_add_f64_e32 v[17:18], v[17:18], v[92:93]
	s_wait_loadcnt_dscnt 0x0
	v_mul_f64_e32 v[19:20], v[6:7], v[110:111]
	v_mul_f64_e32 v[21:22], v[8:9], v[110:111]
	v_fma_f64 v[4:5], v[4:5], v[104:105], v[96:97]
	v_fma_f64 v[1:2], v[2:3], v[104:105], -v[98:99]
	v_add_f64_e32 v[11:12], v[15:16], v[11:12]
	v_add_f64_e32 v[13:14], v[17:18], v[13:14]
	v_fma_f64 v[8:9], v[8:9], v[108:109], v[19:20]
	v_fma_f64 v[6:7], v[6:7], v[108:109], -v[21:22]
	s_delay_alu instid0(VALU_DEP_4) | instskip(NEXT) | instid1(VALU_DEP_4)
	v_add_f64_e32 v[1:2], v[11:12], v[1:2]
	v_add_f64_e32 v[3:4], v[13:14], v[4:5]
	s_delay_alu instid0(VALU_DEP_2) | instskip(NEXT) | instid1(VALU_DEP_2)
	v_add_f64_e32 v[1:2], v[1:2], v[6:7]
	v_add_f64_e32 v[3:4], v[3:4], v[8:9]
	s_delay_alu instid0(VALU_DEP_2) | instskip(NEXT) | instid1(VALU_DEP_2)
	v_add_f64_e64 v[1:2], v[116:117], -v[1:2]
	v_add_f64_e64 v[3:4], v[118:119], -v[3:4]
	scratch_store_b128 off, v[1:4], off offset:64
	v_cmpx_lt_u32_e32 2, v0
	s_cbranch_execz .LBB33_213
; %bb.212:
	scratch_load_b128 v[1:4], off, s27
	v_mov_b32_e32 v5, 0
	s_delay_alu instid0(VALU_DEP_1)
	v_dual_mov_b32 v6, v5 :: v_dual_mov_b32 v7, v5
	v_mov_b32_e32 v8, v5
	scratch_store_b128 off, v[5:8], off offset:48
	s_wait_loadcnt 0x0
	ds_store_b128 v10, v[1:4]
.LBB33_213:
	s_wait_alu 0xfffe
	s_or_b32 exec_lo, exec_lo, s0
	s_wait_storecnt_dscnt 0x0
	s_barrier_signal -1
	s_barrier_wait -1
	global_inv scope:SCOPE_SE
	s_clause 0x7
	scratch_load_b128 v[2:5], off, off offset:64
	scratch_load_b128 v[6:9], off, off offset:80
	;; [unrolled: 1-line block ×8, first 2 shown]
	v_mov_b32_e32 v1, 0
	s_mov_b32 s0, exec_lo
	ds_load_b128 v[104:107], v1 offset:592
	s_clause 0x1
	scratch_load_b128 v[108:111], off, off offset:192
	scratch_load_b128 v[112:115], off, off offset:48
	ds_load_b128 v[116:119], v1 offset:608
	scratch_load_b128 v[120:123], off, off offset:208
	s_wait_loadcnt_dscnt 0xa01
	v_mul_f64_e32 v[124:125], v[106:107], v[4:5]
	v_mul_f64_e32 v[4:5], v[104:105], v[4:5]
	s_delay_alu instid0(VALU_DEP_2) | instskip(NEXT) | instid1(VALU_DEP_2)
	v_fma_f64 v[130:131], v[104:105], v[2:3], -v[124:125]
	v_fma_f64 v[132:133], v[106:107], v[2:3], v[4:5]
	ds_load_b128 v[2:5], v1 offset:624
	s_wait_loadcnt_dscnt 0x901
	v_mul_f64_e32 v[128:129], v[116:117], v[8:9]
	v_mul_f64_e32 v[8:9], v[118:119], v[8:9]
	scratch_load_b128 v[104:107], off, off offset:224
	ds_load_b128 v[124:127], v1 offset:640
	s_wait_loadcnt_dscnt 0x901
	v_mul_f64_e32 v[134:135], v[2:3], v[13:14]
	v_mul_f64_e32 v[13:14], v[4:5], v[13:14]
	v_fma_f64 v[118:119], v[118:119], v[6:7], v[128:129]
	v_fma_f64 v[116:117], v[116:117], v[6:7], -v[8:9]
	v_add_f64_e32 v[128:129], 0, v[130:131]
	v_add_f64_e32 v[130:131], 0, v[132:133]
	scratch_load_b128 v[6:9], off, off offset:240
	v_fma_f64 v[134:135], v[4:5], v[11:12], v[134:135]
	v_fma_f64 v[136:137], v[2:3], v[11:12], -v[13:14]
	ds_load_b128 v[2:5], v1 offset:656
	s_wait_loadcnt_dscnt 0x901
	v_mul_f64_e32 v[132:133], v[124:125], v[17:18]
	v_mul_f64_e32 v[17:18], v[126:127], v[17:18]
	scratch_load_b128 v[11:14], off, off offset:256
	v_add_f64_e32 v[128:129], v[128:129], v[116:117]
	v_add_f64_e32 v[130:131], v[130:131], v[118:119]
	s_wait_loadcnt_dscnt 0x900
	v_mul_f64_e32 v[138:139], v[2:3], v[21:22]
	v_mul_f64_e32 v[21:22], v[4:5], v[21:22]
	ds_load_b128 v[116:119], v1 offset:672
	v_fma_f64 v[126:127], v[126:127], v[15:16], v[132:133]
	v_fma_f64 v[124:125], v[124:125], v[15:16], -v[17:18]
	scratch_load_b128 v[15:18], off, off offset:272
	v_add_f64_e32 v[128:129], v[128:129], v[136:137]
	v_add_f64_e32 v[130:131], v[130:131], v[134:135]
	v_fma_f64 v[134:135], v[4:5], v[19:20], v[138:139]
	v_fma_f64 v[136:137], v[2:3], v[19:20], -v[21:22]
	ds_load_b128 v[2:5], v1 offset:688
	s_wait_loadcnt_dscnt 0x901
	v_mul_f64_e32 v[132:133], v[116:117], v[94:95]
	v_mul_f64_e32 v[94:95], v[118:119], v[94:95]
	scratch_load_b128 v[19:22], off, off offset:288
	s_wait_loadcnt_dscnt 0x900
	v_mul_f64_e32 v[138:139], v[2:3], v[98:99]
	v_mul_f64_e32 v[98:99], v[4:5], v[98:99]
	v_add_f64_e32 v[128:129], v[128:129], v[124:125]
	v_add_f64_e32 v[130:131], v[130:131], v[126:127]
	ds_load_b128 v[124:127], v1 offset:704
	v_fma_f64 v[118:119], v[118:119], v[92:93], v[132:133]
	v_fma_f64 v[116:117], v[116:117], v[92:93], -v[94:95]
	scratch_load_b128 v[92:95], off, off offset:304
	v_add_f64_e32 v[128:129], v[128:129], v[136:137]
	v_add_f64_e32 v[130:131], v[130:131], v[134:135]
	v_fma_f64 v[134:135], v[4:5], v[96:97], v[138:139]
	v_fma_f64 v[136:137], v[2:3], v[96:97], -v[98:99]
	ds_load_b128 v[2:5], v1 offset:720
	s_wait_loadcnt_dscnt 0x901
	v_mul_f64_e32 v[132:133], v[124:125], v[102:103]
	v_mul_f64_e32 v[102:103], v[126:127], v[102:103]
	scratch_load_b128 v[96:99], off, off offset:320
	s_wait_loadcnt_dscnt 0x900
	v_mul_f64_e32 v[138:139], v[2:3], v[110:111]
	v_mul_f64_e32 v[110:111], v[4:5], v[110:111]
	v_add_f64_e32 v[128:129], v[128:129], v[116:117]
	v_add_f64_e32 v[130:131], v[130:131], v[118:119]
	ds_load_b128 v[116:119], v1 offset:736
	v_fma_f64 v[126:127], v[126:127], v[100:101], v[132:133]
	v_fma_f64 v[124:125], v[124:125], v[100:101], -v[102:103]
	scratch_load_b128 v[100:103], off, off offset:336
	v_add_f64_e32 v[128:129], v[128:129], v[136:137]
	v_add_f64_e32 v[130:131], v[130:131], v[134:135]
	v_fma_f64 v[136:137], v[4:5], v[108:109], v[138:139]
	v_fma_f64 v[138:139], v[2:3], v[108:109], -v[110:111]
	ds_load_b128 v[2:5], v1 offset:752
	s_wait_loadcnt_dscnt 0x801
	v_mul_f64_e32 v[132:133], v[116:117], v[122:123]
	v_mul_f64_e32 v[134:135], v[118:119], v[122:123]
	scratch_load_b128 v[108:111], off, off offset:352
	v_add_f64_e32 v[128:129], v[128:129], v[124:125]
	v_add_f64_e32 v[126:127], v[130:131], v[126:127]
	ds_load_b128 v[122:125], v1 offset:768
	v_fma_f64 v[132:133], v[118:119], v[120:121], v[132:133]
	v_fma_f64 v[120:121], v[116:117], v[120:121], -v[134:135]
	scratch_load_b128 v[116:119], off, off offset:368
	s_wait_loadcnt_dscnt 0x901
	v_mul_f64_e32 v[130:131], v[2:3], v[106:107]
	v_mul_f64_e32 v[106:107], v[4:5], v[106:107]
	v_add_f64_e32 v[128:129], v[128:129], v[138:139]
	v_add_f64_e32 v[126:127], v[126:127], v[136:137]
	s_delay_alu instid0(VALU_DEP_4) | instskip(NEXT) | instid1(VALU_DEP_4)
	v_fma_f64 v[130:131], v[4:5], v[104:105], v[130:131]
	v_fma_f64 v[136:137], v[2:3], v[104:105], -v[106:107]
	ds_load_b128 v[2:5], v1 offset:784
	s_wait_loadcnt_dscnt 0x801
	v_mul_f64_e32 v[134:135], v[122:123], v[8:9]
	v_mul_f64_e32 v[8:9], v[124:125], v[8:9]
	scratch_load_b128 v[104:107], off, off offset:384
	s_wait_loadcnt_dscnt 0x800
	v_mul_f64_e32 v[138:139], v[2:3], v[13:14]
	v_add_f64_e32 v[120:121], v[128:129], v[120:121]
	v_add_f64_e32 v[132:133], v[126:127], v[132:133]
	v_mul_f64_e32 v[13:14], v[4:5], v[13:14]
	ds_load_b128 v[126:129], v1 offset:800
	v_fma_f64 v[124:125], v[124:125], v[6:7], v[134:135]
	v_fma_f64 v[122:123], v[122:123], v[6:7], -v[8:9]
	scratch_load_b128 v[6:9], off, off offset:400
	v_fma_f64 v[134:135], v[4:5], v[11:12], v[138:139]
	v_add_f64_e32 v[120:121], v[120:121], v[136:137]
	v_add_f64_e32 v[130:131], v[132:133], v[130:131]
	v_fma_f64 v[136:137], v[2:3], v[11:12], -v[13:14]
	ds_load_b128 v[2:5], v1 offset:816
	s_wait_loadcnt_dscnt 0x801
	v_mul_f64_e32 v[132:133], v[126:127], v[17:18]
	v_mul_f64_e32 v[17:18], v[128:129], v[17:18]
	scratch_load_b128 v[11:14], off, off offset:416
	v_add_f64_e32 v[138:139], v[120:121], v[122:123]
	v_add_f64_e32 v[124:125], v[130:131], v[124:125]
	s_wait_loadcnt_dscnt 0x800
	v_mul_f64_e32 v[130:131], v[2:3], v[21:22]
	v_mul_f64_e32 v[21:22], v[4:5], v[21:22]
	v_fma_f64 v[128:129], v[128:129], v[15:16], v[132:133]
	v_fma_f64 v[126:127], v[126:127], v[15:16], -v[17:18]
	ds_load_b128 v[120:123], v1 offset:832
	scratch_load_b128 v[15:18], off, off offset:432
	v_add_f64_e32 v[132:133], v[138:139], v[136:137]
	v_add_f64_e32 v[124:125], v[124:125], v[134:135]
	v_fma_f64 v[130:131], v[4:5], v[19:20], v[130:131]
	v_fma_f64 v[136:137], v[2:3], v[19:20], -v[21:22]
	ds_load_b128 v[2:5], v1 offset:848
	s_wait_loadcnt_dscnt 0x801
	v_mul_f64_e32 v[134:135], v[120:121], v[94:95]
	v_mul_f64_e32 v[94:95], v[122:123], v[94:95]
	scratch_load_b128 v[19:22], off, off offset:448
	s_wait_loadcnt_dscnt 0x800
	v_mul_f64_e32 v[138:139], v[2:3], v[98:99]
	v_mul_f64_e32 v[98:99], v[4:5], v[98:99]
	v_add_f64_e32 v[132:133], v[132:133], v[126:127]
	v_add_f64_e32 v[128:129], v[124:125], v[128:129]
	ds_load_b128 v[124:127], v1 offset:864
	v_fma_f64 v[122:123], v[122:123], v[92:93], v[134:135]
	v_fma_f64 v[120:121], v[120:121], v[92:93], -v[94:95]
	scratch_load_b128 v[92:95], off, off offset:464
	v_fma_f64 v[134:135], v[4:5], v[96:97], v[138:139]
	v_add_f64_e32 v[132:133], v[132:133], v[136:137]
	v_add_f64_e32 v[128:129], v[128:129], v[130:131]
	v_fma_f64 v[136:137], v[2:3], v[96:97], -v[98:99]
	ds_load_b128 v[2:5], v1 offset:880
	s_wait_loadcnt_dscnt 0x801
	v_mul_f64_e32 v[130:131], v[124:125], v[102:103]
	v_mul_f64_e32 v[102:103], v[126:127], v[102:103]
	scratch_load_b128 v[96:99], off, off offset:480
	s_wait_loadcnt_dscnt 0x800
	v_mul_f64_e32 v[138:139], v[2:3], v[110:111]
	v_mul_f64_e32 v[110:111], v[4:5], v[110:111]
	v_add_f64_e32 v[132:133], v[132:133], v[120:121]
	v_add_f64_e32 v[128:129], v[128:129], v[122:123]
	ds_load_b128 v[120:123], v1 offset:896
	v_fma_f64 v[126:127], v[126:127], v[100:101], v[130:131]
	v_fma_f64 v[124:125], v[124:125], v[100:101], -v[102:103]
	scratch_load_b128 v[100:103], off, off offset:496
	v_add_f64_e32 v[130:131], v[132:133], v[136:137]
	v_add_f64_e32 v[128:129], v[128:129], v[134:135]
	v_fma_f64 v[134:135], v[4:5], v[108:109], v[138:139]
	v_fma_f64 v[136:137], v[2:3], v[108:109], -v[110:111]
	ds_load_b128 v[2:5], v1 offset:912
	s_wait_loadcnt_dscnt 0x801
	v_mul_f64_e32 v[132:133], v[120:121], v[118:119]
	v_mul_f64_e32 v[118:119], v[122:123], v[118:119]
	scratch_load_b128 v[108:111], off, off offset:512
	s_wait_loadcnt_dscnt 0x800
	v_mul_f64_e32 v[138:139], v[2:3], v[106:107]
	v_mul_f64_e32 v[106:107], v[4:5], v[106:107]
	v_add_f64_e32 v[130:131], v[130:131], v[124:125]
	v_add_f64_e32 v[128:129], v[128:129], v[126:127]
	ds_load_b128 v[124:127], v1 offset:928
	v_fma_f64 v[122:123], v[122:123], v[116:117], v[132:133]
	v_fma_f64 v[120:121], v[120:121], v[116:117], -v[118:119]
	scratch_load_b128 v[116:119], off, off offset:528
	v_add_f64_e32 v[130:131], v[130:131], v[136:137]
	v_add_f64_e32 v[128:129], v[128:129], v[134:135]
	v_fma_f64 v[134:135], v[4:5], v[104:105], v[138:139]
	v_fma_f64 v[136:137], v[2:3], v[104:105], -v[106:107]
	ds_load_b128 v[2:5], v1 offset:944
	s_wait_loadcnt_dscnt 0x801
	v_mul_f64_e32 v[132:133], v[124:125], v[8:9]
	v_mul_f64_e32 v[8:9], v[126:127], v[8:9]
	scratch_load_b128 v[104:107], off, off offset:544
	s_wait_loadcnt_dscnt 0x800
	v_mul_f64_e32 v[138:139], v[2:3], v[13:14]
	v_mul_f64_e32 v[13:14], v[4:5], v[13:14]
	v_add_f64_e32 v[130:131], v[130:131], v[120:121]
	v_add_f64_e32 v[128:129], v[128:129], v[122:123]
	ds_load_b128 v[120:123], v1 offset:960
	v_fma_f64 v[126:127], v[126:127], v[6:7], v[132:133]
	v_fma_f64 v[6:7], v[124:125], v[6:7], -v[8:9]
	v_add_f64_e32 v[8:9], v[130:131], v[136:137]
	v_add_f64_e32 v[124:125], v[128:129], v[134:135]
	s_wait_loadcnt_dscnt 0x700
	v_mul_f64_e32 v[128:129], v[120:121], v[17:18]
	v_mul_f64_e32 v[17:18], v[122:123], v[17:18]
	v_fma_f64 v[130:131], v[4:5], v[11:12], v[138:139]
	v_fma_f64 v[11:12], v[2:3], v[11:12], -v[13:14]
	v_add_f64_e32 v[13:14], v[8:9], v[6:7]
	v_add_f64_e32 v[124:125], v[124:125], v[126:127]
	ds_load_b128 v[2:5], v1 offset:976
	ds_load_b128 v[6:9], v1 offset:992
	v_fma_f64 v[122:123], v[122:123], v[15:16], v[128:129]
	v_fma_f64 v[15:16], v[120:121], v[15:16], -v[17:18]
	s_wait_loadcnt_dscnt 0x601
	v_mul_f64_e32 v[126:127], v[2:3], v[21:22]
	v_mul_f64_e32 v[21:22], v[4:5], v[21:22]
	s_wait_loadcnt_dscnt 0x500
	v_mul_f64_e32 v[17:18], v[6:7], v[94:95]
	v_mul_f64_e32 v[94:95], v[8:9], v[94:95]
	v_add_f64_e32 v[11:12], v[13:14], v[11:12]
	v_add_f64_e32 v[13:14], v[124:125], v[130:131]
	v_fma_f64 v[120:121], v[4:5], v[19:20], v[126:127]
	v_fma_f64 v[19:20], v[2:3], v[19:20], -v[21:22]
	v_fma_f64 v[8:9], v[8:9], v[92:93], v[17:18]
	v_fma_f64 v[6:7], v[6:7], v[92:93], -v[94:95]
	v_add_f64_e32 v[15:16], v[11:12], v[15:16]
	v_add_f64_e32 v[21:22], v[13:14], v[122:123]
	ds_load_b128 v[2:5], v1 offset:1008
	ds_load_b128 v[11:14], v1 offset:1024
	s_wait_loadcnt_dscnt 0x401
	v_mul_f64_e32 v[122:123], v[2:3], v[98:99]
	v_mul_f64_e32 v[98:99], v[4:5], v[98:99]
	v_add_f64_e32 v[15:16], v[15:16], v[19:20]
	v_add_f64_e32 v[17:18], v[21:22], v[120:121]
	s_wait_loadcnt_dscnt 0x300
	v_mul_f64_e32 v[19:20], v[11:12], v[102:103]
	v_mul_f64_e32 v[21:22], v[13:14], v[102:103]
	v_fma_f64 v[92:93], v[4:5], v[96:97], v[122:123]
	v_fma_f64 v[94:95], v[2:3], v[96:97], -v[98:99]
	v_add_f64_e32 v[15:16], v[15:16], v[6:7]
	v_add_f64_e32 v[17:18], v[17:18], v[8:9]
	ds_load_b128 v[2:5], v1 offset:1040
	ds_load_b128 v[6:9], v1 offset:1056
	v_fma_f64 v[13:14], v[13:14], v[100:101], v[19:20]
	v_fma_f64 v[11:12], v[11:12], v[100:101], -v[21:22]
	s_wait_loadcnt_dscnt 0x201
	v_mul_f64_e32 v[96:97], v[2:3], v[110:111]
	v_mul_f64_e32 v[98:99], v[4:5], v[110:111]
	s_wait_loadcnt_dscnt 0x100
	v_mul_f64_e32 v[19:20], v[6:7], v[118:119]
	v_mul_f64_e32 v[21:22], v[8:9], v[118:119]
	v_add_f64_e32 v[15:16], v[15:16], v[94:95]
	v_add_f64_e32 v[17:18], v[17:18], v[92:93]
	v_fma_f64 v[92:93], v[4:5], v[108:109], v[96:97]
	v_fma_f64 v[94:95], v[2:3], v[108:109], -v[98:99]
	ds_load_b128 v[2:5], v1 offset:1072
	v_fma_f64 v[8:9], v[8:9], v[116:117], v[19:20]
	v_fma_f64 v[6:7], v[6:7], v[116:117], -v[21:22]
	v_add_f64_e32 v[11:12], v[15:16], v[11:12]
	v_add_f64_e32 v[13:14], v[17:18], v[13:14]
	s_wait_loadcnt_dscnt 0x0
	v_mul_f64_e32 v[15:16], v[2:3], v[106:107]
	v_mul_f64_e32 v[17:18], v[4:5], v[106:107]
	s_delay_alu instid0(VALU_DEP_4) | instskip(NEXT) | instid1(VALU_DEP_4)
	v_add_f64_e32 v[11:12], v[11:12], v[94:95]
	v_add_f64_e32 v[13:14], v[13:14], v[92:93]
	s_delay_alu instid0(VALU_DEP_4) | instskip(NEXT) | instid1(VALU_DEP_4)
	v_fma_f64 v[4:5], v[4:5], v[104:105], v[15:16]
	v_fma_f64 v[2:3], v[2:3], v[104:105], -v[17:18]
	s_delay_alu instid0(VALU_DEP_4) | instskip(NEXT) | instid1(VALU_DEP_4)
	v_add_f64_e32 v[6:7], v[11:12], v[6:7]
	v_add_f64_e32 v[8:9], v[13:14], v[8:9]
	s_delay_alu instid0(VALU_DEP_2) | instskip(NEXT) | instid1(VALU_DEP_2)
	v_add_f64_e32 v[2:3], v[6:7], v[2:3]
	v_add_f64_e32 v[4:5], v[8:9], v[4:5]
	s_delay_alu instid0(VALU_DEP_2) | instskip(NEXT) | instid1(VALU_DEP_2)
	v_add_f64_e64 v[2:3], v[112:113], -v[2:3]
	v_add_f64_e64 v[4:5], v[114:115], -v[4:5]
	scratch_store_b128 off, v[2:5], off offset:48
	v_cmpx_lt_u32_e32 1, v0
	s_cbranch_execz .LBB33_215
; %bb.214:
	scratch_load_b128 v[5:8], off, s28
	v_dual_mov_b32 v2, v1 :: v_dual_mov_b32 v3, v1
	v_mov_b32_e32 v4, v1
	scratch_store_b128 off, v[1:4], off offset:32
	s_wait_loadcnt 0x0
	ds_store_b128 v10, v[5:8]
.LBB33_215:
	s_wait_alu 0xfffe
	s_or_b32 exec_lo, exec_lo, s0
	s_wait_storecnt_dscnt 0x0
	s_barrier_signal -1
	s_barrier_wait -1
	global_inv scope:SCOPE_SE
	s_clause 0x8
	scratch_load_b128 v[2:5], off, off offset:48
	scratch_load_b128 v[6:9], off, off offset:64
	;; [unrolled: 1-line block ×9, first 2 shown]
	ds_load_b128 v[108:111], v1 offset:576
	ds_load_b128 v[112:115], v1 offset:592
	s_clause 0x1
	scratch_load_b128 v[116:119], off, off offset:32
	scratch_load_b128 v[120:123], off, off offset:192
	s_mov_b32 s0, exec_lo
	s_wait_loadcnt_dscnt 0xa01
	v_mul_f64_e32 v[124:125], v[110:111], v[4:5]
	v_mul_f64_e32 v[4:5], v[108:109], v[4:5]
	s_wait_loadcnt_dscnt 0x900
	v_mul_f64_e32 v[128:129], v[112:113], v[8:9]
	v_mul_f64_e32 v[8:9], v[114:115], v[8:9]
	s_delay_alu instid0(VALU_DEP_4) | instskip(NEXT) | instid1(VALU_DEP_4)
	v_fma_f64 v[130:131], v[108:109], v[2:3], -v[124:125]
	v_fma_f64 v[132:133], v[110:111], v[2:3], v[4:5]
	ds_load_b128 v[2:5], v1 offset:608
	ds_load_b128 v[124:127], v1 offset:624
	scratch_load_b128 v[108:111], off, off offset:208
	v_fma_f64 v[114:115], v[114:115], v[6:7], v[128:129]
	v_fma_f64 v[112:113], v[112:113], v[6:7], -v[8:9]
	scratch_load_b128 v[6:9], off, off offset:224
	s_wait_loadcnt_dscnt 0xa01
	v_mul_f64_e32 v[134:135], v[2:3], v[13:14]
	v_mul_f64_e32 v[13:14], v[4:5], v[13:14]
	v_add_f64_e32 v[128:129], 0, v[130:131]
	v_add_f64_e32 v[130:131], 0, v[132:133]
	s_wait_loadcnt_dscnt 0x900
	v_mul_f64_e32 v[132:133], v[124:125], v[17:18]
	v_mul_f64_e32 v[17:18], v[126:127], v[17:18]
	v_fma_f64 v[134:135], v[4:5], v[11:12], v[134:135]
	v_fma_f64 v[136:137], v[2:3], v[11:12], -v[13:14]
	ds_load_b128 v[2:5], v1 offset:640
	scratch_load_b128 v[11:14], off, off offset:240
	v_add_f64_e32 v[128:129], v[128:129], v[112:113]
	v_add_f64_e32 v[130:131], v[130:131], v[114:115]
	ds_load_b128 v[112:115], v1 offset:656
	v_fma_f64 v[126:127], v[126:127], v[15:16], v[132:133]
	v_fma_f64 v[124:125], v[124:125], v[15:16], -v[17:18]
	scratch_load_b128 v[15:18], off, off offset:256
	s_wait_loadcnt_dscnt 0xa01
	v_mul_f64_e32 v[138:139], v[2:3], v[21:22]
	v_mul_f64_e32 v[21:22], v[4:5], v[21:22]
	s_wait_loadcnt_dscnt 0x900
	v_mul_f64_e32 v[132:133], v[112:113], v[94:95]
	v_mul_f64_e32 v[94:95], v[114:115], v[94:95]
	v_add_f64_e32 v[128:129], v[128:129], v[136:137]
	v_add_f64_e32 v[130:131], v[130:131], v[134:135]
	v_fma_f64 v[134:135], v[4:5], v[19:20], v[138:139]
	v_fma_f64 v[136:137], v[2:3], v[19:20], -v[21:22]
	ds_load_b128 v[2:5], v1 offset:672
	scratch_load_b128 v[19:22], off, off offset:272
	v_fma_f64 v[114:115], v[114:115], v[92:93], v[132:133]
	v_fma_f64 v[112:113], v[112:113], v[92:93], -v[94:95]
	scratch_load_b128 v[92:95], off, off offset:288
	v_add_f64_e32 v[128:129], v[128:129], v[124:125]
	v_add_f64_e32 v[130:131], v[130:131], v[126:127]
	ds_load_b128 v[124:127], v1 offset:688
	s_wait_loadcnt_dscnt 0xa01
	v_mul_f64_e32 v[138:139], v[2:3], v[98:99]
	v_mul_f64_e32 v[98:99], v[4:5], v[98:99]
	s_wait_loadcnt_dscnt 0x900
	v_mul_f64_e32 v[132:133], v[124:125], v[102:103]
	v_mul_f64_e32 v[102:103], v[126:127], v[102:103]
	v_add_f64_e32 v[128:129], v[128:129], v[136:137]
	v_add_f64_e32 v[130:131], v[130:131], v[134:135]
	v_fma_f64 v[134:135], v[4:5], v[96:97], v[138:139]
	v_fma_f64 v[136:137], v[2:3], v[96:97], -v[98:99]
	ds_load_b128 v[2:5], v1 offset:704
	scratch_load_b128 v[96:99], off, off offset:304
	v_fma_f64 v[126:127], v[126:127], v[100:101], v[132:133]
	v_fma_f64 v[124:125], v[124:125], v[100:101], -v[102:103]
	scratch_load_b128 v[100:103], off, off offset:320
	v_add_f64_e32 v[128:129], v[128:129], v[112:113]
	v_add_f64_e32 v[130:131], v[130:131], v[114:115]
	ds_load_b128 v[112:115], v1 offset:720
	s_wait_loadcnt_dscnt 0xa01
	v_mul_f64_e32 v[138:139], v[2:3], v[106:107]
	v_mul_f64_e32 v[106:107], v[4:5], v[106:107]
	s_wait_loadcnt_dscnt 0x800
	v_mul_f64_e32 v[132:133], v[112:113], v[122:123]
	v_add_f64_e32 v[128:129], v[128:129], v[136:137]
	v_add_f64_e32 v[130:131], v[130:131], v[134:135]
	v_mul_f64_e32 v[134:135], v[114:115], v[122:123]
	v_fma_f64 v[136:137], v[4:5], v[104:105], v[138:139]
	v_fma_f64 v[138:139], v[2:3], v[104:105], -v[106:107]
	ds_load_b128 v[2:5], v1 offset:736
	scratch_load_b128 v[104:107], off, off offset:336
	v_fma_f64 v[114:115], v[114:115], v[120:121], v[132:133]
	v_add_f64_e32 v[128:129], v[128:129], v[124:125]
	v_add_f64_e32 v[126:127], v[130:131], v[126:127]
	ds_load_b128 v[122:125], v1 offset:752
	v_fma_f64 v[120:121], v[112:113], v[120:121], -v[134:135]
	s_wait_loadcnt_dscnt 0x801
	v_mul_f64_e32 v[130:131], v[2:3], v[110:111]
	v_mul_f64_e32 v[140:141], v[4:5], v[110:111]
	scratch_load_b128 v[110:113], off, off offset:352
	s_wait_loadcnt_dscnt 0x800
	v_mul_f64_e32 v[134:135], v[122:123], v[8:9]
	v_mul_f64_e32 v[8:9], v[124:125], v[8:9]
	v_add_f64_e32 v[128:129], v[128:129], v[138:139]
	v_add_f64_e32 v[126:127], v[126:127], v[136:137]
	v_fma_f64 v[136:137], v[4:5], v[108:109], v[130:131]
	v_fma_f64 v[108:109], v[2:3], v[108:109], -v[140:141]
	ds_load_b128 v[2:5], v1 offset:768
	ds_load_b128 v[130:133], v1 offset:784
	v_fma_f64 v[124:125], v[124:125], v[6:7], v[134:135]
	v_fma_f64 v[122:123], v[122:123], v[6:7], -v[8:9]
	scratch_load_b128 v[6:9], off, off offset:384
	v_add_f64_e32 v[120:121], v[128:129], v[120:121]
	v_add_f64_e32 v[114:115], v[126:127], v[114:115]
	scratch_load_b128 v[126:129], off, off offset:368
	s_wait_loadcnt_dscnt 0x901
	v_mul_f64_e32 v[138:139], v[2:3], v[13:14]
	v_mul_f64_e32 v[13:14], v[4:5], v[13:14]
	s_wait_loadcnt_dscnt 0x800
	v_mul_f64_e32 v[134:135], v[130:131], v[17:18]
	v_mul_f64_e32 v[17:18], v[132:133], v[17:18]
	v_add_f64_e32 v[108:109], v[120:121], v[108:109]
	v_add_f64_e32 v[114:115], v[114:115], v[136:137]
	v_fma_f64 v[136:137], v[4:5], v[11:12], v[138:139]
	v_fma_f64 v[138:139], v[2:3], v[11:12], -v[13:14]
	ds_load_b128 v[2:5], v1 offset:800
	scratch_load_b128 v[11:14], off, off offset:400
	v_fma_f64 v[132:133], v[132:133], v[15:16], v[134:135]
	v_fma_f64 v[130:131], v[130:131], v[15:16], -v[17:18]
	scratch_load_b128 v[15:18], off, off offset:416
	v_add_f64_e32 v[108:109], v[108:109], v[122:123]
	v_add_f64_e32 v[114:115], v[114:115], v[124:125]
	ds_load_b128 v[120:123], v1 offset:816
	s_wait_loadcnt_dscnt 0x901
	v_mul_f64_e32 v[124:125], v[2:3], v[21:22]
	v_mul_f64_e32 v[21:22], v[4:5], v[21:22]
	s_wait_loadcnt_dscnt 0x800
	v_mul_f64_e32 v[134:135], v[120:121], v[94:95]
	v_mul_f64_e32 v[94:95], v[122:123], v[94:95]
	v_add_f64_e32 v[108:109], v[108:109], v[138:139]
	v_add_f64_e32 v[114:115], v[114:115], v[136:137]
	v_fma_f64 v[124:125], v[4:5], v[19:20], v[124:125]
	v_fma_f64 v[136:137], v[2:3], v[19:20], -v[21:22]
	ds_load_b128 v[2:5], v1 offset:832
	scratch_load_b128 v[19:22], off, off offset:432
	v_fma_f64 v[122:123], v[122:123], v[92:93], v[134:135]
	v_fma_f64 v[120:121], v[120:121], v[92:93], -v[94:95]
	scratch_load_b128 v[92:95], off, off offset:448
	v_add_f64_e32 v[108:109], v[108:109], v[130:131]
	v_add_f64_e32 v[114:115], v[114:115], v[132:133]
	ds_load_b128 v[130:133], v1 offset:848
	s_wait_loadcnt_dscnt 0x901
	v_mul_f64_e32 v[138:139], v[2:3], v[98:99]
	v_mul_f64_e32 v[98:99], v[4:5], v[98:99]
	v_add_f64_e32 v[108:109], v[108:109], v[136:137]
	v_add_f64_e32 v[114:115], v[114:115], v[124:125]
	s_wait_loadcnt_dscnt 0x800
	v_mul_f64_e32 v[124:125], v[130:131], v[102:103]
	v_mul_f64_e32 v[102:103], v[132:133], v[102:103]
	v_fma_f64 v[134:135], v[4:5], v[96:97], v[138:139]
	v_fma_f64 v[136:137], v[2:3], v[96:97], -v[98:99]
	ds_load_b128 v[2:5], v1 offset:864
	scratch_load_b128 v[96:99], off, off offset:464
	v_add_f64_e32 v[108:109], v[108:109], v[120:121]
	v_add_f64_e32 v[114:115], v[114:115], v[122:123]
	ds_load_b128 v[120:123], v1 offset:880
	s_wait_loadcnt_dscnt 0x801
	v_mul_f64_e32 v[138:139], v[2:3], v[106:107]
	v_mul_f64_e32 v[106:107], v[4:5], v[106:107]
	v_fma_f64 v[124:125], v[132:133], v[100:101], v[124:125]
	v_fma_f64 v[130:131], v[130:131], v[100:101], -v[102:103]
	scratch_load_b128 v[100:103], off, off offset:480
	s_wait_loadcnt_dscnt 0x800
	v_mul_f64_e32 v[132:133], v[120:121], v[112:113]
	v_add_f64_e32 v[108:109], v[108:109], v[136:137]
	v_add_f64_e32 v[114:115], v[114:115], v[134:135]
	v_mul_f64_e32 v[134:135], v[122:123], v[112:113]
	v_fma_f64 v[136:137], v[4:5], v[104:105], v[138:139]
	v_fma_f64 v[138:139], v[2:3], v[104:105], -v[106:107]
	ds_load_b128 v[2:5], v1 offset:896
	scratch_load_b128 v[104:107], off, off offset:496
	v_fma_f64 v[122:123], v[122:123], v[110:111], v[132:133]
	v_add_f64_e32 v[108:109], v[108:109], v[130:131]
	v_add_f64_e32 v[124:125], v[114:115], v[124:125]
	ds_load_b128 v[112:115], v1 offset:912
	v_fma_f64 v[120:121], v[120:121], v[110:111], -v[134:135]
	s_wait_loadcnt_dscnt 0x701
	v_mul_f64_e32 v[130:131], v[2:3], v[128:129]
	v_mul_f64_e32 v[128:129], v[4:5], v[128:129]
	s_wait_dscnt 0x0
	v_mul_f64_e32 v[134:135], v[112:113], v[8:9]
	v_mul_f64_e32 v[8:9], v[114:115], v[8:9]
	v_add_f64_e32 v[132:133], v[108:109], v[138:139]
	v_add_f64_e32 v[124:125], v[124:125], v[136:137]
	scratch_load_b128 v[108:111], off, off offset:512
	v_fma_f64 v[130:131], v[4:5], v[126:127], v[130:131]
	v_fma_f64 v[128:129], v[2:3], v[126:127], -v[128:129]
	ds_load_b128 v[2:5], v1 offset:928
	v_fma_f64 v[114:115], v[114:115], v[6:7], v[134:135]
	v_fma_f64 v[112:113], v[112:113], v[6:7], -v[8:9]
	scratch_load_b128 v[6:9], off, off offset:544
	v_add_f64_e32 v[132:133], v[132:133], v[120:121]
	v_add_f64_e32 v[136:137], v[124:125], v[122:123]
	scratch_load_b128 v[120:123], off, off offset:528
	ds_load_b128 v[124:127], v1 offset:944
	s_wait_loadcnt_dscnt 0x901
	v_mul_f64_e32 v[138:139], v[2:3], v[13:14]
	v_mul_f64_e32 v[13:14], v[4:5], v[13:14]
	v_add_f64_e32 v[128:129], v[132:133], v[128:129]
	v_add_f64_e32 v[130:131], v[136:137], v[130:131]
	s_wait_loadcnt_dscnt 0x800
	v_mul_f64_e32 v[132:133], v[124:125], v[17:18]
	v_mul_f64_e32 v[17:18], v[126:127], v[17:18]
	v_fma_f64 v[134:135], v[4:5], v[11:12], v[138:139]
	v_fma_f64 v[136:137], v[2:3], v[11:12], -v[13:14]
	ds_load_b128 v[2:5], v1 offset:960
	ds_load_b128 v[11:14], v1 offset:976
	v_add_f64_e32 v[112:113], v[128:129], v[112:113]
	v_add_f64_e32 v[114:115], v[130:131], v[114:115]
	s_wait_loadcnt_dscnt 0x701
	v_mul_f64_e32 v[128:129], v[2:3], v[21:22]
	v_mul_f64_e32 v[21:22], v[4:5], v[21:22]
	v_fma_f64 v[126:127], v[126:127], v[15:16], v[132:133]
	v_fma_f64 v[15:16], v[124:125], v[15:16], -v[17:18]
	v_add_f64_e32 v[17:18], v[112:113], v[136:137]
	v_add_f64_e32 v[112:113], v[114:115], v[134:135]
	s_wait_loadcnt_dscnt 0x600
	v_mul_f64_e32 v[114:115], v[11:12], v[94:95]
	v_mul_f64_e32 v[94:95], v[13:14], v[94:95]
	v_fma_f64 v[124:125], v[4:5], v[19:20], v[128:129]
	v_fma_f64 v[19:20], v[2:3], v[19:20], -v[21:22]
	v_add_f64_e32 v[21:22], v[17:18], v[15:16]
	v_add_f64_e32 v[112:113], v[112:113], v[126:127]
	ds_load_b128 v[2:5], v1 offset:992
	ds_load_b128 v[15:18], v1 offset:1008
	v_fma_f64 v[13:14], v[13:14], v[92:93], v[114:115]
	v_fma_f64 v[11:12], v[11:12], v[92:93], -v[94:95]
	s_wait_loadcnt_dscnt 0x501
	v_mul_f64_e32 v[126:127], v[2:3], v[98:99]
	v_mul_f64_e32 v[98:99], v[4:5], v[98:99]
	s_wait_loadcnt_dscnt 0x400
	v_mul_f64_e32 v[92:93], v[15:16], v[102:103]
	v_mul_f64_e32 v[94:95], v[17:18], v[102:103]
	v_add_f64_e32 v[19:20], v[21:22], v[19:20]
	v_add_f64_e32 v[21:22], v[112:113], v[124:125]
	v_fma_f64 v[102:103], v[4:5], v[96:97], v[126:127]
	v_fma_f64 v[96:97], v[2:3], v[96:97], -v[98:99]
	v_fma_f64 v[17:18], v[17:18], v[100:101], v[92:93]
	v_fma_f64 v[15:16], v[15:16], v[100:101], -v[94:95]
	v_add_f64_e32 v[19:20], v[19:20], v[11:12]
	v_add_f64_e32 v[21:22], v[21:22], v[13:14]
	ds_load_b128 v[2:5], v1 offset:1024
	ds_load_b128 v[11:14], v1 offset:1040
	s_wait_loadcnt_dscnt 0x301
	v_mul_f64_e32 v[98:99], v[2:3], v[106:107]
	v_mul_f64_e32 v[106:107], v[4:5], v[106:107]
	v_add_f64_e32 v[19:20], v[19:20], v[96:97]
	v_add_f64_e32 v[21:22], v[21:22], v[102:103]
	s_wait_loadcnt_dscnt 0x200
	v_mul_f64_e32 v[92:93], v[11:12], v[110:111]
	v_mul_f64_e32 v[94:95], v[13:14], v[110:111]
	v_fma_f64 v[96:97], v[4:5], v[104:105], v[98:99]
	v_fma_f64 v[98:99], v[2:3], v[104:105], -v[106:107]
	v_add_f64_e32 v[19:20], v[19:20], v[15:16]
	v_add_f64_e32 v[21:22], v[21:22], v[17:18]
	ds_load_b128 v[2:5], v1 offset:1056
	ds_load_b128 v[15:18], v1 offset:1072
	v_fma_f64 v[13:14], v[13:14], v[108:109], v[92:93]
	v_fma_f64 v[11:12], v[11:12], v[108:109], -v[94:95]
	s_wait_loadcnt_dscnt 0x1
	v_mul_f64_e32 v[100:101], v[2:3], v[122:123]
	v_mul_f64_e32 v[102:103], v[4:5], v[122:123]
	s_wait_dscnt 0x0
	v_mul_f64_e32 v[92:93], v[15:16], v[8:9]
	v_mul_f64_e32 v[8:9], v[17:18], v[8:9]
	v_add_f64_e32 v[19:20], v[19:20], v[98:99]
	v_add_f64_e32 v[21:22], v[21:22], v[96:97]
	v_fma_f64 v[4:5], v[4:5], v[120:121], v[100:101]
	v_fma_f64 v[1:2], v[2:3], v[120:121], -v[102:103]
	v_fma_f64 v[17:18], v[17:18], v[6:7], v[92:93]
	v_fma_f64 v[6:7], v[15:16], v[6:7], -v[8:9]
	v_add_f64_e32 v[11:12], v[19:20], v[11:12]
	v_add_f64_e32 v[13:14], v[21:22], v[13:14]
	s_delay_alu instid0(VALU_DEP_2) | instskip(NEXT) | instid1(VALU_DEP_2)
	v_add_f64_e32 v[1:2], v[11:12], v[1:2]
	v_add_f64_e32 v[3:4], v[13:14], v[4:5]
	s_delay_alu instid0(VALU_DEP_2) | instskip(NEXT) | instid1(VALU_DEP_2)
	;; [unrolled: 3-line block ×3, first 2 shown]
	v_add_f64_e64 v[1:2], v[116:117], -v[1:2]
	v_add_f64_e64 v[3:4], v[118:119], -v[3:4]
	scratch_store_b128 off, v[1:4], off offset:32
	v_cmpx_ne_u32_e32 0, v0
	s_cbranch_execz .LBB33_217
; %bb.216:
	scratch_load_b128 v[0:3], off, off offset:16
	v_mov_b32_e32 v4, 0
	s_delay_alu instid0(VALU_DEP_1)
	v_dual_mov_b32 v5, v4 :: v_dual_mov_b32 v6, v4
	v_mov_b32_e32 v7, v4
	scratch_store_b128 off, v[4:7], off offset:16
	s_wait_loadcnt 0x0
	ds_store_b128 v10, v[0:3]
.LBB33_217:
	s_wait_alu 0xfffe
	s_or_b32 exec_lo, exec_lo, s0
	s_wait_storecnt_dscnt 0x0
	s_barrier_signal -1
	s_barrier_wait -1
	global_inv scope:SCOPE_SE
	s_clause 0x7
	scratch_load_b128 v[0:3], off, off offset:32
	scratch_load_b128 v[4:7], off, off offset:48
	;; [unrolled: 1-line block ×8, first 2 shown]
	v_mov_b32_e32 v92, 0
	s_and_b32 vcc_lo, exec_lo, s18
	ds_load_b128 v[101:104], v92 offset:560
	s_clause 0x1
	scratch_load_b128 v[105:108], off, off offset:160
	scratch_load_b128 v[109:112], off, off offset:16
	ds_load_b128 v[113:116], v92 offset:576
	scratch_load_b128 v[117:120], off, off offset:176
	s_wait_loadcnt_dscnt 0xa01
	v_mul_f64_e32 v[121:122], v[103:104], v[2:3]
	v_mul_f64_e32 v[2:3], v[101:102], v[2:3]
	s_delay_alu instid0(VALU_DEP_2) | instskip(NEXT) | instid1(VALU_DEP_2)
	v_fma_f64 v[127:128], v[101:102], v[0:1], -v[121:122]
	v_fma_f64 v[129:130], v[103:104], v[0:1], v[2:3]
	ds_load_b128 v[0:3], v92 offset:592
	s_wait_loadcnt_dscnt 0x901
	v_mul_f64_e32 v[125:126], v[113:114], v[6:7]
	v_mul_f64_e32 v[6:7], v[115:116], v[6:7]
	scratch_load_b128 v[101:104], off, off offset:192
	ds_load_b128 v[121:124], v92 offset:608
	s_wait_loadcnt_dscnt 0x901
	v_mul_f64_e32 v[131:132], v[0:1], v[10:11]
	v_mul_f64_e32 v[10:11], v[2:3], v[10:11]
	v_fma_f64 v[115:116], v[115:116], v[4:5], v[125:126]
	v_fma_f64 v[113:114], v[113:114], v[4:5], -v[6:7]
	v_add_f64_e32 v[125:126], 0, v[127:128]
	v_add_f64_e32 v[127:128], 0, v[129:130]
	scratch_load_b128 v[4:7], off, off offset:208
	v_fma_f64 v[131:132], v[2:3], v[8:9], v[131:132]
	v_fma_f64 v[133:134], v[0:1], v[8:9], -v[10:11]
	ds_load_b128 v[0:3], v92 offset:624
	s_wait_loadcnt_dscnt 0x901
	v_mul_f64_e32 v[129:130], v[121:122], v[14:15]
	v_mul_f64_e32 v[14:15], v[123:124], v[14:15]
	scratch_load_b128 v[8:11], off, off offset:224
	v_add_f64_e32 v[125:126], v[125:126], v[113:114]
	v_add_f64_e32 v[127:128], v[127:128], v[115:116]
	s_wait_loadcnt_dscnt 0x900
	v_mul_f64_e32 v[135:136], v[0:1], v[18:19]
	v_mul_f64_e32 v[18:19], v[2:3], v[18:19]
	ds_load_b128 v[113:116], v92 offset:640
	v_fma_f64 v[123:124], v[123:124], v[12:13], v[129:130]
	v_fma_f64 v[121:122], v[121:122], v[12:13], -v[14:15]
	scratch_load_b128 v[12:15], off, off offset:240
	v_add_f64_e32 v[125:126], v[125:126], v[133:134]
	v_add_f64_e32 v[127:128], v[127:128], v[131:132]
	v_fma_f64 v[131:132], v[2:3], v[16:17], v[135:136]
	v_fma_f64 v[133:134], v[0:1], v[16:17], -v[18:19]
	ds_load_b128 v[0:3], v92 offset:656
	s_wait_loadcnt_dscnt 0x901
	v_mul_f64_e32 v[129:130], v[113:114], v[22:23]
	v_mul_f64_e32 v[22:23], v[115:116], v[22:23]
	scratch_load_b128 v[16:19], off, off offset:256
	s_wait_loadcnt_dscnt 0x900
	v_mul_f64_e32 v[135:136], v[0:1], v[95:96]
	v_mul_f64_e32 v[95:96], v[2:3], v[95:96]
	v_add_f64_e32 v[125:126], v[125:126], v[121:122]
	v_add_f64_e32 v[127:128], v[127:128], v[123:124]
	ds_load_b128 v[121:124], v92 offset:672
	v_fma_f64 v[115:116], v[115:116], v[20:21], v[129:130]
	v_fma_f64 v[113:114], v[113:114], v[20:21], -v[22:23]
	scratch_load_b128 v[20:23], off, off offset:272
	v_add_f64_e32 v[125:126], v[125:126], v[133:134]
	v_add_f64_e32 v[127:128], v[127:128], v[131:132]
	v_fma_f64 v[131:132], v[2:3], v[93:94], v[135:136]
	v_fma_f64 v[133:134], v[0:1], v[93:94], -v[95:96]
	ds_load_b128 v[0:3], v92 offset:688
	s_wait_loadcnt_dscnt 0x901
	v_mul_f64_e32 v[129:130], v[121:122], v[99:100]
	v_mul_f64_e32 v[99:100], v[123:124], v[99:100]
	scratch_load_b128 v[93:96], off, off offset:288
	s_wait_loadcnt_dscnt 0x900
	v_mul_f64_e32 v[135:136], v[0:1], v[107:108]
	v_mul_f64_e32 v[107:108], v[2:3], v[107:108]
	v_add_f64_e32 v[125:126], v[125:126], v[113:114]
	v_add_f64_e32 v[127:128], v[127:128], v[115:116]
	ds_load_b128 v[113:116], v92 offset:704
	v_fma_f64 v[123:124], v[123:124], v[97:98], v[129:130]
	v_fma_f64 v[121:122], v[121:122], v[97:98], -v[99:100]
	scratch_load_b128 v[97:100], off, off offset:304
	v_add_f64_e32 v[125:126], v[125:126], v[133:134]
	v_add_f64_e32 v[127:128], v[127:128], v[131:132]
	v_fma_f64 v[133:134], v[2:3], v[105:106], v[135:136]
	v_fma_f64 v[135:136], v[0:1], v[105:106], -v[107:108]
	ds_load_b128 v[0:3], v92 offset:720
	s_wait_loadcnt_dscnt 0x801
	v_mul_f64_e32 v[129:130], v[113:114], v[119:120]
	v_mul_f64_e32 v[131:132], v[115:116], v[119:120]
	scratch_load_b128 v[105:108], off, off offset:320
	v_add_f64_e32 v[125:126], v[125:126], v[121:122]
	v_add_f64_e32 v[123:124], v[127:128], v[123:124]
	ds_load_b128 v[119:122], v92 offset:736
	v_fma_f64 v[129:130], v[115:116], v[117:118], v[129:130]
	v_fma_f64 v[117:118], v[113:114], v[117:118], -v[131:132]
	scratch_load_b128 v[113:116], off, off offset:336
	s_wait_loadcnt_dscnt 0x901
	v_mul_f64_e32 v[127:128], v[0:1], v[103:104]
	v_mul_f64_e32 v[103:104], v[2:3], v[103:104]
	v_add_f64_e32 v[125:126], v[125:126], v[135:136]
	v_add_f64_e32 v[123:124], v[123:124], v[133:134]
	s_delay_alu instid0(VALU_DEP_4) | instskip(NEXT) | instid1(VALU_DEP_4)
	v_fma_f64 v[127:128], v[2:3], v[101:102], v[127:128]
	v_fma_f64 v[133:134], v[0:1], v[101:102], -v[103:104]
	ds_load_b128 v[0:3], v92 offset:752
	s_wait_loadcnt_dscnt 0x801
	v_mul_f64_e32 v[131:132], v[119:120], v[6:7]
	v_mul_f64_e32 v[6:7], v[121:122], v[6:7]
	scratch_load_b128 v[101:104], off, off offset:352
	s_wait_loadcnt_dscnt 0x800
	v_mul_f64_e32 v[135:136], v[0:1], v[10:11]
	v_add_f64_e32 v[117:118], v[125:126], v[117:118]
	v_add_f64_e32 v[129:130], v[123:124], v[129:130]
	v_mul_f64_e32 v[10:11], v[2:3], v[10:11]
	ds_load_b128 v[123:126], v92 offset:768
	v_fma_f64 v[121:122], v[121:122], v[4:5], v[131:132]
	v_fma_f64 v[119:120], v[119:120], v[4:5], -v[6:7]
	scratch_load_b128 v[4:7], off, off offset:368
	v_fma_f64 v[131:132], v[2:3], v[8:9], v[135:136]
	v_add_f64_e32 v[117:118], v[117:118], v[133:134]
	v_add_f64_e32 v[127:128], v[129:130], v[127:128]
	v_fma_f64 v[133:134], v[0:1], v[8:9], -v[10:11]
	ds_load_b128 v[0:3], v92 offset:784
	s_wait_loadcnt_dscnt 0x801
	v_mul_f64_e32 v[129:130], v[123:124], v[14:15]
	v_mul_f64_e32 v[14:15], v[125:126], v[14:15]
	scratch_load_b128 v[8:11], off, off offset:384
	v_add_f64_e32 v[135:136], v[117:118], v[119:120]
	v_add_f64_e32 v[121:122], v[127:128], v[121:122]
	s_wait_loadcnt_dscnt 0x800
	v_mul_f64_e32 v[127:128], v[0:1], v[18:19]
	v_mul_f64_e32 v[18:19], v[2:3], v[18:19]
	v_fma_f64 v[125:126], v[125:126], v[12:13], v[129:130]
	v_fma_f64 v[123:124], v[123:124], v[12:13], -v[14:15]
	ds_load_b128 v[117:120], v92 offset:800
	scratch_load_b128 v[12:15], off, off offset:400
	v_add_f64_e32 v[129:130], v[135:136], v[133:134]
	v_add_f64_e32 v[121:122], v[121:122], v[131:132]
	v_fma_f64 v[127:128], v[2:3], v[16:17], v[127:128]
	v_fma_f64 v[133:134], v[0:1], v[16:17], -v[18:19]
	ds_load_b128 v[0:3], v92 offset:816
	s_wait_loadcnt_dscnt 0x801
	v_mul_f64_e32 v[131:132], v[117:118], v[22:23]
	v_mul_f64_e32 v[22:23], v[119:120], v[22:23]
	scratch_load_b128 v[16:19], off, off offset:416
	s_wait_loadcnt_dscnt 0x800
	v_mul_f64_e32 v[135:136], v[0:1], v[95:96]
	v_mul_f64_e32 v[95:96], v[2:3], v[95:96]
	v_add_f64_e32 v[129:130], v[129:130], v[123:124]
	v_add_f64_e32 v[125:126], v[121:122], v[125:126]
	ds_load_b128 v[121:124], v92 offset:832
	v_fma_f64 v[119:120], v[119:120], v[20:21], v[131:132]
	v_fma_f64 v[117:118], v[117:118], v[20:21], -v[22:23]
	scratch_load_b128 v[20:23], off, off offset:432
	v_fma_f64 v[131:132], v[2:3], v[93:94], v[135:136]
	v_add_f64_e32 v[129:130], v[129:130], v[133:134]
	v_add_f64_e32 v[125:126], v[125:126], v[127:128]
	v_fma_f64 v[133:134], v[0:1], v[93:94], -v[95:96]
	ds_load_b128 v[0:3], v92 offset:848
	s_wait_loadcnt_dscnt 0x801
	v_mul_f64_e32 v[127:128], v[121:122], v[99:100]
	v_mul_f64_e32 v[99:100], v[123:124], v[99:100]
	scratch_load_b128 v[93:96], off, off offset:448
	s_wait_loadcnt_dscnt 0x800
	v_mul_f64_e32 v[135:136], v[0:1], v[107:108]
	v_mul_f64_e32 v[107:108], v[2:3], v[107:108]
	v_add_f64_e32 v[129:130], v[129:130], v[117:118]
	v_add_f64_e32 v[125:126], v[125:126], v[119:120]
	ds_load_b128 v[117:120], v92 offset:864
	v_fma_f64 v[123:124], v[123:124], v[97:98], v[127:128]
	v_fma_f64 v[121:122], v[121:122], v[97:98], -v[99:100]
	scratch_load_b128 v[97:100], off, off offset:464
	v_add_f64_e32 v[127:128], v[129:130], v[133:134]
	v_add_f64_e32 v[125:126], v[125:126], v[131:132]
	v_fma_f64 v[131:132], v[2:3], v[105:106], v[135:136]
	v_fma_f64 v[133:134], v[0:1], v[105:106], -v[107:108]
	ds_load_b128 v[0:3], v92 offset:880
	s_wait_loadcnt_dscnt 0x801
	v_mul_f64_e32 v[129:130], v[117:118], v[115:116]
	v_mul_f64_e32 v[115:116], v[119:120], v[115:116]
	scratch_load_b128 v[105:108], off, off offset:480
	s_wait_loadcnt_dscnt 0x800
	v_mul_f64_e32 v[135:136], v[0:1], v[103:104]
	v_mul_f64_e32 v[103:104], v[2:3], v[103:104]
	v_add_f64_e32 v[127:128], v[127:128], v[121:122]
	v_add_f64_e32 v[125:126], v[125:126], v[123:124]
	ds_load_b128 v[121:124], v92 offset:896
	v_fma_f64 v[119:120], v[119:120], v[113:114], v[129:130]
	v_fma_f64 v[117:118], v[117:118], v[113:114], -v[115:116]
	scratch_load_b128 v[113:116], off, off offset:496
	v_add_f64_e32 v[127:128], v[127:128], v[133:134]
	v_add_f64_e32 v[125:126], v[125:126], v[131:132]
	v_fma_f64 v[131:132], v[2:3], v[101:102], v[135:136]
	;; [unrolled: 18-line block ×3, first 2 shown]
	v_fma_f64 v[133:134], v[0:1], v[8:9], -v[10:11]
	ds_load_b128 v[0:3], v92 offset:944
	s_wait_loadcnt_dscnt 0x801
	v_mul_f64_e32 v[129:130], v[117:118], v[14:15]
	v_mul_f64_e32 v[14:15], v[119:120], v[14:15]
	scratch_load_b128 v[8:11], off, off offset:544
	s_wait_loadcnt_dscnt 0x800
	v_mul_f64_e32 v[135:136], v[0:1], v[18:19]
	v_mul_f64_e32 v[18:19], v[2:3], v[18:19]
	v_add_f64_e32 v[127:128], v[127:128], v[121:122]
	v_add_f64_e32 v[125:126], v[125:126], v[123:124]
	ds_load_b128 v[121:124], v92 offset:960
	v_fma_f64 v[119:120], v[119:120], v[12:13], v[129:130]
	v_fma_f64 v[12:13], v[117:118], v[12:13], -v[14:15]
	v_add_f64_e32 v[14:15], v[127:128], v[133:134]
	v_add_f64_e32 v[117:118], v[125:126], v[131:132]
	s_wait_loadcnt_dscnt 0x700
	v_mul_f64_e32 v[125:126], v[121:122], v[22:23]
	v_mul_f64_e32 v[22:23], v[123:124], v[22:23]
	v_fma_f64 v[127:128], v[2:3], v[16:17], v[135:136]
	v_fma_f64 v[16:17], v[0:1], v[16:17], -v[18:19]
	v_add_f64_e32 v[18:19], v[14:15], v[12:13]
	v_add_f64_e32 v[117:118], v[117:118], v[119:120]
	ds_load_b128 v[0:3], v92 offset:976
	ds_load_b128 v[12:15], v92 offset:992
	v_fma_f64 v[123:124], v[123:124], v[20:21], v[125:126]
	v_fma_f64 v[20:21], v[121:122], v[20:21], -v[22:23]
	s_wait_loadcnt_dscnt 0x601
	v_mul_f64_e32 v[119:120], v[0:1], v[95:96]
	v_mul_f64_e32 v[95:96], v[2:3], v[95:96]
	s_wait_loadcnt_dscnt 0x500
	v_mul_f64_e32 v[22:23], v[12:13], v[99:100]
	v_mul_f64_e32 v[99:100], v[14:15], v[99:100]
	v_add_f64_e32 v[16:17], v[18:19], v[16:17]
	v_add_f64_e32 v[18:19], v[117:118], v[127:128]
	v_fma_f64 v[117:118], v[2:3], v[93:94], v[119:120]
	v_fma_f64 v[93:94], v[0:1], v[93:94], -v[95:96]
	v_fma_f64 v[14:15], v[14:15], v[97:98], v[22:23]
	v_fma_f64 v[12:13], v[12:13], v[97:98], -v[99:100]
	v_add_f64_e32 v[20:21], v[16:17], v[20:21]
	v_add_f64_e32 v[95:96], v[18:19], v[123:124]
	ds_load_b128 v[0:3], v92 offset:1008
	ds_load_b128 v[16:19], v92 offset:1024
	s_wait_loadcnt_dscnt 0x401
	v_mul_f64_e32 v[119:120], v[0:1], v[107:108]
	v_mul_f64_e32 v[107:108], v[2:3], v[107:108]
	v_add_f64_e32 v[20:21], v[20:21], v[93:94]
	v_add_f64_e32 v[22:23], v[95:96], v[117:118]
	s_wait_loadcnt_dscnt 0x300
	v_mul_f64_e32 v[93:94], v[16:17], v[115:116]
	v_mul_f64_e32 v[95:96], v[18:19], v[115:116]
	v_fma_f64 v[97:98], v[2:3], v[105:106], v[119:120]
	v_fma_f64 v[99:100], v[0:1], v[105:106], -v[107:108]
	v_add_f64_e32 v[20:21], v[20:21], v[12:13]
	v_add_f64_e32 v[22:23], v[22:23], v[14:15]
	ds_load_b128 v[0:3], v92 offset:1040
	ds_load_b128 v[12:15], v92 offset:1056
	v_fma_f64 v[18:19], v[18:19], v[113:114], v[93:94]
	v_fma_f64 v[16:17], v[16:17], v[113:114], -v[95:96]
	s_wait_loadcnt_dscnt 0x201
	v_mul_f64_e32 v[105:106], v[0:1], v[103:104]
	v_mul_f64_e32 v[103:104], v[2:3], v[103:104]
	s_wait_loadcnt_dscnt 0x100
	v_mul_f64_e32 v[93:94], v[12:13], v[6:7]
	v_mul_f64_e32 v[6:7], v[14:15], v[6:7]
	v_add_f64_e32 v[20:21], v[20:21], v[99:100]
	v_add_f64_e32 v[22:23], v[22:23], v[97:98]
	v_fma_f64 v[95:96], v[2:3], v[101:102], v[105:106]
	v_fma_f64 v[97:98], v[0:1], v[101:102], -v[103:104]
	ds_load_b128 v[0:3], v92 offset:1072
	v_fma_f64 v[14:15], v[14:15], v[4:5], v[93:94]
	v_fma_f64 v[4:5], v[12:13], v[4:5], -v[6:7]
	v_add_f64_e32 v[16:17], v[20:21], v[16:17]
	v_add_f64_e32 v[18:19], v[22:23], v[18:19]
	s_wait_loadcnt_dscnt 0x0
	v_mul_f64_e32 v[20:21], v[0:1], v[10:11]
	v_mul_f64_e32 v[10:11], v[2:3], v[10:11]
	s_delay_alu instid0(VALU_DEP_4) | instskip(NEXT) | instid1(VALU_DEP_4)
	v_add_f64_e32 v[6:7], v[16:17], v[97:98]
	v_add_f64_e32 v[12:13], v[18:19], v[95:96]
	s_delay_alu instid0(VALU_DEP_4) | instskip(NEXT) | instid1(VALU_DEP_4)
	v_fma_f64 v[2:3], v[2:3], v[8:9], v[20:21]
	v_fma_f64 v[0:1], v[0:1], v[8:9], -v[10:11]
	s_delay_alu instid0(VALU_DEP_4) | instskip(NEXT) | instid1(VALU_DEP_4)
	v_add_f64_e32 v[4:5], v[6:7], v[4:5]
	v_add_f64_e32 v[6:7], v[12:13], v[14:15]
	s_delay_alu instid0(VALU_DEP_2) | instskip(NEXT) | instid1(VALU_DEP_2)
	v_add_f64_e32 v[0:1], v[4:5], v[0:1]
	v_add_f64_e32 v[2:3], v[6:7], v[2:3]
	s_delay_alu instid0(VALU_DEP_2) | instskip(NEXT) | instid1(VALU_DEP_2)
	v_add_f64_e64 v[0:1], v[109:110], -v[0:1]
	v_add_f64_e64 v[2:3], v[111:112], -v[2:3]
	scratch_store_b128 off, v[0:3], off offset:16
	s_wait_alu 0xfffe
	s_cbranch_vccz .LBB33_284
; %bb.218:
	global_load_b32 v0, v92, s[2:3] offset:128
	s_wait_loadcnt 0x0
	v_cmp_ne_u32_e32 vcc_lo, 33, v0
	s_cbranch_vccz .LBB33_220
; %bb.219:
	v_lshlrev_b32_e32 v0, 4, v0
	s_delay_alu instid0(VALU_DEP_1)
	v_add_nc_u32_e32 v8, 16, v0
	s_clause 0x1
	scratch_load_b128 v[0:3], v8, off offset:-16
	scratch_load_b128 v[4:7], off, s24
	s_wait_loadcnt 0x1
	scratch_store_b128 off, v[0:3], s24
	s_wait_loadcnt 0x0
	scratch_store_b128 v8, v[4:7], off offset:-16
.LBB33_220:
	v_mov_b32_e32 v0, 0
	global_load_b32 v1, v0, s[2:3] offset:124
	s_wait_loadcnt 0x0
	v_cmp_eq_u32_e32 vcc_lo, 32, v1
	s_cbranch_vccnz .LBB33_222
; %bb.221:
	v_lshlrev_b32_e32 v1, 4, v1
	s_delay_alu instid0(VALU_DEP_1)
	v_add_nc_u32_e32 v9, 16, v1
	s_clause 0x1
	scratch_load_b128 v[1:4], v9, off offset:-16
	scratch_load_b128 v[5:8], off, s22
	s_wait_loadcnt 0x1
	scratch_store_b128 off, v[1:4], s22
	s_wait_loadcnt 0x0
	scratch_store_b128 v9, v[5:8], off offset:-16
.LBB33_222:
	global_load_b32 v0, v0, s[2:3] offset:120
	s_wait_loadcnt 0x0
	v_cmp_eq_u32_e32 vcc_lo, 31, v0
	s_cbranch_vccnz .LBB33_224
; %bb.223:
	v_lshlrev_b32_e32 v0, 4, v0
	s_delay_alu instid0(VALU_DEP_1)
	v_add_nc_u32_e32 v8, 16, v0
	s_clause 0x1
	scratch_load_b128 v[0:3], v8, off offset:-16
	scratch_load_b128 v[4:7], off, s23
	s_wait_loadcnt 0x1
	scratch_store_b128 off, v[0:3], s23
	s_wait_loadcnt 0x0
	scratch_store_b128 v8, v[4:7], off offset:-16
.LBB33_224:
	v_mov_b32_e32 v0, 0
	global_load_b32 v1, v0, s[2:3] offset:116
	s_wait_loadcnt 0x0
	v_cmp_eq_u32_e32 vcc_lo, 30, v1
	s_cbranch_vccnz .LBB33_226
; %bb.225:
	v_lshlrev_b32_e32 v1, 4, v1
	s_delay_alu instid0(VALU_DEP_1)
	v_add_nc_u32_e32 v9, 16, v1
	s_clause 0x1
	scratch_load_b128 v[1:4], v9, off offset:-16
	scratch_load_b128 v[5:8], off, s13
	s_wait_loadcnt 0x1
	scratch_store_b128 off, v[1:4], s13
	s_wait_loadcnt 0x0
	scratch_store_b128 v9, v[5:8], off offset:-16
.LBB33_226:
	global_load_b32 v0, v0, s[2:3] offset:112
	s_wait_loadcnt 0x0
	v_cmp_eq_u32_e32 vcc_lo, 29, v0
	s_cbranch_vccnz .LBB33_228
; %bb.227:
	v_lshlrev_b32_e32 v0, 4, v0
	s_delay_alu instid0(VALU_DEP_1)
	v_add_nc_u32_e32 v8, 16, v0
	s_clause 0x1
	scratch_load_b128 v[0:3], v8, off offset:-16
	scratch_load_b128 v[4:7], off, s21
	s_wait_loadcnt 0x1
	scratch_store_b128 off, v[0:3], s21
	s_wait_loadcnt 0x0
	scratch_store_b128 v8, v[4:7], off offset:-16
.LBB33_228:
	;; [unrolled: 33-line block ×15, first 2 shown]
	v_mov_b32_e32 v0, 0
	global_load_b32 v1, v0, s[2:3] offset:4
	s_wait_loadcnt 0x0
	v_cmp_eq_u32_e32 vcc_lo, 2, v1
	s_cbranch_vccnz .LBB33_282
; %bb.281:
	v_lshlrev_b32_e32 v1, 4, v1
	s_delay_alu instid0(VALU_DEP_1)
	v_add_nc_u32_e32 v9, 16, v1
	s_clause 0x1
	scratch_load_b128 v[1:4], v9, off offset:-16
	scratch_load_b128 v[5:8], off, s28
	s_wait_loadcnt 0x1
	scratch_store_b128 off, v[1:4], s28
	s_wait_loadcnt 0x0
	scratch_store_b128 v9, v[5:8], off offset:-16
.LBB33_282:
	global_load_b32 v0, v0, s[2:3]
	s_wait_loadcnt 0x0
	v_cmp_eq_u32_e32 vcc_lo, 1, v0
	s_cbranch_vccnz .LBB33_284
; %bb.283:
	v_lshlrev_b32_e32 v0, 4, v0
	s_delay_alu instid0(VALU_DEP_1)
	v_add_nc_u32_e32 v8, 16, v0
	scratch_load_b128 v[0:3], v8, off offset:-16
	scratch_load_b128 v[4:7], off, off offset:16
	s_wait_loadcnt 0x1
	scratch_store_b128 off, v[0:3], off offset:16
	s_wait_loadcnt 0x0
	scratch_store_b128 v8, v[4:7], off offset:-16
.LBB33_284:
	scratch_load_b128 v[0:3], off, off offset:16
	s_clause 0x10
	scratch_load_b128 v[4:7], off, s28
	scratch_load_b128 v[8:11], off, s27
	scratch_load_b128 v[12:15], off, s26
	scratch_load_b128 v[16:19], off, s25
	scratch_load_b128 v[20:23], off, s42
	scratch_load_b128 v[92:95], off, s41
	scratch_load_b128 v[96:99], off, s40
	scratch_load_b128 v[100:103], off, s39
	scratch_load_b128 v[104:107], off, s37
	scratch_load_b128 v[108:111], off, s36
	scratch_load_b128 v[112:115], off, s35
	scratch_load_b128 v[116:119], off, s34
	scratch_load_b128 v[120:123], off, s33
	scratch_load_b128 v[124:127], off, s31
	scratch_load_b128 v[128:131], off, s30
	scratch_load_b128 v[132:135], off, s29
	scratch_load_b128 v[136:139], off, s38
	s_wait_loadcnt 0x11
	global_store_b128 v[24:25], v[0:3], off
	s_wait_loadcnt 0x10
	global_store_b128 v[26:27], v[4:7], off
	s_clause 0x1
	scratch_load_b128 v[0:3], off, s5
	scratch_load_b128 v[4:7], off, s8
	s_wait_loadcnt 0x11
	global_store_b128 v[28:29], v[8:11], off
	s_clause 0x1
	scratch_load_b128 v[8:11], off, s4
	scratch_load_b128 v[24:27], off, s20
	;; [unrolled: 5-line block ×3, first 2 shown]
	s_wait_loadcnt 0x13
	global_store_b128 v[32:33], v[16:19], off
	s_wait_loadcnt 0x12
	global_store_b128 v[34:35], v[20:23], off
	s_clause 0x1
	scratch_load_b128 v[16:19], off, s9
	scratch_load_b128 v[20:23], off, s11
	s_wait_loadcnt 0x13
	global_store_b128 v[36:37], v[92:95], off
	s_clause 0x1
	scratch_load_b128 v[32:35], off, s10
	scratch_load_b128 v[92:95], off, s19
	;; [unrolled: 5-line block ×3, first 2 shown]
	s_wait_loadcnt 0x15
	global_store_b128 v[40:41], v[100:103], off
	s_wait_loadcnt 0x14
	global_store_b128 v[42:43], v[104:107], off
	s_clause 0x1
	scratch_load_b128 v[40:43], off, s13
	scratch_load_b128 v[100:103], off, s23
	s_wait_loadcnt 0x15
	global_store_b128 v[44:45], v[108:111], off
	s_clause 0x1
	scratch_load_b128 v[104:107], off, s22
	scratch_load_b128 v[108:111], off, s24
	s_wait_loadcnt 0x16
	global_store_b128 v[46:47], v[112:115], off
	s_wait_loadcnt 0x15
	global_store_b128 v[48:49], v[116:119], off
	;; [unrolled: 2-line block ×21, first 2 shown]
	s_wait_loadcnt 0x0
	s_clause 0x1
	global_store_b128 v[88:89], v[108:111], off
	global_store_b128 v[90:91], v[136:139], off
	s_nop 0
	s_sendmsg sendmsg(MSG_DEALLOC_VGPRS)
	s_endpgm
	.section	.rodata,"a",@progbits
	.p2align	6, 0x0
	.amdhsa_kernel _ZN9rocsolver6v33100L18getri_kernel_smallILi34E19rocblas_complex_numIdEPS3_EEvT1_iilPiilS6_bb
		.amdhsa_group_segment_fixed_size 1096
		.amdhsa_private_segment_fixed_size 576
		.amdhsa_kernarg_size 60
		.amdhsa_user_sgpr_count 2
		.amdhsa_user_sgpr_dispatch_ptr 0
		.amdhsa_user_sgpr_queue_ptr 0
		.amdhsa_user_sgpr_kernarg_segment_ptr 1
		.amdhsa_user_sgpr_dispatch_id 0
		.amdhsa_user_sgpr_private_segment_size 0
		.amdhsa_wavefront_size32 1
		.amdhsa_uses_dynamic_stack 0
		.amdhsa_enable_private_segment 1
		.amdhsa_system_sgpr_workgroup_id_x 1
		.amdhsa_system_sgpr_workgroup_id_y 0
		.amdhsa_system_sgpr_workgroup_id_z 0
		.amdhsa_system_sgpr_workgroup_info 0
		.amdhsa_system_vgpr_workitem_id 0
		.amdhsa_next_free_vgpr 148
		.amdhsa_next_free_sgpr 46
		.amdhsa_reserve_vcc 1
		.amdhsa_float_round_mode_32 0
		.amdhsa_float_round_mode_16_64 0
		.amdhsa_float_denorm_mode_32 3
		.amdhsa_float_denorm_mode_16_64 3
		.amdhsa_fp16_overflow 0
		.amdhsa_workgroup_processor_mode 1
		.amdhsa_memory_ordered 1
		.amdhsa_forward_progress 1
		.amdhsa_inst_pref_size 255
		.amdhsa_round_robin_scheduling 0
		.amdhsa_exception_fp_ieee_invalid_op 0
		.amdhsa_exception_fp_denorm_src 0
		.amdhsa_exception_fp_ieee_div_zero 0
		.amdhsa_exception_fp_ieee_overflow 0
		.amdhsa_exception_fp_ieee_underflow 0
		.amdhsa_exception_fp_ieee_inexact 0
		.amdhsa_exception_int_div_zero 0
	.end_amdhsa_kernel
	.section	.text._ZN9rocsolver6v33100L18getri_kernel_smallILi34E19rocblas_complex_numIdEPS3_EEvT1_iilPiilS6_bb,"axG",@progbits,_ZN9rocsolver6v33100L18getri_kernel_smallILi34E19rocblas_complex_numIdEPS3_EEvT1_iilPiilS6_bb,comdat
.Lfunc_end33:
	.size	_ZN9rocsolver6v33100L18getri_kernel_smallILi34E19rocblas_complex_numIdEPS3_EEvT1_iilPiilS6_bb, .Lfunc_end33-_ZN9rocsolver6v33100L18getri_kernel_smallILi34E19rocblas_complex_numIdEPS3_EEvT1_iilPiilS6_bb
                                        ; -- End function
	.set _ZN9rocsolver6v33100L18getri_kernel_smallILi34E19rocblas_complex_numIdEPS3_EEvT1_iilPiilS6_bb.num_vgpr, 148
	.set _ZN9rocsolver6v33100L18getri_kernel_smallILi34E19rocblas_complex_numIdEPS3_EEvT1_iilPiilS6_bb.num_agpr, 0
	.set _ZN9rocsolver6v33100L18getri_kernel_smallILi34E19rocblas_complex_numIdEPS3_EEvT1_iilPiilS6_bb.numbered_sgpr, 46
	.set _ZN9rocsolver6v33100L18getri_kernel_smallILi34E19rocblas_complex_numIdEPS3_EEvT1_iilPiilS6_bb.num_named_barrier, 0
	.set _ZN9rocsolver6v33100L18getri_kernel_smallILi34E19rocblas_complex_numIdEPS3_EEvT1_iilPiilS6_bb.private_seg_size, 576
	.set _ZN9rocsolver6v33100L18getri_kernel_smallILi34E19rocblas_complex_numIdEPS3_EEvT1_iilPiilS6_bb.uses_vcc, 1
	.set _ZN9rocsolver6v33100L18getri_kernel_smallILi34E19rocblas_complex_numIdEPS3_EEvT1_iilPiilS6_bb.uses_flat_scratch, 1
	.set _ZN9rocsolver6v33100L18getri_kernel_smallILi34E19rocblas_complex_numIdEPS3_EEvT1_iilPiilS6_bb.has_dyn_sized_stack, 0
	.set _ZN9rocsolver6v33100L18getri_kernel_smallILi34E19rocblas_complex_numIdEPS3_EEvT1_iilPiilS6_bb.has_recursion, 0
	.set _ZN9rocsolver6v33100L18getri_kernel_smallILi34E19rocblas_complex_numIdEPS3_EEvT1_iilPiilS6_bb.has_indirect_call, 0
	.section	.AMDGPU.csdata,"",@progbits
; Kernel info:
; codeLenInByte = 54416
; TotalNumSgprs: 48
; NumVgprs: 148
; ScratchSize: 576
; MemoryBound: 0
; FloatMode: 240
; IeeeMode: 1
; LDSByteSize: 1096 bytes/workgroup (compile time only)
; SGPRBlocks: 0
; VGPRBlocks: 18
; NumSGPRsForWavesPerEU: 48
; NumVGPRsForWavesPerEU: 148
; Occupancy: 9
; WaveLimiterHint : 1
; COMPUTE_PGM_RSRC2:SCRATCH_EN: 1
; COMPUTE_PGM_RSRC2:USER_SGPR: 2
; COMPUTE_PGM_RSRC2:TRAP_HANDLER: 0
; COMPUTE_PGM_RSRC2:TGID_X_EN: 1
; COMPUTE_PGM_RSRC2:TGID_Y_EN: 0
; COMPUTE_PGM_RSRC2:TGID_Z_EN: 0
; COMPUTE_PGM_RSRC2:TIDIG_COMP_CNT: 0
	.section	.text._ZN9rocsolver6v33100L18getri_kernel_smallILi35E19rocblas_complex_numIdEPS3_EEvT1_iilPiilS6_bb,"axG",@progbits,_ZN9rocsolver6v33100L18getri_kernel_smallILi35E19rocblas_complex_numIdEPS3_EEvT1_iilPiilS6_bb,comdat
	.globl	_ZN9rocsolver6v33100L18getri_kernel_smallILi35E19rocblas_complex_numIdEPS3_EEvT1_iilPiilS6_bb ; -- Begin function _ZN9rocsolver6v33100L18getri_kernel_smallILi35E19rocblas_complex_numIdEPS3_EEvT1_iilPiilS6_bb
	.p2align	8
	.type	_ZN9rocsolver6v33100L18getri_kernel_smallILi35E19rocblas_complex_numIdEPS3_EEvT1_iilPiilS6_bb,@function
_ZN9rocsolver6v33100L18getri_kernel_smallILi35E19rocblas_complex_numIdEPS3_EEvT1_iilPiilS6_bb: ; @_ZN9rocsolver6v33100L18getri_kernel_smallILi35E19rocblas_complex_numIdEPS3_EEvT1_iilPiilS6_bb
; %bb.0:
	s_mov_b32 s2, exec_lo
	v_cmpx_gt_u32_e32 35, v0
	s_cbranch_execz .LBB34_154
; %bb.1:
	s_clause 0x2
	s_load_b32 s2, s[0:1], 0x38
	s_load_b128 s[12:15], s[0:1], 0x10
	s_load_b128 s[4:7], s[0:1], 0x28
	s_mov_b32 s16, ttmp9
	s_wait_kmcnt 0x0
	s_bitcmp1_b32 s2, 8
	s_cselect_b32 s18, -1, 0
	s_bfe_u32 s2, s2, 0x10008
	s_ashr_i32 s17, ttmp9, 31
	s_cmp_eq_u32 s2, 0
                                        ; implicit-def: $sgpr2_sgpr3
	s_cbranch_scc1 .LBB34_3
; %bb.2:
	s_load_b32 s2, s[0:1], 0x20
	s_mul_u64 s[4:5], s[4:5], s[16:17]
	s_delay_alu instid0(SALU_CYCLE_1) | instskip(NEXT) | instid1(SALU_CYCLE_1)
	s_lshl_b64 s[4:5], s[4:5], 2
	s_add_nc_u64 s[4:5], s[14:15], s[4:5]
	s_wait_kmcnt 0x0
	s_ashr_i32 s3, s2, 31
	s_delay_alu instid0(SALU_CYCLE_1) | instskip(NEXT) | instid1(SALU_CYCLE_1)
	s_lshl_b64 s[2:3], s[2:3], 2
	s_add_nc_u64 s[2:3], s[4:5], s[2:3]
.LBB34_3:
	s_clause 0x1
	s_load_b128 s[8:11], s[0:1], 0x0
	s_load_b32 s44, s[0:1], 0x38
	s_mul_u64 s[0:1], s[12:13], s[16:17]
	v_lshlrev_b32_e32 v17, 4, v0
	s_lshl_b64 s[0:1], s[0:1], 4
	s_movk_i32 s29, 0x160
	s_movk_i32 s22, 0x100
	;; [unrolled: 1-line block ×5, first 2 shown]
	s_add_co_i32 s31, s22, 16
	s_movk_i32 s12, 0xb0
	s_movk_i32 s24, 0x120
	s_add_co_i32 s33, s21, 16
	s_add_co_i32 s30, s23, 16
	s_movk_i32 s14, 0xc0
	s_movk_i32 s15, 0xd0
	;; [unrolled: 1-line block ×5, first 2 shown]
	s_wait_kmcnt 0x0
	s_ashr_i32 s5, s10, 31
	s_mov_b32 s4, s10
	s_add_nc_u64 s[0:1], s[8:9], s[0:1]
	s_lshl_b64 s[4:5], s[4:5], 4
	v_add3_u32 v5, s11, s11, v0
	s_add_nc_u64 s[0:1], s[0:1], s[4:5]
	s_ashr_i32 s5, s11, 31
	global_load_b128 v[1:4], v17, s[0:1]
	v_add_co_u32 v34, s8, s0, v17
	v_add_nc_u32_e32 v7, s11, v5
	v_ashrrev_i32_e32 v6, 31, v5
	s_mov_b32 s4, s11
	v_add_co_ci_u32_e64 v35, null, s1, 0, s8
	s_delay_alu instid0(VALU_DEP_3)
	v_add_nc_u32_e32 v9, s11, v7
	v_ashrrev_i32_e32 v8, 31, v7
	v_lshlrev_b64_e32 v[5:6], 4, v[5:6]
	s_lshl_b64 s[4:5], s[4:5], 4
	s_movk_i32 s8, 0x90
	v_add_nc_u32_e32 v13, s11, v9
	v_ashrrev_i32_e32 v10, 31, v9
	v_lshlrev_b64_e32 v[7:8], 4, v[7:8]
	v_add_co_u32 v36, vcc_lo, v34, s4
	s_delay_alu instid0(VALU_DEP_4) | instskip(SKIP_3) | instid1(VALU_DEP_4)
	v_add_nc_u32_e32 v18, s11, v13
	v_ashrrev_i32_e32 v14, 31, v13
	v_lshlrev_b64_e32 v[15:16], 4, v[9:10]
	v_add_co_ci_u32_e64 v37, null, s5, v35, vcc_lo
	v_add_nc_u32_e32 v22, s11, v18
	v_ashrrev_i32_e32 v19, 31, v18
	v_add_co_u32 v38, vcc_lo, s0, v5
	v_lshlrev_b64_e32 v[13:14], 4, v[13:14]
	s_delay_alu instid0(VALU_DEP_4)
	v_add_nc_u32_e32 v26, s11, v22
	v_ashrrev_i32_e32 v23, 31, v22
	s_wait_alu 0xfffd
	v_add_co_ci_u32_e64 v39, null, s1, v6, vcc_lo
	v_add_co_u32 v40, vcc_lo, s0, v7
	v_add_nc_u32_e32 v30, s11, v26
	v_ashrrev_i32_e32 v27, 31, v26
	v_lshlrev_b64_e32 v[24:25], 4, v[18:19]
	s_wait_alu 0xfffd
	v_add_co_ci_u32_e64 v41, null, s1, v8, vcc_lo
	v_add_nc_u32_e32 v52, s11, v30
	v_ashrrev_i32_e32 v31, 31, v30
	v_add_co_u32 v42, vcc_lo, s0, v15
	v_lshlrev_b64_e32 v[22:23], 4, v[22:23]
	s_delay_alu instid0(VALU_DEP_4)
	v_add_nc_u32_e32 v54, s11, v52
	v_ashrrev_i32_e32 v53, 31, v52
	s_wait_alu 0xfffd
	v_add_co_ci_u32_e64 v43, null, s1, v16, vcc_lo
	v_add_co_u32 v44, vcc_lo, s0, v13
	v_add_nc_u32_e32 v58, s11, v54
	v_lshlrev_b64_e32 v[32:33], 4, v[26:27]
	v_ashrrev_i32_e32 v55, 31, v54
	s_wait_alu 0xfffd
	v_add_co_ci_u32_e64 v45, null, s1, v14, vcc_lo
	v_add_co_u32 v46, vcc_lo, s0, v24
	v_lshlrev_b64_e32 v[30:31], 4, v[30:31]
	s_wait_alu 0xfffd
	v_add_co_ci_u32_e64 v47, null, s1, v25, vcc_lo
	v_add_co_u32 v48, vcc_lo, s0, v22
	v_lshlrev_b64_e32 v[56:57], 4, v[52:53]
	v_add_nc_u32_e32 v62, s11, v58
	s_wait_alu 0xfffd
	v_add_co_ci_u32_e64 v49, null, s1, v23, vcc_lo
	v_add_co_u32 v50, vcc_lo, s0, v32
	v_lshlrev_b64_e32 v[60:61], 4, v[54:55]
	s_wait_alu 0xfffd
	v_add_co_ci_u32_e64 v51, null, s1, v33, vcc_lo
	v_add_co_u32 v52, vcc_lo, s0, v30
	v_ashrrev_i32_e32 v63, 31, v62
	v_add_nc_u32_e32 v64, s11, v62
	s_wait_alu 0xfffd
	v_add_co_ci_u32_e64 v53, null, s1, v31, vcc_lo
	v_add_co_u32 v54, vcc_lo, s0, v56
	s_wait_alu 0xfffd
	v_add_co_ci_u32_e64 v55, null, s1, v57, vcc_lo
	v_add_co_u32 v56, vcc_lo, s0, v60
	s_wait_alu 0xfffd
	v_add_co_ci_u32_e64 v57, null, s1, v61, vcc_lo
	v_lshlrev_b64_e32 v[60:61], 4, v[62:63]
	v_add_nc_u32_e32 v62, s11, v64
	v_ashrrev_i32_e32 v59, 31, v58
	v_ashrrev_i32_e32 v65, 31, v64
	s_clause 0x3
	global_load_b128 v[9:12], v[36:37], off
	global_load_b128 v[5:8], v[38:39], off
	;; [unrolled: 1-line block ×4, first 2 shown]
	v_add_nc_u32_e32 v66, s11, v62
	v_lshlrev_b64_e32 v[58:59], 4, v[58:59]
	v_ashrrev_i32_e32 v63, 31, v62
	v_lshlrev_b64_e32 v[64:65], 4, v[64:65]
	s_clause 0x1
	global_load_b128 v[22:25], v[44:45], off
	global_load_b128 v[26:29], v[46:47], off
	v_add_nc_u32_e32 v70, s11, v66
	v_ashrrev_i32_e32 v67, 31, v66
	v_add_co_u32 v58, vcc_lo, s0, v58
	v_lshlrev_b64_e32 v[68:69], 4, v[62:63]
	s_wait_alu 0xfffd
	v_add_co_ci_u32_e64 v59, null, s1, v59, vcc_lo
	v_add_co_u32 v60, vcc_lo, s0, v60
	v_ashrrev_i32_e32 v71, 31, v70
	v_add_nc_u32_e32 v72, s11, v70
	s_wait_alu 0xfffd
	v_add_co_ci_u32_e64 v61, null, s1, v61, vcc_lo
	v_add_co_u32 v62, vcc_lo, s0, v64
	s_wait_alu 0xfffd
	v_add_co_ci_u32_e64 v63, null, s1, v65, vcc_lo
	v_add_co_u32 v64, vcc_lo, s0, v68
	s_wait_alu 0xfffd
	v_add_co_ci_u32_e64 v65, null, s1, v69, vcc_lo
	v_lshlrev_b64_e32 v[68:69], 4, v[70:71]
	v_add_nc_u32_e32 v70, s11, v72
	v_ashrrev_i32_e32 v73, 31, v72
	v_lshlrev_b64_e32 v[66:67], 4, v[66:67]
	s_clause 0x3
	global_load_b128 v[30:33], v[48:49], off
	global_load_b128 v[104:107], v[50:51], off
	;; [unrolled: 1-line block ×4, first 2 shown]
	v_add_nc_u32_e32 v74, s11, v70
	v_ashrrev_i32_e32 v71, 31, v70
	v_lshlrev_b64_e32 v[72:73], 4, v[72:73]
	v_add_co_u32 v66, vcc_lo, s0, v66
	s_delay_alu instid0(VALU_DEP_4) | instskip(NEXT) | instid1(VALU_DEP_4)
	v_add_nc_u32_e32 v78, s11, v74
	v_lshlrev_b64_e32 v[76:77], 4, v[70:71]
	s_wait_alu 0xfffd
	v_add_co_ci_u32_e64 v67, null, s1, v67, vcc_lo
	v_add_co_u32 v68, vcc_lo, s0, v68
	v_ashrrev_i32_e32 v79, 31, v78
	v_add_nc_u32_e32 v80, s11, v78
	s_wait_alu 0xfffd
	v_add_co_ci_u32_e64 v69, null, s1, v69, vcc_lo
	v_add_co_u32 v70, vcc_lo, s0, v72
	s_wait_alu 0xfffd
	v_add_co_ci_u32_e64 v71, null, s1, v73, vcc_lo
	v_add_co_u32 v72, vcc_lo, s0, v76
	s_wait_alu 0xfffd
	v_add_co_ci_u32_e64 v73, null, s1, v77, vcc_lo
	v_lshlrev_b64_e32 v[76:77], 4, v[78:79]
	v_add_nc_u32_e32 v78, s11, v80
	v_ashrrev_i32_e32 v75, 31, v74
	v_ashrrev_i32_e32 v81, 31, v80
	s_clause 0x3
	global_load_b128 v[116:119], v[56:57], off
	global_load_b128 v[120:123], v[58:59], off
	;; [unrolled: 1-line block ×4, first 2 shown]
	v_add_nc_u32_e32 v82, s11, v78
	v_lshlrev_b64_e32 v[74:75], 4, v[74:75]
	v_ashrrev_i32_e32 v79, 31, v78
	v_lshlrev_b64_e32 v[80:81], 4, v[80:81]
	global_load_b128 v[132:135], v[64:65], off
	v_add_nc_u32_e32 v86, s11, v82
	v_ashrrev_i32_e32 v83, 31, v82
	v_add_co_u32 v74, vcc_lo, s0, v74
	v_lshlrev_b64_e32 v[84:85], 4, v[78:79]
	s_wait_alu 0xfffd
	v_add_co_ci_u32_e64 v75, null, s1, v75, vcc_lo
	v_add_co_u32 v76, vcc_lo, s0, v76
	v_ashrrev_i32_e32 v87, 31, v86
	v_add_nc_u32_e32 v88, s11, v86
	s_wait_alu 0xfffd
	v_add_co_ci_u32_e64 v77, null, s1, v77, vcc_lo
	v_add_co_u32 v78, vcc_lo, s0, v80
	s_wait_alu 0xfffd
	v_add_co_ci_u32_e64 v79, null, s1, v81, vcc_lo
	v_add_co_u32 v80, vcc_lo, s0, v84
	s_wait_alu 0xfffd
	v_add_co_ci_u32_e64 v81, null, s1, v85, vcc_lo
	v_lshlrev_b64_e32 v[84:85], 4, v[86:87]
	v_add_nc_u32_e32 v86, s11, v88
	v_ashrrev_i32_e32 v89, 31, v88
	v_lshlrev_b64_e32 v[82:83], 4, v[82:83]
	s_movk_i32 s10, 0xa0
	s_wait_alu 0xfffe
	s_add_co_i32 s39, s8, 16
	v_add_nc_u32_e32 v90, s11, v86
	v_ashrrev_i32_e32 v87, 31, v86
	v_lshlrev_b64_e32 v[88:89], 4, v[88:89]
	v_add_co_u32 v82, vcc_lo, s0, v82
	s_delay_alu instid0(VALU_DEP_4) | instskip(NEXT) | instid1(VALU_DEP_4)
	v_add_nc_u32_e32 v94, s11, v90
	v_lshlrev_b64_e32 v[92:93], 4, v[86:87]
	s_wait_alu 0xfffd
	v_add_co_ci_u32_e64 v83, null, s1, v83, vcc_lo
	v_add_co_u32 v84, vcc_lo, s0, v84
	v_ashrrev_i32_e32 v95, 31, v94
	v_add_nc_u32_e32 v96, s11, v94
	s_wait_alu 0xfffd
	v_add_co_ci_u32_e64 v85, null, s1, v85, vcc_lo
	v_add_co_u32 v86, vcc_lo, s0, v88
	s_wait_alu 0xfffd
	v_add_co_ci_u32_e64 v87, null, s1, v89, vcc_lo
	v_add_co_u32 v88, vcc_lo, s0, v92
	s_wait_alu 0xfffd
	v_add_co_ci_u32_e64 v89, null, s1, v93, vcc_lo
	v_lshlrev_b64_e32 v[92:93], 4, v[94:95]
	v_add_nc_u32_e32 v94, s11, v96
	v_ashrrev_i32_e32 v91, 31, v90
	v_ashrrev_i32_e32 v97, 31, v96
	s_add_co_i32 s8, s29, 16
	s_add_co_i32 s38, s10, 16
	v_add_nc_u32_e32 v98, s11, v94
	v_lshlrev_b64_e32 v[90:91], 4, v[90:91]
	v_ashrrev_i32_e32 v95, 31, v94
	v_lshlrev_b64_e32 v[96:97], 4, v[96:97]
	s_add_co_i32 s10, s27, 16
	v_add_nc_u32_e32 v102, s11, v98
	v_ashrrev_i32_e32 v99, 31, v98
	v_add_co_u32 v90, vcc_lo, s0, v90
	v_lshlrev_b64_e32 v[100:101], 4, v[94:95]
	s_delay_alu instid0(VALU_DEP_4)
	v_add_nc_u32_e32 v136, s11, v102
	s_wait_alu 0xfffd
	v_add_co_ci_u32_e64 v91, null, s1, v91, vcc_lo
	v_add_co_u32 v92, vcc_lo, s0, v92
	v_ashrrev_i32_e32 v103, 31, v102
	v_ashrrev_i32_e32 v137, 31, v136
	s_wait_alu 0xfffd
	v_add_co_ci_u32_e64 v93, null, s1, v93, vcc_lo
	v_add_co_u32 v94, vcc_lo, s0, v96
	s_wait_alu 0xfffd
	v_add_co_ci_u32_e64 v95, null, s1, v97, vcc_lo
	v_add_co_u32 v96, vcc_lo, s0, v100
	s_wait_alu 0xfffd
	v_add_co_ci_u32_e64 v97, null, s1, v101, vcc_lo
	v_lshlrev_b64_e32 v[100:101], 4, v[102:103]
	v_lshlrev_b64_e32 v[102:103], 4, v[136:137]
	global_load_b128 v[136:139], v[66:67], off
	v_lshlrev_b64_e32 v[98:99], 4, v[98:99]
	s_movk_i32 s4, 0x70
	s_movk_i32 s5, 0x80
	;; [unrolled: 1-line block ×5, first 2 shown]
	v_add_co_u32 v98, vcc_lo, s0, v98
	s_wait_alu 0xfffd
	v_add_co_ci_u32_e64 v99, null, s1, v99, vcc_lo
	v_add_co_u32 v100, vcc_lo, s0, v100
	s_wait_alu 0xfffd
	v_add_co_ci_u32_e64 v101, null, s1, v101, vcc_lo
	;; [unrolled: 3-line block ×3, first 2 shown]
	s_movk_i32 s0, 0x50
	s_movk_i32 s1, 0x60
	s_wait_alu 0xfffe
	s_add_co_i32 s43, s0, 16
	s_movk_i32 s0, 0x1a0
	s_add_co_i32 s42, s1, 16
	s_movk_i32 s1, 0x1b0
	s_wait_alu 0xfffe
	s_add_co_i32 s29, s0, 16
	s_movk_i32 s0, 0x1c0
	s_add_co_i32 s22, s1, 16
	;; [unrolled: 5-line block ×4, first 2 shown]
	s_add_co_i32 s28, s24, 16
	s_add_co_i32 s12, s1, 16
	s_movk_i32 s1, 0x210
	s_wait_alu 0xfffe
	s_add_co_i32 s24, s0, 16
	s_movk_i32 s0, 0x220
	s_add_co_i32 s41, s4, 16
	s_add_co_i32 s40, s5, 16
	;; [unrolled: 1-line block ×11, first 2 shown]
	s_wait_alu 0xfffe
	s_add_co_i32 s25, s0, 16
	s_mov_b32 s19, 32
	s_mov_b32 s13, 48
	;; [unrolled: 1-line block ×3, first 2 shown]
	s_movk_i32 s9, 0x50
	s_bitcmp0_b32 s44, 0
	s_mov_b32 s1, -1
	s_wait_loadcnt 0x10
	scratch_store_b128 off, v[1:4], off offset:16
	global_load_b128 v[1:4], v[68:69], off
	s_wait_loadcnt 0x10
	scratch_store_b128 off, v[9:12], off offset:32
	global_load_b128 v[9:12], v[70:71], off
	s_wait_loadcnt 0x10
	scratch_store_b128 off, v[5:8], off offset:48
	s_wait_loadcnt 0xf
	scratch_store_b128 off, v[13:16], off offset:64
	s_clause 0x1
	global_load_b128 v[5:8], v[72:73], off
	global_load_b128 v[13:16], v[74:75], off
	s_wait_loadcnt 0x10
	scratch_store_b128 off, v[18:21], off offset:80
	s_wait_loadcnt 0xf
	scratch_store_b128 off, v[22:25], off offset:96
	s_clause 0x1
	global_load_b128 v[18:21], v[76:77], off
	;; [unrolled: 7-line block ×7, first 2 shown]
	global_load_b128 v[132:135], v[98:99], off
	s_wait_loadcnt 0x10
	scratch_store_b128 off, v[136:139], off offset:272
	global_load_b128 v[136:139], v[100:101], off
	s_wait_loadcnt 0x10
	scratch_store_b128 off, v[1:4], off offset:288
	;; [unrolled: 3-line block ×3, first 2 shown]
	s_wait_loadcnt 0xf
	scratch_store_b128 off, v[5:8], off offset:320
	s_wait_loadcnt 0xe
	scratch_store_b128 off, v[13:16], off offset:336
	s_wait_loadcnt 0xd
	scratch_store_b128 off, v[18:21], off offset:352
	s_wait_loadcnt 0xc
	scratch_store_b128 off, v[22:25], off offset:368
	s_wait_loadcnt 0xb
	scratch_store_b128 off, v[26:29], off offset:384
	s_wait_loadcnt 0xa
	scratch_store_b128 off, v[30:33], off offset:400
	s_wait_loadcnt 0x9
	scratch_store_b128 off, v[104:107], off offset:416
	s_wait_loadcnt 0x8
	scratch_store_b128 off, v[108:111], off offset:432
	s_wait_loadcnt 0x7
	scratch_store_b128 off, v[112:115], off offset:448
	s_wait_loadcnt 0x6
	scratch_store_b128 off, v[116:119], off offset:464
	s_wait_loadcnt 0x5
	scratch_store_b128 off, v[120:123], off offset:480
	s_wait_loadcnt 0x4
	scratch_store_b128 off, v[124:127], off offset:496
	s_wait_loadcnt 0x3
	scratch_store_b128 off, v[128:131], off offset:512
	s_wait_loadcnt 0x2
	scratch_store_b128 off, v[132:135], off offset:528
	s_wait_loadcnt 0x1
	scratch_store_b128 off, v[136:139], off offset:544
	s_wait_loadcnt 0x0
	scratch_store_b128 off, v[1:4], off offset:560
	s_cbranch_scc1 .LBB34_152
; %bb.4:
	v_cmp_eq_u32_e64 s0, 0, v0
	s_and_saveexec_b32 s1, s0
; %bb.5:
	v_mov_b32_e32 v1, 0
	ds_store_b32 v1, v1 offset:1120
; %bb.6:
	s_wait_alu 0xfffe
	s_or_b32 exec_lo, exec_lo, s1
	s_wait_storecnt_dscnt 0x0
	s_barrier_signal -1
	s_barrier_wait -1
	global_inv scope:SCOPE_SE
	scratch_load_b128 v[1:4], v17, off offset:16
	s_wait_loadcnt 0x0
	v_cmp_eq_f64_e32 vcc_lo, 0, v[1:2]
	v_cmp_eq_f64_e64 s1, 0, v[3:4]
	s_and_b32 s1, vcc_lo, s1
	s_wait_alu 0xfffe
	s_and_saveexec_b32 s44, s1
	s_cbranch_execz .LBB34_10
; %bb.7:
	v_mov_b32_e32 v1, 0
	s_mov_b32 s45, 0
	ds_load_b32 v2, v1 offset:1120
	s_wait_dscnt 0x0
	v_readfirstlane_b32 s1, v2
	v_add_nc_u32_e32 v2, 1, v0
	s_cmp_eq_u32 s1, 0
	s_delay_alu instid0(VALU_DEP_1) | instskip(SKIP_1) | instid1(SALU_CYCLE_1)
	v_cmp_gt_i32_e32 vcc_lo, s1, v2
	s_cselect_b32 s46, -1, 0
	s_or_b32 s46, s46, vcc_lo
	s_delay_alu instid0(SALU_CYCLE_1)
	s_and_b32 exec_lo, exec_lo, s46
	s_cbranch_execz .LBB34_10
; %bb.8:
	v_mov_b32_e32 v3, s1
.LBB34_9:                               ; =>This Inner Loop Header: Depth=1
	ds_cmpstore_rtn_b32 v3, v1, v2, v3 offset:1120
	s_wait_dscnt 0x0
	v_cmp_ne_u32_e32 vcc_lo, 0, v3
	v_cmp_le_i32_e64 s1, v3, v2
	s_and_b32 s1, vcc_lo, s1
	s_wait_alu 0xfffe
	s_and_b32 s1, exec_lo, s1
	s_wait_alu 0xfffe
	s_or_b32 s45, s1, s45
	s_delay_alu instid0(SALU_CYCLE_1)
	s_and_not1_b32 exec_lo, exec_lo, s45
	s_cbranch_execnz .LBB34_9
.LBB34_10:
	s_or_b32 exec_lo, exec_lo, s44
	v_mov_b32_e32 v1, 0
	s_barrier_signal -1
	s_barrier_wait -1
	global_inv scope:SCOPE_SE
	ds_load_b32 v2, v1 offset:1120
	s_and_saveexec_b32 s1, s0
	s_cbranch_execz .LBB34_12
; %bb.11:
	s_lshl_b64 s[44:45], s[16:17], 2
	s_delay_alu instid0(SALU_CYCLE_1)
	s_add_nc_u64 s[44:45], s[6:7], s[44:45]
	s_wait_dscnt 0x0
	global_store_b32 v1, v2, s[44:45]
.LBB34_12:
	s_wait_alu 0xfffe
	s_or_b32 exec_lo, exec_lo, s1
	s_wait_dscnt 0x0
	v_cmp_ne_u32_e32 vcc_lo, 0, v2
	s_mov_b32 s1, 0
	s_cbranch_vccnz .LBB34_152
; %bb.13:
	v_add_nc_u32_e32 v13, 16, v17
                                        ; implicit-def: $vgpr1_vgpr2
                                        ; implicit-def: $vgpr9_vgpr10
	scratch_load_b128 v[5:8], v13, off
	s_wait_loadcnt 0x0
	v_cmp_ngt_f64_e64 s1, |v[5:6]|, |v[7:8]|
	s_wait_alu 0xfffe
	s_and_saveexec_b32 s44, s1
	s_delay_alu instid0(SALU_CYCLE_1)
	s_xor_b32 s1, exec_lo, s44
	s_cbranch_execz .LBB34_15
; %bb.14:
	v_div_scale_f64 v[1:2], null, v[7:8], v[7:8], v[5:6]
	v_div_scale_f64 v[11:12], vcc_lo, v[5:6], v[7:8], v[5:6]
	s_delay_alu instid0(VALU_DEP_2) | instskip(NEXT) | instid1(TRANS32_DEP_1)
	v_rcp_f64_e32 v[3:4], v[1:2]
	v_fma_f64 v[9:10], -v[1:2], v[3:4], 1.0
	s_delay_alu instid0(VALU_DEP_1) | instskip(NEXT) | instid1(VALU_DEP_1)
	v_fma_f64 v[3:4], v[3:4], v[9:10], v[3:4]
	v_fma_f64 v[9:10], -v[1:2], v[3:4], 1.0
	s_delay_alu instid0(VALU_DEP_1) | instskip(NEXT) | instid1(VALU_DEP_1)
	v_fma_f64 v[3:4], v[3:4], v[9:10], v[3:4]
	v_mul_f64_e32 v[9:10], v[11:12], v[3:4]
	s_delay_alu instid0(VALU_DEP_1) | instskip(SKIP_1) | instid1(VALU_DEP_1)
	v_fma_f64 v[1:2], -v[1:2], v[9:10], v[11:12]
	s_wait_alu 0xfffd
	v_div_fmas_f64 v[1:2], v[1:2], v[3:4], v[9:10]
	s_delay_alu instid0(VALU_DEP_1) | instskip(NEXT) | instid1(VALU_DEP_1)
	v_div_fixup_f64 v[1:2], v[1:2], v[7:8], v[5:6]
	v_fma_f64 v[3:4], v[5:6], v[1:2], v[7:8]
	s_delay_alu instid0(VALU_DEP_1) | instskip(SKIP_1) | instid1(VALU_DEP_2)
	v_div_scale_f64 v[5:6], null, v[3:4], v[3:4], 1.0
	v_div_scale_f64 v[11:12], vcc_lo, 1.0, v[3:4], 1.0
	v_rcp_f64_e32 v[7:8], v[5:6]
	s_delay_alu instid0(TRANS32_DEP_1) | instskip(NEXT) | instid1(VALU_DEP_1)
	v_fma_f64 v[9:10], -v[5:6], v[7:8], 1.0
	v_fma_f64 v[7:8], v[7:8], v[9:10], v[7:8]
	s_delay_alu instid0(VALU_DEP_1) | instskip(NEXT) | instid1(VALU_DEP_1)
	v_fma_f64 v[9:10], -v[5:6], v[7:8], 1.0
	v_fma_f64 v[7:8], v[7:8], v[9:10], v[7:8]
	s_delay_alu instid0(VALU_DEP_1) | instskip(NEXT) | instid1(VALU_DEP_1)
	v_mul_f64_e32 v[9:10], v[11:12], v[7:8]
	v_fma_f64 v[5:6], -v[5:6], v[9:10], v[11:12]
	s_wait_alu 0xfffd
	s_delay_alu instid0(VALU_DEP_1) | instskip(NEXT) | instid1(VALU_DEP_1)
	v_div_fmas_f64 v[5:6], v[5:6], v[7:8], v[9:10]
	v_div_fixup_f64 v[3:4], v[5:6], v[3:4], 1.0
                                        ; implicit-def: $vgpr5_vgpr6
	s_delay_alu instid0(VALU_DEP_1) | instskip(SKIP_1) | instid1(VALU_DEP_2)
	v_mul_f64_e32 v[1:2], v[1:2], v[3:4]
	v_xor_b32_e32 v4, 0x80000000, v4
	v_xor_b32_e32 v10, 0x80000000, v2
	s_delay_alu instid0(VALU_DEP_3)
	v_mov_b32_e32 v9, v1
.LBB34_15:
	s_wait_alu 0xfffe
	s_and_not1_saveexec_b32 s1, s1
	s_cbranch_execz .LBB34_17
; %bb.16:
	v_div_scale_f64 v[1:2], null, v[5:6], v[5:6], v[7:8]
	v_div_scale_f64 v[11:12], vcc_lo, v[7:8], v[5:6], v[7:8]
	s_delay_alu instid0(VALU_DEP_2) | instskip(NEXT) | instid1(TRANS32_DEP_1)
	v_rcp_f64_e32 v[3:4], v[1:2]
	v_fma_f64 v[9:10], -v[1:2], v[3:4], 1.0
	s_delay_alu instid0(VALU_DEP_1) | instskip(NEXT) | instid1(VALU_DEP_1)
	v_fma_f64 v[3:4], v[3:4], v[9:10], v[3:4]
	v_fma_f64 v[9:10], -v[1:2], v[3:4], 1.0
	s_delay_alu instid0(VALU_DEP_1) | instskip(NEXT) | instid1(VALU_DEP_1)
	v_fma_f64 v[3:4], v[3:4], v[9:10], v[3:4]
	v_mul_f64_e32 v[9:10], v[11:12], v[3:4]
	s_delay_alu instid0(VALU_DEP_1) | instskip(SKIP_1) | instid1(VALU_DEP_1)
	v_fma_f64 v[1:2], -v[1:2], v[9:10], v[11:12]
	s_wait_alu 0xfffd
	v_div_fmas_f64 v[1:2], v[1:2], v[3:4], v[9:10]
	s_delay_alu instid0(VALU_DEP_1) | instskip(NEXT) | instid1(VALU_DEP_1)
	v_div_fixup_f64 v[3:4], v[1:2], v[5:6], v[7:8]
	v_fma_f64 v[1:2], v[7:8], v[3:4], v[5:6]
	s_delay_alu instid0(VALU_DEP_1) | instskip(NEXT) | instid1(VALU_DEP_1)
	v_div_scale_f64 v[5:6], null, v[1:2], v[1:2], 1.0
	v_rcp_f64_e32 v[7:8], v[5:6]
	s_delay_alu instid0(TRANS32_DEP_1) | instskip(NEXT) | instid1(VALU_DEP_1)
	v_fma_f64 v[9:10], -v[5:6], v[7:8], 1.0
	v_fma_f64 v[7:8], v[7:8], v[9:10], v[7:8]
	s_delay_alu instid0(VALU_DEP_1) | instskip(NEXT) | instid1(VALU_DEP_1)
	v_fma_f64 v[9:10], -v[5:6], v[7:8], 1.0
	v_fma_f64 v[7:8], v[7:8], v[9:10], v[7:8]
	v_div_scale_f64 v[9:10], vcc_lo, 1.0, v[1:2], 1.0
	s_delay_alu instid0(VALU_DEP_1) | instskip(NEXT) | instid1(VALU_DEP_1)
	v_mul_f64_e32 v[11:12], v[9:10], v[7:8]
	v_fma_f64 v[5:6], -v[5:6], v[11:12], v[9:10]
	s_wait_alu 0xfffd
	s_delay_alu instid0(VALU_DEP_1) | instskip(NEXT) | instid1(VALU_DEP_1)
	v_div_fmas_f64 v[5:6], v[5:6], v[7:8], v[11:12]
	v_div_fixup_f64 v[1:2], v[5:6], v[1:2], 1.0
	s_delay_alu instid0(VALU_DEP_1)
	v_mul_f64_e64 v[3:4], v[3:4], -v[1:2]
	v_xor_b32_e32 v10, 0x80000000, v2
	v_mov_b32_e32 v9, v1
.LBB34_17:
	s_wait_alu 0xfffe
	s_or_b32 exec_lo, exec_lo, s1
	scratch_store_b128 v13, v[1:4], off
	scratch_load_b128 v[18:21], off, s19
	v_xor_b32_e32 v12, 0x80000000, v4
	v_mov_b32_e32 v11, v3
	v_add_nc_u32_e32 v5, 0x230, v17
	ds_store_b128 v17, v[9:12]
	s_wait_loadcnt 0x0
	ds_store_b128 v17, v[18:21] offset:560
	s_wait_storecnt_dscnt 0x0
	s_barrier_signal -1
	s_barrier_wait -1
	global_inv scope:SCOPE_SE
	s_and_saveexec_b32 s1, s0
	s_cbranch_execz .LBB34_19
; %bb.18:
	scratch_load_b128 v[1:4], v13, off
	ds_load_b128 v[6:9], v5
	v_mov_b32_e32 v10, 0
	ds_load_b128 v[18:21], v10 offset:16
	s_wait_loadcnt_dscnt 0x1
	v_mul_f64_e32 v[10:11], v[6:7], v[3:4]
	v_mul_f64_e32 v[3:4], v[8:9], v[3:4]
	s_delay_alu instid0(VALU_DEP_2) | instskip(NEXT) | instid1(VALU_DEP_2)
	v_fma_f64 v[8:9], v[8:9], v[1:2], v[10:11]
	v_fma_f64 v[1:2], v[6:7], v[1:2], -v[3:4]
	s_delay_alu instid0(VALU_DEP_2) | instskip(NEXT) | instid1(VALU_DEP_2)
	v_add_f64_e32 v[3:4], 0, v[8:9]
	v_add_f64_e32 v[1:2], 0, v[1:2]
	s_wait_dscnt 0x0
	s_delay_alu instid0(VALU_DEP_2) | instskip(NEXT) | instid1(VALU_DEP_2)
	v_mul_f64_e32 v[6:7], v[3:4], v[20:21]
	v_mul_f64_e32 v[8:9], v[1:2], v[20:21]
	s_delay_alu instid0(VALU_DEP_2) | instskip(NEXT) | instid1(VALU_DEP_2)
	v_fma_f64 v[1:2], v[1:2], v[18:19], -v[6:7]
	v_fma_f64 v[3:4], v[3:4], v[18:19], v[8:9]
	scratch_store_b128 off, v[1:4], off offset:32
.LBB34_19:
	s_wait_alu 0xfffe
	s_or_b32 exec_lo, exec_lo, s1
	s_wait_loadcnt 0x0
	s_wait_storecnt 0x0
	s_barrier_signal -1
	s_barrier_wait -1
	global_inv scope:SCOPE_SE
	scratch_load_b128 v[1:4], off, s13
	s_mov_b32 s1, exec_lo
	s_wait_loadcnt 0x0
	ds_store_b128 v5, v[1:4]
	s_wait_dscnt 0x0
	s_barrier_signal -1
	s_barrier_wait -1
	global_inv scope:SCOPE_SE
	v_cmpx_gt_u32_e32 2, v0
	s_cbranch_execz .LBB34_23
; %bb.20:
	scratch_load_b128 v[1:4], v13, off
	ds_load_b128 v[6:9], v5
	s_wait_loadcnt_dscnt 0x0
	v_mul_f64_e32 v[10:11], v[8:9], v[3:4]
	v_mul_f64_e32 v[3:4], v[6:7], v[3:4]
	s_delay_alu instid0(VALU_DEP_2) | instskip(NEXT) | instid1(VALU_DEP_2)
	v_fma_f64 v[6:7], v[6:7], v[1:2], -v[10:11]
	v_fma_f64 v[3:4], v[8:9], v[1:2], v[3:4]
	s_delay_alu instid0(VALU_DEP_2) | instskip(NEXT) | instid1(VALU_DEP_2)
	v_add_f64_e32 v[1:2], 0, v[6:7]
	v_add_f64_e32 v[3:4], 0, v[3:4]
	s_and_saveexec_b32 s44, s0
	s_cbranch_execz .LBB34_22
; %bb.21:
	scratch_load_b128 v[6:9], off, off offset:32
	v_mov_b32_e32 v10, 0
	ds_load_b128 v[18:21], v10 offset:576
	s_wait_loadcnt_dscnt 0x0
	v_mul_f64_e32 v[10:11], v[18:19], v[8:9]
	v_mul_f64_e32 v[8:9], v[20:21], v[8:9]
	s_delay_alu instid0(VALU_DEP_2) | instskip(NEXT) | instid1(VALU_DEP_2)
	v_fma_f64 v[10:11], v[20:21], v[6:7], v[10:11]
	v_fma_f64 v[6:7], v[18:19], v[6:7], -v[8:9]
	s_delay_alu instid0(VALU_DEP_2) | instskip(NEXT) | instid1(VALU_DEP_2)
	v_add_f64_e32 v[3:4], v[3:4], v[10:11]
	v_add_f64_e32 v[1:2], v[1:2], v[6:7]
.LBB34_22:
	s_or_b32 exec_lo, exec_lo, s44
	v_mov_b32_e32 v6, 0
	ds_load_b128 v[6:9], v6 offset:32
	s_wait_dscnt 0x0
	v_mul_f64_e32 v[10:11], v[3:4], v[8:9]
	v_mul_f64_e32 v[8:9], v[1:2], v[8:9]
	s_delay_alu instid0(VALU_DEP_2) | instskip(NEXT) | instid1(VALU_DEP_2)
	v_fma_f64 v[1:2], v[1:2], v[6:7], -v[10:11]
	v_fma_f64 v[3:4], v[3:4], v[6:7], v[8:9]
	scratch_store_b128 off, v[1:4], off offset:48
.LBB34_23:
	s_wait_alu 0xfffe
	s_or_b32 exec_lo, exec_lo, s1
	s_wait_loadcnt 0x0
	s_wait_storecnt 0x0
	s_barrier_signal -1
	s_barrier_wait -1
	global_inv scope:SCOPE_SE
	scratch_load_b128 v[1:4], off, s11
	v_add_nc_u32_e32 v6, -1, v0
	s_mov_b32 s0, exec_lo
	s_wait_loadcnt 0x0
	ds_store_b128 v5, v[1:4]
	s_wait_dscnt 0x0
	s_barrier_signal -1
	s_barrier_wait -1
	global_inv scope:SCOPE_SE
	v_cmpx_gt_u32_e32 3, v0
	s_cbranch_execz .LBB34_27
; %bb.24:
	v_dual_mov_b32 v1, 0 :: v_dual_add_nc_u32 v8, 0x230, v17
	v_mov_b32_e32 v3, 0
	v_dual_mov_b32 v2, 0 :: v_dual_add_nc_u32 v7, -1, v0
	v_mov_b32_e32 v4, 0
	v_or_b32_e32 v9, 8, v13
	s_mov_b32 s1, 0
.LBB34_25:                              ; =>This Inner Loop Header: Depth=1
	scratch_load_b128 v[18:21], v9, off offset:-8
	ds_load_b128 v[22:25], v8
	v_add_nc_u32_e32 v7, 1, v7
	v_add_nc_u32_e32 v8, 16, v8
	v_add_nc_u32_e32 v9, 16, v9
	s_delay_alu instid0(VALU_DEP_3)
	v_cmp_lt_u32_e32 vcc_lo, 1, v7
	s_wait_alu 0xfffe
	s_or_b32 s1, vcc_lo, s1
	s_wait_loadcnt_dscnt 0x0
	v_mul_f64_e32 v[10:11], v[24:25], v[20:21]
	v_mul_f64_e32 v[14:15], v[22:23], v[20:21]
	s_delay_alu instid0(VALU_DEP_2) | instskip(NEXT) | instid1(VALU_DEP_2)
	v_fma_f64 v[10:11], v[22:23], v[18:19], -v[10:11]
	v_fma_f64 v[14:15], v[24:25], v[18:19], v[14:15]
	s_delay_alu instid0(VALU_DEP_2) | instskip(NEXT) | instid1(VALU_DEP_2)
	v_add_f64_e32 v[3:4], v[3:4], v[10:11]
	v_add_f64_e32 v[1:2], v[1:2], v[14:15]
	s_wait_alu 0xfffe
	s_and_not1_b32 exec_lo, exec_lo, s1
	s_cbranch_execnz .LBB34_25
; %bb.26:
	s_or_b32 exec_lo, exec_lo, s1
	v_mov_b32_e32 v7, 0
	ds_load_b128 v[7:10], v7 offset:48
	s_wait_dscnt 0x0
	v_mul_f64_e32 v[11:12], v[1:2], v[9:10]
	v_mul_f64_e32 v[14:15], v[3:4], v[9:10]
	s_delay_alu instid0(VALU_DEP_2) | instskip(NEXT) | instid1(VALU_DEP_2)
	v_fma_f64 v[9:10], v[3:4], v[7:8], -v[11:12]
	v_fma_f64 v[11:12], v[1:2], v[7:8], v[14:15]
	scratch_store_b128 off, v[9:12], off offset:64
.LBB34_27:
	s_wait_alu 0xfffe
	s_or_b32 exec_lo, exec_lo, s0
	s_wait_loadcnt 0x0
	s_wait_storecnt 0x0
	s_barrier_signal -1
	s_barrier_wait -1
	global_inv scope:SCOPE_SE
	scratch_load_b128 v[1:4], off, s9
	s_mov_b32 s0, exec_lo
	s_wait_loadcnt 0x0
	ds_store_b128 v5, v[1:4]
	s_wait_dscnt 0x0
	s_barrier_signal -1
	s_barrier_wait -1
	global_inv scope:SCOPE_SE
	v_cmpx_gt_u32_e32 4, v0
	s_cbranch_execz .LBB34_31
; %bb.28:
	v_dual_mov_b32 v1, 0 :: v_dual_add_nc_u32 v8, 0x230, v17
	v_mov_b32_e32 v3, 0
	v_dual_mov_b32 v2, 0 :: v_dual_add_nc_u32 v7, -1, v0
	v_mov_b32_e32 v4, 0
	v_or_b32_e32 v9, 8, v13
	s_mov_b32 s1, 0
.LBB34_29:                              ; =>This Inner Loop Header: Depth=1
	scratch_load_b128 v[18:21], v9, off offset:-8
	ds_load_b128 v[22:25], v8
	v_add_nc_u32_e32 v7, 1, v7
	v_add_nc_u32_e32 v8, 16, v8
	v_add_nc_u32_e32 v9, 16, v9
	s_delay_alu instid0(VALU_DEP_3)
	v_cmp_lt_u32_e32 vcc_lo, 2, v7
	s_wait_alu 0xfffe
	s_or_b32 s1, vcc_lo, s1
	s_wait_loadcnt_dscnt 0x0
	v_mul_f64_e32 v[10:11], v[24:25], v[20:21]
	v_mul_f64_e32 v[14:15], v[22:23], v[20:21]
	s_delay_alu instid0(VALU_DEP_2) | instskip(NEXT) | instid1(VALU_DEP_2)
	v_fma_f64 v[10:11], v[22:23], v[18:19], -v[10:11]
	v_fma_f64 v[14:15], v[24:25], v[18:19], v[14:15]
	s_delay_alu instid0(VALU_DEP_2) | instskip(NEXT) | instid1(VALU_DEP_2)
	v_add_f64_e32 v[3:4], v[3:4], v[10:11]
	v_add_f64_e32 v[1:2], v[1:2], v[14:15]
	s_wait_alu 0xfffe
	s_and_not1_b32 exec_lo, exec_lo, s1
	s_cbranch_execnz .LBB34_29
; %bb.30:
	s_or_b32 exec_lo, exec_lo, s1
	v_mov_b32_e32 v7, 0
	ds_load_b128 v[7:10], v7 offset:64
	s_wait_dscnt 0x0
	v_mul_f64_e32 v[11:12], v[1:2], v[9:10]
	v_mul_f64_e32 v[14:15], v[3:4], v[9:10]
	s_delay_alu instid0(VALU_DEP_2) | instskip(NEXT) | instid1(VALU_DEP_2)
	v_fma_f64 v[9:10], v[3:4], v[7:8], -v[11:12]
	v_fma_f64 v[11:12], v[1:2], v[7:8], v[14:15]
	scratch_store_b128 off, v[9:12], off offset:80
.LBB34_31:
	s_wait_alu 0xfffe
	s_or_b32 exec_lo, exec_lo, s0
	s_wait_loadcnt 0x0
	s_wait_storecnt 0x0
	s_barrier_signal -1
	s_barrier_wait -1
	global_inv scope:SCOPE_SE
	scratch_load_b128 v[1:4], off, s43
	;; [unrolled: 58-line block ×19, first 2 shown]
	s_mov_b32 s0, exec_lo
	s_wait_loadcnt 0x0
	ds_store_b128 v5, v[1:4]
	s_wait_dscnt 0x0
	s_barrier_signal -1
	s_barrier_wait -1
	global_inv scope:SCOPE_SE
	v_cmpx_gt_u32_e32 22, v0
	s_cbranch_execz .LBB34_103
; %bb.100:
	v_dual_mov_b32 v1, 0 :: v_dual_add_nc_u32 v8, 0x230, v17
	v_mov_b32_e32 v3, 0
	v_dual_mov_b32 v2, 0 :: v_dual_add_nc_u32 v7, -1, v0
	v_mov_b32_e32 v4, 0
	v_or_b32_e32 v9, 8, v13
	s_mov_b32 s1, 0
.LBB34_101:                             ; =>This Inner Loop Header: Depth=1
	scratch_load_b128 v[18:21], v9, off offset:-8
	ds_load_b128 v[22:25], v8
	v_add_nc_u32_e32 v7, 1, v7
	v_add_nc_u32_e32 v8, 16, v8
	v_add_nc_u32_e32 v9, 16, v9
	s_delay_alu instid0(VALU_DEP_3)
	v_cmp_lt_u32_e32 vcc_lo, 20, v7
	s_wait_alu 0xfffe
	s_or_b32 s1, vcc_lo, s1
	s_wait_loadcnt_dscnt 0x0
	v_mul_f64_e32 v[10:11], v[24:25], v[20:21]
	v_mul_f64_e32 v[14:15], v[22:23], v[20:21]
	s_delay_alu instid0(VALU_DEP_2) | instskip(NEXT) | instid1(VALU_DEP_2)
	v_fma_f64 v[10:11], v[22:23], v[18:19], -v[10:11]
	v_fma_f64 v[14:15], v[24:25], v[18:19], v[14:15]
	s_delay_alu instid0(VALU_DEP_2) | instskip(NEXT) | instid1(VALU_DEP_2)
	v_add_f64_e32 v[3:4], v[3:4], v[10:11]
	v_add_f64_e32 v[1:2], v[1:2], v[14:15]
	s_wait_alu 0xfffe
	s_and_not1_b32 exec_lo, exec_lo, s1
	s_cbranch_execnz .LBB34_101
; %bb.102:
	s_or_b32 exec_lo, exec_lo, s1
	v_mov_b32_e32 v7, 0
	ds_load_b128 v[7:10], v7 offset:352
	s_wait_dscnt 0x0
	v_mul_f64_e32 v[11:12], v[1:2], v[9:10]
	v_mul_f64_e32 v[14:15], v[3:4], v[9:10]
	s_delay_alu instid0(VALU_DEP_2) | instskip(NEXT) | instid1(VALU_DEP_2)
	v_fma_f64 v[9:10], v[3:4], v[7:8], -v[11:12]
	v_fma_f64 v[11:12], v[1:2], v[7:8], v[14:15]
	scratch_store_b128 off, v[9:12], off offset:368
.LBB34_103:
	s_wait_alu 0xfffe
	s_or_b32 exec_lo, exec_lo, s0
	s_wait_loadcnt 0x0
	s_wait_storecnt 0x0
	s_barrier_signal -1
	s_barrier_wait -1
	global_inv scope:SCOPE_SE
	scratch_load_b128 v[1:4], off, s5
	s_mov_b32 s0, exec_lo
	s_wait_loadcnt 0x0
	ds_store_b128 v5, v[1:4]
	s_wait_dscnt 0x0
	s_barrier_signal -1
	s_barrier_wait -1
	global_inv scope:SCOPE_SE
	v_cmpx_gt_u32_e32 23, v0
	s_cbranch_execz .LBB34_107
; %bb.104:
	v_dual_mov_b32 v1, 0 :: v_dual_add_nc_u32 v8, 0x230, v17
	v_mov_b32_e32 v3, 0
	v_dual_mov_b32 v2, 0 :: v_dual_add_nc_u32 v7, -1, v0
	v_mov_b32_e32 v4, 0
	v_or_b32_e32 v9, 8, v13
	s_mov_b32 s1, 0
.LBB34_105:                             ; =>This Inner Loop Header: Depth=1
	scratch_load_b128 v[18:21], v9, off offset:-8
	ds_load_b128 v[22:25], v8
	v_add_nc_u32_e32 v7, 1, v7
	v_add_nc_u32_e32 v8, 16, v8
	v_add_nc_u32_e32 v9, 16, v9
	s_delay_alu instid0(VALU_DEP_3)
	v_cmp_lt_u32_e32 vcc_lo, 21, v7
	s_wait_alu 0xfffe
	s_or_b32 s1, vcc_lo, s1
	s_wait_loadcnt_dscnt 0x0
	v_mul_f64_e32 v[10:11], v[24:25], v[20:21]
	v_mul_f64_e32 v[14:15], v[22:23], v[20:21]
	s_delay_alu instid0(VALU_DEP_2) | instskip(NEXT) | instid1(VALU_DEP_2)
	v_fma_f64 v[10:11], v[22:23], v[18:19], -v[10:11]
	v_fma_f64 v[14:15], v[24:25], v[18:19], v[14:15]
	s_delay_alu instid0(VALU_DEP_2) | instskip(NEXT) | instid1(VALU_DEP_2)
	v_add_f64_e32 v[3:4], v[3:4], v[10:11]
	v_add_f64_e32 v[1:2], v[1:2], v[14:15]
	s_wait_alu 0xfffe
	s_and_not1_b32 exec_lo, exec_lo, s1
	s_cbranch_execnz .LBB34_105
; %bb.106:
	s_or_b32 exec_lo, exec_lo, s1
	v_mov_b32_e32 v7, 0
	ds_load_b128 v[7:10], v7 offset:368
	s_wait_dscnt 0x0
	v_mul_f64_e32 v[11:12], v[1:2], v[9:10]
	v_mul_f64_e32 v[14:15], v[3:4], v[9:10]
	s_delay_alu instid0(VALU_DEP_2) | instskip(NEXT) | instid1(VALU_DEP_2)
	v_fma_f64 v[9:10], v[3:4], v[7:8], -v[11:12]
	v_fma_f64 v[11:12], v[1:2], v[7:8], v[14:15]
	scratch_store_b128 off, v[9:12], off offset:384
.LBB34_107:
	s_wait_alu 0xfffe
	s_or_b32 exec_lo, exec_lo, s0
	s_wait_loadcnt 0x0
	s_wait_storecnt 0x0
	s_barrier_signal -1
	s_barrier_wait -1
	global_inv scope:SCOPE_SE
	scratch_load_b128 v[1:4], off, s4
	;; [unrolled: 58-line block ×12, first 2 shown]
	s_mov_b32 s0, exec_lo
	s_wait_loadcnt 0x0
	ds_store_b128 v5, v[1:4]
	s_wait_dscnt 0x0
	s_barrier_signal -1
	s_barrier_wait -1
	global_inv scope:SCOPE_SE
	v_cmpx_ne_u32_e32 34, v0
	s_cbranch_execz .LBB34_151
; %bb.148:
	v_mov_b32_e32 v1, 0
	v_dual_mov_b32 v2, 0 :: v_dual_mov_b32 v3, 0
	v_mov_b32_e32 v4, 0
	v_or_b32_e32 v7, 8, v13
	s_mov_b32 s1, 0
.LBB34_149:                             ; =>This Inner Loop Header: Depth=1
	scratch_load_b128 v[8:11], v7, off offset:-8
	ds_load_b128 v[12:15], v5
	v_add_nc_u32_e32 v6, 1, v6
	v_add_nc_u32_e32 v5, 16, v5
	;; [unrolled: 1-line block ×3, first 2 shown]
	s_delay_alu instid0(VALU_DEP_3)
	v_cmp_lt_u32_e32 vcc_lo, 32, v6
	s_wait_alu 0xfffe
	s_or_b32 s1, vcc_lo, s1
	s_wait_loadcnt_dscnt 0x0
	v_mul_f64_e32 v[16:17], v[14:15], v[10:11]
	v_mul_f64_e32 v[10:11], v[12:13], v[10:11]
	s_delay_alu instid0(VALU_DEP_2) | instskip(NEXT) | instid1(VALU_DEP_2)
	v_fma_f64 v[12:13], v[12:13], v[8:9], -v[16:17]
	v_fma_f64 v[8:9], v[14:15], v[8:9], v[10:11]
	s_delay_alu instid0(VALU_DEP_2) | instskip(NEXT) | instid1(VALU_DEP_2)
	v_add_f64_e32 v[3:4], v[3:4], v[12:13]
	v_add_f64_e32 v[1:2], v[1:2], v[8:9]
	s_wait_alu 0xfffe
	s_and_not1_b32 exec_lo, exec_lo, s1
	s_cbranch_execnz .LBB34_149
; %bb.150:
	s_or_b32 exec_lo, exec_lo, s1
	v_mov_b32_e32 v5, 0
	ds_load_b128 v[5:8], v5 offset:544
	s_wait_dscnt 0x0
	v_mul_f64_e32 v[9:10], v[1:2], v[7:8]
	v_mul_f64_e32 v[7:8], v[3:4], v[7:8]
	s_delay_alu instid0(VALU_DEP_2) | instskip(NEXT) | instid1(VALU_DEP_2)
	v_fma_f64 v[3:4], v[3:4], v[5:6], -v[9:10]
	v_fma_f64 v[5:6], v[1:2], v[5:6], v[7:8]
	scratch_store_b128 off, v[3:6], off offset:560
.LBB34_151:
	s_wait_alu 0xfffe
	s_or_b32 exec_lo, exec_lo, s0
	s_mov_b32 s1, -1
	s_wait_loadcnt 0x0
	s_wait_storecnt 0x0
	s_barrier_signal -1
	s_barrier_wait -1
	global_inv scope:SCOPE_SE
.LBB34_152:
	s_wait_alu 0xfffe
	s_and_b32 vcc_lo, exec_lo, s1
	s_wait_alu 0xfffe
	s_cbranch_vccz .LBB34_154
; %bb.153:
	v_mov_b32_e32 v1, 0
	s_lshl_b64 s[0:1], s[16:17], 2
	s_wait_alu 0xfffe
	s_add_nc_u64 s[0:1], s[6:7], s[0:1]
	global_load_b32 v1, v1, s[0:1]
	s_wait_loadcnt 0x0
	v_cmp_ne_u32_e32 vcc_lo, 0, v1
	s_cbranch_vccz .LBB34_155
.LBB34_154:
	s_nop 0
	s_sendmsg sendmsg(MSG_DEALLOC_VGPRS)
	s_endpgm
.LBB34_155:
	v_lshl_add_u32 v26, v0, 4, 0x230
	s_mov_b32 s0, exec_lo
	v_cmpx_eq_u32_e32 34, v0
	s_cbranch_execz .LBB34_157
; %bb.156:
	scratch_load_b128 v[1:4], off, s15
	v_mov_b32_e32 v5, 0
	s_delay_alu instid0(VALU_DEP_1)
	v_dual_mov_b32 v6, v5 :: v_dual_mov_b32 v7, v5
	v_mov_b32_e32 v8, v5
	scratch_store_b128 off, v[5:8], off offset:544
	s_wait_loadcnt 0x0
	ds_store_b128 v26, v[1:4]
.LBB34_157:
	s_wait_alu 0xfffe
	s_or_b32 exec_lo, exec_lo, s0
	s_wait_storecnt_dscnt 0x0
	s_barrier_signal -1
	s_barrier_wait -1
	global_inv scope:SCOPE_SE
	s_clause 0x1
	scratch_load_b128 v[2:5], off, off offset:560
	scratch_load_b128 v[6:9], off, off offset:544
	v_mov_b32_e32 v1, 0
	s_mov_b32 s0, exec_lo
	ds_load_b128 v[10:13], v1 offset:1104
	s_wait_loadcnt_dscnt 0x100
	v_mul_f64_e32 v[14:15], v[12:13], v[4:5]
	v_mul_f64_e32 v[4:5], v[10:11], v[4:5]
	s_delay_alu instid0(VALU_DEP_2) | instskip(NEXT) | instid1(VALU_DEP_2)
	v_fma_f64 v[10:11], v[10:11], v[2:3], -v[14:15]
	v_fma_f64 v[2:3], v[12:13], v[2:3], v[4:5]
	s_delay_alu instid0(VALU_DEP_2) | instskip(NEXT) | instid1(VALU_DEP_2)
	v_add_f64_e32 v[4:5], 0, v[10:11]
	v_add_f64_e32 v[10:11], 0, v[2:3]
	s_wait_loadcnt 0x0
	s_delay_alu instid0(VALU_DEP_2) | instskip(NEXT) | instid1(VALU_DEP_2)
	v_add_f64_e64 v[2:3], v[6:7], -v[4:5]
	v_add_f64_e64 v[4:5], v[8:9], -v[10:11]
	scratch_store_b128 off, v[2:5], off offset:544
	v_cmpx_lt_u32_e32 32, v0
	s_cbranch_execz .LBB34_159
; %bb.158:
	scratch_load_b128 v[5:8], off, s24
	v_dual_mov_b32 v2, v1 :: v_dual_mov_b32 v3, v1
	v_mov_b32_e32 v4, v1
	scratch_store_b128 off, v[1:4], off offset:528
	s_wait_loadcnt 0x0
	ds_store_b128 v26, v[5:8]
.LBB34_159:
	s_wait_alu 0xfffe
	s_or_b32 exec_lo, exec_lo, s0
	s_wait_storecnt_dscnt 0x0
	s_barrier_signal -1
	s_barrier_wait -1
	global_inv scope:SCOPE_SE
	s_clause 0x2
	scratch_load_b128 v[2:5], off, off offset:544
	scratch_load_b128 v[6:9], off, off offset:560
	;; [unrolled: 1-line block ×3, first 2 shown]
	ds_load_b128 v[14:17], v1 offset:1088
	ds_load_b128 v[18:21], v1 offset:1104
	s_mov_b32 s0, exec_lo
	s_wait_loadcnt_dscnt 0x201
	v_mul_f64_e32 v[22:23], v[16:17], v[4:5]
	v_mul_f64_e32 v[4:5], v[14:15], v[4:5]
	s_wait_loadcnt_dscnt 0x100
	v_mul_f64_e32 v[24:25], v[18:19], v[8:9]
	v_mul_f64_e32 v[8:9], v[20:21], v[8:9]
	s_delay_alu instid0(VALU_DEP_4) | instskip(NEXT) | instid1(VALU_DEP_4)
	v_fma_f64 v[14:15], v[14:15], v[2:3], -v[22:23]
	v_fma_f64 v[1:2], v[16:17], v[2:3], v[4:5]
	s_delay_alu instid0(VALU_DEP_4) | instskip(NEXT) | instid1(VALU_DEP_4)
	v_fma_f64 v[3:4], v[20:21], v[6:7], v[24:25]
	v_fma_f64 v[5:6], v[18:19], v[6:7], -v[8:9]
	s_delay_alu instid0(VALU_DEP_4) | instskip(NEXT) | instid1(VALU_DEP_4)
	v_add_f64_e32 v[7:8], 0, v[14:15]
	v_add_f64_e32 v[1:2], 0, v[1:2]
	s_delay_alu instid0(VALU_DEP_2) | instskip(NEXT) | instid1(VALU_DEP_2)
	v_add_f64_e32 v[5:6], v[7:8], v[5:6]
	v_add_f64_e32 v[3:4], v[1:2], v[3:4]
	s_wait_loadcnt 0x0
	s_delay_alu instid0(VALU_DEP_2) | instskip(NEXT) | instid1(VALU_DEP_2)
	v_add_f64_e64 v[1:2], v[10:11], -v[5:6]
	v_add_f64_e64 v[3:4], v[12:13], -v[3:4]
	scratch_store_b128 off, v[1:4], off offset:528
	v_cmpx_lt_u32_e32 31, v0
	s_cbranch_execz .LBB34_161
; %bb.160:
	scratch_load_b128 v[1:4], off, s12
	v_mov_b32_e32 v5, 0
	s_delay_alu instid0(VALU_DEP_1)
	v_dual_mov_b32 v6, v5 :: v_dual_mov_b32 v7, v5
	v_mov_b32_e32 v8, v5
	scratch_store_b128 off, v[5:8], off offset:512
	s_wait_loadcnt 0x0
	ds_store_b128 v26, v[1:4]
.LBB34_161:
	s_wait_alu 0xfffe
	s_or_b32 exec_lo, exec_lo, s0
	s_wait_storecnt_dscnt 0x0
	s_barrier_signal -1
	s_barrier_wait -1
	global_inv scope:SCOPE_SE
	s_clause 0x3
	scratch_load_b128 v[2:5], off, off offset:528
	scratch_load_b128 v[6:9], off, off offset:544
	;; [unrolled: 1-line block ×4, first 2 shown]
	v_mov_b32_e32 v1, 0
	ds_load_b128 v[18:21], v1 offset:1072
	ds_load_b128 v[22:25], v1 offset:1088
	s_mov_b32 s0, exec_lo
	s_wait_loadcnt_dscnt 0x301
	v_mul_f64_e32 v[27:28], v[20:21], v[4:5]
	v_mul_f64_e32 v[4:5], v[18:19], v[4:5]
	s_wait_loadcnt_dscnt 0x200
	v_mul_f64_e32 v[29:30], v[22:23], v[8:9]
	v_mul_f64_e32 v[8:9], v[24:25], v[8:9]
	s_delay_alu instid0(VALU_DEP_4) | instskip(NEXT) | instid1(VALU_DEP_4)
	v_fma_f64 v[18:19], v[18:19], v[2:3], -v[27:28]
	v_fma_f64 v[20:21], v[20:21], v[2:3], v[4:5]
	ds_load_b128 v[2:5], v1 offset:1104
	v_fma_f64 v[24:25], v[24:25], v[6:7], v[29:30]
	v_fma_f64 v[6:7], v[22:23], v[6:7], -v[8:9]
	s_wait_loadcnt_dscnt 0x100
	v_mul_f64_e32 v[27:28], v[2:3], v[12:13]
	v_mul_f64_e32 v[12:13], v[4:5], v[12:13]
	v_add_f64_e32 v[8:9], 0, v[18:19]
	v_add_f64_e32 v[18:19], 0, v[20:21]
	s_delay_alu instid0(VALU_DEP_4) | instskip(NEXT) | instid1(VALU_DEP_4)
	v_fma_f64 v[4:5], v[4:5], v[10:11], v[27:28]
	v_fma_f64 v[2:3], v[2:3], v[10:11], -v[12:13]
	s_delay_alu instid0(VALU_DEP_4) | instskip(NEXT) | instid1(VALU_DEP_4)
	v_add_f64_e32 v[6:7], v[8:9], v[6:7]
	v_add_f64_e32 v[8:9], v[18:19], v[24:25]
	s_delay_alu instid0(VALU_DEP_2) | instskip(NEXT) | instid1(VALU_DEP_2)
	v_add_f64_e32 v[2:3], v[6:7], v[2:3]
	v_add_f64_e32 v[4:5], v[8:9], v[4:5]
	s_wait_loadcnt 0x0
	s_delay_alu instid0(VALU_DEP_2) | instskip(NEXT) | instid1(VALU_DEP_2)
	v_add_f64_e64 v[2:3], v[14:15], -v[2:3]
	v_add_f64_e64 v[4:5], v[16:17], -v[4:5]
	scratch_store_b128 off, v[2:5], off offset:512
	v_cmpx_lt_u32_e32 30, v0
	s_cbranch_execz .LBB34_163
; %bb.162:
	scratch_load_b128 v[5:8], off, s23
	v_dual_mov_b32 v2, v1 :: v_dual_mov_b32 v3, v1
	v_mov_b32_e32 v4, v1
	scratch_store_b128 off, v[1:4], off offset:496
	s_wait_loadcnt 0x0
	ds_store_b128 v26, v[5:8]
.LBB34_163:
	s_wait_alu 0xfffe
	s_or_b32 exec_lo, exec_lo, s0
	s_wait_storecnt_dscnt 0x0
	s_barrier_signal -1
	s_barrier_wait -1
	global_inv scope:SCOPE_SE
	s_clause 0x4
	scratch_load_b128 v[2:5], off, off offset:512
	scratch_load_b128 v[6:9], off, off offset:528
	scratch_load_b128 v[10:13], off, off offset:544
	scratch_load_b128 v[14:17], off, off offset:560
	scratch_load_b128 v[18:21], off, off offset:496
	ds_load_b128 v[22:25], v1 offset:1056
	ds_load_b128 v[27:30], v1 offset:1072
	s_mov_b32 s0, exec_lo
	s_wait_loadcnt_dscnt 0x401
	v_mul_f64_e32 v[31:32], v[24:25], v[4:5]
	v_mul_f64_e32 v[4:5], v[22:23], v[4:5]
	s_wait_loadcnt_dscnt 0x300
	v_mul_f64_e32 v[104:105], v[27:28], v[8:9]
	v_mul_f64_e32 v[8:9], v[29:30], v[8:9]
	s_delay_alu instid0(VALU_DEP_4) | instskip(NEXT) | instid1(VALU_DEP_4)
	v_fma_f64 v[31:32], v[22:23], v[2:3], -v[31:32]
	v_fma_f64 v[106:107], v[24:25], v[2:3], v[4:5]
	ds_load_b128 v[2:5], v1 offset:1088
	ds_load_b128 v[22:25], v1 offset:1104
	v_fma_f64 v[29:30], v[29:30], v[6:7], v[104:105]
	v_fma_f64 v[6:7], v[27:28], v[6:7], -v[8:9]
	s_wait_loadcnt_dscnt 0x201
	v_mul_f64_e32 v[108:109], v[2:3], v[12:13]
	v_mul_f64_e32 v[12:13], v[4:5], v[12:13]
	v_add_f64_e32 v[8:9], 0, v[31:32]
	v_add_f64_e32 v[27:28], 0, v[106:107]
	s_wait_loadcnt_dscnt 0x100
	v_mul_f64_e32 v[31:32], v[22:23], v[16:17]
	v_mul_f64_e32 v[16:17], v[24:25], v[16:17]
	v_fma_f64 v[4:5], v[4:5], v[10:11], v[108:109]
	v_fma_f64 v[1:2], v[2:3], v[10:11], -v[12:13]
	v_add_f64_e32 v[6:7], v[8:9], v[6:7]
	v_add_f64_e32 v[8:9], v[27:28], v[29:30]
	v_fma_f64 v[10:11], v[24:25], v[14:15], v[31:32]
	v_fma_f64 v[12:13], v[22:23], v[14:15], -v[16:17]
	s_delay_alu instid0(VALU_DEP_4) | instskip(NEXT) | instid1(VALU_DEP_4)
	v_add_f64_e32 v[1:2], v[6:7], v[1:2]
	v_add_f64_e32 v[3:4], v[8:9], v[4:5]
	s_delay_alu instid0(VALU_DEP_2) | instskip(NEXT) | instid1(VALU_DEP_2)
	v_add_f64_e32 v[1:2], v[1:2], v[12:13]
	v_add_f64_e32 v[3:4], v[3:4], v[10:11]
	s_wait_loadcnt 0x0
	s_delay_alu instid0(VALU_DEP_2) | instskip(NEXT) | instid1(VALU_DEP_2)
	v_add_f64_e64 v[1:2], v[18:19], -v[1:2]
	v_add_f64_e64 v[3:4], v[20:21], -v[3:4]
	scratch_store_b128 off, v[1:4], off offset:496
	v_cmpx_lt_u32_e32 29, v0
	s_cbranch_execz .LBB34_165
; %bb.164:
	scratch_load_b128 v[1:4], off, s21
	v_mov_b32_e32 v5, 0
	s_delay_alu instid0(VALU_DEP_1)
	v_dual_mov_b32 v6, v5 :: v_dual_mov_b32 v7, v5
	v_mov_b32_e32 v8, v5
	scratch_store_b128 off, v[5:8], off offset:480
	s_wait_loadcnt 0x0
	ds_store_b128 v26, v[1:4]
.LBB34_165:
	s_wait_alu 0xfffe
	s_or_b32 exec_lo, exec_lo, s0
	s_wait_storecnt_dscnt 0x0
	s_barrier_signal -1
	s_barrier_wait -1
	global_inv scope:SCOPE_SE
	s_clause 0x5
	scratch_load_b128 v[2:5], off, off offset:496
	scratch_load_b128 v[6:9], off, off offset:512
	;; [unrolled: 1-line block ×6, first 2 shown]
	v_mov_b32_e32 v1, 0
	ds_load_b128 v[27:30], v1 offset:1040
	ds_load_b128 v[104:107], v1 offset:1056
	s_mov_b32 s0, exec_lo
	s_wait_loadcnt_dscnt 0x501
	v_mul_f64_e32 v[31:32], v[29:30], v[4:5]
	v_mul_f64_e32 v[4:5], v[27:28], v[4:5]
	s_wait_loadcnt_dscnt 0x400
	v_mul_f64_e32 v[108:109], v[104:105], v[8:9]
	v_mul_f64_e32 v[8:9], v[106:107], v[8:9]
	s_delay_alu instid0(VALU_DEP_4) | instskip(NEXT) | instid1(VALU_DEP_4)
	v_fma_f64 v[31:32], v[27:28], v[2:3], -v[31:32]
	v_fma_f64 v[110:111], v[29:30], v[2:3], v[4:5]
	ds_load_b128 v[2:5], v1 offset:1072
	ds_load_b128 v[27:30], v1 offset:1088
	v_fma_f64 v[106:107], v[106:107], v[6:7], v[108:109]
	v_fma_f64 v[6:7], v[104:105], v[6:7], -v[8:9]
	s_wait_loadcnt_dscnt 0x301
	v_mul_f64_e32 v[112:113], v[2:3], v[12:13]
	v_mul_f64_e32 v[12:13], v[4:5], v[12:13]
	s_wait_loadcnt_dscnt 0x200
	v_mul_f64_e32 v[104:105], v[27:28], v[16:17]
	v_mul_f64_e32 v[16:17], v[29:30], v[16:17]
	v_add_f64_e32 v[8:9], 0, v[31:32]
	v_add_f64_e32 v[31:32], 0, v[110:111]
	v_fma_f64 v[108:109], v[4:5], v[10:11], v[112:113]
	v_fma_f64 v[10:11], v[2:3], v[10:11], -v[12:13]
	ds_load_b128 v[2:5], v1 offset:1104
	v_fma_f64 v[29:30], v[29:30], v[14:15], v[104:105]
	v_fma_f64 v[14:15], v[27:28], v[14:15], -v[16:17]
	v_add_f64_e32 v[6:7], v[8:9], v[6:7]
	v_add_f64_e32 v[8:9], v[31:32], v[106:107]
	s_wait_loadcnt_dscnt 0x100
	v_mul_f64_e32 v[12:13], v[2:3], v[20:21]
	v_mul_f64_e32 v[20:21], v[4:5], v[20:21]
	s_delay_alu instid0(VALU_DEP_4) | instskip(NEXT) | instid1(VALU_DEP_4)
	v_add_f64_e32 v[6:7], v[6:7], v[10:11]
	v_add_f64_e32 v[8:9], v[8:9], v[108:109]
	s_delay_alu instid0(VALU_DEP_4) | instskip(NEXT) | instid1(VALU_DEP_4)
	v_fma_f64 v[4:5], v[4:5], v[18:19], v[12:13]
	v_fma_f64 v[2:3], v[2:3], v[18:19], -v[20:21]
	s_delay_alu instid0(VALU_DEP_4) | instskip(NEXT) | instid1(VALU_DEP_4)
	v_add_f64_e32 v[6:7], v[6:7], v[14:15]
	v_add_f64_e32 v[8:9], v[8:9], v[29:30]
	s_delay_alu instid0(VALU_DEP_2) | instskip(NEXT) | instid1(VALU_DEP_2)
	v_add_f64_e32 v[2:3], v[6:7], v[2:3]
	v_add_f64_e32 v[4:5], v[8:9], v[4:5]
	s_wait_loadcnt 0x0
	s_delay_alu instid0(VALU_DEP_2) | instskip(NEXT) | instid1(VALU_DEP_2)
	v_add_f64_e64 v[2:3], v[22:23], -v[2:3]
	v_add_f64_e64 v[4:5], v[24:25], -v[4:5]
	scratch_store_b128 off, v[2:5], off offset:480
	v_cmpx_lt_u32_e32 28, v0
	s_cbranch_execz .LBB34_167
; %bb.166:
	scratch_load_b128 v[5:8], off, s27
	v_dual_mov_b32 v2, v1 :: v_dual_mov_b32 v3, v1
	v_mov_b32_e32 v4, v1
	scratch_store_b128 off, v[1:4], off offset:464
	s_wait_loadcnt 0x0
	ds_store_b128 v26, v[5:8]
.LBB34_167:
	s_wait_alu 0xfffe
	s_or_b32 exec_lo, exec_lo, s0
	s_wait_storecnt_dscnt 0x0
	s_barrier_signal -1
	s_barrier_wait -1
	global_inv scope:SCOPE_SE
	s_clause 0x5
	scratch_load_b128 v[2:5], off, off offset:480
	scratch_load_b128 v[6:9], off, off offset:496
	;; [unrolled: 1-line block ×6, first 2 shown]
	ds_load_b128 v[27:30], v1 offset:1024
	ds_load_b128 v[108:111], v1 offset:1040
	scratch_load_b128 v[104:107], off, off offset:464
	s_mov_b32 s0, exec_lo
	s_wait_loadcnt_dscnt 0x601
	v_mul_f64_e32 v[31:32], v[29:30], v[4:5]
	v_mul_f64_e32 v[4:5], v[27:28], v[4:5]
	s_wait_loadcnt_dscnt 0x500
	v_mul_f64_e32 v[112:113], v[108:109], v[8:9]
	v_mul_f64_e32 v[8:9], v[110:111], v[8:9]
	s_delay_alu instid0(VALU_DEP_4) | instskip(NEXT) | instid1(VALU_DEP_4)
	v_fma_f64 v[31:32], v[27:28], v[2:3], -v[31:32]
	v_fma_f64 v[114:115], v[29:30], v[2:3], v[4:5]
	ds_load_b128 v[2:5], v1 offset:1056
	ds_load_b128 v[27:30], v1 offset:1072
	v_fma_f64 v[110:111], v[110:111], v[6:7], v[112:113]
	v_fma_f64 v[6:7], v[108:109], v[6:7], -v[8:9]
	s_wait_loadcnt_dscnt 0x401
	v_mul_f64_e32 v[116:117], v[2:3], v[12:13]
	v_mul_f64_e32 v[12:13], v[4:5], v[12:13]
	s_wait_loadcnt_dscnt 0x300
	v_mul_f64_e32 v[108:109], v[27:28], v[16:17]
	v_mul_f64_e32 v[16:17], v[29:30], v[16:17]
	v_add_f64_e32 v[8:9], 0, v[31:32]
	v_add_f64_e32 v[31:32], 0, v[114:115]
	v_fma_f64 v[112:113], v[4:5], v[10:11], v[116:117]
	v_fma_f64 v[10:11], v[2:3], v[10:11], -v[12:13]
	v_fma_f64 v[29:30], v[29:30], v[14:15], v[108:109]
	v_fma_f64 v[14:15], v[27:28], v[14:15], -v[16:17]
	v_add_f64_e32 v[12:13], v[8:9], v[6:7]
	v_add_f64_e32 v[31:32], v[31:32], v[110:111]
	ds_load_b128 v[2:5], v1 offset:1088
	ds_load_b128 v[6:9], v1 offset:1104
	s_wait_loadcnt_dscnt 0x201
	v_mul_f64_e32 v[110:111], v[2:3], v[20:21]
	v_mul_f64_e32 v[20:21], v[4:5], v[20:21]
	s_wait_loadcnt_dscnt 0x100
	v_mul_f64_e32 v[16:17], v[6:7], v[24:25]
	v_mul_f64_e32 v[24:25], v[8:9], v[24:25]
	v_add_f64_e32 v[10:11], v[12:13], v[10:11]
	v_add_f64_e32 v[12:13], v[31:32], v[112:113]
	v_fma_f64 v[4:5], v[4:5], v[18:19], v[110:111]
	v_fma_f64 v[1:2], v[2:3], v[18:19], -v[20:21]
	v_fma_f64 v[8:9], v[8:9], v[22:23], v[16:17]
	v_fma_f64 v[6:7], v[6:7], v[22:23], -v[24:25]
	v_add_f64_e32 v[10:11], v[10:11], v[14:15]
	v_add_f64_e32 v[12:13], v[12:13], v[29:30]
	s_delay_alu instid0(VALU_DEP_2) | instskip(NEXT) | instid1(VALU_DEP_2)
	v_add_f64_e32 v[1:2], v[10:11], v[1:2]
	v_add_f64_e32 v[3:4], v[12:13], v[4:5]
	s_delay_alu instid0(VALU_DEP_2) | instskip(NEXT) | instid1(VALU_DEP_2)
	v_add_f64_e32 v[1:2], v[1:2], v[6:7]
	v_add_f64_e32 v[3:4], v[3:4], v[8:9]
	s_wait_loadcnt 0x0
	s_delay_alu instid0(VALU_DEP_2) | instskip(NEXT) | instid1(VALU_DEP_2)
	v_add_f64_e64 v[1:2], v[104:105], -v[1:2]
	v_add_f64_e64 v[3:4], v[106:107], -v[3:4]
	scratch_store_b128 off, v[1:4], off offset:464
	v_cmpx_lt_u32_e32 27, v0
	s_cbranch_execz .LBB34_169
; %bb.168:
	scratch_load_b128 v[1:4], off, s22
	v_mov_b32_e32 v5, 0
	s_delay_alu instid0(VALU_DEP_1)
	v_dual_mov_b32 v6, v5 :: v_dual_mov_b32 v7, v5
	v_mov_b32_e32 v8, v5
	scratch_store_b128 off, v[5:8], off offset:448
	s_wait_loadcnt 0x0
	ds_store_b128 v26, v[1:4]
.LBB34_169:
	s_wait_alu 0xfffe
	s_or_b32 exec_lo, exec_lo, s0
	s_wait_storecnt_dscnt 0x0
	s_barrier_signal -1
	s_barrier_wait -1
	global_inv scope:SCOPE_SE
	s_clause 0x6
	scratch_load_b128 v[2:5], off, off offset:464
	scratch_load_b128 v[6:9], off, off offset:480
	;; [unrolled: 1-line block ×7, first 2 shown]
	v_mov_b32_e32 v1, 0
	scratch_load_b128 v[112:115], off, off offset:448
	s_mov_b32 s0, exec_lo
	ds_load_b128 v[104:107], v1 offset:1008
	ds_load_b128 v[108:111], v1 offset:1024
	s_wait_loadcnt_dscnt 0x701
	v_mul_f64_e32 v[31:32], v[106:107], v[4:5]
	v_mul_f64_e32 v[4:5], v[104:105], v[4:5]
	s_wait_loadcnt_dscnt 0x600
	v_mul_f64_e32 v[116:117], v[108:109], v[8:9]
	v_mul_f64_e32 v[8:9], v[110:111], v[8:9]
	s_delay_alu instid0(VALU_DEP_4) | instskip(NEXT) | instid1(VALU_DEP_4)
	v_fma_f64 v[31:32], v[104:105], v[2:3], -v[31:32]
	v_fma_f64 v[104:105], v[106:107], v[2:3], v[4:5]
	ds_load_b128 v[2:5], v1 offset:1040
	v_fma_f64 v[110:111], v[110:111], v[6:7], v[116:117]
	v_fma_f64 v[108:109], v[108:109], v[6:7], -v[8:9]
	ds_load_b128 v[6:9], v1 offset:1056
	s_wait_loadcnt_dscnt 0x501
	v_mul_f64_e32 v[106:107], v[2:3], v[12:13]
	v_mul_f64_e32 v[12:13], v[4:5], v[12:13]
	s_wait_loadcnt_dscnt 0x400
	v_mul_f64_e32 v[116:117], v[6:7], v[16:17]
	v_mul_f64_e32 v[16:17], v[8:9], v[16:17]
	v_add_f64_e32 v[31:32], 0, v[31:32]
	v_add_f64_e32 v[104:105], 0, v[104:105]
	v_fma_f64 v[106:107], v[4:5], v[10:11], v[106:107]
	v_fma_f64 v[10:11], v[2:3], v[10:11], -v[12:13]
	ds_load_b128 v[2:5], v1 offset:1072
	v_add_f64_e32 v[12:13], v[31:32], v[108:109]
	v_add_f64_e32 v[31:32], v[104:105], v[110:111]
	v_fma_f64 v[108:109], v[8:9], v[14:15], v[116:117]
	v_fma_f64 v[14:15], v[6:7], v[14:15], -v[16:17]
	ds_load_b128 v[6:9], v1 offset:1088
	s_wait_loadcnt_dscnt 0x301
	v_mul_f64_e32 v[104:105], v[2:3], v[20:21]
	v_mul_f64_e32 v[20:21], v[4:5], v[20:21]
	s_wait_loadcnt_dscnt 0x200
	v_mul_f64_e32 v[16:17], v[6:7], v[24:25]
	v_mul_f64_e32 v[24:25], v[8:9], v[24:25]
	v_add_f64_e32 v[10:11], v[12:13], v[10:11]
	v_add_f64_e32 v[12:13], v[31:32], v[106:107]
	v_fma_f64 v[31:32], v[4:5], v[18:19], v[104:105]
	v_fma_f64 v[18:19], v[2:3], v[18:19], -v[20:21]
	ds_load_b128 v[2:5], v1 offset:1104
	v_fma_f64 v[8:9], v[8:9], v[22:23], v[16:17]
	v_fma_f64 v[6:7], v[6:7], v[22:23], -v[24:25]
	s_wait_loadcnt_dscnt 0x100
	v_mul_f64_e32 v[20:21], v[4:5], v[29:30]
	v_add_f64_e32 v[10:11], v[10:11], v[14:15]
	v_add_f64_e32 v[12:13], v[12:13], v[108:109]
	v_mul_f64_e32 v[14:15], v[2:3], v[29:30]
	s_delay_alu instid0(VALU_DEP_4) | instskip(NEXT) | instid1(VALU_DEP_4)
	v_fma_f64 v[2:3], v[2:3], v[27:28], -v[20:21]
	v_add_f64_e32 v[10:11], v[10:11], v[18:19]
	s_delay_alu instid0(VALU_DEP_4) | instskip(NEXT) | instid1(VALU_DEP_4)
	v_add_f64_e32 v[12:13], v[12:13], v[31:32]
	v_fma_f64 v[4:5], v[4:5], v[27:28], v[14:15]
	s_delay_alu instid0(VALU_DEP_3) | instskip(NEXT) | instid1(VALU_DEP_3)
	v_add_f64_e32 v[6:7], v[10:11], v[6:7]
	v_add_f64_e32 v[8:9], v[12:13], v[8:9]
	s_delay_alu instid0(VALU_DEP_2) | instskip(NEXT) | instid1(VALU_DEP_2)
	v_add_f64_e32 v[2:3], v[6:7], v[2:3]
	v_add_f64_e32 v[4:5], v[8:9], v[4:5]
	s_wait_loadcnt 0x0
	s_delay_alu instid0(VALU_DEP_2) | instskip(NEXT) | instid1(VALU_DEP_2)
	v_add_f64_e64 v[2:3], v[112:113], -v[2:3]
	v_add_f64_e64 v[4:5], v[114:115], -v[4:5]
	scratch_store_b128 off, v[2:5], off offset:448
	v_cmpx_lt_u32_e32 26, v0
	s_cbranch_execz .LBB34_171
; %bb.170:
	scratch_load_b128 v[5:8], off, s29
	v_dual_mov_b32 v2, v1 :: v_dual_mov_b32 v3, v1
	v_mov_b32_e32 v4, v1
	scratch_store_b128 off, v[1:4], off offset:432
	s_wait_loadcnt 0x0
	ds_store_b128 v26, v[5:8]
.LBB34_171:
	s_wait_alu 0xfffe
	s_or_b32 exec_lo, exec_lo, s0
	s_wait_storecnt_dscnt 0x0
	s_barrier_signal -1
	s_barrier_wait -1
	global_inv scope:SCOPE_SE
	s_clause 0x7
	scratch_load_b128 v[2:5], off, off offset:448
	scratch_load_b128 v[6:9], off, off offset:464
	;; [unrolled: 1-line block ×8, first 2 shown]
	ds_load_b128 v[108:111], v1 offset:992
	ds_load_b128 v[112:115], v1 offset:1008
	s_mov_b32 s0, exec_lo
	s_wait_loadcnt_dscnt 0x701
	v_mul_f64_e32 v[31:32], v[110:111], v[4:5]
	v_mul_f64_e32 v[4:5], v[108:109], v[4:5]
	s_wait_loadcnt_dscnt 0x600
	v_mul_f64_e32 v[116:117], v[112:113], v[8:9]
	v_mul_f64_e32 v[8:9], v[114:115], v[8:9]
	s_delay_alu instid0(VALU_DEP_4) | instskip(NEXT) | instid1(VALU_DEP_4)
	v_fma_f64 v[31:32], v[108:109], v[2:3], -v[31:32]
	v_fma_f64 v[118:119], v[110:111], v[2:3], v[4:5]
	ds_load_b128 v[2:5], v1 offset:1024
	scratch_load_b128 v[108:111], off, off offset:432
	v_fma_f64 v[114:115], v[114:115], v[6:7], v[116:117]
	v_fma_f64 v[112:113], v[112:113], v[6:7], -v[8:9]
	ds_load_b128 v[6:9], v1 offset:1040
	s_wait_loadcnt_dscnt 0x601
	v_mul_f64_e32 v[120:121], v[2:3], v[12:13]
	v_mul_f64_e32 v[12:13], v[4:5], v[12:13]
	v_add_f64_e32 v[31:32], 0, v[31:32]
	v_add_f64_e32 v[116:117], 0, v[118:119]
	s_wait_loadcnt_dscnt 0x500
	v_mul_f64_e32 v[118:119], v[6:7], v[16:17]
	v_mul_f64_e32 v[16:17], v[8:9], v[16:17]
	v_fma_f64 v[120:121], v[4:5], v[10:11], v[120:121]
	v_fma_f64 v[10:11], v[2:3], v[10:11], -v[12:13]
	ds_load_b128 v[2:5], v1 offset:1056
	v_add_f64_e32 v[12:13], v[31:32], v[112:113]
	v_add_f64_e32 v[31:32], v[116:117], v[114:115]
	v_fma_f64 v[114:115], v[8:9], v[14:15], v[118:119]
	v_fma_f64 v[14:15], v[6:7], v[14:15], -v[16:17]
	ds_load_b128 v[6:9], v1 offset:1072
	s_wait_loadcnt_dscnt 0x401
	v_mul_f64_e32 v[112:113], v[2:3], v[20:21]
	v_mul_f64_e32 v[20:21], v[4:5], v[20:21]
	s_wait_loadcnt_dscnt 0x300
	v_mul_f64_e32 v[16:17], v[6:7], v[24:25]
	v_mul_f64_e32 v[24:25], v[8:9], v[24:25]
	v_add_f64_e32 v[10:11], v[12:13], v[10:11]
	v_add_f64_e32 v[12:13], v[31:32], v[120:121]
	v_fma_f64 v[31:32], v[4:5], v[18:19], v[112:113]
	v_fma_f64 v[18:19], v[2:3], v[18:19], -v[20:21]
	ds_load_b128 v[2:5], v1 offset:1088
	v_fma_f64 v[16:17], v[8:9], v[22:23], v[16:17]
	v_fma_f64 v[22:23], v[6:7], v[22:23], -v[24:25]
	ds_load_b128 v[6:9], v1 offset:1104
	s_wait_loadcnt_dscnt 0x201
	v_mul_f64_e32 v[20:21], v[4:5], v[29:30]
	v_add_f64_e32 v[10:11], v[10:11], v[14:15]
	v_add_f64_e32 v[12:13], v[12:13], v[114:115]
	v_mul_f64_e32 v[14:15], v[2:3], v[29:30]
	s_wait_loadcnt_dscnt 0x100
	v_mul_f64_e32 v[24:25], v[8:9], v[106:107]
	v_fma_f64 v[1:2], v[2:3], v[27:28], -v[20:21]
	v_add_f64_e32 v[10:11], v[10:11], v[18:19]
	v_add_f64_e32 v[12:13], v[12:13], v[31:32]
	v_mul_f64_e32 v[18:19], v[6:7], v[106:107]
	v_fma_f64 v[4:5], v[4:5], v[27:28], v[14:15]
	v_fma_f64 v[6:7], v[6:7], v[104:105], -v[24:25]
	v_add_f64_e32 v[10:11], v[10:11], v[22:23]
	v_add_f64_e32 v[12:13], v[12:13], v[16:17]
	v_fma_f64 v[8:9], v[8:9], v[104:105], v[18:19]
	s_delay_alu instid0(VALU_DEP_3) | instskip(NEXT) | instid1(VALU_DEP_3)
	v_add_f64_e32 v[1:2], v[10:11], v[1:2]
	v_add_f64_e32 v[3:4], v[12:13], v[4:5]
	s_delay_alu instid0(VALU_DEP_2) | instskip(NEXT) | instid1(VALU_DEP_2)
	v_add_f64_e32 v[1:2], v[1:2], v[6:7]
	v_add_f64_e32 v[3:4], v[3:4], v[8:9]
	s_wait_loadcnt 0x0
	s_delay_alu instid0(VALU_DEP_2) | instskip(NEXT) | instid1(VALU_DEP_2)
	v_add_f64_e64 v[1:2], v[108:109], -v[1:2]
	v_add_f64_e64 v[3:4], v[110:111], -v[3:4]
	scratch_store_b128 off, v[1:4], off offset:432
	v_cmpx_lt_u32_e32 25, v0
	s_cbranch_execz .LBB34_173
; %bb.172:
	scratch_load_b128 v[1:4], off, s26
	v_mov_b32_e32 v5, 0
	s_delay_alu instid0(VALU_DEP_1)
	v_dual_mov_b32 v6, v5 :: v_dual_mov_b32 v7, v5
	v_mov_b32_e32 v8, v5
	scratch_store_b128 off, v[5:8], off offset:416
	s_wait_loadcnt 0x0
	ds_store_b128 v26, v[1:4]
.LBB34_173:
	s_wait_alu 0xfffe
	s_or_b32 exec_lo, exec_lo, s0
	s_wait_storecnt_dscnt 0x0
	s_barrier_signal -1
	s_barrier_wait -1
	global_inv scope:SCOPE_SE
	s_clause 0x7
	scratch_load_b128 v[2:5], off, off offset:432
	scratch_load_b128 v[6:9], off, off offset:448
	scratch_load_b128 v[10:13], off, off offset:464
	scratch_load_b128 v[14:17], off, off offset:480
	scratch_load_b128 v[18:21], off, off offset:496
	scratch_load_b128 v[22:25], off, off offset:512
	scratch_load_b128 v[27:30], off, off offset:528
	scratch_load_b128 v[104:107], off, off offset:544
	v_mov_b32_e32 v1, 0
	s_mov_b32 s0, exec_lo
	ds_load_b128 v[108:111], v1 offset:976
	s_clause 0x1
	scratch_load_b128 v[112:115], off, off offset:560
	scratch_load_b128 v[116:119], off, off offset:416
	ds_load_b128 v[120:123], v1 offset:992
	s_wait_loadcnt_dscnt 0x901
	v_mul_f64_e32 v[31:32], v[110:111], v[4:5]
	v_mul_f64_e32 v[4:5], v[108:109], v[4:5]
	s_wait_loadcnt_dscnt 0x800
	v_mul_f64_e32 v[124:125], v[120:121], v[8:9]
	v_mul_f64_e32 v[8:9], v[122:123], v[8:9]
	s_delay_alu instid0(VALU_DEP_4) | instskip(NEXT) | instid1(VALU_DEP_4)
	v_fma_f64 v[31:32], v[108:109], v[2:3], -v[31:32]
	v_fma_f64 v[126:127], v[110:111], v[2:3], v[4:5]
	ds_load_b128 v[2:5], v1 offset:1008
	ds_load_b128 v[108:111], v1 offset:1024
	v_fma_f64 v[122:123], v[122:123], v[6:7], v[124:125]
	v_fma_f64 v[6:7], v[120:121], v[6:7], -v[8:9]
	s_wait_loadcnt_dscnt 0x701
	v_mul_f64_e32 v[128:129], v[2:3], v[12:13]
	v_mul_f64_e32 v[12:13], v[4:5], v[12:13]
	s_wait_loadcnt_dscnt 0x600
	v_mul_f64_e32 v[120:121], v[108:109], v[16:17]
	v_mul_f64_e32 v[16:17], v[110:111], v[16:17]
	v_add_f64_e32 v[8:9], 0, v[31:32]
	v_add_f64_e32 v[31:32], 0, v[126:127]
	v_fma_f64 v[124:125], v[4:5], v[10:11], v[128:129]
	v_fma_f64 v[10:11], v[2:3], v[10:11], -v[12:13]
	v_fma_f64 v[110:111], v[110:111], v[14:15], v[120:121]
	v_fma_f64 v[14:15], v[108:109], v[14:15], -v[16:17]
	v_add_f64_e32 v[12:13], v[8:9], v[6:7]
	v_add_f64_e32 v[31:32], v[31:32], v[122:123]
	ds_load_b128 v[2:5], v1 offset:1040
	ds_load_b128 v[6:9], v1 offset:1056
	s_wait_loadcnt_dscnt 0x501
	v_mul_f64_e32 v[122:123], v[2:3], v[20:21]
	v_mul_f64_e32 v[20:21], v[4:5], v[20:21]
	s_wait_loadcnt_dscnt 0x400
	v_mul_f64_e32 v[16:17], v[6:7], v[24:25]
	v_mul_f64_e32 v[24:25], v[8:9], v[24:25]
	v_add_f64_e32 v[10:11], v[12:13], v[10:11]
	v_add_f64_e32 v[12:13], v[31:32], v[124:125]
	v_fma_f64 v[31:32], v[4:5], v[18:19], v[122:123]
	v_fma_f64 v[18:19], v[2:3], v[18:19], -v[20:21]
	v_fma_f64 v[8:9], v[8:9], v[22:23], v[16:17]
	v_fma_f64 v[6:7], v[6:7], v[22:23], -v[24:25]
	v_add_f64_e32 v[14:15], v[10:11], v[14:15]
	v_add_f64_e32 v[20:21], v[12:13], v[110:111]
	ds_load_b128 v[2:5], v1 offset:1072
	ds_load_b128 v[10:13], v1 offset:1088
	s_wait_loadcnt_dscnt 0x301
	v_mul_f64_e32 v[108:109], v[2:3], v[29:30]
	v_mul_f64_e32 v[29:30], v[4:5], v[29:30]
	v_add_f64_e32 v[14:15], v[14:15], v[18:19]
	v_add_f64_e32 v[16:17], v[20:21], v[31:32]
	s_wait_loadcnt_dscnt 0x200
	v_mul_f64_e32 v[18:19], v[10:11], v[106:107]
	v_mul_f64_e32 v[20:21], v[12:13], v[106:107]
	v_fma_f64 v[22:23], v[4:5], v[27:28], v[108:109]
	v_fma_f64 v[24:25], v[2:3], v[27:28], -v[29:30]
	ds_load_b128 v[2:5], v1 offset:1104
	v_add_f64_e32 v[6:7], v[14:15], v[6:7]
	v_add_f64_e32 v[8:9], v[16:17], v[8:9]
	v_fma_f64 v[12:13], v[12:13], v[104:105], v[18:19]
	v_fma_f64 v[10:11], v[10:11], v[104:105], -v[20:21]
	s_wait_loadcnt_dscnt 0x100
	v_mul_f64_e32 v[14:15], v[2:3], v[114:115]
	v_mul_f64_e32 v[16:17], v[4:5], v[114:115]
	v_add_f64_e32 v[6:7], v[6:7], v[24:25]
	v_add_f64_e32 v[8:9], v[8:9], v[22:23]
	s_delay_alu instid0(VALU_DEP_4) | instskip(NEXT) | instid1(VALU_DEP_4)
	v_fma_f64 v[4:5], v[4:5], v[112:113], v[14:15]
	v_fma_f64 v[2:3], v[2:3], v[112:113], -v[16:17]
	s_delay_alu instid0(VALU_DEP_4) | instskip(NEXT) | instid1(VALU_DEP_4)
	v_add_f64_e32 v[6:7], v[6:7], v[10:11]
	v_add_f64_e32 v[8:9], v[8:9], v[12:13]
	s_delay_alu instid0(VALU_DEP_2) | instskip(NEXT) | instid1(VALU_DEP_2)
	v_add_f64_e32 v[2:3], v[6:7], v[2:3]
	v_add_f64_e32 v[4:5], v[8:9], v[4:5]
	s_wait_loadcnt 0x0
	s_delay_alu instid0(VALU_DEP_2) | instskip(NEXT) | instid1(VALU_DEP_2)
	v_add_f64_e64 v[2:3], v[116:117], -v[2:3]
	v_add_f64_e64 v[4:5], v[118:119], -v[4:5]
	scratch_store_b128 off, v[2:5], off offset:416
	v_cmpx_lt_u32_e32 24, v0
	s_cbranch_execz .LBB34_175
; %bb.174:
	scratch_load_b128 v[5:8], off, s4
	v_dual_mov_b32 v2, v1 :: v_dual_mov_b32 v3, v1
	v_mov_b32_e32 v4, v1
	scratch_store_b128 off, v[1:4], off offset:400
	s_wait_loadcnt 0x0
	ds_store_b128 v26, v[5:8]
.LBB34_175:
	s_wait_alu 0xfffe
	s_or_b32 exec_lo, exec_lo, s0
	s_wait_storecnt_dscnt 0x0
	s_barrier_signal -1
	s_barrier_wait -1
	global_inv scope:SCOPE_SE
	s_clause 0x8
	scratch_load_b128 v[2:5], off, off offset:416
	scratch_load_b128 v[6:9], off, off offset:432
	;; [unrolled: 1-line block ×9, first 2 shown]
	ds_load_b128 v[112:115], v1 offset:960
	ds_load_b128 v[116:119], v1 offset:976
	s_clause 0x1
	scratch_load_b128 v[120:123], off, off offset:400
	scratch_load_b128 v[124:127], off, off offset:560
	s_mov_b32 s0, exec_lo
	s_wait_loadcnt_dscnt 0xa01
	v_mul_f64_e32 v[31:32], v[114:115], v[4:5]
	v_mul_f64_e32 v[4:5], v[112:113], v[4:5]
	s_wait_loadcnt_dscnt 0x900
	v_mul_f64_e32 v[128:129], v[116:117], v[8:9]
	v_mul_f64_e32 v[8:9], v[118:119], v[8:9]
	s_delay_alu instid0(VALU_DEP_4) | instskip(NEXT) | instid1(VALU_DEP_4)
	v_fma_f64 v[31:32], v[112:113], v[2:3], -v[31:32]
	v_fma_f64 v[130:131], v[114:115], v[2:3], v[4:5]
	ds_load_b128 v[2:5], v1 offset:992
	ds_load_b128 v[112:115], v1 offset:1008
	v_fma_f64 v[118:119], v[118:119], v[6:7], v[128:129]
	v_fma_f64 v[6:7], v[116:117], v[6:7], -v[8:9]
	s_wait_loadcnt_dscnt 0x801
	v_mul_f64_e32 v[132:133], v[2:3], v[12:13]
	v_mul_f64_e32 v[12:13], v[4:5], v[12:13]
	s_wait_loadcnt_dscnt 0x700
	v_mul_f64_e32 v[116:117], v[112:113], v[16:17]
	v_mul_f64_e32 v[16:17], v[114:115], v[16:17]
	v_add_f64_e32 v[8:9], 0, v[31:32]
	v_add_f64_e32 v[31:32], 0, v[130:131]
	v_fma_f64 v[128:129], v[4:5], v[10:11], v[132:133]
	v_fma_f64 v[10:11], v[2:3], v[10:11], -v[12:13]
	v_fma_f64 v[114:115], v[114:115], v[14:15], v[116:117]
	v_fma_f64 v[14:15], v[112:113], v[14:15], -v[16:17]
	v_add_f64_e32 v[12:13], v[8:9], v[6:7]
	v_add_f64_e32 v[31:32], v[31:32], v[118:119]
	ds_load_b128 v[2:5], v1 offset:1024
	ds_load_b128 v[6:9], v1 offset:1040
	s_wait_loadcnt_dscnt 0x601
	v_mul_f64_e32 v[118:119], v[2:3], v[20:21]
	v_mul_f64_e32 v[20:21], v[4:5], v[20:21]
	s_wait_loadcnt_dscnt 0x500
	v_mul_f64_e32 v[16:17], v[6:7], v[24:25]
	v_mul_f64_e32 v[24:25], v[8:9], v[24:25]
	v_add_f64_e32 v[10:11], v[12:13], v[10:11]
	v_add_f64_e32 v[12:13], v[31:32], v[128:129]
	v_fma_f64 v[31:32], v[4:5], v[18:19], v[118:119]
	v_fma_f64 v[18:19], v[2:3], v[18:19], -v[20:21]
	v_fma_f64 v[8:9], v[8:9], v[22:23], v[16:17]
	v_fma_f64 v[6:7], v[6:7], v[22:23], -v[24:25]
	v_add_f64_e32 v[14:15], v[10:11], v[14:15]
	v_add_f64_e32 v[20:21], v[12:13], v[114:115]
	ds_load_b128 v[2:5], v1 offset:1056
	ds_load_b128 v[10:13], v1 offset:1072
	s_wait_loadcnt_dscnt 0x401
	v_mul_f64_e32 v[112:113], v[2:3], v[29:30]
	v_mul_f64_e32 v[29:30], v[4:5], v[29:30]
	v_add_f64_e32 v[14:15], v[14:15], v[18:19]
	v_add_f64_e32 v[16:17], v[20:21], v[31:32]
	s_wait_loadcnt_dscnt 0x300
	v_mul_f64_e32 v[18:19], v[10:11], v[106:107]
	v_mul_f64_e32 v[20:21], v[12:13], v[106:107]
	v_fma_f64 v[22:23], v[4:5], v[27:28], v[112:113]
	v_fma_f64 v[24:25], v[2:3], v[27:28], -v[29:30]
	v_add_f64_e32 v[14:15], v[14:15], v[6:7]
	v_add_f64_e32 v[16:17], v[16:17], v[8:9]
	ds_load_b128 v[2:5], v1 offset:1088
	ds_load_b128 v[6:9], v1 offset:1104
	v_fma_f64 v[12:13], v[12:13], v[104:105], v[18:19]
	v_fma_f64 v[10:11], v[10:11], v[104:105], -v[20:21]
	s_wait_loadcnt_dscnt 0x201
	v_mul_f64_e32 v[27:28], v[2:3], v[110:111]
	v_mul_f64_e32 v[29:30], v[4:5], v[110:111]
	s_wait_loadcnt_dscnt 0x0
	v_mul_f64_e32 v[18:19], v[6:7], v[126:127]
	v_mul_f64_e32 v[20:21], v[8:9], v[126:127]
	v_add_f64_e32 v[14:15], v[14:15], v[24:25]
	v_add_f64_e32 v[16:17], v[16:17], v[22:23]
	v_fma_f64 v[4:5], v[4:5], v[108:109], v[27:28]
	v_fma_f64 v[1:2], v[2:3], v[108:109], -v[29:30]
	v_fma_f64 v[8:9], v[8:9], v[124:125], v[18:19]
	v_fma_f64 v[6:7], v[6:7], v[124:125], -v[20:21]
	v_add_f64_e32 v[10:11], v[14:15], v[10:11]
	v_add_f64_e32 v[12:13], v[16:17], v[12:13]
	s_delay_alu instid0(VALU_DEP_2) | instskip(NEXT) | instid1(VALU_DEP_2)
	v_add_f64_e32 v[1:2], v[10:11], v[1:2]
	v_add_f64_e32 v[3:4], v[12:13], v[4:5]
	s_delay_alu instid0(VALU_DEP_2) | instskip(NEXT) | instid1(VALU_DEP_2)
	v_add_f64_e32 v[1:2], v[1:2], v[6:7]
	v_add_f64_e32 v[3:4], v[3:4], v[8:9]
	s_delay_alu instid0(VALU_DEP_2) | instskip(NEXT) | instid1(VALU_DEP_2)
	v_add_f64_e64 v[1:2], v[120:121], -v[1:2]
	v_add_f64_e64 v[3:4], v[122:123], -v[3:4]
	scratch_store_b128 off, v[1:4], off offset:400
	v_cmpx_lt_u32_e32 23, v0
	s_cbranch_execz .LBB34_177
; %bb.176:
	scratch_load_b128 v[1:4], off, s5
	v_mov_b32_e32 v5, 0
	s_delay_alu instid0(VALU_DEP_1)
	v_dual_mov_b32 v6, v5 :: v_dual_mov_b32 v7, v5
	v_mov_b32_e32 v8, v5
	scratch_store_b128 off, v[5:8], off offset:384
	s_wait_loadcnt 0x0
	ds_store_b128 v26, v[1:4]
.LBB34_177:
	s_wait_alu 0xfffe
	s_or_b32 exec_lo, exec_lo, s0
	s_wait_storecnt_dscnt 0x0
	s_barrier_signal -1
	s_barrier_wait -1
	global_inv scope:SCOPE_SE
	s_clause 0x7
	scratch_load_b128 v[2:5], off, off offset:400
	scratch_load_b128 v[6:9], off, off offset:416
	;; [unrolled: 1-line block ×8, first 2 shown]
	v_mov_b32_e32 v1, 0
	s_mov_b32 s0, exec_lo
	ds_load_b128 v[108:111], v1 offset:944
	s_clause 0x1
	scratch_load_b128 v[112:115], off, off offset:528
	scratch_load_b128 v[116:119], off, off offset:384
	ds_load_b128 v[120:123], v1 offset:960
	scratch_load_b128 v[124:127], off, off offset:544
	ds_load_b128 v[128:131], v1 offset:992
	s_wait_loadcnt_dscnt 0xa02
	v_mul_f64_e32 v[31:32], v[110:111], v[4:5]
	v_mul_f64_e32 v[4:5], v[108:109], v[4:5]
	s_delay_alu instid0(VALU_DEP_2) | instskip(NEXT) | instid1(VALU_DEP_2)
	v_fma_f64 v[31:32], v[108:109], v[2:3], -v[31:32]
	v_fma_f64 v[134:135], v[110:111], v[2:3], v[4:5]
	ds_load_b128 v[2:5], v1 offset:976
	s_wait_loadcnt_dscnt 0x902
	v_mul_f64_e32 v[132:133], v[120:121], v[8:9]
	v_mul_f64_e32 v[8:9], v[122:123], v[8:9]
	scratch_load_b128 v[108:111], off, off offset:560
	s_wait_loadcnt_dscnt 0x900
	v_mul_f64_e32 v[136:137], v[2:3], v[12:13]
	v_mul_f64_e32 v[12:13], v[4:5], v[12:13]
	v_fma_f64 v[122:123], v[122:123], v[6:7], v[132:133]
	v_fma_f64 v[6:7], v[120:121], v[6:7], -v[8:9]
	v_add_f64_e32 v[8:9], 0, v[31:32]
	v_add_f64_e32 v[31:32], 0, v[134:135]
	s_wait_loadcnt 0x8
	v_mul_f64_e32 v[120:121], v[128:129], v[16:17]
	v_mul_f64_e32 v[16:17], v[130:131], v[16:17]
	v_fma_f64 v[132:133], v[4:5], v[10:11], v[136:137]
	v_fma_f64 v[10:11], v[2:3], v[10:11], -v[12:13]
	v_add_f64_e32 v[12:13], v[8:9], v[6:7]
	v_add_f64_e32 v[31:32], v[31:32], v[122:123]
	ds_load_b128 v[2:5], v1 offset:1008
	ds_load_b128 v[6:9], v1 offset:1024
	v_fma_f64 v[120:121], v[130:131], v[14:15], v[120:121]
	v_fma_f64 v[14:15], v[128:129], v[14:15], -v[16:17]
	s_wait_loadcnt_dscnt 0x701
	v_mul_f64_e32 v[122:123], v[2:3], v[20:21]
	v_mul_f64_e32 v[20:21], v[4:5], v[20:21]
	s_wait_loadcnt_dscnt 0x600
	v_mul_f64_e32 v[16:17], v[6:7], v[24:25]
	v_mul_f64_e32 v[24:25], v[8:9], v[24:25]
	v_add_f64_e32 v[10:11], v[12:13], v[10:11]
	v_add_f64_e32 v[12:13], v[31:32], v[132:133]
	v_fma_f64 v[31:32], v[4:5], v[18:19], v[122:123]
	v_fma_f64 v[18:19], v[2:3], v[18:19], -v[20:21]
	v_fma_f64 v[8:9], v[8:9], v[22:23], v[16:17]
	v_fma_f64 v[6:7], v[6:7], v[22:23], -v[24:25]
	v_add_f64_e32 v[14:15], v[10:11], v[14:15]
	v_add_f64_e32 v[20:21], v[12:13], v[120:121]
	ds_load_b128 v[2:5], v1 offset:1040
	ds_load_b128 v[10:13], v1 offset:1056
	s_wait_loadcnt_dscnt 0x501
	v_mul_f64_e32 v[120:121], v[2:3], v[29:30]
	v_mul_f64_e32 v[29:30], v[4:5], v[29:30]
	v_add_f64_e32 v[14:15], v[14:15], v[18:19]
	v_add_f64_e32 v[16:17], v[20:21], v[31:32]
	s_wait_loadcnt_dscnt 0x400
	v_mul_f64_e32 v[18:19], v[10:11], v[106:107]
	v_mul_f64_e32 v[20:21], v[12:13], v[106:107]
	v_fma_f64 v[22:23], v[4:5], v[27:28], v[120:121]
	v_fma_f64 v[24:25], v[2:3], v[27:28], -v[29:30]
	v_add_f64_e32 v[14:15], v[14:15], v[6:7]
	v_add_f64_e32 v[16:17], v[16:17], v[8:9]
	ds_load_b128 v[2:5], v1 offset:1072
	ds_load_b128 v[6:9], v1 offset:1088
	v_fma_f64 v[12:13], v[12:13], v[104:105], v[18:19]
	v_fma_f64 v[10:11], v[10:11], v[104:105], -v[20:21]
	s_wait_loadcnt_dscnt 0x301
	v_mul_f64_e32 v[27:28], v[2:3], v[114:115]
	v_mul_f64_e32 v[29:30], v[4:5], v[114:115]
	s_wait_loadcnt_dscnt 0x100
	v_mul_f64_e32 v[18:19], v[6:7], v[126:127]
	v_mul_f64_e32 v[20:21], v[8:9], v[126:127]
	v_add_f64_e32 v[14:15], v[14:15], v[24:25]
	v_add_f64_e32 v[16:17], v[16:17], v[22:23]
	v_fma_f64 v[22:23], v[4:5], v[112:113], v[27:28]
	v_fma_f64 v[24:25], v[2:3], v[112:113], -v[29:30]
	ds_load_b128 v[2:5], v1 offset:1104
	v_fma_f64 v[8:9], v[8:9], v[124:125], v[18:19]
	v_fma_f64 v[6:7], v[6:7], v[124:125], -v[20:21]
	v_add_f64_e32 v[10:11], v[14:15], v[10:11]
	v_add_f64_e32 v[12:13], v[16:17], v[12:13]
	s_wait_loadcnt_dscnt 0x0
	v_mul_f64_e32 v[14:15], v[2:3], v[110:111]
	v_mul_f64_e32 v[16:17], v[4:5], v[110:111]
	s_delay_alu instid0(VALU_DEP_4) | instskip(NEXT) | instid1(VALU_DEP_4)
	v_add_f64_e32 v[10:11], v[10:11], v[24:25]
	v_add_f64_e32 v[12:13], v[12:13], v[22:23]
	s_delay_alu instid0(VALU_DEP_4) | instskip(NEXT) | instid1(VALU_DEP_4)
	v_fma_f64 v[4:5], v[4:5], v[108:109], v[14:15]
	v_fma_f64 v[2:3], v[2:3], v[108:109], -v[16:17]
	s_delay_alu instid0(VALU_DEP_4) | instskip(NEXT) | instid1(VALU_DEP_4)
	v_add_f64_e32 v[6:7], v[10:11], v[6:7]
	v_add_f64_e32 v[8:9], v[12:13], v[8:9]
	s_delay_alu instid0(VALU_DEP_2) | instskip(NEXT) | instid1(VALU_DEP_2)
	v_add_f64_e32 v[2:3], v[6:7], v[2:3]
	v_add_f64_e32 v[4:5], v[8:9], v[4:5]
	s_delay_alu instid0(VALU_DEP_2) | instskip(NEXT) | instid1(VALU_DEP_2)
	v_add_f64_e64 v[2:3], v[116:117], -v[2:3]
	v_add_f64_e64 v[4:5], v[118:119], -v[4:5]
	scratch_store_b128 off, v[2:5], off offset:384
	v_cmpx_lt_u32_e32 22, v0
	s_cbranch_execz .LBB34_179
; %bb.178:
	scratch_load_b128 v[5:8], off, s8
	v_dual_mov_b32 v2, v1 :: v_dual_mov_b32 v3, v1
	v_mov_b32_e32 v4, v1
	scratch_store_b128 off, v[1:4], off offset:368
	s_wait_loadcnt 0x0
	ds_store_b128 v26, v[5:8]
.LBB34_179:
	s_wait_alu 0xfffe
	s_or_b32 exec_lo, exec_lo, s0
	s_wait_storecnt_dscnt 0x0
	s_barrier_signal -1
	s_barrier_wait -1
	global_inv scope:SCOPE_SE
	s_clause 0x8
	scratch_load_b128 v[2:5], off, off offset:384
	scratch_load_b128 v[6:9], off, off offset:400
	;; [unrolled: 1-line block ×9, first 2 shown]
	ds_load_b128 v[112:115], v1 offset:928
	ds_load_b128 v[116:119], v1 offset:944
	s_clause 0x1
	scratch_load_b128 v[120:123], off, off offset:368
	scratch_load_b128 v[124:127], off, off offset:528
	s_mov_b32 s0, exec_lo
	ds_load_b128 v[128:131], v1 offset:976
	s_wait_loadcnt_dscnt 0xa02
	v_mul_f64_e32 v[31:32], v[114:115], v[4:5]
	v_mul_f64_e32 v[4:5], v[112:113], v[4:5]
	s_wait_loadcnt_dscnt 0x901
	v_mul_f64_e32 v[132:133], v[116:117], v[8:9]
	v_mul_f64_e32 v[8:9], v[118:119], v[8:9]
	s_delay_alu instid0(VALU_DEP_4) | instskip(NEXT) | instid1(VALU_DEP_4)
	v_fma_f64 v[31:32], v[112:113], v[2:3], -v[31:32]
	v_fma_f64 v[134:135], v[114:115], v[2:3], v[4:5]
	ds_load_b128 v[2:5], v1 offset:960
	scratch_load_b128 v[112:115], off, off offset:544
	v_fma_f64 v[118:119], v[118:119], v[6:7], v[132:133]
	v_fma_f64 v[116:117], v[116:117], v[6:7], -v[8:9]
	scratch_load_b128 v[6:9], off, off offset:560
	s_wait_loadcnt_dscnt 0xa00
	v_mul_f64_e32 v[136:137], v[2:3], v[12:13]
	v_mul_f64_e32 v[12:13], v[4:5], v[12:13]
	v_add_f64_e32 v[31:32], 0, v[31:32]
	v_add_f64_e32 v[132:133], 0, v[134:135]
	s_wait_loadcnt 0x9
	v_mul_f64_e32 v[134:135], v[128:129], v[16:17]
	v_mul_f64_e32 v[16:17], v[130:131], v[16:17]
	v_fma_f64 v[136:137], v[4:5], v[10:11], v[136:137]
	v_fma_f64 v[138:139], v[2:3], v[10:11], -v[12:13]
	ds_load_b128 v[2:5], v1 offset:992
	ds_load_b128 v[10:13], v1 offset:1008
	v_add_f64_e32 v[31:32], v[31:32], v[116:117]
	v_add_f64_e32 v[116:117], v[132:133], v[118:119]
	v_fma_f64 v[130:131], v[130:131], v[14:15], v[134:135]
	v_fma_f64 v[14:15], v[128:129], v[14:15], -v[16:17]
	s_wait_loadcnt_dscnt 0x801
	v_mul_f64_e32 v[118:119], v[2:3], v[20:21]
	v_mul_f64_e32 v[20:21], v[4:5], v[20:21]
	v_add_f64_e32 v[16:17], v[31:32], v[138:139]
	v_add_f64_e32 v[31:32], v[116:117], v[136:137]
	s_wait_loadcnt_dscnt 0x700
	v_mul_f64_e32 v[116:117], v[10:11], v[24:25]
	v_mul_f64_e32 v[24:25], v[12:13], v[24:25]
	v_fma_f64 v[118:119], v[4:5], v[18:19], v[118:119]
	v_fma_f64 v[18:19], v[2:3], v[18:19], -v[20:21]
	v_add_f64_e32 v[20:21], v[16:17], v[14:15]
	v_add_f64_e32 v[31:32], v[31:32], v[130:131]
	ds_load_b128 v[2:5], v1 offset:1024
	ds_load_b128 v[14:17], v1 offset:1040
	v_fma_f64 v[12:13], v[12:13], v[22:23], v[116:117]
	v_fma_f64 v[10:11], v[10:11], v[22:23], -v[24:25]
	s_wait_loadcnt_dscnt 0x601
	v_mul_f64_e32 v[128:129], v[2:3], v[29:30]
	v_mul_f64_e32 v[29:30], v[4:5], v[29:30]
	s_wait_loadcnt_dscnt 0x500
	v_mul_f64_e32 v[22:23], v[14:15], v[106:107]
	v_mul_f64_e32 v[24:25], v[16:17], v[106:107]
	v_add_f64_e32 v[18:19], v[20:21], v[18:19]
	v_add_f64_e32 v[20:21], v[31:32], v[118:119]
	v_fma_f64 v[31:32], v[4:5], v[27:28], v[128:129]
	v_fma_f64 v[27:28], v[2:3], v[27:28], -v[29:30]
	v_fma_f64 v[16:17], v[16:17], v[104:105], v[22:23]
	v_fma_f64 v[14:15], v[14:15], v[104:105], -v[24:25]
	v_add_f64_e32 v[18:19], v[18:19], v[10:11]
	v_add_f64_e32 v[20:21], v[20:21], v[12:13]
	ds_load_b128 v[2:5], v1 offset:1056
	ds_load_b128 v[10:13], v1 offset:1072
	s_wait_loadcnt_dscnt 0x401
	v_mul_f64_e32 v[29:30], v[2:3], v[110:111]
	v_mul_f64_e32 v[106:107], v[4:5], v[110:111]
	s_wait_loadcnt_dscnt 0x200
	v_mul_f64_e32 v[22:23], v[10:11], v[126:127]
	v_mul_f64_e32 v[24:25], v[12:13], v[126:127]
	v_add_f64_e32 v[18:19], v[18:19], v[27:28]
	v_add_f64_e32 v[20:21], v[20:21], v[31:32]
	v_fma_f64 v[27:28], v[4:5], v[108:109], v[29:30]
	v_fma_f64 v[29:30], v[2:3], v[108:109], -v[106:107]
	v_fma_f64 v[12:13], v[12:13], v[124:125], v[22:23]
	v_fma_f64 v[10:11], v[10:11], v[124:125], -v[24:25]
	v_add_f64_e32 v[18:19], v[18:19], v[14:15]
	v_add_f64_e32 v[20:21], v[20:21], v[16:17]
	ds_load_b128 v[2:5], v1 offset:1088
	ds_load_b128 v[14:17], v1 offset:1104
	s_wait_loadcnt_dscnt 0x101
	v_mul_f64_e32 v[31:32], v[2:3], v[114:115]
	v_mul_f64_e32 v[104:105], v[4:5], v[114:115]
	s_wait_loadcnt_dscnt 0x0
	v_mul_f64_e32 v[22:23], v[14:15], v[8:9]
	v_mul_f64_e32 v[8:9], v[16:17], v[8:9]
	v_add_f64_e32 v[18:19], v[18:19], v[29:30]
	v_add_f64_e32 v[20:21], v[20:21], v[27:28]
	v_fma_f64 v[4:5], v[4:5], v[112:113], v[31:32]
	v_fma_f64 v[1:2], v[2:3], v[112:113], -v[104:105]
	v_fma_f64 v[16:17], v[16:17], v[6:7], v[22:23]
	v_fma_f64 v[6:7], v[14:15], v[6:7], -v[8:9]
	v_add_f64_e32 v[10:11], v[18:19], v[10:11]
	v_add_f64_e32 v[12:13], v[20:21], v[12:13]
	s_delay_alu instid0(VALU_DEP_2) | instskip(NEXT) | instid1(VALU_DEP_2)
	v_add_f64_e32 v[1:2], v[10:11], v[1:2]
	v_add_f64_e32 v[3:4], v[12:13], v[4:5]
	s_delay_alu instid0(VALU_DEP_2) | instskip(NEXT) | instid1(VALU_DEP_2)
	v_add_f64_e32 v[1:2], v[1:2], v[6:7]
	v_add_f64_e32 v[3:4], v[3:4], v[16:17]
	s_delay_alu instid0(VALU_DEP_2) | instskip(NEXT) | instid1(VALU_DEP_2)
	v_add_f64_e64 v[1:2], v[120:121], -v[1:2]
	v_add_f64_e64 v[3:4], v[122:123], -v[3:4]
	scratch_store_b128 off, v[1:4], off offset:368
	v_cmpx_lt_u32_e32 21, v0
	s_cbranch_execz .LBB34_181
; %bb.180:
	scratch_load_b128 v[1:4], off, s10
	v_mov_b32_e32 v5, 0
	s_delay_alu instid0(VALU_DEP_1)
	v_dual_mov_b32 v6, v5 :: v_dual_mov_b32 v7, v5
	v_mov_b32_e32 v8, v5
	scratch_store_b128 off, v[5:8], off offset:352
	s_wait_loadcnt 0x0
	ds_store_b128 v26, v[1:4]
.LBB34_181:
	s_wait_alu 0xfffe
	s_or_b32 exec_lo, exec_lo, s0
	s_wait_storecnt_dscnt 0x0
	s_barrier_signal -1
	s_barrier_wait -1
	global_inv scope:SCOPE_SE
	s_clause 0x7
	scratch_load_b128 v[2:5], off, off offset:368
	scratch_load_b128 v[6:9], off, off offset:384
	;; [unrolled: 1-line block ×8, first 2 shown]
	v_mov_b32_e32 v1, 0
	s_mov_b32 s0, exec_lo
	ds_load_b128 v[108:111], v1 offset:912
	s_clause 0x1
	scratch_load_b128 v[112:115], off, off offset:496
	scratch_load_b128 v[116:119], off, off offset:352
	ds_load_b128 v[120:123], v1 offset:928
	scratch_load_b128 v[124:127], off, off offset:512
	ds_load_b128 v[128:131], v1 offset:960
	s_wait_loadcnt_dscnt 0xa02
	v_mul_f64_e32 v[31:32], v[110:111], v[4:5]
	v_mul_f64_e32 v[4:5], v[108:109], v[4:5]
	s_delay_alu instid0(VALU_DEP_2) | instskip(NEXT) | instid1(VALU_DEP_2)
	v_fma_f64 v[31:32], v[108:109], v[2:3], -v[31:32]
	v_fma_f64 v[134:135], v[110:111], v[2:3], v[4:5]
	ds_load_b128 v[2:5], v1 offset:944
	s_wait_loadcnt_dscnt 0x902
	v_mul_f64_e32 v[132:133], v[120:121], v[8:9]
	v_mul_f64_e32 v[8:9], v[122:123], v[8:9]
	scratch_load_b128 v[108:111], off, off offset:528
	s_wait_loadcnt_dscnt 0x900
	v_mul_f64_e32 v[136:137], v[2:3], v[12:13]
	v_mul_f64_e32 v[12:13], v[4:5], v[12:13]
	v_add_f64_e32 v[31:32], 0, v[31:32]
	v_fma_f64 v[122:123], v[122:123], v[6:7], v[132:133]
	v_fma_f64 v[120:121], v[120:121], v[6:7], -v[8:9]
	v_add_f64_e32 v[132:133], 0, v[134:135]
	scratch_load_b128 v[6:9], off, off offset:544
	v_fma_f64 v[136:137], v[4:5], v[10:11], v[136:137]
	v_fma_f64 v[138:139], v[2:3], v[10:11], -v[12:13]
	ds_load_b128 v[2:5], v1 offset:976
	s_wait_loadcnt 0x9
	v_mul_f64_e32 v[134:135], v[128:129], v[16:17]
	v_mul_f64_e32 v[16:17], v[130:131], v[16:17]
	scratch_load_b128 v[10:13], off, off offset:560
	v_add_f64_e32 v[31:32], v[31:32], v[120:121]
	v_add_f64_e32 v[132:133], v[132:133], v[122:123]
	s_wait_loadcnt_dscnt 0x900
	v_mul_f64_e32 v[140:141], v[2:3], v[20:21]
	v_mul_f64_e32 v[20:21], v[4:5], v[20:21]
	ds_load_b128 v[120:123], v1 offset:992
	v_fma_f64 v[130:131], v[130:131], v[14:15], v[134:135]
	v_fma_f64 v[14:15], v[128:129], v[14:15], -v[16:17]
	s_wait_loadcnt_dscnt 0x800
	v_mul_f64_e32 v[128:129], v[120:121], v[24:25]
	v_mul_f64_e32 v[24:25], v[122:123], v[24:25]
	v_add_f64_e32 v[16:17], v[31:32], v[138:139]
	v_add_f64_e32 v[31:32], v[132:133], v[136:137]
	v_fma_f64 v[132:133], v[4:5], v[18:19], v[140:141]
	v_fma_f64 v[18:19], v[2:3], v[18:19], -v[20:21]
	v_fma_f64 v[122:123], v[122:123], v[22:23], v[128:129]
	v_fma_f64 v[22:23], v[120:121], v[22:23], -v[24:25]
	v_add_f64_e32 v[20:21], v[16:17], v[14:15]
	v_add_f64_e32 v[31:32], v[31:32], v[130:131]
	ds_load_b128 v[2:5], v1 offset:1008
	ds_load_b128 v[14:17], v1 offset:1024
	s_wait_loadcnt_dscnt 0x701
	v_mul_f64_e32 v[130:131], v[2:3], v[29:30]
	v_mul_f64_e32 v[29:30], v[4:5], v[29:30]
	s_wait_loadcnt_dscnt 0x600
	v_mul_f64_e32 v[24:25], v[14:15], v[106:107]
	v_add_f64_e32 v[18:19], v[20:21], v[18:19]
	v_add_f64_e32 v[20:21], v[31:32], v[132:133]
	v_mul_f64_e32 v[31:32], v[16:17], v[106:107]
	v_fma_f64 v[106:107], v[4:5], v[27:28], v[130:131]
	v_fma_f64 v[27:28], v[2:3], v[27:28], -v[29:30]
	v_fma_f64 v[16:17], v[16:17], v[104:105], v[24:25]
	v_add_f64_e32 v[22:23], v[18:19], v[22:23]
	v_add_f64_e32 v[29:30], v[20:21], v[122:123]
	ds_load_b128 v[2:5], v1 offset:1040
	ds_load_b128 v[18:21], v1 offset:1056
	v_fma_f64 v[14:15], v[14:15], v[104:105], -v[31:32]
	s_wait_loadcnt_dscnt 0x501
	v_mul_f64_e32 v[120:121], v[2:3], v[114:115]
	v_mul_f64_e32 v[114:115], v[4:5], v[114:115]
	v_add_f64_e32 v[22:23], v[22:23], v[27:28]
	v_add_f64_e32 v[24:25], v[29:30], v[106:107]
	s_wait_loadcnt_dscnt 0x300
	v_mul_f64_e32 v[27:28], v[18:19], v[126:127]
	v_mul_f64_e32 v[29:30], v[20:21], v[126:127]
	v_fma_f64 v[31:32], v[4:5], v[112:113], v[120:121]
	v_fma_f64 v[104:105], v[2:3], v[112:113], -v[114:115]
	v_add_f64_e32 v[22:23], v[22:23], v[14:15]
	v_add_f64_e32 v[24:25], v[24:25], v[16:17]
	ds_load_b128 v[2:5], v1 offset:1072
	ds_load_b128 v[14:17], v1 offset:1088
	v_fma_f64 v[20:21], v[20:21], v[124:125], v[27:28]
	v_fma_f64 v[18:19], v[18:19], v[124:125], -v[29:30]
	s_wait_loadcnt_dscnt 0x201
	v_mul_f64_e32 v[106:107], v[2:3], v[110:111]
	v_mul_f64_e32 v[110:111], v[4:5], v[110:111]
	v_add_f64_e32 v[22:23], v[22:23], v[104:105]
	v_add_f64_e32 v[24:25], v[24:25], v[31:32]
	s_wait_loadcnt_dscnt 0x100
	v_mul_f64_e32 v[27:28], v[14:15], v[8:9]
	v_mul_f64_e32 v[8:9], v[16:17], v[8:9]
	v_fma_f64 v[29:30], v[4:5], v[108:109], v[106:107]
	v_fma_f64 v[31:32], v[2:3], v[108:109], -v[110:111]
	ds_load_b128 v[2:5], v1 offset:1104
	v_add_f64_e32 v[18:19], v[22:23], v[18:19]
	v_add_f64_e32 v[20:21], v[24:25], v[20:21]
	s_wait_loadcnt_dscnt 0x0
	v_mul_f64_e32 v[22:23], v[2:3], v[12:13]
	v_mul_f64_e32 v[12:13], v[4:5], v[12:13]
	v_fma_f64 v[16:17], v[16:17], v[6:7], v[27:28]
	v_fma_f64 v[6:7], v[14:15], v[6:7], -v[8:9]
	v_add_f64_e32 v[8:9], v[18:19], v[31:32]
	v_add_f64_e32 v[14:15], v[20:21], v[29:30]
	v_fma_f64 v[4:5], v[4:5], v[10:11], v[22:23]
	v_fma_f64 v[2:3], v[2:3], v[10:11], -v[12:13]
	s_delay_alu instid0(VALU_DEP_4) | instskip(NEXT) | instid1(VALU_DEP_4)
	v_add_f64_e32 v[6:7], v[8:9], v[6:7]
	v_add_f64_e32 v[8:9], v[14:15], v[16:17]
	s_delay_alu instid0(VALU_DEP_2) | instskip(NEXT) | instid1(VALU_DEP_2)
	v_add_f64_e32 v[2:3], v[6:7], v[2:3]
	v_add_f64_e32 v[4:5], v[8:9], v[4:5]
	s_delay_alu instid0(VALU_DEP_2) | instskip(NEXT) | instid1(VALU_DEP_2)
	v_add_f64_e64 v[2:3], v[116:117], -v[2:3]
	v_add_f64_e64 v[4:5], v[118:119], -v[4:5]
	scratch_store_b128 off, v[2:5], off offset:352
	v_cmpx_lt_u32_e32 20, v0
	s_cbranch_execz .LBB34_183
; %bb.182:
	scratch_load_b128 v[5:8], off, s14
	v_dual_mov_b32 v2, v1 :: v_dual_mov_b32 v3, v1
	v_mov_b32_e32 v4, v1
	scratch_store_b128 off, v[1:4], off offset:336
	s_wait_loadcnt 0x0
	ds_store_b128 v26, v[5:8]
.LBB34_183:
	s_wait_alu 0xfffe
	s_or_b32 exec_lo, exec_lo, s0
	s_wait_storecnt_dscnt 0x0
	s_barrier_signal -1
	s_barrier_wait -1
	global_inv scope:SCOPE_SE
	s_clause 0x8
	scratch_load_b128 v[2:5], off, off offset:352
	scratch_load_b128 v[6:9], off, off offset:368
	;; [unrolled: 1-line block ×9, first 2 shown]
	ds_load_b128 v[112:115], v1 offset:896
	ds_load_b128 v[116:119], v1 offset:912
	s_clause 0x1
	scratch_load_b128 v[120:123], off, off offset:336
	scratch_load_b128 v[124:127], off, off offset:496
	s_mov_b32 s0, exec_lo
	ds_load_b128 v[128:131], v1 offset:944
	s_wait_loadcnt_dscnt 0xa02
	v_mul_f64_e32 v[31:32], v[114:115], v[4:5]
	v_mul_f64_e32 v[4:5], v[112:113], v[4:5]
	s_wait_loadcnt_dscnt 0x901
	v_mul_f64_e32 v[132:133], v[116:117], v[8:9]
	v_mul_f64_e32 v[8:9], v[118:119], v[8:9]
	s_delay_alu instid0(VALU_DEP_4) | instskip(NEXT) | instid1(VALU_DEP_4)
	v_fma_f64 v[31:32], v[112:113], v[2:3], -v[31:32]
	v_fma_f64 v[134:135], v[114:115], v[2:3], v[4:5]
	ds_load_b128 v[2:5], v1 offset:928
	scratch_load_b128 v[112:115], off, off offset:512
	v_fma_f64 v[118:119], v[118:119], v[6:7], v[132:133]
	v_fma_f64 v[116:117], v[116:117], v[6:7], -v[8:9]
	scratch_load_b128 v[6:9], off, off offset:528
	s_wait_loadcnt_dscnt 0xa00
	v_mul_f64_e32 v[136:137], v[2:3], v[12:13]
	v_mul_f64_e32 v[12:13], v[4:5], v[12:13]
	v_add_f64_e32 v[31:32], 0, v[31:32]
	v_add_f64_e32 v[132:133], 0, v[134:135]
	s_wait_loadcnt 0x9
	v_mul_f64_e32 v[134:135], v[128:129], v[16:17]
	v_mul_f64_e32 v[16:17], v[130:131], v[16:17]
	v_fma_f64 v[136:137], v[4:5], v[10:11], v[136:137]
	v_fma_f64 v[138:139], v[2:3], v[10:11], -v[12:13]
	ds_load_b128 v[2:5], v1 offset:960
	scratch_load_b128 v[10:13], off, off offset:544
	v_add_f64_e32 v[31:32], v[31:32], v[116:117]
	v_add_f64_e32 v[132:133], v[132:133], v[118:119]
	ds_load_b128 v[116:119], v1 offset:976
	v_fma_f64 v[130:131], v[130:131], v[14:15], v[134:135]
	v_fma_f64 v[128:129], v[128:129], v[14:15], -v[16:17]
	scratch_load_b128 v[14:17], off, off offset:560
	s_wait_loadcnt_dscnt 0xa01
	v_mul_f64_e32 v[140:141], v[2:3], v[20:21]
	v_mul_f64_e32 v[20:21], v[4:5], v[20:21]
	s_wait_loadcnt_dscnt 0x900
	v_mul_f64_e32 v[134:135], v[116:117], v[24:25]
	v_mul_f64_e32 v[24:25], v[118:119], v[24:25]
	v_add_f64_e32 v[31:32], v[31:32], v[138:139]
	v_add_f64_e32 v[132:133], v[132:133], v[136:137]
	v_fma_f64 v[136:137], v[4:5], v[18:19], v[140:141]
	v_fma_f64 v[138:139], v[2:3], v[18:19], -v[20:21]
	ds_load_b128 v[2:5], v1 offset:992
	ds_load_b128 v[18:21], v1 offset:1008
	v_fma_f64 v[118:119], v[118:119], v[22:23], v[134:135]
	v_fma_f64 v[22:23], v[116:117], v[22:23], -v[24:25]
	s_wait_loadcnt_dscnt 0x700
	v_mul_f64_e32 v[116:117], v[18:19], v[106:107]
	v_mul_f64_e32 v[106:107], v[20:21], v[106:107]
	v_add_f64_e32 v[31:32], v[31:32], v[128:129]
	v_add_f64_e32 v[128:129], v[132:133], v[130:131]
	v_mul_f64_e32 v[130:131], v[2:3], v[29:30]
	v_mul_f64_e32 v[29:30], v[4:5], v[29:30]
	v_fma_f64 v[20:21], v[20:21], v[104:105], v[116:117]
	v_fma_f64 v[18:19], v[18:19], v[104:105], -v[106:107]
	v_add_f64_e32 v[24:25], v[31:32], v[138:139]
	v_add_f64_e32 v[31:32], v[128:129], v[136:137]
	v_fma_f64 v[128:129], v[4:5], v[27:28], v[130:131]
	v_fma_f64 v[27:28], v[2:3], v[27:28], -v[29:30]
	s_delay_alu instid0(VALU_DEP_4) | instskip(NEXT) | instid1(VALU_DEP_4)
	v_add_f64_e32 v[29:30], v[24:25], v[22:23]
	v_add_f64_e32 v[31:32], v[31:32], v[118:119]
	ds_load_b128 v[2:5], v1 offset:1024
	ds_load_b128 v[22:25], v1 offset:1040
	s_wait_loadcnt_dscnt 0x601
	v_mul_f64_e32 v[118:119], v[2:3], v[110:111]
	v_mul_f64_e32 v[110:111], v[4:5], v[110:111]
	s_wait_loadcnt_dscnt 0x400
	v_mul_f64_e32 v[104:105], v[24:25], v[126:127]
	v_add_f64_e32 v[27:28], v[29:30], v[27:28]
	v_add_f64_e32 v[29:30], v[31:32], v[128:129]
	v_mul_f64_e32 v[31:32], v[22:23], v[126:127]
	v_fma_f64 v[106:107], v[4:5], v[108:109], v[118:119]
	v_fma_f64 v[108:109], v[2:3], v[108:109], -v[110:111]
	v_fma_f64 v[22:23], v[22:23], v[124:125], -v[104:105]
	v_add_f64_e32 v[27:28], v[27:28], v[18:19]
	v_add_f64_e32 v[29:30], v[29:30], v[20:21]
	ds_load_b128 v[2:5], v1 offset:1056
	ds_load_b128 v[18:21], v1 offset:1072
	v_fma_f64 v[24:25], v[24:25], v[124:125], v[31:32]
	s_wait_loadcnt_dscnt 0x301
	v_mul_f64_e32 v[110:111], v[2:3], v[114:115]
	v_mul_f64_e32 v[114:115], v[4:5], v[114:115]
	s_wait_loadcnt_dscnt 0x200
	v_mul_f64_e32 v[31:32], v[18:19], v[8:9]
	v_mul_f64_e32 v[8:9], v[20:21], v[8:9]
	v_add_f64_e32 v[27:28], v[27:28], v[108:109]
	v_add_f64_e32 v[29:30], v[29:30], v[106:107]
	v_fma_f64 v[104:105], v[4:5], v[112:113], v[110:111]
	v_fma_f64 v[106:107], v[2:3], v[112:113], -v[114:115]
	v_fma_f64 v[20:21], v[20:21], v[6:7], v[31:32]
	v_fma_f64 v[6:7], v[18:19], v[6:7], -v[8:9]
	v_add_f64_e32 v[27:28], v[27:28], v[22:23]
	v_add_f64_e32 v[29:30], v[29:30], v[24:25]
	ds_load_b128 v[2:5], v1 offset:1088
	ds_load_b128 v[22:25], v1 offset:1104
	s_wait_loadcnt_dscnt 0x101
	v_mul_f64_e32 v[108:109], v[2:3], v[12:13]
	v_mul_f64_e32 v[12:13], v[4:5], v[12:13]
	v_add_f64_e32 v[8:9], v[27:28], v[106:107]
	v_add_f64_e32 v[18:19], v[29:30], v[104:105]
	s_wait_loadcnt_dscnt 0x0
	v_mul_f64_e32 v[27:28], v[22:23], v[16:17]
	v_mul_f64_e32 v[16:17], v[24:25], v[16:17]
	v_fma_f64 v[4:5], v[4:5], v[10:11], v[108:109]
	v_fma_f64 v[1:2], v[2:3], v[10:11], -v[12:13]
	v_add_f64_e32 v[6:7], v[8:9], v[6:7]
	v_add_f64_e32 v[8:9], v[18:19], v[20:21]
	v_fma_f64 v[10:11], v[24:25], v[14:15], v[27:28]
	v_fma_f64 v[12:13], v[22:23], v[14:15], -v[16:17]
	s_delay_alu instid0(VALU_DEP_4) | instskip(NEXT) | instid1(VALU_DEP_4)
	v_add_f64_e32 v[1:2], v[6:7], v[1:2]
	v_add_f64_e32 v[3:4], v[8:9], v[4:5]
	s_delay_alu instid0(VALU_DEP_2) | instskip(NEXT) | instid1(VALU_DEP_2)
	v_add_f64_e32 v[1:2], v[1:2], v[12:13]
	v_add_f64_e32 v[3:4], v[3:4], v[10:11]
	s_delay_alu instid0(VALU_DEP_2) | instskip(NEXT) | instid1(VALU_DEP_2)
	v_add_f64_e64 v[1:2], v[120:121], -v[1:2]
	v_add_f64_e64 v[3:4], v[122:123], -v[3:4]
	scratch_store_b128 off, v[1:4], off offset:336
	v_cmpx_lt_u32_e32 19, v0
	s_cbranch_execz .LBB34_185
; %bb.184:
	scratch_load_b128 v[1:4], off, s20
	v_mov_b32_e32 v5, 0
	s_delay_alu instid0(VALU_DEP_1)
	v_dual_mov_b32 v6, v5 :: v_dual_mov_b32 v7, v5
	v_mov_b32_e32 v8, v5
	scratch_store_b128 off, v[5:8], off offset:320
	s_wait_loadcnt 0x0
	ds_store_b128 v26, v[1:4]
.LBB34_185:
	s_wait_alu 0xfffe
	s_or_b32 exec_lo, exec_lo, s0
	s_wait_storecnt_dscnt 0x0
	s_barrier_signal -1
	s_barrier_wait -1
	global_inv scope:SCOPE_SE
	s_clause 0x7
	scratch_load_b128 v[2:5], off, off offset:336
	scratch_load_b128 v[6:9], off, off offset:352
	;; [unrolled: 1-line block ×8, first 2 shown]
	v_mov_b32_e32 v1, 0
	s_mov_b32 s0, exec_lo
	ds_load_b128 v[108:111], v1 offset:880
	s_clause 0x1
	scratch_load_b128 v[112:115], off, off offset:464
	scratch_load_b128 v[116:119], off, off offset:320
	ds_load_b128 v[120:123], v1 offset:896
	scratch_load_b128 v[124:127], off, off offset:480
	ds_load_b128 v[128:131], v1 offset:928
	s_wait_loadcnt_dscnt 0xa02
	v_mul_f64_e32 v[31:32], v[110:111], v[4:5]
	v_mul_f64_e32 v[4:5], v[108:109], v[4:5]
	s_delay_alu instid0(VALU_DEP_2) | instskip(NEXT) | instid1(VALU_DEP_2)
	v_fma_f64 v[31:32], v[108:109], v[2:3], -v[31:32]
	v_fma_f64 v[134:135], v[110:111], v[2:3], v[4:5]
	ds_load_b128 v[2:5], v1 offset:912
	s_wait_loadcnt_dscnt 0x902
	v_mul_f64_e32 v[132:133], v[120:121], v[8:9]
	v_mul_f64_e32 v[8:9], v[122:123], v[8:9]
	scratch_load_b128 v[108:111], off, off offset:496
	s_wait_loadcnt_dscnt 0x900
	v_mul_f64_e32 v[136:137], v[2:3], v[12:13]
	v_mul_f64_e32 v[12:13], v[4:5], v[12:13]
	v_add_f64_e32 v[31:32], 0, v[31:32]
	v_fma_f64 v[122:123], v[122:123], v[6:7], v[132:133]
	v_fma_f64 v[120:121], v[120:121], v[6:7], -v[8:9]
	v_add_f64_e32 v[132:133], 0, v[134:135]
	scratch_load_b128 v[6:9], off, off offset:512
	v_fma_f64 v[136:137], v[4:5], v[10:11], v[136:137]
	v_fma_f64 v[138:139], v[2:3], v[10:11], -v[12:13]
	ds_load_b128 v[2:5], v1 offset:944
	s_wait_loadcnt 0x9
	v_mul_f64_e32 v[134:135], v[128:129], v[16:17]
	v_mul_f64_e32 v[16:17], v[130:131], v[16:17]
	scratch_load_b128 v[10:13], off, off offset:528
	v_add_f64_e32 v[31:32], v[31:32], v[120:121]
	v_add_f64_e32 v[132:133], v[132:133], v[122:123]
	s_wait_loadcnt_dscnt 0x900
	v_mul_f64_e32 v[140:141], v[2:3], v[20:21]
	v_mul_f64_e32 v[20:21], v[4:5], v[20:21]
	ds_load_b128 v[120:123], v1 offset:960
	v_fma_f64 v[130:131], v[130:131], v[14:15], v[134:135]
	v_fma_f64 v[128:129], v[128:129], v[14:15], -v[16:17]
	scratch_load_b128 v[14:17], off, off offset:544
	v_add_f64_e32 v[31:32], v[31:32], v[138:139]
	v_add_f64_e32 v[132:133], v[132:133], v[136:137]
	v_fma_f64 v[136:137], v[4:5], v[18:19], v[140:141]
	v_fma_f64 v[138:139], v[2:3], v[18:19], -v[20:21]
	ds_load_b128 v[2:5], v1 offset:976
	s_wait_loadcnt_dscnt 0x901
	v_mul_f64_e32 v[134:135], v[120:121], v[24:25]
	v_mul_f64_e32 v[24:25], v[122:123], v[24:25]
	scratch_load_b128 v[18:21], off, off offset:560
	s_wait_loadcnt_dscnt 0x900
	v_mul_f64_e32 v[140:141], v[2:3], v[29:30]
	v_mul_f64_e32 v[29:30], v[4:5], v[29:30]
	v_add_f64_e32 v[31:32], v[31:32], v[128:129]
	v_add_f64_e32 v[132:133], v[132:133], v[130:131]
	ds_load_b128 v[128:131], v1 offset:992
	v_fma_f64 v[122:123], v[122:123], v[22:23], v[134:135]
	v_fma_f64 v[22:23], v[120:121], v[22:23], -v[24:25]
	s_wait_loadcnt_dscnt 0x800
	v_mul_f64_e32 v[120:121], v[128:129], v[106:107]
	v_mul_f64_e32 v[106:107], v[130:131], v[106:107]
	v_add_f64_e32 v[24:25], v[31:32], v[138:139]
	v_add_f64_e32 v[31:32], v[132:133], v[136:137]
	v_fma_f64 v[132:133], v[4:5], v[27:28], v[140:141]
	v_fma_f64 v[27:28], v[2:3], v[27:28], -v[29:30]
	v_fma_f64 v[120:121], v[130:131], v[104:105], v[120:121]
	v_fma_f64 v[104:105], v[128:129], v[104:105], -v[106:107]
	v_add_f64_e32 v[29:30], v[24:25], v[22:23]
	v_add_f64_e32 v[31:32], v[31:32], v[122:123]
	ds_load_b128 v[2:5], v1 offset:1008
	ds_load_b128 v[22:25], v1 offset:1024
	s_wait_loadcnt_dscnt 0x701
	v_mul_f64_e32 v[122:123], v[2:3], v[114:115]
	v_mul_f64_e32 v[114:115], v[4:5], v[114:115]
	s_wait_loadcnt_dscnt 0x500
	v_mul_f64_e32 v[106:107], v[24:25], v[126:127]
	v_add_f64_e32 v[27:28], v[29:30], v[27:28]
	v_add_f64_e32 v[29:30], v[31:32], v[132:133]
	v_mul_f64_e32 v[31:32], v[22:23], v[126:127]
	v_fma_f64 v[122:123], v[4:5], v[112:113], v[122:123]
	v_fma_f64 v[112:113], v[2:3], v[112:113], -v[114:115]
	v_fma_f64 v[22:23], v[22:23], v[124:125], -v[106:107]
	v_add_f64_e32 v[104:105], v[27:28], v[104:105]
	v_add_f64_e32 v[114:115], v[29:30], v[120:121]
	ds_load_b128 v[2:5], v1 offset:1040
	ds_load_b128 v[27:30], v1 offset:1056
	v_fma_f64 v[24:25], v[24:25], v[124:125], v[31:32]
	s_wait_loadcnt_dscnt 0x401
	v_mul_f64_e32 v[120:121], v[2:3], v[110:111]
	v_mul_f64_e32 v[110:111], v[4:5], v[110:111]
	v_add_f64_e32 v[31:32], v[104:105], v[112:113]
	v_add_f64_e32 v[104:105], v[114:115], v[122:123]
	s_wait_loadcnt_dscnt 0x300
	v_mul_f64_e32 v[106:107], v[27:28], v[8:9]
	v_mul_f64_e32 v[8:9], v[29:30], v[8:9]
	v_fma_f64 v[112:113], v[4:5], v[108:109], v[120:121]
	v_fma_f64 v[108:109], v[2:3], v[108:109], -v[110:111]
	v_add_f64_e32 v[31:32], v[31:32], v[22:23]
	v_add_f64_e32 v[104:105], v[104:105], v[24:25]
	ds_load_b128 v[2:5], v1 offset:1072
	ds_load_b128 v[22:25], v1 offset:1088
	v_fma_f64 v[29:30], v[29:30], v[6:7], v[106:107]
	v_fma_f64 v[6:7], v[27:28], v[6:7], -v[8:9]
	s_wait_loadcnt_dscnt 0x201
	v_mul_f64_e32 v[110:111], v[2:3], v[12:13]
	v_mul_f64_e32 v[12:13], v[4:5], v[12:13]
	v_add_f64_e32 v[8:9], v[31:32], v[108:109]
	v_add_f64_e32 v[27:28], v[104:105], v[112:113]
	s_wait_loadcnt_dscnt 0x100
	v_mul_f64_e32 v[31:32], v[22:23], v[16:17]
	v_mul_f64_e32 v[16:17], v[24:25], v[16:17]
	v_fma_f64 v[104:105], v[4:5], v[10:11], v[110:111]
	v_fma_f64 v[10:11], v[2:3], v[10:11], -v[12:13]
	ds_load_b128 v[2:5], v1 offset:1104
	v_add_f64_e32 v[6:7], v[8:9], v[6:7]
	v_add_f64_e32 v[8:9], v[27:28], v[29:30]
	v_fma_f64 v[24:25], v[24:25], v[14:15], v[31:32]
	v_fma_f64 v[14:15], v[22:23], v[14:15], -v[16:17]
	s_wait_loadcnt_dscnt 0x0
	v_mul_f64_e32 v[12:13], v[2:3], v[20:21]
	v_mul_f64_e32 v[20:21], v[4:5], v[20:21]
	v_add_f64_e32 v[6:7], v[6:7], v[10:11]
	v_add_f64_e32 v[8:9], v[8:9], v[104:105]
	s_delay_alu instid0(VALU_DEP_4) | instskip(NEXT) | instid1(VALU_DEP_4)
	v_fma_f64 v[4:5], v[4:5], v[18:19], v[12:13]
	v_fma_f64 v[2:3], v[2:3], v[18:19], -v[20:21]
	s_delay_alu instid0(VALU_DEP_4) | instskip(NEXT) | instid1(VALU_DEP_4)
	v_add_f64_e32 v[6:7], v[6:7], v[14:15]
	v_add_f64_e32 v[8:9], v[8:9], v[24:25]
	s_delay_alu instid0(VALU_DEP_2) | instskip(NEXT) | instid1(VALU_DEP_2)
	v_add_f64_e32 v[2:3], v[6:7], v[2:3]
	v_add_f64_e32 v[4:5], v[8:9], v[4:5]
	s_delay_alu instid0(VALU_DEP_2) | instskip(NEXT) | instid1(VALU_DEP_2)
	v_add_f64_e64 v[2:3], v[116:117], -v[2:3]
	v_add_f64_e64 v[4:5], v[118:119], -v[4:5]
	scratch_store_b128 off, v[2:5], off offset:320
	v_cmpx_lt_u32_e32 18, v0
	s_cbranch_execz .LBB34_187
; %bb.186:
	scratch_load_b128 v[5:8], off, s28
	v_dual_mov_b32 v2, v1 :: v_dual_mov_b32 v3, v1
	v_mov_b32_e32 v4, v1
	scratch_store_b128 off, v[1:4], off offset:304
	s_wait_loadcnt 0x0
	ds_store_b128 v26, v[5:8]
.LBB34_187:
	s_wait_alu 0xfffe
	s_or_b32 exec_lo, exec_lo, s0
	s_wait_storecnt_dscnt 0x0
	s_barrier_signal -1
	s_barrier_wait -1
	global_inv scope:SCOPE_SE
	s_clause 0x8
	scratch_load_b128 v[2:5], off, off offset:320
	scratch_load_b128 v[6:9], off, off offset:336
	;; [unrolled: 1-line block ×9, first 2 shown]
	ds_load_b128 v[112:115], v1 offset:864
	ds_load_b128 v[116:119], v1 offset:880
	s_clause 0x1
	scratch_load_b128 v[120:123], off, off offset:304
	scratch_load_b128 v[124:127], off, off offset:464
	s_mov_b32 s0, exec_lo
	ds_load_b128 v[128:131], v1 offset:912
	s_wait_loadcnt_dscnt 0xa02
	v_mul_f64_e32 v[31:32], v[114:115], v[4:5]
	v_mul_f64_e32 v[4:5], v[112:113], v[4:5]
	s_wait_loadcnt_dscnt 0x901
	v_mul_f64_e32 v[132:133], v[116:117], v[8:9]
	v_mul_f64_e32 v[8:9], v[118:119], v[8:9]
	s_delay_alu instid0(VALU_DEP_4) | instskip(NEXT) | instid1(VALU_DEP_4)
	v_fma_f64 v[31:32], v[112:113], v[2:3], -v[31:32]
	v_fma_f64 v[134:135], v[114:115], v[2:3], v[4:5]
	ds_load_b128 v[2:5], v1 offset:896
	scratch_load_b128 v[112:115], off, off offset:480
	v_fma_f64 v[118:119], v[118:119], v[6:7], v[132:133]
	v_fma_f64 v[116:117], v[116:117], v[6:7], -v[8:9]
	scratch_load_b128 v[6:9], off, off offset:496
	s_wait_loadcnt_dscnt 0xa00
	v_mul_f64_e32 v[136:137], v[2:3], v[12:13]
	v_mul_f64_e32 v[12:13], v[4:5], v[12:13]
	v_add_f64_e32 v[31:32], 0, v[31:32]
	v_add_f64_e32 v[132:133], 0, v[134:135]
	s_wait_loadcnt 0x9
	v_mul_f64_e32 v[134:135], v[128:129], v[16:17]
	v_mul_f64_e32 v[16:17], v[130:131], v[16:17]
	v_fma_f64 v[136:137], v[4:5], v[10:11], v[136:137]
	v_fma_f64 v[138:139], v[2:3], v[10:11], -v[12:13]
	ds_load_b128 v[2:5], v1 offset:928
	scratch_load_b128 v[10:13], off, off offset:512
	v_add_f64_e32 v[31:32], v[31:32], v[116:117]
	v_add_f64_e32 v[132:133], v[132:133], v[118:119]
	ds_load_b128 v[116:119], v1 offset:944
	v_fma_f64 v[130:131], v[130:131], v[14:15], v[134:135]
	v_fma_f64 v[128:129], v[128:129], v[14:15], -v[16:17]
	scratch_load_b128 v[14:17], off, off offset:528
	s_wait_loadcnt_dscnt 0xa01
	v_mul_f64_e32 v[140:141], v[2:3], v[20:21]
	v_mul_f64_e32 v[20:21], v[4:5], v[20:21]
	s_wait_loadcnt_dscnt 0x900
	v_mul_f64_e32 v[134:135], v[116:117], v[24:25]
	v_mul_f64_e32 v[24:25], v[118:119], v[24:25]
	v_add_f64_e32 v[31:32], v[31:32], v[138:139]
	v_add_f64_e32 v[132:133], v[132:133], v[136:137]
	v_fma_f64 v[136:137], v[4:5], v[18:19], v[140:141]
	v_fma_f64 v[138:139], v[2:3], v[18:19], -v[20:21]
	ds_load_b128 v[2:5], v1 offset:960
	scratch_load_b128 v[18:21], off, off offset:544
	v_fma_f64 v[118:119], v[118:119], v[22:23], v[134:135]
	v_fma_f64 v[116:117], v[116:117], v[22:23], -v[24:25]
	scratch_load_b128 v[22:25], off, off offset:560
	v_add_f64_e32 v[31:32], v[31:32], v[128:129]
	v_add_f64_e32 v[132:133], v[132:133], v[130:131]
	ds_load_b128 v[128:131], v1 offset:976
	s_wait_loadcnt_dscnt 0xa01
	v_mul_f64_e32 v[140:141], v[2:3], v[29:30]
	v_mul_f64_e32 v[29:30], v[4:5], v[29:30]
	s_wait_loadcnt_dscnt 0x900
	v_mul_f64_e32 v[134:135], v[128:129], v[106:107]
	v_mul_f64_e32 v[106:107], v[130:131], v[106:107]
	v_add_f64_e32 v[31:32], v[31:32], v[138:139]
	v_add_f64_e32 v[132:133], v[132:133], v[136:137]
	v_fma_f64 v[136:137], v[4:5], v[27:28], v[140:141]
	v_fma_f64 v[138:139], v[2:3], v[27:28], -v[29:30]
	ds_load_b128 v[2:5], v1 offset:992
	ds_load_b128 v[27:30], v1 offset:1008
	v_fma_f64 v[130:131], v[130:131], v[104:105], v[134:135]
	v_fma_f64 v[104:105], v[128:129], v[104:105], -v[106:107]
	v_add_f64_e32 v[31:32], v[31:32], v[116:117]
	v_add_f64_e32 v[116:117], v[132:133], v[118:119]
	s_wait_loadcnt_dscnt 0x801
	v_mul_f64_e32 v[118:119], v[2:3], v[110:111]
	v_mul_f64_e32 v[110:111], v[4:5], v[110:111]
	s_delay_alu instid0(VALU_DEP_4) | instskip(NEXT) | instid1(VALU_DEP_4)
	v_add_f64_e32 v[31:32], v[31:32], v[138:139]
	v_add_f64_e32 v[106:107], v[116:117], v[136:137]
	s_wait_loadcnt_dscnt 0x600
	v_mul_f64_e32 v[116:117], v[27:28], v[126:127]
	v_mul_f64_e32 v[126:127], v[29:30], v[126:127]
	v_fma_f64 v[118:119], v[4:5], v[108:109], v[118:119]
	v_fma_f64 v[108:109], v[2:3], v[108:109], -v[110:111]
	v_add_f64_e32 v[31:32], v[31:32], v[104:105]
	v_add_f64_e32 v[110:111], v[106:107], v[130:131]
	ds_load_b128 v[2:5], v1 offset:1024
	ds_load_b128 v[104:107], v1 offset:1040
	v_fma_f64 v[29:30], v[29:30], v[124:125], v[116:117]
	v_fma_f64 v[27:28], v[27:28], v[124:125], -v[126:127]
	s_wait_loadcnt_dscnt 0x501
	v_mul_f64_e32 v[128:129], v[2:3], v[114:115]
	v_mul_f64_e32 v[114:115], v[4:5], v[114:115]
	v_add_f64_e32 v[31:32], v[31:32], v[108:109]
	v_add_f64_e32 v[108:109], v[110:111], v[118:119]
	s_wait_loadcnt_dscnt 0x400
	v_mul_f64_e32 v[110:111], v[104:105], v[8:9]
	v_mul_f64_e32 v[8:9], v[106:107], v[8:9]
	v_fma_f64 v[116:117], v[4:5], v[112:113], v[128:129]
	v_fma_f64 v[112:113], v[2:3], v[112:113], -v[114:115]
	v_add_f64_e32 v[31:32], v[31:32], v[27:28]
	v_add_f64_e32 v[108:109], v[108:109], v[29:30]
	ds_load_b128 v[2:5], v1 offset:1056
	ds_load_b128 v[27:30], v1 offset:1072
	v_fma_f64 v[106:107], v[106:107], v[6:7], v[110:111]
	v_fma_f64 v[6:7], v[104:105], v[6:7], -v[8:9]
	s_wait_loadcnt_dscnt 0x301
	v_mul_f64_e32 v[114:115], v[2:3], v[12:13]
	v_mul_f64_e32 v[12:13], v[4:5], v[12:13]
	s_wait_loadcnt_dscnt 0x200
	v_mul_f64_e32 v[104:105], v[27:28], v[16:17]
	v_mul_f64_e32 v[16:17], v[29:30], v[16:17]
	v_add_f64_e32 v[8:9], v[31:32], v[112:113]
	v_add_f64_e32 v[31:32], v[108:109], v[116:117]
	v_fma_f64 v[108:109], v[4:5], v[10:11], v[114:115]
	v_fma_f64 v[10:11], v[2:3], v[10:11], -v[12:13]
	v_fma_f64 v[29:30], v[29:30], v[14:15], v[104:105]
	v_fma_f64 v[14:15], v[27:28], v[14:15], -v[16:17]
	v_add_f64_e32 v[12:13], v[8:9], v[6:7]
	v_add_f64_e32 v[31:32], v[31:32], v[106:107]
	ds_load_b128 v[2:5], v1 offset:1088
	ds_load_b128 v[6:9], v1 offset:1104
	s_wait_loadcnt_dscnt 0x101
	v_mul_f64_e32 v[106:107], v[2:3], v[20:21]
	v_mul_f64_e32 v[20:21], v[4:5], v[20:21]
	s_wait_loadcnt_dscnt 0x0
	v_mul_f64_e32 v[16:17], v[6:7], v[24:25]
	v_mul_f64_e32 v[24:25], v[8:9], v[24:25]
	v_add_f64_e32 v[10:11], v[12:13], v[10:11]
	v_add_f64_e32 v[12:13], v[31:32], v[108:109]
	v_fma_f64 v[4:5], v[4:5], v[18:19], v[106:107]
	v_fma_f64 v[1:2], v[2:3], v[18:19], -v[20:21]
	v_fma_f64 v[8:9], v[8:9], v[22:23], v[16:17]
	v_fma_f64 v[6:7], v[6:7], v[22:23], -v[24:25]
	v_add_f64_e32 v[10:11], v[10:11], v[14:15]
	v_add_f64_e32 v[12:13], v[12:13], v[29:30]
	s_delay_alu instid0(VALU_DEP_2) | instskip(NEXT) | instid1(VALU_DEP_2)
	v_add_f64_e32 v[1:2], v[10:11], v[1:2]
	v_add_f64_e32 v[3:4], v[12:13], v[4:5]
	s_delay_alu instid0(VALU_DEP_2) | instskip(NEXT) | instid1(VALU_DEP_2)
	;; [unrolled: 3-line block ×3, first 2 shown]
	v_add_f64_e64 v[1:2], v[120:121], -v[1:2]
	v_add_f64_e64 v[3:4], v[122:123], -v[3:4]
	scratch_store_b128 off, v[1:4], off offset:304
	v_cmpx_lt_u32_e32 17, v0
	s_cbranch_execz .LBB34_189
; %bb.188:
	scratch_load_b128 v[1:4], off, s30
	v_mov_b32_e32 v5, 0
	s_delay_alu instid0(VALU_DEP_1)
	v_dual_mov_b32 v6, v5 :: v_dual_mov_b32 v7, v5
	v_mov_b32_e32 v8, v5
	scratch_store_b128 off, v[5:8], off offset:288
	s_wait_loadcnt 0x0
	ds_store_b128 v26, v[1:4]
.LBB34_189:
	s_wait_alu 0xfffe
	s_or_b32 exec_lo, exec_lo, s0
	s_wait_storecnt_dscnt 0x0
	s_barrier_signal -1
	s_barrier_wait -1
	global_inv scope:SCOPE_SE
	s_clause 0x7
	scratch_load_b128 v[2:5], off, off offset:304
	scratch_load_b128 v[6:9], off, off offset:320
	;; [unrolled: 1-line block ×8, first 2 shown]
	v_mov_b32_e32 v1, 0
	s_mov_b32 s0, exec_lo
	ds_load_b128 v[108:111], v1 offset:848
	s_clause 0x1
	scratch_load_b128 v[112:115], off, off offset:432
	scratch_load_b128 v[116:119], off, off offset:288
	ds_load_b128 v[120:123], v1 offset:864
	scratch_load_b128 v[124:127], off, off offset:448
	ds_load_b128 v[128:131], v1 offset:896
	s_wait_loadcnt_dscnt 0xa02
	v_mul_f64_e32 v[31:32], v[110:111], v[4:5]
	v_mul_f64_e32 v[4:5], v[108:109], v[4:5]
	s_delay_alu instid0(VALU_DEP_2) | instskip(NEXT) | instid1(VALU_DEP_2)
	v_fma_f64 v[31:32], v[108:109], v[2:3], -v[31:32]
	v_fma_f64 v[134:135], v[110:111], v[2:3], v[4:5]
	ds_load_b128 v[2:5], v1 offset:880
	s_wait_loadcnt_dscnt 0x902
	v_mul_f64_e32 v[132:133], v[120:121], v[8:9]
	v_mul_f64_e32 v[8:9], v[122:123], v[8:9]
	scratch_load_b128 v[108:111], off, off offset:464
	s_wait_loadcnt_dscnt 0x900
	v_mul_f64_e32 v[136:137], v[2:3], v[12:13]
	v_mul_f64_e32 v[12:13], v[4:5], v[12:13]
	v_add_f64_e32 v[31:32], 0, v[31:32]
	v_fma_f64 v[122:123], v[122:123], v[6:7], v[132:133]
	v_fma_f64 v[120:121], v[120:121], v[6:7], -v[8:9]
	v_add_f64_e32 v[132:133], 0, v[134:135]
	scratch_load_b128 v[6:9], off, off offset:480
	v_fma_f64 v[136:137], v[4:5], v[10:11], v[136:137]
	v_fma_f64 v[138:139], v[2:3], v[10:11], -v[12:13]
	ds_load_b128 v[2:5], v1 offset:912
	s_wait_loadcnt 0x9
	v_mul_f64_e32 v[134:135], v[128:129], v[16:17]
	v_mul_f64_e32 v[16:17], v[130:131], v[16:17]
	scratch_load_b128 v[10:13], off, off offset:496
	v_add_f64_e32 v[31:32], v[31:32], v[120:121]
	v_add_f64_e32 v[132:133], v[132:133], v[122:123]
	s_wait_loadcnt_dscnt 0x900
	v_mul_f64_e32 v[140:141], v[2:3], v[20:21]
	v_mul_f64_e32 v[20:21], v[4:5], v[20:21]
	ds_load_b128 v[120:123], v1 offset:928
	v_fma_f64 v[130:131], v[130:131], v[14:15], v[134:135]
	v_fma_f64 v[128:129], v[128:129], v[14:15], -v[16:17]
	scratch_load_b128 v[14:17], off, off offset:512
	v_add_f64_e32 v[31:32], v[31:32], v[138:139]
	v_add_f64_e32 v[132:133], v[132:133], v[136:137]
	v_fma_f64 v[136:137], v[4:5], v[18:19], v[140:141]
	v_fma_f64 v[138:139], v[2:3], v[18:19], -v[20:21]
	ds_load_b128 v[2:5], v1 offset:944
	s_wait_loadcnt_dscnt 0x901
	v_mul_f64_e32 v[134:135], v[120:121], v[24:25]
	v_mul_f64_e32 v[24:25], v[122:123], v[24:25]
	scratch_load_b128 v[18:21], off, off offset:528
	s_wait_loadcnt_dscnt 0x900
	v_mul_f64_e32 v[140:141], v[2:3], v[29:30]
	v_mul_f64_e32 v[29:30], v[4:5], v[29:30]
	v_add_f64_e32 v[31:32], v[31:32], v[128:129]
	v_add_f64_e32 v[132:133], v[132:133], v[130:131]
	ds_load_b128 v[128:131], v1 offset:960
	v_fma_f64 v[122:123], v[122:123], v[22:23], v[134:135]
	v_fma_f64 v[120:121], v[120:121], v[22:23], -v[24:25]
	scratch_load_b128 v[22:25], off, off offset:544
	v_add_f64_e32 v[31:32], v[31:32], v[138:139]
	v_add_f64_e32 v[132:133], v[132:133], v[136:137]
	v_fma_f64 v[136:137], v[4:5], v[27:28], v[140:141]
	v_fma_f64 v[138:139], v[2:3], v[27:28], -v[29:30]
	ds_load_b128 v[2:5], v1 offset:976
	s_wait_loadcnt_dscnt 0x901
	v_mul_f64_e32 v[134:135], v[128:129], v[106:107]
	v_mul_f64_e32 v[106:107], v[130:131], v[106:107]
	scratch_load_b128 v[27:30], off, off offset:560
	s_wait_loadcnt_dscnt 0x900
	v_mul_f64_e32 v[140:141], v[2:3], v[114:115]
	v_mul_f64_e32 v[114:115], v[4:5], v[114:115]
	v_add_f64_e32 v[31:32], v[31:32], v[120:121]
	v_add_f64_e32 v[132:133], v[132:133], v[122:123]
	ds_load_b128 v[120:123], v1 offset:992
	v_fma_f64 v[130:131], v[130:131], v[104:105], v[134:135]
	v_fma_f64 v[104:105], v[128:129], v[104:105], -v[106:107]
	s_wait_loadcnt_dscnt 0x700
	v_mul_f64_e32 v[128:129], v[120:121], v[126:127]
	v_mul_f64_e32 v[126:127], v[122:123], v[126:127]
	v_add_f64_e32 v[31:32], v[31:32], v[138:139]
	v_add_f64_e32 v[106:107], v[132:133], v[136:137]
	v_fma_f64 v[132:133], v[4:5], v[112:113], v[140:141]
	v_fma_f64 v[112:113], v[2:3], v[112:113], -v[114:115]
	v_fma_f64 v[122:123], v[122:123], v[124:125], v[128:129]
	v_fma_f64 v[120:121], v[120:121], v[124:125], -v[126:127]
	v_add_f64_e32 v[31:32], v[31:32], v[104:105]
	v_add_f64_e32 v[114:115], v[106:107], v[130:131]
	ds_load_b128 v[2:5], v1 offset:1008
	ds_load_b128 v[104:107], v1 offset:1024
	s_wait_loadcnt_dscnt 0x601
	v_mul_f64_e32 v[130:131], v[2:3], v[110:111]
	v_mul_f64_e32 v[110:111], v[4:5], v[110:111]
	v_add_f64_e32 v[31:32], v[31:32], v[112:113]
	v_add_f64_e32 v[112:113], v[114:115], v[132:133]
	s_wait_loadcnt_dscnt 0x500
	v_mul_f64_e32 v[114:115], v[104:105], v[8:9]
	v_mul_f64_e32 v[8:9], v[106:107], v[8:9]
	v_fma_f64 v[124:125], v[4:5], v[108:109], v[130:131]
	v_fma_f64 v[126:127], v[2:3], v[108:109], -v[110:111]
	ds_load_b128 v[2:5], v1 offset:1040
	ds_load_b128 v[108:111], v1 offset:1056
	v_add_f64_e32 v[31:32], v[31:32], v[120:121]
	v_add_f64_e32 v[112:113], v[112:113], v[122:123]
	s_wait_loadcnt_dscnt 0x401
	v_mul_f64_e32 v[120:121], v[2:3], v[12:13]
	v_mul_f64_e32 v[12:13], v[4:5], v[12:13]
	v_fma_f64 v[106:107], v[106:107], v[6:7], v[114:115]
	v_fma_f64 v[6:7], v[104:105], v[6:7], -v[8:9]
	v_add_f64_e32 v[8:9], v[31:32], v[126:127]
	v_add_f64_e32 v[31:32], v[112:113], v[124:125]
	s_wait_loadcnt_dscnt 0x300
	v_mul_f64_e32 v[104:105], v[108:109], v[16:17]
	v_mul_f64_e32 v[16:17], v[110:111], v[16:17]
	v_fma_f64 v[112:113], v[4:5], v[10:11], v[120:121]
	v_fma_f64 v[10:11], v[2:3], v[10:11], -v[12:13]
	v_add_f64_e32 v[12:13], v[8:9], v[6:7]
	v_add_f64_e32 v[31:32], v[31:32], v[106:107]
	ds_load_b128 v[2:5], v1 offset:1072
	ds_load_b128 v[6:9], v1 offset:1088
	v_fma_f64 v[104:105], v[110:111], v[14:15], v[104:105]
	v_fma_f64 v[14:15], v[108:109], v[14:15], -v[16:17]
	s_wait_loadcnt_dscnt 0x201
	v_mul_f64_e32 v[106:107], v[2:3], v[20:21]
	v_mul_f64_e32 v[20:21], v[4:5], v[20:21]
	s_wait_loadcnt_dscnt 0x100
	v_mul_f64_e32 v[16:17], v[6:7], v[24:25]
	v_mul_f64_e32 v[24:25], v[8:9], v[24:25]
	v_add_f64_e32 v[10:11], v[12:13], v[10:11]
	v_add_f64_e32 v[12:13], v[31:32], v[112:113]
	v_fma_f64 v[31:32], v[4:5], v[18:19], v[106:107]
	v_fma_f64 v[18:19], v[2:3], v[18:19], -v[20:21]
	ds_load_b128 v[2:5], v1 offset:1104
	v_fma_f64 v[8:9], v[8:9], v[22:23], v[16:17]
	v_fma_f64 v[6:7], v[6:7], v[22:23], -v[24:25]
	v_add_f64_e32 v[10:11], v[10:11], v[14:15]
	v_add_f64_e32 v[12:13], v[12:13], v[104:105]
	s_wait_loadcnt_dscnt 0x0
	v_mul_f64_e32 v[14:15], v[2:3], v[29:30]
	v_mul_f64_e32 v[20:21], v[4:5], v[29:30]
	s_delay_alu instid0(VALU_DEP_4) | instskip(NEXT) | instid1(VALU_DEP_4)
	v_add_f64_e32 v[10:11], v[10:11], v[18:19]
	v_add_f64_e32 v[12:13], v[12:13], v[31:32]
	s_delay_alu instid0(VALU_DEP_4) | instskip(NEXT) | instid1(VALU_DEP_4)
	v_fma_f64 v[4:5], v[4:5], v[27:28], v[14:15]
	v_fma_f64 v[2:3], v[2:3], v[27:28], -v[20:21]
	s_delay_alu instid0(VALU_DEP_4) | instskip(NEXT) | instid1(VALU_DEP_4)
	v_add_f64_e32 v[6:7], v[10:11], v[6:7]
	v_add_f64_e32 v[8:9], v[12:13], v[8:9]
	s_delay_alu instid0(VALU_DEP_2) | instskip(NEXT) | instid1(VALU_DEP_2)
	v_add_f64_e32 v[2:3], v[6:7], v[2:3]
	v_add_f64_e32 v[4:5], v[8:9], v[4:5]
	s_delay_alu instid0(VALU_DEP_2) | instskip(NEXT) | instid1(VALU_DEP_2)
	v_add_f64_e64 v[2:3], v[116:117], -v[2:3]
	v_add_f64_e64 v[4:5], v[118:119], -v[4:5]
	scratch_store_b128 off, v[2:5], off offset:288
	v_cmpx_lt_u32_e32 16, v0
	s_cbranch_execz .LBB34_191
; %bb.190:
	scratch_load_b128 v[5:8], off, s31
	v_dual_mov_b32 v2, v1 :: v_dual_mov_b32 v3, v1
	v_mov_b32_e32 v4, v1
	scratch_store_b128 off, v[1:4], off offset:272
	s_wait_loadcnt 0x0
	ds_store_b128 v26, v[5:8]
.LBB34_191:
	s_wait_alu 0xfffe
	s_or_b32 exec_lo, exec_lo, s0
	s_wait_storecnt_dscnt 0x0
	s_barrier_signal -1
	s_barrier_wait -1
	global_inv scope:SCOPE_SE
	s_clause 0x8
	scratch_load_b128 v[2:5], off, off offset:288
	scratch_load_b128 v[6:9], off, off offset:304
	;; [unrolled: 1-line block ×9, first 2 shown]
	ds_load_b128 v[112:115], v1 offset:832
	ds_load_b128 v[116:119], v1 offset:848
	s_clause 0x1
	scratch_load_b128 v[120:123], off, off offset:272
	scratch_load_b128 v[124:127], off, off offset:432
	s_mov_b32 s0, exec_lo
	ds_load_b128 v[128:131], v1 offset:880
	s_wait_loadcnt_dscnt 0xa02
	v_mul_f64_e32 v[31:32], v[114:115], v[4:5]
	v_mul_f64_e32 v[4:5], v[112:113], v[4:5]
	s_wait_loadcnt_dscnt 0x901
	v_mul_f64_e32 v[132:133], v[116:117], v[8:9]
	v_mul_f64_e32 v[8:9], v[118:119], v[8:9]
	s_delay_alu instid0(VALU_DEP_4) | instskip(NEXT) | instid1(VALU_DEP_4)
	v_fma_f64 v[31:32], v[112:113], v[2:3], -v[31:32]
	v_fma_f64 v[134:135], v[114:115], v[2:3], v[4:5]
	ds_load_b128 v[2:5], v1 offset:864
	scratch_load_b128 v[112:115], off, off offset:448
	v_fma_f64 v[118:119], v[118:119], v[6:7], v[132:133]
	v_fma_f64 v[116:117], v[116:117], v[6:7], -v[8:9]
	scratch_load_b128 v[6:9], off, off offset:464
	s_wait_loadcnt_dscnt 0xa00
	v_mul_f64_e32 v[136:137], v[2:3], v[12:13]
	v_mul_f64_e32 v[12:13], v[4:5], v[12:13]
	v_add_f64_e32 v[31:32], 0, v[31:32]
	v_add_f64_e32 v[132:133], 0, v[134:135]
	s_wait_loadcnt 0x9
	v_mul_f64_e32 v[134:135], v[128:129], v[16:17]
	v_mul_f64_e32 v[16:17], v[130:131], v[16:17]
	v_fma_f64 v[136:137], v[4:5], v[10:11], v[136:137]
	v_fma_f64 v[138:139], v[2:3], v[10:11], -v[12:13]
	ds_load_b128 v[2:5], v1 offset:896
	scratch_load_b128 v[10:13], off, off offset:480
	v_add_f64_e32 v[31:32], v[31:32], v[116:117]
	v_add_f64_e32 v[132:133], v[132:133], v[118:119]
	ds_load_b128 v[116:119], v1 offset:912
	v_fma_f64 v[130:131], v[130:131], v[14:15], v[134:135]
	v_fma_f64 v[128:129], v[128:129], v[14:15], -v[16:17]
	scratch_load_b128 v[14:17], off, off offset:496
	s_wait_loadcnt_dscnt 0xa01
	v_mul_f64_e32 v[140:141], v[2:3], v[20:21]
	v_mul_f64_e32 v[20:21], v[4:5], v[20:21]
	s_wait_loadcnt_dscnt 0x900
	v_mul_f64_e32 v[134:135], v[116:117], v[24:25]
	v_mul_f64_e32 v[24:25], v[118:119], v[24:25]
	v_add_f64_e32 v[31:32], v[31:32], v[138:139]
	v_add_f64_e32 v[132:133], v[132:133], v[136:137]
	v_fma_f64 v[136:137], v[4:5], v[18:19], v[140:141]
	v_fma_f64 v[138:139], v[2:3], v[18:19], -v[20:21]
	ds_load_b128 v[2:5], v1 offset:928
	scratch_load_b128 v[18:21], off, off offset:512
	v_fma_f64 v[118:119], v[118:119], v[22:23], v[134:135]
	v_fma_f64 v[116:117], v[116:117], v[22:23], -v[24:25]
	scratch_load_b128 v[22:25], off, off offset:528
	v_add_f64_e32 v[31:32], v[31:32], v[128:129]
	v_add_f64_e32 v[132:133], v[132:133], v[130:131]
	ds_load_b128 v[128:131], v1 offset:944
	s_wait_loadcnt_dscnt 0xa01
	v_mul_f64_e32 v[140:141], v[2:3], v[29:30]
	v_mul_f64_e32 v[29:30], v[4:5], v[29:30]
	s_wait_loadcnt_dscnt 0x900
	v_mul_f64_e32 v[134:135], v[128:129], v[106:107]
	v_mul_f64_e32 v[106:107], v[130:131], v[106:107]
	v_add_f64_e32 v[31:32], v[31:32], v[138:139]
	v_add_f64_e32 v[132:133], v[132:133], v[136:137]
	v_fma_f64 v[136:137], v[4:5], v[27:28], v[140:141]
	v_fma_f64 v[138:139], v[2:3], v[27:28], -v[29:30]
	ds_load_b128 v[2:5], v1 offset:960
	scratch_load_b128 v[27:30], off, off offset:544
	v_fma_f64 v[130:131], v[130:131], v[104:105], v[134:135]
	v_fma_f64 v[128:129], v[128:129], v[104:105], -v[106:107]
	scratch_load_b128 v[104:107], off, off offset:560
	v_add_f64_e32 v[31:32], v[31:32], v[116:117]
	v_add_f64_e32 v[132:133], v[132:133], v[118:119]
	ds_load_b128 v[116:119], v1 offset:976
	s_wait_loadcnt_dscnt 0xa01
	v_mul_f64_e32 v[140:141], v[2:3], v[110:111]
	v_mul_f64_e32 v[110:111], v[4:5], v[110:111]
	s_wait_loadcnt_dscnt 0x800
	v_mul_f64_e32 v[134:135], v[116:117], v[126:127]
	v_mul_f64_e32 v[126:127], v[118:119], v[126:127]
	v_add_f64_e32 v[31:32], v[31:32], v[138:139]
	v_add_f64_e32 v[132:133], v[132:133], v[136:137]
	v_fma_f64 v[136:137], v[4:5], v[108:109], v[140:141]
	v_fma_f64 v[138:139], v[2:3], v[108:109], -v[110:111]
	ds_load_b128 v[2:5], v1 offset:992
	ds_load_b128 v[108:111], v1 offset:1008
	v_fma_f64 v[118:119], v[118:119], v[124:125], v[134:135]
	v_fma_f64 v[116:117], v[116:117], v[124:125], -v[126:127]
	v_add_f64_e32 v[31:32], v[31:32], v[128:129]
	v_add_f64_e32 v[128:129], v[132:133], v[130:131]
	s_wait_loadcnt_dscnt 0x701
	v_mul_f64_e32 v[130:131], v[2:3], v[114:115]
	v_mul_f64_e32 v[114:115], v[4:5], v[114:115]
	s_wait_loadcnt_dscnt 0x600
	v_mul_f64_e32 v[126:127], v[108:109], v[8:9]
	v_mul_f64_e32 v[8:9], v[110:111], v[8:9]
	v_add_f64_e32 v[31:32], v[31:32], v[138:139]
	v_add_f64_e32 v[124:125], v[128:129], v[136:137]
	v_fma_f64 v[128:129], v[4:5], v[112:113], v[130:131]
	v_fma_f64 v[130:131], v[2:3], v[112:113], -v[114:115]
	ds_load_b128 v[2:5], v1 offset:1024
	ds_load_b128 v[112:115], v1 offset:1040
	v_fma_f64 v[110:111], v[110:111], v[6:7], v[126:127]
	v_fma_f64 v[6:7], v[108:109], v[6:7], -v[8:9]
	v_add_f64_e32 v[31:32], v[31:32], v[116:117]
	v_add_f64_e32 v[116:117], v[124:125], v[118:119]
	s_wait_loadcnt_dscnt 0x501
	v_mul_f64_e32 v[118:119], v[2:3], v[12:13]
	v_mul_f64_e32 v[12:13], v[4:5], v[12:13]
	s_wait_loadcnt_dscnt 0x400
	v_mul_f64_e32 v[108:109], v[112:113], v[16:17]
	v_mul_f64_e32 v[16:17], v[114:115], v[16:17]
	v_add_f64_e32 v[8:9], v[31:32], v[130:131]
	v_add_f64_e32 v[31:32], v[116:117], v[128:129]
	v_fma_f64 v[116:117], v[4:5], v[10:11], v[118:119]
	v_fma_f64 v[10:11], v[2:3], v[10:11], -v[12:13]
	v_fma_f64 v[108:109], v[114:115], v[14:15], v[108:109]
	v_fma_f64 v[14:15], v[112:113], v[14:15], -v[16:17]
	v_add_f64_e32 v[12:13], v[8:9], v[6:7]
	v_add_f64_e32 v[31:32], v[31:32], v[110:111]
	ds_load_b128 v[2:5], v1 offset:1056
	ds_load_b128 v[6:9], v1 offset:1072
	s_wait_loadcnt_dscnt 0x301
	v_mul_f64_e32 v[110:111], v[2:3], v[20:21]
	v_mul_f64_e32 v[20:21], v[4:5], v[20:21]
	s_wait_loadcnt_dscnt 0x200
	v_mul_f64_e32 v[16:17], v[6:7], v[24:25]
	v_mul_f64_e32 v[24:25], v[8:9], v[24:25]
	v_add_f64_e32 v[10:11], v[12:13], v[10:11]
	v_add_f64_e32 v[12:13], v[31:32], v[116:117]
	v_fma_f64 v[31:32], v[4:5], v[18:19], v[110:111]
	v_fma_f64 v[18:19], v[2:3], v[18:19], -v[20:21]
	v_fma_f64 v[8:9], v[8:9], v[22:23], v[16:17]
	v_fma_f64 v[6:7], v[6:7], v[22:23], -v[24:25]
	v_add_f64_e32 v[14:15], v[10:11], v[14:15]
	v_add_f64_e32 v[20:21], v[12:13], v[108:109]
	ds_load_b128 v[2:5], v1 offset:1088
	ds_load_b128 v[10:13], v1 offset:1104
	s_wait_loadcnt_dscnt 0x101
	v_mul_f64_e32 v[108:109], v[2:3], v[29:30]
	v_mul_f64_e32 v[29:30], v[4:5], v[29:30]
	v_add_f64_e32 v[14:15], v[14:15], v[18:19]
	v_add_f64_e32 v[16:17], v[20:21], v[31:32]
	s_wait_loadcnt_dscnt 0x0
	v_mul_f64_e32 v[18:19], v[10:11], v[106:107]
	v_mul_f64_e32 v[20:21], v[12:13], v[106:107]
	v_fma_f64 v[4:5], v[4:5], v[27:28], v[108:109]
	v_fma_f64 v[1:2], v[2:3], v[27:28], -v[29:30]
	v_add_f64_e32 v[6:7], v[14:15], v[6:7]
	v_add_f64_e32 v[8:9], v[16:17], v[8:9]
	v_fma_f64 v[12:13], v[12:13], v[104:105], v[18:19]
	v_fma_f64 v[10:11], v[10:11], v[104:105], -v[20:21]
	s_delay_alu instid0(VALU_DEP_4) | instskip(NEXT) | instid1(VALU_DEP_4)
	v_add_f64_e32 v[1:2], v[6:7], v[1:2]
	v_add_f64_e32 v[3:4], v[8:9], v[4:5]
	s_delay_alu instid0(VALU_DEP_2) | instskip(NEXT) | instid1(VALU_DEP_2)
	v_add_f64_e32 v[1:2], v[1:2], v[10:11]
	v_add_f64_e32 v[3:4], v[3:4], v[12:13]
	s_delay_alu instid0(VALU_DEP_2) | instskip(NEXT) | instid1(VALU_DEP_2)
	v_add_f64_e64 v[1:2], v[120:121], -v[1:2]
	v_add_f64_e64 v[3:4], v[122:123], -v[3:4]
	scratch_store_b128 off, v[1:4], off offset:272
	v_cmpx_lt_u32_e32 15, v0
	s_cbranch_execz .LBB34_193
; %bb.192:
	scratch_load_b128 v[1:4], off, s33
	v_mov_b32_e32 v5, 0
	s_delay_alu instid0(VALU_DEP_1)
	v_dual_mov_b32 v6, v5 :: v_dual_mov_b32 v7, v5
	v_mov_b32_e32 v8, v5
	scratch_store_b128 off, v[5:8], off offset:256
	s_wait_loadcnt 0x0
	ds_store_b128 v26, v[1:4]
.LBB34_193:
	s_wait_alu 0xfffe
	s_or_b32 exec_lo, exec_lo, s0
	s_wait_storecnt_dscnt 0x0
	s_barrier_signal -1
	s_barrier_wait -1
	global_inv scope:SCOPE_SE
	s_clause 0x7
	scratch_load_b128 v[2:5], off, off offset:272
	scratch_load_b128 v[6:9], off, off offset:288
	;; [unrolled: 1-line block ×8, first 2 shown]
	v_mov_b32_e32 v1, 0
	s_mov_b32 s0, exec_lo
	ds_load_b128 v[108:111], v1 offset:816
	s_clause 0x1
	scratch_load_b128 v[112:115], off, off offset:400
	scratch_load_b128 v[116:119], off, off offset:256
	ds_load_b128 v[120:123], v1 offset:832
	scratch_load_b128 v[124:127], off, off offset:416
	ds_load_b128 v[128:131], v1 offset:864
	s_wait_loadcnt_dscnt 0xa02
	v_mul_f64_e32 v[31:32], v[110:111], v[4:5]
	v_mul_f64_e32 v[4:5], v[108:109], v[4:5]
	s_delay_alu instid0(VALU_DEP_2) | instskip(NEXT) | instid1(VALU_DEP_2)
	v_fma_f64 v[31:32], v[108:109], v[2:3], -v[31:32]
	v_fma_f64 v[134:135], v[110:111], v[2:3], v[4:5]
	ds_load_b128 v[2:5], v1 offset:848
	s_wait_loadcnt_dscnt 0x902
	v_mul_f64_e32 v[132:133], v[120:121], v[8:9]
	v_mul_f64_e32 v[8:9], v[122:123], v[8:9]
	scratch_load_b128 v[108:111], off, off offset:432
	s_wait_loadcnt_dscnt 0x900
	v_mul_f64_e32 v[136:137], v[2:3], v[12:13]
	v_mul_f64_e32 v[12:13], v[4:5], v[12:13]
	v_add_f64_e32 v[31:32], 0, v[31:32]
	v_fma_f64 v[122:123], v[122:123], v[6:7], v[132:133]
	v_fma_f64 v[120:121], v[120:121], v[6:7], -v[8:9]
	v_add_f64_e32 v[132:133], 0, v[134:135]
	scratch_load_b128 v[6:9], off, off offset:448
	v_fma_f64 v[136:137], v[4:5], v[10:11], v[136:137]
	v_fma_f64 v[138:139], v[2:3], v[10:11], -v[12:13]
	ds_load_b128 v[2:5], v1 offset:880
	s_wait_loadcnt 0x9
	v_mul_f64_e32 v[134:135], v[128:129], v[16:17]
	v_mul_f64_e32 v[16:17], v[130:131], v[16:17]
	scratch_load_b128 v[10:13], off, off offset:464
	v_add_f64_e32 v[31:32], v[31:32], v[120:121]
	v_add_f64_e32 v[132:133], v[132:133], v[122:123]
	s_wait_loadcnt_dscnt 0x900
	v_mul_f64_e32 v[140:141], v[2:3], v[20:21]
	v_mul_f64_e32 v[20:21], v[4:5], v[20:21]
	ds_load_b128 v[120:123], v1 offset:896
	v_fma_f64 v[130:131], v[130:131], v[14:15], v[134:135]
	v_fma_f64 v[128:129], v[128:129], v[14:15], -v[16:17]
	scratch_load_b128 v[14:17], off, off offset:480
	v_add_f64_e32 v[31:32], v[31:32], v[138:139]
	v_add_f64_e32 v[132:133], v[132:133], v[136:137]
	v_fma_f64 v[136:137], v[4:5], v[18:19], v[140:141]
	v_fma_f64 v[138:139], v[2:3], v[18:19], -v[20:21]
	ds_load_b128 v[2:5], v1 offset:912
	s_wait_loadcnt_dscnt 0x901
	v_mul_f64_e32 v[134:135], v[120:121], v[24:25]
	v_mul_f64_e32 v[24:25], v[122:123], v[24:25]
	scratch_load_b128 v[18:21], off, off offset:496
	s_wait_loadcnt_dscnt 0x900
	v_mul_f64_e32 v[140:141], v[2:3], v[29:30]
	v_mul_f64_e32 v[29:30], v[4:5], v[29:30]
	v_add_f64_e32 v[31:32], v[31:32], v[128:129]
	v_add_f64_e32 v[132:133], v[132:133], v[130:131]
	ds_load_b128 v[128:131], v1 offset:928
	v_fma_f64 v[122:123], v[122:123], v[22:23], v[134:135]
	v_fma_f64 v[120:121], v[120:121], v[22:23], -v[24:25]
	scratch_load_b128 v[22:25], off, off offset:512
	v_add_f64_e32 v[31:32], v[31:32], v[138:139]
	v_add_f64_e32 v[132:133], v[132:133], v[136:137]
	v_fma_f64 v[136:137], v[4:5], v[27:28], v[140:141]
	v_fma_f64 v[138:139], v[2:3], v[27:28], -v[29:30]
	ds_load_b128 v[2:5], v1 offset:944
	s_wait_loadcnt_dscnt 0x901
	v_mul_f64_e32 v[134:135], v[128:129], v[106:107]
	v_mul_f64_e32 v[106:107], v[130:131], v[106:107]
	scratch_load_b128 v[27:30], off, off offset:528
	s_wait_loadcnt_dscnt 0x900
	v_mul_f64_e32 v[140:141], v[2:3], v[114:115]
	v_mul_f64_e32 v[114:115], v[4:5], v[114:115]
	v_add_f64_e32 v[31:32], v[31:32], v[120:121]
	v_add_f64_e32 v[132:133], v[132:133], v[122:123]
	ds_load_b128 v[120:123], v1 offset:960
	v_fma_f64 v[130:131], v[130:131], v[104:105], v[134:135]
	v_fma_f64 v[128:129], v[128:129], v[104:105], -v[106:107]
	scratch_load_b128 v[104:107], off, off offset:544
	v_add_f64_e32 v[31:32], v[31:32], v[138:139]
	v_add_f64_e32 v[132:133], v[132:133], v[136:137]
	v_fma_f64 v[138:139], v[4:5], v[112:113], v[140:141]
	v_fma_f64 v[140:141], v[2:3], v[112:113], -v[114:115]
	ds_load_b128 v[2:5], v1 offset:976
	s_wait_loadcnt_dscnt 0x801
	v_mul_f64_e32 v[134:135], v[120:121], v[126:127]
	v_mul_f64_e32 v[136:137], v[122:123], v[126:127]
	scratch_load_b128 v[112:115], off, off offset:560
	v_add_f64_e32 v[31:32], v[31:32], v[128:129]
	v_add_f64_e32 v[130:131], v[132:133], v[130:131]
	ds_load_b128 v[126:129], v1 offset:992
	v_fma_f64 v[122:123], v[122:123], v[124:125], v[134:135]
	v_fma_f64 v[120:121], v[120:121], v[124:125], -v[136:137]
	s_wait_loadcnt_dscnt 0x801
	v_mul_f64_e32 v[132:133], v[2:3], v[110:111]
	v_mul_f64_e32 v[110:111], v[4:5], v[110:111]
	v_add_f64_e32 v[31:32], v[31:32], v[140:141]
	v_add_f64_e32 v[124:125], v[130:131], v[138:139]
	s_delay_alu instid0(VALU_DEP_4)
	v_fma_f64 v[132:133], v[4:5], v[108:109], v[132:133]
	s_wait_loadcnt_dscnt 0x700
	v_mul_f64_e32 v[130:131], v[126:127], v[8:9]
	v_mul_f64_e32 v[8:9], v[128:129], v[8:9]
	v_fma_f64 v[134:135], v[2:3], v[108:109], -v[110:111]
	ds_load_b128 v[2:5], v1 offset:1008
	ds_load_b128 v[108:111], v1 offset:1024
	v_add_f64_e32 v[31:32], v[31:32], v[120:121]
	v_add_f64_e32 v[120:121], v[124:125], v[122:123]
	s_wait_loadcnt_dscnt 0x601
	v_mul_f64_e32 v[122:123], v[2:3], v[12:13]
	v_mul_f64_e32 v[12:13], v[4:5], v[12:13]
	v_fma_f64 v[124:125], v[128:129], v[6:7], v[130:131]
	v_fma_f64 v[6:7], v[126:127], v[6:7], -v[8:9]
	v_add_f64_e32 v[8:9], v[31:32], v[134:135]
	v_add_f64_e32 v[31:32], v[120:121], v[132:133]
	s_wait_loadcnt_dscnt 0x500
	v_mul_f64_e32 v[120:121], v[108:109], v[16:17]
	v_mul_f64_e32 v[16:17], v[110:111], v[16:17]
	v_fma_f64 v[122:123], v[4:5], v[10:11], v[122:123]
	v_fma_f64 v[10:11], v[2:3], v[10:11], -v[12:13]
	v_add_f64_e32 v[12:13], v[8:9], v[6:7]
	v_add_f64_e32 v[31:32], v[31:32], v[124:125]
	ds_load_b128 v[2:5], v1 offset:1040
	ds_load_b128 v[6:9], v1 offset:1056
	v_fma_f64 v[110:111], v[110:111], v[14:15], v[120:121]
	v_fma_f64 v[14:15], v[108:109], v[14:15], -v[16:17]
	s_wait_loadcnt_dscnt 0x401
	v_mul_f64_e32 v[124:125], v[2:3], v[20:21]
	v_mul_f64_e32 v[20:21], v[4:5], v[20:21]
	s_wait_loadcnt_dscnt 0x300
	v_mul_f64_e32 v[16:17], v[6:7], v[24:25]
	v_mul_f64_e32 v[24:25], v[8:9], v[24:25]
	v_add_f64_e32 v[10:11], v[12:13], v[10:11]
	v_add_f64_e32 v[12:13], v[31:32], v[122:123]
	v_fma_f64 v[31:32], v[4:5], v[18:19], v[124:125]
	v_fma_f64 v[18:19], v[2:3], v[18:19], -v[20:21]
	v_fma_f64 v[8:9], v[8:9], v[22:23], v[16:17]
	v_fma_f64 v[6:7], v[6:7], v[22:23], -v[24:25]
	v_add_f64_e32 v[14:15], v[10:11], v[14:15]
	v_add_f64_e32 v[20:21], v[12:13], v[110:111]
	ds_load_b128 v[2:5], v1 offset:1072
	ds_load_b128 v[10:13], v1 offset:1088
	s_wait_loadcnt_dscnt 0x201
	v_mul_f64_e32 v[108:109], v[2:3], v[29:30]
	v_mul_f64_e32 v[29:30], v[4:5], v[29:30]
	v_add_f64_e32 v[14:15], v[14:15], v[18:19]
	v_add_f64_e32 v[16:17], v[20:21], v[31:32]
	s_wait_loadcnt_dscnt 0x100
	v_mul_f64_e32 v[18:19], v[10:11], v[106:107]
	v_mul_f64_e32 v[20:21], v[12:13], v[106:107]
	v_fma_f64 v[22:23], v[4:5], v[27:28], v[108:109]
	v_fma_f64 v[24:25], v[2:3], v[27:28], -v[29:30]
	ds_load_b128 v[2:5], v1 offset:1104
	v_add_f64_e32 v[6:7], v[14:15], v[6:7]
	v_add_f64_e32 v[8:9], v[16:17], v[8:9]
	v_fma_f64 v[12:13], v[12:13], v[104:105], v[18:19]
	v_fma_f64 v[10:11], v[10:11], v[104:105], -v[20:21]
	s_wait_loadcnt_dscnt 0x0
	v_mul_f64_e32 v[14:15], v[2:3], v[114:115]
	v_mul_f64_e32 v[16:17], v[4:5], v[114:115]
	v_add_f64_e32 v[6:7], v[6:7], v[24:25]
	v_add_f64_e32 v[8:9], v[8:9], v[22:23]
	s_delay_alu instid0(VALU_DEP_4) | instskip(NEXT) | instid1(VALU_DEP_4)
	v_fma_f64 v[4:5], v[4:5], v[112:113], v[14:15]
	v_fma_f64 v[2:3], v[2:3], v[112:113], -v[16:17]
	s_delay_alu instid0(VALU_DEP_4) | instskip(NEXT) | instid1(VALU_DEP_4)
	v_add_f64_e32 v[6:7], v[6:7], v[10:11]
	v_add_f64_e32 v[8:9], v[8:9], v[12:13]
	s_delay_alu instid0(VALU_DEP_2) | instskip(NEXT) | instid1(VALU_DEP_2)
	v_add_f64_e32 v[2:3], v[6:7], v[2:3]
	v_add_f64_e32 v[4:5], v[8:9], v[4:5]
	s_delay_alu instid0(VALU_DEP_2) | instskip(NEXT) | instid1(VALU_DEP_2)
	v_add_f64_e64 v[2:3], v[116:117], -v[2:3]
	v_add_f64_e64 v[4:5], v[118:119], -v[4:5]
	scratch_store_b128 off, v[2:5], off offset:256
	v_cmpx_lt_u32_e32 14, v0
	s_cbranch_execz .LBB34_195
; %bb.194:
	scratch_load_b128 v[5:8], off, s34
	v_dual_mov_b32 v2, v1 :: v_dual_mov_b32 v3, v1
	v_mov_b32_e32 v4, v1
	scratch_store_b128 off, v[1:4], off offset:240
	s_wait_loadcnt 0x0
	ds_store_b128 v26, v[5:8]
.LBB34_195:
	s_wait_alu 0xfffe
	s_or_b32 exec_lo, exec_lo, s0
	s_wait_storecnt_dscnt 0x0
	s_barrier_signal -1
	s_barrier_wait -1
	global_inv scope:SCOPE_SE
	s_clause 0x8
	scratch_load_b128 v[2:5], off, off offset:256
	scratch_load_b128 v[6:9], off, off offset:272
	;; [unrolled: 1-line block ×9, first 2 shown]
	ds_load_b128 v[112:115], v1 offset:800
	ds_load_b128 v[116:119], v1 offset:816
	s_clause 0x1
	scratch_load_b128 v[120:123], off, off offset:240
	scratch_load_b128 v[124:127], off, off offset:400
	s_mov_b32 s0, exec_lo
	ds_load_b128 v[128:131], v1 offset:848
	s_wait_loadcnt_dscnt 0xa02
	v_mul_f64_e32 v[31:32], v[114:115], v[4:5]
	v_mul_f64_e32 v[4:5], v[112:113], v[4:5]
	s_wait_loadcnt_dscnt 0x901
	v_mul_f64_e32 v[132:133], v[116:117], v[8:9]
	v_mul_f64_e32 v[8:9], v[118:119], v[8:9]
	s_delay_alu instid0(VALU_DEP_4) | instskip(NEXT) | instid1(VALU_DEP_4)
	v_fma_f64 v[31:32], v[112:113], v[2:3], -v[31:32]
	v_fma_f64 v[134:135], v[114:115], v[2:3], v[4:5]
	ds_load_b128 v[2:5], v1 offset:832
	scratch_load_b128 v[112:115], off, off offset:416
	v_fma_f64 v[118:119], v[118:119], v[6:7], v[132:133]
	v_fma_f64 v[116:117], v[116:117], v[6:7], -v[8:9]
	scratch_load_b128 v[6:9], off, off offset:432
	s_wait_loadcnt_dscnt 0xa00
	v_mul_f64_e32 v[136:137], v[2:3], v[12:13]
	v_mul_f64_e32 v[12:13], v[4:5], v[12:13]
	v_add_f64_e32 v[31:32], 0, v[31:32]
	v_add_f64_e32 v[132:133], 0, v[134:135]
	s_wait_loadcnt 0x9
	v_mul_f64_e32 v[134:135], v[128:129], v[16:17]
	v_mul_f64_e32 v[16:17], v[130:131], v[16:17]
	v_fma_f64 v[136:137], v[4:5], v[10:11], v[136:137]
	v_fma_f64 v[138:139], v[2:3], v[10:11], -v[12:13]
	ds_load_b128 v[2:5], v1 offset:864
	scratch_load_b128 v[10:13], off, off offset:448
	v_add_f64_e32 v[31:32], v[31:32], v[116:117]
	v_add_f64_e32 v[132:133], v[132:133], v[118:119]
	ds_load_b128 v[116:119], v1 offset:880
	v_fma_f64 v[130:131], v[130:131], v[14:15], v[134:135]
	v_fma_f64 v[128:129], v[128:129], v[14:15], -v[16:17]
	scratch_load_b128 v[14:17], off, off offset:464
	s_wait_loadcnt_dscnt 0xa01
	v_mul_f64_e32 v[140:141], v[2:3], v[20:21]
	v_mul_f64_e32 v[20:21], v[4:5], v[20:21]
	s_wait_loadcnt_dscnt 0x900
	v_mul_f64_e32 v[134:135], v[116:117], v[24:25]
	v_mul_f64_e32 v[24:25], v[118:119], v[24:25]
	v_add_f64_e32 v[31:32], v[31:32], v[138:139]
	v_add_f64_e32 v[132:133], v[132:133], v[136:137]
	v_fma_f64 v[136:137], v[4:5], v[18:19], v[140:141]
	v_fma_f64 v[138:139], v[2:3], v[18:19], -v[20:21]
	ds_load_b128 v[2:5], v1 offset:896
	scratch_load_b128 v[18:21], off, off offset:480
	v_fma_f64 v[118:119], v[118:119], v[22:23], v[134:135]
	v_fma_f64 v[116:117], v[116:117], v[22:23], -v[24:25]
	scratch_load_b128 v[22:25], off, off offset:496
	v_add_f64_e32 v[31:32], v[31:32], v[128:129]
	v_add_f64_e32 v[132:133], v[132:133], v[130:131]
	ds_load_b128 v[128:131], v1 offset:912
	s_wait_loadcnt_dscnt 0xa01
	v_mul_f64_e32 v[140:141], v[2:3], v[29:30]
	v_mul_f64_e32 v[29:30], v[4:5], v[29:30]
	s_wait_loadcnt_dscnt 0x900
	v_mul_f64_e32 v[134:135], v[128:129], v[106:107]
	v_mul_f64_e32 v[106:107], v[130:131], v[106:107]
	v_add_f64_e32 v[31:32], v[31:32], v[138:139]
	v_add_f64_e32 v[132:133], v[132:133], v[136:137]
	v_fma_f64 v[136:137], v[4:5], v[27:28], v[140:141]
	v_fma_f64 v[138:139], v[2:3], v[27:28], -v[29:30]
	ds_load_b128 v[2:5], v1 offset:928
	scratch_load_b128 v[27:30], off, off offset:512
	v_fma_f64 v[130:131], v[130:131], v[104:105], v[134:135]
	v_fma_f64 v[128:129], v[128:129], v[104:105], -v[106:107]
	scratch_load_b128 v[104:107], off, off offset:528
	v_add_f64_e32 v[31:32], v[31:32], v[116:117]
	v_add_f64_e32 v[132:133], v[132:133], v[118:119]
	ds_load_b128 v[116:119], v1 offset:944
	s_wait_loadcnt_dscnt 0xa01
	v_mul_f64_e32 v[140:141], v[2:3], v[110:111]
	v_mul_f64_e32 v[110:111], v[4:5], v[110:111]
	s_wait_loadcnt_dscnt 0x800
	v_mul_f64_e32 v[134:135], v[116:117], v[126:127]
	v_add_f64_e32 v[31:32], v[31:32], v[138:139]
	v_add_f64_e32 v[132:133], v[132:133], v[136:137]
	v_mul_f64_e32 v[136:137], v[118:119], v[126:127]
	v_fma_f64 v[138:139], v[4:5], v[108:109], v[140:141]
	v_fma_f64 v[140:141], v[2:3], v[108:109], -v[110:111]
	ds_load_b128 v[2:5], v1 offset:960
	scratch_load_b128 v[108:111], off, off offset:544
	v_fma_f64 v[118:119], v[118:119], v[124:125], v[134:135]
	v_add_f64_e32 v[31:32], v[31:32], v[128:129]
	v_add_f64_e32 v[130:131], v[132:133], v[130:131]
	ds_load_b128 v[126:129], v1 offset:976
	v_fma_f64 v[124:125], v[116:117], v[124:125], -v[136:137]
	s_wait_loadcnt_dscnt 0x801
	v_mul_f64_e32 v[132:133], v[2:3], v[114:115]
	v_mul_f64_e32 v[142:143], v[4:5], v[114:115]
	scratch_load_b128 v[114:117], off, off offset:560
	s_wait_loadcnt_dscnt 0x800
	v_mul_f64_e32 v[134:135], v[126:127], v[8:9]
	v_mul_f64_e32 v[8:9], v[128:129], v[8:9]
	v_add_f64_e32 v[31:32], v[31:32], v[140:141]
	v_add_f64_e32 v[130:131], v[130:131], v[138:139]
	v_fma_f64 v[136:137], v[4:5], v[112:113], v[132:133]
	v_fma_f64 v[112:113], v[2:3], v[112:113], -v[142:143]
	v_fma_f64 v[128:129], v[128:129], v[6:7], v[134:135]
	v_fma_f64 v[6:7], v[126:127], v[6:7], -v[8:9]
	v_add_f64_e32 v[31:32], v[31:32], v[124:125]
	v_add_f64_e32 v[118:119], v[130:131], v[118:119]
	ds_load_b128 v[2:5], v1 offset:992
	ds_load_b128 v[130:133], v1 offset:1008
	s_wait_loadcnt_dscnt 0x701
	v_mul_f64_e32 v[124:125], v[2:3], v[12:13]
	v_mul_f64_e32 v[12:13], v[4:5], v[12:13]
	v_add_f64_e32 v[8:9], v[31:32], v[112:113]
	v_add_f64_e32 v[31:32], v[118:119], v[136:137]
	s_wait_loadcnt_dscnt 0x600
	v_mul_f64_e32 v[112:113], v[130:131], v[16:17]
	v_mul_f64_e32 v[16:17], v[132:133], v[16:17]
	v_fma_f64 v[118:119], v[4:5], v[10:11], v[124:125]
	v_fma_f64 v[10:11], v[2:3], v[10:11], -v[12:13]
	v_add_f64_e32 v[12:13], v[8:9], v[6:7]
	v_add_f64_e32 v[31:32], v[31:32], v[128:129]
	ds_load_b128 v[2:5], v1 offset:1024
	ds_load_b128 v[6:9], v1 offset:1040
	v_fma_f64 v[112:113], v[132:133], v[14:15], v[112:113]
	v_fma_f64 v[14:15], v[130:131], v[14:15], -v[16:17]
	s_wait_loadcnt_dscnt 0x501
	v_mul_f64_e32 v[124:125], v[2:3], v[20:21]
	v_mul_f64_e32 v[20:21], v[4:5], v[20:21]
	s_wait_loadcnt_dscnt 0x400
	v_mul_f64_e32 v[16:17], v[6:7], v[24:25]
	v_mul_f64_e32 v[24:25], v[8:9], v[24:25]
	v_add_f64_e32 v[10:11], v[12:13], v[10:11]
	v_add_f64_e32 v[12:13], v[31:32], v[118:119]
	v_fma_f64 v[31:32], v[4:5], v[18:19], v[124:125]
	v_fma_f64 v[18:19], v[2:3], v[18:19], -v[20:21]
	v_fma_f64 v[8:9], v[8:9], v[22:23], v[16:17]
	v_fma_f64 v[6:7], v[6:7], v[22:23], -v[24:25]
	v_add_f64_e32 v[14:15], v[10:11], v[14:15]
	v_add_f64_e32 v[20:21], v[12:13], v[112:113]
	ds_load_b128 v[2:5], v1 offset:1056
	ds_load_b128 v[10:13], v1 offset:1072
	s_wait_loadcnt_dscnt 0x301
	v_mul_f64_e32 v[112:113], v[2:3], v[29:30]
	v_mul_f64_e32 v[29:30], v[4:5], v[29:30]
	v_add_f64_e32 v[14:15], v[14:15], v[18:19]
	v_add_f64_e32 v[16:17], v[20:21], v[31:32]
	s_wait_loadcnt_dscnt 0x200
	v_mul_f64_e32 v[18:19], v[10:11], v[106:107]
	v_mul_f64_e32 v[20:21], v[12:13], v[106:107]
	v_fma_f64 v[22:23], v[4:5], v[27:28], v[112:113]
	v_fma_f64 v[24:25], v[2:3], v[27:28], -v[29:30]
	v_add_f64_e32 v[14:15], v[14:15], v[6:7]
	v_add_f64_e32 v[16:17], v[16:17], v[8:9]
	ds_load_b128 v[2:5], v1 offset:1088
	ds_load_b128 v[6:9], v1 offset:1104
	v_fma_f64 v[12:13], v[12:13], v[104:105], v[18:19]
	v_fma_f64 v[10:11], v[10:11], v[104:105], -v[20:21]
	s_wait_loadcnt_dscnt 0x101
	v_mul_f64_e32 v[27:28], v[2:3], v[110:111]
	v_mul_f64_e32 v[29:30], v[4:5], v[110:111]
	s_wait_loadcnt_dscnt 0x0
	v_mul_f64_e32 v[18:19], v[6:7], v[116:117]
	v_add_f64_e32 v[14:15], v[14:15], v[24:25]
	v_add_f64_e32 v[16:17], v[16:17], v[22:23]
	v_mul_f64_e32 v[20:21], v[8:9], v[116:117]
	v_fma_f64 v[4:5], v[4:5], v[108:109], v[27:28]
	v_fma_f64 v[1:2], v[2:3], v[108:109], -v[29:30]
	v_fma_f64 v[8:9], v[8:9], v[114:115], v[18:19]
	v_add_f64_e32 v[10:11], v[14:15], v[10:11]
	v_add_f64_e32 v[12:13], v[16:17], v[12:13]
	v_fma_f64 v[6:7], v[6:7], v[114:115], -v[20:21]
	s_delay_alu instid0(VALU_DEP_3) | instskip(NEXT) | instid1(VALU_DEP_3)
	v_add_f64_e32 v[1:2], v[10:11], v[1:2]
	v_add_f64_e32 v[3:4], v[12:13], v[4:5]
	s_delay_alu instid0(VALU_DEP_2) | instskip(NEXT) | instid1(VALU_DEP_2)
	v_add_f64_e32 v[1:2], v[1:2], v[6:7]
	v_add_f64_e32 v[3:4], v[3:4], v[8:9]
	s_delay_alu instid0(VALU_DEP_2) | instskip(NEXT) | instid1(VALU_DEP_2)
	v_add_f64_e64 v[1:2], v[120:121], -v[1:2]
	v_add_f64_e64 v[3:4], v[122:123], -v[3:4]
	scratch_store_b128 off, v[1:4], off offset:240
	v_cmpx_lt_u32_e32 13, v0
	s_cbranch_execz .LBB34_197
; %bb.196:
	scratch_load_b128 v[1:4], off, s35
	v_mov_b32_e32 v5, 0
	s_delay_alu instid0(VALU_DEP_1)
	v_dual_mov_b32 v6, v5 :: v_dual_mov_b32 v7, v5
	v_mov_b32_e32 v8, v5
	scratch_store_b128 off, v[5:8], off offset:224
	s_wait_loadcnt 0x0
	ds_store_b128 v26, v[1:4]
.LBB34_197:
	s_wait_alu 0xfffe
	s_or_b32 exec_lo, exec_lo, s0
	s_wait_storecnt_dscnt 0x0
	s_barrier_signal -1
	s_barrier_wait -1
	global_inv scope:SCOPE_SE
	s_clause 0x7
	scratch_load_b128 v[2:5], off, off offset:240
	scratch_load_b128 v[6:9], off, off offset:256
	;; [unrolled: 1-line block ×8, first 2 shown]
	v_mov_b32_e32 v1, 0
	s_mov_b32 s0, exec_lo
	ds_load_b128 v[108:111], v1 offset:784
	s_clause 0x1
	scratch_load_b128 v[112:115], off, off offset:368
	scratch_load_b128 v[116:119], off, off offset:224
	ds_load_b128 v[120:123], v1 offset:800
	scratch_load_b128 v[124:127], off, off offset:384
	ds_load_b128 v[128:131], v1 offset:832
	s_wait_loadcnt_dscnt 0xa02
	v_mul_f64_e32 v[31:32], v[110:111], v[4:5]
	v_mul_f64_e32 v[4:5], v[108:109], v[4:5]
	s_delay_alu instid0(VALU_DEP_2) | instskip(NEXT) | instid1(VALU_DEP_2)
	v_fma_f64 v[31:32], v[108:109], v[2:3], -v[31:32]
	v_fma_f64 v[134:135], v[110:111], v[2:3], v[4:5]
	ds_load_b128 v[2:5], v1 offset:816
	s_wait_loadcnt_dscnt 0x902
	v_mul_f64_e32 v[132:133], v[120:121], v[8:9]
	v_mul_f64_e32 v[8:9], v[122:123], v[8:9]
	scratch_load_b128 v[108:111], off, off offset:400
	s_wait_loadcnt_dscnt 0x900
	v_mul_f64_e32 v[136:137], v[2:3], v[12:13]
	v_mul_f64_e32 v[12:13], v[4:5], v[12:13]
	v_add_f64_e32 v[31:32], 0, v[31:32]
	v_fma_f64 v[122:123], v[122:123], v[6:7], v[132:133]
	v_fma_f64 v[120:121], v[120:121], v[6:7], -v[8:9]
	v_add_f64_e32 v[132:133], 0, v[134:135]
	scratch_load_b128 v[6:9], off, off offset:416
	v_fma_f64 v[136:137], v[4:5], v[10:11], v[136:137]
	v_fma_f64 v[138:139], v[2:3], v[10:11], -v[12:13]
	ds_load_b128 v[2:5], v1 offset:848
	s_wait_loadcnt 0x9
	v_mul_f64_e32 v[134:135], v[128:129], v[16:17]
	v_mul_f64_e32 v[16:17], v[130:131], v[16:17]
	scratch_load_b128 v[10:13], off, off offset:432
	v_add_f64_e32 v[31:32], v[31:32], v[120:121]
	v_add_f64_e32 v[132:133], v[132:133], v[122:123]
	s_wait_loadcnt_dscnt 0x900
	v_mul_f64_e32 v[140:141], v[2:3], v[20:21]
	v_mul_f64_e32 v[20:21], v[4:5], v[20:21]
	ds_load_b128 v[120:123], v1 offset:864
	v_fma_f64 v[130:131], v[130:131], v[14:15], v[134:135]
	v_fma_f64 v[128:129], v[128:129], v[14:15], -v[16:17]
	scratch_load_b128 v[14:17], off, off offset:448
	v_add_f64_e32 v[31:32], v[31:32], v[138:139]
	v_add_f64_e32 v[132:133], v[132:133], v[136:137]
	v_fma_f64 v[136:137], v[4:5], v[18:19], v[140:141]
	v_fma_f64 v[138:139], v[2:3], v[18:19], -v[20:21]
	ds_load_b128 v[2:5], v1 offset:880
	s_wait_loadcnt_dscnt 0x901
	v_mul_f64_e32 v[134:135], v[120:121], v[24:25]
	v_mul_f64_e32 v[24:25], v[122:123], v[24:25]
	scratch_load_b128 v[18:21], off, off offset:464
	s_wait_loadcnt_dscnt 0x900
	v_mul_f64_e32 v[140:141], v[2:3], v[29:30]
	v_mul_f64_e32 v[29:30], v[4:5], v[29:30]
	v_add_f64_e32 v[31:32], v[31:32], v[128:129]
	v_add_f64_e32 v[132:133], v[132:133], v[130:131]
	ds_load_b128 v[128:131], v1 offset:896
	v_fma_f64 v[122:123], v[122:123], v[22:23], v[134:135]
	v_fma_f64 v[120:121], v[120:121], v[22:23], -v[24:25]
	scratch_load_b128 v[22:25], off, off offset:480
	v_add_f64_e32 v[31:32], v[31:32], v[138:139]
	v_add_f64_e32 v[132:133], v[132:133], v[136:137]
	v_fma_f64 v[136:137], v[4:5], v[27:28], v[140:141]
	v_fma_f64 v[138:139], v[2:3], v[27:28], -v[29:30]
	ds_load_b128 v[2:5], v1 offset:912
	s_wait_loadcnt_dscnt 0x901
	v_mul_f64_e32 v[134:135], v[128:129], v[106:107]
	v_mul_f64_e32 v[106:107], v[130:131], v[106:107]
	scratch_load_b128 v[27:30], off, off offset:496
	s_wait_loadcnt_dscnt 0x900
	v_mul_f64_e32 v[140:141], v[2:3], v[114:115]
	v_mul_f64_e32 v[114:115], v[4:5], v[114:115]
	v_add_f64_e32 v[31:32], v[31:32], v[120:121]
	v_add_f64_e32 v[132:133], v[132:133], v[122:123]
	ds_load_b128 v[120:123], v1 offset:928
	v_fma_f64 v[130:131], v[130:131], v[104:105], v[134:135]
	v_fma_f64 v[128:129], v[128:129], v[104:105], -v[106:107]
	scratch_load_b128 v[104:107], off, off offset:512
	v_add_f64_e32 v[31:32], v[31:32], v[138:139]
	v_add_f64_e32 v[132:133], v[132:133], v[136:137]
	v_fma_f64 v[138:139], v[4:5], v[112:113], v[140:141]
	v_fma_f64 v[140:141], v[2:3], v[112:113], -v[114:115]
	ds_load_b128 v[2:5], v1 offset:944
	s_wait_loadcnt_dscnt 0x801
	v_mul_f64_e32 v[134:135], v[120:121], v[126:127]
	v_mul_f64_e32 v[136:137], v[122:123], v[126:127]
	scratch_load_b128 v[112:115], off, off offset:528
	v_add_f64_e32 v[31:32], v[31:32], v[128:129]
	v_add_f64_e32 v[130:131], v[132:133], v[130:131]
	ds_load_b128 v[126:129], v1 offset:960
	v_fma_f64 v[134:135], v[122:123], v[124:125], v[134:135]
	v_fma_f64 v[124:125], v[120:121], v[124:125], -v[136:137]
	scratch_load_b128 v[120:123], off, off offset:544
	s_wait_loadcnt_dscnt 0x901
	v_mul_f64_e32 v[132:133], v[2:3], v[110:111]
	v_mul_f64_e32 v[110:111], v[4:5], v[110:111]
	v_add_f64_e32 v[31:32], v[31:32], v[140:141]
	v_add_f64_e32 v[130:131], v[130:131], v[138:139]
	s_delay_alu instid0(VALU_DEP_4) | instskip(NEXT) | instid1(VALU_DEP_4)
	v_fma_f64 v[138:139], v[4:5], v[108:109], v[132:133]
	v_fma_f64 v[140:141], v[2:3], v[108:109], -v[110:111]
	ds_load_b128 v[2:5], v1 offset:976
	s_wait_loadcnt_dscnt 0x801
	v_mul_f64_e32 v[136:137], v[126:127], v[8:9]
	v_mul_f64_e32 v[8:9], v[128:129], v[8:9]
	scratch_load_b128 v[108:111], off, off offset:560
	v_add_f64_e32 v[31:32], v[31:32], v[124:125]
	v_add_f64_e32 v[124:125], v[130:131], v[134:135]
	s_wait_loadcnt_dscnt 0x800
	v_mul_f64_e32 v[134:135], v[2:3], v[12:13]
	v_mul_f64_e32 v[12:13], v[4:5], v[12:13]
	ds_load_b128 v[130:133], v1 offset:992
	v_fma_f64 v[128:129], v[128:129], v[6:7], v[136:137]
	v_fma_f64 v[6:7], v[126:127], v[6:7], -v[8:9]
	v_add_f64_e32 v[8:9], v[31:32], v[140:141]
	v_add_f64_e32 v[31:32], v[124:125], v[138:139]
	s_wait_loadcnt_dscnt 0x700
	v_mul_f64_e32 v[124:125], v[130:131], v[16:17]
	v_mul_f64_e32 v[16:17], v[132:133], v[16:17]
	v_fma_f64 v[126:127], v[4:5], v[10:11], v[134:135]
	v_fma_f64 v[10:11], v[2:3], v[10:11], -v[12:13]
	v_add_f64_e32 v[12:13], v[8:9], v[6:7]
	v_add_f64_e32 v[31:32], v[31:32], v[128:129]
	ds_load_b128 v[2:5], v1 offset:1008
	ds_load_b128 v[6:9], v1 offset:1024
	v_fma_f64 v[124:125], v[132:133], v[14:15], v[124:125]
	v_fma_f64 v[14:15], v[130:131], v[14:15], -v[16:17]
	s_wait_loadcnt_dscnt 0x601
	v_mul_f64_e32 v[128:129], v[2:3], v[20:21]
	v_mul_f64_e32 v[20:21], v[4:5], v[20:21]
	s_wait_loadcnt_dscnt 0x500
	v_mul_f64_e32 v[16:17], v[6:7], v[24:25]
	v_mul_f64_e32 v[24:25], v[8:9], v[24:25]
	v_add_f64_e32 v[10:11], v[12:13], v[10:11]
	v_add_f64_e32 v[12:13], v[31:32], v[126:127]
	v_fma_f64 v[31:32], v[4:5], v[18:19], v[128:129]
	v_fma_f64 v[18:19], v[2:3], v[18:19], -v[20:21]
	v_fma_f64 v[8:9], v[8:9], v[22:23], v[16:17]
	v_fma_f64 v[6:7], v[6:7], v[22:23], -v[24:25]
	v_add_f64_e32 v[14:15], v[10:11], v[14:15]
	v_add_f64_e32 v[20:21], v[12:13], v[124:125]
	ds_load_b128 v[2:5], v1 offset:1040
	ds_load_b128 v[10:13], v1 offset:1056
	s_wait_loadcnt_dscnt 0x401
	v_mul_f64_e32 v[124:125], v[2:3], v[29:30]
	v_mul_f64_e32 v[29:30], v[4:5], v[29:30]
	v_add_f64_e32 v[14:15], v[14:15], v[18:19]
	v_add_f64_e32 v[16:17], v[20:21], v[31:32]
	s_wait_loadcnt_dscnt 0x300
	v_mul_f64_e32 v[18:19], v[10:11], v[106:107]
	v_mul_f64_e32 v[20:21], v[12:13], v[106:107]
	v_fma_f64 v[22:23], v[4:5], v[27:28], v[124:125]
	v_fma_f64 v[24:25], v[2:3], v[27:28], -v[29:30]
	v_add_f64_e32 v[14:15], v[14:15], v[6:7]
	v_add_f64_e32 v[16:17], v[16:17], v[8:9]
	ds_load_b128 v[2:5], v1 offset:1072
	ds_load_b128 v[6:9], v1 offset:1088
	v_fma_f64 v[12:13], v[12:13], v[104:105], v[18:19]
	v_fma_f64 v[10:11], v[10:11], v[104:105], -v[20:21]
	s_wait_loadcnt_dscnt 0x201
	v_mul_f64_e32 v[27:28], v[2:3], v[114:115]
	v_mul_f64_e32 v[29:30], v[4:5], v[114:115]
	s_wait_loadcnt_dscnt 0x100
	v_mul_f64_e32 v[18:19], v[6:7], v[122:123]
	v_mul_f64_e32 v[20:21], v[8:9], v[122:123]
	v_add_f64_e32 v[14:15], v[14:15], v[24:25]
	v_add_f64_e32 v[16:17], v[16:17], v[22:23]
	v_fma_f64 v[22:23], v[4:5], v[112:113], v[27:28]
	v_fma_f64 v[24:25], v[2:3], v[112:113], -v[29:30]
	ds_load_b128 v[2:5], v1 offset:1104
	v_fma_f64 v[8:9], v[8:9], v[120:121], v[18:19]
	v_fma_f64 v[6:7], v[6:7], v[120:121], -v[20:21]
	v_add_f64_e32 v[10:11], v[14:15], v[10:11]
	v_add_f64_e32 v[12:13], v[16:17], v[12:13]
	s_wait_loadcnt_dscnt 0x0
	v_mul_f64_e32 v[14:15], v[2:3], v[110:111]
	v_mul_f64_e32 v[16:17], v[4:5], v[110:111]
	s_delay_alu instid0(VALU_DEP_4) | instskip(NEXT) | instid1(VALU_DEP_4)
	v_add_f64_e32 v[10:11], v[10:11], v[24:25]
	v_add_f64_e32 v[12:13], v[12:13], v[22:23]
	s_delay_alu instid0(VALU_DEP_4) | instskip(NEXT) | instid1(VALU_DEP_4)
	v_fma_f64 v[4:5], v[4:5], v[108:109], v[14:15]
	v_fma_f64 v[2:3], v[2:3], v[108:109], -v[16:17]
	s_delay_alu instid0(VALU_DEP_4) | instskip(NEXT) | instid1(VALU_DEP_4)
	v_add_f64_e32 v[6:7], v[10:11], v[6:7]
	v_add_f64_e32 v[8:9], v[12:13], v[8:9]
	s_delay_alu instid0(VALU_DEP_2) | instskip(NEXT) | instid1(VALU_DEP_2)
	v_add_f64_e32 v[2:3], v[6:7], v[2:3]
	v_add_f64_e32 v[4:5], v[8:9], v[4:5]
	s_delay_alu instid0(VALU_DEP_2) | instskip(NEXT) | instid1(VALU_DEP_2)
	v_add_f64_e64 v[2:3], v[116:117], -v[2:3]
	v_add_f64_e64 v[4:5], v[118:119], -v[4:5]
	scratch_store_b128 off, v[2:5], off offset:224
	v_cmpx_lt_u32_e32 12, v0
	s_cbranch_execz .LBB34_199
; %bb.198:
	scratch_load_b128 v[5:8], off, s36
	v_dual_mov_b32 v2, v1 :: v_dual_mov_b32 v3, v1
	v_mov_b32_e32 v4, v1
	scratch_store_b128 off, v[1:4], off offset:208
	s_wait_loadcnt 0x0
	ds_store_b128 v26, v[5:8]
.LBB34_199:
	s_wait_alu 0xfffe
	s_or_b32 exec_lo, exec_lo, s0
	s_wait_storecnt_dscnt 0x0
	s_barrier_signal -1
	s_barrier_wait -1
	global_inv scope:SCOPE_SE
	s_clause 0x8
	scratch_load_b128 v[2:5], off, off offset:224
	scratch_load_b128 v[6:9], off, off offset:240
	scratch_load_b128 v[10:13], off, off offset:256
	scratch_load_b128 v[14:17], off, off offset:272
	scratch_load_b128 v[18:21], off, off offset:288
	scratch_load_b128 v[22:25], off, off offset:304
	scratch_load_b128 v[27:30], off, off offset:320
	scratch_load_b128 v[104:107], off, off offset:336
	scratch_load_b128 v[108:111], off, off offset:352
	ds_load_b128 v[112:115], v1 offset:768
	ds_load_b128 v[116:119], v1 offset:784
	s_clause 0x1
	scratch_load_b128 v[120:123], off, off offset:208
	scratch_load_b128 v[124:127], off, off offset:368
	s_mov_b32 s0, exec_lo
	ds_load_b128 v[128:131], v1 offset:816
	s_wait_loadcnt_dscnt 0xa02
	v_mul_f64_e32 v[31:32], v[114:115], v[4:5]
	v_mul_f64_e32 v[4:5], v[112:113], v[4:5]
	s_wait_loadcnt_dscnt 0x901
	v_mul_f64_e32 v[132:133], v[116:117], v[8:9]
	v_mul_f64_e32 v[8:9], v[118:119], v[8:9]
	s_delay_alu instid0(VALU_DEP_4) | instskip(NEXT) | instid1(VALU_DEP_4)
	v_fma_f64 v[31:32], v[112:113], v[2:3], -v[31:32]
	v_fma_f64 v[134:135], v[114:115], v[2:3], v[4:5]
	ds_load_b128 v[2:5], v1 offset:800
	scratch_load_b128 v[112:115], off, off offset:384
	v_fma_f64 v[118:119], v[118:119], v[6:7], v[132:133]
	v_fma_f64 v[116:117], v[116:117], v[6:7], -v[8:9]
	scratch_load_b128 v[6:9], off, off offset:400
	s_wait_loadcnt_dscnt 0xa00
	v_mul_f64_e32 v[136:137], v[2:3], v[12:13]
	v_mul_f64_e32 v[12:13], v[4:5], v[12:13]
	v_add_f64_e32 v[31:32], 0, v[31:32]
	v_add_f64_e32 v[132:133], 0, v[134:135]
	s_wait_loadcnt 0x9
	v_mul_f64_e32 v[134:135], v[128:129], v[16:17]
	v_mul_f64_e32 v[16:17], v[130:131], v[16:17]
	v_fma_f64 v[136:137], v[4:5], v[10:11], v[136:137]
	v_fma_f64 v[138:139], v[2:3], v[10:11], -v[12:13]
	ds_load_b128 v[2:5], v1 offset:832
	scratch_load_b128 v[10:13], off, off offset:416
	v_add_f64_e32 v[31:32], v[31:32], v[116:117]
	v_add_f64_e32 v[132:133], v[132:133], v[118:119]
	ds_load_b128 v[116:119], v1 offset:848
	v_fma_f64 v[130:131], v[130:131], v[14:15], v[134:135]
	v_fma_f64 v[128:129], v[128:129], v[14:15], -v[16:17]
	scratch_load_b128 v[14:17], off, off offset:432
	s_wait_loadcnt_dscnt 0xa01
	v_mul_f64_e32 v[140:141], v[2:3], v[20:21]
	v_mul_f64_e32 v[20:21], v[4:5], v[20:21]
	s_wait_loadcnt_dscnt 0x900
	v_mul_f64_e32 v[134:135], v[116:117], v[24:25]
	v_mul_f64_e32 v[24:25], v[118:119], v[24:25]
	v_add_f64_e32 v[31:32], v[31:32], v[138:139]
	v_add_f64_e32 v[132:133], v[132:133], v[136:137]
	v_fma_f64 v[136:137], v[4:5], v[18:19], v[140:141]
	v_fma_f64 v[138:139], v[2:3], v[18:19], -v[20:21]
	ds_load_b128 v[2:5], v1 offset:864
	scratch_load_b128 v[18:21], off, off offset:448
	v_fma_f64 v[118:119], v[118:119], v[22:23], v[134:135]
	v_fma_f64 v[116:117], v[116:117], v[22:23], -v[24:25]
	scratch_load_b128 v[22:25], off, off offset:464
	v_add_f64_e32 v[31:32], v[31:32], v[128:129]
	v_add_f64_e32 v[132:133], v[132:133], v[130:131]
	ds_load_b128 v[128:131], v1 offset:880
	s_wait_loadcnt_dscnt 0xa01
	v_mul_f64_e32 v[140:141], v[2:3], v[29:30]
	v_mul_f64_e32 v[29:30], v[4:5], v[29:30]
	s_wait_loadcnt_dscnt 0x900
	v_mul_f64_e32 v[134:135], v[128:129], v[106:107]
	v_mul_f64_e32 v[106:107], v[130:131], v[106:107]
	v_add_f64_e32 v[31:32], v[31:32], v[138:139]
	v_add_f64_e32 v[132:133], v[132:133], v[136:137]
	v_fma_f64 v[136:137], v[4:5], v[27:28], v[140:141]
	v_fma_f64 v[138:139], v[2:3], v[27:28], -v[29:30]
	ds_load_b128 v[2:5], v1 offset:896
	scratch_load_b128 v[27:30], off, off offset:480
	v_fma_f64 v[130:131], v[130:131], v[104:105], v[134:135]
	v_fma_f64 v[128:129], v[128:129], v[104:105], -v[106:107]
	scratch_load_b128 v[104:107], off, off offset:496
	v_add_f64_e32 v[31:32], v[31:32], v[116:117]
	v_add_f64_e32 v[132:133], v[132:133], v[118:119]
	ds_load_b128 v[116:119], v1 offset:912
	s_wait_loadcnt_dscnt 0xa01
	v_mul_f64_e32 v[140:141], v[2:3], v[110:111]
	v_mul_f64_e32 v[110:111], v[4:5], v[110:111]
	s_wait_loadcnt_dscnt 0x800
	v_mul_f64_e32 v[134:135], v[116:117], v[126:127]
	v_add_f64_e32 v[31:32], v[31:32], v[138:139]
	v_add_f64_e32 v[132:133], v[132:133], v[136:137]
	v_mul_f64_e32 v[136:137], v[118:119], v[126:127]
	v_fma_f64 v[138:139], v[4:5], v[108:109], v[140:141]
	v_fma_f64 v[140:141], v[2:3], v[108:109], -v[110:111]
	ds_load_b128 v[2:5], v1 offset:928
	scratch_load_b128 v[108:111], off, off offset:512
	v_fma_f64 v[118:119], v[118:119], v[124:125], v[134:135]
	v_add_f64_e32 v[31:32], v[31:32], v[128:129]
	v_add_f64_e32 v[130:131], v[132:133], v[130:131]
	ds_load_b128 v[126:129], v1 offset:944
	v_fma_f64 v[124:125], v[116:117], v[124:125], -v[136:137]
	ds_load_b128 v[134:137], v1 offset:976
	s_wait_loadcnt_dscnt 0x802
	v_mul_f64_e32 v[132:133], v[2:3], v[114:115]
	v_mul_f64_e32 v[142:143], v[4:5], v[114:115]
	scratch_load_b128 v[114:117], off, off offset:528
	v_add_f64_e32 v[31:32], v[31:32], v[140:141]
	v_add_f64_e32 v[130:131], v[130:131], v[138:139]
	s_wait_loadcnt_dscnt 0x801
	v_mul_f64_e32 v[138:139], v[126:127], v[8:9]
	v_mul_f64_e32 v[8:9], v[128:129], v[8:9]
	v_fma_f64 v[140:141], v[4:5], v[112:113], v[132:133]
	v_fma_f64 v[112:113], v[2:3], v[112:113], -v[142:143]
	ds_load_b128 v[2:5], v1 offset:960
	v_add_f64_e32 v[31:32], v[31:32], v[124:125]
	v_add_f64_e32 v[118:119], v[130:131], v[118:119]
	scratch_load_b128 v[130:133], off, off offset:544
	s_wait_loadcnt_dscnt 0x800
	v_mul_f64_e32 v[124:125], v[2:3], v[12:13]
	v_mul_f64_e32 v[12:13], v[4:5], v[12:13]
	v_fma_f64 v[128:129], v[128:129], v[6:7], v[138:139]
	v_fma_f64 v[126:127], v[126:127], v[6:7], -v[8:9]
	scratch_load_b128 v[6:9], off, off offset:560
	v_add_f64_e32 v[31:32], v[31:32], v[112:113]
	v_add_f64_e32 v[112:113], v[118:119], v[140:141]
	s_wait_loadcnt 0x8
	v_mul_f64_e32 v[118:119], v[134:135], v[16:17]
	v_mul_f64_e32 v[16:17], v[136:137], v[16:17]
	v_fma_f64 v[124:125], v[4:5], v[10:11], v[124:125]
	v_fma_f64 v[138:139], v[2:3], v[10:11], -v[12:13]
	ds_load_b128 v[2:5], v1 offset:992
	ds_load_b128 v[10:13], v1 offset:1008
	v_add_f64_e32 v[31:32], v[31:32], v[126:127]
	v_add_f64_e32 v[112:113], v[112:113], v[128:129]
	s_wait_loadcnt_dscnt 0x701
	v_mul_f64_e32 v[126:127], v[2:3], v[20:21]
	v_mul_f64_e32 v[20:21], v[4:5], v[20:21]
	v_fma_f64 v[118:119], v[136:137], v[14:15], v[118:119]
	v_fma_f64 v[14:15], v[134:135], v[14:15], -v[16:17]
	v_add_f64_e32 v[16:17], v[31:32], v[138:139]
	v_add_f64_e32 v[31:32], v[112:113], v[124:125]
	s_wait_loadcnt_dscnt 0x600
	v_mul_f64_e32 v[112:113], v[10:11], v[24:25]
	v_mul_f64_e32 v[24:25], v[12:13], v[24:25]
	v_fma_f64 v[124:125], v[4:5], v[18:19], v[126:127]
	v_fma_f64 v[18:19], v[2:3], v[18:19], -v[20:21]
	v_add_f64_e32 v[20:21], v[16:17], v[14:15]
	v_add_f64_e32 v[31:32], v[31:32], v[118:119]
	ds_load_b128 v[2:5], v1 offset:1024
	ds_load_b128 v[14:17], v1 offset:1040
	v_fma_f64 v[12:13], v[12:13], v[22:23], v[112:113]
	v_fma_f64 v[10:11], v[10:11], v[22:23], -v[24:25]
	s_wait_loadcnt_dscnt 0x501
	v_mul_f64_e32 v[118:119], v[2:3], v[29:30]
	v_mul_f64_e32 v[29:30], v[4:5], v[29:30]
	s_wait_loadcnt_dscnt 0x400
	v_mul_f64_e32 v[22:23], v[14:15], v[106:107]
	v_mul_f64_e32 v[24:25], v[16:17], v[106:107]
	v_add_f64_e32 v[18:19], v[20:21], v[18:19]
	v_add_f64_e32 v[20:21], v[31:32], v[124:125]
	v_fma_f64 v[31:32], v[4:5], v[27:28], v[118:119]
	v_fma_f64 v[27:28], v[2:3], v[27:28], -v[29:30]
	v_fma_f64 v[16:17], v[16:17], v[104:105], v[22:23]
	v_fma_f64 v[14:15], v[14:15], v[104:105], -v[24:25]
	v_add_f64_e32 v[18:19], v[18:19], v[10:11]
	v_add_f64_e32 v[20:21], v[20:21], v[12:13]
	ds_load_b128 v[2:5], v1 offset:1056
	ds_load_b128 v[10:13], v1 offset:1072
	s_wait_loadcnt_dscnt 0x301
	v_mul_f64_e32 v[29:30], v[2:3], v[110:111]
	v_mul_f64_e32 v[106:107], v[4:5], v[110:111]
	s_wait_loadcnt_dscnt 0x200
	v_mul_f64_e32 v[22:23], v[10:11], v[116:117]
	v_add_f64_e32 v[18:19], v[18:19], v[27:28]
	v_add_f64_e32 v[20:21], v[20:21], v[31:32]
	v_mul_f64_e32 v[24:25], v[12:13], v[116:117]
	v_fma_f64 v[27:28], v[4:5], v[108:109], v[29:30]
	v_fma_f64 v[29:30], v[2:3], v[108:109], -v[106:107]
	v_fma_f64 v[12:13], v[12:13], v[114:115], v[22:23]
	v_add_f64_e32 v[18:19], v[18:19], v[14:15]
	v_add_f64_e32 v[20:21], v[20:21], v[16:17]
	ds_load_b128 v[2:5], v1 offset:1088
	ds_load_b128 v[14:17], v1 offset:1104
	v_fma_f64 v[10:11], v[10:11], v[114:115], -v[24:25]
	s_wait_loadcnt_dscnt 0x101
	v_mul_f64_e32 v[31:32], v[2:3], v[132:133]
	v_mul_f64_e32 v[104:105], v[4:5], v[132:133]
	s_wait_loadcnt_dscnt 0x0
	v_mul_f64_e32 v[22:23], v[14:15], v[8:9]
	v_mul_f64_e32 v[8:9], v[16:17], v[8:9]
	v_add_f64_e32 v[18:19], v[18:19], v[29:30]
	v_add_f64_e32 v[20:21], v[20:21], v[27:28]
	v_fma_f64 v[4:5], v[4:5], v[130:131], v[31:32]
	v_fma_f64 v[1:2], v[2:3], v[130:131], -v[104:105]
	v_fma_f64 v[16:17], v[16:17], v[6:7], v[22:23]
	v_fma_f64 v[6:7], v[14:15], v[6:7], -v[8:9]
	v_add_f64_e32 v[10:11], v[18:19], v[10:11]
	v_add_f64_e32 v[12:13], v[20:21], v[12:13]
	s_delay_alu instid0(VALU_DEP_2) | instskip(NEXT) | instid1(VALU_DEP_2)
	v_add_f64_e32 v[1:2], v[10:11], v[1:2]
	v_add_f64_e32 v[3:4], v[12:13], v[4:5]
	s_delay_alu instid0(VALU_DEP_2) | instskip(NEXT) | instid1(VALU_DEP_2)
	v_add_f64_e32 v[1:2], v[1:2], v[6:7]
	v_add_f64_e32 v[3:4], v[3:4], v[16:17]
	s_delay_alu instid0(VALU_DEP_2) | instskip(NEXT) | instid1(VALU_DEP_2)
	v_add_f64_e64 v[1:2], v[120:121], -v[1:2]
	v_add_f64_e64 v[3:4], v[122:123], -v[3:4]
	scratch_store_b128 off, v[1:4], off offset:208
	v_cmpx_lt_u32_e32 11, v0
	s_cbranch_execz .LBB34_201
; %bb.200:
	scratch_load_b128 v[1:4], off, s37
	v_mov_b32_e32 v5, 0
	s_delay_alu instid0(VALU_DEP_1)
	v_dual_mov_b32 v6, v5 :: v_dual_mov_b32 v7, v5
	v_mov_b32_e32 v8, v5
	scratch_store_b128 off, v[5:8], off offset:192
	s_wait_loadcnt 0x0
	ds_store_b128 v26, v[1:4]
.LBB34_201:
	s_wait_alu 0xfffe
	s_or_b32 exec_lo, exec_lo, s0
	s_wait_storecnt_dscnt 0x0
	s_barrier_signal -1
	s_barrier_wait -1
	global_inv scope:SCOPE_SE
	s_clause 0x7
	scratch_load_b128 v[2:5], off, off offset:208
	scratch_load_b128 v[6:9], off, off offset:224
	scratch_load_b128 v[10:13], off, off offset:240
	scratch_load_b128 v[14:17], off, off offset:256
	scratch_load_b128 v[18:21], off, off offset:272
	scratch_load_b128 v[22:25], off, off offset:288
	scratch_load_b128 v[27:30], off, off offset:304
	scratch_load_b128 v[104:107], off, off offset:320
	v_mov_b32_e32 v1, 0
	s_mov_b32 s0, exec_lo
	ds_load_b128 v[108:111], v1 offset:752
	s_clause 0x1
	scratch_load_b128 v[112:115], off, off offset:336
	scratch_load_b128 v[116:119], off, off offset:192
	ds_load_b128 v[120:123], v1 offset:768
	scratch_load_b128 v[124:127], off, off offset:352
	ds_load_b128 v[128:131], v1 offset:800
	s_wait_loadcnt_dscnt 0xa02
	v_mul_f64_e32 v[31:32], v[110:111], v[4:5]
	v_mul_f64_e32 v[4:5], v[108:109], v[4:5]
	s_delay_alu instid0(VALU_DEP_2) | instskip(NEXT) | instid1(VALU_DEP_2)
	v_fma_f64 v[31:32], v[108:109], v[2:3], -v[31:32]
	v_fma_f64 v[134:135], v[110:111], v[2:3], v[4:5]
	ds_load_b128 v[2:5], v1 offset:784
	s_wait_loadcnt_dscnt 0x902
	v_mul_f64_e32 v[132:133], v[120:121], v[8:9]
	v_mul_f64_e32 v[8:9], v[122:123], v[8:9]
	scratch_load_b128 v[108:111], off, off offset:368
	s_wait_loadcnt_dscnt 0x900
	v_mul_f64_e32 v[136:137], v[2:3], v[12:13]
	v_mul_f64_e32 v[12:13], v[4:5], v[12:13]
	v_add_f64_e32 v[31:32], 0, v[31:32]
	v_fma_f64 v[122:123], v[122:123], v[6:7], v[132:133]
	v_fma_f64 v[120:121], v[120:121], v[6:7], -v[8:9]
	v_add_f64_e32 v[132:133], 0, v[134:135]
	scratch_load_b128 v[6:9], off, off offset:384
	v_fma_f64 v[136:137], v[4:5], v[10:11], v[136:137]
	v_fma_f64 v[138:139], v[2:3], v[10:11], -v[12:13]
	ds_load_b128 v[2:5], v1 offset:816
	s_wait_loadcnt 0x9
	v_mul_f64_e32 v[134:135], v[128:129], v[16:17]
	v_mul_f64_e32 v[16:17], v[130:131], v[16:17]
	scratch_load_b128 v[10:13], off, off offset:400
	v_add_f64_e32 v[31:32], v[31:32], v[120:121]
	v_add_f64_e32 v[132:133], v[132:133], v[122:123]
	s_wait_loadcnt_dscnt 0x900
	v_mul_f64_e32 v[140:141], v[2:3], v[20:21]
	v_mul_f64_e32 v[20:21], v[4:5], v[20:21]
	ds_load_b128 v[120:123], v1 offset:832
	v_fma_f64 v[130:131], v[130:131], v[14:15], v[134:135]
	v_fma_f64 v[128:129], v[128:129], v[14:15], -v[16:17]
	scratch_load_b128 v[14:17], off, off offset:416
	v_add_f64_e32 v[31:32], v[31:32], v[138:139]
	v_add_f64_e32 v[132:133], v[132:133], v[136:137]
	v_fma_f64 v[136:137], v[4:5], v[18:19], v[140:141]
	v_fma_f64 v[138:139], v[2:3], v[18:19], -v[20:21]
	ds_load_b128 v[2:5], v1 offset:848
	s_wait_loadcnt_dscnt 0x901
	v_mul_f64_e32 v[134:135], v[120:121], v[24:25]
	v_mul_f64_e32 v[24:25], v[122:123], v[24:25]
	scratch_load_b128 v[18:21], off, off offset:432
	s_wait_loadcnt_dscnt 0x900
	v_mul_f64_e32 v[140:141], v[2:3], v[29:30]
	v_mul_f64_e32 v[29:30], v[4:5], v[29:30]
	v_add_f64_e32 v[31:32], v[31:32], v[128:129]
	v_add_f64_e32 v[132:133], v[132:133], v[130:131]
	ds_load_b128 v[128:131], v1 offset:864
	v_fma_f64 v[122:123], v[122:123], v[22:23], v[134:135]
	v_fma_f64 v[120:121], v[120:121], v[22:23], -v[24:25]
	scratch_load_b128 v[22:25], off, off offset:448
	v_add_f64_e32 v[31:32], v[31:32], v[138:139]
	v_add_f64_e32 v[132:133], v[132:133], v[136:137]
	v_fma_f64 v[136:137], v[4:5], v[27:28], v[140:141]
	v_fma_f64 v[138:139], v[2:3], v[27:28], -v[29:30]
	ds_load_b128 v[2:5], v1 offset:880
	s_wait_loadcnt_dscnt 0x901
	v_mul_f64_e32 v[134:135], v[128:129], v[106:107]
	v_mul_f64_e32 v[106:107], v[130:131], v[106:107]
	scratch_load_b128 v[27:30], off, off offset:464
	s_wait_loadcnt_dscnt 0x900
	v_mul_f64_e32 v[140:141], v[2:3], v[114:115]
	v_mul_f64_e32 v[114:115], v[4:5], v[114:115]
	v_add_f64_e32 v[31:32], v[31:32], v[120:121]
	v_add_f64_e32 v[132:133], v[132:133], v[122:123]
	ds_load_b128 v[120:123], v1 offset:896
	v_fma_f64 v[130:131], v[130:131], v[104:105], v[134:135]
	v_fma_f64 v[128:129], v[128:129], v[104:105], -v[106:107]
	scratch_load_b128 v[104:107], off, off offset:480
	v_add_f64_e32 v[31:32], v[31:32], v[138:139]
	v_add_f64_e32 v[132:133], v[132:133], v[136:137]
	v_fma_f64 v[138:139], v[4:5], v[112:113], v[140:141]
	v_fma_f64 v[140:141], v[2:3], v[112:113], -v[114:115]
	ds_load_b128 v[2:5], v1 offset:912
	s_wait_loadcnt_dscnt 0x801
	v_mul_f64_e32 v[134:135], v[120:121], v[126:127]
	v_mul_f64_e32 v[136:137], v[122:123], v[126:127]
	scratch_load_b128 v[112:115], off, off offset:496
	v_add_f64_e32 v[31:32], v[31:32], v[128:129]
	v_add_f64_e32 v[130:131], v[132:133], v[130:131]
	ds_load_b128 v[126:129], v1 offset:928
	v_fma_f64 v[134:135], v[122:123], v[124:125], v[134:135]
	v_fma_f64 v[124:125], v[120:121], v[124:125], -v[136:137]
	scratch_load_b128 v[120:123], off, off offset:512
	s_wait_loadcnt_dscnt 0x901
	v_mul_f64_e32 v[132:133], v[2:3], v[110:111]
	v_mul_f64_e32 v[110:111], v[4:5], v[110:111]
	v_add_f64_e32 v[31:32], v[31:32], v[140:141]
	v_add_f64_e32 v[130:131], v[130:131], v[138:139]
	s_delay_alu instid0(VALU_DEP_4) | instskip(NEXT) | instid1(VALU_DEP_4)
	v_fma_f64 v[138:139], v[4:5], v[108:109], v[132:133]
	v_fma_f64 v[140:141], v[2:3], v[108:109], -v[110:111]
	ds_load_b128 v[2:5], v1 offset:944
	s_wait_loadcnt_dscnt 0x801
	v_mul_f64_e32 v[136:137], v[126:127], v[8:9]
	v_mul_f64_e32 v[8:9], v[128:129], v[8:9]
	scratch_load_b128 v[108:111], off, off offset:528
	v_add_f64_e32 v[31:32], v[31:32], v[124:125]
	v_add_f64_e32 v[124:125], v[130:131], v[134:135]
	s_wait_loadcnt_dscnt 0x800
	v_mul_f64_e32 v[134:135], v[2:3], v[12:13]
	v_mul_f64_e32 v[12:13], v[4:5], v[12:13]
	ds_load_b128 v[130:133], v1 offset:960
	v_fma_f64 v[128:129], v[128:129], v[6:7], v[136:137]
	v_fma_f64 v[126:127], v[126:127], v[6:7], -v[8:9]
	scratch_load_b128 v[6:9], off, off offset:544
	v_add_f64_e32 v[31:32], v[31:32], v[140:141]
	v_add_f64_e32 v[124:125], v[124:125], v[138:139]
	v_fma_f64 v[134:135], v[4:5], v[10:11], v[134:135]
	v_fma_f64 v[138:139], v[2:3], v[10:11], -v[12:13]
	ds_load_b128 v[2:5], v1 offset:976
	s_wait_loadcnt_dscnt 0x801
	v_mul_f64_e32 v[136:137], v[130:131], v[16:17]
	v_mul_f64_e32 v[16:17], v[132:133], v[16:17]
	scratch_load_b128 v[10:13], off, off offset:560
	s_wait_loadcnt_dscnt 0x800
	v_mul_f64_e32 v[140:141], v[2:3], v[20:21]
	v_mul_f64_e32 v[20:21], v[4:5], v[20:21]
	v_add_f64_e32 v[31:32], v[31:32], v[126:127]
	v_add_f64_e32 v[128:129], v[124:125], v[128:129]
	ds_load_b128 v[124:127], v1 offset:992
	v_fma_f64 v[132:133], v[132:133], v[14:15], v[136:137]
	v_fma_f64 v[14:15], v[130:131], v[14:15], -v[16:17]
	v_fma_f64 v[130:131], v[4:5], v[18:19], v[140:141]
	v_fma_f64 v[18:19], v[2:3], v[18:19], -v[20:21]
	v_add_f64_e32 v[16:17], v[31:32], v[138:139]
	v_add_f64_e32 v[31:32], v[128:129], v[134:135]
	s_wait_loadcnt_dscnt 0x700
	v_mul_f64_e32 v[128:129], v[124:125], v[24:25]
	v_mul_f64_e32 v[24:25], v[126:127], v[24:25]
	s_delay_alu instid0(VALU_DEP_4) | instskip(NEXT) | instid1(VALU_DEP_4)
	v_add_f64_e32 v[20:21], v[16:17], v[14:15]
	v_add_f64_e32 v[31:32], v[31:32], v[132:133]
	ds_load_b128 v[2:5], v1 offset:1008
	ds_load_b128 v[14:17], v1 offset:1024
	v_fma_f64 v[126:127], v[126:127], v[22:23], v[128:129]
	v_fma_f64 v[22:23], v[124:125], v[22:23], -v[24:25]
	s_wait_loadcnt_dscnt 0x601
	v_mul_f64_e32 v[132:133], v[2:3], v[29:30]
	v_mul_f64_e32 v[29:30], v[4:5], v[29:30]
	s_wait_loadcnt_dscnt 0x500
	v_mul_f64_e32 v[24:25], v[14:15], v[106:107]
	v_add_f64_e32 v[18:19], v[20:21], v[18:19]
	v_add_f64_e32 v[20:21], v[31:32], v[130:131]
	v_mul_f64_e32 v[31:32], v[16:17], v[106:107]
	v_fma_f64 v[106:107], v[4:5], v[27:28], v[132:133]
	v_fma_f64 v[27:28], v[2:3], v[27:28], -v[29:30]
	v_fma_f64 v[16:17], v[16:17], v[104:105], v[24:25]
	v_add_f64_e32 v[22:23], v[18:19], v[22:23]
	v_add_f64_e32 v[29:30], v[20:21], v[126:127]
	ds_load_b128 v[2:5], v1 offset:1040
	ds_load_b128 v[18:21], v1 offset:1056
	v_fma_f64 v[14:15], v[14:15], v[104:105], -v[31:32]
	s_wait_loadcnt_dscnt 0x401
	v_mul_f64_e32 v[124:125], v[2:3], v[114:115]
	v_mul_f64_e32 v[114:115], v[4:5], v[114:115]
	v_add_f64_e32 v[22:23], v[22:23], v[27:28]
	v_add_f64_e32 v[24:25], v[29:30], v[106:107]
	s_wait_loadcnt_dscnt 0x300
	v_mul_f64_e32 v[27:28], v[18:19], v[122:123]
	v_mul_f64_e32 v[29:30], v[20:21], v[122:123]
	v_fma_f64 v[31:32], v[4:5], v[112:113], v[124:125]
	v_fma_f64 v[104:105], v[2:3], v[112:113], -v[114:115]
	v_add_f64_e32 v[22:23], v[22:23], v[14:15]
	v_add_f64_e32 v[24:25], v[24:25], v[16:17]
	ds_load_b128 v[2:5], v1 offset:1072
	ds_load_b128 v[14:17], v1 offset:1088
	v_fma_f64 v[20:21], v[20:21], v[120:121], v[27:28]
	v_fma_f64 v[18:19], v[18:19], v[120:121], -v[29:30]
	s_wait_loadcnt_dscnt 0x201
	v_mul_f64_e32 v[106:107], v[2:3], v[110:111]
	v_mul_f64_e32 v[110:111], v[4:5], v[110:111]
	s_wait_loadcnt_dscnt 0x100
	v_mul_f64_e32 v[27:28], v[14:15], v[8:9]
	v_add_f64_e32 v[22:23], v[22:23], v[104:105]
	v_add_f64_e32 v[24:25], v[24:25], v[31:32]
	v_mul_f64_e32 v[8:9], v[16:17], v[8:9]
	v_fma_f64 v[29:30], v[4:5], v[108:109], v[106:107]
	v_fma_f64 v[31:32], v[2:3], v[108:109], -v[110:111]
	ds_load_b128 v[2:5], v1 offset:1104
	v_fma_f64 v[16:17], v[16:17], v[6:7], v[27:28]
	v_add_f64_e32 v[18:19], v[22:23], v[18:19]
	v_add_f64_e32 v[20:21], v[24:25], v[20:21]
	v_fma_f64 v[6:7], v[14:15], v[6:7], -v[8:9]
	s_wait_loadcnt_dscnt 0x0
	v_mul_f64_e32 v[22:23], v[2:3], v[12:13]
	v_mul_f64_e32 v[12:13], v[4:5], v[12:13]
	v_add_f64_e32 v[8:9], v[18:19], v[31:32]
	v_add_f64_e32 v[14:15], v[20:21], v[29:30]
	s_delay_alu instid0(VALU_DEP_4) | instskip(NEXT) | instid1(VALU_DEP_4)
	v_fma_f64 v[4:5], v[4:5], v[10:11], v[22:23]
	v_fma_f64 v[2:3], v[2:3], v[10:11], -v[12:13]
	s_delay_alu instid0(VALU_DEP_4) | instskip(NEXT) | instid1(VALU_DEP_4)
	v_add_f64_e32 v[6:7], v[8:9], v[6:7]
	v_add_f64_e32 v[8:9], v[14:15], v[16:17]
	s_delay_alu instid0(VALU_DEP_2) | instskip(NEXT) | instid1(VALU_DEP_2)
	v_add_f64_e32 v[2:3], v[6:7], v[2:3]
	v_add_f64_e32 v[4:5], v[8:9], v[4:5]
	s_delay_alu instid0(VALU_DEP_2) | instskip(NEXT) | instid1(VALU_DEP_2)
	v_add_f64_e64 v[2:3], v[116:117], -v[2:3]
	v_add_f64_e64 v[4:5], v[118:119], -v[4:5]
	scratch_store_b128 off, v[2:5], off offset:192
	v_cmpx_lt_u32_e32 10, v0
	s_cbranch_execz .LBB34_203
; %bb.202:
	scratch_load_b128 v[5:8], off, s38
	v_dual_mov_b32 v2, v1 :: v_dual_mov_b32 v3, v1
	v_mov_b32_e32 v4, v1
	scratch_store_b128 off, v[1:4], off offset:176
	s_wait_loadcnt 0x0
	ds_store_b128 v26, v[5:8]
.LBB34_203:
	s_wait_alu 0xfffe
	s_or_b32 exec_lo, exec_lo, s0
	s_wait_storecnt_dscnt 0x0
	s_barrier_signal -1
	s_barrier_wait -1
	global_inv scope:SCOPE_SE
	s_clause 0x8
	scratch_load_b128 v[2:5], off, off offset:192
	scratch_load_b128 v[6:9], off, off offset:208
	;; [unrolled: 1-line block ×9, first 2 shown]
	ds_load_b128 v[112:115], v1 offset:736
	ds_load_b128 v[116:119], v1 offset:752
	s_clause 0x1
	scratch_load_b128 v[120:123], off, off offset:176
	scratch_load_b128 v[124:127], off, off offset:336
	s_mov_b32 s0, exec_lo
	ds_load_b128 v[128:131], v1 offset:784
	s_wait_loadcnt_dscnt 0xa02
	v_mul_f64_e32 v[31:32], v[114:115], v[4:5]
	v_mul_f64_e32 v[4:5], v[112:113], v[4:5]
	s_wait_loadcnt_dscnt 0x901
	v_mul_f64_e32 v[132:133], v[116:117], v[8:9]
	v_mul_f64_e32 v[8:9], v[118:119], v[8:9]
	s_delay_alu instid0(VALU_DEP_4) | instskip(NEXT) | instid1(VALU_DEP_4)
	v_fma_f64 v[31:32], v[112:113], v[2:3], -v[31:32]
	v_fma_f64 v[134:135], v[114:115], v[2:3], v[4:5]
	ds_load_b128 v[2:5], v1 offset:768
	scratch_load_b128 v[112:115], off, off offset:352
	v_fma_f64 v[118:119], v[118:119], v[6:7], v[132:133]
	v_fma_f64 v[116:117], v[116:117], v[6:7], -v[8:9]
	scratch_load_b128 v[6:9], off, off offset:368
	s_wait_loadcnt_dscnt 0xa00
	v_mul_f64_e32 v[136:137], v[2:3], v[12:13]
	v_mul_f64_e32 v[12:13], v[4:5], v[12:13]
	v_add_f64_e32 v[31:32], 0, v[31:32]
	v_add_f64_e32 v[132:133], 0, v[134:135]
	s_wait_loadcnt 0x9
	v_mul_f64_e32 v[134:135], v[128:129], v[16:17]
	v_mul_f64_e32 v[16:17], v[130:131], v[16:17]
	v_fma_f64 v[136:137], v[4:5], v[10:11], v[136:137]
	v_fma_f64 v[138:139], v[2:3], v[10:11], -v[12:13]
	ds_load_b128 v[2:5], v1 offset:800
	scratch_load_b128 v[10:13], off, off offset:384
	v_add_f64_e32 v[31:32], v[31:32], v[116:117]
	v_add_f64_e32 v[132:133], v[132:133], v[118:119]
	ds_load_b128 v[116:119], v1 offset:816
	v_fma_f64 v[130:131], v[130:131], v[14:15], v[134:135]
	v_fma_f64 v[128:129], v[128:129], v[14:15], -v[16:17]
	scratch_load_b128 v[14:17], off, off offset:400
	s_wait_loadcnt_dscnt 0xa01
	v_mul_f64_e32 v[140:141], v[2:3], v[20:21]
	v_mul_f64_e32 v[20:21], v[4:5], v[20:21]
	s_wait_loadcnt_dscnt 0x900
	v_mul_f64_e32 v[134:135], v[116:117], v[24:25]
	v_mul_f64_e32 v[24:25], v[118:119], v[24:25]
	v_add_f64_e32 v[31:32], v[31:32], v[138:139]
	v_add_f64_e32 v[132:133], v[132:133], v[136:137]
	v_fma_f64 v[136:137], v[4:5], v[18:19], v[140:141]
	v_fma_f64 v[138:139], v[2:3], v[18:19], -v[20:21]
	ds_load_b128 v[2:5], v1 offset:832
	scratch_load_b128 v[18:21], off, off offset:416
	v_fma_f64 v[118:119], v[118:119], v[22:23], v[134:135]
	v_fma_f64 v[116:117], v[116:117], v[22:23], -v[24:25]
	scratch_load_b128 v[22:25], off, off offset:432
	v_add_f64_e32 v[31:32], v[31:32], v[128:129]
	v_add_f64_e32 v[132:133], v[132:133], v[130:131]
	ds_load_b128 v[128:131], v1 offset:848
	s_wait_loadcnt_dscnt 0xa01
	v_mul_f64_e32 v[140:141], v[2:3], v[29:30]
	v_mul_f64_e32 v[29:30], v[4:5], v[29:30]
	s_wait_loadcnt_dscnt 0x900
	v_mul_f64_e32 v[134:135], v[128:129], v[106:107]
	v_mul_f64_e32 v[106:107], v[130:131], v[106:107]
	v_add_f64_e32 v[31:32], v[31:32], v[138:139]
	v_add_f64_e32 v[132:133], v[132:133], v[136:137]
	v_fma_f64 v[136:137], v[4:5], v[27:28], v[140:141]
	v_fma_f64 v[138:139], v[2:3], v[27:28], -v[29:30]
	ds_load_b128 v[2:5], v1 offset:864
	scratch_load_b128 v[27:30], off, off offset:448
	v_fma_f64 v[130:131], v[130:131], v[104:105], v[134:135]
	v_fma_f64 v[128:129], v[128:129], v[104:105], -v[106:107]
	scratch_load_b128 v[104:107], off, off offset:464
	v_add_f64_e32 v[31:32], v[31:32], v[116:117]
	v_add_f64_e32 v[132:133], v[132:133], v[118:119]
	ds_load_b128 v[116:119], v1 offset:880
	s_wait_loadcnt_dscnt 0xa01
	v_mul_f64_e32 v[140:141], v[2:3], v[110:111]
	v_mul_f64_e32 v[110:111], v[4:5], v[110:111]
	s_wait_loadcnt_dscnt 0x800
	v_mul_f64_e32 v[134:135], v[116:117], v[126:127]
	v_add_f64_e32 v[31:32], v[31:32], v[138:139]
	v_add_f64_e32 v[132:133], v[132:133], v[136:137]
	v_mul_f64_e32 v[136:137], v[118:119], v[126:127]
	v_fma_f64 v[138:139], v[4:5], v[108:109], v[140:141]
	v_fma_f64 v[140:141], v[2:3], v[108:109], -v[110:111]
	ds_load_b128 v[2:5], v1 offset:896
	scratch_load_b128 v[108:111], off, off offset:480
	v_fma_f64 v[118:119], v[118:119], v[124:125], v[134:135]
	v_add_f64_e32 v[31:32], v[31:32], v[128:129]
	v_add_f64_e32 v[130:131], v[132:133], v[130:131]
	ds_load_b128 v[126:129], v1 offset:912
	v_fma_f64 v[124:125], v[116:117], v[124:125], -v[136:137]
	ds_load_b128 v[134:137], v1 offset:944
	s_wait_loadcnt_dscnt 0x802
	v_mul_f64_e32 v[132:133], v[2:3], v[114:115]
	v_mul_f64_e32 v[142:143], v[4:5], v[114:115]
	scratch_load_b128 v[114:117], off, off offset:496
	v_add_f64_e32 v[31:32], v[31:32], v[140:141]
	v_add_f64_e32 v[130:131], v[130:131], v[138:139]
	s_wait_loadcnt_dscnt 0x801
	v_mul_f64_e32 v[138:139], v[126:127], v[8:9]
	v_mul_f64_e32 v[8:9], v[128:129], v[8:9]
	v_fma_f64 v[140:141], v[4:5], v[112:113], v[132:133]
	v_fma_f64 v[112:113], v[2:3], v[112:113], -v[142:143]
	ds_load_b128 v[2:5], v1 offset:928
	v_add_f64_e32 v[31:32], v[31:32], v[124:125]
	v_add_f64_e32 v[118:119], v[130:131], v[118:119]
	scratch_load_b128 v[130:133], off, off offset:512
	s_wait_loadcnt_dscnt 0x800
	v_mul_f64_e32 v[124:125], v[2:3], v[12:13]
	v_mul_f64_e32 v[12:13], v[4:5], v[12:13]
	v_fma_f64 v[128:129], v[128:129], v[6:7], v[138:139]
	v_fma_f64 v[126:127], v[126:127], v[6:7], -v[8:9]
	scratch_load_b128 v[6:9], off, off offset:528
	v_add_f64_e32 v[31:32], v[31:32], v[112:113]
	v_add_f64_e32 v[112:113], v[118:119], v[140:141]
	s_wait_loadcnt 0x8
	v_mul_f64_e32 v[118:119], v[134:135], v[16:17]
	v_mul_f64_e32 v[16:17], v[136:137], v[16:17]
	v_fma_f64 v[138:139], v[4:5], v[10:11], v[124:125]
	v_fma_f64 v[140:141], v[2:3], v[10:11], -v[12:13]
	ds_load_b128 v[2:5], v1 offset:960
	scratch_load_b128 v[10:13], off, off offset:544
	v_add_f64_e32 v[31:32], v[31:32], v[126:127]
	v_add_f64_e32 v[112:113], v[112:113], v[128:129]
	ds_load_b128 v[124:127], v1 offset:976
	s_wait_loadcnt_dscnt 0x801
	v_mul_f64_e32 v[128:129], v[2:3], v[20:21]
	v_mul_f64_e32 v[20:21], v[4:5], v[20:21]
	v_fma_f64 v[118:119], v[136:137], v[14:15], v[118:119]
	v_fma_f64 v[134:135], v[134:135], v[14:15], -v[16:17]
	scratch_load_b128 v[14:17], off, off offset:560
	s_wait_loadcnt_dscnt 0x800
	v_mul_f64_e32 v[136:137], v[124:125], v[24:25]
	v_mul_f64_e32 v[24:25], v[126:127], v[24:25]
	v_add_f64_e32 v[31:32], v[31:32], v[140:141]
	v_add_f64_e32 v[112:113], v[112:113], v[138:139]
	v_fma_f64 v[128:129], v[4:5], v[18:19], v[128:129]
	v_fma_f64 v[138:139], v[2:3], v[18:19], -v[20:21]
	ds_load_b128 v[2:5], v1 offset:992
	ds_load_b128 v[18:21], v1 offset:1008
	v_fma_f64 v[126:127], v[126:127], v[22:23], v[136:137]
	v_fma_f64 v[22:23], v[124:125], v[22:23], -v[24:25]
	v_add_f64_e32 v[31:32], v[31:32], v[134:135]
	v_add_f64_e32 v[112:113], v[112:113], v[118:119]
	s_wait_loadcnt_dscnt 0x701
	v_mul_f64_e32 v[118:119], v[2:3], v[29:30]
	v_mul_f64_e32 v[29:30], v[4:5], v[29:30]
	s_delay_alu instid0(VALU_DEP_4) | instskip(NEXT) | instid1(VALU_DEP_4)
	v_add_f64_e32 v[24:25], v[31:32], v[138:139]
	v_add_f64_e32 v[31:32], v[112:113], v[128:129]
	s_wait_loadcnt_dscnt 0x600
	v_mul_f64_e32 v[112:113], v[18:19], v[106:107]
	v_mul_f64_e32 v[106:107], v[20:21], v[106:107]
	v_fma_f64 v[118:119], v[4:5], v[27:28], v[118:119]
	v_fma_f64 v[27:28], v[2:3], v[27:28], -v[29:30]
	v_add_f64_e32 v[29:30], v[24:25], v[22:23]
	v_add_f64_e32 v[31:32], v[31:32], v[126:127]
	ds_load_b128 v[2:5], v1 offset:1024
	ds_load_b128 v[22:25], v1 offset:1040
	v_fma_f64 v[20:21], v[20:21], v[104:105], v[112:113]
	v_fma_f64 v[18:19], v[18:19], v[104:105], -v[106:107]
	s_wait_loadcnt_dscnt 0x501
	v_mul_f64_e32 v[124:125], v[2:3], v[110:111]
	v_mul_f64_e32 v[110:111], v[4:5], v[110:111]
	s_wait_loadcnt_dscnt 0x400
	v_mul_f64_e32 v[104:105], v[24:25], v[116:117]
	v_add_f64_e32 v[27:28], v[29:30], v[27:28]
	v_add_f64_e32 v[29:30], v[31:32], v[118:119]
	v_mul_f64_e32 v[31:32], v[22:23], v[116:117]
	v_fma_f64 v[106:107], v[4:5], v[108:109], v[124:125]
	v_fma_f64 v[108:109], v[2:3], v[108:109], -v[110:111]
	v_fma_f64 v[22:23], v[22:23], v[114:115], -v[104:105]
	v_add_f64_e32 v[27:28], v[27:28], v[18:19]
	v_add_f64_e32 v[29:30], v[29:30], v[20:21]
	ds_load_b128 v[2:5], v1 offset:1056
	ds_load_b128 v[18:21], v1 offset:1072
	v_fma_f64 v[24:25], v[24:25], v[114:115], v[31:32]
	s_wait_loadcnt_dscnt 0x301
	v_mul_f64_e32 v[110:111], v[2:3], v[132:133]
	v_mul_f64_e32 v[112:113], v[4:5], v[132:133]
	s_wait_loadcnt_dscnt 0x200
	v_mul_f64_e32 v[31:32], v[18:19], v[8:9]
	v_mul_f64_e32 v[8:9], v[20:21], v[8:9]
	v_add_f64_e32 v[27:28], v[27:28], v[108:109]
	v_add_f64_e32 v[29:30], v[29:30], v[106:107]
	v_fma_f64 v[104:105], v[4:5], v[130:131], v[110:111]
	v_fma_f64 v[106:107], v[2:3], v[130:131], -v[112:113]
	v_fma_f64 v[20:21], v[20:21], v[6:7], v[31:32]
	v_fma_f64 v[6:7], v[18:19], v[6:7], -v[8:9]
	v_add_f64_e32 v[27:28], v[27:28], v[22:23]
	v_add_f64_e32 v[29:30], v[29:30], v[24:25]
	ds_load_b128 v[2:5], v1 offset:1088
	ds_load_b128 v[22:25], v1 offset:1104
	s_wait_loadcnt_dscnt 0x101
	v_mul_f64_e32 v[108:109], v[2:3], v[12:13]
	v_mul_f64_e32 v[12:13], v[4:5], v[12:13]
	v_add_f64_e32 v[8:9], v[27:28], v[106:107]
	v_add_f64_e32 v[18:19], v[29:30], v[104:105]
	s_wait_loadcnt_dscnt 0x0
	v_mul_f64_e32 v[27:28], v[22:23], v[16:17]
	v_mul_f64_e32 v[16:17], v[24:25], v[16:17]
	v_fma_f64 v[4:5], v[4:5], v[10:11], v[108:109]
	v_fma_f64 v[1:2], v[2:3], v[10:11], -v[12:13]
	v_add_f64_e32 v[6:7], v[8:9], v[6:7]
	v_add_f64_e32 v[8:9], v[18:19], v[20:21]
	v_fma_f64 v[10:11], v[24:25], v[14:15], v[27:28]
	v_fma_f64 v[12:13], v[22:23], v[14:15], -v[16:17]
	s_delay_alu instid0(VALU_DEP_4) | instskip(NEXT) | instid1(VALU_DEP_4)
	v_add_f64_e32 v[1:2], v[6:7], v[1:2]
	v_add_f64_e32 v[3:4], v[8:9], v[4:5]
	s_delay_alu instid0(VALU_DEP_2) | instskip(NEXT) | instid1(VALU_DEP_2)
	v_add_f64_e32 v[1:2], v[1:2], v[12:13]
	v_add_f64_e32 v[3:4], v[3:4], v[10:11]
	s_delay_alu instid0(VALU_DEP_2) | instskip(NEXT) | instid1(VALU_DEP_2)
	v_add_f64_e64 v[1:2], v[120:121], -v[1:2]
	v_add_f64_e64 v[3:4], v[122:123], -v[3:4]
	scratch_store_b128 off, v[1:4], off offset:176
	v_cmpx_lt_u32_e32 9, v0
	s_cbranch_execz .LBB34_205
; %bb.204:
	scratch_load_b128 v[1:4], off, s39
	v_mov_b32_e32 v5, 0
	s_delay_alu instid0(VALU_DEP_1)
	v_dual_mov_b32 v6, v5 :: v_dual_mov_b32 v7, v5
	v_mov_b32_e32 v8, v5
	scratch_store_b128 off, v[5:8], off offset:160
	s_wait_loadcnt 0x0
	ds_store_b128 v26, v[1:4]
.LBB34_205:
	s_wait_alu 0xfffe
	s_or_b32 exec_lo, exec_lo, s0
	s_wait_storecnt_dscnt 0x0
	s_barrier_signal -1
	s_barrier_wait -1
	global_inv scope:SCOPE_SE
	s_clause 0x7
	scratch_load_b128 v[2:5], off, off offset:176
	scratch_load_b128 v[6:9], off, off offset:192
	;; [unrolled: 1-line block ×8, first 2 shown]
	v_mov_b32_e32 v1, 0
	s_mov_b32 s0, exec_lo
	ds_load_b128 v[108:111], v1 offset:720
	s_clause 0x1
	scratch_load_b128 v[112:115], off, off offset:304
	scratch_load_b128 v[116:119], off, off offset:160
	ds_load_b128 v[120:123], v1 offset:736
	scratch_load_b128 v[124:127], off, off offset:320
	ds_load_b128 v[128:131], v1 offset:768
	s_wait_loadcnt_dscnt 0xa02
	v_mul_f64_e32 v[31:32], v[110:111], v[4:5]
	v_mul_f64_e32 v[4:5], v[108:109], v[4:5]
	s_delay_alu instid0(VALU_DEP_2) | instskip(NEXT) | instid1(VALU_DEP_2)
	v_fma_f64 v[31:32], v[108:109], v[2:3], -v[31:32]
	v_fma_f64 v[134:135], v[110:111], v[2:3], v[4:5]
	ds_load_b128 v[2:5], v1 offset:752
	s_wait_loadcnt_dscnt 0x902
	v_mul_f64_e32 v[132:133], v[120:121], v[8:9]
	v_mul_f64_e32 v[8:9], v[122:123], v[8:9]
	scratch_load_b128 v[108:111], off, off offset:336
	s_wait_loadcnt_dscnt 0x900
	v_mul_f64_e32 v[136:137], v[2:3], v[12:13]
	v_mul_f64_e32 v[12:13], v[4:5], v[12:13]
	v_add_f64_e32 v[31:32], 0, v[31:32]
	v_fma_f64 v[122:123], v[122:123], v[6:7], v[132:133]
	v_fma_f64 v[120:121], v[120:121], v[6:7], -v[8:9]
	v_add_f64_e32 v[132:133], 0, v[134:135]
	scratch_load_b128 v[6:9], off, off offset:352
	v_fma_f64 v[136:137], v[4:5], v[10:11], v[136:137]
	v_fma_f64 v[138:139], v[2:3], v[10:11], -v[12:13]
	ds_load_b128 v[2:5], v1 offset:784
	s_wait_loadcnt 0x9
	v_mul_f64_e32 v[134:135], v[128:129], v[16:17]
	v_mul_f64_e32 v[16:17], v[130:131], v[16:17]
	scratch_load_b128 v[10:13], off, off offset:368
	v_add_f64_e32 v[31:32], v[31:32], v[120:121]
	v_add_f64_e32 v[132:133], v[132:133], v[122:123]
	s_wait_loadcnt_dscnt 0x900
	v_mul_f64_e32 v[140:141], v[2:3], v[20:21]
	v_mul_f64_e32 v[20:21], v[4:5], v[20:21]
	ds_load_b128 v[120:123], v1 offset:800
	v_fma_f64 v[130:131], v[130:131], v[14:15], v[134:135]
	v_fma_f64 v[128:129], v[128:129], v[14:15], -v[16:17]
	scratch_load_b128 v[14:17], off, off offset:384
	v_add_f64_e32 v[31:32], v[31:32], v[138:139]
	v_add_f64_e32 v[132:133], v[132:133], v[136:137]
	v_fma_f64 v[136:137], v[4:5], v[18:19], v[140:141]
	v_fma_f64 v[138:139], v[2:3], v[18:19], -v[20:21]
	ds_load_b128 v[2:5], v1 offset:816
	s_wait_loadcnt_dscnt 0x901
	v_mul_f64_e32 v[134:135], v[120:121], v[24:25]
	v_mul_f64_e32 v[24:25], v[122:123], v[24:25]
	scratch_load_b128 v[18:21], off, off offset:400
	s_wait_loadcnt_dscnt 0x900
	v_mul_f64_e32 v[140:141], v[2:3], v[29:30]
	v_mul_f64_e32 v[29:30], v[4:5], v[29:30]
	v_add_f64_e32 v[31:32], v[31:32], v[128:129]
	v_add_f64_e32 v[132:133], v[132:133], v[130:131]
	ds_load_b128 v[128:131], v1 offset:832
	v_fma_f64 v[122:123], v[122:123], v[22:23], v[134:135]
	v_fma_f64 v[120:121], v[120:121], v[22:23], -v[24:25]
	scratch_load_b128 v[22:25], off, off offset:416
	v_add_f64_e32 v[31:32], v[31:32], v[138:139]
	v_add_f64_e32 v[132:133], v[132:133], v[136:137]
	v_fma_f64 v[136:137], v[4:5], v[27:28], v[140:141]
	v_fma_f64 v[138:139], v[2:3], v[27:28], -v[29:30]
	ds_load_b128 v[2:5], v1 offset:848
	s_wait_loadcnt_dscnt 0x901
	v_mul_f64_e32 v[134:135], v[128:129], v[106:107]
	v_mul_f64_e32 v[106:107], v[130:131], v[106:107]
	scratch_load_b128 v[27:30], off, off offset:432
	s_wait_loadcnt_dscnt 0x900
	v_mul_f64_e32 v[140:141], v[2:3], v[114:115]
	v_mul_f64_e32 v[114:115], v[4:5], v[114:115]
	v_add_f64_e32 v[31:32], v[31:32], v[120:121]
	v_add_f64_e32 v[132:133], v[132:133], v[122:123]
	ds_load_b128 v[120:123], v1 offset:864
	v_fma_f64 v[130:131], v[130:131], v[104:105], v[134:135]
	v_fma_f64 v[128:129], v[128:129], v[104:105], -v[106:107]
	scratch_load_b128 v[104:107], off, off offset:448
	v_add_f64_e32 v[31:32], v[31:32], v[138:139]
	v_add_f64_e32 v[132:133], v[132:133], v[136:137]
	v_fma_f64 v[138:139], v[4:5], v[112:113], v[140:141]
	v_fma_f64 v[140:141], v[2:3], v[112:113], -v[114:115]
	ds_load_b128 v[2:5], v1 offset:880
	s_wait_loadcnt_dscnt 0x801
	v_mul_f64_e32 v[134:135], v[120:121], v[126:127]
	v_mul_f64_e32 v[136:137], v[122:123], v[126:127]
	scratch_load_b128 v[112:115], off, off offset:464
	v_add_f64_e32 v[31:32], v[31:32], v[128:129]
	v_add_f64_e32 v[130:131], v[132:133], v[130:131]
	ds_load_b128 v[126:129], v1 offset:896
	v_fma_f64 v[134:135], v[122:123], v[124:125], v[134:135]
	v_fma_f64 v[124:125], v[120:121], v[124:125], -v[136:137]
	scratch_load_b128 v[120:123], off, off offset:480
	s_wait_loadcnt_dscnt 0x901
	v_mul_f64_e32 v[132:133], v[2:3], v[110:111]
	v_mul_f64_e32 v[110:111], v[4:5], v[110:111]
	v_add_f64_e32 v[31:32], v[31:32], v[140:141]
	v_add_f64_e32 v[130:131], v[130:131], v[138:139]
	s_delay_alu instid0(VALU_DEP_4) | instskip(NEXT) | instid1(VALU_DEP_4)
	v_fma_f64 v[138:139], v[4:5], v[108:109], v[132:133]
	v_fma_f64 v[140:141], v[2:3], v[108:109], -v[110:111]
	ds_load_b128 v[2:5], v1 offset:912
	s_wait_loadcnt_dscnt 0x801
	v_mul_f64_e32 v[136:137], v[126:127], v[8:9]
	v_mul_f64_e32 v[8:9], v[128:129], v[8:9]
	scratch_load_b128 v[108:111], off, off offset:496
	v_add_f64_e32 v[31:32], v[31:32], v[124:125]
	v_add_f64_e32 v[124:125], v[130:131], v[134:135]
	s_wait_loadcnt_dscnt 0x800
	v_mul_f64_e32 v[134:135], v[2:3], v[12:13]
	v_mul_f64_e32 v[12:13], v[4:5], v[12:13]
	ds_load_b128 v[130:133], v1 offset:928
	v_fma_f64 v[128:129], v[128:129], v[6:7], v[136:137]
	v_fma_f64 v[126:127], v[126:127], v[6:7], -v[8:9]
	scratch_load_b128 v[6:9], off, off offset:512
	v_add_f64_e32 v[31:32], v[31:32], v[140:141]
	v_add_f64_e32 v[124:125], v[124:125], v[138:139]
	v_fma_f64 v[134:135], v[4:5], v[10:11], v[134:135]
	v_fma_f64 v[138:139], v[2:3], v[10:11], -v[12:13]
	ds_load_b128 v[2:5], v1 offset:944
	s_wait_loadcnt_dscnt 0x801
	v_mul_f64_e32 v[136:137], v[130:131], v[16:17]
	v_mul_f64_e32 v[16:17], v[132:133], v[16:17]
	scratch_load_b128 v[10:13], off, off offset:528
	s_wait_loadcnt_dscnt 0x800
	v_mul_f64_e32 v[140:141], v[2:3], v[20:21]
	v_mul_f64_e32 v[20:21], v[4:5], v[20:21]
	v_add_f64_e32 v[31:32], v[31:32], v[126:127]
	v_add_f64_e32 v[128:129], v[124:125], v[128:129]
	ds_load_b128 v[124:127], v1 offset:960
	v_fma_f64 v[132:133], v[132:133], v[14:15], v[136:137]
	v_fma_f64 v[130:131], v[130:131], v[14:15], -v[16:17]
	scratch_load_b128 v[14:17], off, off offset:544
	v_fma_f64 v[136:137], v[4:5], v[18:19], v[140:141]
	v_add_f64_e32 v[31:32], v[31:32], v[138:139]
	v_add_f64_e32 v[128:129], v[128:129], v[134:135]
	v_fma_f64 v[138:139], v[2:3], v[18:19], -v[20:21]
	ds_load_b128 v[2:5], v1 offset:976
	s_wait_loadcnt_dscnt 0x801
	v_mul_f64_e32 v[134:135], v[124:125], v[24:25]
	v_mul_f64_e32 v[24:25], v[126:127], v[24:25]
	scratch_load_b128 v[18:21], off, off offset:560
	s_wait_loadcnt_dscnt 0x800
	v_mul_f64_e32 v[140:141], v[2:3], v[29:30]
	v_mul_f64_e32 v[29:30], v[4:5], v[29:30]
	v_add_f64_e32 v[31:32], v[31:32], v[130:131]
	v_add_f64_e32 v[132:133], v[128:129], v[132:133]
	ds_load_b128 v[128:131], v1 offset:992
	v_fma_f64 v[126:127], v[126:127], v[22:23], v[134:135]
	v_fma_f64 v[22:23], v[124:125], v[22:23], -v[24:25]
	s_wait_loadcnt_dscnt 0x700
	v_mul_f64_e32 v[124:125], v[128:129], v[106:107]
	v_mul_f64_e32 v[106:107], v[130:131], v[106:107]
	v_add_f64_e32 v[24:25], v[31:32], v[138:139]
	v_add_f64_e32 v[31:32], v[132:133], v[136:137]
	v_fma_f64 v[132:133], v[4:5], v[27:28], v[140:141]
	v_fma_f64 v[27:28], v[2:3], v[27:28], -v[29:30]
	v_fma_f64 v[124:125], v[130:131], v[104:105], v[124:125]
	v_fma_f64 v[104:105], v[128:129], v[104:105], -v[106:107]
	v_add_f64_e32 v[29:30], v[24:25], v[22:23]
	v_add_f64_e32 v[31:32], v[31:32], v[126:127]
	ds_load_b128 v[2:5], v1 offset:1008
	ds_load_b128 v[22:25], v1 offset:1024
	s_wait_loadcnt_dscnt 0x601
	v_mul_f64_e32 v[126:127], v[2:3], v[114:115]
	v_mul_f64_e32 v[114:115], v[4:5], v[114:115]
	s_wait_loadcnt_dscnt 0x500
	v_mul_f64_e32 v[106:107], v[24:25], v[122:123]
	v_add_f64_e32 v[27:28], v[29:30], v[27:28]
	v_add_f64_e32 v[29:30], v[31:32], v[132:133]
	v_mul_f64_e32 v[31:32], v[22:23], v[122:123]
	v_fma_f64 v[122:123], v[4:5], v[112:113], v[126:127]
	v_fma_f64 v[112:113], v[2:3], v[112:113], -v[114:115]
	v_fma_f64 v[22:23], v[22:23], v[120:121], -v[106:107]
	v_add_f64_e32 v[104:105], v[27:28], v[104:105]
	v_add_f64_e32 v[114:115], v[29:30], v[124:125]
	ds_load_b128 v[2:5], v1 offset:1040
	ds_load_b128 v[27:30], v1 offset:1056
	v_fma_f64 v[24:25], v[24:25], v[120:121], v[31:32]
	s_wait_loadcnt_dscnt 0x401
	v_mul_f64_e32 v[124:125], v[2:3], v[110:111]
	v_mul_f64_e32 v[110:111], v[4:5], v[110:111]
	s_wait_loadcnt_dscnt 0x300
	v_mul_f64_e32 v[106:107], v[27:28], v[8:9]
	v_add_f64_e32 v[31:32], v[104:105], v[112:113]
	v_add_f64_e32 v[104:105], v[114:115], v[122:123]
	v_mul_f64_e32 v[8:9], v[29:30], v[8:9]
	v_fma_f64 v[112:113], v[4:5], v[108:109], v[124:125]
	v_fma_f64 v[108:109], v[2:3], v[108:109], -v[110:111]
	v_fma_f64 v[29:30], v[29:30], v[6:7], v[106:107]
	v_add_f64_e32 v[31:32], v[31:32], v[22:23]
	v_add_f64_e32 v[104:105], v[104:105], v[24:25]
	ds_load_b128 v[2:5], v1 offset:1072
	ds_load_b128 v[22:25], v1 offset:1088
	v_fma_f64 v[6:7], v[27:28], v[6:7], -v[8:9]
	s_wait_loadcnt_dscnt 0x201
	v_mul_f64_e32 v[110:111], v[2:3], v[12:13]
	v_mul_f64_e32 v[12:13], v[4:5], v[12:13]
	v_add_f64_e32 v[8:9], v[31:32], v[108:109]
	v_add_f64_e32 v[27:28], v[104:105], v[112:113]
	s_wait_loadcnt_dscnt 0x100
	v_mul_f64_e32 v[31:32], v[22:23], v[16:17]
	v_mul_f64_e32 v[16:17], v[24:25], v[16:17]
	v_fma_f64 v[104:105], v[4:5], v[10:11], v[110:111]
	v_fma_f64 v[10:11], v[2:3], v[10:11], -v[12:13]
	ds_load_b128 v[2:5], v1 offset:1104
	v_add_f64_e32 v[6:7], v[8:9], v[6:7]
	v_add_f64_e32 v[8:9], v[27:28], v[29:30]
	v_fma_f64 v[24:25], v[24:25], v[14:15], v[31:32]
	v_fma_f64 v[14:15], v[22:23], v[14:15], -v[16:17]
	s_wait_loadcnt_dscnt 0x0
	v_mul_f64_e32 v[12:13], v[2:3], v[20:21]
	v_mul_f64_e32 v[20:21], v[4:5], v[20:21]
	v_add_f64_e32 v[6:7], v[6:7], v[10:11]
	v_add_f64_e32 v[8:9], v[8:9], v[104:105]
	s_delay_alu instid0(VALU_DEP_4) | instskip(NEXT) | instid1(VALU_DEP_4)
	v_fma_f64 v[4:5], v[4:5], v[18:19], v[12:13]
	v_fma_f64 v[2:3], v[2:3], v[18:19], -v[20:21]
	s_delay_alu instid0(VALU_DEP_4) | instskip(NEXT) | instid1(VALU_DEP_4)
	v_add_f64_e32 v[6:7], v[6:7], v[14:15]
	v_add_f64_e32 v[8:9], v[8:9], v[24:25]
	s_delay_alu instid0(VALU_DEP_2) | instskip(NEXT) | instid1(VALU_DEP_2)
	v_add_f64_e32 v[2:3], v[6:7], v[2:3]
	v_add_f64_e32 v[4:5], v[8:9], v[4:5]
	s_delay_alu instid0(VALU_DEP_2) | instskip(NEXT) | instid1(VALU_DEP_2)
	v_add_f64_e64 v[2:3], v[116:117], -v[2:3]
	v_add_f64_e64 v[4:5], v[118:119], -v[4:5]
	scratch_store_b128 off, v[2:5], off offset:160
	v_cmpx_lt_u32_e32 8, v0
	s_cbranch_execz .LBB34_207
; %bb.206:
	scratch_load_b128 v[5:8], off, s40
	v_dual_mov_b32 v2, v1 :: v_dual_mov_b32 v3, v1
	v_mov_b32_e32 v4, v1
	scratch_store_b128 off, v[1:4], off offset:144
	s_wait_loadcnt 0x0
	ds_store_b128 v26, v[5:8]
.LBB34_207:
	s_wait_alu 0xfffe
	s_or_b32 exec_lo, exec_lo, s0
	s_wait_storecnt_dscnt 0x0
	s_barrier_signal -1
	s_barrier_wait -1
	global_inv scope:SCOPE_SE
	s_clause 0x8
	scratch_load_b128 v[2:5], off, off offset:160
	scratch_load_b128 v[6:9], off, off offset:176
	;; [unrolled: 1-line block ×9, first 2 shown]
	ds_load_b128 v[112:115], v1 offset:704
	ds_load_b128 v[116:119], v1 offset:720
	s_clause 0x1
	scratch_load_b128 v[120:123], off, off offset:144
	scratch_load_b128 v[124:127], off, off offset:304
	s_mov_b32 s0, exec_lo
	ds_load_b128 v[128:131], v1 offset:752
	s_wait_loadcnt_dscnt 0xa02
	v_mul_f64_e32 v[31:32], v[114:115], v[4:5]
	v_mul_f64_e32 v[4:5], v[112:113], v[4:5]
	s_wait_loadcnt_dscnt 0x901
	v_mul_f64_e32 v[132:133], v[116:117], v[8:9]
	v_mul_f64_e32 v[8:9], v[118:119], v[8:9]
	s_delay_alu instid0(VALU_DEP_4) | instskip(NEXT) | instid1(VALU_DEP_4)
	v_fma_f64 v[31:32], v[112:113], v[2:3], -v[31:32]
	v_fma_f64 v[134:135], v[114:115], v[2:3], v[4:5]
	ds_load_b128 v[2:5], v1 offset:736
	scratch_load_b128 v[112:115], off, off offset:320
	v_fma_f64 v[118:119], v[118:119], v[6:7], v[132:133]
	v_fma_f64 v[116:117], v[116:117], v[6:7], -v[8:9]
	scratch_load_b128 v[6:9], off, off offset:336
	s_wait_loadcnt_dscnt 0xa00
	v_mul_f64_e32 v[136:137], v[2:3], v[12:13]
	v_mul_f64_e32 v[12:13], v[4:5], v[12:13]
	v_add_f64_e32 v[31:32], 0, v[31:32]
	v_add_f64_e32 v[132:133], 0, v[134:135]
	s_wait_loadcnt 0x9
	v_mul_f64_e32 v[134:135], v[128:129], v[16:17]
	v_mul_f64_e32 v[16:17], v[130:131], v[16:17]
	v_fma_f64 v[136:137], v[4:5], v[10:11], v[136:137]
	v_fma_f64 v[138:139], v[2:3], v[10:11], -v[12:13]
	ds_load_b128 v[2:5], v1 offset:768
	scratch_load_b128 v[10:13], off, off offset:352
	v_add_f64_e32 v[31:32], v[31:32], v[116:117]
	v_add_f64_e32 v[132:133], v[132:133], v[118:119]
	ds_load_b128 v[116:119], v1 offset:784
	v_fma_f64 v[130:131], v[130:131], v[14:15], v[134:135]
	v_fma_f64 v[128:129], v[128:129], v[14:15], -v[16:17]
	scratch_load_b128 v[14:17], off, off offset:368
	s_wait_loadcnt_dscnt 0xa01
	v_mul_f64_e32 v[140:141], v[2:3], v[20:21]
	v_mul_f64_e32 v[20:21], v[4:5], v[20:21]
	s_wait_loadcnt_dscnt 0x900
	v_mul_f64_e32 v[134:135], v[116:117], v[24:25]
	v_mul_f64_e32 v[24:25], v[118:119], v[24:25]
	v_add_f64_e32 v[31:32], v[31:32], v[138:139]
	v_add_f64_e32 v[132:133], v[132:133], v[136:137]
	v_fma_f64 v[136:137], v[4:5], v[18:19], v[140:141]
	v_fma_f64 v[138:139], v[2:3], v[18:19], -v[20:21]
	ds_load_b128 v[2:5], v1 offset:800
	scratch_load_b128 v[18:21], off, off offset:384
	v_fma_f64 v[118:119], v[118:119], v[22:23], v[134:135]
	v_fma_f64 v[116:117], v[116:117], v[22:23], -v[24:25]
	scratch_load_b128 v[22:25], off, off offset:400
	v_add_f64_e32 v[31:32], v[31:32], v[128:129]
	v_add_f64_e32 v[132:133], v[132:133], v[130:131]
	ds_load_b128 v[128:131], v1 offset:816
	s_wait_loadcnt_dscnt 0xa01
	v_mul_f64_e32 v[140:141], v[2:3], v[29:30]
	v_mul_f64_e32 v[29:30], v[4:5], v[29:30]
	s_wait_loadcnt_dscnt 0x900
	v_mul_f64_e32 v[134:135], v[128:129], v[106:107]
	v_mul_f64_e32 v[106:107], v[130:131], v[106:107]
	v_add_f64_e32 v[31:32], v[31:32], v[138:139]
	v_add_f64_e32 v[132:133], v[132:133], v[136:137]
	v_fma_f64 v[136:137], v[4:5], v[27:28], v[140:141]
	v_fma_f64 v[138:139], v[2:3], v[27:28], -v[29:30]
	ds_load_b128 v[2:5], v1 offset:832
	scratch_load_b128 v[27:30], off, off offset:416
	v_fma_f64 v[130:131], v[130:131], v[104:105], v[134:135]
	v_fma_f64 v[128:129], v[128:129], v[104:105], -v[106:107]
	scratch_load_b128 v[104:107], off, off offset:432
	v_add_f64_e32 v[31:32], v[31:32], v[116:117]
	v_add_f64_e32 v[132:133], v[132:133], v[118:119]
	ds_load_b128 v[116:119], v1 offset:848
	s_wait_loadcnt_dscnt 0xa01
	v_mul_f64_e32 v[140:141], v[2:3], v[110:111]
	v_mul_f64_e32 v[110:111], v[4:5], v[110:111]
	s_wait_loadcnt_dscnt 0x800
	v_mul_f64_e32 v[134:135], v[116:117], v[126:127]
	v_add_f64_e32 v[31:32], v[31:32], v[138:139]
	v_add_f64_e32 v[132:133], v[132:133], v[136:137]
	v_mul_f64_e32 v[136:137], v[118:119], v[126:127]
	v_fma_f64 v[138:139], v[4:5], v[108:109], v[140:141]
	v_fma_f64 v[140:141], v[2:3], v[108:109], -v[110:111]
	ds_load_b128 v[2:5], v1 offset:864
	scratch_load_b128 v[108:111], off, off offset:448
	v_fma_f64 v[118:119], v[118:119], v[124:125], v[134:135]
	v_add_f64_e32 v[31:32], v[31:32], v[128:129]
	v_add_f64_e32 v[130:131], v[132:133], v[130:131]
	ds_load_b128 v[126:129], v1 offset:880
	v_fma_f64 v[124:125], v[116:117], v[124:125], -v[136:137]
	ds_load_b128 v[134:137], v1 offset:912
	s_wait_loadcnt_dscnt 0x802
	v_mul_f64_e32 v[132:133], v[2:3], v[114:115]
	v_mul_f64_e32 v[142:143], v[4:5], v[114:115]
	scratch_load_b128 v[114:117], off, off offset:464
	v_add_f64_e32 v[31:32], v[31:32], v[140:141]
	v_add_f64_e32 v[130:131], v[130:131], v[138:139]
	s_wait_loadcnt_dscnt 0x801
	v_mul_f64_e32 v[138:139], v[126:127], v[8:9]
	v_mul_f64_e32 v[8:9], v[128:129], v[8:9]
	v_fma_f64 v[140:141], v[4:5], v[112:113], v[132:133]
	v_fma_f64 v[112:113], v[2:3], v[112:113], -v[142:143]
	ds_load_b128 v[2:5], v1 offset:896
	v_add_f64_e32 v[31:32], v[31:32], v[124:125]
	v_add_f64_e32 v[118:119], v[130:131], v[118:119]
	scratch_load_b128 v[130:133], off, off offset:480
	s_wait_loadcnt_dscnt 0x800
	v_mul_f64_e32 v[124:125], v[2:3], v[12:13]
	v_mul_f64_e32 v[12:13], v[4:5], v[12:13]
	v_fma_f64 v[128:129], v[128:129], v[6:7], v[138:139]
	v_fma_f64 v[126:127], v[126:127], v[6:7], -v[8:9]
	scratch_load_b128 v[6:9], off, off offset:496
	v_add_f64_e32 v[31:32], v[31:32], v[112:113]
	v_add_f64_e32 v[112:113], v[118:119], v[140:141]
	s_wait_loadcnt 0x8
	v_mul_f64_e32 v[118:119], v[134:135], v[16:17]
	v_mul_f64_e32 v[16:17], v[136:137], v[16:17]
	v_fma_f64 v[138:139], v[4:5], v[10:11], v[124:125]
	v_fma_f64 v[140:141], v[2:3], v[10:11], -v[12:13]
	ds_load_b128 v[2:5], v1 offset:928
	scratch_load_b128 v[10:13], off, off offset:512
	v_add_f64_e32 v[31:32], v[31:32], v[126:127]
	v_add_f64_e32 v[112:113], v[112:113], v[128:129]
	ds_load_b128 v[124:127], v1 offset:944
	s_wait_loadcnt_dscnt 0x801
	v_mul_f64_e32 v[128:129], v[2:3], v[20:21]
	v_mul_f64_e32 v[20:21], v[4:5], v[20:21]
	v_fma_f64 v[118:119], v[136:137], v[14:15], v[118:119]
	v_fma_f64 v[134:135], v[134:135], v[14:15], -v[16:17]
	scratch_load_b128 v[14:17], off, off offset:528
	v_add_f64_e32 v[31:32], v[31:32], v[140:141]
	v_add_f64_e32 v[112:113], v[112:113], v[138:139]
	s_wait_loadcnt_dscnt 0x800
	v_mul_f64_e32 v[138:139], v[124:125], v[24:25]
	v_mul_f64_e32 v[24:25], v[126:127], v[24:25]
	v_fma_f64 v[128:129], v[4:5], v[18:19], v[128:129]
	v_fma_f64 v[140:141], v[2:3], v[18:19], -v[20:21]
	ds_load_b128 v[2:5], v1 offset:960
	scratch_load_b128 v[18:21], off, off offset:544
	v_add_f64_e32 v[31:32], v[31:32], v[134:135]
	v_add_f64_e32 v[112:113], v[112:113], v[118:119]
	ds_load_b128 v[134:137], v1 offset:976
	s_wait_loadcnt_dscnt 0x801
	v_mul_f64_e32 v[118:119], v[2:3], v[29:30]
	v_mul_f64_e32 v[29:30], v[4:5], v[29:30]
	v_fma_f64 v[126:127], v[126:127], v[22:23], v[138:139]
	v_fma_f64 v[124:125], v[124:125], v[22:23], -v[24:25]
	scratch_load_b128 v[22:25], off, off offset:560
	v_add_f64_e32 v[31:32], v[31:32], v[140:141]
	v_add_f64_e32 v[112:113], v[112:113], v[128:129]
	s_wait_loadcnt_dscnt 0x800
	v_mul_f64_e32 v[128:129], v[134:135], v[106:107]
	v_mul_f64_e32 v[106:107], v[136:137], v[106:107]
	v_fma_f64 v[118:119], v[4:5], v[27:28], v[118:119]
	v_fma_f64 v[138:139], v[2:3], v[27:28], -v[29:30]
	ds_load_b128 v[2:5], v1 offset:992
	ds_load_b128 v[27:30], v1 offset:1008
	v_add_f64_e32 v[31:32], v[31:32], v[124:125]
	v_add_f64_e32 v[112:113], v[112:113], v[126:127]
	s_wait_loadcnt_dscnt 0x701
	v_mul_f64_e32 v[124:125], v[2:3], v[110:111]
	v_mul_f64_e32 v[110:111], v[4:5], v[110:111]
	v_fma_f64 v[126:127], v[136:137], v[104:105], v[128:129]
	v_fma_f64 v[104:105], v[134:135], v[104:105], -v[106:107]
	v_add_f64_e32 v[31:32], v[31:32], v[138:139]
	v_add_f64_e32 v[106:107], v[112:113], v[118:119]
	s_wait_loadcnt_dscnt 0x600
	v_mul_f64_e32 v[112:113], v[27:28], v[116:117]
	v_mul_f64_e32 v[116:117], v[29:30], v[116:117]
	v_fma_f64 v[118:119], v[4:5], v[108:109], v[124:125]
	v_fma_f64 v[108:109], v[2:3], v[108:109], -v[110:111]
	v_add_f64_e32 v[31:32], v[31:32], v[104:105]
	v_add_f64_e32 v[110:111], v[106:107], v[126:127]
	ds_load_b128 v[2:5], v1 offset:1024
	ds_load_b128 v[104:107], v1 offset:1040
	v_fma_f64 v[29:30], v[29:30], v[114:115], v[112:113]
	v_fma_f64 v[27:28], v[27:28], v[114:115], -v[116:117]
	s_wait_loadcnt_dscnt 0x501
	v_mul_f64_e32 v[124:125], v[2:3], v[132:133]
	v_mul_f64_e32 v[126:127], v[4:5], v[132:133]
	v_add_f64_e32 v[31:32], v[31:32], v[108:109]
	v_add_f64_e32 v[108:109], v[110:111], v[118:119]
	s_wait_loadcnt_dscnt 0x400
	v_mul_f64_e32 v[110:111], v[104:105], v[8:9]
	v_mul_f64_e32 v[8:9], v[106:107], v[8:9]
	v_fma_f64 v[112:113], v[4:5], v[130:131], v[124:125]
	v_fma_f64 v[114:115], v[2:3], v[130:131], -v[126:127]
	v_add_f64_e32 v[31:32], v[31:32], v[27:28]
	v_add_f64_e32 v[108:109], v[108:109], v[29:30]
	ds_load_b128 v[2:5], v1 offset:1056
	ds_load_b128 v[27:30], v1 offset:1072
	v_fma_f64 v[106:107], v[106:107], v[6:7], v[110:111]
	v_fma_f64 v[6:7], v[104:105], v[6:7], -v[8:9]
	s_wait_loadcnt_dscnt 0x301
	v_mul_f64_e32 v[116:117], v[2:3], v[12:13]
	v_mul_f64_e32 v[12:13], v[4:5], v[12:13]
	s_wait_loadcnt_dscnt 0x200
	v_mul_f64_e32 v[104:105], v[27:28], v[16:17]
	v_mul_f64_e32 v[16:17], v[29:30], v[16:17]
	v_add_f64_e32 v[8:9], v[31:32], v[114:115]
	v_add_f64_e32 v[31:32], v[108:109], v[112:113]
	v_fma_f64 v[108:109], v[4:5], v[10:11], v[116:117]
	v_fma_f64 v[10:11], v[2:3], v[10:11], -v[12:13]
	v_fma_f64 v[29:30], v[29:30], v[14:15], v[104:105]
	v_fma_f64 v[14:15], v[27:28], v[14:15], -v[16:17]
	v_add_f64_e32 v[12:13], v[8:9], v[6:7]
	v_add_f64_e32 v[31:32], v[31:32], v[106:107]
	ds_load_b128 v[2:5], v1 offset:1088
	ds_load_b128 v[6:9], v1 offset:1104
	s_wait_loadcnt_dscnt 0x101
	v_mul_f64_e32 v[106:107], v[2:3], v[20:21]
	v_mul_f64_e32 v[20:21], v[4:5], v[20:21]
	s_wait_loadcnt_dscnt 0x0
	v_mul_f64_e32 v[16:17], v[6:7], v[24:25]
	v_mul_f64_e32 v[24:25], v[8:9], v[24:25]
	v_add_f64_e32 v[10:11], v[12:13], v[10:11]
	v_add_f64_e32 v[12:13], v[31:32], v[108:109]
	v_fma_f64 v[4:5], v[4:5], v[18:19], v[106:107]
	v_fma_f64 v[1:2], v[2:3], v[18:19], -v[20:21]
	v_fma_f64 v[8:9], v[8:9], v[22:23], v[16:17]
	v_fma_f64 v[6:7], v[6:7], v[22:23], -v[24:25]
	v_add_f64_e32 v[10:11], v[10:11], v[14:15]
	v_add_f64_e32 v[12:13], v[12:13], v[29:30]
	s_delay_alu instid0(VALU_DEP_2) | instskip(NEXT) | instid1(VALU_DEP_2)
	v_add_f64_e32 v[1:2], v[10:11], v[1:2]
	v_add_f64_e32 v[3:4], v[12:13], v[4:5]
	s_delay_alu instid0(VALU_DEP_2) | instskip(NEXT) | instid1(VALU_DEP_2)
	;; [unrolled: 3-line block ×3, first 2 shown]
	v_add_f64_e64 v[1:2], v[120:121], -v[1:2]
	v_add_f64_e64 v[3:4], v[122:123], -v[3:4]
	scratch_store_b128 off, v[1:4], off offset:144
	v_cmpx_lt_u32_e32 7, v0
	s_cbranch_execz .LBB34_209
; %bb.208:
	scratch_load_b128 v[1:4], off, s41
	v_mov_b32_e32 v5, 0
	s_delay_alu instid0(VALU_DEP_1)
	v_dual_mov_b32 v6, v5 :: v_dual_mov_b32 v7, v5
	v_mov_b32_e32 v8, v5
	scratch_store_b128 off, v[5:8], off offset:128
	s_wait_loadcnt 0x0
	ds_store_b128 v26, v[1:4]
.LBB34_209:
	s_wait_alu 0xfffe
	s_or_b32 exec_lo, exec_lo, s0
	s_wait_storecnt_dscnt 0x0
	s_barrier_signal -1
	s_barrier_wait -1
	global_inv scope:SCOPE_SE
	s_clause 0x7
	scratch_load_b128 v[2:5], off, off offset:144
	scratch_load_b128 v[6:9], off, off offset:160
	;; [unrolled: 1-line block ×8, first 2 shown]
	v_mov_b32_e32 v1, 0
	s_mov_b32 s0, exec_lo
	ds_load_b128 v[108:111], v1 offset:688
	s_clause 0x1
	scratch_load_b128 v[112:115], off, off offset:272
	scratch_load_b128 v[116:119], off, off offset:128
	ds_load_b128 v[120:123], v1 offset:704
	scratch_load_b128 v[124:127], off, off offset:288
	ds_load_b128 v[128:131], v1 offset:736
	s_wait_loadcnt_dscnt 0xa02
	v_mul_f64_e32 v[31:32], v[110:111], v[4:5]
	v_mul_f64_e32 v[4:5], v[108:109], v[4:5]
	s_delay_alu instid0(VALU_DEP_2) | instskip(NEXT) | instid1(VALU_DEP_2)
	v_fma_f64 v[31:32], v[108:109], v[2:3], -v[31:32]
	v_fma_f64 v[134:135], v[110:111], v[2:3], v[4:5]
	ds_load_b128 v[2:5], v1 offset:720
	s_wait_loadcnt_dscnt 0x902
	v_mul_f64_e32 v[132:133], v[120:121], v[8:9]
	v_mul_f64_e32 v[8:9], v[122:123], v[8:9]
	scratch_load_b128 v[108:111], off, off offset:304
	s_wait_loadcnt_dscnt 0x900
	v_mul_f64_e32 v[136:137], v[2:3], v[12:13]
	v_mul_f64_e32 v[12:13], v[4:5], v[12:13]
	v_add_f64_e32 v[31:32], 0, v[31:32]
	v_fma_f64 v[122:123], v[122:123], v[6:7], v[132:133]
	v_fma_f64 v[120:121], v[120:121], v[6:7], -v[8:9]
	v_add_f64_e32 v[132:133], 0, v[134:135]
	scratch_load_b128 v[6:9], off, off offset:320
	v_fma_f64 v[136:137], v[4:5], v[10:11], v[136:137]
	v_fma_f64 v[138:139], v[2:3], v[10:11], -v[12:13]
	ds_load_b128 v[2:5], v1 offset:752
	s_wait_loadcnt 0x9
	v_mul_f64_e32 v[134:135], v[128:129], v[16:17]
	v_mul_f64_e32 v[16:17], v[130:131], v[16:17]
	scratch_load_b128 v[10:13], off, off offset:336
	v_add_f64_e32 v[31:32], v[31:32], v[120:121]
	v_add_f64_e32 v[132:133], v[132:133], v[122:123]
	s_wait_loadcnt_dscnt 0x900
	v_mul_f64_e32 v[140:141], v[2:3], v[20:21]
	v_mul_f64_e32 v[20:21], v[4:5], v[20:21]
	ds_load_b128 v[120:123], v1 offset:768
	v_fma_f64 v[130:131], v[130:131], v[14:15], v[134:135]
	v_fma_f64 v[128:129], v[128:129], v[14:15], -v[16:17]
	scratch_load_b128 v[14:17], off, off offset:352
	v_add_f64_e32 v[31:32], v[31:32], v[138:139]
	v_add_f64_e32 v[132:133], v[132:133], v[136:137]
	v_fma_f64 v[136:137], v[4:5], v[18:19], v[140:141]
	v_fma_f64 v[138:139], v[2:3], v[18:19], -v[20:21]
	ds_load_b128 v[2:5], v1 offset:784
	s_wait_loadcnt_dscnt 0x901
	v_mul_f64_e32 v[134:135], v[120:121], v[24:25]
	v_mul_f64_e32 v[24:25], v[122:123], v[24:25]
	scratch_load_b128 v[18:21], off, off offset:368
	s_wait_loadcnt_dscnt 0x900
	v_mul_f64_e32 v[140:141], v[2:3], v[29:30]
	v_mul_f64_e32 v[29:30], v[4:5], v[29:30]
	v_add_f64_e32 v[31:32], v[31:32], v[128:129]
	v_add_f64_e32 v[132:133], v[132:133], v[130:131]
	ds_load_b128 v[128:131], v1 offset:800
	v_fma_f64 v[122:123], v[122:123], v[22:23], v[134:135]
	v_fma_f64 v[120:121], v[120:121], v[22:23], -v[24:25]
	scratch_load_b128 v[22:25], off, off offset:384
	v_add_f64_e32 v[31:32], v[31:32], v[138:139]
	v_add_f64_e32 v[132:133], v[132:133], v[136:137]
	v_fma_f64 v[136:137], v[4:5], v[27:28], v[140:141]
	v_fma_f64 v[138:139], v[2:3], v[27:28], -v[29:30]
	ds_load_b128 v[2:5], v1 offset:816
	s_wait_loadcnt_dscnt 0x901
	v_mul_f64_e32 v[134:135], v[128:129], v[106:107]
	v_mul_f64_e32 v[106:107], v[130:131], v[106:107]
	scratch_load_b128 v[27:30], off, off offset:400
	s_wait_loadcnt_dscnt 0x900
	v_mul_f64_e32 v[140:141], v[2:3], v[114:115]
	v_mul_f64_e32 v[114:115], v[4:5], v[114:115]
	v_add_f64_e32 v[31:32], v[31:32], v[120:121]
	v_add_f64_e32 v[132:133], v[132:133], v[122:123]
	ds_load_b128 v[120:123], v1 offset:832
	v_fma_f64 v[130:131], v[130:131], v[104:105], v[134:135]
	v_fma_f64 v[128:129], v[128:129], v[104:105], -v[106:107]
	scratch_load_b128 v[104:107], off, off offset:416
	v_add_f64_e32 v[31:32], v[31:32], v[138:139]
	v_add_f64_e32 v[132:133], v[132:133], v[136:137]
	v_fma_f64 v[138:139], v[4:5], v[112:113], v[140:141]
	v_fma_f64 v[140:141], v[2:3], v[112:113], -v[114:115]
	ds_load_b128 v[2:5], v1 offset:848
	s_wait_loadcnt_dscnt 0x801
	v_mul_f64_e32 v[134:135], v[120:121], v[126:127]
	v_mul_f64_e32 v[136:137], v[122:123], v[126:127]
	scratch_load_b128 v[112:115], off, off offset:432
	v_add_f64_e32 v[31:32], v[31:32], v[128:129]
	v_add_f64_e32 v[130:131], v[132:133], v[130:131]
	ds_load_b128 v[126:129], v1 offset:864
	v_fma_f64 v[134:135], v[122:123], v[124:125], v[134:135]
	v_fma_f64 v[124:125], v[120:121], v[124:125], -v[136:137]
	scratch_load_b128 v[120:123], off, off offset:448
	s_wait_loadcnt_dscnt 0x901
	v_mul_f64_e32 v[132:133], v[2:3], v[110:111]
	v_mul_f64_e32 v[110:111], v[4:5], v[110:111]
	v_add_f64_e32 v[31:32], v[31:32], v[140:141]
	v_add_f64_e32 v[130:131], v[130:131], v[138:139]
	s_delay_alu instid0(VALU_DEP_4) | instskip(NEXT) | instid1(VALU_DEP_4)
	v_fma_f64 v[138:139], v[4:5], v[108:109], v[132:133]
	v_fma_f64 v[140:141], v[2:3], v[108:109], -v[110:111]
	ds_load_b128 v[2:5], v1 offset:880
	s_wait_loadcnt_dscnt 0x801
	v_mul_f64_e32 v[136:137], v[126:127], v[8:9]
	v_mul_f64_e32 v[8:9], v[128:129], v[8:9]
	scratch_load_b128 v[108:111], off, off offset:464
	v_add_f64_e32 v[31:32], v[31:32], v[124:125]
	v_add_f64_e32 v[124:125], v[130:131], v[134:135]
	s_wait_loadcnt_dscnt 0x800
	v_mul_f64_e32 v[134:135], v[2:3], v[12:13]
	v_mul_f64_e32 v[12:13], v[4:5], v[12:13]
	ds_load_b128 v[130:133], v1 offset:896
	v_fma_f64 v[128:129], v[128:129], v[6:7], v[136:137]
	v_fma_f64 v[126:127], v[126:127], v[6:7], -v[8:9]
	scratch_load_b128 v[6:9], off, off offset:480
	v_add_f64_e32 v[31:32], v[31:32], v[140:141]
	v_add_f64_e32 v[124:125], v[124:125], v[138:139]
	v_fma_f64 v[134:135], v[4:5], v[10:11], v[134:135]
	v_fma_f64 v[138:139], v[2:3], v[10:11], -v[12:13]
	ds_load_b128 v[2:5], v1 offset:912
	s_wait_loadcnt_dscnt 0x801
	v_mul_f64_e32 v[136:137], v[130:131], v[16:17]
	v_mul_f64_e32 v[16:17], v[132:133], v[16:17]
	scratch_load_b128 v[10:13], off, off offset:496
	s_wait_loadcnt_dscnt 0x800
	v_mul_f64_e32 v[140:141], v[2:3], v[20:21]
	v_mul_f64_e32 v[20:21], v[4:5], v[20:21]
	v_add_f64_e32 v[31:32], v[31:32], v[126:127]
	v_add_f64_e32 v[128:129], v[124:125], v[128:129]
	ds_load_b128 v[124:127], v1 offset:928
	v_fma_f64 v[132:133], v[132:133], v[14:15], v[136:137]
	v_fma_f64 v[130:131], v[130:131], v[14:15], -v[16:17]
	scratch_load_b128 v[14:17], off, off offset:512
	v_fma_f64 v[136:137], v[4:5], v[18:19], v[140:141]
	v_add_f64_e32 v[31:32], v[31:32], v[138:139]
	v_add_f64_e32 v[128:129], v[128:129], v[134:135]
	v_fma_f64 v[138:139], v[2:3], v[18:19], -v[20:21]
	ds_load_b128 v[2:5], v1 offset:944
	s_wait_loadcnt_dscnt 0x801
	v_mul_f64_e32 v[134:135], v[124:125], v[24:25]
	v_mul_f64_e32 v[24:25], v[126:127], v[24:25]
	scratch_load_b128 v[18:21], off, off offset:528
	s_wait_loadcnt_dscnt 0x800
	v_mul_f64_e32 v[140:141], v[2:3], v[29:30]
	v_mul_f64_e32 v[29:30], v[4:5], v[29:30]
	v_add_f64_e32 v[31:32], v[31:32], v[130:131]
	v_add_f64_e32 v[132:133], v[128:129], v[132:133]
	ds_load_b128 v[128:131], v1 offset:960
	v_fma_f64 v[126:127], v[126:127], v[22:23], v[134:135]
	v_fma_f64 v[124:125], v[124:125], v[22:23], -v[24:25]
	scratch_load_b128 v[22:25], off, off offset:544
	v_add_f64_e32 v[31:32], v[31:32], v[138:139]
	v_add_f64_e32 v[132:133], v[132:133], v[136:137]
	v_fma_f64 v[136:137], v[4:5], v[27:28], v[140:141]
	v_fma_f64 v[138:139], v[2:3], v[27:28], -v[29:30]
	ds_load_b128 v[2:5], v1 offset:976
	s_wait_loadcnt_dscnt 0x801
	v_mul_f64_e32 v[134:135], v[128:129], v[106:107]
	v_mul_f64_e32 v[106:107], v[130:131], v[106:107]
	scratch_load_b128 v[27:30], off, off offset:560
	s_wait_loadcnt_dscnt 0x800
	v_mul_f64_e32 v[140:141], v[2:3], v[114:115]
	v_mul_f64_e32 v[114:115], v[4:5], v[114:115]
	v_add_f64_e32 v[31:32], v[31:32], v[124:125]
	v_add_f64_e32 v[132:133], v[132:133], v[126:127]
	ds_load_b128 v[124:127], v1 offset:992
	v_fma_f64 v[130:131], v[130:131], v[104:105], v[134:135]
	v_fma_f64 v[104:105], v[128:129], v[104:105], -v[106:107]
	s_wait_loadcnt_dscnt 0x700
	v_mul_f64_e32 v[128:129], v[124:125], v[122:123]
	v_mul_f64_e32 v[122:123], v[126:127], v[122:123]
	v_add_f64_e32 v[31:32], v[31:32], v[138:139]
	v_add_f64_e32 v[106:107], v[132:133], v[136:137]
	v_fma_f64 v[132:133], v[4:5], v[112:113], v[140:141]
	v_fma_f64 v[112:113], v[2:3], v[112:113], -v[114:115]
	v_fma_f64 v[126:127], v[126:127], v[120:121], v[128:129]
	v_fma_f64 v[120:121], v[124:125], v[120:121], -v[122:123]
	v_add_f64_e32 v[31:32], v[31:32], v[104:105]
	v_add_f64_e32 v[114:115], v[106:107], v[130:131]
	ds_load_b128 v[2:5], v1 offset:1008
	ds_load_b128 v[104:107], v1 offset:1024
	s_wait_loadcnt_dscnt 0x601
	v_mul_f64_e32 v[130:131], v[2:3], v[110:111]
	v_mul_f64_e32 v[110:111], v[4:5], v[110:111]
	v_add_f64_e32 v[31:32], v[31:32], v[112:113]
	v_add_f64_e32 v[112:113], v[114:115], v[132:133]
	s_wait_loadcnt_dscnt 0x500
	v_mul_f64_e32 v[114:115], v[104:105], v[8:9]
	v_mul_f64_e32 v[8:9], v[106:107], v[8:9]
	v_fma_f64 v[122:123], v[4:5], v[108:109], v[130:131]
	v_fma_f64 v[124:125], v[2:3], v[108:109], -v[110:111]
	ds_load_b128 v[2:5], v1 offset:1040
	ds_load_b128 v[108:111], v1 offset:1056
	v_add_f64_e32 v[31:32], v[31:32], v[120:121]
	v_add_f64_e32 v[112:113], v[112:113], v[126:127]
	v_fma_f64 v[106:107], v[106:107], v[6:7], v[114:115]
	v_fma_f64 v[6:7], v[104:105], v[6:7], -v[8:9]
	s_wait_loadcnt_dscnt 0x401
	v_mul_f64_e32 v[120:121], v[2:3], v[12:13]
	v_mul_f64_e32 v[12:13], v[4:5], v[12:13]
	s_wait_loadcnt_dscnt 0x300
	v_mul_f64_e32 v[104:105], v[108:109], v[16:17]
	v_mul_f64_e32 v[16:17], v[110:111], v[16:17]
	v_add_f64_e32 v[8:9], v[31:32], v[124:125]
	v_add_f64_e32 v[31:32], v[112:113], v[122:123]
	v_fma_f64 v[112:113], v[4:5], v[10:11], v[120:121]
	v_fma_f64 v[10:11], v[2:3], v[10:11], -v[12:13]
	v_fma_f64 v[104:105], v[110:111], v[14:15], v[104:105]
	v_fma_f64 v[14:15], v[108:109], v[14:15], -v[16:17]
	v_add_f64_e32 v[12:13], v[8:9], v[6:7]
	v_add_f64_e32 v[31:32], v[31:32], v[106:107]
	ds_load_b128 v[2:5], v1 offset:1072
	ds_load_b128 v[6:9], v1 offset:1088
	s_wait_loadcnt_dscnt 0x201
	v_mul_f64_e32 v[106:107], v[2:3], v[20:21]
	v_mul_f64_e32 v[20:21], v[4:5], v[20:21]
	s_wait_loadcnt_dscnt 0x100
	v_mul_f64_e32 v[16:17], v[6:7], v[24:25]
	v_mul_f64_e32 v[24:25], v[8:9], v[24:25]
	v_add_f64_e32 v[10:11], v[12:13], v[10:11]
	v_add_f64_e32 v[12:13], v[31:32], v[112:113]
	v_fma_f64 v[31:32], v[4:5], v[18:19], v[106:107]
	v_fma_f64 v[18:19], v[2:3], v[18:19], -v[20:21]
	ds_load_b128 v[2:5], v1 offset:1104
	v_fma_f64 v[8:9], v[8:9], v[22:23], v[16:17]
	v_fma_f64 v[6:7], v[6:7], v[22:23], -v[24:25]
	v_add_f64_e32 v[10:11], v[10:11], v[14:15]
	v_add_f64_e32 v[12:13], v[12:13], v[104:105]
	s_wait_loadcnt_dscnt 0x0
	v_mul_f64_e32 v[14:15], v[2:3], v[29:30]
	v_mul_f64_e32 v[20:21], v[4:5], v[29:30]
	s_delay_alu instid0(VALU_DEP_4) | instskip(NEXT) | instid1(VALU_DEP_4)
	v_add_f64_e32 v[10:11], v[10:11], v[18:19]
	v_add_f64_e32 v[12:13], v[12:13], v[31:32]
	s_delay_alu instid0(VALU_DEP_4) | instskip(NEXT) | instid1(VALU_DEP_4)
	v_fma_f64 v[4:5], v[4:5], v[27:28], v[14:15]
	v_fma_f64 v[2:3], v[2:3], v[27:28], -v[20:21]
	s_delay_alu instid0(VALU_DEP_4) | instskip(NEXT) | instid1(VALU_DEP_4)
	v_add_f64_e32 v[6:7], v[10:11], v[6:7]
	v_add_f64_e32 v[8:9], v[12:13], v[8:9]
	s_delay_alu instid0(VALU_DEP_2) | instskip(NEXT) | instid1(VALU_DEP_2)
	v_add_f64_e32 v[2:3], v[6:7], v[2:3]
	v_add_f64_e32 v[4:5], v[8:9], v[4:5]
	s_delay_alu instid0(VALU_DEP_2) | instskip(NEXT) | instid1(VALU_DEP_2)
	v_add_f64_e64 v[2:3], v[116:117], -v[2:3]
	v_add_f64_e64 v[4:5], v[118:119], -v[4:5]
	scratch_store_b128 off, v[2:5], off offset:128
	v_cmpx_lt_u32_e32 6, v0
	s_cbranch_execz .LBB34_211
; %bb.210:
	scratch_load_b128 v[5:8], off, s42
	v_dual_mov_b32 v2, v1 :: v_dual_mov_b32 v3, v1
	v_mov_b32_e32 v4, v1
	scratch_store_b128 off, v[1:4], off offset:112
	s_wait_loadcnt 0x0
	ds_store_b128 v26, v[5:8]
.LBB34_211:
	s_wait_alu 0xfffe
	s_or_b32 exec_lo, exec_lo, s0
	s_wait_storecnt_dscnt 0x0
	s_barrier_signal -1
	s_barrier_wait -1
	global_inv scope:SCOPE_SE
	s_clause 0x8
	scratch_load_b128 v[2:5], off, off offset:128
	scratch_load_b128 v[6:9], off, off offset:144
	scratch_load_b128 v[10:13], off, off offset:160
	scratch_load_b128 v[14:17], off, off offset:176
	scratch_load_b128 v[18:21], off, off offset:192
	scratch_load_b128 v[22:25], off, off offset:208
	scratch_load_b128 v[27:30], off, off offset:224
	scratch_load_b128 v[104:107], off, off offset:240
	scratch_load_b128 v[108:111], off, off offset:256
	ds_load_b128 v[112:115], v1 offset:672
	ds_load_b128 v[116:119], v1 offset:688
	s_clause 0x1
	scratch_load_b128 v[120:123], off, off offset:112
	scratch_load_b128 v[124:127], off, off offset:272
	s_mov_b32 s0, exec_lo
	ds_load_b128 v[128:131], v1 offset:720
	s_wait_loadcnt_dscnt 0xa02
	v_mul_f64_e32 v[31:32], v[114:115], v[4:5]
	v_mul_f64_e32 v[4:5], v[112:113], v[4:5]
	s_wait_loadcnt_dscnt 0x901
	v_mul_f64_e32 v[132:133], v[116:117], v[8:9]
	v_mul_f64_e32 v[8:9], v[118:119], v[8:9]
	s_delay_alu instid0(VALU_DEP_4) | instskip(NEXT) | instid1(VALU_DEP_4)
	v_fma_f64 v[31:32], v[112:113], v[2:3], -v[31:32]
	v_fma_f64 v[134:135], v[114:115], v[2:3], v[4:5]
	ds_load_b128 v[2:5], v1 offset:704
	scratch_load_b128 v[112:115], off, off offset:288
	v_fma_f64 v[118:119], v[118:119], v[6:7], v[132:133]
	v_fma_f64 v[116:117], v[116:117], v[6:7], -v[8:9]
	scratch_load_b128 v[6:9], off, off offset:304
	s_wait_loadcnt_dscnt 0xa00
	v_mul_f64_e32 v[136:137], v[2:3], v[12:13]
	v_mul_f64_e32 v[12:13], v[4:5], v[12:13]
	v_add_f64_e32 v[31:32], 0, v[31:32]
	v_add_f64_e32 v[132:133], 0, v[134:135]
	s_wait_loadcnt 0x9
	v_mul_f64_e32 v[134:135], v[128:129], v[16:17]
	v_mul_f64_e32 v[16:17], v[130:131], v[16:17]
	v_fma_f64 v[136:137], v[4:5], v[10:11], v[136:137]
	v_fma_f64 v[138:139], v[2:3], v[10:11], -v[12:13]
	ds_load_b128 v[2:5], v1 offset:736
	scratch_load_b128 v[10:13], off, off offset:320
	v_add_f64_e32 v[31:32], v[31:32], v[116:117]
	v_add_f64_e32 v[132:133], v[132:133], v[118:119]
	ds_load_b128 v[116:119], v1 offset:752
	v_fma_f64 v[130:131], v[130:131], v[14:15], v[134:135]
	v_fma_f64 v[128:129], v[128:129], v[14:15], -v[16:17]
	scratch_load_b128 v[14:17], off, off offset:336
	s_wait_loadcnt_dscnt 0xa01
	v_mul_f64_e32 v[140:141], v[2:3], v[20:21]
	v_mul_f64_e32 v[20:21], v[4:5], v[20:21]
	s_wait_loadcnt_dscnt 0x900
	v_mul_f64_e32 v[134:135], v[116:117], v[24:25]
	v_mul_f64_e32 v[24:25], v[118:119], v[24:25]
	v_add_f64_e32 v[31:32], v[31:32], v[138:139]
	v_add_f64_e32 v[132:133], v[132:133], v[136:137]
	v_fma_f64 v[136:137], v[4:5], v[18:19], v[140:141]
	v_fma_f64 v[138:139], v[2:3], v[18:19], -v[20:21]
	ds_load_b128 v[2:5], v1 offset:768
	scratch_load_b128 v[18:21], off, off offset:352
	v_fma_f64 v[118:119], v[118:119], v[22:23], v[134:135]
	v_fma_f64 v[116:117], v[116:117], v[22:23], -v[24:25]
	scratch_load_b128 v[22:25], off, off offset:368
	v_add_f64_e32 v[31:32], v[31:32], v[128:129]
	v_add_f64_e32 v[132:133], v[132:133], v[130:131]
	ds_load_b128 v[128:131], v1 offset:784
	s_wait_loadcnt_dscnt 0xa01
	v_mul_f64_e32 v[140:141], v[2:3], v[29:30]
	v_mul_f64_e32 v[29:30], v[4:5], v[29:30]
	s_wait_loadcnt_dscnt 0x900
	v_mul_f64_e32 v[134:135], v[128:129], v[106:107]
	v_mul_f64_e32 v[106:107], v[130:131], v[106:107]
	v_add_f64_e32 v[31:32], v[31:32], v[138:139]
	v_add_f64_e32 v[132:133], v[132:133], v[136:137]
	v_fma_f64 v[136:137], v[4:5], v[27:28], v[140:141]
	v_fma_f64 v[138:139], v[2:3], v[27:28], -v[29:30]
	ds_load_b128 v[2:5], v1 offset:800
	scratch_load_b128 v[27:30], off, off offset:384
	v_fma_f64 v[130:131], v[130:131], v[104:105], v[134:135]
	v_fma_f64 v[128:129], v[128:129], v[104:105], -v[106:107]
	scratch_load_b128 v[104:107], off, off offset:400
	v_add_f64_e32 v[31:32], v[31:32], v[116:117]
	v_add_f64_e32 v[132:133], v[132:133], v[118:119]
	ds_load_b128 v[116:119], v1 offset:816
	s_wait_loadcnt_dscnt 0xa01
	v_mul_f64_e32 v[140:141], v[2:3], v[110:111]
	v_mul_f64_e32 v[110:111], v[4:5], v[110:111]
	s_wait_loadcnt_dscnt 0x800
	v_mul_f64_e32 v[134:135], v[116:117], v[126:127]
	v_add_f64_e32 v[31:32], v[31:32], v[138:139]
	v_add_f64_e32 v[132:133], v[132:133], v[136:137]
	v_mul_f64_e32 v[136:137], v[118:119], v[126:127]
	v_fma_f64 v[138:139], v[4:5], v[108:109], v[140:141]
	v_fma_f64 v[140:141], v[2:3], v[108:109], -v[110:111]
	ds_load_b128 v[2:5], v1 offset:832
	scratch_load_b128 v[108:111], off, off offset:416
	v_fma_f64 v[118:119], v[118:119], v[124:125], v[134:135]
	v_add_f64_e32 v[31:32], v[31:32], v[128:129]
	v_add_f64_e32 v[130:131], v[132:133], v[130:131]
	ds_load_b128 v[126:129], v1 offset:848
	v_fma_f64 v[124:125], v[116:117], v[124:125], -v[136:137]
	ds_load_b128 v[134:137], v1 offset:880
	s_wait_loadcnt_dscnt 0x802
	v_mul_f64_e32 v[132:133], v[2:3], v[114:115]
	v_mul_f64_e32 v[142:143], v[4:5], v[114:115]
	scratch_load_b128 v[114:117], off, off offset:432
	v_add_f64_e32 v[31:32], v[31:32], v[140:141]
	v_add_f64_e32 v[130:131], v[130:131], v[138:139]
	s_wait_loadcnt_dscnt 0x801
	v_mul_f64_e32 v[138:139], v[126:127], v[8:9]
	v_mul_f64_e32 v[8:9], v[128:129], v[8:9]
	v_fma_f64 v[140:141], v[4:5], v[112:113], v[132:133]
	v_fma_f64 v[112:113], v[2:3], v[112:113], -v[142:143]
	ds_load_b128 v[2:5], v1 offset:864
	v_add_f64_e32 v[31:32], v[31:32], v[124:125]
	v_add_f64_e32 v[118:119], v[130:131], v[118:119]
	scratch_load_b128 v[130:133], off, off offset:448
	s_wait_loadcnt_dscnt 0x800
	v_mul_f64_e32 v[124:125], v[2:3], v[12:13]
	v_mul_f64_e32 v[12:13], v[4:5], v[12:13]
	v_fma_f64 v[128:129], v[128:129], v[6:7], v[138:139]
	v_fma_f64 v[126:127], v[126:127], v[6:7], -v[8:9]
	scratch_load_b128 v[6:9], off, off offset:464
	v_add_f64_e32 v[31:32], v[31:32], v[112:113]
	v_add_f64_e32 v[112:113], v[118:119], v[140:141]
	s_wait_loadcnt 0x8
	v_mul_f64_e32 v[118:119], v[134:135], v[16:17]
	v_mul_f64_e32 v[16:17], v[136:137], v[16:17]
	v_fma_f64 v[138:139], v[4:5], v[10:11], v[124:125]
	v_fma_f64 v[140:141], v[2:3], v[10:11], -v[12:13]
	ds_load_b128 v[2:5], v1 offset:896
	scratch_load_b128 v[10:13], off, off offset:480
	v_add_f64_e32 v[31:32], v[31:32], v[126:127]
	v_add_f64_e32 v[112:113], v[112:113], v[128:129]
	ds_load_b128 v[124:127], v1 offset:912
	s_wait_loadcnt_dscnt 0x801
	v_mul_f64_e32 v[128:129], v[2:3], v[20:21]
	v_mul_f64_e32 v[20:21], v[4:5], v[20:21]
	v_fma_f64 v[118:119], v[136:137], v[14:15], v[118:119]
	v_fma_f64 v[134:135], v[134:135], v[14:15], -v[16:17]
	scratch_load_b128 v[14:17], off, off offset:496
	v_add_f64_e32 v[31:32], v[31:32], v[140:141]
	v_add_f64_e32 v[112:113], v[112:113], v[138:139]
	s_wait_loadcnt_dscnt 0x800
	v_mul_f64_e32 v[138:139], v[124:125], v[24:25]
	v_mul_f64_e32 v[24:25], v[126:127], v[24:25]
	v_fma_f64 v[128:129], v[4:5], v[18:19], v[128:129]
	v_fma_f64 v[140:141], v[2:3], v[18:19], -v[20:21]
	ds_load_b128 v[2:5], v1 offset:928
	scratch_load_b128 v[18:21], off, off offset:512
	v_add_f64_e32 v[31:32], v[31:32], v[134:135]
	v_add_f64_e32 v[112:113], v[112:113], v[118:119]
	ds_load_b128 v[134:137], v1 offset:944
	s_wait_loadcnt_dscnt 0x801
	v_mul_f64_e32 v[118:119], v[2:3], v[29:30]
	v_mul_f64_e32 v[29:30], v[4:5], v[29:30]
	v_fma_f64 v[126:127], v[126:127], v[22:23], v[138:139]
	v_fma_f64 v[124:125], v[124:125], v[22:23], -v[24:25]
	scratch_load_b128 v[22:25], off, off offset:528
	v_add_f64_e32 v[31:32], v[31:32], v[140:141]
	v_add_f64_e32 v[112:113], v[112:113], v[128:129]
	s_wait_loadcnt_dscnt 0x800
	;; [unrolled: 18-line block ×3, first 2 shown]
	v_mul_f64_e32 v[118:119], v[124:125], v[116:117]
	v_mul_f64_e32 v[116:117], v[126:127], v[116:117]
	v_fma_f64 v[136:137], v[4:5], v[108:109], v[140:141]
	v_fma_f64 v[138:139], v[2:3], v[108:109], -v[110:111]
	ds_load_b128 v[2:5], v1 offset:992
	ds_load_b128 v[108:111], v1 offset:1008
	v_add_f64_e32 v[31:32], v[31:32], v[134:135]
	v_add_f64_e32 v[112:113], v[112:113], v[128:129]
	v_fma_f64 v[118:119], v[126:127], v[114:115], v[118:119]
	v_fma_f64 v[114:115], v[124:125], v[114:115], -v[116:117]
	s_wait_loadcnt_dscnt 0x701
	v_mul_f64_e32 v[128:129], v[2:3], v[132:133]
	v_mul_f64_e32 v[132:133], v[4:5], v[132:133]
	s_wait_loadcnt_dscnt 0x600
	v_mul_f64_e32 v[116:117], v[108:109], v[8:9]
	v_mul_f64_e32 v[8:9], v[110:111], v[8:9]
	v_add_f64_e32 v[31:32], v[31:32], v[138:139]
	v_add_f64_e32 v[112:113], v[112:113], v[136:137]
	v_fma_f64 v[124:125], v[4:5], v[130:131], v[128:129]
	v_fma_f64 v[126:127], v[2:3], v[130:131], -v[132:133]
	v_fma_f64 v[110:111], v[110:111], v[6:7], v[116:117]
	v_fma_f64 v[6:7], v[108:109], v[6:7], -v[8:9]
	v_add_f64_e32 v[31:32], v[31:32], v[114:115]
	v_add_f64_e32 v[118:119], v[112:113], v[118:119]
	ds_load_b128 v[2:5], v1 offset:1024
	ds_load_b128 v[112:115], v1 offset:1040
	s_wait_loadcnt_dscnt 0x501
	v_mul_f64_e32 v[128:129], v[2:3], v[12:13]
	v_mul_f64_e32 v[12:13], v[4:5], v[12:13]
	s_wait_loadcnt_dscnt 0x400
	v_mul_f64_e32 v[108:109], v[112:113], v[16:17]
	v_mul_f64_e32 v[16:17], v[114:115], v[16:17]
	v_add_f64_e32 v[8:9], v[31:32], v[126:127]
	v_add_f64_e32 v[31:32], v[118:119], v[124:125]
	v_fma_f64 v[116:117], v[4:5], v[10:11], v[128:129]
	v_fma_f64 v[10:11], v[2:3], v[10:11], -v[12:13]
	v_fma_f64 v[108:109], v[114:115], v[14:15], v[108:109]
	v_fma_f64 v[14:15], v[112:113], v[14:15], -v[16:17]
	v_add_f64_e32 v[12:13], v[8:9], v[6:7]
	v_add_f64_e32 v[31:32], v[31:32], v[110:111]
	ds_load_b128 v[2:5], v1 offset:1056
	ds_load_b128 v[6:9], v1 offset:1072
	;; [unrolled: 16-line block ×3, first 2 shown]
	s_wait_loadcnt_dscnt 0x101
	v_mul_f64_e32 v[108:109], v[2:3], v[29:30]
	v_mul_f64_e32 v[29:30], v[4:5], v[29:30]
	v_add_f64_e32 v[14:15], v[14:15], v[18:19]
	v_add_f64_e32 v[16:17], v[20:21], v[31:32]
	s_wait_loadcnt_dscnt 0x0
	v_mul_f64_e32 v[18:19], v[10:11], v[106:107]
	v_mul_f64_e32 v[20:21], v[12:13], v[106:107]
	v_fma_f64 v[4:5], v[4:5], v[27:28], v[108:109]
	v_fma_f64 v[1:2], v[2:3], v[27:28], -v[29:30]
	v_add_f64_e32 v[6:7], v[14:15], v[6:7]
	v_add_f64_e32 v[8:9], v[16:17], v[8:9]
	v_fma_f64 v[12:13], v[12:13], v[104:105], v[18:19]
	v_fma_f64 v[10:11], v[10:11], v[104:105], -v[20:21]
	s_delay_alu instid0(VALU_DEP_4) | instskip(NEXT) | instid1(VALU_DEP_4)
	v_add_f64_e32 v[1:2], v[6:7], v[1:2]
	v_add_f64_e32 v[3:4], v[8:9], v[4:5]
	s_delay_alu instid0(VALU_DEP_2) | instskip(NEXT) | instid1(VALU_DEP_2)
	v_add_f64_e32 v[1:2], v[1:2], v[10:11]
	v_add_f64_e32 v[3:4], v[3:4], v[12:13]
	s_delay_alu instid0(VALU_DEP_2) | instskip(NEXT) | instid1(VALU_DEP_2)
	v_add_f64_e64 v[1:2], v[120:121], -v[1:2]
	v_add_f64_e64 v[3:4], v[122:123], -v[3:4]
	scratch_store_b128 off, v[1:4], off offset:112
	v_cmpx_lt_u32_e32 5, v0
	s_cbranch_execz .LBB34_213
; %bb.212:
	scratch_load_b128 v[1:4], off, s43
	v_mov_b32_e32 v5, 0
	s_delay_alu instid0(VALU_DEP_1)
	v_dual_mov_b32 v6, v5 :: v_dual_mov_b32 v7, v5
	v_mov_b32_e32 v8, v5
	scratch_store_b128 off, v[5:8], off offset:96
	s_wait_loadcnt 0x0
	ds_store_b128 v26, v[1:4]
.LBB34_213:
	s_wait_alu 0xfffe
	s_or_b32 exec_lo, exec_lo, s0
	s_wait_storecnt_dscnt 0x0
	s_barrier_signal -1
	s_barrier_wait -1
	global_inv scope:SCOPE_SE
	s_clause 0x7
	scratch_load_b128 v[2:5], off, off offset:112
	scratch_load_b128 v[6:9], off, off offset:128
	;; [unrolled: 1-line block ×8, first 2 shown]
	v_mov_b32_e32 v1, 0
	s_mov_b32 s0, exec_lo
	ds_load_b128 v[108:111], v1 offset:656
	s_clause 0x1
	scratch_load_b128 v[112:115], off, off offset:240
	scratch_load_b128 v[116:119], off, off offset:96
	ds_load_b128 v[120:123], v1 offset:672
	scratch_load_b128 v[124:127], off, off offset:256
	ds_load_b128 v[128:131], v1 offset:704
	s_wait_loadcnt_dscnt 0xa02
	v_mul_f64_e32 v[31:32], v[110:111], v[4:5]
	v_mul_f64_e32 v[4:5], v[108:109], v[4:5]
	s_delay_alu instid0(VALU_DEP_2) | instskip(NEXT) | instid1(VALU_DEP_2)
	v_fma_f64 v[31:32], v[108:109], v[2:3], -v[31:32]
	v_fma_f64 v[134:135], v[110:111], v[2:3], v[4:5]
	ds_load_b128 v[2:5], v1 offset:688
	s_wait_loadcnt_dscnt 0x902
	v_mul_f64_e32 v[132:133], v[120:121], v[8:9]
	v_mul_f64_e32 v[8:9], v[122:123], v[8:9]
	scratch_load_b128 v[108:111], off, off offset:272
	s_wait_loadcnt_dscnt 0x900
	v_mul_f64_e32 v[136:137], v[2:3], v[12:13]
	v_mul_f64_e32 v[12:13], v[4:5], v[12:13]
	v_add_f64_e32 v[31:32], 0, v[31:32]
	v_fma_f64 v[122:123], v[122:123], v[6:7], v[132:133]
	v_fma_f64 v[120:121], v[120:121], v[6:7], -v[8:9]
	v_add_f64_e32 v[132:133], 0, v[134:135]
	scratch_load_b128 v[6:9], off, off offset:288
	v_fma_f64 v[136:137], v[4:5], v[10:11], v[136:137]
	v_fma_f64 v[138:139], v[2:3], v[10:11], -v[12:13]
	ds_load_b128 v[2:5], v1 offset:720
	s_wait_loadcnt 0x9
	v_mul_f64_e32 v[134:135], v[128:129], v[16:17]
	v_mul_f64_e32 v[16:17], v[130:131], v[16:17]
	scratch_load_b128 v[10:13], off, off offset:304
	v_add_f64_e32 v[31:32], v[31:32], v[120:121]
	v_add_f64_e32 v[132:133], v[132:133], v[122:123]
	s_wait_loadcnt_dscnt 0x900
	v_mul_f64_e32 v[140:141], v[2:3], v[20:21]
	v_mul_f64_e32 v[20:21], v[4:5], v[20:21]
	ds_load_b128 v[120:123], v1 offset:736
	v_fma_f64 v[130:131], v[130:131], v[14:15], v[134:135]
	v_fma_f64 v[128:129], v[128:129], v[14:15], -v[16:17]
	scratch_load_b128 v[14:17], off, off offset:320
	v_add_f64_e32 v[31:32], v[31:32], v[138:139]
	v_add_f64_e32 v[132:133], v[132:133], v[136:137]
	v_fma_f64 v[136:137], v[4:5], v[18:19], v[140:141]
	v_fma_f64 v[138:139], v[2:3], v[18:19], -v[20:21]
	ds_load_b128 v[2:5], v1 offset:752
	s_wait_loadcnt_dscnt 0x901
	v_mul_f64_e32 v[134:135], v[120:121], v[24:25]
	v_mul_f64_e32 v[24:25], v[122:123], v[24:25]
	scratch_load_b128 v[18:21], off, off offset:336
	s_wait_loadcnt_dscnt 0x900
	v_mul_f64_e32 v[140:141], v[2:3], v[29:30]
	v_mul_f64_e32 v[29:30], v[4:5], v[29:30]
	v_add_f64_e32 v[31:32], v[31:32], v[128:129]
	v_add_f64_e32 v[132:133], v[132:133], v[130:131]
	ds_load_b128 v[128:131], v1 offset:768
	v_fma_f64 v[122:123], v[122:123], v[22:23], v[134:135]
	v_fma_f64 v[120:121], v[120:121], v[22:23], -v[24:25]
	scratch_load_b128 v[22:25], off, off offset:352
	v_add_f64_e32 v[31:32], v[31:32], v[138:139]
	v_add_f64_e32 v[132:133], v[132:133], v[136:137]
	v_fma_f64 v[136:137], v[4:5], v[27:28], v[140:141]
	v_fma_f64 v[138:139], v[2:3], v[27:28], -v[29:30]
	ds_load_b128 v[2:5], v1 offset:784
	s_wait_loadcnt_dscnt 0x901
	v_mul_f64_e32 v[134:135], v[128:129], v[106:107]
	v_mul_f64_e32 v[106:107], v[130:131], v[106:107]
	scratch_load_b128 v[27:30], off, off offset:368
	s_wait_loadcnt_dscnt 0x900
	v_mul_f64_e32 v[140:141], v[2:3], v[114:115]
	v_mul_f64_e32 v[114:115], v[4:5], v[114:115]
	v_add_f64_e32 v[31:32], v[31:32], v[120:121]
	v_add_f64_e32 v[132:133], v[132:133], v[122:123]
	ds_load_b128 v[120:123], v1 offset:800
	v_fma_f64 v[130:131], v[130:131], v[104:105], v[134:135]
	v_fma_f64 v[128:129], v[128:129], v[104:105], -v[106:107]
	scratch_load_b128 v[104:107], off, off offset:384
	v_add_f64_e32 v[31:32], v[31:32], v[138:139]
	v_add_f64_e32 v[132:133], v[132:133], v[136:137]
	v_fma_f64 v[138:139], v[4:5], v[112:113], v[140:141]
	v_fma_f64 v[140:141], v[2:3], v[112:113], -v[114:115]
	ds_load_b128 v[2:5], v1 offset:816
	s_wait_loadcnt_dscnt 0x801
	v_mul_f64_e32 v[134:135], v[120:121], v[126:127]
	v_mul_f64_e32 v[136:137], v[122:123], v[126:127]
	scratch_load_b128 v[112:115], off, off offset:400
	v_add_f64_e32 v[31:32], v[31:32], v[128:129]
	v_add_f64_e32 v[130:131], v[132:133], v[130:131]
	ds_load_b128 v[126:129], v1 offset:832
	v_fma_f64 v[134:135], v[122:123], v[124:125], v[134:135]
	v_fma_f64 v[124:125], v[120:121], v[124:125], -v[136:137]
	scratch_load_b128 v[120:123], off, off offset:416
	s_wait_loadcnt_dscnt 0x901
	v_mul_f64_e32 v[132:133], v[2:3], v[110:111]
	v_mul_f64_e32 v[110:111], v[4:5], v[110:111]
	v_add_f64_e32 v[31:32], v[31:32], v[140:141]
	v_add_f64_e32 v[130:131], v[130:131], v[138:139]
	s_delay_alu instid0(VALU_DEP_4) | instskip(NEXT) | instid1(VALU_DEP_4)
	v_fma_f64 v[138:139], v[4:5], v[108:109], v[132:133]
	v_fma_f64 v[140:141], v[2:3], v[108:109], -v[110:111]
	ds_load_b128 v[2:5], v1 offset:848
	s_wait_loadcnt_dscnt 0x801
	v_mul_f64_e32 v[136:137], v[126:127], v[8:9]
	v_mul_f64_e32 v[8:9], v[128:129], v[8:9]
	scratch_load_b128 v[108:111], off, off offset:432
	v_add_f64_e32 v[31:32], v[31:32], v[124:125]
	v_add_f64_e32 v[124:125], v[130:131], v[134:135]
	s_wait_loadcnt_dscnt 0x800
	v_mul_f64_e32 v[134:135], v[2:3], v[12:13]
	v_mul_f64_e32 v[12:13], v[4:5], v[12:13]
	ds_load_b128 v[130:133], v1 offset:864
	v_fma_f64 v[128:129], v[128:129], v[6:7], v[136:137]
	v_fma_f64 v[126:127], v[126:127], v[6:7], -v[8:9]
	scratch_load_b128 v[6:9], off, off offset:448
	v_add_f64_e32 v[31:32], v[31:32], v[140:141]
	v_add_f64_e32 v[124:125], v[124:125], v[138:139]
	v_fma_f64 v[134:135], v[4:5], v[10:11], v[134:135]
	v_fma_f64 v[138:139], v[2:3], v[10:11], -v[12:13]
	ds_load_b128 v[2:5], v1 offset:880
	s_wait_loadcnt_dscnt 0x801
	v_mul_f64_e32 v[136:137], v[130:131], v[16:17]
	v_mul_f64_e32 v[16:17], v[132:133], v[16:17]
	scratch_load_b128 v[10:13], off, off offset:464
	s_wait_loadcnt_dscnt 0x800
	v_mul_f64_e32 v[140:141], v[2:3], v[20:21]
	v_mul_f64_e32 v[20:21], v[4:5], v[20:21]
	v_add_f64_e32 v[31:32], v[31:32], v[126:127]
	v_add_f64_e32 v[128:129], v[124:125], v[128:129]
	ds_load_b128 v[124:127], v1 offset:896
	v_fma_f64 v[132:133], v[132:133], v[14:15], v[136:137]
	v_fma_f64 v[130:131], v[130:131], v[14:15], -v[16:17]
	scratch_load_b128 v[14:17], off, off offset:480
	v_fma_f64 v[136:137], v[4:5], v[18:19], v[140:141]
	v_add_f64_e32 v[31:32], v[31:32], v[138:139]
	v_add_f64_e32 v[128:129], v[128:129], v[134:135]
	v_fma_f64 v[138:139], v[2:3], v[18:19], -v[20:21]
	ds_load_b128 v[2:5], v1 offset:912
	s_wait_loadcnt_dscnt 0x801
	v_mul_f64_e32 v[134:135], v[124:125], v[24:25]
	v_mul_f64_e32 v[24:25], v[126:127], v[24:25]
	scratch_load_b128 v[18:21], off, off offset:496
	s_wait_loadcnt_dscnt 0x800
	v_mul_f64_e32 v[140:141], v[2:3], v[29:30]
	v_mul_f64_e32 v[29:30], v[4:5], v[29:30]
	v_add_f64_e32 v[31:32], v[31:32], v[130:131]
	v_add_f64_e32 v[132:133], v[128:129], v[132:133]
	ds_load_b128 v[128:131], v1 offset:928
	v_fma_f64 v[126:127], v[126:127], v[22:23], v[134:135]
	v_fma_f64 v[124:125], v[124:125], v[22:23], -v[24:25]
	scratch_load_b128 v[22:25], off, off offset:512
	v_add_f64_e32 v[31:32], v[31:32], v[138:139]
	v_add_f64_e32 v[132:133], v[132:133], v[136:137]
	v_fma_f64 v[136:137], v[4:5], v[27:28], v[140:141]
	v_fma_f64 v[138:139], v[2:3], v[27:28], -v[29:30]
	ds_load_b128 v[2:5], v1 offset:944
	s_wait_loadcnt_dscnt 0x801
	v_mul_f64_e32 v[134:135], v[128:129], v[106:107]
	v_mul_f64_e32 v[106:107], v[130:131], v[106:107]
	scratch_load_b128 v[27:30], off, off offset:528
	s_wait_loadcnt_dscnt 0x800
	v_mul_f64_e32 v[140:141], v[2:3], v[114:115]
	v_mul_f64_e32 v[114:115], v[4:5], v[114:115]
	v_add_f64_e32 v[31:32], v[31:32], v[124:125]
	v_add_f64_e32 v[132:133], v[132:133], v[126:127]
	ds_load_b128 v[124:127], v1 offset:960
	v_fma_f64 v[130:131], v[130:131], v[104:105], v[134:135]
	v_fma_f64 v[128:129], v[128:129], v[104:105], -v[106:107]
	scratch_load_b128 v[104:107], off, off offset:544
	v_add_f64_e32 v[31:32], v[31:32], v[138:139]
	v_add_f64_e32 v[132:133], v[132:133], v[136:137]
	v_fma_f64 v[136:137], v[4:5], v[112:113], v[140:141]
	v_fma_f64 v[138:139], v[2:3], v[112:113], -v[114:115]
	ds_load_b128 v[2:5], v1 offset:976
	s_wait_loadcnt_dscnt 0x801
	v_mul_f64_e32 v[134:135], v[124:125], v[122:123]
	v_mul_f64_e32 v[122:123], v[126:127], v[122:123]
	scratch_load_b128 v[112:115], off, off offset:560
	s_wait_loadcnt_dscnt 0x800
	v_mul_f64_e32 v[140:141], v[2:3], v[110:111]
	v_add_f64_e32 v[31:32], v[31:32], v[128:129]
	v_add_f64_e32 v[132:133], v[132:133], v[130:131]
	v_mul_f64_e32 v[110:111], v[4:5], v[110:111]
	ds_load_b128 v[128:131], v1 offset:992
	v_fma_f64 v[126:127], v[126:127], v[120:121], v[134:135]
	v_fma_f64 v[120:121], v[124:125], v[120:121], -v[122:123]
	s_wait_loadcnt_dscnt 0x700
	v_mul_f64_e32 v[124:125], v[128:129], v[8:9]
	v_add_f64_e32 v[31:32], v[31:32], v[138:139]
	v_add_f64_e32 v[122:123], v[132:133], v[136:137]
	v_mul_f64_e32 v[8:9], v[130:131], v[8:9]
	v_fma_f64 v[132:133], v[4:5], v[108:109], v[140:141]
	v_fma_f64 v[134:135], v[2:3], v[108:109], -v[110:111]
	ds_load_b128 v[2:5], v1 offset:1008
	ds_load_b128 v[108:111], v1 offset:1024
	v_fma_f64 v[124:125], v[130:131], v[6:7], v[124:125]
	v_add_f64_e32 v[31:32], v[31:32], v[120:121]
	v_add_f64_e32 v[120:121], v[122:123], v[126:127]
	s_wait_loadcnt_dscnt 0x601
	v_mul_f64_e32 v[122:123], v[2:3], v[12:13]
	v_mul_f64_e32 v[12:13], v[4:5], v[12:13]
	v_fma_f64 v[6:7], v[128:129], v[6:7], -v[8:9]
	v_add_f64_e32 v[8:9], v[31:32], v[134:135]
	v_add_f64_e32 v[31:32], v[120:121], v[132:133]
	s_wait_loadcnt_dscnt 0x500
	v_mul_f64_e32 v[120:121], v[108:109], v[16:17]
	v_mul_f64_e32 v[16:17], v[110:111], v[16:17]
	v_fma_f64 v[122:123], v[4:5], v[10:11], v[122:123]
	v_fma_f64 v[10:11], v[2:3], v[10:11], -v[12:13]
	v_add_f64_e32 v[12:13], v[8:9], v[6:7]
	v_add_f64_e32 v[31:32], v[31:32], v[124:125]
	ds_load_b128 v[2:5], v1 offset:1040
	ds_load_b128 v[6:9], v1 offset:1056
	v_fma_f64 v[110:111], v[110:111], v[14:15], v[120:121]
	v_fma_f64 v[14:15], v[108:109], v[14:15], -v[16:17]
	s_wait_loadcnt_dscnt 0x401
	v_mul_f64_e32 v[124:125], v[2:3], v[20:21]
	v_mul_f64_e32 v[20:21], v[4:5], v[20:21]
	s_wait_loadcnt_dscnt 0x300
	v_mul_f64_e32 v[16:17], v[6:7], v[24:25]
	v_mul_f64_e32 v[24:25], v[8:9], v[24:25]
	v_add_f64_e32 v[10:11], v[12:13], v[10:11]
	v_add_f64_e32 v[12:13], v[31:32], v[122:123]
	v_fma_f64 v[31:32], v[4:5], v[18:19], v[124:125]
	v_fma_f64 v[18:19], v[2:3], v[18:19], -v[20:21]
	v_fma_f64 v[8:9], v[8:9], v[22:23], v[16:17]
	v_fma_f64 v[6:7], v[6:7], v[22:23], -v[24:25]
	v_add_f64_e32 v[14:15], v[10:11], v[14:15]
	v_add_f64_e32 v[20:21], v[12:13], v[110:111]
	ds_load_b128 v[2:5], v1 offset:1072
	ds_load_b128 v[10:13], v1 offset:1088
	s_wait_loadcnt_dscnt 0x201
	v_mul_f64_e32 v[108:109], v[2:3], v[29:30]
	v_mul_f64_e32 v[29:30], v[4:5], v[29:30]
	v_add_f64_e32 v[14:15], v[14:15], v[18:19]
	v_add_f64_e32 v[16:17], v[20:21], v[31:32]
	s_wait_loadcnt_dscnt 0x100
	v_mul_f64_e32 v[18:19], v[10:11], v[106:107]
	v_mul_f64_e32 v[20:21], v[12:13], v[106:107]
	v_fma_f64 v[22:23], v[4:5], v[27:28], v[108:109]
	v_fma_f64 v[24:25], v[2:3], v[27:28], -v[29:30]
	ds_load_b128 v[2:5], v1 offset:1104
	v_add_f64_e32 v[6:7], v[14:15], v[6:7]
	v_add_f64_e32 v[8:9], v[16:17], v[8:9]
	v_fma_f64 v[12:13], v[12:13], v[104:105], v[18:19]
	v_fma_f64 v[10:11], v[10:11], v[104:105], -v[20:21]
	s_wait_loadcnt_dscnt 0x0
	v_mul_f64_e32 v[14:15], v[2:3], v[114:115]
	v_mul_f64_e32 v[16:17], v[4:5], v[114:115]
	v_add_f64_e32 v[6:7], v[6:7], v[24:25]
	v_add_f64_e32 v[8:9], v[8:9], v[22:23]
	s_delay_alu instid0(VALU_DEP_4) | instskip(NEXT) | instid1(VALU_DEP_4)
	v_fma_f64 v[4:5], v[4:5], v[112:113], v[14:15]
	v_fma_f64 v[2:3], v[2:3], v[112:113], -v[16:17]
	s_delay_alu instid0(VALU_DEP_4) | instskip(NEXT) | instid1(VALU_DEP_4)
	v_add_f64_e32 v[6:7], v[6:7], v[10:11]
	v_add_f64_e32 v[8:9], v[8:9], v[12:13]
	s_delay_alu instid0(VALU_DEP_2) | instskip(NEXT) | instid1(VALU_DEP_2)
	v_add_f64_e32 v[2:3], v[6:7], v[2:3]
	v_add_f64_e32 v[4:5], v[8:9], v[4:5]
	s_delay_alu instid0(VALU_DEP_2) | instskip(NEXT) | instid1(VALU_DEP_2)
	v_add_f64_e64 v[2:3], v[116:117], -v[2:3]
	v_add_f64_e64 v[4:5], v[118:119], -v[4:5]
	scratch_store_b128 off, v[2:5], off offset:96
	v_cmpx_lt_u32_e32 4, v0
	s_cbranch_execz .LBB34_215
; %bb.214:
	scratch_load_b128 v[5:8], off, s9
	v_dual_mov_b32 v2, v1 :: v_dual_mov_b32 v3, v1
	v_mov_b32_e32 v4, v1
	scratch_store_b128 off, v[1:4], off offset:80
	s_wait_loadcnt 0x0
	ds_store_b128 v26, v[5:8]
.LBB34_215:
	s_wait_alu 0xfffe
	s_or_b32 exec_lo, exec_lo, s0
	s_wait_storecnt_dscnt 0x0
	s_barrier_signal -1
	s_barrier_wait -1
	global_inv scope:SCOPE_SE
	s_clause 0x8
	scratch_load_b128 v[2:5], off, off offset:96
	scratch_load_b128 v[6:9], off, off offset:112
	;; [unrolled: 1-line block ×9, first 2 shown]
	ds_load_b128 v[112:115], v1 offset:640
	ds_load_b128 v[116:119], v1 offset:656
	s_clause 0x1
	scratch_load_b128 v[120:123], off, off offset:80
	scratch_load_b128 v[124:127], off, off offset:240
	s_mov_b32 s0, exec_lo
	ds_load_b128 v[128:131], v1 offset:688
	s_wait_loadcnt_dscnt 0xa02
	v_mul_f64_e32 v[31:32], v[114:115], v[4:5]
	v_mul_f64_e32 v[4:5], v[112:113], v[4:5]
	s_wait_loadcnt_dscnt 0x901
	v_mul_f64_e32 v[132:133], v[116:117], v[8:9]
	v_mul_f64_e32 v[8:9], v[118:119], v[8:9]
	s_delay_alu instid0(VALU_DEP_4) | instskip(NEXT) | instid1(VALU_DEP_4)
	v_fma_f64 v[31:32], v[112:113], v[2:3], -v[31:32]
	v_fma_f64 v[134:135], v[114:115], v[2:3], v[4:5]
	ds_load_b128 v[2:5], v1 offset:672
	scratch_load_b128 v[112:115], off, off offset:256
	v_fma_f64 v[118:119], v[118:119], v[6:7], v[132:133]
	v_fma_f64 v[116:117], v[116:117], v[6:7], -v[8:9]
	scratch_load_b128 v[6:9], off, off offset:272
	s_wait_loadcnt_dscnt 0xa00
	v_mul_f64_e32 v[136:137], v[2:3], v[12:13]
	v_mul_f64_e32 v[12:13], v[4:5], v[12:13]
	v_add_f64_e32 v[31:32], 0, v[31:32]
	v_add_f64_e32 v[132:133], 0, v[134:135]
	s_wait_loadcnt 0x9
	v_mul_f64_e32 v[134:135], v[128:129], v[16:17]
	v_mul_f64_e32 v[16:17], v[130:131], v[16:17]
	v_fma_f64 v[136:137], v[4:5], v[10:11], v[136:137]
	v_fma_f64 v[138:139], v[2:3], v[10:11], -v[12:13]
	ds_load_b128 v[2:5], v1 offset:704
	scratch_load_b128 v[10:13], off, off offset:288
	v_add_f64_e32 v[31:32], v[31:32], v[116:117]
	v_add_f64_e32 v[132:133], v[132:133], v[118:119]
	ds_load_b128 v[116:119], v1 offset:720
	v_fma_f64 v[130:131], v[130:131], v[14:15], v[134:135]
	v_fma_f64 v[128:129], v[128:129], v[14:15], -v[16:17]
	scratch_load_b128 v[14:17], off, off offset:304
	s_wait_loadcnt_dscnt 0xa01
	v_mul_f64_e32 v[140:141], v[2:3], v[20:21]
	v_mul_f64_e32 v[20:21], v[4:5], v[20:21]
	s_wait_loadcnt_dscnt 0x900
	v_mul_f64_e32 v[134:135], v[116:117], v[24:25]
	v_mul_f64_e32 v[24:25], v[118:119], v[24:25]
	v_add_f64_e32 v[31:32], v[31:32], v[138:139]
	v_add_f64_e32 v[132:133], v[132:133], v[136:137]
	v_fma_f64 v[136:137], v[4:5], v[18:19], v[140:141]
	v_fma_f64 v[138:139], v[2:3], v[18:19], -v[20:21]
	ds_load_b128 v[2:5], v1 offset:736
	scratch_load_b128 v[18:21], off, off offset:320
	v_fma_f64 v[118:119], v[118:119], v[22:23], v[134:135]
	v_fma_f64 v[116:117], v[116:117], v[22:23], -v[24:25]
	scratch_load_b128 v[22:25], off, off offset:336
	v_add_f64_e32 v[31:32], v[31:32], v[128:129]
	v_add_f64_e32 v[132:133], v[132:133], v[130:131]
	ds_load_b128 v[128:131], v1 offset:752
	s_wait_loadcnt_dscnt 0xa01
	v_mul_f64_e32 v[140:141], v[2:3], v[29:30]
	v_mul_f64_e32 v[29:30], v[4:5], v[29:30]
	s_wait_loadcnt_dscnt 0x900
	v_mul_f64_e32 v[134:135], v[128:129], v[106:107]
	v_mul_f64_e32 v[106:107], v[130:131], v[106:107]
	v_add_f64_e32 v[31:32], v[31:32], v[138:139]
	v_add_f64_e32 v[132:133], v[132:133], v[136:137]
	v_fma_f64 v[136:137], v[4:5], v[27:28], v[140:141]
	v_fma_f64 v[138:139], v[2:3], v[27:28], -v[29:30]
	ds_load_b128 v[2:5], v1 offset:768
	scratch_load_b128 v[27:30], off, off offset:352
	v_fma_f64 v[130:131], v[130:131], v[104:105], v[134:135]
	v_fma_f64 v[128:129], v[128:129], v[104:105], -v[106:107]
	scratch_load_b128 v[104:107], off, off offset:368
	v_add_f64_e32 v[31:32], v[31:32], v[116:117]
	v_add_f64_e32 v[132:133], v[132:133], v[118:119]
	ds_load_b128 v[116:119], v1 offset:784
	s_wait_loadcnt_dscnt 0xa01
	v_mul_f64_e32 v[140:141], v[2:3], v[110:111]
	v_mul_f64_e32 v[110:111], v[4:5], v[110:111]
	s_wait_loadcnt_dscnt 0x800
	v_mul_f64_e32 v[134:135], v[116:117], v[126:127]
	v_add_f64_e32 v[31:32], v[31:32], v[138:139]
	v_add_f64_e32 v[132:133], v[132:133], v[136:137]
	v_mul_f64_e32 v[136:137], v[118:119], v[126:127]
	v_fma_f64 v[138:139], v[4:5], v[108:109], v[140:141]
	v_fma_f64 v[140:141], v[2:3], v[108:109], -v[110:111]
	ds_load_b128 v[2:5], v1 offset:800
	scratch_load_b128 v[108:111], off, off offset:384
	v_fma_f64 v[118:119], v[118:119], v[124:125], v[134:135]
	v_add_f64_e32 v[31:32], v[31:32], v[128:129]
	v_add_f64_e32 v[130:131], v[132:133], v[130:131]
	ds_load_b128 v[126:129], v1 offset:816
	v_fma_f64 v[124:125], v[116:117], v[124:125], -v[136:137]
	ds_load_b128 v[134:137], v1 offset:848
	s_wait_loadcnt_dscnt 0x802
	v_mul_f64_e32 v[132:133], v[2:3], v[114:115]
	v_mul_f64_e32 v[142:143], v[4:5], v[114:115]
	scratch_load_b128 v[114:117], off, off offset:400
	v_add_f64_e32 v[31:32], v[31:32], v[140:141]
	v_add_f64_e32 v[130:131], v[130:131], v[138:139]
	s_wait_loadcnt_dscnt 0x801
	v_mul_f64_e32 v[138:139], v[126:127], v[8:9]
	v_mul_f64_e32 v[8:9], v[128:129], v[8:9]
	v_fma_f64 v[140:141], v[4:5], v[112:113], v[132:133]
	v_fma_f64 v[112:113], v[2:3], v[112:113], -v[142:143]
	ds_load_b128 v[2:5], v1 offset:832
	v_add_f64_e32 v[31:32], v[31:32], v[124:125]
	v_add_f64_e32 v[118:119], v[130:131], v[118:119]
	scratch_load_b128 v[130:133], off, off offset:416
	s_wait_loadcnt_dscnt 0x800
	v_mul_f64_e32 v[124:125], v[2:3], v[12:13]
	v_mul_f64_e32 v[12:13], v[4:5], v[12:13]
	v_fma_f64 v[128:129], v[128:129], v[6:7], v[138:139]
	v_fma_f64 v[126:127], v[126:127], v[6:7], -v[8:9]
	scratch_load_b128 v[6:9], off, off offset:432
	v_add_f64_e32 v[31:32], v[31:32], v[112:113]
	v_add_f64_e32 v[112:113], v[118:119], v[140:141]
	s_wait_loadcnt 0x8
	v_mul_f64_e32 v[118:119], v[134:135], v[16:17]
	v_mul_f64_e32 v[16:17], v[136:137], v[16:17]
	v_fma_f64 v[138:139], v[4:5], v[10:11], v[124:125]
	v_fma_f64 v[140:141], v[2:3], v[10:11], -v[12:13]
	ds_load_b128 v[2:5], v1 offset:864
	scratch_load_b128 v[10:13], off, off offset:448
	v_add_f64_e32 v[31:32], v[31:32], v[126:127]
	v_add_f64_e32 v[112:113], v[112:113], v[128:129]
	ds_load_b128 v[124:127], v1 offset:880
	s_wait_loadcnt_dscnt 0x801
	v_mul_f64_e32 v[128:129], v[2:3], v[20:21]
	v_mul_f64_e32 v[20:21], v[4:5], v[20:21]
	v_fma_f64 v[118:119], v[136:137], v[14:15], v[118:119]
	v_fma_f64 v[134:135], v[134:135], v[14:15], -v[16:17]
	scratch_load_b128 v[14:17], off, off offset:464
	v_add_f64_e32 v[31:32], v[31:32], v[140:141]
	v_add_f64_e32 v[112:113], v[112:113], v[138:139]
	s_wait_loadcnt_dscnt 0x800
	v_mul_f64_e32 v[138:139], v[124:125], v[24:25]
	v_mul_f64_e32 v[24:25], v[126:127], v[24:25]
	v_fma_f64 v[128:129], v[4:5], v[18:19], v[128:129]
	v_fma_f64 v[140:141], v[2:3], v[18:19], -v[20:21]
	ds_load_b128 v[2:5], v1 offset:896
	scratch_load_b128 v[18:21], off, off offset:480
	v_add_f64_e32 v[31:32], v[31:32], v[134:135]
	v_add_f64_e32 v[112:113], v[112:113], v[118:119]
	ds_load_b128 v[134:137], v1 offset:912
	s_wait_loadcnt_dscnt 0x801
	v_mul_f64_e32 v[118:119], v[2:3], v[29:30]
	v_mul_f64_e32 v[29:30], v[4:5], v[29:30]
	v_fma_f64 v[126:127], v[126:127], v[22:23], v[138:139]
	v_fma_f64 v[124:125], v[124:125], v[22:23], -v[24:25]
	scratch_load_b128 v[22:25], off, off offset:496
	v_add_f64_e32 v[31:32], v[31:32], v[140:141]
	v_add_f64_e32 v[112:113], v[112:113], v[128:129]
	s_wait_loadcnt_dscnt 0x800
	v_mul_f64_e32 v[128:129], v[134:135], v[106:107]
	v_mul_f64_e32 v[106:107], v[136:137], v[106:107]
	v_fma_f64 v[118:119], v[4:5], v[27:28], v[118:119]
	v_fma_f64 v[138:139], v[2:3], v[27:28], -v[29:30]
	ds_load_b128 v[2:5], v1 offset:928
	scratch_load_b128 v[27:30], off, off offset:512
	v_add_f64_e32 v[31:32], v[31:32], v[124:125]
	v_add_f64_e32 v[112:113], v[112:113], v[126:127]
	ds_load_b128 v[124:127], v1 offset:944
	s_wait_loadcnt_dscnt 0x801
	v_mul_f64_e32 v[140:141], v[2:3], v[110:111]
	v_mul_f64_e32 v[110:111], v[4:5], v[110:111]
	v_fma_f64 v[128:129], v[136:137], v[104:105], v[128:129]
	v_fma_f64 v[134:135], v[134:135], v[104:105], -v[106:107]
	scratch_load_b128 v[104:107], off, off offset:528
	s_wait_loadcnt_dscnt 0x800
	v_mul_f64_e32 v[136:137], v[124:125], v[116:117]
	v_add_f64_e32 v[31:32], v[31:32], v[138:139]
	v_add_f64_e32 v[112:113], v[112:113], v[118:119]
	v_mul_f64_e32 v[138:139], v[126:127], v[116:117]
	v_fma_f64 v[140:141], v[4:5], v[108:109], v[140:141]
	v_fma_f64 v[142:143], v[2:3], v[108:109], -v[110:111]
	ds_load_b128 v[2:5], v1 offset:960
	ds_load_b128 v[116:119], v1 offset:976
	scratch_load_b128 v[108:111], off, off offset:544
	v_fma_f64 v[126:127], v[126:127], v[114:115], v[136:137]
	v_add_f64_e32 v[31:32], v[31:32], v[134:135]
	v_add_f64_e32 v[112:113], v[112:113], v[128:129]
	v_fma_f64 v[124:125], v[124:125], v[114:115], -v[138:139]
	s_wait_loadcnt_dscnt 0x801
	v_mul_f64_e32 v[128:129], v[2:3], v[132:133]
	v_mul_f64_e32 v[132:133], v[4:5], v[132:133]
	s_wait_loadcnt_dscnt 0x700
	v_mul_f64_e32 v[136:137], v[116:117], v[8:9]
	v_mul_f64_e32 v[8:9], v[118:119], v[8:9]
	v_add_f64_e32 v[31:32], v[31:32], v[142:143]
	v_add_f64_e32 v[134:135], v[112:113], v[140:141]
	scratch_load_b128 v[112:115], off, off offset:560
	v_fma_f64 v[128:129], v[4:5], v[130:131], v[128:129]
	v_fma_f64 v[130:131], v[2:3], v[130:131], -v[132:133]
	v_fma_f64 v[118:119], v[118:119], v[6:7], v[136:137]
	v_fma_f64 v[6:7], v[116:117], v[6:7], -v[8:9]
	v_add_f64_e32 v[31:32], v[31:32], v[124:125]
	v_add_f64_e32 v[132:133], v[134:135], v[126:127]
	ds_load_b128 v[2:5], v1 offset:992
	ds_load_b128 v[124:127], v1 offset:1008
	s_wait_loadcnt_dscnt 0x701
	v_mul_f64_e32 v[134:135], v[2:3], v[12:13]
	v_mul_f64_e32 v[12:13], v[4:5], v[12:13]
	s_wait_loadcnt_dscnt 0x600
	v_mul_f64_e32 v[116:117], v[124:125], v[16:17]
	v_mul_f64_e32 v[16:17], v[126:127], v[16:17]
	v_add_f64_e32 v[8:9], v[31:32], v[130:131]
	v_add_f64_e32 v[31:32], v[132:133], v[128:129]
	v_fma_f64 v[128:129], v[4:5], v[10:11], v[134:135]
	v_fma_f64 v[10:11], v[2:3], v[10:11], -v[12:13]
	v_fma_f64 v[116:117], v[126:127], v[14:15], v[116:117]
	v_fma_f64 v[14:15], v[124:125], v[14:15], -v[16:17]
	v_add_f64_e32 v[12:13], v[8:9], v[6:7]
	v_add_f64_e32 v[31:32], v[31:32], v[118:119]
	ds_load_b128 v[2:5], v1 offset:1024
	ds_load_b128 v[6:9], v1 offset:1040
	s_wait_loadcnt_dscnt 0x501
	v_mul_f64_e32 v[118:119], v[2:3], v[20:21]
	v_mul_f64_e32 v[20:21], v[4:5], v[20:21]
	s_wait_loadcnt_dscnt 0x400
	v_mul_f64_e32 v[16:17], v[6:7], v[24:25]
	v_mul_f64_e32 v[24:25], v[8:9], v[24:25]
	v_add_f64_e32 v[10:11], v[12:13], v[10:11]
	v_add_f64_e32 v[12:13], v[31:32], v[128:129]
	v_fma_f64 v[31:32], v[4:5], v[18:19], v[118:119]
	v_fma_f64 v[18:19], v[2:3], v[18:19], -v[20:21]
	v_fma_f64 v[8:9], v[8:9], v[22:23], v[16:17]
	v_fma_f64 v[6:7], v[6:7], v[22:23], -v[24:25]
	v_add_f64_e32 v[14:15], v[10:11], v[14:15]
	v_add_f64_e32 v[20:21], v[12:13], v[116:117]
	ds_load_b128 v[2:5], v1 offset:1056
	ds_load_b128 v[10:13], v1 offset:1072
	s_wait_loadcnt_dscnt 0x301
	v_mul_f64_e32 v[116:117], v[2:3], v[29:30]
	v_mul_f64_e32 v[29:30], v[4:5], v[29:30]
	v_add_f64_e32 v[14:15], v[14:15], v[18:19]
	v_add_f64_e32 v[16:17], v[20:21], v[31:32]
	s_wait_loadcnt_dscnt 0x200
	v_mul_f64_e32 v[18:19], v[10:11], v[106:107]
	v_mul_f64_e32 v[20:21], v[12:13], v[106:107]
	v_fma_f64 v[22:23], v[4:5], v[27:28], v[116:117]
	v_fma_f64 v[24:25], v[2:3], v[27:28], -v[29:30]
	v_add_f64_e32 v[14:15], v[14:15], v[6:7]
	v_add_f64_e32 v[16:17], v[16:17], v[8:9]
	ds_load_b128 v[2:5], v1 offset:1088
	ds_load_b128 v[6:9], v1 offset:1104
	v_fma_f64 v[12:13], v[12:13], v[104:105], v[18:19]
	v_fma_f64 v[10:11], v[10:11], v[104:105], -v[20:21]
	s_wait_loadcnt_dscnt 0x101
	v_mul_f64_e32 v[27:28], v[2:3], v[110:111]
	v_mul_f64_e32 v[29:30], v[4:5], v[110:111]
	v_add_f64_e32 v[14:15], v[14:15], v[24:25]
	v_add_f64_e32 v[16:17], v[16:17], v[22:23]
	s_wait_loadcnt_dscnt 0x0
	v_mul_f64_e32 v[18:19], v[6:7], v[114:115]
	v_mul_f64_e32 v[20:21], v[8:9], v[114:115]
	v_fma_f64 v[4:5], v[4:5], v[108:109], v[27:28]
	v_fma_f64 v[1:2], v[2:3], v[108:109], -v[29:30]
	v_add_f64_e32 v[10:11], v[14:15], v[10:11]
	v_add_f64_e32 v[12:13], v[16:17], v[12:13]
	v_fma_f64 v[8:9], v[8:9], v[112:113], v[18:19]
	v_fma_f64 v[6:7], v[6:7], v[112:113], -v[20:21]
	s_delay_alu instid0(VALU_DEP_4) | instskip(NEXT) | instid1(VALU_DEP_4)
	v_add_f64_e32 v[1:2], v[10:11], v[1:2]
	v_add_f64_e32 v[3:4], v[12:13], v[4:5]
	s_delay_alu instid0(VALU_DEP_2) | instskip(NEXT) | instid1(VALU_DEP_2)
	v_add_f64_e32 v[1:2], v[1:2], v[6:7]
	v_add_f64_e32 v[3:4], v[3:4], v[8:9]
	s_delay_alu instid0(VALU_DEP_2) | instskip(NEXT) | instid1(VALU_DEP_2)
	v_add_f64_e64 v[1:2], v[120:121], -v[1:2]
	v_add_f64_e64 v[3:4], v[122:123], -v[3:4]
	scratch_store_b128 off, v[1:4], off offset:80
	v_cmpx_lt_u32_e32 3, v0
	s_cbranch_execz .LBB34_217
; %bb.216:
	scratch_load_b128 v[1:4], off, s11
	v_mov_b32_e32 v5, 0
	s_delay_alu instid0(VALU_DEP_1)
	v_dual_mov_b32 v6, v5 :: v_dual_mov_b32 v7, v5
	v_mov_b32_e32 v8, v5
	scratch_store_b128 off, v[5:8], off offset:64
	s_wait_loadcnt 0x0
	ds_store_b128 v26, v[1:4]
.LBB34_217:
	s_wait_alu 0xfffe
	s_or_b32 exec_lo, exec_lo, s0
	s_wait_storecnt_dscnt 0x0
	s_barrier_signal -1
	s_barrier_wait -1
	global_inv scope:SCOPE_SE
	s_clause 0x7
	scratch_load_b128 v[2:5], off, off offset:80
	scratch_load_b128 v[6:9], off, off offset:96
	;; [unrolled: 1-line block ×8, first 2 shown]
	v_mov_b32_e32 v1, 0
	s_mov_b32 s0, exec_lo
	ds_load_b128 v[108:111], v1 offset:624
	s_clause 0x1
	scratch_load_b128 v[112:115], off, off offset:208
	scratch_load_b128 v[116:119], off, off offset:64
	ds_load_b128 v[120:123], v1 offset:640
	scratch_load_b128 v[124:127], off, off offset:224
	ds_load_b128 v[128:131], v1 offset:672
	s_wait_loadcnt_dscnt 0xa02
	v_mul_f64_e32 v[31:32], v[110:111], v[4:5]
	v_mul_f64_e32 v[4:5], v[108:109], v[4:5]
	s_delay_alu instid0(VALU_DEP_2) | instskip(NEXT) | instid1(VALU_DEP_2)
	v_fma_f64 v[31:32], v[108:109], v[2:3], -v[31:32]
	v_fma_f64 v[134:135], v[110:111], v[2:3], v[4:5]
	ds_load_b128 v[2:5], v1 offset:656
	s_wait_loadcnt_dscnt 0x902
	v_mul_f64_e32 v[132:133], v[120:121], v[8:9]
	v_mul_f64_e32 v[8:9], v[122:123], v[8:9]
	scratch_load_b128 v[108:111], off, off offset:240
	s_wait_loadcnt_dscnt 0x900
	v_mul_f64_e32 v[136:137], v[2:3], v[12:13]
	v_mul_f64_e32 v[12:13], v[4:5], v[12:13]
	v_add_f64_e32 v[31:32], 0, v[31:32]
	v_fma_f64 v[122:123], v[122:123], v[6:7], v[132:133]
	v_fma_f64 v[120:121], v[120:121], v[6:7], -v[8:9]
	v_add_f64_e32 v[132:133], 0, v[134:135]
	scratch_load_b128 v[6:9], off, off offset:256
	v_fma_f64 v[136:137], v[4:5], v[10:11], v[136:137]
	v_fma_f64 v[138:139], v[2:3], v[10:11], -v[12:13]
	ds_load_b128 v[2:5], v1 offset:688
	s_wait_loadcnt 0x9
	v_mul_f64_e32 v[134:135], v[128:129], v[16:17]
	v_mul_f64_e32 v[16:17], v[130:131], v[16:17]
	scratch_load_b128 v[10:13], off, off offset:272
	v_add_f64_e32 v[31:32], v[31:32], v[120:121]
	v_add_f64_e32 v[132:133], v[132:133], v[122:123]
	s_wait_loadcnt_dscnt 0x900
	v_mul_f64_e32 v[140:141], v[2:3], v[20:21]
	v_mul_f64_e32 v[20:21], v[4:5], v[20:21]
	ds_load_b128 v[120:123], v1 offset:704
	v_fma_f64 v[130:131], v[130:131], v[14:15], v[134:135]
	v_fma_f64 v[128:129], v[128:129], v[14:15], -v[16:17]
	scratch_load_b128 v[14:17], off, off offset:288
	v_add_f64_e32 v[31:32], v[31:32], v[138:139]
	v_add_f64_e32 v[132:133], v[132:133], v[136:137]
	v_fma_f64 v[136:137], v[4:5], v[18:19], v[140:141]
	v_fma_f64 v[138:139], v[2:3], v[18:19], -v[20:21]
	ds_load_b128 v[2:5], v1 offset:720
	s_wait_loadcnt_dscnt 0x901
	v_mul_f64_e32 v[134:135], v[120:121], v[24:25]
	v_mul_f64_e32 v[24:25], v[122:123], v[24:25]
	scratch_load_b128 v[18:21], off, off offset:304
	s_wait_loadcnt_dscnt 0x900
	v_mul_f64_e32 v[140:141], v[2:3], v[29:30]
	v_mul_f64_e32 v[29:30], v[4:5], v[29:30]
	v_add_f64_e32 v[31:32], v[31:32], v[128:129]
	v_add_f64_e32 v[132:133], v[132:133], v[130:131]
	ds_load_b128 v[128:131], v1 offset:736
	v_fma_f64 v[122:123], v[122:123], v[22:23], v[134:135]
	v_fma_f64 v[120:121], v[120:121], v[22:23], -v[24:25]
	scratch_load_b128 v[22:25], off, off offset:320
	v_add_f64_e32 v[31:32], v[31:32], v[138:139]
	v_add_f64_e32 v[132:133], v[132:133], v[136:137]
	v_fma_f64 v[136:137], v[4:5], v[27:28], v[140:141]
	v_fma_f64 v[138:139], v[2:3], v[27:28], -v[29:30]
	ds_load_b128 v[2:5], v1 offset:752
	s_wait_loadcnt_dscnt 0x901
	v_mul_f64_e32 v[134:135], v[128:129], v[106:107]
	v_mul_f64_e32 v[106:107], v[130:131], v[106:107]
	scratch_load_b128 v[27:30], off, off offset:336
	s_wait_loadcnt_dscnt 0x900
	v_mul_f64_e32 v[140:141], v[2:3], v[114:115]
	v_mul_f64_e32 v[114:115], v[4:5], v[114:115]
	v_add_f64_e32 v[31:32], v[31:32], v[120:121]
	v_add_f64_e32 v[132:133], v[132:133], v[122:123]
	ds_load_b128 v[120:123], v1 offset:768
	v_fma_f64 v[130:131], v[130:131], v[104:105], v[134:135]
	v_fma_f64 v[128:129], v[128:129], v[104:105], -v[106:107]
	scratch_load_b128 v[104:107], off, off offset:352
	v_add_f64_e32 v[31:32], v[31:32], v[138:139]
	v_add_f64_e32 v[132:133], v[132:133], v[136:137]
	v_fma_f64 v[138:139], v[4:5], v[112:113], v[140:141]
	v_fma_f64 v[140:141], v[2:3], v[112:113], -v[114:115]
	ds_load_b128 v[2:5], v1 offset:784
	s_wait_loadcnt_dscnt 0x801
	v_mul_f64_e32 v[134:135], v[120:121], v[126:127]
	v_mul_f64_e32 v[136:137], v[122:123], v[126:127]
	scratch_load_b128 v[112:115], off, off offset:368
	v_add_f64_e32 v[31:32], v[31:32], v[128:129]
	v_add_f64_e32 v[130:131], v[132:133], v[130:131]
	ds_load_b128 v[126:129], v1 offset:800
	v_fma_f64 v[134:135], v[122:123], v[124:125], v[134:135]
	v_fma_f64 v[124:125], v[120:121], v[124:125], -v[136:137]
	scratch_load_b128 v[120:123], off, off offset:384
	s_wait_loadcnt_dscnt 0x901
	v_mul_f64_e32 v[132:133], v[2:3], v[110:111]
	v_mul_f64_e32 v[110:111], v[4:5], v[110:111]
	v_add_f64_e32 v[31:32], v[31:32], v[140:141]
	v_add_f64_e32 v[130:131], v[130:131], v[138:139]
	s_delay_alu instid0(VALU_DEP_4) | instskip(NEXT) | instid1(VALU_DEP_4)
	v_fma_f64 v[138:139], v[4:5], v[108:109], v[132:133]
	v_fma_f64 v[140:141], v[2:3], v[108:109], -v[110:111]
	ds_load_b128 v[2:5], v1 offset:816
	s_wait_loadcnt_dscnt 0x801
	v_mul_f64_e32 v[136:137], v[126:127], v[8:9]
	v_mul_f64_e32 v[8:9], v[128:129], v[8:9]
	scratch_load_b128 v[108:111], off, off offset:400
	v_add_f64_e32 v[31:32], v[31:32], v[124:125]
	v_add_f64_e32 v[124:125], v[130:131], v[134:135]
	s_wait_loadcnt_dscnt 0x800
	v_mul_f64_e32 v[134:135], v[2:3], v[12:13]
	v_mul_f64_e32 v[12:13], v[4:5], v[12:13]
	ds_load_b128 v[130:133], v1 offset:832
	v_fma_f64 v[128:129], v[128:129], v[6:7], v[136:137]
	v_fma_f64 v[126:127], v[126:127], v[6:7], -v[8:9]
	scratch_load_b128 v[6:9], off, off offset:416
	v_add_f64_e32 v[31:32], v[31:32], v[140:141]
	v_add_f64_e32 v[124:125], v[124:125], v[138:139]
	v_fma_f64 v[134:135], v[4:5], v[10:11], v[134:135]
	v_fma_f64 v[138:139], v[2:3], v[10:11], -v[12:13]
	ds_load_b128 v[2:5], v1 offset:848
	s_wait_loadcnt_dscnt 0x801
	v_mul_f64_e32 v[136:137], v[130:131], v[16:17]
	v_mul_f64_e32 v[16:17], v[132:133], v[16:17]
	scratch_load_b128 v[10:13], off, off offset:432
	s_wait_loadcnt_dscnt 0x800
	v_mul_f64_e32 v[140:141], v[2:3], v[20:21]
	v_mul_f64_e32 v[20:21], v[4:5], v[20:21]
	v_add_f64_e32 v[31:32], v[31:32], v[126:127]
	v_add_f64_e32 v[128:129], v[124:125], v[128:129]
	ds_load_b128 v[124:127], v1 offset:864
	v_fma_f64 v[132:133], v[132:133], v[14:15], v[136:137]
	v_fma_f64 v[130:131], v[130:131], v[14:15], -v[16:17]
	scratch_load_b128 v[14:17], off, off offset:448
	v_fma_f64 v[136:137], v[4:5], v[18:19], v[140:141]
	v_add_f64_e32 v[31:32], v[31:32], v[138:139]
	v_add_f64_e32 v[128:129], v[128:129], v[134:135]
	v_fma_f64 v[138:139], v[2:3], v[18:19], -v[20:21]
	ds_load_b128 v[2:5], v1 offset:880
	s_wait_loadcnt_dscnt 0x801
	v_mul_f64_e32 v[134:135], v[124:125], v[24:25]
	v_mul_f64_e32 v[24:25], v[126:127], v[24:25]
	scratch_load_b128 v[18:21], off, off offset:464
	s_wait_loadcnt_dscnt 0x800
	v_mul_f64_e32 v[140:141], v[2:3], v[29:30]
	v_mul_f64_e32 v[29:30], v[4:5], v[29:30]
	v_add_f64_e32 v[31:32], v[31:32], v[130:131]
	v_add_f64_e32 v[132:133], v[128:129], v[132:133]
	ds_load_b128 v[128:131], v1 offset:896
	v_fma_f64 v[126:127], v[126:127], v[22:23], v[134:135]
	v_fma_f64 v[124:125], v[124:125], v[22:23], -v[24:25]
	scratch_load_b128 v[22:25], off, off offset:480
	v_add_f64_e32 v[31:32], v[31:32], v[138:139]
	v_add_f64_e32 v[132:133], v[132:133], v[136:137]
	v_fma_f64 v[136:137], v[4:5], v[27:28], v[140:141]
	v_fma_f64 v[138:139], v[2:3], v[27:28], -v[29:30]
	ds_load_b128 v[2:5], v1 offset:912
	s_wait_loadcnt_dscnt 0x801
	v_mul_f64_e32 v[134:135], v[128:129], v[106:107]
	v_mul_f64_e32 v[106:107], v[130:131], v[106:107]
	scratch_load_b128 v[27:30], off, off offset:496
	s_wait_loadcnt_dscnt 0x800
	v_mul_f64_e32 v[140:141], v[2:3], v[114:115]
	v_mul_f64_e32 v[114:115], v[4:5], v[114:115]
	v_add_f64_e32 v[31:32], v[31:32], v[124:125]
	v_add_f64_e32 v[132:133], v[132:133], v[126:127]
	ds_load_b128 v[124:127], v1 offset:928
	v_fma_f64 v[130:131], v[130:131], v[104:105], v[134:135]
	v_fma_f64 v[128:129], v[128:129], v[104:105], -v[106:107]
	scratch_load_b128 v[104:107], off, off offset:512
	v_add_f64_e32 v[31:32], v[31:32], v[138:139]
	v_add_f64_e32 v[132:133], v[132:133], v[136:137]
	v_fma_f64 v[136:137], v[4:5], v[112:113], v[140:141]
	v_fma_f64 v[138:139], v[2:3], v[112:113], -v[114:115]
	ds_load_b128 v[2:5], v1 offset:944
	s_wait_loadcnt_dscnt 0x801
	v_mul_f64_e32 v[134:135], v[124:125], v[122:123]
	v_mul_f64_e32 v[122:123], v[126:127], v[122:123]
	scratch_load_b128 v[112:115], off, off offset:528
	s_wait_loadcnt_dscnt 0x800
	v_mul_f64_e32 v[140:141], v[2:3], v[110:111]
	v_add_f64_e32 v[31:32], v[31:32], v[128:129]
	v_add_f64_e32 v[132:133], v[132:133], v[130:131]
	v_mul_f64_e32 v[110:111], v[4:5], v[110:111]
	ds_load_b128 v[128:131], v1 offset:960
	v_fma_f64 v[126:127], v[126:127], v[120:121], v[134:135]
	v_fma_f64 v[124:125], v[124:125], v[120:121], -v[122:123]
	scratch_load_b128 v[120:123], off, off offset:544
	v_add_f64_e32 v[31:32], v[31:32], v[138:139]
	v_add_f64_e32 v[132:133], v[132:133], v[136:137]
	v_fma_f64 v[136:137], v[4:5], v[108:109], v[140:141]
	v_fma_f64 v[138:139], v[2:3], v[108:109], -v[110:111]
	ds_load_b128 v[2:5], v1 offset:976
	s_wait_loadcnt_dscnt 0x801
	v_mul_f64_e32 v[134:135], v[128:129], v[8:9]
	v_mul_f64_e32 v[8:9], v[130:131], v[8:9]
	scratch_load_b128 v[108:111], off, off offset:560
	s_wait_loadcnt_dscnt 0x800
	v_mul_f64_e32 v[140:141], v[2:3], v[12:13]
	v_mul_f64_e32 v[12:13], v[4:5], v[12:13]
	v_add_f64_e32 v[31:32], v[31:32], v[124:125]
	v_add_f64_e32 v[132:133], v[132:133], v[126:127]
	ds_load_b128 v[124:127], v1 offset:992
	v_fma_f64 v[130:131], v[130:131], v[6:7], v[134:135]
	v_fma_f64 v[6:7], v[128:129], v[6:7], -v[8:9]
	s_wait_loadcnt_dscnt 0x700
	v_mul_f64_e32 v[128:129], v[124:125], v[16:17]
	v_mul_f64_e32 v[16:17], v[126:127], v[16:17]
	v_add_f64_e32 v[8:9], v[31:32], v[138:139]
	v_add_f64_e32 v[31:32], v[132:133], v[136:137]
	v_fma_f64 v[132:133], v[4:5], v[10:11], v[140:141]
	v_fma_f64 v[10:11], v[2:3], v[10:11], -v[12:13]
	v_fma_f64 v[126:127], v[126:127], v[14:15], v[128:129]
	v_fma_f64 v[14:15], v[124:125], v[14:15], -v[16:17]
	v_add_f64_e32 v[12:13], v[8:9], v[6:7]
	v_add_f64_e32 v[31:32], v[31:32], v[130:131]
	ds_load_b128 v[2:5], v1 offset:1008
	ds_load_b128 v[6:9], v1 offset:1024
	s_wait_loadcnt_dscnt 0x601
	v_mul_f64_e32 v[130:131], v[2:3], v[20:21]
	v_mul_f64_e32 v[20:21], v[4:5], v[20:21]
	s_wait_loadcnt_dscnt 0x500
	v_mul_f64_e32 v[16:17], v[6:7], v[24:25]
	v_mul_f64_e32 v[24:25], v[8:9], v[24:25]
	v_add_f64_e32 v[10:11], v[12:13], v[10:11]
	v_add_f64_e32 v[12:13], v[31:32], v[132:133]
	v_fma_f64 v[31:32], v[4:5], v[18:19], v[130:131]
	v_fma_f64 v[18:19], v[2:3], v[18:19], -v[20:21]
	v_fma_f64 v[8:9], v[8:9], v[22:23], v[16:17]
	v_fma_f64 v[6:7], v[6:7], v[22:23], -v[24:25]
	v_add_f64_e32 v[14:15], v[10:11], v[14:15]
	v_add_f64_e32 v[20:21], v[12:13], v[126:127]
	ds_load_b128 v[2:5], v1 offset:1040
	ds_load_b128 v[10:13], v1 offset:1056
	s_wait_loadcnt_dscnt 0x401
	v_mul_f64_e32 v[124:125], v[2:3], v[29:30]
	v_mul_f64_e32 v[29:30], v[4:5], v[29:30]
	v_add_f64_e32 v[14:15], v[14:15], v[18:19]
	v_add_f64_e32 v[16:17], v[20:21], v[31:32]
	s_wait_loadcnt_dscnt 0x300
	v_mul_f64_e32 v[18:19], v[10:11], v[106:107]
	v_mul_f64_e32 v[20:21], v[12:13], v[106:107]
	v_fma_f64 v[22:23], v[4:5], v[27:28], v[124:125]
	v_fma_f64 v[24:25], v[2:3], v[27:28], -v[29:30]
	v_add_f64_e32 v[14:15], v[14:15], v[6:7]
	v_add_f64_e32 v[16:17], v[16:17], v[8:9]
	ds_load_b128 v[2:5], v1 offset:1072
	ds_load_b128 v[6:9], v1 offset:1088
	v_fma_f64 v[12:13], v[12:13], v[104:105], v[18:19]
	v_fma_f64 v[10:11], v[10:11], v[104:105], -v[20:21]
	s_wait_loadcnt_dscnt 0x201
	v_mul_f64_e32 v[27:28], v[2:3], v[114:115]
	v_mul_f64_e32 v[29:30], v[4:5], v[114:115]
	s_wait_loadcnt_dscnt 0x100
	v_mul_f64_e32 v[18:19], v[6:7], v[122:123]
	v_mul_f64_e32 v[20:21], v[8:9], v[122:123]
	v_add_f64_e32 v[14:15], v[14:15], v[24:25]
	v_add_f64_e32 v[16:17], v[16:17], v[22:23]
	v_fma_f64 v[22:23], v[4:5], v[112:113], v[27:28]
	v_fma_f64 v[24:25], v[2:3], v[112:113], -v[29:30]
	ds_load_b128 v[2:5], v1 offset:1104
	v_fma_f64 v[8:9], v[8:9], v[120:121], v[18:19]
	v_fma_f64 v[6:7], v[6:7], v[120:121], -v[20:21]
	v_add_f64_e32 v[10:11], v[14:15], v[10:11]
	v_add_f64_e32 v[12:13], v[16:17], v[12:13]
	s_wait_loadcnt_dscnt 0x0
	v_mul_f64_e32 v[14:15], v[2:3], v[110:111]
	v_mul_f64_e32 v[16:17], v[4:5], v[110:111]
	s_delay_alu instid0(VALU_DEP_4) | instskip(NEXT) | instid1(VALU_DEP_4)
	v_add_f64_e32 v[10:11], v[10:11], v[24:25]
	v_add_f64_e32 v[12:13], v[12:13], v[22:23]
	s_delay_alu instid0(VALU_DEP_4) | instskip(NEXT) | instid1(VALU_DEP_4)
	v_fma_f64 v[4:5], v[4:5], v[108:109], v[14:15]
	v_fma_f64 v[2:3], v[2:3], v[108:109], -v[16:17]
	s_delay_alu instid0(VALU_DEP_4) | instskip(NEXT) | instid1(VALU_DEP_4)
	v_add_f64_e32 v[6:7], v[10:11], v[6:7]
	v_add_f64_e32 v[8:9], v[12:13], v[8:9]
	s_delay_alu instid0(VALU_DEP_2) | instskip(NEXT) | instid1(VALU_DEP_2)
	v_add_f64_e32 v[2:3], v[6:7], v[2:3]
	v_add_f64_e32 v[4:5], v[8:9], v[4:5]
	s_delay_alu instid0(VALU_DEP_2) | instskip(NEXT) | instid1(VALU_DEP_2)
	v_add_f64_e64 v[2:3], v[116:117], -v[2:3]
	v_add_f64_e64 v[4:5], v[118:119], -v[4:5]
	scratch_store_b128 off, v[2:5], off offset:64
	v_cmpx_lt_u32_e32 2, v0
	s_cbranch_execz .LBB34_219
; %bb.218:
	scratch_load_b128 v[5:8], off, s13
	v_dual_mov_b32 v2, v1 :: v_dual_mov_b32 v3, v1
	v_mov_b32_e32 v4, v1
	scratch_store_b128 off, v[1:4], off offset:48
	s_wait_loadcnt 0x0
	ds_store_b128 v26, v[5:8]
.LBB34_219:
	s_wait_alu 0xfffe
	s_or_b32 exec_lo, exec_lo, s0
	s_wait_storecnt_dscnt 0x0
	s_barrier_signal -1
	s_barrier_wait -1
	global_inv scope:SCOPE_SE
	s_clause 0x8
	scratch_load_b128 v[2:5], off, off offset:64
	scratch_load_b128 v[6:9], off, off offset:80
	;; [unrolled: 1-line block ×9, first 2 shown]
	ds_load_b128 v[112:115], v1 offset:608
	ds_load_b128 v[116:119], v1 offset:624
	s_clause 0x1
	scratch_load_b128 v[120:123], off, off offset:48
	scratch_load_b128 v[124:127], off, off offset:208
	s_mov_b32 s0, exec_lo
	ds_load_b128 v[128:131], v1 offset:656
	s_wait_loadcnt_dscnt 0xa02
	v_mul_f64_e32 v[31:32], v[114:115], v[4:5]
	v_mul_f64_e32 v[4:5], v[112:113], v[4:5]
	s_wait_loadcnt_dscnt 0x901
	v_mul_f64_e32 v[132:133], v[116:117], v[8:9]
	v_mul_f64_e32 v[8:9], v[118:119], v[8:9]
	s_delay_alu instid0(VALU_DEP_4) | instskip(NEXT) | instid1(VALU_DEP_4)
	v_fma_f64 v[31:32], v[112:113], v[2:3], -v[31:32]
	v_fma_f64 v[134:135], v[114:115], v[2:3], v[4:5]
	ds_load_b128 v[2:5], v1 offset:640
	scratch_load_b128 v[112:115], off, off offset:224
	v_fma_f64 v[118:119], v[118:119], v[6:7], v[132:133]
	v_fma_f64 v[116:117], v[116:117], v[6:7], -v[8:9]
	scratch_load_b128 v[6:9], off, off offset:240
	s_wait_loadcnt_dscnt 0xa00
	v_mul_f64_e32 v[136:137], v[2:3], v[12:13]
	v_mul_f64_e32 v[12:13], v[4:5], v[12:13]
	v_add_f64_e32 v[31:32], 0, v[31:32]
	v_add_f64_e32 v[132:133], 0, v[134:135]
	s_wait_loadcnt 0x9
	v_mul_f64_e32 v[134:135], v[128:129], v[16:17]
	v_mul_f64_e32 v[16:17], v[130:131], v[16:17]
	v_fma_f64 v[136:137], v[4:5], v[10:11], v[136:137]
	v_fma_f64 v[138:139], v[2:3], v[10:11], -v[12:13]
	ds_load_b128 v[2:5], v1 offset:672
	scratch_load_b128 v[10:13], off, off offset:256
	v_add_f64_e32 v[31:32], v[31:32], v[116:117]
	v_add_f64_e32 v[132:133], v[132:133], v[118:119]
	ds_load_b128 v[116:119], v1 offset:688
	v_fma_f64 v[130:131], v[130:131], v[14:15], v[134:135]
	v_fma_f64 v[128:129], v[128:129], v[14:15], -v[16:17]
	scratch_load_b128 v[14:17], off, off offset:272
	s_wait_loadcnt_dscnt 0xa01
	v_mul_f64_e32 v[140:141], v[2:3], v[20:21]
	v_mul_f64_e32 v[20:21], v[4:5], v[20:21]
	s_wait_loadcnt_dscnt 0x900
	v_mul_f64_e32 v[134:135], v[116:117], v[24:25]
	v_mul_f64_e32 v[24:25], v[118:119], v[24:25]
	v_add_f64_e32 v[31:32], v[31:32], v[138:139]
	v_add_f64_e32 v[132:133], v[132:133], v[136:137]
	v_fma_f64 v[136:137], v[4:5], v[18:19], v[140:141]
	v_fma_f64 v[138:139], v[2:3], v[18:19], -v[20:21]
	ds_load_b128 v[2:5], v1 offset:704
	scratch_load_b128 v[18:21], off, off offset:288
	v_fma_f64 v[118:119], v[118:119], v[22:23], v[134:135]
	v_fma_f64 v[116:117], v[116:117], v[22:23], -v[24:25]
	scratch_load_b128 v[22:25], off, off offset:304
	v_add_f64_e32 v[31:32], v[31:32], v[128:129]
	v_add_f64_e32 v[132:133], v[132:133], v[130:131]
	ds_load_b128 v[128:131], v1 offset:720
	s_wait_loadcnt_dscnt 0xa01
	v_mul_f64_e32 v[140:141], v[2:3], v[29:30]
	v_mul_f64_e32 v[29:30], v[4:5], v[29:30]
	s_wait_loadcnt_dscnt 0x900
	v_mul_f64_e32 v[134:135], v[128:129], v[106:107]
	v_mul_f64_e32 v[106:107], v[130:131], v[106:107]
	v_add_f64_e32 v[31:32], v[31:32], v[138:139]
	v_add_f64_e32 v[132:133], v[132:133], v[136:137]
	v_fma_f64 v[136:137], v[4:5], v[27:28], v[140:141]
	v_fma_f64 v[138:139], v[2:3], v[27:28], -v[29:30]
	ds_load_b128 v[2:5], v1 offset:736
	scratch_load_b128 v[27:30], off, off offset:320
	v_fma_f64 v[130:131], v[130:131], v[104:105], v[134:135]
	v_fma_f64 v[128:129], v[128:129], v[104:105], -v[106:107]
	scratch_load_b128 v[104:107], off, off offset:336
	v_add_f64_e32 v[31:32], v[31:32], v[116:117]
	v_add_f64_e32 v[132:133], v[132:133], v[118:119]
	ds_load_b128 v[116:119], v1 offset:752
	s_wait_loadcnt_dscnt 0xa01
	v_mul_f64_e32 v[140:141], v[2:3], v[110:111]
	v_mul_f64_e32 v[110:111], v[4:5], v[110:111]
	s_wait_loadcnt_dscnt 0x800
	v_mul_f64_e32 v[134:135], v[116:117], v[126:127]
	v_add_f64_e32 v[31:32], v[31:32], v[138:139]
	v_add_f64_e32 v[132:133], v[132:133], v[136:137]
	v_mul_f64_e32 v[136:137], v[118:119], v[126:127]
	v_fma_f64 v[138:139], v[4:5], v[108:109], v[140:141]
	v_fma_f64 v[140:141], v[2:3], v[108:109], -v[110:111]
	ds_load_b128 v[2:5], v1 offset:768
	scratch_load_b128 v[108:111], off, off offset:352
	v_fma_f64 v[118:119], v[118:119], v[124:125], v[134:135]
	v_add_f64_e32 v[31:32], v[31:32], v[128:129]
	v_add_f64_e32 v[130:131], v[132:133], v[130:131]
	ds_load_b128 v[126:129], v1 offset:784
	v_fma_f64 v[124:125], v[116:117], v[124:125], -v[136:137]
	ds_load_b128 v[134:137], v1 offset:816
	s_wait_loadcnt_dscnt 0x802
	v_mul_f64_e32 v[132:133], v[2:3], v[114:115]
	v_mul_f64_e32 v[142:143], v[4:5], v[114:115]
	scratch_load_b128 v[114:117], off, off offset:368
	v_add_f64_e32 v[31:32], v[31:32], v[140:141]
	v_add_f64_e32 v[130:131], v[130:131], v[138:139]
	s_wait_loadcnt_dscnt 0x801
	v_mul_f64_e32 v[138:139], v[126:127], v[8:9]
	v_mul_f64_e32 v[8:9], v[128:129], v[8:9]
	v_fma_f64 v[140:141], v[4:5], v[112:113], v[132:133]
	v_fma_f64 v[112:113], v[2:3], v[112:113], -v[142:143]
	ds_load_b128 v[2:5], v1 offset:800
	v_add_f64_e32 v[31:32], v[31:32], v[124:125]
	v_add_f64_e32 v[118:119], v[130:131], v[118:119]
	scratch_load_b128 v[130:133], off, off offset:384
	s_wait_loadcnt_dscnt 0x800
	v_mul_f64_e32 v[124:125], v[2:3], v[12:13]
	v_mul_f64_e32 v[12:13], v[4:5], v[12:13]
	v_fma_f64 v[128:129], v[128:129], v[6:7], v[138:139]
	v_fma_f64 v[126:127], v[126:127], v[6:7], -v[8:9]
	scratch_load_b128 v[6:9], off, off offset:400
	v_add_f64_e32 v[31:32], v[31:32], v[112:113]
	v_add_f64_e32 v[112:113], v[118:119], v[140:141]
	s_wait_loadcnt 0x8
	v_mul_f64_e32 v[118:119], v[134:135], v[16:17]
	v_mul_f64_e32 v[16:17], v[136:137], v[16:17]
	v_fma_f64 v[138:139], v[4:5], v[10:11], v[124:125]
	v_fma_f64 v[140:141], v[2:3], v[10:11], -v[12:13]
	ds_load_b128 v[2:5], v1 offset:832
	scratch_load_b128 v[10:13], off, off offset:416
	v_add_f64_e32 v[31:32], v[31:32], v[126:127]
	v_add_f64_e32 v[112:113], v[112:113], v[128:129]
	ds_load_b128 v[124:127], v1 offset:848
	s_wait_loadcnt_dscnt 0x801
	v_mul_f64_e32 v[128:129], v[2:3], v[20:21]
	v_mul_f64_e32 v[20:21], v[4:5], v[20:21]
	v_fma_f64 v[118:119], v[136:137], v[14:15], v[118:119]
	v_fma_f64 v[134:135], v[134:135], v[14:15], -v[16:17]
	scratch_load_b128 v[14:17], off, off offset:432
	v_add_f64_e32 v[31:32], v[31:32], v[140:141]
	v_add_f64_e32 v[112:113], v[112:113], v[138:139]
	s_wait_loadcnt_dscnt 0x800
	v_mul_f64_e32 v[138:139], v[124:125], v[24:25]
	v_mul_f64_e32 v[24:25], v[126:127], v[24:25]
	v_fma_f64 v[128:129], v[4:5], v[18:19], v[128:129]
	v_fma_f64 v[140:141], v[2:3], v[18:19], -v[20:21]
	ds_load_b128 v[2:5], v1 offset:864
	scratch_load_b128 v[18:21], off, off offset:448
	v_add_f64_e32 v[31:32], v[31:32], v[134:135]
	v_add_f64_e32 v[112:113], v[112:113], v[118:119]
	ds_load_b128 v[134:137], v1 offset:880
	s_wait_loadcnt_dscnt 0x801
	v_mul_f64_e32 v[118:119], v[2:3], v[29:30]
	v_mul_f64_e32 v[29:30], v[4:5], v[29:30]
	v_fma_f64 v[126:127], v[126:127], v[22:23], v[138:139]
	v_fma_f64 v[124:125], v[124:125], v[22:23], -v[24:25]
	scratch_load_b128 v[22:25], off, off offset:464
	v_add_f64_e32 v[31:32], v[31:32], v[140:141]
	v_add_f64_e32 v[112:113], v[112:113], v[128:129]
	s_wait_loadcnt_dscnt 0x800
	v_mul_f64_e32 v[128:129], v[134:135], v[106:107]
	v_mul_f64_e32 v[106:107], v[136:137], v[106:107]
	v_fma_f64 v[118:119], v[4:5], v[27:28], v[118:119]
	v_fma_f64 v[138:139], v[2:3], v[27:28], -v[29:30]
	ds_load_b128 v[2:5], v1 offset:896
	scratch_load_b128 v[27:30], off, off offset:480
	v_add_f64_e32 v[31:32], v[31:32], v[124:125]
	v_add_f64_e32 v[112:113], v[112:113], v[126:127]
	ds_load_b128 v[124:127], v1 offset:912
	s_wait_loadcnt_dscnt 0x801
	v_mul_f64_e32 v[140:141], v[2:3], v[110:111]
	v_mul_f64_e32 v[110:111], v[4:5], v[110:111]
	v_fma_f64 v[128:129], v[136:137], v[104:105], v[128:129]
	v_fma_f64 v[134:135], v[134:135], v[104:105], -v[106:107]
	scratch_load_b128 v[104:107], off, off offset:496
	s_wait_loadcnt_dscnt 0x800
	v_mul_f64_e32 v[136:137], v[124:125], v[116:117]
	v_add_f64_e32 v[31:32], v[31:32], v[138:139]
	v_add_f64_e32 v[112:113], v[112:113], v[118:119]
	v_mul_f64_e32 v[138:139], v[126:127], v[116:117]
	v_fma_f64 v[140:141], v[4:5], v[108:109], v[140:141]
	v_fma_f64 v[142:143], v[2:3], v[108:109], -v[110:111]
	ds_load_b128 v[2:5], v1 offset:928
	ds_load_b128 v[116:119], v1 offset:944
	scratch_load_b128 v[108:111], off, off offset:512
	v_fma_f64 v[126:127], v[126:127], v[114:115], v[136:137]
	v_add_f64_e32 v[31:32], v[31:32], v[134:135]
	v_add_f64_e32 v[112:113], v[112:113], v[128:129]
	v_fma_f64 v[124:125], v[124:125], v[114:115], -v[138:139]
	s_wait_loadcnt_dscnt 0x801
	v_mul_f64_e32 v[128:129], v[2:3], v[132:133]
	v_mul_f64_e32 v[132:133], v[4:5], v[132:133]
	s_wait_loadcnt_dscnt 0x700
	v_mul_f64_e32 v[136:137], v[116:117], v[8:9]
	v_mul_f64_e32 v[8:9], v[118:119], v[8:9]
	v_add_f64_e32 v[31:32], v[31:32], v[142:143]
	v_add_f64_e32 v[134:135], v[112:113], v[140:141]
	scratch_load_b128 v[112:115], off, off offset:528
	v_fma_f64 v[138:139], v[4:5], v[130:131], v[128:129]
	v_fma_f64 v[132:133], v[2:3], v[130:131], -v[132:133]
	ds_load_b128 v[2:5], v1 offset:960
	ds_load_b128 v[128:131], v1 offset:976
	v_fma_f64 v[118:119], v[118:119], v[6:7], v[136:137]
	v_fma_f64 v[116:117], v[116:117], v[6:7], -v[8:9]
	scratch_load_b128 v[6:9], off, off offset:560
	v_add_f64_e32 v[31:32], v[31:32], v[124:125]
	v_add_f64_e32 v[134:135], v[134:135], v[126:127]
	scratch_load_b128 v[124:127], off, off offset:544
	s_wait_loadcnt_dscnt 0x901
	v_mul_f64_e32 v[140:141], v[2:3], v[12:13]
	v_mul_f64_e32 v[12:13], v[4:5], v[12:13]
	v_add_f64_e32 v[31:32], v[31:32], v[132:133]
	v_add_f64_e32 v[132:133], v[134:135], v[138:139]
	s_wait_loadcnt_dscnt 0x800
	v_mul_f64_e32 v[134:135], v[128:129], v[16:17]
	v_mul_f64_e32 v[16:17], v[130:131], v[16:17]
	v_fma_f64 v[136:137], v[4:5], v[10:11], v[140:141]
	v_fma_f64 v[138:139], v[2:3], v[10:11], -v[12:13]
	ds_load_b128 v[2:5], v1 offset:992
	ds_load_b128 v[10:13], v1 offset:1008
	v_add_f64_e32 v[31:32], v[31:32], v[116:117]
	v_add_f64_e32 v[116:117], v[132:133], v[118:119]
	s_wait_loadcnt_dscnt 0x701
	v_mul_f64_e32 v[118:119], v[2:3], v[20:21]
	v_mul_f64_e32 v[20:21], v[4:5], v[20:21]
	v_fma_f64 v[130:131], v[130:131], v[14:15], v[134:135]
	v_fma_f64 v[14:15], v[128:129], v[14:15], -v[16:17]
	v_add_f64_e32 v[16:17], v[31:32], v[138:139]
	v_add_f64_e32 v[31:32], v[116:117], v[136:137]
	s_wait_loadcnt_dscnt 0x600
	v_mul_f64_e32 v[116:117], v[10:11], v[24:25]
	v_mul_f64_e32 v[24:25], v[12:13], v[24:25]
	v_fma_f64 v[118:119], v[4:5], v[18:19], v[118:119]
	v_fma_f64 v[18:19], v[2:3], v[18:19], -v[20:21]
	v_add_f64_e32 v[20:21], v[16:17], v[14:15]
	v_add_f64_e32 v[31:32], v[31:32], v[130:131]
	ds_load_b128 v[2:5], v1 offset:1024
	ds_load_b128 v[14:17], v1 offset:1040
	v_fma_f64 v[12:13], v[12:13], v[22:23], v[116:117]
	v_fma_f64 v[10:11], v[10:11], v[22:23], -v[24:25]
	s_wait_loadcnt_dscnt 0x501
	v_mul_f64_e32 v[128:129], v[2:3], v[29:30]
	v_mul_f64_e32 v[29:30], v[4:5], v[29:30]
	s_wait_loadcnt_dscnt 0x400
	v_mul_f64_e32 v[22:23], v[14:15], v[106:107]
	v_mul_f64_e32 v[24:25], v[16:17], v[106:107]
	v_add_f64_e32 v[18:19], v[20:21], v[18:19]
	v_add_f64_e32 v[20:21], v[31:32], v[118:119]
	v_fma_f64 v[31:32], v[4:5], v[27:28], v[128:129]
	v_fma_f64 v[27:28], v[2:3], v[27:28], -v[29:30]
	v_fma_f64 v[16:17], v[16:17], v[104:105], v[22:23]
	v_fma_f64 v[14:15], v[14:15], v[104:105], -v[24:25]
	v_add_f64_e32 v[18:19], v[18:19], v[10:11]
	v_add_f64_e32 v[20:21], v[20:21], v[12:13]
	ds_load_b128 v[2:5], v1 offset:1056
	ds_load_b128 v[10:13], v1 offset:1072
	s_wait_loadcnt_dscnt 0x301
	v_mul_f64_e32 v[29:30], v[2:3], v[110:111]
	v_mul_f64_e32 v[106:107], v[4:5], v[110:111]
	v_add_f64_e32 v[18:19], v[18:19], v[27:28]
	v_add_f64_e32 v[20:21], v[20:21], v[31:32]
	s_wait_loadcnt_dscnt 0x200
	v_mul_f64_e32 v[22:23], v[10:11], v[114:115]
	v_mul_f64_e32 v[24:25], v[12:13], v[114:115]
	v_fma_f64 v[27:28], v[4:5], v[108:109], v[29:30]
	v_fma_f64 v[29:30], v[2:3], v[108:109], -v[106:107]
	v_add_f64_e32 v[18:19], v[18:19], v[14:15]
	v_add_f64_e32 v[20:21], v[20:21], v[16:17]
	ds_load_b128 v[2:5], v1 offset:1088
	ds_load_b128 v[14:17], v1 offset:1104
	v_fma_f64 v[12:13], v[12:13], v[112:113], v[22:23]
	v_fma_f64 v[10:11], v[10:11], v[112:113], -v[24:25]
	s_wait_loadcnt_dscnt 0x1
	v_mul_f64_e32 v[31:32], v[2:3], v[126:127]
	v_mul_f64_e32 v[104:105], v[4:5], v[126:127]
	s_wait_dscnt 0x0
	v_mul_f64_e32 v[22:23], v[14:15], v[8:9]
	v_mul_f64_e32 v[8:9], v[16:17], v[8:9]
	v_add_f64_e32 v[18:19], v[18:19], v[29:30]
	v_add_f64_e32 v[20:21], v[20:21], v[27:28]
	v_fma_f64 v[4:5], v[4:5], v[124:125], v[31:32]
	v_fma_f64 v[1:2], v[2:3], v[124:125], -v[104:105]
	v_fma_f64 v[16:17], v[16:17], v[6:7], v[22:23]
	v_fma_f64 v[6:7], v[14:15], v[6:7], -v[8:9]
	v_add_f64_e32 v[10:11], v[18:19], v[10:11]
	v_add_f64_e32 v[12:13], v[20:21], v[12:13]
	s_delay_alu instid0(VALU_DEP_2) | instskip(NEXT) | instid1(VALU_DEP_2)
	v_add_f64_e32 v[1:2], v[10:11], v[1:2]
	v_add_f64_e32 v[3:4], v[12:13], v[4:5]
	s_delay_alu instid0(VALU_DEP_2) | instskip(NEXT) | instid1(VALU_DEP_2)
	;; [unrolled: 3-line block ×3, first 2 shown]
	v_add_f64_e64 v[1:2], v[120:121], -v[1:2]
	v_add_f64_e64 v[3:4], v[122:123], -v[3:4]
	scratch_store_b128 off, v[1:4], off offset:48
	v_cmpx_lt_u32_e32 1, v0
	s_cbranch_execz .LBB34_221
; %bb.220:
	scratch_load_b128 v[1:4], off, s19
	v_mov_b32_e32 v5, 0
	s_delay_alu instid0(VALU_DEP_1)
	v_dual_mov_b32 v6, v5 :: v_dual_mov_b32 v7, v5
	v_mov_b32_e32 v8, v5
	scratch_store_b128 off, v[5:8], off offset:32
	s_wait_loadcnt 0x0
	ds_store_b128 v26, v[1:4]
.LBB34_221:
	s_wait_alu 0xfffe
	s_or_b32 exec_lo, exec_lo, s0
	s_wait_storecnt_dscnt 0x0
	s_barrier_signal -1
	s_barrier_wait -1
	global_inv scope:SCOPE_SE
	s_clause 0x7
	scratch_load_b128 v[2:5], off, off offset:48
	scratch_load_b128 v[6:9], off, off offset:64
	;; [unrolled: 1-line block ×8, first 2 shown]
	v_mov_b32_e32 v1, 0
	s_mov_b32 s0, exec_lo
	ds_load_b128 v[108:111], v1 offset:592
	s_clause 0x1
	scratch_load_b128 v[112:115], off, off offset:176
	scratch_load_b128 v[116:119], off, off offset:32
	ds_load_b128 v[120:123], v1 offset:608
	scratch_load_b128 v[124:127], off, off offset:192
	ds_load_b128 v[128:131], v1 offset:640
	s_wait_loadcnt_dscnt 0xa02
	v_mul_f64_e32 v[31:32], v[110:111], v[4:5]
	v_mul_f64_e32 v[4:5], v[108:109], v[4:5]
	s_delay_alu instid0(VALU_DEP_2) | instskip(NEXT) | instid1(VALU_DEP_2)
	v_fma_f64 v[31:32], v[108:109], v[2:3], -v[31:32]
	v_fma_f64 v[134:135], v[110:111], v[2:3], v[4:5]
	ds_load_b128 v[2:5], v1 offset:624
	s_wait_loadcnt_dscnt 0x902
	v_mul_f64_e32 v[132:133], v[120:121], v[8:9]
	v_mul_f64_e32 v[8:9], v[122:123], v[8:9]
	scratch_load_b128 v[108:111], off, off offset:208
	s_wait_loadcnt_dscnt 0x900
	v_mul_f64_e32 v[136:137], v[2:3], v[12:13]
	v_mul_f64_e32 v[12:13], v[4:5], v[12:13]
	v_add_f64_e32 v[31:32], 0, v[31:32]
	v_fma_f64 v[122:123], v[122:123], v[6:7], v[132:133]
	v_fma_f64 v[120:121], v[120:121], v[6:7], -v[8:9]
	v_add_f64_e32 v[132:133], 0, v[134:135]
	scratch_load_b128 v[6:9], off, off offset:224
	v_fma_f64 v[136:137], v[4:5], v[10:11], v[136:137]
	v_fma_f64 v[138:139], v[2:3], v[10:11], -v[12:13]
	ds_load_b128 v[2:5], v1 offset:656
	s_wait_loadcnt 0x9
	v_mul_f64_e32 v[134:135], v[128:129], v[16:17]
	v_mul_f64_e32 v[16:17], v[130:131], v[16:17]
	scratch_load_b128 v[10:13], off, off offset:240
	v_add_f64_e32 v[31:32], v[31:32], v[120:121]
	v_add_f64_e32 v[132:133], v[132:133], v[122:123]
	s_wait_loadcnt_dscnt 0x900
	v_mul_f64_e32 v[140:141], v[2:3], v[20:21]
	v_mul_f64_e32 v[20:21], v[4:5], v[20:21]
	ds_load_b128 v[120:123], v1 offset:672
	v_fma_f64 v[130:131], v[130:131], v[14:15], v[134:135]
	v_fma_f64 v[128:129], v[128:129], v[14:15], -v[16:17]
	scratch_load_b128 v[14:17], off, off offset:256
	v_add_f64_e32 v[31:32], v[31:32], v[138:139]
	v_add_f64_e32 v[132:133], v[132:133], v[136:137]
	v_fma_f64 v[136:137], v[4:5], v[18:19], v[140:141]
	v_fma_f64 v[138:139], v[2:3], v[18:19], -v[20:21]
	ds_load_b128 v[2:5], v1 offset:688
	s_wait_loadcnt_dscnt 0x901
	v_mul_f64_e32 v[134:135], v[120:121], v[24:25]
	v_mul_f64_e32 v[24:25], v[122:123], v[24:25]
	scratch_load_b128 v[18:21], off, off offset:272
	s_wait_loadcnt_dscnt 0x900
	v_mul_f64_e32 v[140:141], v[2:3], v[29:30]
	v_mul_f64_e32 v[29:30], v[4:5], v[29:30]
	v_add_f64_e32 v[31:32], v[31:32], v[128:129]
	v_add_f64_e32 v[132:133], v[132:133], v[130:131]
	ds_load_b128 v[128:131], v1 offset:704
	v_fma_f64 v[122:123], v[122:123], v[22:23], v[134:135]
	v_fma_f64 v[120:121], v[120:121], v[22:23], -v[24:25]
	scratch_load_b128 v[22:25], off, off offset:288
	v_add_f64_e32 v[31:32], v[31:32], v[138:139]
	v_add_f64_e32 v[132:133], v[132:133], v[136:137]
	v_fma_f64 v[136:137], v[4:5], v[27:28], v[140:141]
	v_fma_f64 v[138:139], v[2:3], v[27:28], -v[29:30]
	ds_load_b128 v[2:5], v1 offset:720
	s_wait_loadcnt_dscnt 0x901
	v_mul_f64_e32 v[134:135], v[128:129], v[106:107]
	v_mul_f64_e32 v[106:107], v[130:131], v[106:107]
	scratch_load_b128 v[27:30], off, off offset:304
	s_wait_loadcnt_dscnt 0x900
	v_mul_f64_e32 v[140:141], v[2:3], v[114:115]
	v_mul_f64_e32 v[114:115], v[4:5], v[114:115]
	v_add_f64_e32 v[31:32], v[31:32], v[120:121]
	v_add_f64_e32 v[132:133], v[132:133], v[122:123]
	ds_load_b128 v[120:123], v1 offset:736
	v_fma_f64 v[130:131], v[130:131], v[104:105], v[134:135]
	v_fma_f64 v[128:129], v[128:129], v[104:105], -v[106:107]
	scratch_load_b128 v[104:107], off, off offset:320
	v_add_f64_e32 v[31:32], v[31:32], v[138:139]
	v_add_f64_e32 v[132:133], v[132:133], v[136:137]
	v_fma_f64 v[138:139], v[4:5], v[112:113], v[140:141]
	v_fma_f64 v[140:141], v[2:3], v[112:113], -v[114:115]
	ds_load_b128 v[2:5], v1 offset:752
	s_wait_loadcnt_dscnt 0x801
	v_mul_f64_e32 v[134:135], v[120:121], v[126:127]
	v_mul_f64_e32 v[136:137], v[122:123], v[126:127]
	scratch_load_b128 v[112:115], off, off offset:336
	v_add_f64_e32 v[31:32], v[31:32], v[128:129]
	v_add_f64_e32 v[130:131], v[132:133], v[130:131]
	ds_load_b128 v[126:129], v1 offset:768
	v_fma_f64 v[134:135], v[122:123], v[124:125], v[134:135]
	v_fma_f64 v[124:125], v[120:121], v[124:125], -v[136:137]
	scratch_load_b128 v[120:123], off, off offset:352
	s_wait_loadcnt_dscnt 0x901
	v_mul_f64_e32 v[132:133], v[2:3], v[110:111]
	v_mul_f64_e32 v[110:111], v[4:5], v[110:111]
	v_add_f64_e32 v[31:32], v[31:32], v[140:141]
	v_add_f64_e32 v[130:131], v[130:131], v[138:139]
	s_delay_alu instid0(VALU_DEP_4) | instskip(NEXT) | instid1(VALU_DEP_4)
	v_fma_f64 v[138:139], v[4:5], v[108:109], v[132:133]
	v_fma_f64 v[140:141], v[2:3], v[108:109], -v[110:111]
	ds_load_b128 v[2:5], v1 offset:784
	s_wait_loadcnt_dscnt 0x801
	v_mul_f64_e32 v[136:137], v[126:127], v[8:9]
	v_mul_f64_e32 v[8:9], v[128:129], v[8:9]
	scratch_load_b128 v[108:111], off, off offset:368
	v_add_f64_e32 v[31:32], v[31:32], v[124:125]
	v_add_f64_e32 v[124:125], v[130:131], v[134:135]
	s_wait_loadcnt_dscnt 0x800
	v_mul_f64_e32 v[134:135], v[2:3], v[12:13]
	v_mul_f64_e32 v[12:13], v[4:5], v[12:13]
	ds_load_b128 v[130:133], v1 offset:800
	v_fma_f64 v[128:129], v[128:129], v[6:7], v[136:137]
	v_fma_f64 v[126:127], v[126:127], v[6:7], -v[8:9]
	scratch_load_b128 v[6:9], off, off offset:384
	v_add_f64_e32 v[31:32], v[31:32], v[140:141]
	v_add_f64_e32 v[124:125], v[124:125], v[138:139]
	v_fma_f64 v[134:135], v[4:5], v[10:11], v[134:135]
	v_fma_f64 v[138:139], v[2:3], v[10:11], -v[12:13]
	ds_load_b128 v[2:5], v1 offset:816
	s_wait_loadcnt_dscnt 0x801
	v_mul_f64_e32 v[136:137], v[130:131], v[16:17]
	v_mul_f64_e32 v[16:17], v[132:133], v[16:17]
	scratch_load_b128 v[10:13], off, off offset:400
	s_wait_loadcnt_dscnt 0x800
	v_mul_f64_e32 v[140:141], v[2:3], v[20:21]
	v_mul_f64_e32 v[20:21], v[4:5], v[20:21]
	v_add_f64_e32 v[31:32], v[31:32], v[126:127]
	v_add_f64_e32 v[128:129], v[124:125], v[128:129]
	ds_load_b128 v[124:127], v1 offset:832
	v_fma_f64 v[132:133], v[132:133], v[14:15], v[136:137]
	v_fma_f64 v[130:131], v[130:131], v[14:15], -v[16:17]
	scratch_load_b128 v[14:17], off, off offset:416
	v_fma_f64 v[136:137], v[4:5], v[18:19], v[140:141]
	v_add_f64_e32 v[31:32], v[31:32], v[138:139]
	v_add_f64_e32 v[128:129], v[128:129], v[134:135]
	v_fma_f64 v[138:139], v[2:3], v[18:19], -v[20:21]
	ds_load_b128 v[2:5], v1 offset:848
	s_wait_loadcnt_dscnt 0x801
	v_mul_f64_e32 v[134:135], v[124:125], v[24:25]
	v_mul_f64_e32 v[24:25], v[126:127], v[24:25]
	scratch_load_b128 v[18:21], off, off offset:432
	s_wait_loadcnt_dscnt 0x800
	v_mul_f64_e32 v[140:141], v[2:3], v[29:30]
	v_mul_f64_e32 v[29:30], v[4:5], v[29:30]
	v_add_f64_e32 v[31:32], v[31:32], v[130:131]
	v_add_f64_e32 v[132:133], v[128:129], v[132:133]
	ds_load_b128 v[128:131], v1 offset:864
	v_fma_f64 v[126:127], v[126:127], v[22:23], v[134:135]
	v_fma_f64 v[124:125], v[124:125], v[22:23], -v[24:25]
	scratch_load_b128 v[22:25], off, off offset:448
	v_add_f64_e32 v[31:32], v[31:32], v[138:139]
	v_add_f64_e32 v[132:133], v[132:133], v[136:137]
	v_fma_f64 v[136:137], v[4:5], v[27:28], v[140:141]
	v_fma_f64 v[138:139], v[2:3], v[27:28], -v[29:30]
	ds_load_b128 v[2:5], v1 offset:880
	s_wait_loadcnt_dscnt 0x801
	v_mul_f64_e32 v[134:135], v[128:129], v[106:107]
	v_mul_f64_e32 v[106:107], v[130:131], v[106:107]
	scratch_load_b128 v[27:30], off, off offset:464
	s_wait_loadcnt_dscnt 0x800
	v_mul_f64_e32 v[140:141], v[2:3], v[114:115]
	v_mul_f64_e32 v[114:115], v[4:5], v[114:115]
	v_add_f64_e32 v[31:32], v[31:32], v[124:125]
	v_add_f64_e32 v[132:133], v[132:133], v[126:127]
	ds_load_b128 v[124:127], v1 offset:896
	v_fma_f64 v[130:131], v[130:131], v[104:105], v[134:135]
	v_fma_f64 v[128:129], v[128:129], v[104:105], -v[106:107]
	scratch_load_b128 v[104:107], off, off offset:480
	v_add_f64_e32 v[31:32], v[31:32], v[138:139]
	v_add_f64_e32 v[132:133], v[132:133], v[136:137]
	v_fma_f64 v[136:137], v[4:5], v[112:113], v[140:141]
	v_fma_f64 v[138:139], v[2:3], v[112:113], -v[114:115]
	ds_load_b128 v[2:5], v1 offset:912
	s_wait_loadcnt_dscnt 0x801
	v_mul_f64_e32 v[134:135], v[124:125], v[122:123]
	v_mul_f64_e32 v[122:123], v[126:127], v[122:123]
	scratch_load_b128 v[112:115], off, off offset:496
	s_wait_loadcnt_dscnt 0x800
	v_mul_f64_e32 v[140:141], v[2:3], v[110:111]
	v_add_f64_e32 v[31:32], v[31:32], v[128:129]
	v_add_f64_e32 v[132:133], v[132:133], v[130:131]
	v_mul_f64_e32 v[110:111], v[4:5], v[110:111]
	ds_load_b128 v[128:131], v1 offset:928
	v_fma_f64 v[126:127], v[126:127], v[120:121], v[134:135]
	v_fma_f64 v[124:125], v[124:125], v[120:121], -v[122:123]
	scratch_load_b128 v[120:123], off, off offset:512
	v_add_f64_e32 v[31:32], v[31:32], v[138:139]
	v_add_f64_e32 v[132:133], v[132:133], v[136:137]
	v_fma_f64 v[136:137], v[4:5], v[108:109], v[140:141]
	v_fma_f64 v[138:139], v[2:3], v[108:109], -v[110:111]
	ds_load_b128 v[2:5], v1 offset:944
	s_wait_loadcnt_dscnt 0x801
	v_mul_f64_e32 v[134:135], v[128:129], v[8:9]
	v_mul_f64_e32 v[8:9], v[130:131], v[8:9]
	scratch_load_b128 v[108:111], off, off offset:528
	s_wait_loadcnt_dscnt 0x800
	v_mul_f64_e32 v[140:141], v[2:3], v[12:13]
	v_mul_f64_e32 v[12:13], v[4:5], v[12:13]
	v_add_f64_e32 v[31:32], v[31:32], v[124:125]
	v_add_f64_e32 v[132:133], v[132:133], v[126:127]
	ds_load_b128 v[124:127], v1 offset:960
	v_fma_f64 v[130:131], v[130:131], v[6:7], v[134:135]
	v_fma_f64 v[128:129], v[128:129], v[6:7], -v[8:9]
	scratch_load_b128 v[6:9], off, off offset:544
	v_add_f64_e32 v[31:32], v[31:32], v[138:139]
	v_add_f64_e32 v[132:133], v[132:133], v[136:137]
	v_fma_f64 v[136:137], v[4:5], v[10:11], v[140:141]
	v_fma_f64 v[138:139], v[2:3], v[10:11], -v[12:13]
	ds_load_b128 v[2:5], v1 offset:976
	s_wait_loadcnt_dscnt 0x801
	v_mul_f64_e32 v[134:135], v[124:125], v[16:17]
	v_mul_f64_e32 v[16:17], v[126:127], v[16:17]
	scratch_load_b128 v[10:13], off, off offset:560
	s_wait_loadcnt_dscnt 0x800
	v_mul_f64_e32 v[140:141], v[2:3], v[20:21]
	v_mul_f64_e32 v[20:21], v[4:5], v[20:21]
	v_add_f64_e32 v[31:32], v[31:32], v[128:129]
	v_add_f64_e32 v[132:133], v[132:133], v[130:131]
	ds_load_b128 v[128:131], v1 offset:992
	v_fma_f64 v[126:127], v[126:127], v[14:15], v[134:135]
	v_fma_f64 v[14:15], v[124:125], v[14:15], -v[16:17]
	s_wait_loadcnt_dscnt 0x700
	v_mul_f64_e32 v[124:125], v[128:129], v[24:25]
	v_mul_f64_e32 v[24:25], v[130:131], v[24:25]
	v_add_f64_e32 v[16:17], v[31:32], v[138:139]
	v_add_f64_e32 v[31:32], v[132:133], v[136:137]
	v_fma_f64 v[132:133], v[4:5], v[18:19], v[140:141]
	v_fma_f64 v[18:19], v[2:3], v[18:19], -v[20:21]
	v_fma_f64 v[124:125], v[130:131], v[22:23], v[124:125]
	v_fma_f64 v[22:23], v[128:129], v[22:23], -v[24:25]
	v_add_f64_e32 v[20:21], v[16:17], v[14:15]
	v_add_f64_e32 v[31:32], v[31:32], v[126:127]
	ds_load_b128 v[2:5], v1 offset:1008
	ds_load_b128 v[14:17], v1 offset:1024
	s_wait_loadcnt_dscnt 0x601
	v_mul_f64_e32 v[126:127], v[2:3], v[29:30]
	v_mul_f64_e32 v[29:30], v[4:5], v[29:30]
	s_wait_loadcnt_dscnt 0x500
	v_mul_f64_e32 v[24:25], v[14:15], v[106:107]
	v_add_f64_e32 v[18:19], v[20:21], v[18:19]
	v_add_f64_e32 v[20:21], v[31:32], v[132:133]
	v_mul_f64_e32 v[31:32], v[16:17], v[106:107]
	v_fma_f64 v[106:107], v[4:5], v[27:28], v[126:127]
	v_fma_f64 v[27:28], v[2:3], v[27:28], -v[29:30]
	v_fma_f64 v[16:17], v[16:17], v[104:105], v[24:25]
	v_add_f64_e32 v[22:23], v[18:19], v[22:23]
	v_add_f64_e32 v[29:30], v[20:21], v[124:125]
	ds_load_b128 v[2:5], v1 offset:1040
	ds_load_b128 v[18:21], v1 offset:1056
	v_fma_f64 v[14:15], v[14:15], v[104:105], -v[31:32]
	s_wait_loadcnt_dscnt 0x401
	v_mul_f64_e32 v[124:125], v[2:3], v[114:115]
	v_mul_f64_e32 v[114:115], v[4:5], v[114:115]
	v_add_f64_e32 v[22:23], v[22:23], v[27:28]
	v_add_f64_e32 v[24:25], v[29:30], v[106:107]
	s_wait_loadcnt_dscnt 0x300
	v_mul_f64_e32 v[27:28], v[18:19], v[122:123]
	v_mul_f64_e32 v[29:30], v[20:21], v[122:123]
	v_fma_f64 v[31:32], v[4:5], v[112:113], v[124:125]
	v_fma_f64 v[104:105], v[2:3], v[112:113], -v[114:115]
	v_add_f64_e32 v[22:23], v[22:23], v[14:15]
	v_add_f64_e32 v[24:25], v[24:25], v[16:17]
	ds_load_b128 v[2:5], v1 offset:1072
	ds_load_b128 v[14:17], v1 offset:1088
	v_fma_f64 v[20:21], v[20:21], v[120:121], v[27:28]
	v_fma_f64 v[18:19], v[18:19], v[120:121], -v[29:30]
	s_wait_loadcnt_dscnt 0x201
	v_mul_f64_e32 v[106:107], v[2:3], v[110:111]
	v_mul_f64_e32 v[110:111], v[4:5], v[110:111]
	s_wait_loadcnt_dscnt 0x100
	v_mul_f64_e32 v[27:28], v[14:15], v[8:9]
	v_mul_f64_e32 v[8:9], v[16:17], v[8:9]
	v_add_f64_e32 v[22:23], v[22:23], v[104:105]
	v_add_f64_e32 v[24:25], v[24:25], v[31:32]
	v_fma_f64 v[29:30], v[4:5], v[108:109], v[106:107]
	v_fma_f64 v[31:32], v[2:3], v[108:109], -v[110:111]
	ds_load_b128 v[2:5], v1 offset:1104
	v_fma_f64 v[16:17], v[16:17], v[6:7], v[27:28]
	v_fma_f64 v[6:7], v[14:15], v[6:7], -v[8:9]
	v_add_f64_e32 v[18:19], v[22:23], v[18:19]
	v_add_f64_e32 v[20:21], v[24:25], v[20:21]
	s_wait_loadcnt_dscnt 0x0
	v_mul_f64_e32 v[22:23], v[2:3], v[12:13]
	v_mul_f64_e32 v[12:13], v[4:5], v[12:13]
	s_delay_alu instid0(VALU_DEP_4) | instskip(NEXT) | instid1(VALU_DEP_4)
	v_add_f64_e32 v[8:9], v[18:19], v[31:32]
	v_add_f64_e32 v[14:15], v[20:21], v[29:30]
	s_delay_alu instid0(VALU_DEP_4) | instskip(NEXT) | instid1(VALU_DEP_4)
	v_fma_f64 v[4:5], v[4:5], v[10:11], v[22:23]
	v_fma_f64 v[2:3], v[2:3], v[10:11], -v[12:13]
	s_delay_alu instid0(VALU_DEP_4) | instskip(NEXT) | instid1(VALU_DEP_4)
	v_add_f64_e32 v[6:7], v[8:9], v[6:7]
	v_add_f64_e32 v[8:9], v[14:15], v[16:17]
	s_delay_alu instid0(VALU_DEP_2) | instskip(NEXT) | instid1(VALU_DEP_2)
	v_add_f64_e32 v[2:3], v[6:7], v[2:3]
	v_add_f64_e32 v[4:5], v[8:9], v[4:5]
	s_delay_alu instid0(VALU_DEP_2) | instskip(NEXT) | instid1(VALU_DEP_2)
	v_add_f64_e64 v[2:3], v[116:117], -v[2:3]
	v_add_f64_e64 v[4:5], v[118:119], -v[4:5]
	scratch_store_b128 off, v[2:5], off offset:32
	v_cmpx_ne_u32_e32 0, v0
	s_cbranch_execz .LBB34_223
; %bb.222:
	scratch_load_b128 v[5:8], off, off offset:16
	v_dual_mov_b32 v2, v1 :: v_dual_mov_b32 v3, v1
	v_mov_b32_e32 v4, v1
	scratch_store_b128 off, v[1:4], off offset:16
	s_wait_loadcnt 0x0
	ds_store_b128 v26, v[5:8]
.LBB34_223:
	s_wait_alu 0xfffe
	s_or_b32 exec_lo, exec_lo, s0
	s_wait_storecnt_dscnt 0x0
	s_barrier_signal -1
	s_barrier_wait -1
	global_inv scope:SCOPE_SE
	s_clause 0x8
	scratch_load_b128 v[2:5], off, off offset:32
	scratch_load_b128 v[6:9], off, off offset:48
	;; [unrolled: 1-line block ×9, first 2 shown]
	ds_load_b128 v[108:111], v1 offset:576
	ds_load_b128 v[112:115], v1 offset:592
	s_clause 0x1
	scratch_load_b128 v[116:119], off, off offset:16
	scratch_load_b128 v[120:123], off, off offset:176
	s_and_b32 vcc_lo, exec_lo, s18
	s_wait_loadcnt_dscnt 0xa01
	v_mul_f64_e32 v[124:125], v[110:111], v[4:5]
	v_mul_f64_e32 v[4:5], v[108:109], v[4:5]
	s_wait_loadcnt_dscnt 0x900
	v_mul_f64_e32 v[128:129], v[112:113], v[8:9]
	v_mul_f64_e32 v[8:9], v[114:115], v[8:9]
	s_delay_alu instid0(VALU_DEP_4) | instskip(NEXT) | instid1(VALU_DEP_4)
	v_fma_f64 v[130:131], v[108:109], v[2:3], -v[124:125]
	v_fma_f64 v[132:133], v[110:111], v[2:3], v[4:5]
	ds_load_b128 v[2:5], v1 offset:608
	ds_load_b128 v[124:127], v1 offset:624
	scratch_load_b128 v[108:111], off, off offset:192
	v_fma_f64 v[114:115], v[114:115], v[6:7], v[128:129]
	v_fma_f64 v[112:113], v[112:113], v[6:7], -v[8:9]
	scratch_load_b128 v[6:9], off, off offset:208
	s_wait_loadcnt_dscnt 0xa01
	v_mul_f64_e32 v[134:135], v[2:3], v[12:13]
	v_mul_f64_e32 v[12:13], v[4:5], v[12:13]
	v_add_f64_e32 v[128:129], 0, v[130:131]
	v_add_f64_e32 v[130:131], 0, v[132:133]
	s_wait_loadcnt_dscnt 0x900
	v_mul_f64_e32 v[132:133], v[124:125], v[16:17]
	v_mul_f64_e32 v[16:17], v[126:127], v[16:17]
	v_fma_f64 v[134:135], v[4:5], v[10:11], v[134:135]
	v_fma_f64 v[136:137], v[2:3], v[10:11], -v[12:13]
	ds_load_b128 v[2:5], v1 offset:640
	scratch_load_b128 v[10:13], off, off offset:224
	v_add_f64_e32 v[128:129], v[128:129], v[112:113]
	v_add_f64_e32 v[130:131], v[130:131], v[114:115]
	ds_load_b128 v[112:115], v1 offset:656
	v_fma_f64 v[126:127], v[126:127], v[14:15], v[132:133]
	v_fma_f64 v[124:125], v[124:125], v[14:15], -v[16:17]
	scratch_load_b128 v[14:17], off, off offset:240
	s_wait_loadcnt_dscnt 0xa01
	v_mul_f64_e32 v[138:139], v[2:3], v[20:21]
	v_mul_f64_e32 v[20:21], v[4:5], v[20:21]
	s_wait_loadcnt_dscnt 0x900
	v_mul_f64_e32 v[132:133], v[112:113], v[24:25]
	v_mul_f64_e32 v[24:25], v[114:115], v[24:25]
	v_add_f64_e32 v[128:129], v[128:129], v[136:137]
	v_add_f64_e32 v[130:131], v[130:131], v[134:135]
	v_fma_f64 v[134:135], v[4:5], v[18:19], v[138:139]
	v_fma_f64 v[136:137], v[2:3], v[18:19], -v[20:21]
	ds_load_b128 v[2:5], v1 offset:672
	scratch_load_b128 v[18:21], off, off offset:256
	v_fma_f64 v[114:115], v[114:115], v[22:23], v[132:133]
	v_fma_f64 v[112:113], v[112:113], v[22:23], -v[24:25]
	scratch_load_b128 v[22:25], off, off offset:272
	v_add_f64_e32 v[128:129], v[128:129], v[124:125]
	v_add_f64_e32 v[130:131], v[130:131], v[126:127]
	ds_load_b128 v[124:127], v1 offset:688
	s_wait_loadcnt_dscnt 0xa01
	v_mul_f64_e32 v[138:139], v[2:3], v[28:29]
	v_mul_f64_e32 v[28:29], v[4:5], v[28:29]
	s_wait_loadcnt_dscnt 0x900
	v_mul_f64_e32 v[132:133], v[124:125], v[32:33]
	v_mul_f64_e32 v[32:33], v[126:127], v[32:33]
	v_add_f64_e32 v[128:129], v[128:129], v[136:137]
	v_add_f64_e32 v[130:131], v[130:131], v[134:135]
	v_fma_f64 v[134:135], v[4:5], v[26:27], v[138:139]
	v_fma_f64 v[136:137], v[2:3], v[26:27], -v[28:29]
	ds_load_b128 v[2:5], v1 offset:704
	scratch_load_b128 v[26:29], off, off offset:288
	v_fma_f64 v[126:127], v[126:127], v[30:31], v[132:133]
	v_fma_f64 v[124:125], v[124:125], v[30:31], -v[32:33]
	scratch_load_b128 v[30:33], off, off offset:304
	v_add_f64_e32 v[128:129], v[128:129], v[112:113]
	v_add_f64_e32 v[130:131], v[130:131], v[114:115]
	ds_load_b128 v[112:115], v1 offset:720
	s_wait_loadcnt_dscnt 0xa01
	v_mul_f64_e32 v[138:139], v[2:3], v[106:107]
	v_mul_f64_e32 v[106:107], v[4:5], v[106:107]
	s_wait_loadcnt_dscnt 0x800
	v_mul_f64_e32 v[132:133], v[112:113], v[122:123]
	v_add_f64_e32 v[128:129], v[128:129], v[136:137]
	v_add_f64_e32 v[130:131], v[130:131], v[134:135]
	v_mul_f64_e32 v[134:135], v[114:115], v[122:123]
	v_fma_f64 v[136:137], v[4:5], v[104:105], v[138:139]
	v_fma_f64 v[138:139], v[2:3], v[104:105], -v[106:107]
	ds_load_b128 v[2:5], v1 offset:736
	scratch_load_b128 v[104:107], off, off offset:320
	v_fma_f64 v[114:115], v[114:115], v[120:121], v[132:133]
	v_add_f64_e32 v[128:129], v[128:129], v[124:125]
	v_add_f64_e32 v[126:127], v[130:131], v[126:127]
	ds_load_b128 v[122:125], v1 offset:752
	v_fma_f64 v[120:121], v[112:113], v[120:121], -v[134:135]
	s_wait_loadcnt_dscnt 0x801
	v_mul_f64_e32 v[130:131], v[2:3], v[110:111]
	v_mul_f64_e32 v[140:141], v[4:5], v[110:111]
	scratch_load_b128 v[110:113], off, off offset:336
	s_wait_loadcnt_dscnt 0x800
	v_mul_f64_e32 v[134:135], v[122:123], v[8:9]
	v_mul_f64_e32 v[8:9], v[124:125], v[8:9]
	v_add_f64_e32 v[128:129], v[128:129], v[138:139]
	v_add_f64_e32 v[126:127], v[126:127], v[136:137]
	v_fma_f64 v[136:137], v[4:5], v[108:109], v[130:131]
	v_fma_f64 v[108:109], v[2:3], v[108:109], -v[140:141]
	ds_load_b128 v[2:5], v1 offset:768
	ds_load_b128 v[130:133], v1 offset:784
	v_fma_f64 v[124:125], v[124:125], v[6:7], v[134:135]
	v_fma_f64 v[122:123], v[122:123], v[6:7], -v[8:9]
	scratch_load_b128 v[6:9], off, off offset:368
	v_add_f64_e32 v[120:121], v[128:129], v[120:121]
	v_add_f64_e32 v[114:115], v[126:127], v[114:115]
	scratch_load_b128 v[126:129], off, off offset:352
	s_wait_loadcnt_dscnt 0x901
	v_mul_f64_e32 v[138:139], v[2:3], v[12:13]
	v_mul_f64_e32 v[12:13], v[4:5], v[12:13]
	s_wait_loadcnt_dscnt 0x800
	v_mul_f64_e32 v[134:135], v[130:131], v[16:17]
	v_mul_f64_e32 v[16:17], v[132:133], v[16:17]
	v_add_f64_e32 v[108:109], v[120:121], v[108:109]
	v_add_f64_e32 v[114:115], v[114:115], v[136:137]
	v_fma_f64 v[136:137], v[4:5], v[10:11], v[138:139]
	v_fma_f64 v[138:139], v[2:3], v[10:11], -v[12:13]
	ds_load_b128 v[2:5], v1 offset:800
	scratch_load_b128 v[10:13], off, off offset:384
	v_fma_f64 v[132:133], v[132:133], v[14:15], v[134:135]
	v_fma_f64 v[130:131], v[130:131], v[14:15], -v[16:17]
	scratch_load_b128 v[14:17], off, off offset:400
	v_add_f64_e32 v[108:109], v[108:109], v[122:123]
	v_add_f64_e32 v[114:115], v[114:115], v[124:125]
	ds_load_b128 v[120:123], v1 offset:816
	s_wait_loadcnt_dscnt 0x901
	v_mul_f64_e32 v[124:125], v[2:3], v[20:21]
	v_mul_f64_e32 v[20:21], v[4:5], v[20:21]
	s_wait_loadcnt_dscnt 0x800
	v_mul_f64_e32 v[134:135], v[120:121], v[24:25]
	v_mul_f64_e32 v[24:25], v[122:123], v[24:25]
	v_add_f64_e32 v[108:109], v[108:109], v[138:139]
	v_add_f64_e32 v[114:115], v[114:115], v[136:137]
	v_fma_f64 v[124:125], v[4:5], v[18:19], v[124:125]
	v_fma_f64 v[136:137], v[2:3], v[18:19], -v[20:21]
	ds_load_b128 v[2:5], v1 offset:832
	scratch_load_b128 v[18:21], off, off offset:416
	v_fma_f64 v[122:123], v[122:123], v[22:23], v[134:135]
	v_fma_f64 v[120:121], v[120:121], v[22:23], -v[24:25]
	scratch_load_b128 v[22:25], off, off offset:432
	v_add_f64_e32 v[108:109], v[108:109], v[130:131]
	v_add_f64_e32 v[114:115], v[114:115], v[132:133]
	ds_load_b128 v[130:133], v1 offset:848
	s_wait_loadcnt_dscnt 0x901
	v_mul_f64_e32 v[138:139], v[2:3], v[28:29]
	v_mul_f64_e32 v[28:29], v[4:5], v[28:29]
	v_add_f64_e32 v[108:109], v[108:109], v[136:137]
	v_add_f64_e32 v[114:115], v[114:115], v[124:125]
	s_wait_loadcnt_dscnt 0x800
	v_mul_f64_e32 v[124:125], v[130:131], v[32:33]
	v_mul_f64_e32 v[32:33], v[132:133], v[32:33]
	v_fma_f64 v[134:135], v[4:5], v[26:27], v[138:139]
	v_fma_f64 v[136:137], v[2:3], v[26:27], -v[28:29]
	ds_load_b128 v[2:5], v1 offset:864
	scratch_load_b128 v[26:29], off, off offset:448
	v_add_f64_e32 v[108:109], v[108:109], v[120:121]
	v_add_f64_e32 v[114:115], v[114:115], v[122:123]
	ds_load_b128 v[120:123], v1 offset:880
	s_wait_loadcnt_dscnt 0x801
	v_mul_f64_e32 v[138:139], v[2:3], v[106:107]
	v_mul_f64_e32 v[106:107], v[4:5], v[106:107]
	v_fma_f64 v[124:125], v[132:133], v[30:31], v[124:125]
	v_fma_f64 v[130:131], v[130:131], v[30:31], -v[32:33]
	scratch_load_b128 v[30:33], off, off offset:464
	s_wait_loadcnt_dscnt 0x800
	v_mul_f64_e32 v[132:133], v[120:121], v[112:113]
	v_add_f64_e32 v[108:109], v[108:109], v[136:137]
	v_add_f64_e32 v[114:115], v[114:115], v[134:135]
	v_mul_f64_e32 v[134:135], v[122:123], v[112:113]
	v_fma_f64 v[136:137], v[4:5], v[104:105], v[138:139]
	v_fma_f64 v[138:139], v[2:3], v[104:105], -v[106:107]
	ds_load_b128 v[2:5], v1 offset:896
	scratch_load_b128 v[104:107], off, off offset:480
	v_fma_f64 v[122:123], v[122:123], v[110:111], v[132:133]
	v_add_f64_e32 v[108:109], v[108:109], v[130:131]
	v_add_f64_e32 v[124:125], v[114:115], v[124:125]
	ds_load_b128 v[112:115], v1 offset:912
	v_fma_f64 v[120:121], v[120:121], v[110:111], -v[134:135]
	s_wait_loadcnt_dscnt 0x701
	v_mul_f64_e32 v[130:131], v[2:3], v[128:129]
	v_mul_f64_e32 v[128:129], v[4:5], v[128:129]
	s_wait_dscnt 0x0
	v_mul_f64_e32 v[134:135], v[112:113], v[8:9]
	v_mul_f64_e32 v[8:9], v[114:115], v[8:9]
	v_add_f64_e32 v[132:133], v[108:109], v[138:139]
	v_add_f64_e32 v[124:125], v[124:125], v[136:137]
	scratch_load_b128 v[108:111], off, off offset:496
	v_fma_f64 v[130:131], v[4:5], v[126:127], v[130:131]
	v_fma_f64 v[128:129], v[2:3], v[126:127], -v[128:129]
	ds_load_b128 v[2:5], v1 offset:928
	v_fma_f64 v[114:115], v[114:115], v[6:7], v[134:135]
	v_fma_f64 v[112:113], v[112:113], v[6:7], -v[8:9]
	scratch_load_b128 v[6:9], off, off offset:528
	v_add_f64_e32 v[132:133], v[132:133], v[120:121]
	v_add_f64_e32 v[136:137], v[124:125], v[122:123]
	scratch_load_b128 v[120:123], off, off offset:512
	ds_load_b128 v[124:127], v1 offset:944
	s_wait_loadcnt_dscnt 0x901
	v_mul_f64_e32 v[138:139], v[2:3], v[12:13]
	v_mul_f64_e32 v[12:13], v[4:5], v[12:13]
	v_add_f64_e32 v[128:129], v[132:133], v[128:129]
	v_add_f64_e32 v[130:131], v[136:137], v[130:131]
	s_wait_loadcnt_dscnt 0x800
	v_mul_f64_e32 v[132:133], v[124:125], v[16:17]
	v_mul_f64_e32 v[16:17], v[126:127], v[16:17]
	v_fma_f64 v[134:135], v[4:5], v[10:11], v[138:139]
	v_fma_f64 v[136:137], v[2:3], v[10:11], -v[12:13]
	ds_load_b128 v[2:5], v1 offset:960
	scratch_load_b128 v[10:13], off, off offset:544
	v_add_f64_e32 v[128:129], v[128:129], v[112:113]
	v_add_f64_e32 v[130:131], v[130:131], v[114:115]
	ds_load_b128 v[112:115], v1 offset:976
	s_wait_loadcnt_dscnt 0x801
	v_mul_f64_e32 v[138:139], v[2:3], v[20:21]
	v_mul_f64_e32 v[20:21], v[4:5], v[20:21]
	v_fma_f64 v[126:127], v[126:127], v[14:15], v[132:133]
	v_fma_f64 v[124:125], v[124:125], v[14:15], -v[16:17]
	scratch_load_b128 v[14:17], off, off offset:560
	s_wait_loadcnt_dscnt 0x800
	v_mul_f64_e32 v[132:133], v[112:113], v[24:25]
	v_mul_f64_e32 v[24:25], v[114:115], v[24:25]
	v_add_f64_e32 v[128:129], v[128:129], v[136:137]
	v_add_f64_e32 v[130:131], v[130:131], v[134:135]
	v_fma_f64 v[134:135], v[4:5], v[18:19], v[138:139]
	v_fma_f64 v[136:137], v[2:3], v[18:19], -v[20:21]
	ds_load_b128 v[2:5], v1 offset:992
	ds_load_b128 v[18:21], v1 offset:1008
	v_fma_f64 v[114:115], v[114:115], v[22:23], v[132:133]
	v_fma_f64 v[22:23], v[112:113], v[22:23], -v[24:25]
	v_add_f64_e32 v[124:125], v[128:129], v[124:125]
	v_add_f64_e32 v[126:127], v[130:131], v[126:127]
	s_wait_loadcnt_dscnt 0x701
	v_mul_f64_e32 v[128:129], v[2:3], v[28:29]
	v_mul_f64_e32 v[28:29], v[4:5], v[28:29]
	s_delay_alu instid0(VALU_DEP_4) | instskip(NEXT) | instid1(VALU_DEP_4)
	v_add_f64_e32 v[24:25], v[124:125], v[136:137]
	v_add_f64_e32 v[112:113], v[126:127], v[134:135]
	s_wait_loadcnt_dscnt 0x600
	v_mul_f64_e32 v[124:125], v[18:19], v[32:33]
	v_mul_f64_e32 v[32:33], v[20:21], v[32:33]
	v_fma_f64 v[126:127], v[4:5], v[26:27], v[128:129]
	v_fma_f64 v[26:27], v[2:3], v[26:27], -v[28:29]
	v_add_f64_e32 v[28:29], v[24:25], v[22:23]
	v_add_f64_e32 v[112:113], v[112:113], v[114:115]
	ds_load_b128 v[2:5], v1 offset:1024
	ds_load_b128 v[22:25], v1 offset:1040
	v_fma_f64 v[20:21], v[20:21], v[30:31], v[124:125]
	v_fma_f64 v[18:19], v[18:19], v[30:31], -v[32:33]
	s_wait_loadcnt_dscnt 0x501
	v_mul_f64_e32 v[114:115], v[2:3], v[106:107]
	v_mul_f64_e32 v[106:107], v[4:5], v[106:107]
	v_add_f64_e32 v[26:27], v[28:29], v[26:27]
	v_add_f64_e32 v[28:29], v[112:113], v[126:127]
	s_wait_loadcnt_dscnt 0x400
	v_mul_f64_e32 v[30:31], v[22:23], v[110:111]
	v_mul_f64_e32 v[32:33], v[24:25], v[110:111]
	v_fma_f64 v[110:111], v[4:5], v[104:105], v[114:115]
	v_fma_f64 v[104:105], v[2:3], v[104:105], -v[106:107]
	v_add_f64_e32 v[26:27], v[26:27], v[18:19]
	v_add_f64_e32 v[28:29], v[28:29], v[20:21]
	ds_load_b128 v[2:5], v1 offset:1056
	ds_load_b128 v[18:21], v1 offset:1072
	v_fma_f64 v[24:25], v[24:25], v[108:109], v[30:31]
	v_fma_f64 v[22:23], v[22:23], v[108:109], -v[32:33]
	s_wait_loadcnt_dscnt 0x201
	v_mul_f64_e32 v[106:107], v[2:3], v[122:123]
	v_mul_f64_e32 v[112:113], v[4:5], v[122:123]
	s_wait_dscnt 0x0
	v_mul_f64_e32 v[30:31], v[18:19], v[8:9]
	v_mul_f64_e32 v[8:9], v[20:21], v[8:9]
	v_add_f64_e32 v[26:27], v[26:27], v[104:105]
	v_add_f64_e32 v[28:29], v[28:29], v[110:111]
	v_fma_f64 v[32:33], v[4:5], v[120:121], v[106:107]
	v_fma_f64 v[104:105], v[2:3], v[120:121], -v[112:113]
	v_fma_f64 v[20:21], v[20:21], v[6:7], v[30:31]
	v_fma_f64 v[6:7], v[18:19], v[6:7], -v[8:9]
	v_add_f64_e32 v[26:27], v[26:27], v[22:23]
	v_add_f64_e32 v[28:29], v[28:29], v[24:25]
	ds_load_b128 v[2:5], v1 offset:1088
	ds_load_b128 v[22:25], v1 offset:1104
	s_wait_loadcnt_dscnt 0x101
	v_mul_f64_e32 v[0:1], v[2:3], v[12:13]
	v_mul_f64_e32 v[12:13], v[4:5], v[12:13]
	v_add_f64_e32 v[8:9], v[26:27], v[104:105]
	v_add_f64_e32 v[18:19], v[28:29], v[32:33]
	s_wait_loadcnt_dscnt 0x0
	v_mul_f64_e32 v[26:27], v[22:23], v[16:17]
	v_mul_f64_e32 v[16:17], v[24:25], v[16:17]
	v_fma_f64 v[0:1], v[4:5], v[10:11], v[0:1]
	v_fma_f64 v[2:3], v[2:3], v[10:11], -v[12:13]
	v_add_f64_e32 v[4:5], v[8:9], v[6:7]
	v_add_f64_e32 v[6:7], v[18:19], v[20:21]
	v_fma_f64 v[8:9], v[24:25], v[14:15], v[26:27]
	v_fma_f64 v[10:11], v[22:23], v[14:15], -v[16:17]
	s_delay_alu instid0(VALU_DEP_4) | instskip(NEXT) | instid1(VALU_DEP_4)
	v_add_f64_e32 v[2:3], v[4:5], v[2:3]
	v_add_f64_e32 v[0:1], v[6:7], v[0:1]
	s_delay_alu instid0(VALU_DEP_2) | instskip(NEXT) | instid1(VALU_DEP_2)
	v_add_f64_e32 v[2:3], v[2:3], v[10:11]
	v_add_f64_e32 v[4:5], v[0:1], v[8:9]
	s_delay_alu instid0(VALU_DEP_2) | instskip(NEXT) | instid1(VALU_DEP_2)
	v_add_f64_e64 v[0:1], v[116:117], -v[2:3]
	v_add_f64_e64 v[2:3], v[118:119], -v[4:5]
	scratch_store_b128 off, v[0:3], off offset:16
	s_wait_alu 0xfffe
	s_cbranch_vccz .LBB34_292
; %bb.224:
	v_mov_b32_e32 v0, 0
	global_load_b32 v1, v0, s[2:3] offset:132
	s_wait_loadcnt 0x0
	v_cmp_ne_u32_e32 vcc_lo, 34, v1
	s_cbranch_vccz .LBB34_226
; %bb.225:
	v_lshlrev_b32_e32 v1, 4, v1
	s_delay_alu instid0(VALU_DEP_1)
	v_add_nc_u32_e32 v9, 16, v1
	s_clause 0x1
	scratch_load_b128 v[1:4], v9, off offset:-16
	scratch_load_b128 v[5:8], off, s15
	s_wait_loadcnt 0x1
	scratch_store_b128 off, v[1:4], s15
	s_wait_loadcnt 0x0
	scratch_store_b128 v9, v[5:8], off offset:-16
.LBB34_226:
	global_load_b32 v0, v0, s[2:3] offset:128
	s_wait_loadcnt 0x0
	v_cmp_eq_u32_e32 vcc_lo, 33, v0
	s_cbranch_vccnz .LBB34_228
; %bb.227:
	v_lshlrev_b32_e32 v0, 4, v0
	s_delay_alu instid0(VALU_DEP_1)
	v_add_nc_u32_e32 v8, 16, v0
	s_clause 0x1
	scratch_load_b128 v[0:3], v8, off offset:-16
	scratch_load_b128 v[4:7], off, s24
	s_wait_loadcnt 0x1
	scratch_store_b128 off, v[0:3], s24
	s_wait_loadcnt 0x0
	scratch_store_b128 v8, v[4:7], off offset:-16
.LBB34_228:
	v_mov_b32_e32 v0, 0
	global_load_b32 v1, v0, s[2:3] offset:124
	s_wait_loadcnt 0x0
	v_cmp_eq_u32_e32 vcc_lo, 32, v1
	s_cbranch_vccnz .LBB34_230
; %bb.229:
	v_lshlrev_b32_e32 v1, 4, v1
	s_delay_alu instid0(VALU_DEP_1)
	v_add_nc_u32_e32 v9, 16, v1
	s_clause 0x1
	scratch_load_b128 v[1:4], v9, off offset:-16
	scratch_load_b128 v[5:8], off, s12
	s_wait_loadcnt 0x1
	scratch_store_b128 off, v[1:4], s12
	s_wait_loadcnt 0x0
	scratch_store_b128 v9, v[5:8], off offset:-16
.LBB34_230:
	global_load_b32 v0, v0, s[2:3] offset:120
	s_wait_loadcnt 0x0
	v_cmp_eq_u32_e32 vcc_lo, 31, v0
	s_cbranch_vccnz .LBB34_232
; %bb.231:
	v_lshlrev_b32_e32 v0, 4, v0
	s_delay_alu instid0(VALU_DEP_1)
	v_add_nc_u32_e32 v8, 16, v0
	s_clause 0x1
	scratch_load_b128 v[0:3], v8, off offset:-16
	scratch_load_b128 v[4:7], off, s23
	s_wait_loadcnt 0x1
	scratch_store_b128 off, v[0:3], s23
	s_wait_loadcnt 0x0
	scratch_store_b128 v8, v[4:7], off offset:-16
.LBB34_232:
	v_mov_b32_e32 v0, 0
	global_load_b32 v1, v0, s[2:3] offset:116
	s_wait_loadcnt 0x0
	v_cmp_eq_u32_e32 vcc_lo, 30, v1
	s_cbranch_vccnz .LBB34_234
; %bb.233:
	v_lshlrev_b32_e32 v1, 4, v1
	s_delay_alu instid0(VALU_DEP_1)
	v_add_nc_u32_e32 v9, 16, v1
	s_clause 0x1
	scratch_load_b128 v[1:4], v9, off offset:-16
	scratch_load_b128 v[5:8], off, s21
	s_wait_loadcnt 0x1
	scratch_store_b128 off, v[1:4], s21
	s_wait_loadcnt 0x0
	scratch_store_b128 v9, v[5:8], off offset:-16
.LBB34_234:
	;; [unrolled: 33-line block ×16, first 2 shown]
	global_load_b32 v0, v0, s[2:3]
	s_wait_loadcnt 0x0
	v_cmp_eq_u32_e32 vcc_lo, 1, v0
	s_cbranch_vccnz .LBB34_292
; %bb.291:
	v_lshlrev_b32_e32 v0, 4, v0
	s_delay_alu instid0(VALU_DEP_1)
	v_add_nc_u32_e32 v8, 16, v0
	scratch_load_b128 v[0:3], v8, off offset:-16
	scratch_load_b128 v[4:7], off, off offset:16
	s_wait_loadcnt 0x1
	scratch_store_b128 off, v[0:3], off offset:16
	s_wait_loadcnt 0x0
	scratch_store_b128 v8, v[4:7], off offset:-16
.LBB34_292:
	scratch_load_b128 v[0:3], off, off offset:16
	s_clause 0xf
	scratch_load_b128 v[4:7], off, s19
	scratch_load_b128 v[8:11], off, s13
	;; [unrolled: 1-line block ×16, first 2 shown]
	s_wait_loadcnt 0x10
	global_store_b128 v[34:35], v[0:3], off
	s_clause 0x1
	scratch_load_b128 v[0:3], off, s30
	scratch_load_b128 v[32:35], off, s28
	s_wait_loadcnt 0x11
	global_store_b128 v[36:37], v[4:7], off
	s_wait_loadcnt 0x10
	global_store_b128 v[38:39], v[8:11], off
	s_clause 0x1
	scratch_load_b128 v[4:7], off, s20
	scratch_load_b128 v[8:11], off, s14
	s_wait_loadcnt 0x11
	global_store_b128 v[40:41], v[12:15], off
	s_clause 0x1
	scratch_load_b128 v[12:15], off, s10
	scratch_load_b128 v[36:39], off, s8
	s_wait_loadcnt 0x12
	global_store_b128 v[42:43], v[16:19], off
	s_clause 0x1
	scratch_load_b128 v[16:19], off, s5
	scratch_load_b128 v[40:43], off, s4
	s_wait_loadcnt 0x13
	global_store_b128 v[44:45], v[20:23], off
	s_wait_loadcnt 0x12
	global_store_b128 v[46:47], v[24:27], off
	s_clause 0x1
	scratch_load_b128 v[20:23], off, s26
	scratch_load_b128 v[24:27], off, s29
	s_wait_loadcnt 0x13
	global_store_b128 v[48:49], v[28:31], off
	s_clause 0x1
	scratch_load_b128 v[28:31], off, s22
	scratch_load_b128 v[44:47], off, s27
	s_wait_loadcnt 0x14
	global_store_b128 v[50:51], v[104:107], off
	s_clause 0x1
	scratch_load_b128 v[48:51], off, s21
	scratch_load_b128 v[104:107], off, s23
	s_wait_loadcnt 0x15
	global_store_b128 v[52:53], v[108:111], off
	s_wait_loadcnt 0x14
	global_store_b128 v[54:55], v[112:115], off
	s_clause 0x1
	scratch_load_b128 v[52:55], off, s12
	scratch_load_b128 v[108:111], off, s24
	s_wait_loadcnt 0x15
	global_store_b128 v[56:57], v[116:119], off
	s_clause 0x1
	scratch_load_b128 v[112:115], off, s15
	scratch_load_b128 v[116:119], off, s25
	s_wait_loadcnt 0x16
	global_store_b128 v[58:59], v[120:123], off
	s_wait_loadcnt 0x15
	global_store_b128 v[60:61], v[124:127], off
	;; [unrolled: 2-line block ×23, first 2 shown]
	s_nop 0
	s_sendmsg sendmsg(MSG_DEALLOC_VGPRS)
	s_endpgm
	.section	.rodata,"a",@progbits
	.p2align	6, 0x0
	.amdhsa_kernel _ZN9rocsolver6v33100L18getri_kernel_smallILi35E19rocblas_complex_numIdEPS3_EEvT1_iilPiilS6_bb
		.amdhsa_group_segment_fixed_size 1128
		.amdhsa_private_segment_fixed_size 592
		.amdhsa_kernarg_size 60
		.amdhsa_user_sgpr_count 2
		.amdhsa_user_sgpr_dispatch_ptr 0
		.amdhsa_user_sgpr_queue_ptr 0
		.amdhsa_user_sgpr_kernarg_segment_ptr 1
		.amdhsa_user_sgpr_dispatch_id 0
		.amdhsa_user_sgpr_private_segment_size 0
		.amdhsa_wavefront_size32 1
		.amdhsa_uses_dynamic_stack 0
		.amdhsa_enable_private_segment 1
		.amdhsa_system_sgpr_workgroup_id_x 1
		.amdhsa_system_sgpr_workgroup_id_y 0
		.amdhsa_system_sgpr_workgroup_id_z 0
		.amdhsa_system_sgpr_workgroup_info 0
		.amdhsa_system_vgpr_workitem_id 0
		.amdhsa_next_free_vgpr 144
		.amdhsa_next_free_sgpr 48
		.amdhsa_reserve_vcc 1
		.amdhsa_float_round_mode_32 0
		.amdhsa_float_round_mode_16_64 0
		.amdhsa_float_denorm_mode_32 3
		.amdhsa_float_denorm_mode_16_64 3
		.amdhsa_fp16_overflow 0
		.amdhsa_workgroup_processor_mode 1
		.amdhsa_memory_ordered 1
		.amdhsa_forward_progress 1
		.amdhsa_inst_pref_size 255
		.amdhsa_round_robin_scheduling 0
		.amdhsa_exception_fp_ieee_invalid_op 0
		.amdhsa_exception_fp_denorm_src 0
		.amdhsa_exception_fp_ieee_div_zero 0
		.amdhsa_exception_fp_ieee_overflow 0
		.amdhsa_exception_fp_ieee_underflow 0
		.amdhsa_exception_fp_ieee_inexact 0
		.amdhsa_exception_int_div_zero 0
	.end_amdhsa_kernel
	.section	.text._ZN9rocsolver6v33100L18getri_kernel_smallILi35E19rocblas_complex_numIdEPS3_EEvT1_iilPiilS6_bb,"axG",@progbits,_ZN9rocsolver6v33100L18getri_kernel_smallILi35E19rocblas_complex_numIdEPS3_EEvT1_iilPiilS6_bb,comdat
.Lfunc_end34:
	.size	_ZN9rocsolver6v33100L18getri_kernel_smallILi35E19rocblas_complex_numIdEPS3_EEvT1_iilPiilS6_bb, .Lfunc_end34-_ZN9rocsolver6v33100L18getri_kernel_smallILi35E19rocblas_complex_numIdEPS3_EEvT1_iilPiilS6_bb
                                        ; -- End function
	.set _ZN9rocsolver6v33100L18getri_kernel_smallILi35E19rocblas_complex_numIdEPS3_EEvT1_iilPiilS6_bb.num_vgpr, 144
	.set _ZN9rocsolver6v33100L18getri_kernel_smallILi35E19rocblas_complex_numIdEPS3_EEvT1_iilPiilS6_bb.num_agpr, 0
	.set _ZN9rocsolver6v33100L18getri_kernel_smallILi35E19rocblas_complex_numIdEPS3_EEvT1_iilPiilS6_bb.numbered_sgpr, 48
	.set _ZN9rocsolver6v33100L18getri_kernel_smallILi35E19rocblas_complex_numIdEPS3_EEvT1_iilPiilS6_bb.num_named_barrier, 0
	.set _ZN9rocsolver6v33100L18getri_kernel_smallILi35E19rocblas_complex_numIdEPS3_EEvT1_iilPiilS6_bb.private_seg_size, 592
	.set _ZN9rocsolver6v33100L18getri_kernel_smallILi35E19rocblas_complex_numIdEPS3_EEvT1_iilPiilS6_bb.uses_vcc, 1
	.set _ZN9rocsolver6v33100L18getri_kernel_smallILi35E19rocblas_complex_numIdEPS3_EEvT1_iilPiilS6_bb.uses_flat_scratch, 1
	.set _ZN9rocsolver6v33100L18getri_kernel_smallILi35E19rocblas_complex_numIdEPS3_EEvT1_iilPiilS6_bb.has_dyn_sized_stack, 0
	.set _ZN9rocsolver6v33100L18getri_kernel_smallILi35E19rocblas_complex_numIdEPS3_EEvT1_iilPiilS6_bb.has_recursion, 0
	.set _ZN9rocsolver6v33100L18getri_kernel_smallILi35E19rocblas_complex_numIdEPS3_EEvT1_iilPiilS6_bb.has_indirect_call, 0
	.section	.AMDGPU.csdata,"",@progbits
; Kernel info:
; codeLenInByte = 56944
; TotalNumSgprs: 50
; NumVgprs: 144
; ScratchSize: 592
; MemoryBound: 0
; FloatMode: 240
; IeeeMode: 1
; LDSByteSize: 1128 bytes/workgroup (compile time only)
; SGPRBlocks: 0
; VGPRBlocks: 17
; NumSGPRsForWavesPerEU: 50
; NumVGPRsForWavesPerEU: 144
; Occupancy: 10
; WaveLimiterHint : 1
; COMPUTE_PGM_RSRC2:SCRATCH_EN: 1
; COMPUTE_PGM_RSRC2:USER_SGPR: 2
; COMPUTE_PGM_RSRC2:TRAP_HANDLER: 0
; COMPUTE_PGM_RSRC2:TGID_X_EN: 1
; COMPUTE_PGM_RSRC2:TGID_Y_EN: 0
; COMPUTE_PGM_RSRC2:TGID_Z_EN: 0
; COMPUTE_PGM_RSRC2:TIDIG_COMP_CNT: 0
	.section	.text._ZN9rocsolver6v33100L18getri_kernel_smallILi36E19rocblas_complex_numIdEPS3_EEvT1_iilPiilS6_bb,"axG",@progbits,_ZN9rocsolver6v33100L18getri_kernel_smallILi36E19rocblas_complex_numIdEPS3_EEvT1_iilPiilS6_bb,comdat
	.globl	_ZN9rocsolver6v33100L18getri_kernel_smallILi36E19rocblas_complex_numIdEPS3_EEvT1_iilPiilS6_bb ; -- Begin function _ZN9rocsolver6v33100L18getri_kernel_smallILi36E19rocblas_complex_numIdEPS3_EEvT1_iilPiilS6_bb
	.p2align	8
	.type	_ZN9rocsolver6v33100L18getri_kernel_smallILi36E19rocblas_complex_numIdEPS3_EEvT1_iilPiilS6_bb,@function
_ZN9rocsolver6v33100L18getri_kernel_smallILi36E19rocblas_complex_numIdEPS3_EEvT1_iilPiilS6_bb: ; @_ZN9rocsolver6v33100L18getri_kernel_smallILi36E19rocblas_complex_numIdEPS3_EEvT1_iilPiilS6_bb
; %bb.0:
	s_mov_b32 s2, exec_lo
	v_cmpx_gt_u32_e32 36, v0
	s_cbranch_execz .LBB35_158
; %bb.1:
	s_clause 0x2
	s_load_b32 s2, s[0:1], 0x38
	s_load_b128 s[12:15], s[0:1], 0x10
	s_load_b128 s[4:7], s[0:1], 0x28
	s_mov_b32 s16, ttmp9
	s_wait_kmcnt 0x0
	s_bitcmp1_b32 s2, 8
	s_cselect_b32 s18, -1, 0
	s_bfe_u32 s2, s2, 0x10008
	s_ashr_i32 s17, ttmp9, 31
	s_cmp_eq_u32 s2, 0
                                        ; implicit-def: $sgpr2_sgpr3
	s_cbranch_scc1 .LBB35_3
; %bb.2:
	s_load_b32 s2, s[0:1], 0x20
	s_mul_u64 s[4:5], s[4:5], s[16:17]
	s_delay_alu instid0(SALU_CYCLE_1) | instskip(NEXT) | instid1(SALU_CYCLE_1)
	s_lshl_b64 s[4:5], s[4:5], 2
	s_add_nc_u64 s[4:5], s[14:15], s[4:5]
	s_wait_kmcnt 0x0
	s_ashr_i32 s3, s2, 31
	s_delay_alu instid0(SALU_CYCLE_1) | instskip(NEXT) | instid1(SALU_CYCLE_1)
	s_lshl_b64 s[2:3], s[2:3], 2
	s_add_nc_u64 s[2:3], s[4:5], s[2:3]
.LBB35_3:
	s_clause 0x1
	s_load_b128 s[8:11], s[0:1], 0x0
	s_load_b32 s45, s[0:1], 0x38
	s_mul_u64 s[0:1], s[12:13], s[16:17]
	v_lshlrev_b32_e32 v13, 4, v0
	s_lshl_b64 s[0:1], s[0:1], 4
	s_movk_i32 s15, 0x100
	s_movk_i32 s19, 0x110
	;; [unrolled: 1-line block ×7, first 2 shown]
	s_add_co_i32 s21, s15, 16
	s_add_co_i32 s15, s19, 16
	s_add_co_i32 s19, s22, 16
	s_movk_i32 s25, 0x150
	s_movk_i32 s27, 0x170
	s_add_co_i32 s36, s12, 16
	s_add_co_i32 s35, s13, 16
	;; [unrolled: 1-line block ×3, first 2 shown]
	s_wait_kmcnt 0x0
	v_add3_u32 v5, s11, s11, v0
	s_ashr_i32 s5, s10, 31
	s_mov_b32 s4, s10
	s_add_nc_u64 s[0:1], s[8:9], s[0:1]
	s_lshl_b64 s[4:5], s[4:5], 4
	v_add_nc_u32_e32 v7, s11, v5
	v_ashrrev_i32_e32 v6, 31, v5
	s_add_nc_u64 s[0:1], s[0:1], s[4:5]
	s_ashr_i32 s9, s11, 31
	v_add_co_u32 v38, s4, s0, v13
	v_add_nc_u32_e32 v9, s11, v7
	v_ashrrev_i32_e32 v8, 31, v7
	s_mov_b32 s8, s11
	v_lshlrev_b64_e32 v[5:6], 4, v[5:6]
	v_add_co_ci_u32_e64 v39, null, s1, 0, s4
	v_add_nc_u32_e32 v14, s11, v9
	v_ashrrev_i32_e32 v10, 31, v9
	s_lshl_b64 s[8:9], s[8:9], 4
	v_lshlrev_b64_e32 v[16:17], 4, v[7:8]
	v_add_co_u32 v40, vcc_lo, v38, s8
	v_add_nc_u32_e32 v20, s11, v14
	v_ashrrev_i32_e32 v15, 31, v14
	v_lshlrev_b64_e32 v[18:19], 4, v[9:10]
	v_add_co_ci_u32_e64 v41, null, s9, v39, vcc_lo
	s_delay_alu instid0(VALU_DEP_4)
	v_add_nc_u32_e32 v24, s11, v20
	v_add_co_u32 v42, vcc_lo, s0, v5
	v_lshlrev_b64_e32 v[22:23], 4, v[14:15]
	v_ashrrev_i32_e32 v21, 31, v20
	s_wait_alu 0xfffd
	v_add_co_ci_u32_e64 v43, null, s1, v6, vcc_lo
	v_add_co_u32 v44, vcc_lo, s0, v16
	v_ashrrev_i32_e32 v25, 31, v24
	v_add_nc_u32_e32 v28, s11, v24
	s_wait_alu 0xfffd
	v_add_co_ci_u32_e64 v45, null, s1, v17, vcc_lo
	v_add_co_u32 v46, vcc_lo, s0, v18
	v_lshlrev_b64_e32 v[26:27], 4, v[20:21]
	s_wait_alu 0xfffd
	v_add_co_ci_u32_e64 v47, null, s1, v19, vcc_lo
	v_add_co_u32 v48, vcc_lo, s0, v22
	s_wait_alu 0xfffd
	v_add_co_ci_u32_e64 v49, null, s1, v23, vcc_lo
	v_lshlrev_b64_e32 v[22:23], 4, v[24:25]
	v_ashrrev_i32_e32 v29, 31, v28
	v_add_nc_u32_e32 v24, s11, v28
	v_add_co_u32 v50, vcc_lo, s0, v26
	s_wait_alu 0xfffd
	v_add_co_ci_u32_e64 v51, null, s1, v27, vcc_lo
	v_lshlrev_b64_e32 v[26:27], 4, v[28:29]
	v_add_nc_u32_e32 v28, s11, v24
	v_ashrrev_i32_e32 v25, 31, v24
	v_add_co_u32 v52, vcc_lo, s0, v22
	s_wait_alu 0xfffd
	v_add_co_ci_u32_e64 v53, null, s1, v23, vcc_lo
	v_add_nc_u32_e32 v32, s11, v28
	v_ashrrev_i32_e32 v29, 31, v28
	v_lshlrev_b64_e32 v[30:31], 4, v[24:25]
	v_add_co_u32 v54, vcc_lo, s0, v26
	s_delay_alu instid0(VALU_DEP_4)
	v_add_nc_u32_e32 v34, s11, v32
	global_load_b128 v[1:4], v13, s[0:1]
	s_wait_alu 0xfffd
	v_add_co_ci_u32_e64 v55, null, s1, v27, vcc_lo
	v_lshlrev_b64_e32 v[26:27], 4, v[28:29]
	s_clause 0x3
	global_load_b128 v[9:12], v[40:41], off
	global_load_b128 v[5:8], v[42:43], off
	;; [unrolled: 1-line block ×4, first 2 shown]
	v_ashrrev_i32_e32 v33, 31, v32
	v_add_co_u32 v56, vcc_lo, s0, v30
	v_ashrrev_i32_e32 v35, 31, v34
	s_wait_alu 0xfffd
	v_add_co_ci_u32_e64 v57, null, s1, v31, vcc_lo
	v_add_co_u32 v58, vcc_lo, s0, v26
	global_load_b128 v[22:25], v[48:49], off
	v_lshlrev_b64_e32 v[60:61], 4, v[32:33]
	s_wait_alu 0xfffd
	v_add_co_ci_u32_e64 v59, null, s1, v27, vcc_lo
	s_clause 0x1
	global_load_b128 v[26:29], v[50:51], off
	global_load_b128 v[30:33], v[52:53], off
	v_add_nc_u32_e32 v62, s11, v34
	v_lshlrev_b64_e32 v[64:65], 4, v[34:35]
	s_clause 0x2
	global_load_b128 v[34:37], v[54:55], off
	global_load_b128 v[98:101], v[56:57], off
	;; [unrolled: 1-line block ×3, first 2 shown]
	v_add_co_u32 v60, vcc_lo, s0, v60
	v_add_nc_u32_e32 v66, s11, v62
	v_ashrrev_i32_e32 v63, 31, v62
	s_wait_alu 0xfffd
	v_add_co_ci_u32_e64 v61, null, s1, v61, vcc_lo
	s_movk_i32 s9, 0xa0
	v_add_nc_u32_e32 v70, s11, v66
	v_lshlrev_b64_e32 v[68:69], 4, v[62:63]
	v_add_co_u32 v62, vcc_lo, s0, v64
	s_wait_alu 0xfffd
	v_add_co_ci_u32_e64 v63, null, s1, v65, vcc_lo
	v_ashrrev_i32_e32 v71, 31, v70
	v_add_nc_u32_e32 v72, s11, v70
	v_add_co_u32 v64, vcc_lo, s0, v68
	v_ashrrev_i32_e32 v67, 31, v66
	global_load_b128 v[106:109], v[60:61], off
	s_wait_alu 0xfffd
	v_add_co_ci_u32_e64 v65, null, s1, v69, vcc_lo
	v_lshlrev_b64_e32 v[68:69], 4, v[70:71]
	v_add_nc_u32_e32 v70, s11, v72
	v_ashrrev_i32_e32 v73, 31, v72
	v_lshlrev_b64_e32 v[66:67], 4, v[66:67]
	s_clause 0x1
	global_load_b128 v[110:113], v[62:63], off
	global_load_b128 v[114:117], v[64:65], off
	s_add_co_i32 s12, s26, 16
	v_ashrrev_i32_e32 v71, 31, v70
	v_lshlrev_b64_e32 v[72:73], 4, v[72:73]
	v_add_nc_u32_e32 v74, s11, v70
	v_add_co_u32 v66, vcc_lo, s0, v66
	s_delay_alu instid0(VALU_DEP_4)
	v_lshlrev_b64_e32 v[76:77], 4, v[70:71]
	s_wait_alu 0xfffd
	v_add_co_ci_u32_e64 v67, null, s1, v67, vcc_lo
	v_add_co_u32 v68, vcc_lo, s0, v68
	s_wait_alu 0xfffd
	v_add_co_ci_u32_e64 v69, null, s1, v69, vcc_lo
	v_add_co_u32 v70, vcc_lo, s0, v72
	;; [unrolled: 3-line block ×3, first 2 shown]
	s_wait_alu 0xfffd
	v_add_co_ci_u32_e64 v73, null, s1, v77, vcc_lo
	s_clause 0x3
	global_load_b128 v[118:121], v[66:67], off
	global_load_b128 v[122:125], v[68:69], off
	;; [unrolled: 1-line block ×4, first 2 shown]
	v_add_nc_u32_e32 v78, s11, v74
	v_ashrrev_i32_e32 v75, 31, v74
	s_movk_i32 s4, 0x70
	s_movk_i32 s5, 0x80
	;; [unrolled: 1-line block ×3, first 2 shown]
	v_ashrrev_i32_e32 v79, 31, v78
	v_lshlrev_b64_e32 v[74:75], 4, v[74:75]
	s_movk_i32 s10, 0xb0
	s_movk_i32 s14, 0xf0
	;; [unrolled: 1-line block ×3, first 2 shown]
	v_lshlrev_b64_e32 v[76:77], 4, v[78:79]
	v_add_nc_u32_e32 v78, s11, v78
	v_add_co_u32 v74, vcc_lo, s0, v74
	s_wait_alu 0xfffd
	v_add_co_ci_u32_e64 v75, null, s1, v75, vcc_lo
	s_delay_alu instid0(VALU_DEP_3)
	v_add_nc_u32_e32 v80, s11, v78
	v_ashrrev_i32_e32 v79, 31, v78
	v_add_co_u32 v76, vcc_lo, s0, v76
	s_wait_alu 0xfffd
	v_add_co_ci_u32_e64 v77, null, s1, v77, vcc_lo
	v_add_nc_u32_e32 v82, s11, v80
	v_ashrrev_i32_e32 v81, 31, v80
	v_lshlrev_b64_e32 v[78:79], 4, v[78:79]
	s_clause 0x1
	global_load_b128 v[134:137], v[74:75], off
	global_load_b128 v[138:141], v[76:77], off
	s_movk_i32 s28, 0x180
	v_add_nc_u32_e32 v84, s11, v82
	v_ashrrev_i32_e32 v83, 31, v82
	v_lshlrev_b64_e32 v[80:81], 4, v[80:81]
	v_add_co_u32 v78, vcc_lo, s0, v78
	s_delay_alu instid0(VALU_DEP_4)
	v_add_nc_u32_e32 v86, s11, v84
	v_ashrrev_i32_e32 v85, 31, v84
	v_lshlrev_b64_e32 v[82:83], 4, v[82:83]
	s_wait_alu 0xfffd
	v_add_co_ci_u32_e64 v79, null, s1, v79, vcc_lo
	v_add_nc_u32_e32 v88, s11, v86
	v_ashrrev_i32_e32 v87, 31, v86
	v_lshlrev_b64_e32 v[84:85], 4, v[84:85]
	v_add_co_u32 v80, vcc_lo, s0, v80
	s_delay_alu instid0(VALU_DEP_4)
	v_add_nc_u32_e32 v90, s11, v88
	v_ashrrev_i32_e32 v89, 31, v88
	v_lshlrev_b64_e32 v[86:87], 4, v[86:87]
	s_wait_alu 0xfffd
	v_add_co_ci_u32_e64 v81, null, s1, v81, vcc_lo
	v_add_nc_u32_e32 v92, s11, v90
	v_ashrrev_i32_e32 v91, 31, v90
	v_add_co_u32 v82, vcc_lo, s0, v82
	v_lshlrev_b64_e32 v[88:89], 4, v[88:89]
	s_delay_alu instid0(VALU_DEP_4)
	v_add_nc_u32_e32 v94, s11, v92
	v_ashrrev_i32_e32 v93, 31, v92
	s_wait_alu 0xfffd
	v_add_co_ci_u32_e64 v83, null, s1, v83, vcc_lo
	v_add_co_u32 v84, vcc_lo, s0, v84
	v_lshlrev_b64_e32 v[90:91], 4, v[90:91]
	s_wait_alu 0xfffd
	v_add_co_ci_u32_e64 v85, null, s1, v85, vcc_lo
	v_add_co_u32 v86, vcc_lo, s0, v86
	v_add_nc_u32_e32 v96, s11, v94
	global_load_b128 v[142:145], v[78:79], off
	s_wait_alu 0xfffd
	v_add_co_ci_u32_e64 v87, null, s1, v87, vcc_lo
	v_add_co_u32 v88, vcc_lo, s0, v88
	s_wait_alu 0xfffd
	v_add_co_ci_u32_e64 v89, null, s1, v89, vcc_lo
	v_add_co_u32 v90, vcc_lo, s0, v90
	v_add_nc_u32_e32 v146, s11, v96
	s_wait_alu 0xfffd
	v_add_co_ci_u32_e64 v91, null, s1, v91, vcc_lo
	v_ashrrev_i32_e32 v95, 31, v94
	v_ashrrev_i32_e32 v97, 31, v96
	;; [unrolled: 1-line block ×3, first 2 shown]
	s_movk_i32 s29, 0x190
	s_movk_i32 s46, 0x1a0
	v_lshlrev_b64_e32 v[94:95], 4, v[94:95]
	s_movk_i32 s47, 0x1b0
	s_movk_i32 s48, 0x1c0
	s_wait_alu 0xfffe
	s_add_co_i32 s39, s9, 16
	s_add_co_i32 s9, s27, 16
	;; [unrolled: 1-line block ×13, first 2 shown]
	s_mov_b32 s34, 32
	s_mov_b32 s33, 48
	;; [unrolled: 1-line block ×3, first 2 shown]
	s_movk_i32 s30, 0x50
	s_wait_loadcnt 0x14
	scratch_store_b128 off, v[1:4], off offset:16
	s_wait_loadcnt 0x13
	scratch_store_b128 off, v[9:12], off offset:32
	s_clause 0x1
	global_load_b128 v[1:4], v[80:81], off
	global_load_b128 v[9:12], v[82:83], off
	s_wait_loadcnt 0x14
	scratch_store_b128 off, v[5:8], off offset:48
	s_wait_loadcnt 0x13
	scratch_store_b128 off, v[14:17], off offset:64
	;; [unrolled: 2-line block ×3, first 2 shown]
	v_lshlrev_b64_e32 v[18:19], 4, v[92:93]
	s_clause 0x1
	global_load_b128 v[5:8], v[84:85], off
	global_load_b128 v[14:17], v[86:87], off
	v_add_co_u32 v92, vcc_lo, s0, v18
	s_wait_loadcnt 0x13
	scratch_store_b128 off, v[22:25], off offset:96
	s_wait_loadcnt 0x12
	scratch_store_b128 off, v[26:29], off offset:112
	;; [unrolled: 2-line block ×3, first 2 shown]
	s_wait_alu 0xfffd
	v_add_co_ci_u32_e64 v93, null, s1, v19, vcc_lo
	s_clause 0x1
	global_load_b128 v[18:21], v[88:89], off
	global_load_b128 v[22:25], v[90:91], off
	s_wait_loadcnt 0x12
	scratch_store_b128 off, v[34:37], off offset:144
	v_add_nc_u32_e32 v34, s11, v146
	v_lshlrev_b64_e32 v[36:37], 4, v[146:147]
	s_wait_loadcnt 0x11
	scratch_store_b128 off, v[98:101], off offset:160
	s_wait_loadcnt 0x10
	scratch_store_b128 off, v[102:105], off offset:176
	v_lshlrev_b64_e32 v[26:27], 4, v[96:97]
	v_add_co_u32 v94, vcc_lo, s0, v94
	v_add_nc_u32_e32 v146, s11, v34
	v_ashrrev_i32_e32 v35, 31, v34
	s_wait_alu 0xfffd
	v_add_co_ci_u32_e64 v95, null, s1, v95, vcc_lo
	v_add_co_u32 v96, vcc_lo, s0, v26
	v_add_nc_u32_e32 v102, s11, v146
	v_ashrrev_i32_e32 v147, 31, v146
	v_lshlrev_b64_e32 v[34:35], 4, v[34:35]
	s_wait_alu 0xfffd
	v_add_co_ci_u32_e64 v97, null, s1, v27, vcc_lo
	v_add_nc_u32_e32 v104, s11, v102
	v_ashrrev_i32_e32 v103, 31, v102
	s_clause 0x1
	global_load_b128 v[26:29], v[92:93], off
	global_load_b128 v[30:33], v[94:95], off
	s_wait_loadcnt 0x11
	scratch_store_b128 off, v[106:109], off offset:192
	v_lshlrev_b64_e32 v[106:107], 4, v[146:147]
	v_add_nc_u32_e32 v146, s11, v104
	v_add_co_u32 v98, vcc_lo, s0, v36
	v_lshlrev_b64_e32 v[108:109], 4, v[102:103]
	v_ashrrev_i32_e32 v105, 31, v104
	s_wait_alu 0xfffd
	v_add_co_ci_u32_e64 v99, null, s1, v37, vcc_lo
	v_add_co_u32 v100, vcc_lo, s0, v34
	v_ashrrev_i32_e32 v147, 31, v146
	s_wait_alu 0xfffd
	v_add_co_ci_u32_e64 v101, null, s1, v35, vcc_lo
	v_add_co_u32 v102, vcc_lo, s0, v106
	s_wait_alu 0xfffd
	v_add_co_ci_u32_e64 v103, null, s1, v107, vcc_lo
	v_lshlrev_b64_e32 v[106:107], 4, v[104:105]
	v_add_co_u32 v104, vcc_lo, s0, v108
	s_wait_alu 0xfffd
	v_add_co_ci_u32_e64 v105, null, s1, v109, vcc_lo
	v_lshlrev_b64_e32 v[108:109], 4, v[146:147]
	s_delay_alu instid0(VALU_DEP_4)
	v_add_co_u32 v106, vcc_lo, s0, v106
	s_wait_alu 0xfffd
	v_add_co_ci_u32_e64 v107, null, s1, v107, vcc_lo
	s_wait_loadcnt 0x10
	scratch_store_b128 off, v[110:113], off offset:208
	s_wait_loadcnt 0xf
	scratch_store_b128 off, v[114:117], off offset:224
	v_add_co_u32 v108, vcc_lo, s0, v108
	s_wait_alu 0xfffd
	v_add_co_ci_u32_e64 v109, null, s1, v109, vcc_lo
	s_clause 0x1
	global_load_b128 v[34:37], v[96:97], off
	global_load_b128 v[110:113], v[98:99], off
	s_wait_loadcnt 0x10
	scratch_store_b128 off, v[118:121], off offset:240
	s_wait_loadcnt 0xf
	scratch_store_b128 off, v[122:125], off offset:256
	s_clause 0x1
	global_load_b128 v[114:117], v[100:101], off
	global_load_b128 v[118:121], v[102:103], off
	s_wait_loadcnt 0x10
	scratch_store_b128 off, v[126:129], off offset:272
	s_wait_loadcnt 0xf
	scratch_store_b128 off, v[130:133], off offset:288
	s_clause 0x2
	global_load_b128 v[122:125], v[104:105], off
	global_load_b128 v[126:129], v[106:107], off
	;; [unrolled: 1-line block ×3, first 2 shown]
	s_movk_i32 s0, 0x50
	s_movk_i32 s1, 0x60
	s_wait_alu 0xfffe
	s_add_co_i32 s44, s0, 16
	s_movk_i32 s0, 0x1d0
	s_add_co_i32 s43, s1, 16
	s_wait_alu 0xfffe
	s_add_co_i32 s22, s0, 16
	s_movk_i32 s0, 0x1e0
	s_movk_i32 s1, 0x1f0
	;; [unrolled: 1-line block ×3, first 2 shown]
	s_wait_alu 0xfffe
	s_add_co_i32 s26, s0, 16
	s_add_co_i32 s23, s1, 16
	s_movk_i32 s0, 0x200
	s_movk_i32 s1, 0x210
	s_add_co_i32 s37, s11, 16
	s_add_co_i32 s11, s25, 16
	s_wait_alu 0xfffe
	s_add_co_i32 s27, s0, 16
	s_add_co_i32 s25, s1, 16
	s_movk_i32 s0, 0x220
	s_movk_i32 s1, 0x230
	s_wait_alu 0xfffe
	s_add_co_i32 s28, s0, 16
	s_add_co_i32 s29, s1, 16
	s_mov_b32 s1, -1
	s_bitcmp0_b32 s45, 0
	s_wait_loadcnt 0x11
	scratch_store_b128 off, v[134:137], off offset:304
	s_wait_loadcnt 0x10
	scratch_store_b128 off, v[138:141], off offset:320
	;; [unrolled: 2-line block ×18, first 2 shown]
	s_cbranch_scc1 .LBB35_156
; %bb.4:
	v_cmp_eq_u32_e64 s0, 0, v0
	s_and_saveexec_b32 s1, s0
; %bb.5:
	v_mov_b32_e32 v1, 0
	ds_store_b32 v1, v1 offset:1152
; %bb.6:
	s_wait_alu 0xfffe
	s_or_b32 exec_lo, exec_lo, s1
	s_wait_storecnt_dscnt 0x0
	s_barrier_signal -1
	s_barrier_wait -1
	global_inv scope:SCOPE_SE
	scratch_load_b128 v[1:4], v13, off offset:16
	s_wait_loadcnt 0x0
	v_cmp_eq_f64_e32 vcc_lo, 0, v[1:2]
	v_cmp_eq_f64_e64 s1, 0, v[3:4]
	s_and_b32 s1, vcc_lo, s1
	s_wait_alu 0xfffe
	s_and_saveexec_b32 s45, s1
	s_cbranch_execz .LBB35_10
; %bb.7:
	v_mov_b32_e32 v1, 0
	s_mov_b32 s46, 0
	ds_load_b32 v2, v1 offset:1152
	s_wait_dscnt 0x0
	v_readfirstlane_b32 s1, v2
	v_add_nc_u32_e32 v2, 1, v0
	s_cmp_eq_u32 s1, 0
	s_delay_alu instid0(VALU_DEP_1) | instskip(SKIP_1) | instid1(SALU_CYCLE_1)
	v_cmp_gt_i32_e32 vcc_lo, s1, v2
	s_cselect_b32 s47, -1, 0
	s_or_b32 s47, s47, vcc_lo
	s_delay_alu instid0(SALU_CYCLE_1)
	s_and_b32 exec_lo, exec_lo, s47
	s_cbranch_execz .LBB35_10
; %bb.8:
	v_mov_b32_e32 v3, s1
.LBB35_9:                               ; =>This Inner Loop Header: Depth=1
	ds_cmpstore_rtn_b32 v3, v1, v2, v3 offset:1152
	s_wait_dscnt 0x0
	v_cmp_ne_u32_e32 vcc_lo, 0, v3
	v_cmp_le_i32_e64 s1, v3, v2
	s_and_b32 s1, vcc_lo, s1
	s_wait_alu 0xfffe
	s_and_b32 s1, exec_lo, s1
	s_wait_alu 0xfffe
	s_or_b32 s46, s1, s46
	s_delay_alu instid0(SALU_CYCLE_1)
	s_and_not1_b32 exec_lo, exec_lo, s46
	s_cbranch_execnz .LBB35_9
.LBB35_10:
	s_or_b32 exec_lo, exec_lo, s45
	v_mov_b32_e32 v1, 0
	s_barrier_signal -1
	s_barrier_wait -1
	global_inv scope:SCOPE_SE
	ds_load_b32 v2, v1 offset:1152
	s_and_saveexec_b32 s1, s0
	s_cbranch_execz .LBB35_12
; %bb.11:
	s_lshl_b64 s[46:47], s[16:17], 2
	s_delay_alu instid0(SALU_CYCLE_1)
	s_add_nc_u64 s[46:47], s[6:7], s[46:47]
	s_wait_dscnt 0x0
	global_store_b32 v1, v2, s[46:47]
.LBB35_12:
	s_wait_alu 0xfffe
	s_or_b32 exec_lo, exec_lo, s1
	s_wait_dscnt 0x0
	v_cmp_ne_u32_e32 vcc_lo, 0, v2
	s_mov_b32 s1, 0
	s_cbranch_vccnz .LBB35_156
; %bb.13:
	v_add_nc_u32_e32 v14, 16, v13
                                        ; implicit-def: $vgpr1_vgpr2
                                        ; implicit-def: $vgpr9_vgpr10
	scratch_load_b128 v[5:8], v14, off
	s_wait_loadcnt 0x0
	v_cmp_ngt_f64_e64 s1, |v[5:6]|, |v[7:8]|
	s_wait_alu 0xfffe
	s_and_saveexec_b32 s45, s1
	s_delay_alu instid0(SALU_CYCLE_1)
	s_xor_b32 s1, exec_lo, s45
	s_cbranch_execz .LBB35_15
; %bb.14:
	v_div_scale_f64 v[1:2], null, v[7:8], v[7:8], v[5:6]
	v_div_scale_f64 v[11:12], vcc_lo, v[5:6], v[7:8], v[5:6]
	s_delay_alu instid0(VALU_DEP_2) | instskip(NEXT) | instid1(TRANS32_DEP_1)
	v_rcp_f64_e32 v[3:4], v[1:2]
	v_fma_f64 v[9:10], -v[1:2], v[3:4], 1.0
	s_delay_alu instid0(VALU_DEP_1) | instskip(NEXT) | instid1(VALU_DEP_1)
	v_fma_f64 v[3:4], v[3:4], v[9:10], v[3:4]
	v_fma_f64 v[9:10], -v[1:2], v[3:4], 1.0
	s_delay_alu instid0(VALU_DEP_1) | instskip(NEXT) | instid1(VALU_DEP_1)
	v_fma_f64 v[3:4], v[3:4], v[9:10], v[3:4]
	v_mul_f64_e32 v[9:10], v[11:12], v[3:4]
	s_delay_alu instid0(VALU_DEP_1) | instskip(SKIP_1) | instid1(VALU_DEP_1)
	v_fma_f64 v[1:2], -v[1:2], v[9:10], v[11:12]
	s_wait_alu 0xfffd
	v_div_fmas_f64 v[1:2], v[1:2], v[3:4], v[9:10]
	s_delay_alu instid0(VALU_DEP_1) | instskip(NEXT) | instid1(VALU_DEP_1)
	v_div_fixup_f64 v[1:2], v[1:2], v[7:8], v[5:6]
	v_fma_f64 v[3:4], v[5:6], v[1:2], v[7:8]
	s_delay_alu instid0(VALU_DEP_1) | instskip(SKIP_1) | instid1(VALU_DEP_2)
	v_div_scale_f64 v[5:6], null, v[3:4], v[3:4], 1.0
	v_div_scale_f64 v[11:12], vcc_lo, 1.0, v[3:4], 1.0
	v_rcp_f64_e32 v[7:8], v[5:6]
	s_delay_alu instid0(TRANS32_DEP_1) | instskip(NEXT) | instid1(VALU_DEP_1)
	v_fma_f64 v[9:10], -v[5:6], v[7:8], 1.0
	v_fma_f64 v[7:8], v[7:8], v[9:10], v[7:8]
	s_delay_alu instid0(VALU_DEP_1) | instskip(NEXT) | instid1(VALU_DEP_1)
	v_fma_f64 v[9:10], -v[5:6], v[7:8], 1.0
	v_fma_f64 v[7:8], v[7:8], v[9:10], v[7:8]
	s_delay_alu instid0(VALU_DEP_1) | instskip(NEXT) | instid1(VALU_DEP_1)
	v_mul_f64_e32 v[9:10], v[11:12], v[7:8]
	v_fma_f64 v[5:6], -v[5:6], v[9:10], v[11:12]
	s_wait_alu 0xfffd
	s_delay_alu instid0(VALU_DEP_1) | instskip(NEXT) | instid1(VALU_DEP_1)
	v_div_fmas_f64 v[5:6], v[5:6], v[7:8], v[9:10]
	v_div_fixup_f64 v[3:4], v[5:6], v[3:4], 1.0
                                        ; implicit-def: $vgpr5_vgpr6
	s_delay_alu instid0(VALU_DEP_1) | instskip(SKIP_1) | instid1(VALU_DEP_2)
	v_mul_f64_e32 v[1:2], v[1:2], v[3:4]
	v_xor_b32_e32 v4, 0x80000000, v4
	v_xor_b32_e32 v10, 0x80000000, v2
	s_delay_alu instid0(VALU_DEP_3)
	v_mov_b32_e32 v9, v1
.LBB35_15:
	s_wait_alu 0xfffe
	s_and_not1_saveexec_b32 s1, s1
	s_cbranch_execz .LBB35_17
; %bb.16:
	v_div_scale_f64 v[1:2], null, v[5:6], v[5:6], v[7:8]
	v_div_scale_f64 v[11:12], vcc_lo, v[7:8], v[5:6], v[7:8]
	s_delay_alu instid0(VALU_DEP_2) | instskip(NEXT) | instid1(TRANS32_DEP_1)
	v_rcp_f64_e32 v[3:4], v[1:2]
	v_fma_f64 v[9:10], -v[1:2], v[3:4], 1.0
	s_delay_alu instid0(VALU_DEP_1) | instskip(NEXT) | instid1(VALU_DEP_1)
	v_fma_f64 v[3:4], v[3:4], v[9:10], v[3:4]
	v_fma_f64 v[9:10], -v[1:2], v[3:4], 1.0
	s_delay_alu instid0(VALU_DEP_1) | instskip(NEXT) | instid1(VALU_DEP_1)
	v_fma_f64 v[3:4], v[3:4], v[9:10], v[3:4]
	v_mul_f64_e32 v[9:10], v[11:12], v[3:4]
	s_delay_alu instid0(VALU_DEP_1) | instskip(SKIP_1) | instid1(VALU_DEP_1)
	v_fma_f64 v[1:2], -v[1:2], v[9:10], v[11:12]
	s_wait_alu 0xfffd
	v_div_fmas_f64 v[1:2], v[1:2], v[3:4], v[9:10]
	s_delay_alu instid0(VALU_DEP_1) | instskip(NEXT) | instid1(VALU_DEP_1)
	v_div_fixup_f64 v[3:4], v[1:2], v[5:6], v[7:8]
	v_fma_f64 v[1:2], v[7:8], v[3:4], v[5:6]
	s_delay_alu instid0(VALU_DEP_1) | instskip(NEXT) | instid1(VALU_DEP_1)
	v_div_scale_f64 v[5:6], null, v[1:2], v[1:2], 1.0
	v_rcp_f64_e32 v[7:8], v[5:6]
	s_delay_alu instid0(TRANS32_DEP_1) | instskip(NEXT) | instid1(VALU_DEP_1)
	v_fma_f64 v[9:10], -v[5:6], v[7:8], 1.0
	v_fma_f64 v[7:8], v[7:8], v[9:10], v[7:8]
	s_delay_alu instid0(VALU_DEP_1) | instskip(NEXT) | instid1(VALU_DEP_1)
	v_fma_f64 v[9:10], -v[5:6], v[7:8], 1.0
	v_fma_f64 v[7:8], v[7:8], v[9:10], v[7:8]
	v_div_scale_f64 v[9:10], vcc_lo, 1.0, v[1:2], 1.0
	s_delay_alu instid0(VALU_DEP_1) | instskip(NEXT) | instid1(VALU_DEP_1)
	v_mul_f64_e32 v[11:12], v[9:10], v[7:8]
	v_fma_f64 v[5:6], -v[5:6], v[11:12], v[9:10]
	s_wait_alu 0xfffd
	s_delay_alu instid0(VALU_DEP_1) | instskip(NEXT) | instid1(VALU_DEP_1)
	v_div_fmas_f64 v[5:6], v[5:6], v[7:8], v[11:12]
	v_div_fixup_f64 v[1:2], v[5:6], v[1:2], 1.0
	s_delay_alu instid0(VALU_DEP_1)
	v_mul_f64_e64 v[3:4], v[3:4], -v[1:2]
	v_xor_b32_e32 v10, 0x80000000, v2
	v_mov_b32_e32 v9, v1
.LBB35_17:
	s_wait_alu 0xfffe
	s_or_b32 exec_lo, exec_lo, s1
	scratch_store_b128 v14, v[1:4], off
	scratch_load_b128 v[15:18], off, s34
	v_xor_b32_e32 v12, 0x80000000, v4
	v_mov_b32_e32 v11, v3
	v_add_nc_u32_e32 v5, 0x240, v13
	ds_store_b128 v13, v[9:12]
	s_wait_loadcnt 0x0
	ds_store_b128 v13, v[15:18] offset:576
	s_wait_storecnt_dscnt 0x0
	s_barrier_signal -1
	s_barrier_wait -1
	global_inv scope:SCOPE_SE
	s_and_saveexec_b32 s1, s0
	s_cbranch_execz .LBB35_19
; %bb.18:
	scratch_load_b128 v[1:4], v14, off
	ds_load_b128 v[6:9], v5
	v_mov_b32_e32 v10, 0
	ds_load_b128 v[15:18], v10 offset:16
	s_wait_loadcnt_dscnt 0x1
	v_mul_f64_e32 v[10:11], v[6:7], v[3:4]
	v_mul_f64_e32 v[3:4], v[8:9], v[3:4]
	s_delay_alu instid0(VALU_DEP_2) | instskip(NEXT) | instid1(VALU_DEP_2)
	v_fma_f64 v[8:9], v[8:9], v[1:2], v[10:11]
	v_fma_f64 v[1:2], v[6:7], v[1:2], -v[3:4]
	s_delay_alu instid0(VALU_DEP_2) | instskip(NEXT) | instid1(VALU_DEP_2)
	v_add_f64_e32 v[3:4], 0, v[8:9]
	v_add_f64_e32 v[1:2], 0, v[1:2]
	s_wait_dscnt 0x0
	s_delay_alu instid0(VALU_DEP_2) | instskip(NEXT) | instid1(VALU_DEP_2)
	v_mul_f64_e32 v[6:7], v[3:4], v[17:18]
	v_mul_f64_e32 v[8:9], v[1:2], v[17:18]
	s_delay_alu instid0(VALU_DEP_2) | instskip(NEXT) | instid1(VALU_DEP_2)
	v_fma_f64 v[1:2], v[1:2], v[15:16], -v[6:7]
	v_fma_f64 v[3:4], v[3:4], v[15:16], v[8:9]
	scratch_store_b128 off, v[1:4], off offset:32
.LBB35_19:
	s_wait_alu 0xfffe
	s_or_b32 exec_lo, exec_lo, s1
	s_wait_loadcnt 0x0
	s_wait_storecnt 0x0
	s_barrier_signal -1
	s_barrier_wait -1
	global_inv scope:SCOPE_SE
	scratch_load_b128 v[1:4], off, s33
	s_mov_b32 s1, exec_lo
	s_wait_loadcnt 0x0
	ds_store_b128 v5, v[1:4]
	s_wait_dscnt 0x0
	s_barrier_signal -1
	s_barrier_wait -1
	global_inv scope:SCOPE_SE
	v_cmpx_gt_u32_e32 2, v0
	s_cbranch_execz .LBB35_23
; %bb.20:
	scratch_load_b128 v[1:4], v14, off
	ds_load_b128 v[6:9], v5
	s_wait_loadcnt_dscnt 0x0
	v_mul_f64_e32 v[10:11], v[8:9], v[3:4]
	v_mul_f64_e32 v[3:4], v[6:7], v[3:4]
	s_delay_alu instid0(VALU_DEP_2) | instskip(NEXT) | instid1(VALU_DEP_2)
	v_fma_f64 v[6:7], v[6:7], v[1:2], -v[10:11]
	v_fma_f64 v[3:4], v[8:9], v[1:2], v[3:4]
	s_delay_alu instid0(VALU_DEP_2) | instskip(NEXT) | instid1(VALU_DEP_2)
	v_add_f64_e32 v[1:2], 0, v[6:7]
	v_add_f64_e32 v[3:4], 0, v[3:4]
	s_and_saveexec_b32 s45, s0
	s_cbranch_execz .LBB35_22
; %bb.21:
	scratch_load_b128 v[6:9], off, off offset:32
	v_mov_b32_e32 v10, 0
	ds_load_b128 v[15:18], v10 offset:592
	s_wait_loadcnt_dscnt 0x0
	v_mul_f64_e32 v[10:11], v[15:16], v[8:9]
	v_mul_f64_e32 v[8:9], v[17:18], v[8:9]
	s_delay_alu instid0(VALU_DEP_2) | instskip(NEXT) | instid1(VALU_DEP_2)
	v_fma_f64 v[10:11], v[17:18], v[6:7], v[10:11]
	v_fma_f64 v[6:7], v[15:16], v[6:7], -v[8:9]
	s_delay_alu instid0(VALU_DEP_2) | instskip(NEXT) | instid1(VALU_DEP_2)
	v_add_f64_e32 v[3:4], v[3:4], v[10:11]
	v_add_f64_e32 v[1:2], v[1:2], v[6:7]
.LBB35_22:
	s_or_b32 exec_lo, exec_lo, s45
	v_mov_b32_e32 v6, 0
	ds_load_b128 v[6:9], v6 offset:32
	s_wait_dscnt 0x0
	v_mul_f64_e32 v[10:11], v[3:4], v[8:9]
	v_mul_f64_e32 v[8:9], v[1:2], v[8:9]
	s_delay_alu instid0(VALU_DEP_2) | instskip(NEXT) | instid1(VALU_DEP_2)
	v_fma_f64 v[1:2], v[1:2], v[6:7], -v[10:11]
	v_fma_f64 v[3:4], v[3:4], v[6:7], v[8:9]
	scratch_store_b128 off, v[1:4], off offset:48
.LBB35_23:
	s_wait_alu 0xfffe
	s_or_b32 exec_lo, exec_lo, s1
	s_wait_loadcnt 0x0
	s_wait_storecnt 0x0
	s_barrier_signal -1
	s_barrier_wait -1
	global_inv scope:SCOPE_SE
	scratch_load_b128 v[1:4], off, s31
	v_add_nc_u32_e32 v6, -1, v0
	s_mov_b32 s0, exec_lo
	s_wait_loadcnt 0x0
	ds_store_b128 v5, v[1:4]
	s_wait_dscnt 0x0
	s_barrier_signal -1
	s_barrier_wait -1
	global_inv scope:SCOPE_SE
	v_cmpx_gt_u32_e32 3, v0
	s_cbranch_execz .LBB35_27
; %bb.24:
	v_dual_mov_b32 v1, 0 :: v_dual_add_nc_u32 v8, 0x240, v13
	v_mov_b32_e32 v3, 0
	v_dual_mov_b32 v2, 0 :: v_dual_add_nc_u32 v7, -1, v0
	v_mov_b32_e32 v4, 0
	v_or_b32_e32 v9, 8, v14
	s_mov_b32 s1, 0
.LBB35_25:                              ; =>This Inner Loop Header: Depth=1
	scratch_load_b128 v[15:18], v9, off offset:-8
	ds_load_b128 v[19:22], v8
	v_add_nc_u32_e32 v7, 1, v7
	v_add_nc_u32_e32 v8, 16, v8
	v_add_nc_u32_e32 v9, 16, v9
	s_delay_alu instid0(VALU_DEP_3)
	v_cmp_lt_u32_e32 vcc_lo, 1, v7
	s_wait_alu 0xfffe
	s_or_b32 s1, vcc_lo, s1
	s_wait_loadcnt_dscnt 0x0
	v_mul_f64_e32 v[10:11], v[21:22], v[17:18]
	v_mul_f64_e32 v[17:18], v[19:20], v[17:18]
	s_delay_alu instid0(VALU_DEP_2) | instskip(NEXT) | instid1(VALU_DEP_2)
	v_fma_f64 v[10:11], v[19:20], v[15:16], -v[10:11]
	v_fma_f64 v[15:16], v[21:22], v[15:16], v[17:18]
	s_delay_alu instid0(VALU_DEP_2) | instskip(NEXT) | instid1(VALU_DEP_2)
	v_add_f64_e32 v[3:4], v[3:4], v[10:11]
	v_add_f64_e32 v[1:2], v[1:2], v[15:16]
	s_wait_alu 0xfffe
	s_and_not1_b32 exec_lo, exec_lo, s1
	s_cbranch_execnz .LBB35_25
; %bb.26:
	s_or_b32 exec_lo, exec_lo, s1
	v_mov_b32_e32 v7, 0
	ds_load_b128 v[7:10], v7 offset:48
	s_wait_dscnt 0x0
	v_mul_f64_e32 v[11:12], v[1:2], v[9:10]
	v_mul_f64_e32 v[15:16], v[3:4], v[9:10]
	s_delay_alu instid0(VALU_DEP_2) | instskip(NEXT) | instid1(VALU_DEP_2)
	v_fma_f64 v[9:10], v[3:4], v[7:8], -v[11:12]
	v_fma_f64 v[11:12], v[1:2], v[7:8], v[15:16]
	scratch_store_b128 off, v[9:12], off offset:64
.LBB35_27:
	s_wait_alu 0xfffe
	s_or_b32 exec_lo, exec_lo, s0
	s_wait_loadcnt 0x0
	s_wait_storecnt 0x0
	s_barrier_signal -1
	s_barrier_wait -1
	global_inv scope:SCOPE_SE
	scratch_load_b128 v[1:4], off, s30
	s_mov_b32 s0, exec_lo
	s_wait_loadcnt 0x0
	ds_store_b128 v5, v[1:4]
	s_wait_dscnt 0x0
	s_barrier_signal -1
	s_barrier_wait -1
	global_inv scope:SCOPE_SE
	v_cmpx_gt_u32_e32 4, v0
	s_cbranch_execz .LBB35_31
; %bb.28:
	v_dual_mov_b32 v1, 0 :: v_dual_add_nc_u32 v8, 0x240, v13
	v_mov_b32_e32 v3, 0
	v_dual_mov_b32 v2, 0 :: v_dual_add_nc_u32 v7, -1, v0
	v_mov_b32_e32 v4, 0
	v_or_b32_e32 v9, 8, v14
	s_mov_b32 s1, 0
.LBB35_29:                              ; =>This Inner Loop Header: Depth=1
	scratch_load_b128 v[15:18], v9, off offset:-8
	ds_load_b128 v[19:22], v8
	v_add_nc_u32_e32 v7, 1, v7
	v_add_nc_u32_e32 v8, 16, v8
	v_add_nc_u32_e32 v9, 16, v9
	s_delay_alu instid0(VALU_DEP_3)
	v_cmp_lt_u32_e32 vcc_lo, 2, v7
	s_wait_alu 0xfffe
	s_or_b32 s1, vcc_lo, s1
	s_wait_loadcnt_dscnt 0x0
	v_mul_f64_e32 v[10:11], v[21:22], v[17:18]
	v_mul_f64_e32 v[17:18], v[19:20], v[17:18]
	s_delay_alu instid0(VALU_DEP_2) | instskip(NEXT) | instid1(VALU_DEP_2)
	v_fma_f64 v[10:11], v[19:20], v[15:16], -v[10:11]
	v_fma_f64 v[15:16], v[21:22], v[15:16], v[17:18]
	s_delay_alu instid0(VALU_DEP_2) | instskip(NEXT) | instid1(VALU_DEP_2)
	v_add_f64_e32 v[3:4], v[3:4], v[10:11]
	v_add_f64_e32 v[1:2], v[1:2], v[15:16]
	s_wait_alu 0xfffe
	s_and_not1_b32 exec_lo, exec_lo, s1
	s_cbranch_execnz .LBB35_29
; %bb.30:
	s_or_b32 exec_lo, exec_lo, s1
	v_mov_b32_e32 v7, 0
	ds_load_b128 v[7:10], v7 offset:64
	s_wait_dscnt 0x0
	v_mul_f64_e32 v[11:12], v[1:2], v[9:10]
	v_mul_f64_e32 v[15:16], v[3:4], v[9:10]
	s_delay_alu instid0(VALU_DEP_2) | instskip(NEXT) | instid1(VALU_DEP_2)
	v_fma_f64 v[9:10], v[3:4], v[7:8], -v[11:12]
	v_fma_f64 v[11:12], v[1:2], v[7:8], v[15:16]
	scratch_store_b128 off, v[9:12], off offset:80
.LBB35_31:
	s_wait_alu 0xfffe
	s_or_b32 exec_lo, exec_lo, s0
	s_wait_loadcnt 0x0
	s_wait_storecnt 0x0
	s_barrier_signal -1
	s_barrier_wait -1
	global_inv scope:SCOPE_SE
	scratch_load_b128 v[1:4], off, s44
	;; [unrolled: 58-line block ×19, first 2 shown]
	s_mov_b32 s0, exec_lo
	s_wait_loadcnt 0x0
	ds_store_b128 v5, v[1:4]
	s_wait_dscnt 0x0
	s_barrier_signal -1
	s_barrier_wait -1
	global_inv scope:SCOPE_SE
	v_cmpx_gt_u32_e32 22, v0
	s_cbranch_execz .LBB35_103
; %bb.100:
	v_dual_mov_b32 v1, 0 :: v_dual_add_nc_u32 v8, 0x240, v13
	v_mov_b32_e32 v3, 0
	v_dual_mov_b32 v2, 0 :: v_dual_add_nc_u32 v7, -1, v0
	v_mov_b32_e32 v4, 0
	v_or_b32_e32 v9, 8, v14
	s_mov_b32 s1, 0
.LBB35_101:                             ; =>This Inner Loop Header: Depth=1
	scratch_load_b128 v[15:18], v9, off offset:-8
	ds_load_b128 v[19:22], v8
	v_add_nc_u32_e32 v7, 1, v7
	v_add_nc_u32_e32 v8, 16, v8
	v_add_nc_u32_e32 v9, 16, v9
	s_delay_alu instid0(VALU_DEP_3)
	v_cmp_lt_u32_e32 vcc_lo, 20, v7
	s_wait_alu 0xfffe
	s_or_b32 s1, vcc_lo, s1
	s_wait_loadcnt_dscnt 0x0
	v_mul_f64_e32 v[10:11], v[21:22], v[17:18]
	v_mul_f64_e32 v[17:18], v[19:20], v[17:18]
	s_delay_alu instid0(VALU_DEP_2) | instskip(NEXT) | instid1(VALU_DEP_2)
	v_fma_f64 v[10:11], v[19:20], v[15:16], -v[10:11]
	v_fma_f64 v[15:16], v[21:22], v[15:16], v[17:18]
	s_delay_alu instid0(VALU_DEP_2) | instskip(NEXT) | instid1(VALU_DEP_2)
	v_add_f64_e32 v[3:4], v[3:4], v[10:11]
	v_add_f64_e32 v[1:2], v[1:2], v[15:16]
	s_wait_alu 0xfffe
	s_and_not1_b32 exec_lo, exec_lo, s1
	s_cbranch_execnz .LBB35_101
; %bb.102:
	s_or_b32 exec_lo, exec_lo, s1
	v_mov_b32_e32 v7, 0
	ds_load_b128 v[7:10], v7 offset:352
	s_wait_dscnt 0x0
	v_mul_f64_e32 v[11:12], v[1:2], v[9:10]
	v_mul_f64_e32 v[15:16], v[3:4], v[9:10]
	s_delay_alu instid0(VALU_DEP_2) | instskip(NEXT) | instid1(VALU_DEP_2)
	v_fma_f64 v[9:10], v[3:4], v[7:8], -v[11:12]
	v_fma_f64 v[11:12], v[1:2], v[7:8], v[15:16]
	scratch_store_b128 off, v[9:12], off offset:368
.LBB35_103:
	s_wait_alu 0xfffe
	s_or_b32 exec_lo, exec_lo, s0
	s_wait_loadcnt 0x0
	s_wait_storecnt 0x0
	s_barrier_signal -1
	s_barrier_wait -1
	global_inv scope:SCOPE_SE
	scratch_load_b128 v[1:4], off, s9
	s_mov_b32 s0, exec_lo
	s_wait_loadcnt 0x0
	ds_store_b128 v5, v[1:4]
	s_wait_dscnt 0x0
	s_barrier_signal -1
	s_barrier_wait -1
	global_inv scope:SCOPE_SE
	v_cmpx_gt_u32_e32 23, v0
	s_cbranch_execz .LBB35_107
; %bb.104:
	v_dual_mov_b32 v1, 0 :: v_dual_add_nc_u32 v8, 0x240, v13
	v_mov_b32_e32 v3, 0
	v_dual_mov_b32 v2, 0 :: v_dual_add_nc_u32 v7, -1, v0
	v_mov_b32_e32 v4, 0
	v_or_b32_e32 v9, 8, v14
	s_mov_b32 s1, 0
.LBB35_105:                             ; =>This Inner Loop Header: Depth=1
	scratch_load_b128 v[15:18], v9, off offset:-8
	ds_load_b128 v[19:22], v8
	v_add_nc_u32_e32 v7, 1, v7
	v_add_nc_u32_e32 v8, 16, v8
	v_add_nc_u32_e32 v9, 16, v9
	s_delay_alu instid0(VALU_DEP_3)
	v_cmp_lt_u32_e32 vcc_lo, 21, v7
	s_wait_alu 0xfffe
	s_or_b32 s1, vcc_lo, s1
	s_wait_loadcnt_dscnt 0x0
	v_mul_f64_e32 v[10:11], v[21:22], v[17:18]
	v_mul_f64_e32 v[17:18], v[19:20], v[17:18]
	s_delay_alu instid0(VALU_DEP_2) | instskip(NEXT) | instid1(VALU_DEP_2)
	v_fma_f64 v[10:11], v[19:20], v[15:16], -v[10:11]
	v_fma_f64 v[15:16], v[21:22], v[15:16], v[17:18]
	s_delay_alu instid0(VALU_DEP_2) | instskip(NEXT) | instid1(VALU_DEP_2)
	v_add_f64_e32 v[3:4], v[3:4], v[10:11]
	v_add_f64_e32 v[1:2], v[1:2], v[15:16]
	s_wait_alu 0xfffe
	s_and_not1_b32 exec_lo, exec_lo, s1
	s_cbranch_execnz .LBB35_105
; %bb.106:
	s_or_b32 exec_lo, exec_lo, s1
	v_mov_b32_e32 v7, 0
	ds_load_b128 v[7:10], v7 offset:368
	s_wait_dscnt 0x0
	v_mul_f64_e32 v[11:12], v[1:2], v[9:10]
	v_mul_f64_e32 v[15:16], v[3:4], v[9:10]
	s_delay_alu instid0(VALU_DEP_2) | instskip(NEXT) | instid1(VALU_DEP_2)
	v_fma_f64 v[9:10], v[3:4], v[7:8], -v[11:12]
	v_fma_f64 v[11:12], v[1:2], v[7:8], v[15:16]
	scratch_store_b128 off, v[9:12], off offset:384
.LBB35_107:
	s_wait_alu 0xfffe
	s_or_b32 exec_lo, exec_lo, s0
	s_wait_loadcnt 0x0
	s_wait_storecnt 0x0
	s_barrier_signal -1
	s_barrier_wait -1
	global_inv scope:SCOPE_SE
	scratch_load_b128 v[1:4], off, s10
	;; [unrolled: 58-line block ×13, first 2 shown]
	s_mov_b32 s0, exec_lo
	s_wait_loadcnt 0x0
	ds_store_b128 v5, v[1:4]
	s_wait_dscnt 0x0
	s_barrier_signal -1
	s_barrier_wait -1
	global_inv scope:SCOPE_SE
	v_cmpx_ne_u32_e32 35, v0
	s_cbranch_execz .LBB35_155
; %bb.152:
	v_mov_b32_e32 v1, 0
	v_dual_mov_b32 v2, 0 :: v_dual_mov_b32 v3, 0
	v_mov_b32_e32 v4, 0
	v_or_b32_e32 v7, 8, v14
	s_mov_b32 s1, 0
.LBB35_153:                             ; =>This Inner Loop Header: Depth=1
	scratch_load_b128 v[8:11], v7, off offset:-8
	ds_load_b128 v[12:15], v5
	v_add_nc_u32_e32 v6, 1, v6
	v_add_nc_u32_e32 v5, 16, v5
	;; [unrolled: 1-line block ×3, first 2 shown]
	s_delay_alu instid0(VALU_DEP_3)
	v_cmp_lt_u32_e32 vcc_lo, 33, v6
	s_wait_alu 0xfffe
	s_or_b32 s1, vcc_lo, s1
	s_wait_loadcnt_dscnt 0x0
	v_mul_f64_e32 v[16:17], v[14:15], v[10:11]
	v_mul_f64_e32 v[10:11], v[12:13], v[10:11]
	s_delay_alu instid0(VALU_DEP_2) | instskip(NEXT) | instid1(VALU_DEP_2)
	v_fma_f64 v[12:13], v[12:13], v[8:9], -v[16:17]
	v_fma_f64 v[8:9], v[14:15], v[8:9], v[10:11]
	s_delay_alu instid0(VALU_DEP_2) | instskip(NEXT) | instid1(VALU_DEP_2)
	v_add_f64_e32 v[3:4], v[3:4], v[12:13]
	v_add_f64_e32 v[1:2], v[1:2], v[8:9]
	s_wait_alu 0xfffe
	s_and_not1_b32 exec_lo, exec_lo, s1
	s_cbranch_execnz .LBB35_153
; %bb.154:
	s_or_b32 exec_lo, exec_lo, s1
	v_mov_b32_e32 v5, 0
	ds_load_b128 v[5:8], v5 offset:560
	s_wait_dscnt 0x0
	v_mul_f64_e32 v[9:10], v[1:2], v[7:8]
	v_mul_f64_e32 v[7:8], v[3:4], v[7:8]
	s_delay_alu instid0(VALU_DEP_2) | instskip(NEXT) | instid1(VALU_DEP_2)
	v_fma_f64 v[3:4], v[3:4], v[5:6], -v[9:10]
	v_fma_f64 v[5:6], v[1:2], v[5:6], v[7:8]
	scratch_store_b128 off, v[3:6], off offset:576
.LBB35_155:
	s_wait_alu 0xfffe
	s_or_b32 exec_lo, exec_lo, s0
	s_mov_b32 s1, -1
	s_wait_loadcnt 0x0
	s_wait_storecnt 0x0
	s_barrier_signal -1
	s_barrier_wait -1
	global_inv scope:SCOPE_SE
.LBB35_156:
	s_wait_alu 0xfffe
	s_and_b32 vcc_lo, exec_lo, s1
	s_wait_alu 0xfffe
	s_cbranch_vccz .LBB35_158
; %bb.157:
	v_mov_b32_e32 v1, 0
	s_lshl_b64 s[0:1], s[16:17], 2
	s_wait_alu 0xfffe
	s_add_nc_u64 s[0:1], s[6:7], s[0:1]
	global_load_b32 v1, v1, s[0:1]
	s_wait_loadcnt 0x0
	v_cmp_ne_u32_e32 vcc_lo, 0, v1
	s_cbranch_vccz .LBB35_159
.LBB35_158:
	s_nop 0
	s_sendmsg sendmsg(MSG_DEALLOC_VGPRS)
	s_endpgm
.LBB35_159:
	v_lshl_add_u32 v110, v0, 4, 0x240
	s_mov_b32 s0, exec_lo
	v_cmpx_eq_u32_e32 35, v0
	s_cbranch_execz .LBB35_161
; %bb.160:
	scratch_load_b128 v[1:4], off, s28
	v_mov_b32_e32 v5, 0
	s_delay_alu instid0(VALU_DEP_1)
	v_dual_mov_b32 v6, v5 :: v_dual_mov_b32 v7, v5
	v_mov_b32_e32 v8, v5
	scratch_store_b128 off, v[5:8], off offset:560
	s_wait_loadcnt 0x0
	ds_store_b128 v110, v[1:4]
.LBB35_161:
	s_wait_alu 0xfffe
	s_or_b32 exec_lo, exec_lo, s0
	s_wait_storecnt_dscnt 0x0
	s_barrier_signal -1
	s_barrier_wait -1
	global_inv scope:SCOPE_SE
	s_clause 0x1
	scratch_load_b128 v[2:5], off, off offset:576
	scratch_load_b128 v[6:9], off, off offset:560
	v_mov_b32_e32 v1, 0
	s_mov_b32 s0, exec_lo
	ds_load_b128 v[10:13], v1 offset:1136
	s_wait_loadcnt_dscnt 0x100
	v_mul_f64_e32 v[14:15], v[12:13], v[4:5]
	v_mul_f64_e32 v[4:5], v[10:11], v[4:5]
	s_delay_alu instid0(VALU_DEP_2) | instskip(NEXT) | instid1(VALU_DEP_2)
	v_fma_f64 v[10:11], v[10:11], v[2:3], -v[14:15]
	v_fma_f64 v[2:3], v[12:13], v[2:3], v[4:5]
	s_delay_alu instid0(VALU_DEP_2) | instskip(NEXT) | instid1(VALU_DEP_2)
	v_add_f64_e32 v[4:5], 0, v[10:11]
	v_add_f64_e32 v[10:11], 0, v[2:3]
	s_wait_loadcnt 0x0
	s_delay_alu instid0(VALU_DEP_2) | instskip(NEXT) | instid1(VALU_DEP_2)
	v_add_f64_e64 v[2:3], v[6:7], -v[4:5]
	v_add_f64_e64 v[4:5], v[8:9], -v[10:11]
	scratch_store_b128 off, v[2:5], off offset:560
	v_cmpx_lt_u32_e32 33, v0
	s_cbranch_execz .LBB35_163
; %bb.162:
	scratch_load_b128 v[5:8], off, s25
	v_dual_mov_b32 v2, v1 :: v_dual_mov_b32 v3, v1
	v_mov_b32_e32 v4, v1
	scratch_store_b128 off, v[1:4], off offset:544
	s_wait_loadcnt 0x0
	ds_store_b128 v110, v[5:8]
.LBB35_163:
	s_wait_alu 0xfffe
	s_or_b32 exec_lo, exec_lo, s0
	s_wait_storecnt_dscnt 0x0
	s_barrier_signal -1
	s_barrier_wait -1
	global_inv scope:SCOPE_SE
	s_clause 0x2
	scratch_load_b128 v[2:5], off, off offset:560
	scratch_load_b128 v[6:9], off, off offset:576
	;; [unrolled: 1-line block ×3, first 2 shown]
	ds_load_b128 v[14:17], v1 offset:1120
	ds_load_b128 v[18:21], v1 offset:1136
	s_mov_b32 s0, exec_lo
	s_wait_loadcnt_dscnt 0x201
	v_mul_f64_e32 v[22:23], v[16:17], v[4:5]
	v_mul_f64_e32 v[4:5], v[14:15], v[4:5]
	s_wait_loadcnt_dscnt 0x100
	v_mul_f64_e32 v[24:25], v[18:19], v[8:9]
	v_mul_f64_e32 v[8:9], v[20:21], v[8:9]
	s_delay_alu instid0(VALU_DEP_4) | instskip(NEXT) | instid1(VALU_DEP_4)
	v_fma_f64 v[14:15], v[14:15], v[2:3], -v[22:23]
	v_fma_f64 v[1:2], v[16:17], v[2:3], v[4:5]
	s_delay_alu instid0(VALU_DEP_4) | instskip(NEXT) | instid1(VALU_DEP_4)
	v_fma_f64 v[3:4], v[20:21], v[6:7], v[24:25]
	v_fma_f64 v[5:6], v[18:19], v[6:7], -v[8:9]
	s_delay_alu instid0(VALU_DEP_4) | instskip(NEXT) | instid1(VALU_DEP_4)
	v_add_f64_e32 v[7:8], 0, v[14:15]
	v_add_f64_e32 v[1:2], 0, v[1:2]
	s_delay_alu instid0(VALU_DEP_2) | instskip(NEXT) | instid1(VALU_DEP_2)
	v_add_f64_e32 v[5:6], v[7:8], v[5:6]
	v_add_f64_e32 v[3:4], v[1:2], v[3:4]
	s_wait_loadcnt 0x0
	s_delay_alu instid0(VALU_DEP_2) | instskip(NEXT) | instid1(VALU_DEP_2)
	v_add_f64_e64 v[1:2], v[10:11], -v[5:6]
	v_add_f64_e64 v[3:4], v[12:13], -v[3:4]
	scratch_store_b128 off, v[1:4], off offset:544
	v_cmpx_lt_u32_e32 32, v0
	s_cbranch_execz .LBB35_165
; %bb.164:
	scratch_load_b128 v[1:4], off, s27
	v_mov_b32_e32 v5, 0
	s_delay_alu instid0(VALU_DEP_1)
	v_dual_mov_b32 v6, v5 :: v_dual_mov_b32 v7, v5
	v_mov_b32_e32 v8, v5
	scratch_store_b128 off, v[5:8], off offset:528
	s_wait_loadcnt 0x0
	ds_store_b128 v110, v[1:4]
.LBB35_165:
	s_wait_alu 0xfffe
	s_or_b32 exec_lo, exec_lo, s0
	s_wait_storecnt_dscnt 0x0
	s_barrier_signal -1
	s_barrier_wait -1
	global_inv scope:SCOPE_SE
	s_clause 0x3
	scratch_load_b128 v[2:5], off, off offset:544
	scratch_load_b128 v[6:9], off, off offset:560
	scratch_load_b128 v[10:13], off, off offset:576
	scratch_load_b128 v[14:17], off, off offset:528
	v_mov_b32_e32 v1, 0
	ds_load_b128 v[18:21], v1 offset:1104
	ds_load_b128 v[22:25], v1 offset:1120
	s_mov_b32 s0, exec_lo
	s_wait_loadcnt_dscnt 0x301
	v_mul_f64_e32 v[26:27], v[20:21], v[4:5]
	v_mul_f64_e32 v[4:5], v[18:19], v[4:5]
	s_wait_loadcnt_dscnt 0x200
	v_mul_f64_e32 v[28:29], v[22:23], v[8:9]
	v_mul_f64_e32 v[8:9], v[24:25], v[8:9]
	s_delay_alu instid0(VALU_DEP_4) | instskip(NEXT) | instid1(VALU_DEP_4)
	v_fma_f64 v[18:19], v[18:19], v[2:3], -v[26:27]
	v_fma_f64 v[20:21], v[20:21], v[2:3], v[4:5]
	ds_load_b128 v[2:5], v1 offset:1136
	v_fma_f64 v[24:25], v[24:25], v[6:7], v[28:29]
	v_fma_f64 v[6:7], v[22:23], v[6:7], -v[8:9]
	s_wait_loadcnt_dscnt 0x100
	v_mul_f64_e32 v[26:27], v[2:3], v[12:13]
	v_mul_f64_e32 v[12:13], v[4:5], v[12:13]
	v_add_f64_e32 v[8:9], 0, v[18:19]
	v_add_f64_e32 v[18:19], 0, v[20:21]
	s_delay_alu instid0(VALU_DEP_4) | instskip(NEXT) | instid1(VALU_DEP_4)
	v_fma_f64 v[4:5], v[4:5], v[10:11], v[26:27]
	v_fma_f64 v[2:3], v[2:3], v[10:11], -v[12:13]
	s_delay_alu instid0(VALU_DEP_4) | instskip(NEXT) | instid1(VALU_DEP_4)
	v_add_f64_e32 v[6:7], v[8:9], v[6:7]
	v_add_f64_e32 v[8:9], v[18:19], v[24:25]
	s_delay_alu instid0(VALU_DEP_2) | instskip(NEXT) | instid1(VALU_DEP_2)
	v_add_f64_e32 v[2:3], v[6:7], v[2:3]
	v_add_f64_e32 v[4:5], v[8:9], v[4:5]
	s_wait_loadcnt 0x0
	s_delay_alu instid0(VALU_DEP_2) | instskip(NEXT) | instid1(VALU_DEP_2)
	v_add_f64_e64 v[2:3], v[14:15], -v[2:3]
	v_add_f64_e64 v[4:5], v[16:17], -v[4:5]
	scratch_store_b128 off, v[2:5], off offset:528
	v_cmpx_lt_u32_e32 31, v0
	s_cbranch_execz .LBB35_167
; %bb.166:
	scratch_load_b128 v[5:8], off, s23
	v_dual_mov_b32 v2, v1 :: v_dual_mov_b32 v3, v1
	v_mov_b32_e32 v4, v1
	scratch_store_b128 off, v[1:4], off offset:512
	s_wait_loadcnt 0x0
	ds_store_b128 v110, v[5:8]
.LBB35_167:
	s_wait_alu 0xfffe
	s_or_b32 exec_lo, exec_lo, s0
	s_wait_storecnt_dscnt 0x0
	s_barrier_signal -1
	s_barrier_wait -1
	global_inv scope:SCOPE_SE
	s_clause 0x4
	scratch_load_b128 v[2:5], off, off offset:528
	scratch_load_b128 v[6:9], off, off offset:544
	;; [unrolled: 1-line block ×5, first 2 shown]
	ds_load_b128 v[22:25], v1 offset:1088
	ds_load_b128 v[26:29], v1 offset:1104
	s_mov_b32 s0, exec_lo
	s_wait_loadcnt_dscnt 0x401
	v_mul_f64_e32 v[30:31], v[24:25], v[4:5]
	v_mul_f64_e32 v[4:5], v[22:23], v[4:5]
	s_wait_loadcnt_dscnt 0x300
	v_mul_f64_e32 v[32:33], v[26:27], v[8:9]
	v_mul_f64_e32 v[8:9], v[28:29], v[8:9]
	s_delay_alu instid0(VALU_DEP_4) | instskip(NEXT) | instid1(VALU_DEP_4)
	v_fma_f64 v[30:31], v[22:23], v[2:3], -v[30:31]
	v_fma_f64 v[34:35], v[24:25], v[2:3], v[4:5]
	ds_load_b128 v[2:5], v1 offset:1120
	ds_load_b128 v[22:25], v1 offset:1136
	v_fma_f64 v[28:29], v[28:29], v[6:7], v[32:33]
	v_fma_f64 v[6:7], v[26:27], v[6:7], -v[8:9]
	s_wait_loadcnt_dscnt 0x201
	v_mul_f64_e32 v[36:37], v[2:3], v[12:13]
	v_mul_f64_e32 v[12:13], v[4:5], v[12:13]
	v_add_f64_e32 v[8:9], 0, v[30:31]
	v_add_f64_e32 v[26:27], 0, v[34:35]
	s_wait_loadcnt_dscnt 0x100
	v_mul_f64_e32 v[30:31], v[22:23], v[16:17]
	v_mul_f64_e32 v[16:17], v[24:25], v[16:17]
	v_fma_f64 v[4:5], v[4:5], v[10:11], v[36:37]
	v_fma_f64 v[1:2], v[2:3], v[10:11], -v[12:13]
	v_add_f64_e32 v[6:7], v[8:9], v[6:7]
	v_add_f64_e32 v[8:9], v[26:27], v[28:29]
	v_fma_f64 v[10:11], v[24:25], v[14:15], v[30:31]
	v_fma_f64 v[12:13], v[22:23], v[14:15], -v[16:17]
	s_delay_alu instid0(VALU_DEP_4) | instskip(NEXT) | instid1(VALU_DEP_4)
	v_add_f64_e32 v[1:2], v[6:7], v[1:2]
	v_add_f64_e32 v[3:4], v[8:9], v[4:5]
	s_delay_alu instid0(VALU_DEP_2) | instskip(NEXT) | instid1(VALU_DEP_2)
	v_add_f64_e32 v[1:2], v[1:2], v[12:13]
	v_add_f64_e32 v[3:4], v[3:4], v[10:11]
	s_wait_loadcnt 0x0
	s_delay_alu instid0(VALU_DEP_2) | instskip(NEXT) | instid1(VALU_DEP_2)
	v_add_f64_e64 v[1:2], v[18:19], -v[1:2]
	v_add_f64_e64 v[3:4], v[20:21], -v[3:4]
	scratch_store_b128 off, v[1:4], off offset:512
	v_cmpx_lt_u32_e32 30, v0
	s_cbranch_execz .LBB35_169
; %bb.168:
	scratch_load_b128 v[1:4], off, s26
	v_mov_b32_e32 v5, 0
	s_delay_alu instid0(VALU_DEP_1)
	v_dual_mov_b32 v6, v5 :: v_dual_mov_b32 v7, v5
	v_mov_b32_e32 v8, v5
	scratch_store_b128 off, v[5:8], off offset:496
	s_wait_loadcnt 0x0
	ds_store_b128 v110, v[1:4]
.LBB35_169:
	s_wait_alu 0xfffe
	s_or_b32 exec_lo, exec_lo, s0
	s_wait_storecnt_dscnt 0x0
	s_barrier_signal -1
	s_barrier_wait -1
	global_inv scope:SCOPE_SE
	s_clause 0x5
	scratch_load_b128 v[2:5], off, off offset:512
	scratch_load_b128 v[6:9], off, off offset:528
	scratch_load_b128 v[10:13], off, off offset:544
	scratch_load_b128 v[14:17], off, off offset:560
	scratch_load_b128 v[18:21], off, off offset:576
	scratch_load_b128 v[22:25], off, off offset:496
	v_mov_b32_e32 v1, 0
	ds_load_b128 v[26:29], v1 offset:1072
	ds_load_b128 v[30:33], v1 offset:1088
	s_mov_b32 s0, exec_lo
	s_wait_loadcnt_dscnt 0x501
	v_mul_f64_e32 v[34:35], v[28:29], v[4:5]
	v_mul_f64_e32 v[4:5], v[26:27], v[4:5]
	s_wait_loadcnt_dscnt 0x400
	v_mul_f64_e32 v[36:37], v[30:31], v[8:9]
	v_mul_f64_e32 v[8:9], v[32:33], v[8:9]
	s_delay_alu instid0(VALU_DEP_4) | instskip(NEXT) | instid1(VALU_DEP_4)
	v_fma_f64 v[34:35], v[26:27], v[2:3], -v[34:35]
	v_fma_f64 v[111:112], v[28:29], v[2:3], v[4:5]
	ds_load_b128 v[2:5], v1 offset:1104
	ds_load_b128 v[26:29], v1 offset:1120
	v_fma_f64 v[32:33], v[32:33], v[6:7], v[36:37]
	v_fma_f64 v[6:7], v[30:31], v[6:7], -v[8:9]
	s_wait_loadcnt_dscnt 0x301
	v_mul_f64_e32 v[113:114], v[2:3], v[12:13]
	v_mul_f64_e32 v[12:13], v[4:5], v[12:13]
	v_add_f64_e32 v[8:9], 0, v[34:35]
	v_add_f64_e32 v[30:31], 0, v[111:112]
	s_wait_loadcnt_dscnt 0x200
	v_mul_f64_e32 v[34:35], v[26:27], v[16:17]
	v_mul_f64_e32 v[16:17], v[28:29], v[16:17]
	v_fma_f64 v[36:37], v[4:5], v[10:11], v[113:114]
	v_fma_f64 v[10:11], v[2:3], v[10:11], -v[12:13]
	ds_load_b128 v[2:5], v1 offset:1136
	v_add_f64_e32 v[6:7], v[8:9], v[6:7]
	v_add_f64_e32 v[8:9], v[30:31], v[32:33]
	v_fma_f64 v[28:29], v[28:29], v[14:15], v[34:35]
	v_fma_f64 v[14:15], v[26:27], v[14:15], -v[16:17]
	s_wait_loadcnt_dscnt 0x100
	v_mul_f64_e32 v[12:13], v[2:3], v[20:21]
	v_mul_f64_e32 v[20:21], v[4:5], v[20:21]
	v_add_f64_e32 v[6:7], v[6:7], v[10:11]
	v_add_f64_e32 v[8:9], v[8:9], v[36:37]
	s_delay_alu instid0(VALU_DEP_4) | instskip(NEXT) | instid1(VALU_DEP_4)
	v_fma_f64 v[4:5], v[4:5], v[18:19], v[12:13]
	v_fma_f64 v[2:3], v[2:3], v[18:19], -v[20:21]
	s_delay_alu instid0(VALU_DEP_4) | instskip(NEXT) | instid1(VALU_DEP_4)
	v_add_f64_e32 v[6:7], v[6:7], v[14:15]
	v_add_f64_e32 v[8:9], v[8:9], v[28:29]
	s_delay_alu instid0(VALU_DEP_2) | instskip(NEXT) | instid1(VALU_DEP_2)
	v_add_f64_e32 v[2:3], v[6:7], v[2:3]
	v_add_f64_e32 v[4:5], v[8:9], v[4:5]
	s_wait_loadcnt 0x0
	s_delay_alu instid0(VALU_DEP_2) | instskip(NEXT) | instid1(VALU_DEP_2)
	v_add_f64_e64 v[2:3], v[22:23], -v[2:3]
	v_add_f64_e64 v[4:5], v[24:25], -v[4:5]
	scratch_store_b128 off, v[2:5], off offset:496
	v_cmpx_lt_u32_e32 29, v0
	s_cbranch_execz .LBB35_171
; %bb.170:
	scratch_load_b128 v[5:8], off, s22
	v_dual_mov_b32 v2, v1 :: v_dual_mov_b32 v3, v1
	v_mov_b32_e32 v4, v1
	scratch_store_b128 off, v[1:4], off offset:480
	s_wait_loadcnt 0x0
	ds_store_b128 v110, v[5:8]
.LBB35_171:
	s_wait_alu 0xfffe
	s_or_b32 exec_lo, exec_lo, s0
	s_wait_storecnt_dscnt 0x0
	s_barrier_signal -1
	s_barrier_wait -1
	global_inv scope:SCOPE_SE
	s_clause 0x5
	scratch_load_b128 v[2:5], off, off offset:496
	scratch_load_b128 v[6:9], off, off offset:512
	;; [unrolled: 1-line block ×6, first 2 shown]
	ds_load_b128 v[26:29], v1 offset:1056
	ds_load_b128 v[34:37], v1 offset:1072
	scratch_load_b128 v[30:33], off, off offset:480
	s_mov_b32 s0, exec_lo
	s_wait_loadcnt_dscnt 0x601
	v_mul_f64_e32 v[111:112], v[28:29], v[4:5]
	v_mul_f64_e32 v[4:5], v[26:27], v[4:5]
	s_wait_loadcnt_dscnt 0x500
	v_mul_f64_e32 v[113:114], v[34:35], v[8:9]
	v_mul_f64_e32 v[8:9], v[36:37], v[8:9]
	s_delay_alu instid0(VALU_DEP_4) | instskip(NEXT) | instid1(VALU_DEP_4)
	v_fma_f64 v[111:112], v[26:27], v[2:3], -v[111:112]
	v_fma_f64 v[115:116], v[28:29], v[2:3], v[4:5]
	ds_load_b128 v[2:5], v1 offset:1088
	ds_load_b128 v[26:29], v1 offset:1104
	v_fma_f64 v[36:37], v[36:37], v[6:7], v[113:114]
	v_fma_f64 v[6:7], v[34:35], v[6:7], -v[8:9]
	s_wait_loadcnt_dscnt 0x401
	v_mul_f64_e32 v[117:118], v[2:3], v[12:13]
	v_mul_f64_e32 v[12:13], v[4:5], v[12:13]
	v_add_f64_e32 v[8:9], 0, v[111:112]
	v_add_f64_e32 v[34:35], 0, v[115:116]
	s_wait_loadcnt_dscnt 0x300
	v_mul_f64_e32 v[111:112], v[26:27], v[16:17]
	v_mul_f64_e32 v[16:17], v[28:29], v[16:17]
	v_fma_f64 v[113:114], v[4:5], v[10:11], v[117:118]
	v_fma_f64 v[10:11], v[2:3], v[10:11], -v[12:13]
	v_add_f64_e32 v[12:13], v[8:9], v[6:7]
	v_add_f64_e32 v[34:35], v[34:35], v[36:37]
	ds_load_b128 v[2:5], v1 offset:1120
	ds_load_b128 v[6:9], v1 offset:1136
	v_fma_f64 v[28:29], v[28:29], v[14:15], v[111:112]
	v_fma_f64 v[14:15], v[26:27], v[14:15], -v[16:17]
	s_wait_loadcnt_dscnt 0x201
	v_mul_f64_e32 v[36:37], v[2:3], v[20:21]
	v_mul_f64_e32 v[20:21], v[4:5], v[20:21]
	s_wait_loadcnt_dscnt 0x100
	v_mul_f64_e32 v[16:17], v[6:7], v[24:25]
	v_mul_f64_e32 v[24:25], v[8:9], v[24:25]
	v_add_f64_e32 v[10:11], v[12:13], v[10:11]
	v_add_f64_e32 v[12:13], v[34:35], v[113:114]
	v_fma_f64 v[4:5], v[4:5], v[18:19], v[36:37]
	v_fma_f64 v[1:2], v[2:3], v[18:19], -v[20:21]
	v_fma_f64 v[8:9], v[8:9], v[22:23], v[16:17]
	v_fma_f64 v[6:7], v[6:7], v[22:23], -v[24:25]
	v_add_f64_e32 v[10:11], v[10:11], v[14:15]
	v_add_f64_e32 v[12:13], v[12:13], v[28:29]
	s_delay_alu instid0(VALU_DEP_2) | instskip(NEXT) | instid1(VALU_DEP_2)
	v_add_f64_e32 v[1:2], v[10:11], v[1:2]
	v_add_f64_e32 v[3:4], v[12:13], v[4:5]
	s_delay_alu instid0(VALU_DEP_2) | instskip(NEXT) | instid1(VALU_DEP_2)
	v_add_f64_e32 v[1:2], v[1:2], v[6:7]
	v_add_f64_e32 v[3:4], v[3:4], v[8:9]
	s_wait_loadcnt 0x0
	s_delay_alu instid0(VALU_DEP_2) | instskip(NEXT) | instid1(VALU_DEP_2)
	v_add_f64_e64 v[1:2], v[30:31], -v[1:2]
	v_add_f64_e64 v[3:4], v[32:33], -v[3:4]
	scratch_store_b128 off, v[1:4], off offset:480
	v_cmpx_lt_u32_e32 28, v0
	s_cbranch_execz .LBB35_173
; %bb.172:
	scratch_load_b128 v[1:4], off, s24
	v_mov_b32_e32 v5, 0
	s_delay_alu instid0(VALU_DEP_1)
	v_dual_mov_b32 v6, v5 :: v_dual_mov_b32 v7, v5
	v_mov_b32_e32 v8, v5
	scratch_store_b128 off, v[5:8], off offset:464
	s_wait_loadcnt 0x0
	ds_store_b128 v110, v[1:4]
.LBB35_173:
	s_wait_alu 0xfffe
	s_or_b32 exec_lo, exec_lo, s0
	s_wait_storecnt_dscnt 0x0
	s_barrier_signal -1
	s_barrier_wait -1
	global_inv scope:SCOPE_SE
	s_clause 0x6
	scratch_load_b128 v[2:5], off, off offset:480
	scratch_load_b128 v[6:9], off, off offset:496
	;; [unrolled: 1-line block ×7, first 2 shown]
	v_mov_b32_e32 v1, 0
	scratch_load_b128 v[34:37], off, off offset:464
	s_mov_b32 s0, exec_lo
	ds_load_b128 v[30:33], v1 offset:1040
	ds_load_b128 v[111:114], v1 offset:1056
	s_wait_loadcnt_dscnt 0x701
	v_mul_f64_e32 v[115:116], v[32:33], v[4:5]
	v_mul_f64_e32 v[4:5], v[30:31], v[4:5]
	s_wait_loadcnt_dscnt 0x600
	v_mul_f64_e32 v[117:118], v[111:112], v[8:9]
	v_mul_f64_e32 v[8:9], v[113:114], v[8:9]
	s_delay_alu instid0(VALU_DEP_4) | instskip(NEXT) | instid1(VALU_DEP_4)
	v_fma_f64 v[115:116], v[30:31], v[2:3], -v[115:116]
	v_fma_f64 v[119:120], v[32:33], v[2:3], v[4:5]
	ds_load_b128 v[2:5], v1 offset:1072
	ds_load_b128 v[30:33], v1 offset:1088
	v_fma_f64 v[113:114], v[113:114], v[6:7], v[117:118]
	v_fma_f64 v[6:7], v[111:112], v[6:7], -v[8:9]
	s_wait_loadcnt_dscnt 0x501
	v_mul_f64_e32 v[121:122], v[2:3], v[12:13]
	v_mul_f64_e32 v[12:13], v[4:5], v[12:13]
	v_add_f64_e32 v[8:9], 0, v[115:116]
	v_add_f64_e32 v[111:112], 0, v[119:120]
	s_wait_loadcnt_dscnt 0x400
	v_mul_f64_e32 v[115:116], v[30:31], v[16:17]
	v_mul_f64_e32 v[16:17], v[32:33], v[16:17]
	v_fma_f64 v[117:118], v[4:5], v[10:11], v[121:122]
	v_fma_f64 v[10:11], v[2:3], v[10:11], -v[12:13]
	v_add_f64_e32 v[12:13], v[8:9], v[6:7]
	v_add_f64_e32 v[111:112], v[111:112], v[113:114]
	ds_load_b128 v[2:5], v1 offset:1104
	ds_load_b128 v[6:9], v1 offset:1120
	v_fma_f64 v[32:33], v[32:33], v[14:15], v[115:116]
	v_fma_f64 v[14:15], v[30:31], v[14:15], -v[16:17]
	s_wait_loadcnt_dscnt 0x301
	v_mul_f64_e32 v[113:114], v[2:3], v[20:21]
	v_mul_f64_e32 v[20:21], v[4:5], v[20:21]
	s_wait_loadcnt_dscnt 0x200
	v_mul_f64_e32 v[16:17], v[6:7], v[24:25]
	v_mul_f64_e32 v[24:25], v[8:9], v[24:25]
	v_add_f64_e32 v[10:11], v[12:13], v[10:11]
	v_add_f64_e32 v[12:13], v[111:112], v[117:118]
	v_fma_f64 v[30:31], v[4:5], v[18:19], v[113:114]
	v_fma_f64 v[18:19], v[2:3], v[18:19], -v[20:21]
	ds_load_b128 v[2:5], v1 offset:1136
	v_fma_f64 v[8:9], v[8:9], v[22:23], v[16:17]
	v_fma_f64 v[6:7], v[6:7], v[22:23], -v[24:25]
	v_add_f64_e32 v[10:11], v[10:11], v[14:15]
	v_add_f64_e32 v[12:13], v[12:13], v[32:33]
	s_wait_loadcnt_dscnt 0x100
	v_mul_f64_e32 v[14:15], v[2:3], v[28:29]
	v_mul_f64_e32 v[20:21], v[4:5], v[28:29]
	s_delay_alu instid0(VALU_DEP_4) | instskip(NEXT) | instid1(VALU_DEP_4)
	v_add_f64_e32 v[10:11], v[10:11], v[18:19]
	v_add_f64_e32 v[12:13], v[12:13], v[30:31]
	s_delay_alu instid0(VALU_DEP_4) | instskip(NEXT) | instid1(VALU_DEP_4)
	v_fma_f64 v[4:5], v[4:5], v[26:27], v[14:15]
	v_fma_f64 v[2:3], v[2:3], v[26:27], -v[20:21]
	s_delay_alu instid0(VALU_DEP_4) | instskip(NEXT) | instid1(VALU_DEP_4)
	v_add_f64_e32 v[6:7], v[10:11], v[6:7]
	v_add_f64_e32 v[8:9], v[12:13], v[8:9]
	s_delay_alu instid0(VALU_DEP_2) | instskip(NEXT) | instid1(VALU_DEP_2)
	v_add_f64_e32 v[2:3], v[6:7], v[2:3]
	v_add_f64_e32 v[4:5], v[8:9], v[4:5]
	s_wait_loadcnt 0x0
	s_delay_alu instid0(VALU_DEP_2) | instskip(NEXT) | instid1(VALU_DEP_2)
	v_add_f64_e64 v[2:3], v[34:35], -v[2:3]
	v_add_f64_e64 v[4:5], v[36:37], -v[4:5]
	scratch_store_b128 off, v[2:5], off offset:464
	v_cmpx_lt_u32_e32 27, v0
	s_cbranch_execz .LBB35_175
; %bb.174:
	scratch_load_b128 v[5:8], off, s4
	v_dual_mov_b32 v2, v1 :: v_dual_mov_b32 v3, v1
	v_mov_b32_e32 v4, v1
	scratch_store_b128 off, v[1:4], off offset:448
	s_wait_loadcnt 0x0
	ds_store_b128 v110, v[5:8]
.LBB35_175:
	s_wait_alu 0xfffe
	s_or_b32 exec_lo, exec_lo, s0
	s_wait_storecnt_dscnt 0x0
	s_barrier_signal -1
	s_barrier_wait -1
	global_inv scope:SCOPE_SE
	s_clause 0x7
	scratch_load_b128 v[2:5], off, off offset:464
	scratch_load_b128 v[6:9], off, off offset:480
	scratch_load_b128 v[10:13], off, off offset:496
	scratch_load_b128 v[14:17], off, off offset:512
	scratch_load_b128 v[18:21], off, off offset:528
	scratch_load_b128 v[22:25], off, off offset:544
	scratch_load_b128 v[26:29], off, off offset:560
	scratch_load_b128 v[30:33], off, off offset:576
	ds_load_b128 v[34:37], v1 offset:1024
	ds_load_b128 v[111:114], v1 offset:1040
	scratch_load_b128 v[115:118], off, off offset:448
	s_mov_b32 s0, exec_lo
	s_wait_loadcnt_dscnt 0x801
	v_mul_f64_e32 v[119:120], v[36:37], v[4:5]
	v_mul_f64_e32 v[4:5], v[34:35], v[4:5]
	s_wait_loadcnt_dscnt 0x700
	v_mul_f64_e32 v[121:122], v[111:112], v[8:9]
	v_mul_f64_e32 v[8:9], v[113:114], v[8:9]
	s_delay_alu instid0(VALU_DEP_4) | instskip(NEXT) | instid1(VALU_DEP_4)
	v_fma_f64 v[119:120], v[34:35], v[2:3], -v[119:120]
	v_fma_f64 v[123:124], v[36:37], v[2:3], v[4:5]
	ds_load_b128 v[2:5], v1 offset:1056
	ds_load_b128 v[34:37], v1 offset:1072
	v_fma_f64 v[113:114], v[113:114], v[6:7], v[121:122]
	v_fma_f64 v[6:7], v[111:112], v[6:7], -v[8:9]
	s_wait_loadcnt_dscnt 0x601
	v_mul_f64_e32 v[125:126], v[2:3], v[12:13]
	v_mul_f64_e32 v[12:13], v[4:5], v[12:13]
	v_add_f64_e32 v[8:9], 0, v[119:120]
	v_add_f64_e32 v[111:112], 0, v[123:124]
	s_wait_loadcnt_dscnt 0x500
	v_mul_f64_e32 v[119:120], v[34:35], v[16:17]
	v_mul_f64_e32 v[16:17], v[36:37], v[16:17]
	v_fma_f64 v[121:122], v[4:5], v[10:11], v[125:126]
	v_fma_f64 v[10:11], v[2:3], v[10:11], -v[12:13]
	v_add_f64_e32 v[12:13], v[8:9], v[6:7]
	v_add_f64_e32 v[111:112], v[111:112], v[113:114]
	ds_load_b128 v[2:5], v1 offset:1088
	ds_load_b128 v[6:9], v1 offset:1104
	v_fma_f64 v[36:37], v[36:37], v[14:15], v[119:120]
	v_fma_f64 v[14:15], v[34:35], v[14:15], -v[16:17]
	s_wait_loadcnt_dscnt 0x401
	v_mul_f64_e32 v[113:114], v[2:3], v[20:21]
	v_mul_f64_e32 v[20:21], v[4:5], v[20:21]
	s_wait_loadcnt_dscnt 0x300
	v_mul_f64_e32 v[16:17], v[6:7], v[24:25]
	v_mul_f64_e32 v[24:25], v[8:9], v[24:25]
	v_add_f64_e32 v[10:11], v[12:13], v[10:11]
	v_add_f64_e32 v[12:13], v[111:112], v[121:122]
	v_fma_f64 v[34:35], v[4:5], v[18:19], v[113:114]
	v_fma_f64 v[18:19], v[2:3], v[18:19], -v[20:21]
	v_fma_f64 v[8:9], v[8:9], v[22:23], v[16:17]
	v_fma_f64 v[6:7], v[6:7], v[22:23], -v[24:25]
	v_add_f64_e32 v[14:15], v[10:11], v[14:15]
	v_add_f64_e32 v[20:21], v[12:13], v[36:37]
	ds_load_b128 v[2:5], v1 offset:1120
	ds_load_b128 v[10:13], v1 offset:1136
	s_wait_loadcnt_dscnt 0x201
	v_mul_f64_e32 v[36:37], v[2:3], v[28:29]
	v_mul_f64_e32 v[28:29], v[4:5], v[28:29]
	v_add_f64_e32 v[14:15], v[14:15], v[18:19]
	v_add_f64_e32 v[16:17], v[20:21], v[34:35]
	s_wait_loadcnt_dscnt 0x100
	v_mul_f64_e32 v[18:19], v[10:11], v[32:33]
	v_mul_f64_e32 v[20:21], v[12:13], v[32:33]
	v_fma_f64 v[4:5], v[4:5], v[26:27], v[36:37]
	v_fma_f64 v[1:2], v[2:3], v[26:27], -v[28:29]
	v_add_f64_e32 v[6:7], v[14:15], v[6:7]
	v_add_f64_e32 v[8:9], v[16:17], v[8:9]
	v_fma_f64 v[12:13], v[12:13], v[30:31], v[18:19]
	v_fma_f64 v[10:11], v[10:11], v[30:31], -v[20:21]
	s_delay_alu instid0(VALU_DEP_4) | instskip(NEXT) | instid1(VALU_DEP_4)
	v_add_f64_e32 v[1:2], v[6:7], v[1:2]
	v_add_f64_e32 v[3:4], v[8:9], v[4:5]
	s_delay_alu instid0(VALU_DEP_2) | instskip(NEXT) | instid1(VALU_DEP_2)
	v_add_f64_e32 v[1:2], v[1:2], v[10:11]
	v_add_f64_e32 v[3:4], v[3:4], v[12:13]
	s_wait_loadcnt 0x0
	s_delay_alu instid0(VALU_DEP_2) | instskip(NEXT) | instid1(VALU_DEP_2)
	v_add_f64_e64 v[1:2], v[115:116], -v[1:2]
	v_add_f64_e64 v[3:4], v[117:118], -v[3:4]
	scratch_store_b128 off, v[1:4], off offset:448
	v_cmpx_lt_u32_e32 26, v0
	s_cbranch_execz .LBB35_177
; %bb.176:
	scratch_load_b128 v[1:4], off, s8
	v_mov_b32_e32 v5, 0
	s_delay_alu instid0(VALU_DEP_1)
	v_dual_mov_b32 v6, v5 :: v_dual_mov_b32 v7, v5
	v_mov_b32_e32 v8, v5
	scratch_store_b128 off, v[5:8], off offset:432
	s_wait_loadcnt 0x0
	ds_store_b128 v110, v[1:4]
.LBB35_177:
	s_wait_alu 0xfffe
	s_or_b32 exec_lo, exec_lo, s0
	s_wait_storecnt_dscnt 0x0
	s_barrier_signal -1
	s_barrier_wait -1
	global_inv scope:SCOPE_SE
	s_clause 0x7
	scratch_load_b128 v[2:5], off, off offset:448
	scratch_load_b128 v[6:9], off, off offset:464
	;; [unrolled: 1-line block ×8, first 2 shown]
	v_mov_b32_e32 v1, 0
	s_mov_b32 s0, exec_lo
	ds_load_b128 v[34:37], v1 offset:1008
	s_clause 0x1
	scratch_load_b128 v[111:114], off, off offset:576
	scratch_load_b128 v[115:118], off, off offset:432
	ds_load_b128 v[119:122], v1 offset:1024
	s_wait_loadcnt_dscnt 0x901
	v_mul_f64_e32 v[123:124], v[36:37], v[4:5]
	v_mul_f64_e32 v[4:5], v[34:35], v[4:5]
	s_wait_loadcnt_dscnt 0x800
	v_mul_f64_e32 v[125:126], v[119:120], v[8:9]
	v_mul_f64_e32 v[8:9], v[121:122], v[8:9]
	s_delay_alu instid0(VALU_DEP_4) | instskip(NEXT) | instid1(VALU_DEP_4)
	v_fma_f64 v[123:124], v[34:35], v[2:3], -v[123:124]
	v_fma_f64 v[127:128], v[36:37], v[2:3], v[4:5]
	ds_load_b128 v[2:5], v1 offset:1040
	ds_load_b128 v[34:37], v1 offset:1056
	v_fma_f64 v[121:122], v[121:122], v[6:7], v[125:126]
	v_fma_f64 v[6:7], v[119:120], v[6:7], -v[8:9]
	s_wait_loadcnt_dscnt 0x701
	v_mul_f64_e32 v[129:130], v[2:3], v[12:13]
	v_mul_f64_e32 v[12:13], v[4:5], v[12:13]
	v_add_f64_e32 v[8:9], 0, v[123:124]
	v_add_f64_e32 v[119:120], 0, v[127:128]
	s_wait_loadcnt_dscnt 0x600
	v_mul_f64_e32 v[123:124], v[34:35], v[16:17]
	v_mul_f64_e32 v[16:17], v[36:37], v[16:17]
	v_fma_f64 v[125:126], v[4:5], v[10:11], v[129:130]
	v_fma_f64 v[10:11], v[2:3], v[10:11], -v[12:13]
	v_add_f64_e32 v[12:13], v[8:9], v[6:7]
	v_add_f64_e32 v[119:120], v[119:120], v[121:122]
	ds_load_b128 v[2:5], v1 offset:1072
	ds_load_b128 v[6:9], v1 offset:1088
	v_fma_f64 v[36:37], v[36:37], v[14:15], v[123:124]
	v_fma_f64 v[14:15], v[34:35], v[14:15], -v[16:17]
	s_wait_loadcnt_dscnt 0x501
	v_mul_f64_e32 v[121:122], v[2:3], v[20:21]
	v_mul_f64_e32 v[20:21], v[4:5], v[20:21]
	s_wait_loadcnt_dscnt 0x400
	v_mul_f64_e32 v[16:17], v[6:7], v[24:25]
	v_mul_f64_e32 v[24:25], v[8:9], v[24:25]
	v_add_f64_e32 v[10:11], v[12:13], v[10:11]
	v_add_f64_e32 v[12:13], v[119:120], v[125:126]
	v_fma_f64 v[34:35], v[4:5], v[18:19], v[121:122]
	v_fma_f64 v[18:19], v[2:3], v[18:19], -v[20:21]
	v_fma_f64 v[8:9], v[8:9], v[22:23], v[16:17]
	v_fma_f64 v[6:7], v[6:7], v[22:23], -v[24:25]
	v_add_f64_e32 v[14:15], v[10:11], v[14:15]
	v_add_f64_e32 v[20:21], v[12:13], v[36:37]
	ds_load_b128 v[2:5], v1 offset:1104
	ds_load_b128 v[10:13], v1 offset:1120
	s_wait_loadcnt_dscnt 0x301
	v_mul_f64_e32 v[36:37], v[2:3], v[28:29]
	v_mul_f64_e32 v[28:29], v[4:5], v[28:29]
	v_add_f64_e32 v[14:15], v[14:15], v[18:19]
	v_add_f64_e32 v[16:17], v[20:21], v[34:35]
	s_wait_loadcnt_dscnt 0x200
	v_mul_f64_e32 v[18:19], v[10:11], v[32:33]
	v_mul_f64_e32 v[20:21], v[12:13], v[32:33]
	v_fma_f64 v[22:23], v[4:5], v[26:27], v[36:37]
	v_fma_f64 v[24:25], v[2:3], v[26:27], -v[28:29]
	ds_load_b128 v[2:5], v1 offset:1136
	v_add_f64_e32 v[6:7], v[14:15], v[6:7]
	v_add_f64_e32 v[8:9], v[16:17], v[8:9]
	v_fma_f64 v[12:13], v[12:13], v[30:31], v[18:19]
	v_fma_f64 v[10:11], v[10:11], v[30:31], -v[20:21]
	s_wait_loadcnt_dscnt 0x100
	v_mul_f64_e32 v[14:15], v[2:3], v[113:114]
	v_mul_f64_e32 v[16:17], v[4:5], v[113:114]
	v_add_f64_e32 v[6:7], v[6:7], v[24:25]
	v_add_f64_e32 v[8:9], v[8:9], v[22:23]
	s_delay_alu instid0(VALU_DEP_4) | instskip(NEXT) | instid1(VALU_DEP_4)
	v_fma_f64 v[4:5], v[4:5], v[111:112], v[14:15]
	v_fma_f64 v[2:3], v[2:3], v[111:112], -v[16:17]
	s_delay_alu instid0(VALU_DEP_4) | instskip(NEXT) | instid1(VALU_DEP_4)
	v_add_f64_e32 v[6:7], v[6:7], v[10:11]
	v_add_f64_e32 v[8:9], v[8:9], v[12:13]
	s_delay_alu instid0(VALU_DEP_2) | instskip(NEXT) | instid1(VALU_DEP_2)
	v_add_f64_e32 v[2:3], v[6:7], v[2:3]
	v_add_f64_e32 v[4:5], v[8:9], v[4:5]
	s_wait_loadcnt 0x0
	s_delay_alu instid0(VALU_DEP_2) | instskip(NEXT) | instid1(VALU_DEP_2)
	v_add_f64_e64 v[2:3], v[115:116], -v[2:3]
	v_add_f64_e64 v[4:5], v[117:118], -v[4:5]
	scratch_store_b128 off, v[2:5], off offset:432
	v_cmpx_lt_u32_e32 25, v0
	s_cbranch_execz .LBB35_179
; %bb.178:
	scratch_load_b128 v[5:8], off, s5
	v_dual_mov_b32 v2, v1 :: v_dual_mov_b32 v3, v1
	v_mov_b32_e32 v4, v1
	scratch_store_b128 off, v[1:4], off offset:416
	s_wait_loadcnt 0x0
	ds_store_b128 v110, v[5:8]
.LBB35_179:
	s_wait_alu 0xfffe
	s_or_b32 exec_lo, exec_lo, s0
	s_wait_storecnt_dscnt 0x0
	s_barrier_signal -1
	s_barrier_wait -1
	global_inv scope:SCOPE_SE
	s_clause 0x8
	scratch_load_b128 v[2:5], off, off offset:432
	scratch_load_b128 v[6:9], off, off offset:448
	;; [unrolled: 1-line block ×9, first 2 shown]
	ds_load_b128 v[111:114], v1 offset:992
	ds_load_b128 v[115:118], v1 offset:1008
	s_clause 0x1
	scratch_load_b128 v[119:122], off, off offset:416
	scratch_load_b128 v[123:126], off, off offset:576
	s_mov_b32 s0, exec_lo
	s_wait_loadcnt_dscnt 0xa01
	v_mul_f64_e32 v[127:128], v[113:114], v[4:5]
	v_mul_f64_e32 v[4:5], v[111:112], v[4:5]
	s_wait_loadcnt_dscnt 0x900
	v_mul_f64_e32 v[129:130], v[115:116], v[8:9]
	v_mul_f64_e32 v[8:9], v[117:118], v[8:9]
	s_delay_alu instid0(VALU_DEP_4) | instskip(NEXT) | instid1(VALU_DEP_4)
	v_fma_f64 v[127:128], v[111:112], v[2:3], -v[127:128]
	v_fma_f64 v[131:132], v[113:114], v[2:3], v[4:5]
	ds_load_b128 v[2:5], v1 offset:1024
	ds_load_b128 v[111:114], v1 offset:1040
	v_fma_f64 v[117:118], v[117:118], v[6:7], v[129:130]
	v_fma_f64 v[6:7], v[115:116], v[6:7], -v[8:9]
	s_wait_loadcnt_dscnt 0x801
	v_mul_f64_e32 v[133:134], v[2:3], v[12:13]
	v_mul_f64_e32 v[12:13], v[4:5], v[12:13]
	v_add_f64_e32 v[8:9], 0, v[127:128]
	v_add_f64_e32 v[115:116], 0, v[131:132]
	s_wait_loadcnt_dscnt 0x700
	v_mul_f64_e32 v[127:128], v[111:112], v[16:17]
	v_mul_f64_e32 v[16:17], v[113:114], v[16:17]
	v_fma_f64 v[129:130], v[4:5], v[10:11], v[133:134]
	v_fma_f64 v[10:11], v[2:3], v[10:11], -v[12:13]
	v_add_f64_e32 v[12:13], v[8:9], v[6:7]
	v_add_f64_e32 v[115:116], v[115:116], v[117:118]
	ds_load_b128 v[2:5], v1 offset:1056
	ds_load_b128 v[6:9], v1 offset:1072
	v_fma_f64 v[113:114], v[113:114], v[14:15], v[127:128]
	v_fma_f64 v[14:15], v[111:112], v[14:15], -v[16:17]
	s_wait_loadcnt_dscnt 0x601
	v_mul_f64_e32 v[117:118], v[2:3], v[20:21]
	v_mul_f64_e32 v[20:21], v[4:5], v[20:21]
	s_wait_loadcnt_dscnt 0x500
	v_mul_f64_e32 v[16:17], v[6:7], v[24:25]
	v_mul_f64_e32 v[24:25], v[8:9], v[24:25]
	v_add_f64_e32 v[10:11], v[12:13], v[10:11]
	v_add_f64_e32 v[12:13], v[115:116], v[129:130]
	v_fma_f64 v[111:112], v[4:5], v[18:19], v[117:118]
	v_fma_f64 v[18:19], v[2:3], v[18:19], -v[20:21]
	v_fma_f64 v[8:9], v[8:9], v[22:23], v[16:17]
	v_fma_f64 v[6:7], v[6:7], v[22:23], -v[24:25]
	v_add_f64_e32 v[14:15], v[10:11], v[14:15]
	v_add_f64_e32 v[20:21], v[12:13], v[113:114]
	ds_load_b128 v[2:5], v1 offset:1088
	ds_load_b128 v[10:13], v1 offset:1104
	s_wait_loadcnt_dscnt 0x401
	v_mul_f64_e32 v[113:114], v[2:3], v[28:29]
	v_mul_f64_e32 v[28:29], v[4:5], v[28:29]
	v_add_f64_e32 v[14:15], v[14:15], v[18:19]
	v_add_f64_e32 v[16:17], v[20:21], v[111:112]
	s_wait_loadcnt_dscnt 0x300
	v_mul_f64_e32 v[18:19], v[10:11], v[32:33]
	v_mul_f64_e32 v[20:21], v[12:13], v[32:33]
	v_fma_f64 v[22:23], v[4:5], v[26:27], v[113:114]
	v_fma_f64 v[24:25], v[2:3], v[26:27], -v[28:29]
	v_add_f64_e32 v[14:15], v[14:15], v[6:7]
	v_add_f64_e32 v[16:17], v[16:17], v[8:9]
	ds_load_b128 v[2:5], v1 offset:1120
	ds_load_b128 v[6:9], v1 offset:1136
	v_fma_f64 v[12:13], v[12:13], v[30:31], v[18:19]
	v_fma_f64 v[10:11], v[10:11], v[30:31], -v[20:21]
	s_wait_loadcnt_dscnt 0x201
	v_mul_f64_e32 v[26:27], v[2:3], v[36:37]
	v_mul_f64_e32 v[28:29], v[4:5], v[36:37]
	s_wait_loadcnt_dscnt 0x0
	v_mul_f64_e32 v[18:19], v[6:7], v[125:126]
	v_mul_f64_e32 v[20:21], v[8:9], v[125:126]
	v_add_f64_e32 v[14:15], v[14:15], v[24:25]
	v_add_f64_e32 v[16:17], v[16:17], v[22:23]
	v_fma_f64 v[4:5], v[4:5], v[34:35], v[26:27]
	v_fma_f64 v[1:2], v[2:3], v[34:35], -v[28:29]
	v_fma_f64 v[8:9], v[8:9], v[123:124], v[18:19]
	v_fma_f64 v[6:7], v[6:7], v[123:124], -v[20:21]
	v_add_f64_e32 v[10:11], v[14:15], v[10:11]
	v_add_f64_e32 v[12:13], v[16:17], v[12:13]
	s_delay_alu instid0(VALU_DEP_2) | instskip(NEXT) | instid1(VALU_DEP_2)
	v_add_f64_e32 v[1:2], v[10:11], v[1:2]
	v_add_f64_e32 v[3:4], v[12:13], v[4:5]
	s_delay_alu instid0(VALU_DEP_2) | instskip(NEXT) | instid1(VALU_DEP_2)
	;; [unrolled: 3-line block ×3, first 2 shown]
	v_add_f64_e64 v[1:2], v[119:120], -v[1:2]
	v_add_f64_e64 v[3:4], v[121:122], -v[3:4]
	scratch_store_b128 off, v[1:4], off offset:416
	v_cmpx_lt_u32_e32 24, v0
	s_cbranch_execz .LBB35_181
; %bb.180:
	scratch_load_b128 v[1:4], off, s10
	v_mov_b32_e32 v5, 0
	s_delay_alu instid0(VALU_DEP_1)
	v_dual_mov_b32 v6, v5 :: v_dual_mov_b32 v7, v5
	v_mov_b32_e32 v8, v5
	scratch_store_b128 off, v[5:8], off offset:400
	s_wait_loadcnt 0x0
	ds_store_b128 v110, v[1:4]
.LBB35_181:
	s_wait_alu 0xfffe
	s_or_b32 exec_lo, exec_lo, s0
	s_wait_storecnt_dscnt 0x0
	s_barrier_signal -1
	s_barrier_wait -1
	global_inv scope:SCOPE_SE
	s_clause 0x7
	scratch_load_b128 v[2:5], off, off offset:416
	scratch_load_b128 v[6:9], off, off offset:432
	;; [unrolled: 1-line block ×8, first 2 shown]
	v_mov_b32_e32 v1, 0
	s_mov_b32 s0, exec_lo
	ds_load_b128 v[34:37], v1 offset:976
	s_clause 0x1
	scratch_load_b128 v[111:114], off, off offset:544
	scratch_load_b128 v[115:118], off, off offset:400
	ds_load_b128 v[119:122], v1 offset:992
	scratch_load_b128 v[123:126], off, off offset:560
	s_wait_loadcnt_dscnt 0xa01
	v_mul_f64_e32 v[127:128], v[36:37], v[4:5]
	v_mul_f64_e32 v[4:5], v[34:35], v[4:5]
	s_delay_alu instid0(VALU_DEP_2) | instskip(NEXT) | instid1(VALU_DEP_2)
	v_fma_f64 v[133:134], v[34:35], v[2:3], -v[127:128]
	v_fma_f64 v[135:136], v[36:37], v[2:3], v[4:5]
	ds_load_b128 v[2:5], v1 offset:1008
	s_wait_loadcnt_dscnt 0x901
	v_mul_f64_e32 v[131:132], v[119:120], v[8:9]
	v_mul_f64_e32 v[8:9], v[121:122], v[8:9]
	scratch_load_b128 v[34:37], off, off offset:576
	ds_load_b128 v[127:130], v1 offset:1024
	s_wait_loadcnt_dscnt 0x901
	v_mul_f64_e32 v[137:138], v[2:3], v[12:13]
	v_mul_f64_e32 v[12:13], v[4:5], v[12:13]
	v_fma_f64 v[121:122], v[121:122], v[6:7], v[131:132]
	v_fma_f64 v[6:7], v[119:120], v[6:7], -v[8:9]
	v_add_f64_e32 v[8:9], 0, v[133:134]
	v_add_f64_e32 v[119:120], 0, v[135:136]
	s_wait_loadcnt_dscnt 0x800
	v_mul_f64_e32 v[131:132], v[127:128], v[16:17]
	v_mul_f64_e32 v[16:17], v[129:130], v[16:17]
	v_fma_f64 v[133:134], v[4:5], v[10:11], v[137:138]
	v_fma_f64 v[10:11], v[2:3], v[10:11], -v[12:13]
	v_add_f64_e32 v[12:13], v[8:9], v[6:7]
	v_add_f64_e32 v[119:120], v[119:120], v[121:122]
	ds_load_b128 v[2:5], v1 offset:1040
	ds_load_b128 v[6:9], v1 offset:1056
	v_fma_f64 v[129:130], v[129:130], v[14:15], v[131:132]
	v_fma_f64 v[14:15], v[127:128], v[14:15], -v[16:17]
	s_wait_loadcnt_dscnt 0x701
	v_mul_f64_e32 v[121:122], v[2:3], v[20:21]
	v_mul_f64_e32 v[20:21], v[4:5], v[20:21]
	s_wait_loadcnt_dscnt 0x600
	v_mul_f64_e32 v[16:17], v[6:7], v[24:25]
	v_mul_f64_e32 v[24:25], v[8:9], v[24:25]
	v_add_f64_e32 v[10:11], v[12:13], v[10:11]
	v_add_f64_e32 v[12:13], v[119:120], v[133:134]
	v_fma_f64 v[119:120], v[4:5], v[18:19], v[121:122]
	v_fma_f64 v[18:19], v[2:3], v[18:19], -v[20:21]
	v_fma_f64 v[8:9], v[8:9], v[22:23], v[16:17]
	v_fma_f64 v[6:7], v[6:7], v[22:23], -v[24:25]
	v_add_f64_e32 v[14:15], v[10:11], v[14:15]
	v_add_f64_e32 v[20:21], v[12:13], v[129:130]
	ds_load_b128 v[2:5], v1 offset:1072
	ds_load_b128 v[10:13], v1 offset:1088
	s_wait_loadcnt_dscnt 0x501
	v_mul_f64_e32 v[121:122], v[2:3], v[28:29]
	v_mul_f64_e32 v[28:29], v[4:5], v[28:29]
	v_add_f64_e32 v[14:15], v[14:15], v[18:19]
	v_add_f64_e32 v[16:17], v[20:21], v[119:120]
	s_wait_loadcnt_dscnt 0x400
	v_mul_f64_e32 v[18:19], v[10:11], v[32:33]
	v_mul_f64_e32 v[20:21], v[12:13], v[32:33]
	v_fma_f64 v[22:23], v[4:5], v[26:27], v[121:122]
	v_fma_f64 v[24:25], v[2:3], v[26:27], -v[28:29]
	v_add_f64_e32 v[14:15], v[14:15], v[6:7]
	v_add_f64_e32 v[16:17], v[16:17], v[8:9]
	ds_load_b128 v[2:5], v1 offset:1104
	ds_load_b128 v[6:9], v1 offset:1120
	v_fma_f64 v[12:13], v[12:13], v[30:31], v[18:19]
	v_fma_f64 v[10:11], v[10:11], v[30:31], -v[20:21]
	s_wait_loadcnt_dscnt 0x301
	v_mul_f64_e32 v[26:27], v[2:3], v[113:114]
	v_mul_f64_e32 v[28:29], v[4:5], v[113:114]
	s_wait_loadcnt_dscnt 0x100
	v_mul_f64_e32 v[18:19], v[6:7], v[125:126]
	v_mul_f64_e32 v[20:21], v[8:9], v[125:126]
	v_add_f64_e32 v[14:15], v[14:15], v[24:25]
	v_add_f64_e32 v[16:17], v[16:17], v[22:23]
	v_fma_f64 v[22:23], v[4:5], v[111:112], v[26:27]
	v_fma_f64 v[24:25], v[2:3], v[111:112], -v[28:29]
	ds_load_b128 v[2:5], v1 offset:1136
	v_fma_f64 v[8:9], v[8:9], v[123:124], v[18:19]
	v_fma_f64 v[6:7], v[6:7], v[123:124], -v[20:21]
	v_add_f64_e32 v[10:11], v[14:15], v[10:11]
	v_add_f64_e32 v[12:13], v[16:17], v[12:13]
	s_wait_loadcnt_dscnt 0x0
	v_mul_f64_e32 v[14:15], v[2:3], v[36:37]
	v_mul_f64_e32 v[16:17], v[4:5], v[36:37]
	s_delay_alu instid0(VALU_DEP_4) | instskip(NEXT) | instid1(VALU_DEP_4)
	v_add_f64_e32 v[10:11], v[10:11], v[24:25]
	v_add_f64_e32 v[12:13], v[12:13], v[22:23]
	s_delay_alu instid0(VALU_DEP_4) | instskip(NEXT) | instid1(VALU_DEP_4)
	v_fma_f64 v[4:5], v[4:5], v[34:35], v[14:15]
	v_fma_f64 v[2:3], v[2:3], v[34:35], -v[16:17]
	s_delay_alu instid0(VALU_DEP_4) | instskip(NEXT) | instid1(VALU_DEP_4)
	v_add_f64_e32 v[6:7], v[10:11], v[6:7]
	v_add_f64_e32 v[8:9], v[12:13], v[8:9]
	s_delay_alu instid0(VALU_DEP_2) | instskip(NEXT) | instid1(VALU_DEP_2)
	v_add_f64_e32 v[2:3], v[6:7], v[2:3]
	v_add_f64_e32 v[4:5], v[8:9], v[4:5]
	s_delay_alu instid0(VALU_DEP_2) | instskip(NEXT) | instid1(VALU_DEP_2)
	v_add_f64_e64 v[2:3], v[115:116], -v[2:3]
	v_add_f64_e64 v[4:5], v[117:118], -v[4:5]
	scratch_store_b128 off, v[2:5], off offset:400
	v_cmpx_lt_u32_e32 23, v0
	s_cbranch_execz .LBB35_183
; %bb.182:
	scratch_load_b128 v[5:8], off, s9
	v_dual_mov_b32 v2, v1 :: v_dual_mov_b32 v3, v1
	v_mov_b32_e32 v4, v1
	scratch_store_b128 off, v[1:4], off offset:384
	s_wait_loadcnt 0x0
	ds_store_b128 v110, v[5:8]
.LBB35_183:
	s_wait_alu 0xfffe
	s_or_b32 exec_lo, exec_lo, s0
	s_wait_storecnt_dscnt 0x0
	s_barrier_signal -1
	s_barrier_wait -1
	global_inv scope:SCOPE_SE
	s_clause 0x8
	scratch_load_b128 v[2:5], off, off offset:400
	scratch_load_b128 v[6:9], off, off offset:416
	;; [unrolled: 1-line block ×9, first 2 shown]
	ds_load_b128 v[111:114], v1 offset:960
	ds_load_b128 v[115:118], v1 offset:976
	s_clause 0x1
	scratch_load_b128 v[119:122], off, off offset:384
	scratch_load_b128 v[123:126], off, off offset:544
	s_mov_b32 s0, exec_lo
	s_wait_loadcnt_dscnt 0xa01
	v_mul_f64_e32 v[127:128], v[113:114], v[4:5]
	v_mul_f64_e32 v[4:5], v[111:112], v[4:5]
	s_wait_loadcnt_dscnt 0x900
	v_mul_f64_e32 v[131:132], v[115:116], v[8:9]
	v_mul_f64_e32 v[8:9], v[117:118], v[8:9]
	s_delay_alu instid0(VALU_DEP_4) | instskip(NEXT) | instid1(VALU_DEP_4)
	v_fma_f64 v[133:134], v[111:112], v[2:3], -v[127:128]
	v_fma_f64 v[135:136], v[113:114], v[2:3], v[4:5]
	ds_load_b128 v[2:5], v1 offset:992
	ds_load_b128 v[127:130], v1 offset:1008
	scratch_load_b128 v[111:114], off, off offset:560
	v_fma_f64 v[117:118], v[117:118], v[6:7], v[131:132]
	v_fma_f64 v[115:116], v[115:116], v[6:7], -v[8:9]
	scratch_load_b128 v[6:9], off, off offset:576
	s_wait_loadcnt_dscnt 0xa01
	v_mul_f64_e32 v[137:138], v[2:3], v[12:13]
	v_mul_f64_e32 v[12:13], v[4:5], v[12:13]
	v_add_f64_e32 v[131:132], 0, v[133:134]
	v_add_f64_e32 v[133:134], 0, v[135:136]
	s_wait_loadcnt_dscnt 0x900
	v_mul_f64_e32 v[135:136], v[127:128], v[16:17]
	v_mul_f64_e32 v[16:17], v[129:130], v[16:17]
	v_fma_f64 v[137:138], v[4:5], v[10:11], v[137:138]
	v_fma_f64 v[139:140], v[2:3], v[10:11], -v[12:13]
	ds_load_b128 v[2:5], v1 offset:1024
	ds_load_b128 v[10:13], v1 offset:1040
	v_add_f64_e32 v[115:116], v[131:132], v[115:116]
	v_add_f64_e32 v[117:118], v[133:134], v[117:118]
	v_fma_f64 v[129:130], v[129:130], v[14:15], v[135:136]
	v_fma_f64 v[14:15], v[127:128], v[14:15], -v[16:17]
	s_wait_loadcnt_dscnt 0x801
	v_mul_f64_e32 v[131:132], v[2:3], v[20:21]
	v_mul_f64_e32 v[20:21], v[4:5], v[20:21]
	v_add_f64_e32 v[16:17], v[115:116], v[139:140]
	v_add_f64_e32 v[115:116], v[117:118], v[137:138]
	s_wait_loadcnt_dscnt 0x700
	v_mul_f64_e32 v[117:118], v[10:11], v[24:25]
	v_mul_f64_e32 v[24:25], v[12:13], v[24:25]
	v_fma_f64 v[127:128], v[4:5], v[18:19], v[131:132]
	v_fma_f64 v[18:19], v[2:3], v[18:19], -v[20:21]
	v_add_f64_e32 v[20:21], v[16:17], v[14:15]
	v_add_f64_e32 v[115:116], v[115:116], v[129:130]
	ds_load_b128 v[2:5], v1 offset:1056
	ds_load_b128 v[14:17], v1 offset:1072
	v_fma_f64 v[12:13], v[12:13], v[22:23], v[117:118]
	v_fma_f64 v[10:11], v[10:11], v[22:23], -v[24:25]
	s_wait_loadcnt_dscnt 0x601
	v_mul_f64_e32 v[129:130], v[2:3], v[28:29]
	v_mul_f64_e32 v[28:29], v[4:5], v[28:29]
	s_wait_loadcnt_dscnt 0x500
	v_mul_f64_e32 v[22:23], v[14:15], v[32:33]
	v_mul_f64_e32 v[24:25], v[16:17], v[32:33]
	v_add_f64_e32 v[18:19], v[20:21], v[18:19]
	v_add_f64_e32 v[20:21], v[115:116], v[127:128]
	v_fma_f64 v[32:33], v[4:5], v[26:27], v[129:130]
	v_fma_f64 v[26:27], v[2:3], v[26:27], -v[28:29]
	v_fma_f64 v[16:17], v[16:17], v[30:31], v[22:23]
	v_fma_f64 v[14:15], v[14:15], v[30:31], -v[24:25]
	v_add_f64_e32 v[18:19], v[18:19], v[10:11]
	v_add_f64_e32 v[20:21], v[20:21], v[12:13]
	ds_load_b128 v[2:5], v1 offset:1088
	ds_load_b128 v[10:13], v1 offset:1104
	s_wait_loadcnt_dscnt 0x401
	v_mul_f64_e32 v[28:29], v[2:3], v[36:37]
	v_mul_f64_e32 v[36:37], v[4:5], v[36:37]
	s_wait_loadcnt_dscnt 0x200
	v_mul_f64_e32 v[22:23], v[10:11], v[125:126]
	v_mul_f64_e32 v[24:25], v[12:13], v[125:126]
	v_add_f64_e32 v[18:19], v[18:19], v[26:27]
	v_add_f64_e32 v[20:21], v[20:21], v[32:33]
	v_fma_f64 v[26:27], v[4:5], v[34:35], v[28:29]
	v_fma_f64 v[28:29], v[2:3], v[34:35], -v[36:37]
	v_fma_f64 v[12:13], v[12:13], v[123:124], v[22:23]
	v_fma_f64 v[10:11], v[10:11], v[123:124], -v[24:25]
	v_add_f64_e32 v[18:19], v[18:19], v[14:15]
	v_add_f64_e32 v[20:21], v[20:21], v[16:17]
	ds_load_b128 v[2:5], v1 offset:1120
	ds_load_b128 v[14:17], v1 offset:1136
	s_wait_loadcnt_dscnt 0x101
	v_mul_f64_e32 v[30:31], v[2:3], v[113:114]
	v_mul_f64_e32 v[32:33], v[4:5], v[113:114]
	s_wait_loadcnt_dscnt 0x0
	v_mul_f64_e32 v[22:23], v[14:15], v[8:9]
	v_mul_f64_e32 v[8:9], v[16:17], v[8:9]
	v_add_f64_e32 v[18:19], v[18:19], v[28:29]
	v_add_f64_e32 v[20:21], v[20:21], v[26:27]
	v_fma_f64 v[4:5], v[4:5], v[111:112], v[30:31]
	v_fma_f64 v[1:2], v[2:3], v[111:112], -v[32:33]
	v_fma_f64 v[16:17], v[16:17], v[6:7], v[22:23]
	v_fma_f64 v[6:7], v[14:15], v[6:7], -v[8:9]
	v_add_f64_e32 v[10:11], v[18:19], v[10:11]
	v_add_f64_e32 v[12:13], v[20:21], v[12:13]
	s_delay_alu instid0(VALU_DEP_2) | instskip(NEXT) | instid1(VALU_DEP_2)
	v_add_f64_e32 v[1:2], v[10:11], v[1:2]
	v_add_f64_e32 v[3:4], v[12:13], v[4:5]
	s_delay_alu instid0(VALU_DEP_2) | instskip(NEXT) | instid1(VALU_DEP_2)
	;; [unrolled: 3-line block ×3, first 2 shown]
	v_add_f64_e64 v[1:2], v[119:120], -v[1:2]
	v_add_f64_e64 v[3:4], v[121:122], -v[3:4]
	scratch_store_b128 off, v[1:4], off offset:384
	v_cmpx_lt_u32_e32 22, v0
	s_cbranch_execz .LBB35_185
; %bb.184:
	scratch_load_b128 v[1:4], off, s12
	v_mov_b32_e32 v5, 0
	s_delay_alu instid0(VALU_DEP_1)
	v_dual_mov_b32 v6, v5 :: v_dual_mov_b32 v7, v5
	v_mov_b32_e32 v8, v5
	scratch_store_b128 off, v[5:8], off offset:368
	s_wait_loadcnt 0x0
	ds_store_b128 v110, v[1:4]
.LBB35_185:
	s_wait_alu 0xfffe
	s_or_b32 exec_lo, exec_lo, s0
	s_wait_storecnt_dscnt 0x0
	s_barrier_signal -1
	s_barrier_wait -1
	global_inv scope:SCOPE_SE
	s_clause 0x7
	scratch_load_b128 v[2:5], off, off offset:384
	scratch_load_b128 v[6:9], off, off offset:400
	;; [unrolled: 1-line block ×8, first 2 shown]
	v_mov_b32_e32 v1, 0
	s_clause 0x1
	scratch_load_b128 v[111:114], off, off offset:512
	scratch_load_b128 v[119:122], off, off offset:528
	s_mov_b32 s0, exec_lo
	ds_load_b128 v[34:37], v1 offset:944
	ds_load_b128 v[115:118], v1 offset:960
	s_wait_loadcnt_dscnt 0x901
	v_mul_f64_e32 v[123:124], v[36:37], v[4:5]
	v_mul_f64_e32 v[4:5], v[34:35], v[4:5]
	s_wait_loadcnt_dscnt 0x800
	v_mul_f64_e32 v[125:126], v[115:116], v[8:9]
	v_mul_f64_e32 v[8:9], v[117:118], v[8:9]
	s_delay_alu instid0(VALU_DEP_4) | instskip(NEXT) | instid1(VALU_DEP_4)
	v_fma_f64 v[123:124], v[34:35], v[2:3], -v[123:124]
	v_fma_f64 v[127:128], v[36:37], v[2:3], v[4:5]
	ds_load_b128 v[2:5], v1 offset:976
	scratch_load_b128 v[34:37], off, off offset:544
	v_fma_f64 v[125:126], v[117:118], v[6:7], v[125:126]
	v_fma_f64 v[131:132], v[115:116], v[6:7], -v[8:9]
	ds_load_b128 v[6:9], v1 offset:992
	scratch_load_b128 v[115:118], off, off offset:560
	s_wait_loadcnt_dscnt 0x901
	v_mul_f64_e32 v[129:130], v[2:3], v[12:13]
	v_mul_f64_e32 v[12:13], v[4:5], v[12:13]
	s_wait_loadcnt_dscnt 0x800
	v_mul_f64_e32 v[133:134], v[6:7], v[16:17]
	v_mul_f64_e32 v[16:17], v[8:9], v[16:17]
	v_add_f64_e32 v[123:124], 0, v[123:124]
	v_add_f64_e32 v[127:128], 0, v[127:128]
	v_fma_f64 v[129:130], v[4:5], v[10:11], v[129:130]
	v_fma_f64 v[135:136], v[2:3], v[10:11], -v[12:13]
	ds_load_b128 v[2:5], v1 offset:1008
	scratch_load_b128 v[10:13], off, off offset:576
	v_add_f64_e32 v[123:124], v[123:124], v[131:132]
	v_add_f64_e32 v[125:126], v[127:128], v[125:126]
	v_fma_f64 v[131:132], v[8:9], v[14:15], v[133:134]
	v_fma_f64 v[14:15], v[6:7], v[14:15], -v[16:17]
	ds_load_b128 v[6:9], v1 offset:1024
	s_wait_loadcnt_dscnt 0x801
	v_mul_f64_e32 v[127:128], v[2:3], v[20:21]
	v_mul_f64_e32 v[20:21], v[4:5], v[20:21]
	v_add_f64_e32 v[16:17], v[123:124], v[135:136]
	v_add_f64_e32 v[123:124], v[125:126], v[129:130]
	s_wait_loadcnt_dscnt 0x700
	v_mul_f64_e32 v[125:126], v[6:7], v[24:25]
	v_mul_f64_e32 v[24:25], v[8:9], v[24:25]
	v_fma_f64 v[127:128], v[4:5], v[18:19], v[127:128]
	v_fma_f64 v[18:19], v[2:3], v[18:19], -v[20:21]
	ds_load_b128 v[2:5], v1 offset:1040
	v_add_f64_e32 v[14:15], v[16:17], v[14:15]
	v_add_f64_e32 v[16:17], v[123:124], v[131:132]
	v_fma_f64 v[123:124], v[8:9], v[22:23], v[125:126]
	v_fma_f64 v[22:23], v[6:7], v[22:23], -v[24:25]
	ds_load_b128 v[6:9], v1 offset:1056
	s_wait_loadcnt_dscnt 0x601
	v_mul_f64_e32 v[20:21], v[2:3], v[28:29]
	v_mul_f64_e32 v[28:29], v[4:5], v[28:29]
	s_wait_loadcnt_dscnt 0x500
	v_mul_f64_e32 v[125:126], v[6:7], v[32:33]
	v_mul_f64_e32 v[32:33], v[8:9], v[32:33]
	v_add_f64_e32 v[18:19], v[14:15], v[18:19]
	v_add_f64_e32 v[24:25], v[16:17], v[127:128]
	scratch_load_b128 v[14:17], off, off offset:368
	v_fma_f64 v[20:21], v[4:5], v[26:27], v[20:21]
	v_fma_f64 v[26:27], v[2:3], v[26:27], -v[28:29]
	ds_load_b128 v[2:5], v1 offset:1072
	s_wait_loadcnt_dscnt 0x500
	v_mul_f64_e32 v[28:29], v[4:5], v[113:114]
	v_add_f64_e32 v[18:19], v[18:19], v[22:23]
	v_add_f64_e32 v[22:23], v[24:25], v[123:124]
	v_mul_f64_e32 v[24:25], v[2:3], v[113:114]
	v_fma_f64 v[113:114], v[8:9], v[30:31], v[125:126]
	v_fma_f64 v[30:31], v[6:7], v[30:31], -v[32:33]
	ds_load_b128 v[6:9], v1 offset:1088
	v_fma_f64 v[28:29], v[2:3], v[111:112], -v[28:29]
	v_add_f64_e32 v[18:19], v[18:19], v[26:27]
	v_add_f64_e32 v[20:21], v[22:23], v[20:21]
	v_fma_f64 v[24:25], v[4:5], v[111:112], v[24:25]
	ds_load_b128 v[2:5], v1 offset:1104
	s_wait_loadcnt_dscnt 0x401
	v_mul_f64_e32 v[22:23], v[6:7], v[121:122]
	v_mul_f64_e32 v[26:27], v[8:9], v[121:122]
	v_add_f64_e32 v[18:19], v[18:19], v[30:31]
	v_add_f64_e32 v[20:21], v[20:21], v[113:114]
	s_delay_alu instid0(VALU_DEP_4) | instskip(NEXT) | instid1(VALU_DEP_4)
	v_fma_f64 v[22:23], v[8:9], v[119:120], v[22:23]
	v_fma_f64 v[26:27], v[6:7], v[119:120], -v[26:27]
	ds_load_b128 v[6:9], v1 offset:1120
	s_wait_loadcnt_dscnt 0x301
	v_mul_f64_e32 v[30:31], v[2:3], v[36:37]
	v_mul_f64_e32 v[32:33], v[4:5], v[36:37]
	v_add_f64_e32 v[18:19], v[18:19], v[28:29]
	v_add_f64_e32 v[20:21], v[20:21], v[24:25]
	s_delay_alu instid0(VALU_DEP_4) | instskip(NEXT) | instid1(VALU_DEP_4)
	v_fma_f64 v[30:31], v[4:5], v[34:35], v[30:31]
	v_fma_f64 v[32:33], v[2:3], v[34:35], -v[32:33]
	ds_load_b128 v[2:5], v1 offset:1136
	s_wait_loadcnt_dscnt 0x201
	v_mul_f64_e32 v[24:25], v[6:7], v[117:118]
	v_mul_f64_e32 v[28:29], v[8:9], v[117:118]
	v_add_f64_e32 v[18:19], v[18:19], v[26:27]
	v_add_f64_e32 v[20:21], v[20:21], v[22:23]
	s_wait_loadcnt_dscnt 0x100
	v_mul_f64_e32 v[22:23], v[2:3], v[12:13]
	v_mul_f64_e32 v[12:13], v[4:5], v[12:13]
	v_fma_f64 v[8:9], v[8:9], v[115:116], v[24:25]
	v_fma_f64 v[6:7], v[6:7], v[115:116], -v[28:29]
	v_add_f64_e32 v[18:19], v[18:19], v[32:33]
	v_add_f64_e32 v[20:21], v[20:21], v[30:31]
	v_fma_f64 v[4:5], v[4:5], v[10:11], v[22:23]
	v_fma_f64 v[2:3], v[2:3], v[10:11], -v[12:13]
	s_delay_alu instid0(VALU_DEP_4) | instskip(NEXT) | instid1(VALU_DEP_4)
	v_add_f64_e32 v[6:7], v[18:19], v[6:7]
	v_add_f64_e32 v[8:9], v[20:21], v[8:9]
	s_delay_alu instid0(VALU_DEP_2) | instskip(NEXT) | instid1(VALU_DEP_2)
	v_add_f64_e32 v[2:3], v[6:7], v[2:3]
	v_add_f64_e32 v[4:5], v[8:9], v[4:5]
	s_wait_loadcnt 0x0
	s_delay_alu instid0(VALU_DEP_2) | instskip(NEXT) | instid1(VALU_DEP_2)
	v_add_f64_e64 v[2:3], v[14:15], -v[2:3]
	v_add_f64_e64 v[4:5], v[16:17], -v[4:5]
	scratch_store_b128 off, v[2:5], off offset:368
	v_cmpx_lt_u32_e32 21, v0
	s_cbranch_execz .LBB35_187
; %bb.186:
	scratch_load_b128 v[5:8], off, s11
	v_dual_mov_b32 v2, v1 :: v_dual_mov_b32 v3, v1
	v_mov_b32_e32 v4, v1
	scratch_store_b128 off, v[1:4], off offset:352
	s_wait_loadcnt 0x0
	ds_store_b128 v110, v[5:8]
.LBB35_187:
	s_wait_alu 0xfffe
	s_or_b32 exec_lo, exec_lo, s0
	s_wait_storecnt_dscnt 0x0
	s_barrier_signal -1
	s_barrier_wait -1
	global_inv scope:SCOPE_SE
	s_clause 0x7
	scratch_load_b128 v[2:5], off, off offset:368
	scratch_load_b128 v[6:9], off, off offset:384
	;; [unrolled: 1-line block ×8, first 2 shown]
	ds_load_b128 v[34:37], v1 offset:928
	ds_load_b128 v[115:118], v1 offset:944
	s_clause 0x1
	scratch_load_b128 v[111:114], off, off offset:496
	scratch_load_b128 v[119:122], off, off offset:512
	s_mov_b32 s0, exec_lo
	s_wait_loadcnt_dscnt 0x901
	v_mul_f64_e32 v[123:124], v[36:37], v[4:5]
	v_mul_f64_e32 v[4:5], v[34:35], v[4:5]
	s_wait_loadcnt_dscnt 0x800
	v_mul_f64_e32 v[125:126], v[115:116], v[8:9]
	v_mul_f64_e32 v[8:9], v[117:118], v[8:9]
	s_delay_alu instid0(VALU_DEP_4) | instskip(NEXT) | instid1(VALU_DEP_4)
	v_fma_f64 v[123:124], v[34:35], v[2:3], -v[123:124]
	v_fma_f64 v[127:128], v[36:37], v[2:3], v[4:5]
	ds_load_b128 v[2:5], v1 offset:960
	scratch_load_b128 v[34:37], off, off offset:528
	v_fma_f64 v[125:126], v[117:118], v[6:7], v[125:126]
	v_fma_f64 v[131:132], v[115:116], v[6:7], -v[8:9]
	ds_load_b128 v[6:9], v1 offset:976
	scratch_load_b128 v[115:118], off, off offset:544
	s_wait_loadcnt_dscnt 0x901
	v_mul_f64_e32 v[129:130], v[2:3], v[12:13]
	v_mul_f64_e32 v[12:13], v[4:5], v[12:13]
	s_wait_loadcnt_dscnt 0x800
	v_mul_f64_e32 v[133:134], v[6:7], v[16:17]
	v_mul_f64_e32 v[16:17], v[8:9], v[16:17]
	v_add_f64_e32 v[123:124], 0, v[123:124]
	v_add_f64_e32 v[127:128], 0, v[127:128]
	v_fma_f64 v[129:130], v[4:5], v[10:11], v[129:130]
	v_fma_f64 v[135:136], v[2:3], v[10:11], -v[12:13]
	ds_load_b128 v[2:5], v1 offset:992
	scratch_load_b128 v[10:13], off, off offset:560
	v_add_f64_e32 v[123:124], v[123:124], v[131:132]
	v_add_f64_e32 v[125:126], v[127:128], v[125:126]
	v_fma_f64 v[131:132], v[8:9], v[14:15], v[133:134]
	v_fma_f64 v[133:134], v[6:7], v[14:15], -v[16:17]
	ds_load_b128 v[6:9], v1 offset:1008
	scratch_load_b128 v[14:17], off, off offset:576
	s_wait_loadcnt_dscnt 0x901
	v_mul_f64_e32 v[127:128], v[2:3], v[20:21]
	v_mul_f64_e32 v[20:21], v[4:5], v[20:21]
	v_add_f64_e32 v[123:124], v[123:124], v[135:136]
	v_add_f64_e32 v[125:126], v[125:126], v[129:130]
	s_wait_loadcnt_dscnt 0x800
	v_mul_f64_e32 v[129:130], v[6:7], v[24:25]
	v_mul_f64_e32 v[24:25], v[8:9], v[24:25]
	v_fma_f64 v[127:128], v[4:5], v[18:19], v[127:128]
	v_fma_f64 v[18:19], v[2:3], v[18:19], -v[20:21]
	ds_load_b128 v[2:5], v1 offset:1024
	v_add_f64_e32 v[20:21], v[123:124], v[133:134]
	v_add_f64_e32 v[123:124], v[125:126], v[131:132]
	v_fma_f64 v[129:130], v[8:9], v[22:23], v[129:130]
	v_fma_f64 v[22:23], v[6:7], v[22:23], -v[24:25]
	ds_load_b128 v[6:9], v1 offset:1040
	s_wait_loadcnt_dscnt 0x701
	v_mul_f64_e32 v[125:126], v[2:3], v[28:29]
	v_mul_f64_e32 v[28:29], v[4:5], v[28:29]
	s_wait_loadcnt_dscnt 0x600
	v_mul_f64_e32 v[24:25], v[6:7], v[32:33]
	v_mul_f64_e32 v[32:33], v[8:9], v[32:33]
	v_add_f64_e32 v[18:19], v[20:21], v[18:19]
	v_add_f64_e32 v[20:21], v[123:124], v[127:128]
	v_fma_f64 v[123:124], v[4:5], v[26:27], v[125:126]
	v_fma_f64 v[26:27], v[2:3], v[26:27], -v[28:29]
	ds_load_b128 v[2:5], v1 offset:1056
	v_fma_f64 v[24:25], v[8:9], v[30:31], v[24:25]
	v_fma_f64 v[30:31], v[6:7], v[30:31], -v[32:33]
	ds_load_b128 v[6:9], v1 offset:1072
	v_add_f64_e32 v[22:23], v[18:19], v[22:23]
	v_add_f64_e32 v[28:29], v[20:21], v[129:130]
	scratch_load_b128 v[18:21], off, off offset:352
	s_wait_loadcnt_dscnt 0x601
	v_mul_f64_e32 v[125:126], v[2:3], v[113:114]
	v_mul_f64_e32 v[113:114], v[4:5], v[113:114]
	s_wait_loadcnt_dscnt 0x500
	v_mul_f64_e32 v[32:33], v[8:9], v[121:122]
	v_add_f64_e32 v[22:23], v[22:23], v[26:27]
	v_add_f64_e32 v[26:27], v[28:29], v[123:124]
	v_mul_f64_e32 v[28:29], v[6:7], v[121:122]
	v_fma_f64 v[121:122], v[4:5], v[111:112], v[125:126]
	v_fma_f64 v[111:112], v[2:3], v[111:112], -v[113:114]
	ds_load_b128 v[2:5], v1 offset:1088
	v_fma_f64 v[32:33], v[6:7], v[119:120], -v[32:33]
	v_add_f64_e32 v[22:23], v[22:23], v[30:31]
	v_add_f64_e32 v[24:25], v[26:27], v[24:25]
	v_fma_f64 v[28:29], v[8:9], v[119:120], v[28:29]
	ds_load_b128 v[6:9], v1 offset:1104
	s_wait_loadcnt_dscnt 0x401
	v_mul_f64_e32 v[26:27], v[2:3], v[36:37]
	v_mul_f64_e32 v[30:31], v[4:5], v[36:37]
	s_wait_loadcnt_dscnt 0x300
	v_mul_f64_e32 v[36:37], v[6:7], v[117:118]
	v_add_f64_e32 v[22:23], v[22:23], v[111:112]
	v_add_f64_e32 v[24:25], v[24:25], v[121:122]
	v_mul_f64_e32 v[111:112], v[8:9], v[117:118]
	v_fma_f64 v[26:27], v[4:5], v[34:35], v[26:27]
	v_fma_f64 v[30:31], v[2:3], v[34:35], -v[30:31]
	ds_load_b128 v[2:5], v1 offset:1120
	v_add_f64_e32 v[22:23], v[22:23], v[32:33]
	v_add_f64_e32 v[24:25], v[24:25], v[28:29]
	v_fma_f64 v[32:33], v[8:9], v[115:116], v[36:37]
	v_fma_f64 v[34:35], v[6:7], v[115:116], -v[111:112]
	ds_load_b128 v[6:9], v1 offset:1136
	s_wait_loadcnt_dscnt 0x201
	v_mul_f64_e32 v[28:29], v[2:3], v[12:13]
	v_mul_f64_e32 v[12:13], v[4:5], v[12:13]
	v_add_f64_e32 v[22:23], v[22:23], v[30:31]
	v_add_f64_e32 v[24:25], v[24:25], v[26:27]
	s_wait_loadcnt_dscnt 0x100
	v_mul_f64_e32 v[26:27], v[6:7], v[16:17]
	v_mul_f64_e32 v[16:17], v[8:9], v[16:17]
	v_fma_f64 v[4:5], v[4:5], v[10:11], v[28:29]
	v_fma_f64 v[1:2], v[2:3], v[10:11], -v[12:13]
	v_add_f64_e32 v[10:11], v[22:23], v[34:35]
	v_add_f64_e32 v[12:13], v[24:25], v[32:33]
	v_fma_f64 v[8:9], v[8:9], v[14:15], v[26:27]
	v_fma_f64 v[6:7], v[6:7], v[14:15], -v[16:17]
	s_delay_alu instid0(VALU_DEP_4) | instskip(NEXT) | instid1(VALU_DEP_4)
	v_add_f64_e32 v[1:2], v[10:11], v[1:2]
	v_add_f64_e32 v[3:4], v[12:13], v[4:5]
	s_delay_alu instid0(VALU_DEP_2) | instskip(NEXT) | instid1(VALU_DEP_2)
	v_add_f64_e32 v[1:2], v[1:2], v[6:7]
	v_add_f64_e32 v[3:4], v[3:4], v[8:9]
	s_wait_loadcnt 0x0
	s_delay_alu instid0(VALU_DEP_2) | instskip(NEXT) | instid1(VALU_DEP_2)
	v_add_f64_e64 v[1:2], v[18:19], -v[1:2]
	v_add_f64_e64 v[3:4], v[20:21], -v[3:4]
	scratch_store_b128 off, v[1:4], off offset:352
	v_cmpx_lt_u32_e32 20, v0
	s_cbranch_execz .LBB35_189
; %bb.188:
	scratch_load_b128 v[1:4], off, s14
	v_mov_b32_e32 v5, 0
	s_delay_alu instid0(VALU_DEP_1)
	v_dual_mov_b32 v6, v5 :: v_dual_mov_b32 v7, v5
	v_mov_b32_e32 v8, v5
	scratch_store_b128 off, v[5:8], off offset:336
	s_wait_loadcnt 0x0
	ds_store_b128 v110, v[1:4]
.LBB35_189:
	s_wait_alu 0xfffe
	s_or_b32 exec_lo, exec_lo, s0
	s_wait_storecnt_dscnt 0x0
	s_barrier_signal -1
	s_barrier_wait -1
	global_inv scope:SCOPE_SE
	s_clause 0x7
	scratch_load_b128 v[2:5], off, off offset:352
	scratch_load_b128 v[6:9], off, off offset:368
	;; [unrolled: 1-line block ×8, first 2 shown]
	v_mov_b32_e32 v1, 0
	s_clause 0x1
	scratch_load_b128 v[111:114], off, off offset:480
	scratch_load_b128 v[119:122], off, off offset:496
	s_mov_b32 s0, exec_lo
	ds_load_b128 v[34:37], v1 offset:912
	ds_load_b128 v[115:118], v1 offset:928
	s_wait_loadcnt_dscnt 0x901
	v_mul_f64_e32 v[123:124], v[36:37], v[4:5]
	v_mul_f64_e32 v[4:5], v[34:35], v[4:5]
	s_wait_loadcnt_dscnt 0x800
	v_mul_f64_e32 v[125:126], v[115:116], v[8:9]
	v_mul_f64_e32 v[8:9], v[117:118], v[8:9]
	s_delay_alu instid0(VALU_DEP_4) | instskip(NEXT) | instid1(VALU_DEP_4)
	v_fma_f64 v[123:124], v[34:35], v[2:3], -v[123:124]
	v_fma_f64 v[127:128], v[36:37], v[2:3], v[4:5]
	ds_load_b128 v[2:5], v1 offset:944
	scratch_load_b128 v[34:37], off, off offset:512
	v_fma_f64 v[125:126], v[117:118], v[6:7], v[125:126]
	v_fma_f64 v[131:132], v[115:116], v[6:7], -v[8:9]
	ds_load_b128 v[6:9], v1 offset:960
	scratch_load_b128 v[115:118], off, off offset:528
	s_wait_loadcnt_dscnt 0x901
	v_mul_f64_e32 v[129:130], v[2:3], v[12:13]
	v_mul_f64_e32 v[12:13], v[4:5], v[12:13]
	s_wait_loadcnt_dscnt 0x800
	v_mul_f64_e32 v[133:134], v[6:7], v[16:17]
	v_mul_f64_e32 v[16:17], v[8:9], v[16:17]
	v_add_f64_e32 v[123:124], 0, v[123:124]
	v_add_f64_e32 v[127:128], 0, v[127:128]
	v_fma_f64 v[129:130], v[4:5], v[10:11], v[129:130]
	v_fma_f64 v[135:136], v[2:3], v[10:11], -v[12:13]
	ds_load_b128 v[2:5], v1 offset:976
	scratch_load_b128 v[10:13], off, off offset:544
	v_add_f64_e32 v[123:124], v[123:124], v[131:132]
	v_add_f64_e32 v[125:126], v[127:128], v[125:126]
	v_fma_f64 v[131:132], v[8:9], v[14:15], v[133:134]
	v_fma_f64 v[133:134], v[6:7], v[14:15], -v[16:17]
	ds_load_b128 v[6:9], v1 offset:992
	scratch_load_b128 v[14:17], off, off offset:560
	s_wait_loadcnt_dscnt 0x901
	v_mul_f64_e32 v[127:128], v[2:3], v[20:21]
	v_mul_f64_e32 v[20:21], v[4:5], v[20:21]
	v_add_f64_e32 v[123:124], v[123:124], v[135:136]
	v_add_f64_e32 v[125:126], v[125:126], v[129:130]
	s_wait_loadcnt_dscnt 0x800
	v_mul_f64_e32 v[129:130], v[6:7], v[24:25]
	v_mul_f64_e32 v[24:25], v[8:9], v[24:25]
	v_fma_f64 v[127:128], v[4:5], v[18:19], v[127:128]
	v_fma_f64 v[135:136], v[2:3], v[18:19], -v[20:21]
	ds_load_b128 v[2:5], v1 offset:1008
	scratch_load_b128 v[18:21], off, off offset:576
	v_add_f64_e32 v[123:124], v[123:124], v[133:134]
	v_add_f64_e32 v[125:126], v[125:126], v[131:132]
	v_fma_f64 v[129:130], v[8:9], v[22:23], v[129:130]
	v_fma_f64 v[22:23], v[6:7], v[22:23], -v[24:25]
	ds_load_b128 v[6:9], v1 offset:1024
	s_wait_loadcnt_dscnt 0x801
	v_mul_f64_e32 v[131:132], v[2:3], v[28:29]
	v_mul_f64_e32 v[28:29], v[4:5], v[28:29]
	v_add_f64_e32 v[24:25], v[123:124], v[135:136]
	v_add_f64_e32 v[123:124], v[125:126], v[127:128]
	s_wait_loadcnt_dscnt 0x700
	v_mul_f64_e32 v[125:126], v[6:7], v[32:33]
	v_mul_f64_e32 v[32:33], v[8:9], v[32:33]
	v_fma_f64 v[127:128], v[4:5], v[26:27], v[131:132]
	v_fma_f64 v[26:27], v[2:3], v[26:27], -v[28:29]
	ds_load_b128 v[2:5], v1 offset:1040
	v_add_f64_e32 v[22:23], v[24:25], v[22:23]
	v_add_f64_e32 v[24:25], v[123:124], v[129:130]
	v_fma_f64 v[123:124], v[8:9], v[30:31], v[125:126]
	v_fma_f64 v[30:31], v[6:7], v[30:31], -v[32:33]
	ds_load_b128 v[6:9], v1 offset:1056
	s_wait_loadcnt_dscnt 0x500
	v_mul_f64_e32 v[125:126], v[6:7], v[121:122]
	v_mul_f64_e32 v[121:122], v[8:9], v[121:122]
	v_add_f64_e32 v[26:27], v[22:23], v[26:27]
	v_add_f64_e32 v[32:33], v[24:25], v[127:128]
	scratch_load_b128 v[22:25], off, off offset:336
	v_mul_f64_e32 v[28:29], v[2:3], v[113:114]
	v_mul_f64_e32 v[113:114], v[4:5], v[113:114]
	v_add_f64_e32 v[26:27], v[26:27], v[30:31]
	v_add_f64_e32 v[30:31], v[32:33], v[123:124]
	s_delay_alu instid0(VALU_DEP_4) | instskip(NEXT) | instid1(VALU_DEP_4)
	v_fma_f64 v[28:29], v[4:5], v[111:112], v[28:29]
	v_fma_f64 v[111:112], v[2:3], v[111:112], -v[113:114]
	ds_load_b128 v[2:5], v1 offset:1072
	v_fma_f64 v[113:114], v[8:9], v[119:120], v[125:126]
	v_fma_f64 v[119:120], v[6:7], v[119:120], -v[121:122]
	ds_load_b128 v[6:9], v1 offset:1088
	s_wait_loadcnt_dscnt 0x501
	v_mul_f64_e32 v[32:33], v[2:3], v[36:37]
	v_mul_f64_e32 v[36:37], v[4:5], v[36:37]
	v_add_f64_e32 v[28:29], v[30:31], v[28:29]
	v_add_f64_e32 v[26:27], v[26:27], v[111:112]
	s_wait_loadcnt_dscnt 0x400
	v_mul_f64_e32 v[30:31], v[6:7], v[117:118]
	v_mul_f64_e32 v[111:112], v[8:9], v[117:118]
	v_fma_f64 v[32:33], v[4:5], v[34:35], v[32:33]
	v_fma_f64 v[34:35], v[2:3], v[34:35], -v[36:37]
	ds_load_b128 v[2:5], v1 offset:1104
	v_add_f64_e32 v[28:29], v[28:29], v[113:114]
	v_add_f64_e32 v[26:27], v[26:27], v[119:120]
	v_fma_f64 v[30:31], v[8:9], v[115:116], v[30:31]
	v_fma_f64 v[111:112], v[6:7], v[115:116], -v[111:112]
	ds_load_b128 v[6:9], v1 offset:1120
	s_wait_loadcnt_dscnt 0x301
	v_mul_f64_e32 v[36:37], v[2:3], v[12:13]
	v_mul_f64_e32 v[12:13], v[4:5], v[12:13]
	v_add_f64_e32 v[28:29], v[28:29], v[32:33]
	v_add_f64_e32 v[26:27], v[26:27], v[34:35]
	s_wait_loadcnt_dscnt 0x200
	v_mul_f64_e32 v[32:33], v[6:7], v[16:17]
	v_mul_f64_e32 v[16:17], v[8:9], v[16:17]
	v_fma_f64 v[34:35], v[4:5], v[10:11], v[36:37]
	v_fma_f64 v[10:11], v[2:3], v[10:11], -v[12:13]
	ds_load_b128 v[2:5], v1 offset:1136
	v_add_f64_e32 v[12:13], v[26:27], v[111:112]
	v_add_f64_e32 v[26:27], v[28:29], v[30:31]
	s_wait_loadcnt_dscnt 0x100
	v_mul_f64_e32 v[28:29], v[2:3], v[20:21]
	v_mul_f64_e32 v[20:21], v[4:5], v[20:21]
	v_fma_f64 v[8:9], v[8:9], v[14:15], v[32:33]
	v_fma_f64 v[6:7], v[6:7], v[14:15], -v[16:17]
	v_add_f64_e32 v[10:11], v[12:13], v[10:11]
	v_add_f64_e32 v[12:13], v[26:27], v[34:35]
	v_fma_f64 v[4:5], v[4:5], v[18:19], v[28:29]
	v_fma_f64 v[2:3], v[2:3], v[18:19], -v[20:21]
	s_delay_alu instid0(VALU_DEP_4) | instskip(NEXT) | instid1(VALU_DEP_4)
	v_add_f64_e32 v[6:7], v[10:11], v[6:7]
	v_add_f64_e32 v[8:9], v[12:13], v[8:9]
	s_delay_alu instid0(VALU_DEP_2) | instskip(NEXT) | instid1(VALU_DEP_2)
	v_add_f64_e32 v[2:3], v[6:7], v[2:3]
	v_add_f64_e32 v[4:5], v[8:9], v[4:5]
	s_wait_loadcnt 0x0
	s_delay_alu instid0(VALU_DEP_2) | instskip(NEXT) | instid1(VALU_DEP_2)
	v_add_f64_e64 v[2:3], v[22:23], -v[2:3]
	v_add_f64_e64 v[4:5], v[24:25], -v[4:5]
	scratch_store_b128 off, v[2:5], off offset:336
	v_cmpx_lt_u32_e32 19, v0
	s_cbranch_execz .LBB35_191
; %bb.190:
	scratch_load_b128 v[5:8], off, s13
	v_dual_mov_b32 v2, v1 :: v_dual_mov_b32 v3, v1
	v_mov_b32_e32 v4, v1
	scratch_store_b128 off, v[1:4], off offset:320
	s_wait_loadcnt 0x0
	ds_store_b128 v110, v[5:8]
.LBB35_191:
	s_wait_alu 0xfffe
	s_or_b32 exec_lo, exec_lo, s0
	s_wait_storecnt_dscnt 0x0
	s_barrier_signal -1
	s_barrier_wait -1
	global_inv scope:SCOPE_SE
	s_clause 0x7
	scratch_load_b128 v[2:5], off, off offset:336
	scratch_load_b128 v[6:9], off, off offset:352
	;; [unrolled: 1-line block ×8, first 2 shown]
	ds_load_b128 v[34:37], v1 offset:896
	ds_load_b128 v[115:118], v1 offset:912
	s_clause 0x1
	scratch_load_b128 v[111:114], off, off offset:464
	scratch_load_b128 v[119:122], off, off offset:480
	s_mov_b32 s0, exec_lo
	s_wait_loadcnt_dscnt 0x901
	v_mul_f64_e32 v[123:124], v[36:37], v[4:5]
	v_mul_f64_e32 v[4:5], v[34:35], v[4:5]
	s_wait_loadcnt_dscnt 0x800
	v_mul_f64_e32 v[125:126], v[115:116], v[8:9]
	v_mul_f64_e32 v[8:9], v[117:118], v[8:9]
	s_delay_alu instid0(VALU_DEP_4) | instskip(NEXT) | instid1(VALU_DEP_4)
	v_fma_f64 v[123:124], v[34:35], v[2:3], -v[123:124]
	v_fma_f64 v[127:128], v[36:37], v[2:3], v[4:5]
	ds_load_b128 v[2:5], v1 offset:928
	scratch_load_b128 v[34:37], off, off offset:496
	v_fma_f64 v[125:126], v[117:118], v[6:7], v[125:126]
	v_fma_f64 v[131:132], v[115:116], v[6:7], -v[8:9]
	ds_load_b128 v[6:9], v1 offset:944
	scratch_load_b128 v[115:118], off, off offset:512
	s_wait_loadcnt_dscnt 0x901
	v_mul_f64_e32 v[129:130], v[2:3], v[12:13]
	v_mul_f64_e32 v[12:13], v[4:5], v[12:13]
	s_wait_loadcnt_dscnt 0x800
	v_mul_f64_e32 v[133:134], v[6:7], v[16:17]
	v_mul_f64_e32 v[16:17], v[8:9], v[16:17]
	v_add_f64_e32 v[123:124], 0, v[123:124]
	v_add_f64_e32 v[127:128], 0, v[127:128]
	v_fma_f64 v[129:130], v[4:5], v[10:11], v[129:130]
	v_fma_f64 v[135:136], v[2:3], v[10:11], -v[12:13]
	ds_load_b128 v[2:5], v1 offset:960
	scratch_load_b128 v[10:13], off, off offset:528
	v_add_f64_e32 v[123:124], v[123:124], v[131:132]
	v_add_f64_e32 v[125:126], v[127:128], v[125:126]
	v_fma_f64 v[131:132], v[8:9], v[14:15], v[133:134]
	v_fma_f64 v[133:134], v[6:7], v[14:15], -v[16:17]
	ds_load_b128 v[6:9], v1 offset:976
	scratch_load_b128 v[14:17], off, off offset:544
	s_wait_loadcnt_dscnt 0x901
	v_mul_f64_e32 v[127:128], v[2:3], v[20:21]
	v_mul_f64_e32 v[20:21], v[4:5], v[20:21]
	v_add_f64_e32 v[123:124], v[123:124], v[135:136]
	v_add_f64_e32 v[125:126], v[125:126], v[129:130]
	s_wait_loadcnt_dscnt 0x800
	v_mul_f64_e32 v[129:130], v[6:7], v[24:25]
	v_mul_f64_e32 v[24:25], v[8:9], v[24:25]
	v_fma_f64 v[127:128], v[4:5], v[18:19], v[127:128]
	v_fma_f64 v[135:136], v[2:3], v[18:19], -v[20:21]
	ds_load_b128 v[2:5], v1 offset:992
	scratch_load_b128 v[18:21], off, off offset:560
	v_add_f64_e32 v[123:124], v[123:124], v[133:134]
	v_add_f64_e32 v[125:126], v[125:126], v[131:132]
	v_fma_f64 v[129:130], v[8:9], v[22:23], v[129:130]
	v_fma_f64 v[133:134], v[6:7], v[22:23], -v[24:25]
	ds_load_b128 v[6:9], v1 offset:1008
	s_wait_loadcnt_dscnt 0x801
	v_mul_f64_e32 v[131:132], v[2:3], v[28:29]
	v_mul_f64_e32 v[28:29], v[4:5], v[28:29]
	scratch_load_b128 v[22:25], off, off offset:576
	v_add_f64_e32 v[123:124], v[123:124], v[135:136]
	v_add_f64_e32 v[125:126], v[125:126], v[127:128]
	s_wait_loadcnt_dscnt 0x800
	v_mul_f64_e32 v[127:128], v[6:7], v[32:33]
	v_mul_f64_e32 v[32:33], v[8:9], v[32:33]
	v_fma_f64 v[131:132], v[4:5], v[26:27], v[131:132]
	v_fma_f64 v[26:27], v[2:3], v[26:27], -v[28:29]
	ds_load_b128 v[2:5], v1 offset:1024
	v_add_f64_e32 v[28:29], v[123:124], v[133:134]
	v_add_f64_e32 v[123:124], v[125:126], v[129:130]
	v_fma_f64 v[127:128], v[8:9], v[30:31], v[127:128]
	v_fma_f64 v[30:31], v[6:7], v[30:31], -v[32:33]
	ds_load_b128 v[6:9], v1 offset:1040
	s_wait_loadcnt_dscnt 0x701
	v_mul_f64_e32 v[125:126], v[2:3], v[113:114]
	v_mul_f64_e32 v[113:114], v[4:5], v[113:114]
	v_add_f64_e32 v[26:27], v[28:29], v[26:27]
	v_add_f64_e32 v[28:29], v[123:124], v[131:132]
	s_delay_alu instid0(VALU_DEP_4) | instskip(NEXT) | instid1(VALU_DEP_4)
	v_fma_f64 v[123:124], v[4:5], v[111:112], v[125:126]
	v_fma_f64 v[111:112], v[2:3], v[111:112], -v[113:114]
	ds_load_b128 v[2:5], v1 offset:1056
	v_add_f64_e32 v[30:31], v[26:27], v[30:31]
	v_add_f64_e32 v[113:114], v[28:29], v[127:128]
	scratch_load_b128 v[26:29], off, off offset:320
	s_wait_loadcnt_dscnt 0x701
	v_mul_f64_e32 v[32:33], v[6:7], v[121:122]
	v_mul_f64_e32 v[121:122], v[8:9], v[121:122]
	v_add_f64_e32 v[30:31], v[30:31], v[111:112]
	v_add_f64_e32 v[111:112], v[113:114], v[123:124]
	s_delay_alu instid0(VALU_DEP_4) | instskip(NEXT) | instid1(VALU_DEP_4)
	v_fma_f64 v[32:33], v[8:9], v[119:120], v[32:33]
	v_fma_f64 v[119:120], v[6:7], v[119:120], -v[121:122]
	ds_load_b128 v[6:9], v1 offset:1072
	s_wait_loadcnt_dscnt 0x601
	v_mul_f64_e32 v[125:126], v[2:3], v[36:37]
	v_mul_f64_e32 v[36:37], v[4:5], v[36:37]
	s_wait_loadcnt_dscnt 0x500
	v_mul_f64_e32 v[113:114], v[6:7], v[117:118]
	v_mul_f64_e32 v[117:118], v[8:9], v[117:118]
	v_add_f64_e32 v[32:33], v[111:112], v[32:33]
	v_add_f64_e32 v[30:31], v[30:31], v[119:120]
	v_fma_f64 v[121:122], v[4:5], v[34:35], v[125:126]
	v_fma_f64 v[34:35], v[2:3], v[34:35], -v[36:37]
	ds_load_b128 v[2:5], v1 offset:1088
	v_fma_f64 v[111:112], v[8:9], v[115:116], v[113:114]
	v_fma_f64 v[113:114], v[6:7], v[115:116], -v[117:118]
	ds_load_b128 v[6:9], v1 offset:1104
	s_wait_loadcnt_dscnt 0x401
	v_mul_f64_e32 v[36:37], v[2:3], v[12:13]
	v_mul_f64_e32 v[12:13], v[4:5], v[12:13]
	v_add_f64_e32 v[32:33], v[32:33], v[121:122]
	v_add_f64_e32 v[30:31], v[30:31], v[34:35]
	s_wait_loadcnt_dscnt 0x300
	v_mul_f64_e32 v[34:35], v[6:7], v[16:17]
	v_mul_f64_e32 v[16:17], v[8:9], v[16:17]
	v_fma_f64 v[36:37], v[4:5], v[10:11], v[36:37]
	v_fma_f64 v[10:11], v[2:3], v[10:11], -v[12:13]
	ds_load_b128 v[2:5], v1 offset:1120
	v_add_f64_e32 v[12:13], v[30:31], v[113:114]
	v_add_f64_e32 v[30:31], v[32:33], v[111:112]
	v_fma_f64 v[34:35], v[8:9], v[14:15], v[34:35]
	v_fma_f64 v[14:15], v[6:7], v[14:15], -v[16:17]
	ds_load_b128 v[6:9], v1 offset:1136
	s_wait_loadcnt_dscnt 0x201
	v_mul_f64_e32 v[32:33], v[2:3], v[20:21]
	v_mul_f64_e32 v[20:21], v[4:5], v[20:21]
	s_wait_loadcnt_dscnt 0x100
	v_mul_f64_e32 v[16:17], v[6:7], v[24:25]
	v_mul_f64_e32 v[24:25], v[8:9], v[24:25]
	v_add_f64_e32 v[10:11], v[12:13], v[10:11]
	v_add_f64_e32 v[12:13], v[30:31], v[36:37]
	v_fma_f64 v[4:5], v[4:5], v[18:19], v[32:33]
	v_fma_f64 v[1:2], v[2:3], v[18:19], -v[20:21]
	v_fma_f64 v[8:9], v[8:9], v[22:23], v[16:17]
	v_fma_f64 v[6:7], v[6:7], v[22:23], -v[24:25]
	v_add_f64_e32 v[10:11], v[10:11], v[14:15]
	v_add_f64_e32 v[12:13], v[12:13], v[34:35]
	s_delay_alu instid0(VALU_DEP_2) | instskip(NEXT) | instid1(VALU_DEP_2)
	v_add_f64_e32 v[1:2], v[10:11], v[1:2]
	v_add_f64_e32 v[3:4], v[12:13], v[4:5]
	s_delay_alu instid0(VALU_DEP_2) | instskip(NEXT) | instid1(VALU_DEP_2)
	v_add_f64_e32 v[1:2], v[1:2], v[6:7]
	v_add_f64_e32 v[3:4], v[3:4], v[8:9]
	s_wait_loadcnt 0x0
	s_delay_alu instid0(VALU_DEP_2) | instskip(NEXT) | instid1(VALU_DEP_2)
	v_add_f64_e64 v[1:2], v[26:27], -v[1:2]
	v_add_f64_e64 v[3:4], v[28:29], -v[3:4]
	scratch_store_b128 off, v[1:4], off offset:320
	v_cmpx_lt_u32_e32 18, v0
	s_cbranch_execz .LBB35_193
; %bb.192:
	scratch_load_b128 v[1:4], off, s19
	v_mov_b32_e32 v5, 0
	s_delay_alu instid0(VALU_DEP_1)
	v_dual_mov_b32 v6, v5 :: v_dual_mov_b32 v7, v5
	v_mov_b32_e32 v8, v5
	scratch_store_b128 off, v[5:8], off offset:304
	s_wait_loadcnt 0x0
	ds_store_b128 v110, v[1:4]
.LBB35_193:
	s_wait_alu 0xfffe
	s_or_b32 exec_lo, exec_lo, s0
	s_wait_storecnt_dscnt 0x0
	s_barrier_signal -1
	s_barrier_wait -1
	global_inv scope:SCOPE_SE
	s_clause 0x7
	scratch_load_b128 v[2:5], off, off offset:320
	scratch_load_b128 v[6:9], off, off offset:336
	;; [unrolled: 1-line block ×8, first 2 shown]
	v_mov_b32_e32 v1, 0
	s_clause 0x1
	scratch_load_b128 v[111:114], off, off offset:448
	scratch_load_b128 v[119:122], off, off offset:464
	s_mov_b32 s0, exec_lo
	ds_load_b128 v[34:37], v1 offset:880
	ds_load_b128 v[115:118], v1 offset:896
	s_wait_loadcnt_dscnt 0x901
	v_mul_f64_e32 v[123:124], v[36:37], v[4:5]
	v_mul_f64_e32 v[4:5], v[34:35], v[4:5]
	s_wait_loadcnt_dscnt 0x800
	v_mul_f64_e32 v[125:126], v[115:116], v[8:9]
	v_mul_f64_e32 v[8:9], v[117:118], v[8:9]
	s_delay_alu instid0(VALU_DEP_4) | instskip(NEXT) | instid1(VALU_DEP_4)
	v_fma_f64 v[123:124], v[34:35], v[2:3], -v[123:124]
	v_fma_f64 v[127:128], v[36:37], v[2:3], v[4:5]
	ds_load_b128 v[2:5], v1 offset:912
	scratch_load_b128 v[34:37], off, off offset:480
	v_fma_f64 v[125:126], v[117:118], v[6:7], v[125:126]
	v_fma_f64 v[131:132], v[115:116], v[6:7], -v[8:9]
	ds_load_b128 v[6:9], v1 offset:928
	scratch_load_b128 v[115:118], off, off offset:496
	s_wait_loadcnt_dscnt 0x901
	v_mul_f64_e32 v[129:130], v[2:3], v[12:13]
	v_mul_f64_e32 v[12:13], v[4:5], v[12:13]
	s_wait_loadcnt_dscnt 0x800
	v_mul_f64_e32 v[133:134], v[6:7], v[16:17]
	v_mul_f64_e32 v[16:17], v[8:9], v[16:17]
	v_add_f64_e32 v[123:124], 0, v[123:124]
	v_add_f64_e32 v[127:128], 0, v[127:128]
	v_fma_f64 v[129:130], v[4:5], v[10:11], v[129:130]
	v_fma_f64 v[135:136], v[2:3], v[10:11], -v[12:13]
	ds_load_b128 v[2:5], v1 offset:944
	scratch_load_b128 v[10:13], off, off offset:512
	v_add_f64_e32 v[123:124], v[123:124], v[131:132]
	v_add_f64_e32 v[125:126], v[127:128], v[125:126]
	v_fma_f64 v[131:132], v[8:9], v[14:15], v[133:134]
	v_fma_f64 v[133:134], v[6:7], v[14:15], -v[16:17]
	ds_load_b128 v[6:9], v1 offset:960
	scratch_load_b128 v[14:17], off, off offset:528
	s_wait_loadcnt_dscnt 0x901
	v_mul_f64_e32 v[127:128], v[2:3], v[20:21]
	v_mul_f64_e32 v[20:21], v[4:5], v[20:21]
	v_add_f64_e32 v[123:124], v[123:124], v[135:136]
	v_add_f64_e32 v[125:126], v[125:126], v[129:130]
	s_wait_loadcnt_dscnt 0x800
	v_mul_f64_e32 v[129:130], v[6:7], v[24:25]
	v_mul_f64_e32 v[24:25], v[8:9], v[24:25]
	v_fma_f64 v[127:128], v[4:5], v[18:19], v[127:128]
	v_fma_f64 v[135:136], v[2:3], v[18:19], -v[20:21]
	ds_load_b128 v[2:5], v1 offset:976
	scratch_load_b128 v[18:21], off, off offset:544
	v_add_f64_e32 v[123:124], v[123:124], v[133:134]
	v_add_f64_e32 v[125:126], v[125:126], v[131:132]
	v_fma_f64 v[129:130], v[8:9], v[22:23], v[129:130]
	v_fma_f64 v[133:134], v[6:7], v[22:23], -v[24:25]
	ds_load_b128 v[6:9], v1 offset:992
	s_wait_loadcnt_dscnt 0x801
	v_mul_f64_e32 v[131:132], v[2:3], v[28:29]
	v_mul_f64_e32 v[28:29], v[4:5], v[28:29]
	scratch_load_b128 v[22:25], off, off offset:560
	v_add_f64_e32 v[123:124], v[123:124], v[135:136]
	v_add_f64_e32 v[125:126], v[125:126], v[127:128]
	s_wait_loadcnt_dscnt 0x800
	v_mul_f64_e32 v[127:128], v[6:7], v[32:33]
	v_mul_f64_e32 v[32:33], v[8:9], v[32:33]
	v_fma_f64 v[131:132], v[4:5], v[26:27], v[131:132]
	v_fma_f64 v[135:136], v[2:3], v[26:27], -v[28:29]
	ds_load_b128 v[2:5], v1 offset:1008
	scratch_load_b128 v[26:29], off, off offset:576
	v_add_f64_e32 v[123:124], v[123:124], v[133:134]
	v_add_f64_e32 v[125:126], v[125:126], v[129:130]
	v_fma_f64 v[127:128], v[8:9], v[30:31], v[127:128]
	v_fma_f64 v[30:31], v[6:7], v[30:31], -v[32:33]
	ds_load_b128 v[6:9], v1 offset:1024
	s_wait_loadcnt_dscnt 0x801
	v_mul_f64_e32 v[129:130], v[2:3], v[113:114]
	v_mul_f64_e32 v[113:114], v[4:5], v[113:114]
	v_add_f64_e32 v[32:33], v[123:124], v[135:136]
	v_add_f64_e32 v[123:124], v[125:126], v[131:132]
	s_wait_loadcnt_dscnt 0x700
	v_mul_f64_e32 v[125:126], v[6:7], v[121:122]
	v_mul_f64_e32 v[121:122], v[8:9], v[121:122]
	v_fma_f64 v[129:130], v[4:5], v[111:112], v[129:130]
	v_fma_f64 v[111:112], v[2:3], v[111:112], -v[113:114]
	ds_load_b128 v[2:5], v1 offset:1040
	v_add_f64_e32 v[30:31], v[32:33], v[30:31]
	v_add_f64_e32 v[32:33], v[123:124], v[127:128]
	v_fma_f64 v[123:124], v[8:9], v[119:120], v[125:126]
	v_fma_f64 v[119:120], v[6:7], v[119:120], -v[121:122]
	ds_load_b128 v[6:9], v1 offset:1056
	s_wait_loadcnt_dscnt 0x500
	v_mul_f64_e32 v[125:126], v[6:7], v[117:118]
	v_mul_f64_e32 v[117:118], v[8:9], v[117:118]
	v_add_f64_e32 v[111:112], v[30:31], v[111:112]
	v_add_f64_e32 v[121:122], v[32:33], v[129:130]
	scratch_load_b128 v[30:33], off, off offset:304
	v_mul_f64_e32 v[113:114], v[2:3], v[36:37]
	v_mul_f64_e32 v[36:37], v[4:5], v[36:37]
	s_delay_alu instid0(VALU_DEP_2) | instskip(NEXT) | instid1(VALU_DEP_2)
	v_fma_f64 v[113:114], v[4:5], v[34:35], v[113:114]
	v_fma_f64 v[34:35], v[2:3], v[34:35], -v[36:37]
	v_add_f64_e32 v[36:37], v[111:112], v[119:120]
	v_add_f64_e32 v[111:112], v[121:122], v[123:124]
	ds_load_b128 v[2:5], v1 offset:1072
	v_fma_f64 v[121:122], v[8:9], v[115:116], v[125:126]
	v_fma_f64 v[115:116], v[6:7], v[115:116], -v[117:118]
	ds_load_b128 v[6:9], v1 offset:1088
	s_wait_loadcnt_dscnt 0x501
	v_mul_f64_e32 v[119:120], v[2:3], v[12:13]
	v_mul_f64_e32 v[12:13], v[4:5], v[12:13]
	v_add_f64_e32 v[34:35], v[36:37], v[34:35]
	v_add_f64_e32 v[36:37], v[111:112], v[113:114]
	s_wait_loadcnt_dscnt 0x400
	v_mul_f64_e32 v[111:112], v[6:7], v[16:17]
	v_mul_f64_e32 v[16:17], v[8:9], v[16:17]
	v_fma_f64 v[113:114], v[4:5], v[10:11], v[119:120]
	v_fma_f64 v[10:11], v[2:3], v[10:11], -v[12:13]
	ds_load_b128 v[2:5], v1 offset:1104
	v_add_f64_e32 v[12:13], v[34:35], v[115:116]
	v_add_f64_e32 v[34:35], v[36:37], v[121:122]
	v_fma_f64 v[111:112], v[8:9], v[14:15], v[111:112]
	v_fma_f64 v[14:15], v[6:7], v[14:15], -v[16:17]
	ds_load_b128 v[6:9], v1 offset:1120
	s_wait_loadcnt_dscnt 0x301
	v_mul_f64_e32 v[36:37], v[2:3], v[20:21]
	v_mul_f64_e32 v[20:21], v[4:5], v[20:21]
	s_wait_loadcnt_dscnt 0x200
	v_mul_f64_e32 v[16:17], v[6:7], v[24:25]
	v_mul_f64_e32 v[24:25], v[8:9], v[24:25]
	v_add_f64_e32 v[10:11], v[12:13], v[10:11]
	v_add_f64_e32 v[12:13], v[34:35], v[113:114]
	v_fma_f64 v[34:35], v[4:5], v[18:19], v[36:37]
	v_fma_f64 v[18:19], v[2:3], v[18:19], -v[20:21]
	ds_load_b128 v[2:5], v1 offset:1136
	v_fma_f64 v[8:9], v[8:9], v[22:23], v[16:17]
	v_fma_f64 v[6:7], v[6:7], v[22:23], -v[24:25]
	s_wait_loadcnt_dscnt 0x100
	v_mul_f64_e32 v[20:21], v[4:5], v[28:29]
	v_add_f64_e32 v[10:11], v[10:11], v[14:15]
	v_add_f64_e32 v[12:13], v[12:13], v[111:112]
	v_mul_f64_e32 v[14:15], v[2:3], v[28:29]
	s_delay_alu instid0(VALU_DEP_4) | instskip(NEXT) | instid1(VALU_DEP_4)
	v_fma_f64 v[2:3], v[2:3], v[26:27], -v[20:21]
	v_add_f64_e32 v[10:11], v[10:11], v[18:19]
	s_delay_alu instid0(VALU_DEP_4) | instskip(NEXT) | instid1(VALU_DEP_4)
	v_add_f64_e32 v[12:13], v[12:13], v[34:35]
	v_fma_f64 v[4:5], v[4:5], v[26:27], v[14:15]
	s_delay_alu instid0(VALU_DEP_3) | instskip(NEXT) | instid1(VALU_DEP_3)
	v_add_f64_e32 v[6:7], v[10:11], v[6:7]
	v_add_f64_e32 v[8:9], v[12:13], v[8:9]
	s_delay_alu instid0(VALU_DEP_2) | instskip(NEXT) | instid1(VALU_DEP_2)
	v_add_f64_e32 v[2:3], v[6:7], v[2:3]
	v_add_f64_e32 v[4:5], v[8:9], v[4:5]
	s_wait_loadcnt 0x0
	s_delay_alu instid0(VALU_DEP_2) | instskip(NEXT) | instid1(VALU_DEP_2)
	v_add_f64_e64 v[2:3], v[30:31], -v[2:3]
	v_add_f64_e64 v[4:5], v[32:33], -v[4:5]
	scratch_store_b128 off, v[2:5], off offset:304
	v_cmpx_lt_u32_e32 17, v0
	s_cbranch_execz .LBB35_195
; %bb.194:
	scratch_load_b128 v[5:8], off, s15
	v_dual_mov_b32 v2, v1 :: v_dual_mov_b32 v3, v1
	v_mov_b32_e32 v4, v1
	scratch_store_b128 off, v[1:4], off offset:288
	s_wait_loadcnt 0x0
	ds_store_b128 v110, v[5:8]
.LBB35_195:
	s_wait_alu 0xfffe
	s_or_b32 exec_lo, exec_lo, s0
	s_wait_storecnt_dscnt 0x0
	s_barrier_signal -1
	s_barrier_wait -1
	global_inv scope:SCOPE_SE
	s_clause 0x7
	scratch_load_b128 v[2:5], off, off offset:304
	scratch_load_b128 v[6:9], off, off offset:320
	;; [unrolled: 1-line block ×8, first 2 shown]
	ds_load_b128 v[34:37], v1 offset:864
	ds_load_b128 v[115:118], v1 offset:880
	s_clause 0x1
	scratch_load_b128 v[111:114], off, off offset:432
	scratch_load_b128 v[119:122], off, off offset:448
	s_mov_b32 s0, exec_lo
	s_wait_loadcnt_dscnt 0x901
	v_mul_f64_e32 v[123:124], v[36:37], v[4:5]
	v_mul_f64_e32 v[4:5], v[34:35], v[4:5]
	s_wait_loadcnt_dscnt 0x800
	v_mul_f64_e32 v[125:126], v[115:116], v[8:9]
	v_mul_f64_e32 v[8:9], v[117:118], v[8:9]
	s_delay_alu instid0(VALU_DEP_4) | instskip(NEXT) | instid1(VALU_DEP_4)
	v_fma_f64 v[123:124], v[34:35], v[2:3], -v[123:124]
	v_fma_f64 v[127:128], v[36:37], v[2:3], v[4:5]
	scratch_load_b128 v[34:37], off, off offset:464
	ds_load_b128 v[2:5], v1 offset:896
	v_fma_f64 v[125:126], v[117:118], v[6:7], v[125:126]
	v_fma_f64 v[131:132], v[115:116], v[6:7], -v[8:9]
	ds_load_b128 v[6:9], v1 offset:912
	scratch_load_b128 v[115:118], off, off offset:480
	s_wait_loadcnt_dscnt 0x901
	v_mul_f64_e32 v[129:130], v[2:3], v[12:13]
	v_mul_f64_e32 v[12:13], v[4:5], v[12:13]
	s_wait_loadcnt_dscnt 0x800
	v_mul_f64_e32 v[133:134], v[6:7], v[16:17]
	v_mul_f64_e32 v[16:17], v[8:9], v[16:17]
	v_add_f64_e32 v[123:124], 0, v[123:124]
	v_add_f64_e32 v[127:128], 0, v[127:128]
	v_fma_f64 v[129:130], v[4:5], v[10:11], v[129:130]
	v_fma_f64 v[135:136], v[2:3], v[10:11], -v[12:13]
	ds_load_b128 v[2:5], v1 offset:928
	scratch_load_b128 v[10:13], off, off offset:496
	v_add_f64_e32 v[123:124], v[123:124], v[131:132]
	v_add_f64_e32 v[125:126], v[127:128], v[125:126]
	v_fma_f64 v[131:132], v[8:9], v[14:15], v[133:134]
	v_fma_f64 v[133:134], v[6:7], v[14:15], -v[16:17]
	ds_load_b128 v[6:9], v1 offset:944
	scratch_load_b128 v[14:17], off, off offset:512
	s_wait_loadcnt_dscnt 0x901
	v_mul_f64_e32 v[127:128], v[2:3], v[20:21]
	v_mul_f64_e32 v[20:21], v[4:5], v[20:21]
	v_add_f64_e32 v[123:124], v[123:124], v[135:136]
	v_add_f64_e32 v[125:126], v[125:126], v[129:130]
	s_wait_loadcnt_dscnt 0x800
	v_mul_f64_e32 v[129:130], v[6:7], v[24:25]
	v_mul_f64_e32 v[24:25], v[8:9], v[24:25]
	v_fma_f64 v[127:128], v[4:5], v[18:19], v[127:128]
	v_fma_f64 v[135:136], v[2:3], v[18:19], -v[20:21]
	ds_load_b128 v[2:5], v1 offset:960
	scratch_load_b128 v[18:21], off, off offset:528
	v_add_f64_e32 v[123:124], v[123:124], v[133:134]
	v_add_f64_e32 v[125:126], v[125:126], v[131:132]
	v_fma_f64 v[129:130], v[8:9], v[22:23], v[129:130]
	v_fma_f64 v[133:134], v[6:7], v[22:23], -v[24:25]
	ds_load_b128 v[6:9], v1 offset:976
	s_wait_loadcnt_dscnt 0x801
	v_mul_f64_e32 v[131:132], v[2:3], v[28:29]
	v_mul_f64_e32 v[28:29], v[4:5], v[28:29]
	scratch_load_b128 v[22:25], off, off offset:544
	v_add_f64_e32 v[123:124], v[123:124], v[135:136]
	v_add_f64_e32 v[125:126], v[125:126], v[127:128]
	s_wait_loadcnt_dscnt 0x800
	v_mul_f64_e32 v[127:128], v[6:7], v[32:33]
	v_mul_f64_e32 v[32:33], v[8:9], v[32:33]
	v_fma_f64 v[131:132], v[4:5], v[26:27], v[131:132]
	v_fma_f64 v[135:136], v[2:3], v[26:27], -v[28:29]
	ds_load_b128 v[2:5], v1 offset:992
	scratch_load_b128 v[26:29], off, off offset:560
	v_add_f64_e32 v[123:124], v[123:124], v[133:134]
	v_add_f64_e32 v[125:126], v[125:126], v[129:130]
	v_fma_f64 v[127:128], v[8:9], v[30:31], v[127:128]
	v_fma_f64 v[133:134], v[6:7], v[30:31], -v[32:33]
	ds_load_b128 v[6:9], v1 offset:1008
	s_wait_loadcnt_dscnt 0x801
	v_mul_f64_e32 v[129:130], v[2:3], v[113:114]
	v_mul_f64_e32 v[113:114], v[4:5], v[113:114]
	scratch_load_b128 v[30:33], off, off offset:576
	v_add_f64_e32 v[123:124], v[123:124], v[135:136]
	v_add_f64_e32 v[125:126], v[125:126], v[131:132]
	v_fma_f64 v[129:130], v[4:5], v[111:112], v[129:130]
	v_fma_f64 v[111:112], v[2:3], v[111:112], -v[113:114]
	ds_load_b128 v[2:5], v1 offset:1024
	v_add_f64_e32 v[113:114], v[123:124], v[133:134]
	v_add_f64_e32 v[123:124], v[125:126], v[127:128]
	s_wait_loadcnt_dscnt 0x700
	v_mul_f64_e32 v[125:126], v[2:3], v[36:37]
	v_mul_f64_e32 v[36:37], v[4:5], v[36:37]
	s_delay_alu instid0(VALU_DEP_4) | instskip(NEXT) | instid1(VALU_DEP_4)
	v_add_f64_e32 v[111:112], v[113:114], v[111:112]
	v_add_f64_e32 v[113:114], v[123:124], v[129:130]
	s_delay_alu instid0(VALU_DEP_4) | instskip(NEXT) | instid1(VALU_DEP_4)
	v_fma_f64 v[123:124], v[4:5], v[34:35], v[125:126]
	v_fma_f64 v[125:126], v[2:3], v[34:35], -v[36:37]
	scratch_load_b128 v[34:37], off, off offset:288
	v_mul_f64_e32 v[131:132], v[6:7], v[121:122]
	v_mul_f64_e32 v[121:122], v[8:9], v[121:122]
	ds_load_b128 v[2:5], v1 offset:1056
	v_fma_f64 v[127:128], v[8:9], v[119:120], v[131:132]
	v_fma_f64 v[119:120], v[6:7], v[119:120], -v[121:122]
	ds_load_b128 v[6:9], v1 offset:1040
	s_wait_loadcnt_dscnt 0x700
	v_mul_f64_e32 v[121:122], v[6:7], v[117:118]
	v_mul_f64_e32 v[117:118], v[8:9], v[117:118]
	v_add_f64_e32 v[113:114], v[113:114], v[127:128]
	v_add_f64_e32 v[111:112], v[111:112], v[119:120]
	s_wait_loadcnt 0x6
	v_mul_f64_e32 v[119:120], v[2:3], v[12:13]
	v_mul_f64_e32 v[12:13], v[4:5], v[12:13]
	v_fma_f64 v[121:122], v[8:9], v[115:116], v[121:122]
	v_fma_f64 v[115:116], v[6:7], v[115:116], -v[117:118]
	ds_load_b128 v[6:9], v1 offset:1072
	v_add_f64_e32 v[113:114], v[113:114], v[123:124]
	v_add_f64_e32 v[111:112], v[111:112], v[125:126]
	v_fma_f64 v[119:120], v[4:5], v[10:11], v[119:120]
	v_fma_f64 v[10:11], v[2:3], v[10:11], -v[12:13]
	ds_load_b128 v[2:5], v1 offset:1088
	s_wait_loadcnt_dscnt 0x501
	v_mul_f64_e32 v[117:118], v[6:7], v[16:17]
	v_mul_f64_e32 v[16:17], v[8:9], v[16:17]
	v_add_f64_e32 v[12:13], v[111:112], v[115:116]
	v_add_f64_e32 v[111:112], v[113:114], v[121:122]
	s_wait_loadcnt_dscnt 0x400
	v_mul_f64_e32 v[113:114], v[2:3], v[20:21]
	v_mul_f64_e32 v[20:21], v[4:5], v[20:21]
	v_fma_f64 v[115:116], v[8:9], v[14:15], v[117:118]
	v_fma_f64 v[14:15], v[6:7], v[14:15], -v[16:17]
	ds_load_b128 v[6:9], v1 offset:1104
	v_add_f64_e32 v[10:11], v[12:13], v[10:11]
	v_add_f64_e32 v[12:13], v[111:112], v[119:120]
	v_fma_f64 v[111:112], v[4:5], v[18:19], v[113:114]
	v_fma_f64 v[18:19], v[2:3], v[18:19], -v[20:21]
	ds_load_b128 v[2:5], v1 offset:1120
	s_wait_loadcnt_dscnt 0x301
	v_mul_f64_e32 v[16:17], v[6:7], v[24:25]
	v_mul_f64_e32 v[24:25], v[8:9], v[24:25]
	s_wait_loadcnt_dscnt 0x200
	v_mul_f64_e32 v[20:21], v[4:5], v[28:29]
	v_add_f64_e32 v[10:11], v[10:11], v[14:15]
	v_add_f64_e32 v[12:13], v[12:13], v[115:116]
	v_mul_f64_e32 v[14:15], v[2:3], v[28:29]
	v_fma_f64 v[16:17], v[8:9], v[22:23], v[16:17]
	v_fma_f64 v[22:23], v[6:7], v[22:23], -v[24:25]
	ds_load_b128 v[6:9], v1 offset:1136
	v_fma_f64 v[1:2], v[2:3], v[26:27], -v[20:21]
	s_wait_loadcnt_dscnt 0x100
	v_mul_f64_e32 v[24:25], v[8:9], v[32:33]
	v_add_f64_e32 v[10:11], v[10:11], v[18:19]
	v_add_f64_e32 v[12:13], v[12:13], v[111:112]
	v_mul_f64_e32 v[18:19], v[6:7], v[32:33]
	v_fma_f64 v[4:5], v[4:5], v[26:27], v[14:15]
	v_fma_f64 v[6:7], v[6:7], v[30:31], -v[24:25]
	v_add_f64_e32 v[10:11], v[10:11], v[22:23]
	v_add_f64_e32 v[12:13], v[12:13], v[16:17]
	v_fma_f64 v[8:9], v[8:9], v[30:31], v[18:19]
	s_delay_alu instid0(VALU_DEP_3) | instskip(NEXT) | instid1(VALU_DEP_3)
	v_add_f64_e32 v[1:2], v[10:11], v[1:2]
	v_add_f64_e32 v[3:4], v[12:13], v[4:5]
	s_delay_alu instid0(VALU_DEP_2) | instskip(NEXT) | instid1(VALU_DEP_2)
	v_add_f64_e32 v[1:2], v[1:2], v[6:7]
	v_add_f64_e32 v[3:4], v[3:4], v[8:9]
	s_wait_loadcnt 0x0
	s_delay_alu instid0(VALU_DEP_2) | instskip(NEXT) | instid1(VALU_DEP_2)
	v_add_f64_e64 v[1:2], v[34:35], -v[1:2]
	v_add_f64_e64 v[3:4], v[36:37], -v[3:4]
	scratch_store_b128 off, v[1:4], off offset:288
	v_cmpx_lt_u32_e32 16, v0
	s_cbranch_execz .LBB35_197
; %bb.196:
	scratch_load_b128 v[1:4], off, s21
	v_mov_b32_e32 v5, 0
	s_delay_alu instid0(VALU_DEP_1)
	v_dual_mov_b32 v6, v5 :: v_dual_mov_b32 v7, v5
	v_mov_b32_e32 v8, v5
	scratch_store_b128 off, v[5:8], off offset:272
	s_wait_loadcnt 0x0
	ds_store_b128 v110, v[1:4]
.LBB35_197:
	s_wait_alu 0xfffe
	s_or_b32 exec_lo, exec_lo, s0
	s_wait_storecnt_dscnt 0x0
	s_barrier_signal -1
	s_barrier_wait -1
	global_inv scope:SCOPE_SE
	s_clause 0x7
	scratch_load_b128 v[2:5], off, off offset:288
	scratch_load_b128 v[6:9], off, off offset:304
	;; [unrolled: 1-line block ×8, first 2 shown]
	v_mov_b32_e32 v1, 0
	s_clause 0x1
	scratch_load_b128 v[111:114], off, off offset:416
	scratch_load_b128 v[119:122], off, off offset:432
	s_mov_b32 s0, exec_lo
	ds_load_b128 v[34:37], v1 offset:848
	ds_load_b128 v[115:118], v1 offset:864
	s_wait_loadcnt_dscnt 0x901
	v_mul_f64_e32 v[123:124], v[36:37], v[4:5]
	v_mul_f64_e32 v[4:5], v[34:35], v[4:5]
	s_wait_loadcnt_dscnt 0x800
	v_mul_f64_e32 v[125:126], v[115:116], v[8:9]
	v_mul_f64_e32 v[8:9], v[117:118], v[8:9]
	s_delay_alu instid0(VALU_DEP_4) | instskip(NEXT) | instid1(VALU_DEP_4)
	v_fma_f64 v[123:124], v[34:35], v[2:3], -v[123:124]
	v_fma_f64 v[127:128], v[36:37], v[2:3], v[4:5]
	ds_load_b128 v[2:5], v1 offset:880
	scratch_load_b128 v[34:37], off, off offset:448
	v_fma_f64 v[125:126], v[117:118], v[6:7], v[125:126]
	v_fma_f64 v[131:132], v[115:116], v[6:7], -v[8:9]
	ds_load_b128 v[6:9], v1 offset:896
	scratch_load_b128 v[115:118], off, off offset:464
	s_wait_loadcnt_dscnt 0x901
	v_mul_f64_e32 v[129:130], v[2:3], v[12:13]
	v_mul_f64_e32 v[12:13], v[4:5], v[12:13]
	s_wait_loadcnt_dscnt 0x800
	v_mul_f64_e32 v[133:134], v[6:7], v[16:17]
	v_mul_f64_e32 v[16:17], v[8:9], v[16:17]
	v_add_f64_e32 v[123:124], 0, v[123:124]
	v_add_f64_e32 v[127:128], 0, v[127:128]
	v_fma_f64 v[129:130], v[4:5], v[10:11], v[129:130]
	v_fma_f64 v[135:136], v[2:3], v[10:11], -v[12:13]
	ds_load_b128 v[2:5], v1 offset:912
	scratch_load_b128 v[10:13], off, off offset:480
	v_add_f64_e32 v[123:124], v[123:124], v[131:132]
	v_add_f64_e32 v[125:126], v[127:128], v[125:126]
	v_fma_f64 v[131:132], v[8:9], v[14:15], v[133:134]
	v_fma_f64 v[133:134], v[6:7], v[14:15], -v[16:17]
	ds_load_b128 v[6:9], v1 offset:928
	scratch_load_b128 v[14:17], off, off offset:496
	s_wait_loadcnt_dscnt 0x901
	v_mul_f64_e32 v[127:128], v[2:3], v[20:21]
	v_mul_f64_e32 v[20:21], v[4:5], v[20:21]
	v_add_f64_e32 v[123:124], v[123:124], v[135:136]
	v_add_f64_e32 v[125:126], v[125:126], v[129:130]
	s_wait_loadcnt_dscnt 0x800
	v_mul_f64_e32 v[129:130], v[6:7], v[24:25]
	v_mul_f64_e32 v[24:25], v[8:9], v[24:25]
	v_fma_f64 v[127:128], v[4:5], v[18:19], v[127:128]
	v_fma_f64 v[135:136], v[2:3], v[18:19], -v[20:21]
	ds_load_b128 v[2:5], v1 offset:944
	scratch_load_b128 v[18:21], off, off offset:512
	v_add_f64_e32 v[123:124], v[123:124], v[133:134]
	v_add_f64_e32 v[125:126], v[125:126], v[131:132]
	v_fma_f64 v[129:130], v[8:9], v[22:23], v[129:130]
	v_fma_f64 v[133:134], v[6:7], v[22:23], -v[24:25]
	ds_load_b128 v[6:9], v1 offset:960
	s_wait_loadcnt_dscnt 0x801
	v_mul_f64_e32 v[131:132], v[2:3], v[28:29]
	v_mul_f64_e32 v[28:29], v[4:5], v[28:29]
	scratch_load_b128 v[22:25], off, off offset:528
	v_add_f64_e32 v[123:124], v[123:124], v[135:136]
	v_add_f64_e32 v[125:126], v[125:126], v[127:128]
	s_wait_loadcnt_dscnt 0x800
	v_mul_f64_e32 v[127:128], v[6:7], v[32:33]
	v_mul_f64_e32 v[32:33], v[8:9], v[32:33]
	v_fma_f64 v[131:132], v[4:5], v[26:27], v[131:132]
	v_fma_f64 v[135:136], v[2:3], v[26:27], -v[28:29]
	ds_load_b128 v[2:5], v1 offset:976
	scratch_load_b128 v[26:29], off, off offset:544
	v_add_f64_e32 v[123:124], v[123:124], v[133:134]
	v_add_f64_e32 v[125:126], v[125:126], v[129:130]
	v_fma_f64 v[127:128], v[8:9], v[30:31], v[127:128]
	v_fma_f64 v[133:134], v[6:7], v[30:31], -v[32:33]
	ds_load_b128 v[6:9], v1 offset:992
	s_wait_loadcnt_dscnt 0x801
	v_mul_f64_e32 v[129:130], v[2:3], v[113:114]
	v_mul_f64_e32 v[113:114], v[4:5], v[113:114]
	scratch_load_b128 v[30:33], off, off offset:560
	v_add_f64_e32 v[123:124], v[123:124], v[135:136]
	v_add_f64_e32 v[125:126], v[125:126], v[131:132]
	s_wait_loadcnt_dscnt 0x800
	v_mul_f64_e32 v[131:132], v[6:7], v[121:122]
	v_mul_f64_e32 v[121:122], v[8:9], v[121:122]
	v_fma_f64 v[129:130], v[4:5], v[111:112], v[129:130]
	v_fma_f64 v[135:136], v[2:3], v[111:112], -v[113:114]
	ds_load_b128 v[2:5], v1 offset:1008
	scratch_load_b128 v[111:114], off, off offset:576
	v_add_f64_e32 v[123:124], v[123:124], v[133:134]
	v_add_f64_e32 v[125:126], v[125:126], v[127:128]
	v_fma_f64 v[131:132], v[8:9], v[119:120], v[131:132]
	v_fma_f64 v[119:120], v[6:7], v[119:120], -v[121:122]
	ds_load_b128 v[6:9], v1 offset:1024
	s_wait_loadcnt_dscnt 0x801
	v_mul_f64_e32 v[127:128], v[2:3], v[36:37]
	v_mul_f64_e32 v[36:37], v[4:5], v[36:37]
	v_add_f64_e32 v[121:122], v[123:124], v[135:136]
	v_add_f64_e32 v[123:124], v[125:126], v[129:130]
	s_wait_loadcnt_dscnt 0x700
	v_mul_f64_e32 v[125:126], v[6:7], v[117:118]
	v_mul_f64_e32 v[117:118], v[8:9], v[117:118]
	v_fma_f64 v[127:128], v[4:5], v[34:35], v[127:128]
	v_fma_f64 v[34:35], v[2:3], v[34:35], -v[36:37]
	ds_load_b128 v[2:5], v1 offset:1040
	v_add_f64_e32 v[36:37], v[121:122], v[119:120]
	v_add_f64_e32 v[119:120], v[123:124], v[131:132]
	v_fma_f64 v[123:124], v[8:9], v[115:116], v[125:126]
	v_fma_f64 v[115:116], v[6:7], v[115:116], -v[117:118]
	ds_load_b128 v[6:9], v1 offset:1056
	s_wait_loadcnt_dscnt 0x500
	v_mul_f64_e32 v[125:126], v[6:7], v[16:17]
	v_mul_f64_e32 v[16:17], v[8:9], v[16:17]
	v_add_f64_e32 v[117:118], v[36:37], v[34:35]
	v_add_f64_e32 v[119:120], v[119:120], v[127:128]
	scratch_load_b128 v[34:37], off, off offset:272
	v_mul_f64_e32 v[121:122], v[2:3], v[12:13]
	v_mul_f64_e32 v[12:13], v[4:5], v[12:13]
	s_delay_alu instid0(VALU_DEP_2) | instskip(NEXT) | instid1(VALU_DEP_2)
	v_fma_f64 v[121:122], v[4:5], v[10:11], v[121:122]
	v_fma_f64 v[10:11], v[2:3], v[10:11], -v[12:13]
	v_add_f64_e32 v[12:13], v[117:118], v[115:116]
	v_add_f64_e32 v[115:116], v[119:120], v[123:124]
	ds_load_b128 v[2:5], v1 offset:1072
	v_fma_f64 v[119:120], v[8:9], v[14:15], v[125:126]
	v_fma_f64 v[14:15], v[6:7], v[14:15], -v[16:17]
	ds_load_b128 v[6:9], v1 offset:1088
	s_wait_loadcnt_dscnt 0x501
	v_mul_f64_e32 v[117:118], v[2:3], v[20:21]
	v_mul_f64_e32 v[20:21], v[4:5], v[20:21]
	s_wait_loadcnt_dscnt 0x400
	v_mul_f64_e32 v[16:17], v[6:7], v[24:25]
	v_mul_f64_e32 v[24:25], v[8:9], v[24:25]
	v_add_f64_e32 v[10:11], v[12:13], v[10:11]
	v_add_f64_e32 v[12:13], v[115:116], v[121:122]
	v_fma_f64 v[115:116], v[4:5], v[18:19], v[117:118]
	v_fma_f64 v[18:19], v[2:3], v[18:19], -v[20:21]
	ds_load_b128 v[2:5], v1 offset:1104
	v_fma_f64 v[16:17], v[8:9], v[22:23], v[16:17]
	v_fma_f64 v[22:23], v[6:7], v[22:23], -v[24:25]
	ds_load_b128 v[6:9], v1 offset:1120
	v_add_f64_e32 v[10:11], v[10:11], v[14:15]
	v_add_f64_e32 v[12:13], v[12:13], v[119:120]
	s_wait_loadcnt_dscnt 0x301
	v_mul_f64_e32 v[14:15], v[2:3], v[28:29]
	v_mul_f64_e32 v[20:21], v[4:5], v[28:29]
	s_wait_loadcnt_dscnt 0x200
	v_mul_f64_e32 v[24:25], v[8:9], v[32:33]
	v_add_f64_e32 v[10:11], v[10:11], v[18:19]
	v_add_f64_e32 v[12:13], v[12:13], v[115:116]
	v_mul_f64_e32 v[18:19], v[6:7], v[32:33]
	v_fma_f64 v[14:15], v[4:5], v[26:27], v[14:15]
	v_fma_f64 v[20:21], v[2:3], v[26:27], -v[20:21]
	ds_load_b128 v[2:5], v1 offset:1136
	v_fma_f64 v[6:7], v[6:7], v[30:31], -v[24:25]
	v_add_f64_e32 v[10:11], v[10:11], v[22:23]
	v_add_f64_e32 v[12:13], v[12:13], v[16:17]
	s_wait_loadcnt_dscnt 0x100
	v_mul_f64_e32 v[16:17], v[2:3], v[113:114]
	v_mul_f64_e32 v[22:23], v[4:5], v[113:114]
	v_fma_f64 v[8:9], v[8:9], v[30:31], v[18:19]
	v_add_f64_e32 v[10:11], v[10:11], v[20:21]
	v_add_f64_e32 v[12:13], v[12:13], v[14:15]
	v_fma_f64 v[4:5], v[4:5], v[111:112], v[16:17]
	v_fma_f64 v[2:3], v[2:3], v[111:112], -v[22:23]
	s_delay_alu instid0(VALU_DEP_4) | instskip(NEXT) | instid1(VALU_DEP_4)
	v_add_f64_e32 v[6:7], v[10:11], v[6:7]
	v_add_f64_e32 v[8:9], v[12:13], v[8:9]
	s_delay_alu instid0(VALU_DEP_2) | instskip(NEXT) | instid1(VALU_DEP_2)
	v_add_f64_e32 v[2:3], v[6:7], v[2:3]
	v_add_f64_e32 v[4:5], v[8:9], v[4:5]
	s_wait_loadcnt 0x0
	s_delay_alu instid0(VALU_DEP_2) | instskip(NEXT) | instid1(VALU_DEP_2)
	v_add_f64_e64 v[2:3], v[34:35], -v[2:3]
	v_add_f64_e64 v[4:5], v[36:37], -v[4:5]
	scratch_store_b128 off, v[2:5], off offset:272
	v_cmpx_lt_u32_e32 15, v0
	s_cbranch_execz .LBB35_199
; %bb.198:
	scratch_load_b128 v[5:8], off, s20
	v_dual_mov_b32 v2, v1 :: v_dual_mov_b32 v3, v1
	v_mov_b32_e32 v4, v1
	scratch_store_b128 off, v[1:4], off offset:256
	s_wait_loadcnt 0x0
	ds_store_b128 v110, v[5:8]
.LBB35_199:
	s_wait_alu 0xfffe
	s_or_b32 exec_lo, exec_lo, s0
	s_wait_storecnt_dscnt 0x0
	s_barrier_signal -1
	s_barrier_wait -1
	global_inv scope:SCOPE_SE
	s_clause 0x7
	scratch_load_b128 v[2:5], off, off offset:272
	scratch_load_b128 v[6:9], off, off offset:288
	;; [unrolled: 1-line block ×8, first 2 shown]
	ds_load_b128 v[34:37], v1 offset:832
	ds_load_b128 v[115:118], v1 offset:848
	s_clause 0x1
	scratch_load_b128 v[111:114], off, off offset:400
	scratch_load_b128 v[119:122], off, off offset:416
	s_mov_b32 s0, exec_lo
	s_wait_loadcnt_dscnt 0x901
	v_mul_f64_e32 v[123:124], v[36:37], v[4:5]
	v_mul_f64_e32 v[4:5], v[34:35], v[4:5]
	s_wait_loadcnt_dscnt 0x800
	v_mul_f64_e32 v[125:126], v[115:116], v[8:9]
	v_mul_f64_e32 v[8:9], v[117:118], v[8:9]
	s_delay_alu instid0(VALU_DEP_4) | instskip(NEXT) | instid1(VALU_DEP_4)
	v_fma_f64 v[123:124], v[34:35], v[2:3], -v[123:124]
	v_fma_f64 v[127:128], v[36:37], v[2:3], v[4:5]
	ds_load_b128 v[2:5], v1 offset:864
	scratch_load_b128 v[34:37], off, off offset:432
	v_fma_f64 v[125:126], v[117:118], v[6:7], v[125:126]
	v_fma_f64 v[131:132], v[115:116], v[6:7], -v[8:9]
	ds_load_b128 v[6:9], v1 offset:880
	scratch_load_b128 v[115:118], off, off offset:448
	s_wait_loadcnt_dscnt 0x901
	v_mul_f64_e32 v[129:130], v[2:3], v[12:13]
	v_mul_f64_e32 v[12:13], v[4:5], v[12:13]
	s_wait_loadcnt_dscnt 0x800
	v_mul_f64_e32 v[133:134], v[6:7], v[16:17]
	v_mul_f64_e32 v[16:17], v[8:9], v[16:17]
	v_add_f64_e32 v[123:124], 0, v[123:124]
	v_add_f64_e32 v[127:128], 0, v[127:128]
	v_fma_f64 v[129:130], v[4:5], v[10:11], v[129:130]
	v_fma_f64 v[135:136], v[2:3], v[10:11], -v[12:13]
	scratch_load_b128 v[10:13], off, off offset:464
	ds_load_b128 v[2:5], v1 offset:896
	v_add_f64_e32 v[123:124], v[123:124], v[131:132]
	v_add_f64_e32 v[125:126], v[127:128], v[125:126]
	v_fma_f64 v[131:132], v[8:9], v[14:15], v[133:134]
	v_fma_f64 v[133:134], v[6:7], v[14:15], -v[16:17]
	ds_load_b128 v[6:9], v1 offset:912
	scratch_load_b128 v[14:17], off, off offset:480
	s_wait_loadcnt_dscnt 0x901
	v_mul_f64_e32 v[127:128], v[2:3], v[20:21]
	v_mul_f64_e32 v[20:21], v[4:5], v[20:21]
	v_add_f64_e32 v[123:124], v[123:124], v[135:136]
	v_add_f64_e32 v[125:126], v[125:126], v[129:130]
	s_wait_loadcnt_dscnt 0x800
	v_mul_f64_e32 v[129:130], v[6:7], v[24:25]
	v_mul_f64_e32 v[24:25], v[8:9], v[24:25]
	v_fma_f64 v[127:128], v[4:5], v[18:19], v[127:128]
	v_fma_f64 v[135:136], v[2:3], v[18:19], -v[20:21]
	ds_load_b128 v[2:5], v1 offset:928
	scratch_load_b128 v[18:21], off, off offset:496
	v_add_f64_e32 v[123:124], v[123:124], v[133:134]
	v_add_f64_e32 v[125:126], v[125:126], v[131:132]
	v_fma_f64 v[129:130], v[8:9], v[22:23], v[129:130]
	v_fma_f64 v[133:134], v[6:7], v[22:23], -v[24:25]
	ds_load_b128 v[6:9], v1 offset:944
	s_wait_loadcnt_dscnt 0x801
	v_mul_f64_e32 v[131:132], v[2:3], v[28:29]
	v_mul_f64_e32 v[28:29], v[4:5], v[28:29]
	scratch_load_b128 v[22:25], off, off offset:512
	v_add_f64_e32 v[123:124], v[123:124], v[135:136]
	v_add_f64_e32 v[125:126], v[125:126], v[127:128]
	s_wait_loadcnt_dscnt 0x800
	v_mul_f64_e32 v[127:128], v[6:7], v[32:33]
	v_mul_f64_e32 v[32:33], v[8:9], v[32:33]
	v_fma_f64 v[131:132], v[4:5], v[26:27], v[131:132]
	v_fma_f64 v[135:136], v[2:3], v[26:27], -v[28:29]
	ds_load_b128 v[2:5], v1 offset:960
	scratch_load_b128 v[26:29], off, off offset:528
	v_add_f64_e32 v[123:124], v[123:124], v[133:134]
	v_add_f64_e32 v[125:126], v[125:126], v[129:130]
	v_fma_f64 v[127:128], v[8:9], v[30:31], v[127:128]
	v_fma_f64 v[133:134], v[6:7], v[30:31], -v[32:33]
	ds_load_b128 v[6:9], v1 offset:976
	s_wait_loadcnt_dscnt 0x801
	v_mul_f64_e32 v[129:130], v[2:3], v[113:114]
	v_mul_f64_e32 v[113:114], v[4:5], v[113:114]
	scratch_load_b128 v[30:33], off, off offset:544
	v_add_f64_e32 v[123:124], v[123:124], v[135:136]
	v_add_f64_e32 v[125:126], v[125:126], v[131:132]
	s_wait_loadcnt_dscnt 0x800
	v_mul_f64_e32 v[131:132], v[6:7], v[121:122]
	v_mul_f64_e32 v[121:122], v[8:9], v[121:122]
	v_fma_f64 v[129:130], v[4:5], v[111:112], v[129:130]
	v_fma_f64 v[135:136], v[2:3], v[111:112], -v[113:114]
	ds_load_b128 v[2:5], v1 offset:992
	scratch_load_b128 v[111:114], off, off offset:560
	v_add_f64_e32 v[123:124], v[123:124], v[133:134]
	v_add_f64_e32 v[125:126], v[125:126], v[127:128]
	v_fma_f64 v[131:132], v[8:9], v[119:120], v[131:132]
	v_fma_f64 v[133:134], v[6:7], v[119:120], -v[121:122]
	ds_load_b128 v[6:9], v1 offset:1008
	scratch_load_b128 v[119:122], off, off offset:576
	s_wait_loadcnt_dscnt 0x901
	v_mul_f64_e32 v[127:128], v[2:3], v[36:37]
	v_mul_f64_e32 v[36:37], v[4:5], v[36:37]
	v_add_f64_e32 v[123:124], v[123:124], v[135:136]
	v_add_f64_e32 v[125:126], v[125:126], v[129:130]
	s_delay_alu instid0(VALU_DEP_4) | instskip(NEXT) | instid1(VALU_DEP_4)
	v_fma_f64 v[127:128], v[4:5], v[34:35], v[127:128]
	v_fma_f64 v[34:35], v[2:3], v[34:35], -v[36:37]
	ds_load_b128 v[2:5], v1 offset:1024
	v_add_f64_e32 v[36:37], v[123:124], v[133:134]
	v_add_f64_e32 v[123:124], v[125:126], v[131:132]
	s_wait_loadcnt_dscnt 0x700
	v_mul_f64_e32 v[125:126], v[2:3], v[12:13]
	v_mul_f64_e32 v[12:13], v[4:5], v[12:13]
	s_delay_alu instid0(VALU_DEP_4) | instskip(NEXT) | instid1(VALU_DEP_4)
	v_add_f64_e32 v[34:35], v[36:37], v[34:35]
	v_add_f64_e32 v[36:37], v[123:124], v[127:128]
	s_delay_alu instid0(VALU_DEP_4) | instskip(NEXT) | instid1(VALU_DEP_4)
	v_fma_f64 v[123:124], v[4:5], v[10:11], v[125:126]
	v_fma_f64 v[125:126], v[2:3], v[10:11], -v[12:13]
	scratch_load_b128 v[10:13], off, off offset:256
	v_mul_f64_e32 v[129:130], v[6:7], v[117:118]
	v_mul_f64_e32 v[117:118], v[8:9], v[117:118]
	ds_load_b128 v[2:5], v1 offset:1056
	v_fma_f64 v[129:130], v[8:9], v[115:116], v[129:130]
	v_fma_f64 v[115:116], v[6:7], v[115:116], -v[117:118]
	ds_load_b128 v[6:9], v1 offset:1040
	s_wait_loadcnt_dscnt 0x700
	v_mul_f64_e32 v[117:118], v[6:7], v[16:17]
	v_mul_f64_e32 v[16:17], v[8:9], v[16:17]
	v_add_f64_e32 v[36:37], v[36:37], v[129:130]
	v_add_f64_e32 v[34:35], v[34:35], v[115:116]
	s_wait_loadcnt 0x6
	v_mul_f64_e32 v[115:116], v[2:3], v[20:21]
	v_mul_f64_e32 v[20:21], v[4:5], v[20:21]
	v_fma_f64 v[117:118], v[8:9], v[14:15], v[117:118]
	v_fma_f64 v[14:15], v[6:7], v[14:15], -v[16:17]
	ds_load_b128 v[6:9], v1 offset:1072
	v_add_f64_e32 v[16:17], v[34:35], v[125:126]
	v_add_f64_e32 v[34:35], v[36:37], v[123:124]
	v_fma_f64 v[115:116], v[4:5], v[18:19], v[115:116]
	v_fma_f64 v[18:19], v[2:3], v[18:19], -v[20:21]
	ds_load_b128 v[2:5], v1 offset:1088
	s_wait_loadcnt_dscnt 0x501
	v_mul_f64_e32 v[36:37], v[6:7], v[24:25]
	v_mul_f64_e32 v[24:25], v[8:9], v[24:25]
	s_wait_loadcnt_dscnt 0x400
	v_mul_f64_e32 v[20:21], v[2:3], v[28:29]
	v_mul_f64_e32 v[28:29], v[4:5], v[28:29]
	v_add_f64_e32 v[14:15], v[16:17], v[14:15]
	v_add_f64_e32 v[16:17], v[34:35], v[117:118]
	v_fma_f64 v[34:35], v[8:9], v[22:23], v[36:37]
	v_fma_f64 v[22:23], v[6:7], v[22:23], -v[24:25]
	ds_load_b128 v[6:9], v1 offset:1104
	v_fma_f64 v[20:21], v[4:5], v[26:27], v[20:21]
	v_fma_f64 v[26:27], v[2:3], v[26:27], -v[28:29]
	ds_load_b128 v[2:5], v1 offset:1120
	s_wait_loadcnt_dscnt 0x301
	v_mul_f64_e32 v[24:25], v[8:9], v[32:33]
	v_add_f64_e32 v[14:15], v[14:15], v[18:19]
	v_add_f64_e32 v[16:17], v[16:17], v[115:116]
	v_mul_f64_e32 v[18:19], v[6:7], v[32:33]
	s_wait_loadcnt_dscnt 0x200
	v_mul_f64_e32 v[28:29], v[4:5], v[113:114]
	v_fma_f64 v[24:25], v[6:7], v[30:31], -v[24:25]
	v_add_f64_e32 v[14:15], v[14:15], v[22:23]
	v_add_f64_e32 v[16:17], v[16:17], v[34:35]
	v_mul_f64_e32 v[22:23], v[2:3], v[113:114]
	v_fma_f64 v[18:19], v[8:9], v[30:31], v[18:19]
	ds_load_b128 v[6:9], v1 offset:1136
	v_fma_f64 v[1:2], v[2:3], v[111:112], -v[28:29]
	v_add_f64_e32 v[14:15], v[14:15], v[26:27]
	v_add_f64_e32 v[16:17], v[16:17], v[20:21]
	s_wait_loadcnt_dscnt 0x100
	v_mul_f64_e32 v[20:21], v[6:7], v[121:122]
	v_mul_f64_e32 v[26:27], v[8:9], v[121:122]
	v_fma_f64 v[4:5], v[4:5], v[111:112], v[22:23]
	v_add_f64_e32 v[14:15], v[14:15], v[24:25]
	v_add_f64_e32 v[16:17], v[16:17], v[18:19]
	v_fma_f64 v[8:9], v[8:9], v[119:120], v[20:21]
	v_fma_f64 v[6:7], v[6:7], v[119:120], -v[26:27]
	s_delay_alu instid0(VALU_DEP_4) | instskip(NEXT) | instid1(VALU_DEP_4)
	v_add_f64_e32 v[1:2], v[14:15], v[1:2]
	v_add_f64_e32 v[3:4], v[16:17], v[4:5]
	s_delay_alu instid0(VALU_DEP_2) | instskip(NEXT) | instid1(VALU_DEP_2)
	v_add_f64_e32 v[1:2], v[1:2], v[6:7]
	v_add_f64_e32 v[3:4], v[3:4], v[8:9]
	s_wait_loadcnt 0x0
	s_delay_alu instid0(VALU_DEP_2) | instskip(NEXT) | instid1(VALU_DEP_2)
	v_add_f64_e64 v[1:2], v[10:11], -v[1:2]
	v_add_f64_e64 v[3:4], v[12:13], -v[3:4]
	scratch_store_b128 off, v[1:4], off offset:256
	v_cmpx_lt_u32_e32 14, v0
	s_cbranch_execz .LBB35_201
; %bb.200:
	scratch_load_b128 v[1:4], off, s35
	v_mov_b32_e32 v5, 0
	s_delay_alu instid0(VALU_DEP_1)
	v_dual_mov_b32 v6, v5 :: v_dual_mov_b32 v7, v5
	v_mov_b32_e32 v8, v5
	scratch_store_b128 off, v[5:8], off offset:240
	s_wait_loadcnt 0x0
	ds_store_b128 v110, v[1:4]
.LBB35_201:
	s_wait_alu 0xfffe
	s_or_b32 exec_lo, exec_lo, s0
	s_wait_storecnt_dscnt 0x0
	s_barrier_signal -1
	s_barrier_wait -1
	global_inv scope:SCOPE_SE
	s_clause 0x7
	scratch_load_b128 v[2:5], off, off offset:256
	scratch_load_b128 v[6:9], off, off offset:272
	;; [unrolled: 1-line block ×8, first 2 shown]
	v_mov_b32_e32 v1, 0
	s_clause 0x1
	scratch_load_b128 v[111:114], off, off offset:384
	scratch_load_b128 v[119:122], off, off offset:400
	s_mov_b32 s0, exec_lo
	ds_load_b128 v[34:37], v1 offset:816
	ds_load_b128 v[115:118], v1 offset:832
	s_wait_loadcnt_dscnt 0x901
	v_mul_f64_e32 v[123:124], v[36:37], v[4:5]
	v_mul_f64_e32 v[4:5], v[34:35], v[4:5]
	s_wait_loadcnt_dscnt 0x800
	v_mul_f64_e32 v[125:126], v[115:116], v[8:9]
	v_mul_f64_e32 v[8:9], v[117:118], v[8:9]
	s_delay_alu instid0(VALU_DEP_4) | instskip(NEXT) | instid1(VALU_DEP_4)
	v_fma_f64 v[123:124], v[34:35], v[2:3], -v[123:124]
	v_fma_f64 v[127:128], v[36:37], v[2:3], v[4:5]
	ds_load_b128 v[2:5], v1 offset:848
	scratch_load_b128 v[34:37], off, off offset:416
	v_fma_f64 v[125:126], v[117:118], v[6:7], v[125:126]
	v_fma_f64 v[131:132], v[115:116], v[6:7], -v[8:9]
	ds_load_b128 v[6:9], v1 offset:864
	scratch_load_b128 v[115:118], off, off offset:432
	s_wait_loadcnt_dscnt 0x901
	v_mul_f64_e32 v[129:130], v[2:3], v[12:13]
	v_mul_f64_e32 v[12:13], v[4:5], v[12:13]
	s_wait_loadcnt_dscnt 0x800
	v_mul_f64_e32 v[133:134], v[6:7], v[16:17]
	v_mul_f64_e32 v[16:17], v[8:9], v[16:17]
	v_add_f64_e32 v[123:124], 0, v[123:124]
	v_add_f64_e32 v[127:128], 0, v[127:128]
	v_fma_f64 v[129:130], v[4:5], v[10:11], v[129:130]
	v_fma_f64 v[135:136], v[2:3], v[10:11], -v[12:13]
	ds_load_b128 v[2:5], v1 offset:880
	scratch_load_b128 v[10:13], off, off offset:448
	v_add_f64_e32 v[123:124], v[123:124], v[131:132]
	v_add_f64_e32 v[125:126], v[127:128], v[125:126]
	v_fma_f64 v[131:132], v[8:9], v[14:15], v[133:134]
	v_fma_f64 v[133:134], v[6:7], v[14:15], -v[16:17]
	ds_load_b128 v[6:9], v1 offset:896
	scratch_load_b128 v[14:17], off, off offset:464
	s_wait_loadcnt_dscnt 0x901
	v_mul_f64_e32 v[127:128], v[2:3], v[20:21]
	v_mul_f64_e32 v[20:21], v[4:5], v[20:21]
	v_add_f64_e32 v[123:124], v[123:124], v[135:136]
	v_add_f64_e32 v[125:126], v[125:126], v[129:130]
	s_wait_loadcnt_dscnt 0x800
	v_mul_f64_e32 v[129:130], v[6:7], v[24:25]
	v_mul_f64_e32 v[24:25], v[8:9], v[24:25]
	v_fma_f64 v[127:128], v[4:5], v[18:19], v[127:128]
	v_fma_f64 v[135:136], v[2:3], v[18:19], -v[20:21]
	ds_load_b128 v[2:5], v1 offset:912
	scratch_load_b128 v[18:21], off, off offset:480
	v_add_f64_e32 v[123:124], v[123:124], v[133:134]
	v_add_f64_e32 v[125:126], v[125:126], v[131:132]
	v_fma_f64 v[129:130], v[8:9], v[22:23], v[129:130]
	v_fma_f64 v[133:134], v[6:7], v[22:23], -v[24:25]
	ds_load_b128 v[6:9], v1 offset:928
	s_wait_loadcnt_dscnt 0x801
	v_mul_f64_e32 v[131:132], v[2:3], v[28:29]
	v_mul_f64_e32 v[28:29], v[4:5], v[28:29]
	scratch_load_b128 v[22:25], off, off offset:496
	v_add_f64_e32 v[123:124], v[123:124], v[135:136]
	v_add_f64_e32 v[125:126], v[125:126], v[127:128]
	s_wait_loadcnt_dscnt 0x800
	v_mul_f64_e32 v[127:128], v[6:7], v[32:33]
	v_mul_f64_e32 v[32:33], v[8:9], v[32:33]
	v_fma_f64 v[131:132], v[4:5], v[26:27], v[131:132]
	v_fma_f64 v[135:136], v[2:3], v[26:27], -v[28:29]
	ds_load_b128 v[2:5], v1 offset:944
	scratch_load_b128 v[26:29], off, off offset:512
	v_add_f64_e32 v[123:124], v[123:124], v[133:134]
	v_add_f64_e32 v[125:126], v[125:126], v[129:130]
	v_fma_f64 v[127:128], v[8:9], v[30:31], v[127:128]
	v_fma_f64 v[133:134], v[6:7], v[30:31], -v[32:33]
	ds_load_b128 v[6:9], v1 offset:960
	s_wait_loadcnt_dscnt 0x801
	v_mul_f64_e32 v[129:130], v[2:3], v[113:114]
	v_mul_f64_e32 v[113:114], v[4:5], v[113:114]
	scratch_load_b128 v[30:33], off, off offset:528
	v_add_f64_e32 v[123:124], v[123:124], v[135:136]
	v_add_f64_e32 v[125:126], v[125:126], v[131:132]
	s_wait_loadcnt_dscnt 0x800
	v_mul_f64_e32 v[131:132], v[6:7], v[121:122]
	v_mul_f64_e32 v[121:122], v[8:9], v[121:122]
	v_fma_f64 v[129:130], v[4:5], v[111:112], v[129:130]
	v_fma_f64 v[135:136], v[2:3], v[111:112], -v[113:114]
	ds_load_b128 v[2:5], v1 offset:976
	scratch_load_b128 v[111:114], off, off offset:544
	v_add_f64_e32 v[123:124], v[123:124], v[133:134]
	v_add_f64_e32 v[125:126], v[125:126], v[127:128]
	v_fma_f64 v[131:132], v[8:9], v[119:120], v[131:132]
	v_fma_f64 v[133:134], v[6:7], v[119:120], -v[121:122]
	ds_load_b128 v[6:9], v1 offset:992
	scratch_load_b128 v[119:122], off, off offset:560
	s_wait_loadcnt_dscnt 0x901
	v_mul_f64_e32 v[127:128], v[2:3], v[36:37]
	v_mul_f64_e32 v[36:37], v[4:5], v[36:37]
	v_add_f64_e32 v[123:124], v[123:124], v[135:136]
	v_add_f64_e32 v[125:126], v[125:126], v[129:130]
	s_wait_loadcnt_dscnt 0x800
	v_mul_f64_e32 v[129:130], v[6:7], v[117:118]
	v_mul_f64_e32 v[117:118], v[8:9], v[117:118]
	v_fma_f64 v[127:128], v[4:5], v[34:35], v[127:128]
	v_fma_f64 v[135:136], v[2:3], v[34:35], -v[36:37]
	ds_load_b128 v[2:5], v1 offset:1008
	scratch_load_b128 v[34:37], off, off offset:576
	v_add_f64_e32 v[123:124], v[123:124], v[133:134]
	v_add_f64_e32 v[125:126], v[125:126], v[131:132]
	v_fma_f64 v[129:130], v[8:9], v[115:116], v[129:130]
	v_fma_f64 v[115:116], v[6:7], v[115:116], -v[117:118]
	ds_load_b128 v[6:9], v1 offset:1024
	s_wait_loadcnt_dscnt 0x801
	v_mul_f64_e32 v[131:132], v[2:3], v[12:13]
	v_mul_f64_e32 v[12:13], v[4:5], v[12:13]
	v_add_f64_e32 v[117:118], v[123:124], v[135:136]
	v_add_f64_e32 v[123:124], v[125:126], v[127:128]
	s_wait_loadcnt_dscnt 0x700
	v_mul_f64_e32 v[125:126], v[6:7], v[16:17]
	v_mul_f64_e32 v[16:17], v[8:9], v[16:17]
	v_fma_f64 v[127:128], v[4:5], v[10:11], v[131:132]
	v_fma_f64 v[10:11], v[2:3], v[10:11], -v[12:13]
	ds_load_b128 v[2:5], v1 offset:1040
	v_add_f64_e32 v[12:13], v[117:118], v[115:116]
	v_add_f64_e32 v[115:116], v[123:124], v[129:130]
	v_fma_f64 v[123:124], v[8:9], v[14:15], v[125:126]
	v_fma_f64 v[14:15], v[6:7], v[14:15], -v[16:17]
	ds_load_b128 v[6:9], v1 offset:1056
	s_wait_loadcnt_dscnt 0x500
	v_mul_f64_e32 v[125:126], v[6:7], v[24:25]
	v_mul_f64_e32 v[24:25], v[8:9], v[24:25]
	v_add_f64_e32 v[16:17], v[12:13], v[10:11]
	v_add_f64_e32 v[115:116], v[115:116], v[127:128]
	scratch_load_b128 v[10:13], off, off offset:240
	v_mul_f64_e32 v[117:118], v[2:3], v[20:21]
	v_mul_f64_e32 v[20:21], v[4:5], v[20:21]
	v_add_f64_e32 v[14:15], v[16:17], v[14:15]
	v_add_f64_e32 v[16:17], v[115:116], v[123:124]
	v_fma_f64 v[115:116], v[8:9], v[22:23], v[125:126]
	v_fma_f64 v[117:118], v[4:5], v[18:19], v[117:118]
	v_fma_f64 v[18:19], v[2:3], v[18:19], -v[20:21]
	ds_load_b128 v[2:5], v1 offset:1072
	v_fma_f64 v[22:23], v[6:7], v[22:23], -v[24:25]
	ds_load_b128 v[6:9], v1 offset:1088
	s_wait_loadcnt_dscnt 0x501
	v_mul_f64_e32 v[20:21], v[2:3], v[28:29]
	v_mul_f64_e32 v[28:29], v[4:5], v[28:29]
	s_wait_loadcnt_dscnt 0x400
	v_mul_f64_e32 v[24:25], v[8:9], v[32:33]
	v_add_f64_e32 v[16:17], v[16:17], v[117:118]
	v_add_f64_e32 v[14:15], v[14:15], v[18:19]
	v_mul_f64_e32 v[18:19], v[6:7], v[32:33]
	v_fma_f64 v[20:21], v[4:5], v[26:27], v[20:21]
	v_fma_f64 v[26:27], v[2:3], v[26:27], -v[28:29]
	ds_load_b128 v[2:5], v1 offset:1104
	v_fma_f64 v[24:25], v[6:7], v[30:31], -v[24:25]
	v_add_f64_e32 v[16:17], v[16:17], v[115:116]
	v_add_f64_e32 v[14:15], v[14:15], v[22:23]
	v_fma_f64 v[18:19], v[8:9], v[30:31], v[18:19]
	ds_load_b128 v[6:9], v1 offset:1120
	s_wait_loadcnt_dscnt 0x301
	v_mul_f64_e32 v[22:23], v[2:3], v[113:114]
	v_mul_f64_e32 v[28:29], v[4:5], v[113:114]
	v_add_f64_e32 v[16:17], v[16:17], v[20:21]
	v_add_f64_e32 v[14:15], v[14:15], v[26:27]
	s_wait_loadcnt_dscnt 0x200
	v_mul_f64_e32 v[20:21], v[6:7], v[121:122]
	v_mul_f64_e32 v[26:27], v[8:9], v[121:122]
	v_fma_f64 v[22:23], v[4:5], v[111:112], v[22:23]
	v_fma_f64 v[28:29], v[2:3], v[111:112], -v[28:29]
	ds_load_b128 v[2:5], v1 offset:1136
	v_add_f64_e32 v[16:17], v[16:17], v[18:19]
	v_add_f64_e32 v[14:15], v[14:15], v[24:25]
	s_wait_loadcnt_dscnt 0x100
	v_mul_f64_e32 v[18:19], v[2:3], v[36:37]
	v_mul_f64_e32 v[24:25], v[4:5], v[36:37]
	v_fma_f64 v[8:9], v[8:9], v[119:120], v[20:21]
	v_fma_f64 v[6:7], v[6:7], v[119:120], -v[26:27]
	v_add_f64_e32 v[16:17], v[16:17], v[22:23]
	v_add_f64_e32 v[14:15], v[14:15], v[28:29]
	v_fma_f64 v[4:5], v[4:5], v[34:35], v[18:19]
	v_fma_f64 v[2:3], v[2:3], v[34:35], -v[24:25]
	s_delay_alu instid0(VALU_DEP_4) | instskip(NEXT) | instid1(VALU_DEP_4)
	v_add_f64_e32 v[8:9], v[16:17], v[8:9]
	v_add_f64_e32 v[6:7], v[14:15], v[6:7]
	s_delay_alu instid0(VALU_DEP_2) | instskip(NEXT) | instid1(VALU_DEP_2)
	v_add_f64_e32 v[4:5], v[8:9], v[4:5]
	v_add_f64_e32 v[2:3], v[6:7], v[2:3]
	s_wait_loadcnt 0x0
	s_delay_alu instid0(VALU_DEP_2) | instskip(NEXT) | instid1(VALU_DEP_2)
	v_add_f64_e64 v[4:5], v[12:13], -v[4:5]
	v_add_f64_e64 v[2:3], v[10:11], -v[2:3]
	scratch_store_b128 off, v[2:5], off offset:240
	v_cmpx_lt_u32_e32 13, v0
	s_cbranch_execz .LBB35_203
; %bb.202:
	scratch_load_b128 v[5:8], off, s36
	v_dual_mov_b32 v2, v1 :: v_dual_mov_b32 v3, v1
	v_mov_b32_e32 v4, v1
	scratch_store_b128 off, v[1:4], off offset:224
	s_wait_loadcnt 0x0
	ds_store_b128 v110, v[5:8]
.LBB35_203:
	s_wait_alu 0xfffe
	s_or_b32 exec_lo, exec_lo, s0
	s_wait_storecnt_dscnt 0x0
	s_barrier_signal -1
	s_barrier_wait -1
	global_inv scope:SCOPE_SE
	s_clause 0x7
	scratch_load_b128 v[2:5], off, off offset:240
	scratch_load_b128 v[6:9], off, off offset:256
	;; [unrolled: 1-line block ×8, first 2 shown]
	ds_load_b128 v[34:37], v1 offset:800
	ds_load_b128 v[115:118], v1 offset:816
	s_clause 0x1
	scratch_load_b128 v[111:114], off, off offset:368
	scratch_load_b128 v[119:122], off, off offset:384
	s_mov_b32 s0, exec_lo
	s_wait_loadcnt_dscnt 0x901
	v_mul_f64_e32 v[123:124], v[36:37], v[4:5]
	v_mul_f64_e32 v[4:5], v[34:35], v[4:5]
	s_wait_loadcnt_dscnt 0x800
	v_mul_f64_e32 v[125:126], v[115:116], v[8:9]
	v_mul_f64_e32 v[8:9], v[117:118], v[8:9]
	s_delay_alu instid0(VALU_DEP_4) | instskip(NEXT) | instid1(VALU_DEP_4)
	v_fma_f64 v[123:124], v[34:35], v[2:3], -v[123:124]
	v_fma_f64 v[127:128], v[36:37], v[2:3], v[4:5]
	ds_load_b128 v[2:5], v1 offset:832
	scratch_load_b128 v[34:37], off, off offset:400
	v_fma_f64 v[125:126], v[117:118], v[6:7], v[125:126]
	v_fma_f64 v[131:132], v[115:116], v[6:7], -v[8:9]
	ds_load_b128 v[6:9], v1 offset:848
	scratch_load_b128 v[115:118], off, off offset:416
	s_wait_loadcnt_dscnt 0x901
	v_mul_f64_e32 v[129:130], v[2:3], v[12:13]
	v_mul_f64_e32 v[12:13], v[4:5], v[12:13]
	s_wait_loadcnt_dscnt 0x800
	v_mul_f64_e32 v[133:134], v[6:7], v[16:17]
	v_mul_f64_e32 v[16:17], v[8:9], v[16:17]
	v_add_f64_e32 v[123:124], 0, v[123:124]
	v_add_f64_e32 v[127:128], 0, v[127:128]
	v_fma_f64 v[129:130], v[4:5], v[10:11], v[129:130]
	v_fma_f64 v[135:136], v[2:3], v[10:11], -v[12:13]
	ds_load_b128 v[2:5], v1 offset:864
	scratch_load_b128 v[10:13], off, off offset:432
	v_add_f64_e32 v[123:124], v[123:124], v[131:132]
	v_add_f64_e32 v[125:126], v[127:128], v[125:126]
	v_fma_f64 v[131:132], v[8:9], v[14:15], v[133:134]
	v_fma_f64 v[133:134], v[6:7], v[14:15], -v[16:17]
	ds_load_b128 v[6:9], v1 offset:880
	scratch_load_b128 v[14:17], off, off offset:448
	s_wait_loadcnt_dscnt 0x901
	v_mul_f64_e32 v[127:128], v[2:3], v[20:21]
	v_mul_f64_e32 v[20:21], v[4:5], v[20:21]
	v_add_f64_e32 v[123:124], v[123:124], v[135:136]
	v_add_f64_e32 v[125:126], v[125:126], v[129:130]
	s_wait_loadcnt_dscnt 0x800
	v_mul_f64_e32 v[129:130], v[6:7], v[24:25]
	v_mul_f64_e32 v[24:25], v[8:9], v[24:25]
	v_fma_f64 v[127:128], v[4:5], v[18:19], v[127:128]
	v_fma_f64 v[135:136], v[2:3], v[18:19], -v[20:21]
	ds_load_b128 v[2:5], v1 offset:896
	scratch_load_b128 v[18:21], off, off offset:464
	v_add_f64_e32 v[123:124], v[123:124], v[133:134]
	v_add_f64_e32 v[125:126], v[125:126], v[131:132]
	v_fma_f64 v[129:130], v[8:9], v[22:23], v[129:130]
	v_fma_f64 v[133:134], v[6:7], v[22:23], -v[24:25]
	ds_load_b128 v[6:9], v1 offset:912
	s_wait_loadcnt_dscnt 0x801
	v_mul_f64_e32 v[131:132], v[2:3], v[28:29]
	v_mul_f64_e32 v[28:29], v[4:5], v[28:29]
	scratch_load_b128 v[22:25], off, off offset:480
	v_add_f64_e32 v[123:124], v[123:124], v[135:136]
	v_add_f64_e32 v[125:126], v[125:126], v[127:128]
	s_wait_loadcnt_dscnt 0x800
	v_mul_f64_e32 v[127:128], v[6:7], v[32:33]
	v_mul_f64_e32 v[32:33], v[8:9], v[32:33]
	v_fma_f64 v[131:132], v[4:5], v[26:27], v[131:132]
	v_fma_f64 v[135:136], v[2:3], v[26:27], -v[28:29]
	ds_load_b128 v[2:5], v1 offset:928
	scratch_load_b128 v[26:29], off, off offset:496
	v_add_f64_e32 v[123:124], v[123:124], v[133:134]
	v_add_f64_e32 v[125:126], v[125:126], v[129:130]
	v_fma_f64 v[127:128], v[8:9], v[30:31], v[127:128]
	v_fma_f64 v[133:134], v[6:7], v[30:31], -v[32:33]
	ds_load_b128 v[6:9], v1 offset:944
	s_wait_loadcnt_dscnt 0x801
	v_mul_f64_e32 v[129:130], v[2:3], v[113:114]
	v_mul_f64_e32 v[113:114], v[4:5], v[113:114]
	scratch_load_b128 v[30:33], off, off offset:512
	v_add_f64_e32 v[123:124], v[123:124], v[135:136]
	v_add_f64_e32 v[125:126], v[125:126], v[131:132]
	s_wait_loadcnt_dscnt 0x800
	v_mul_f64_e32 v[131:132], v[6:7], v[121:122]
	v_mul_f64_e32 v[121:122], v[8:9], v[121:122]
	v_fma_f64 v[129:130], v[4:5], v[111:112], v[129:130]
	v_fma_f64 v[135:136], v[2:3], v[111:112], -v[113:114]
	ds_load_b128 v[2:5], v1 offset:960
	scratch_load_b128 v[111:114], off, off offset:528
	v_add_f64_e32 v[123:124], v[123:124], v[133:134]
	v_add_f64_e32 v[125:126], v[125:126], v[127:128]
	v_fma_f64 v[131:132], v[8:9], v[119:120], v[131:132]
	v_fma_f64 v[133:134], v[6:7], v[119:120], -v[121:122]
	ds_load_b128 v[6:9], v1 offset:976
	scratch_load_b128 v[119:122], off, off offset:544
	s_wait_loadcnt_dscnt 0x901
	v_mul_f64_e32 v[127:128], v[2:3], v[36:37]
	v_mul_f64_e32 v[36:37], v[4:5], v[36:37]
	v_add_f64_e32 v[123:124], v[123:124], v[135:136]
	v_add_f64_e32 v[125:126], v[125:126], v[129:130]
	s_wait_loadcnt_dscnt 0x800
	v_mul_f64_e32 v[129:130], v[6:7], v[117:118]
	v_mul_f64_e32 v[117:118], v[8:9], v[117:118]
	v_fma_f64 v[127:128], v[4:5], v[34:35], v[127:128]
	v_fma_f64 v[135:136], v[2:3], v[34:35], -v[36:37]
	ds_load_b128 v[2:5], v1 offset:992
	scratch_load_b128 v[34:37], off, off offset:560
	v_add_f64_e32 v[123:124], v[123:124], v[133:134]
	v_add_f64_e32 v[125:126], v[125:126], v[131:132]
	v_fma_f64 v[129:130], v[8:9], v[115:116], v[129:130]
	v_fma_f64 v[133:134], v[6:7], v[115:116], -v[117:118]
	ds_load_b128 v[6:9], v1 offset:1008
	s_wait_loadcnt_dscnt 0x801
	v_mul_f64_e32 v[131:132], v[2:3], v[12:13]
	v_mul_f64_e32 v[12:13], v[4:5], v[12:13]
	scratch_load_b128 v[115:118], off, off offset:576
	v_add_f64_e32 v[123:124], v[123:124], v[135:136]
	v_add_f64_e32 v[125:126], v[125:126], v[127:128]
	s_wait_loadcnt_dscnt 0x800
	v_mul_f64_e32 v[127:128], v[6:7], v[16:17]
	v_mul_f64_e32 v[16:17], v[8:9], v[16:17]
	v_fma_f64 v[131:132], v[4:5], v[10:11], v[131:132]
	v_fma_f64 v[10:11], v[2:3], v[10:11], -v[12:13]
	ds_load_b128 v[2:5], v1 offset:1024
	v_add_f64_e32 v[12:13], v[123:124], v[133:134]
	v_add_f64_e32 v[123:124], v[125:126], v[129:130]
	v_fma_f64 v[127:128], v[8:9], v[14:15], v[127:128]
	v_fma_f64 v[14:15], v[6:7], v[14:15], -v[16:17]
	ds_load_b128 v[6:9], v1 offset:1040
	s_wait_loadcnt_dscnt 0x701
	v_mul_f64_e32 v[125:126], v[2:3], v[20:21]
	v_mul_f64_e32 v[20:21], v[4:5], v[20:21]
	v_add_f64_e32 v[10:11], v[12:13], v[10:11]
	v_add_f64_e32 v[12:13], v[123:124], v[131:132]
	s_delay_alu instid0(VALU_DEP_4) | instskip(NEXT) | instid1(VALU_DEP_4)
	v_fma_f64 v[123:124], v[4:5], v[18:19], v[125:126]
	v_fma_f64 v[18:19], v[2:3], v[18:19], -v[20:21]
	ds_load_b128 v[2:5], v1 offset:1056
	v_add_f64_e32 v[14:15], v[10:11], v[14:15]
	v_add_f64_e32 v[20:21], v[12:13], v[127:128]
	scratch_load_b128 v[10:13], off, off offset:224
	s_wait_loadcnt_dscnt 0x701
	v_mul_f64_e32 v[16:17], v[6:7], v[24:25]
	v_mul_f64_e32 v[24:25], v[8:9], v[24:25]
	v_add_f64_e32 v[14:15], v[14:15], v[18:19]
	v_add_f64_e32 v[18:19], v[20:21], v[123:124]
	s_delay_alu instid0(VALU_DEP_4) | instskip(NEXT) | instid1(VALU_DEP_4)
	v_fma_f64 v[16:17], v[8:9], v[22:23], v[16:17]
	v_fma_f64 v[22:23], v[6:7], v[22:23], -v[24:25]
	ds_load_b128 v[6:9], v1 offset:1072
	s_wait_loadcnt_dscnt 0x601
	v_mul_f64_e32 v[125:126], v[2:3], v[28:29]
	v_mul_f64_e32 v[28:29], v[4:5], v[28:29]
	s_wait_loadcnt_dscnt 0x500
	v_mul_f64_e32 v[20:21], v[6:7], v[32:33]
	v_mul_f64_e32 v[24:25], v[8:9], v[32:33]
	v_add_f64_e32 v[16:17], v[18:19], v[16:17]
	v_add_f64_e32 v[14:15], v[14:15], v[22:23]
	v_fma_f64 v[32:33], v[4:5], v[26:27], v[125:126]
	v_fma_f64 v[26:27], v[2:3], v[26:27], -v[28:29]
	ds_load_b128 v[2:5], v1 offset:1088
	v_fma_f64 v[20:21], v[8:9], v[30:31], v[20:21]
	v_fma_f64 v[24:25], v[6:7], v[30:31], -v[24:25]
	ds_load_b128 v[6:9], v1 offset:1104
	s_wait_loadcnt_dscnt 0x401
	v_mul_f64_e32 v[18:19], v[2:3], v[113:114]
	v_mul_f64_e32 v[22:23], v[4:5], v[113:114]
	v_add_f64_e32 v[16:17], v[16:17], v[32:33]
	v_add_f64_e32 v[14:15], v[14:15], v[26:27]
	s_wait_loadcnt_dscnt 0x300
	v_mul_f64_e32 v[26:27], v[6:7], v[121:122]
	v_mul_f64_e32 v[28:29], v[8:9], v[121:122]
	v_fma_f64 v[18:19], v[4:5], v[111:112], v[18:19]
	v_fma_f64 v[22:23], v[2:3], v[111:112], -v[22:23]
	ds_load_b128 v[2:5], v1 offset:1120
	v_add_f64_e32 v[16:17], v[16:17], v[20:21]
	v_add_f64_e32 v[14:15], v[14:15], v[24:25]
	v_fma_f64 v[26:27], v[8:9], v[119:120], v[26:27]
	v_fma_f64 v[28:29], v[6:7], v[119:120], -v[28:29]
	ds_load_b128 v[6:9], v1 offset:1136
	s_wait_loadcnt_dscnt 0x201
	v_mul_f64_e32 v[20:21], v[2:3], v[36:37]
	v_mul_f64_e32 v[24:25], v[4:5], v[36:37]
	v_add_f64_e32 v[16:17], v[16:17], v[18:19]
	v_add_f64_e32 v[14:15], v[14:15], v[22:23]
	s_wait_loadcnt_dscnt 0x100
	v_mul_f64_e32 v[18:19], v[6:7], v[117:118]
	v_mul_f64_e32 v[22:23], v[8:9], v[117:118]
	v_fma_f64 v[4:5], v[4:5], v[34:35], v[20:21]
	v_fma_f64 v[1:2], v[2:3], v[34:35], -v[24:25]
	v_add_f64_e32 v[16:17], v[16:17], v[26:27]
	v_add_f64_e32 v[14:15], v[14:15], v[28:29]
	v_fma_f64 v[8:9], v[8:9], v[115:116], v[18:19]
	v_fma_f64 v[6:7], v[6:7], v[115:116], -v[22:23]
	s_delay_alu instid0(VALU_DEP_4) | instskip(NEXT) | instid1(VALU_DEP_4)
	v_add_f64_e32 v[3:4], v[16:17], v[4:5]
	v_add_f64_e32 v[1:2], v[14:15], v[1:2]
	s_delay_alu instid0(VALU_DEP_2) | instskip(NEXT) | instid1(VALU_DEP_2)
	v_add_f64_e32 v[3:4], v[3:4], v[8:9]
	v_add_f64_e32 v[1:2], v[1:2], v[6:7]
	s_wait_loadcnt 0x0
	s_delay_alu instid0(VALU_DEP_2) | instskip(NEXT) | instid1(VALU_DEP_2)
	v_add_f64_e64 v[3:4], v[12:13], -v[3:4]
	v_add_f64_e64 v[1:2], v[10:11], -v[1:2]
	scratch_store_b128 off, v[1:4], off offset:224
	v_cmpx_lt_u32_e32 12, v0
	s_cbranch_execz .LBB35_205
; %bb.204:
	scratch_load_b128 v[1:4], off, s37
	v_mov_b32_e32 v5, 0
	s_delay_alu instid0(VALU_DEP_1)
	v_dual_mov_b32 v6, v5 :: v_dual_mov_b32 v7, v5
	v_mov_b32_e32 v8, v5
	scratch_store_b128 off, v[5:8], off offset:208
	s_wait_loadcnt 0x0
	ds_store_b128 v110, v[1:4]
.LBB35_205:
	s_wait_alu 0xfffe
	s_or_b32 exec_lo, exec_lo, s0
	s_wait_storecnt_dscnt 0x0
	s_barrier_signal -1
	s_barrier_wait -1
	global_inv scope:SCOPE_SE
	s_clause 0x7
	scratch_load_b128 v[2:5], off, off offset:224
	scratch_load_b128 v[6:9], off, off offset:240
	;; [unrolled: 1-line block ×8, first 2 shown]
	v_mov_b32_e32 v1, 0
	s_clause 0x1
	scratch_load_b128 v[111:114], off, off offset:352
	scratch_load_b128 v[119:122], off, off offset:368
	s_mov_b32 s0, exec_lo
	ds_load_b128 v[34:37], v1 offset:784
	ds_load_b128 v[115:118], v1 offset:800
	s_wait_loadcnt_dscnt 0x901
	v_mul_f64_e32 v[123:124], v[36:37], v[4:5]
	v_mul_f64_e32 v[4:5], v[34:35], v[4:5]
	s_wait_loadcnt_dscnt 0x800
	v_mul_f64_e32 v[125:126], v[115:116], v[8:9]
	v_mul_f64_e32 v[8:9], v[117:118], v[8:9]
	s_delay_alu instid0(VALU_DEP_4) | instskip(NEXT) | instid1(VALU_DEP_4)
	v_fma_f64 v[123:124], v[34:35], v[2:3], -v[123:124]
	v_fma_f64 v[127:128], v[36:37], v[2:3], v[4:5]
	ds_load_b128 v[2:5], v1 offset:816
	scratch_load_b128 v[34:37], off, off offset:384
	v_fma_f64 v[125:126], v[117:118], v[6:7], v[125:126]
	v_fma_f64 v[131:132], v[115:116], v[6:7], -v[8:9]
	ds_load_b128 v[6:9], v1 offset:832
	scratch_load_b128 v[115:118], off, off offset:400
	s_wait_loadcnt_dscnt 0x901
	v_mul_f64_e32 v[129:130], v[2:3], v[12:13]
	v_mul_f64_e32 v[12:13], v[4:5], v[12:13]
	s_wait_loadcnt_dscnt 0x800
	v_mul_f64_e32 v[133:134], v[6:7], v[16:17]
	v_mul_f64_e32 v[16:17], v[8:9], v[16:17]
	v_add_f64_e32 v[123:124], 0, v[123:124]
	v_add_f64_e32 v[127:128], 0, v[127:128]
	v_fma_f64 v[129:130], v[4:5], v[10:11], v[129:130]
	v_fma_f64 v[135:136], v[2:3], v[10:11], -v[12:13]
	ds_load_b128 v[2:5], v1 offset:848
	scratch_load_b128 v[10:13], off, off offset:416
	v_add_f64_e32 v[123:124], v[123:124], v[131:132]
	v_add_f64_e32 v[125:126], v[127:128], v[125:126]
	v_fma_f64 v[131:132], v[8:9], v[14:15], v[133:134]
	v_fma_f64 v[133:134], v[6:7], v[14:15], -v[16:17]
	ds_load_b128 v[6:9], v1 offset:864
	scratch_load_b128 v[14:17], off, off offset:432
	s_wait_loadcnt_dscnt 0x901
	v_mul_f64_e32 v[127:128], v[2:3], v[20:21]
	v_mul_f64_e32 v[20:21], v[4:5], v[20:21]
	v_add_f64_e32 v[123:124], v[123:124], v[135:136]
	v_add_f64_e32 v[125:126], v[125:126], v[129:130]
	s_wait_loadcnt_dscnt 0x800
	v_mul_f64_e32 v[129:130], v[6:7], v[24:25]
	v_mul_f64_e32 v[24:25], v[8:9], v[24:25]
	v_fma_f64 v[127:128], v[4:5], v[18:19], v[127:128]
	v_fma_f64 v[135:136], v[2:3], v[18:19], -v[20:21]
	ds_load_b128 v[2:5], v1 offset:880
	scratch_load_b128 v[18:21], off, off offset:448
	v_add_f64_e32 v[123:124], v[123:124], v[133:134]
	v_add_f64_e32 v[125:126], v[125:126], v[131:132]
	v_fma_f64 v[129:130], v[8:9], v[22:23], v[129:130]
	v_fma_f64 v[133:134], v[6:7], v[22:23], -v[24:25]
	ds_load_b128 v[6:9], v1 offset:896
	s_wait_loadcnt_dscnt 0x801
	v_mul_f64_e32 v[131:132], v[2:3], v[28:29]
	v_mul_f64_e32 v[28:29], v[4:5], v[28:29]
	scratch_load_b128 v[22:25], off, off offset:464
	v_add_f64_e32 v[123:124], v[123:124], v[135:136]
	v_add_f64_e32 v[125:126], v[125:126], v[127:128]
	s_wait_loadcnt_dscnt 0x800
	v_mul_f64_e32 v[127:128], v[6:7], v[32:33]
	v_mul_f64_e32 v[32:33], v[8:9], v[32:33]
	v_fma_f64 v[131:132], v[4:5], v[26:27], v[131:132]
	v_fma_f64 v[135:136], v[2:3], v[26:27], -v[28:29]
	ds_load_b128 v[2:5], v1 offset:912
	scratch_load_b128 v[26:29], off, off offset:480
	v_add_f64_e32 v[123:124], v[123:124], v[133:134]
	v_add_f64_e32 v[125:126], v[125:126], v[129:130]
	v_fma_f64 v[127:128], v[8:9], v[30:31], v[127:128]
	v_fma_f64 v[133:134], v[6:7], v[30:31], -v[32:33]
	ds_load_b128 v[6:9], v1 offset:928
	s_wait_loadcnt_dscnt 0x801
	v_mul_f64_e32 v[129:130], v[2:3], v[113:114]
	v_mul_f64_e32 v[113:114], v[4:5], v[113:114]
	scratch_load_b128 v[30:33], off, off offset:496
	v_add_f64_e32 v[123:124], v[123:124], v[135:136]
	v_add_f64_e32 v[125:126], v[125:126], v[131:132]
	s_wait_loadcnt_dscnt 0x800
	v_mul_f64_e32 v[131:132], v[6:7], v[121:122]
	v_mul_f64_e32 v[121:122], v[8:9], v[121:122]
	v_fma_f64 v[129:130], v[4:5], v[111:112], v[129:130]
	v_fma_f64 v[135:136], v[2:3], v[111:112], -v[113:114]
	ds_load_b128 v[2:5], v1 offset:944
	scratch_load_b128 v[111:114], off, off offset:512
	v_add_f64_e32 v[123:124], v[123:124], v[133:134]
	v_add_f64_e32 v[125:126], v[125:126], v[127:128]
	v_fma_f64 v[131:132], v[8:9], v[119:120], v[131:132]
	v_fma_f64 v[133:134], v[6:7], v[119:120], -v[121:122]
	ds_load_b128 v[6:9], v1 offset:960
	scratch_load_b128 v[119:122], off, off offset:528
	s_wait_loadcnt_dscnt 0x901
	v_mul_f64_e32 v[127:128], v[2:3], v[36:37]
	v_mul_f64_e32 v[36:37], v[4:5], v[36:37]
	v_add_f64_e32 v[123:124], v[123:124], v[135:136]
	v_add_f64_e32 v[125:126], v[125:126], v[129:130]
	s_wait_loadcnt_dscnt 0x800
	v_mul_f64_e32 v[129:130], v[6:7], v[117:118]
	v_mul_f64_e32 v[117:118], v[8:9], v[117:118]
	v_fma_f64 v[127:128], v[4:5], v[34:35], v[127:128]
	v_fma_f64 v[135:136], v[2:3], v[34:35], -v[36:37]
	ds_load_b128 v[2:5], v1 offset:976
	scratch_load_b128 v[34:37], off, off offset:544
	v_add_f64_e32 v[123:124], v[123:124], v[133:134]
	v_add_f64_e32 v[125:126], v[125:126], v[131:132]
	v_fma_f64 v[129:130], v[8:9], v[115:116], v[129:130]
	v_fma_f64 v[133:134], v[6:7], v[115:116], -v[117:118]
	ds_load_b128 v[6:9], v1 offset:992
	s_wait_loadcnt_dscnt 0x801
	v_mul_f64_e32 v[131:132], v[2:3], v[12:13]
	v_mul_f64_e32 v[12:13], v[4:5], v[12:13]
	scratch_load_b128 v[115:118], off, off offset:560
	v_add_f64_e32 v[123:124], v[123:124], v[135:136]
	v_add_f64_e32 v[125:126], v[125:126], v[127:128]
	s_wait_loadcnt_dscnt 0x800
	v_mul_f64_e32 v[127:128], v[6:7], v[16:17]
	v_mul_f64_e32 v[16:17], v[8:9], v[16:17]
	v_fma_f64 v[131:132], v[4:5], v[10:11], v[131:132]
	v_fma_f64 v[135:136], v[2:3], v[10:11], -v[12:13]
	ds_load_b128 v[2:5], v1 offset:1008
	scratch_load_b128 v[10:13], off, off offset:576
	v_add_f64_e32 v[123:124], v[123:124], v[133:134]
	v_add_f64_e32 v[125:126], v[125:126], v[129:130]
	v_fma_f64 v[127:128], v[8:9], v[14:15], v[127:128]
	v_fma_f64 v[14:15], v[6:7], v[14:15], -v[16:17]
	ds_load_b128 v[6:9], v1 offset:1024
	s_wait_loadcnt_dscnt 0x801
	v_mul_f64_e32 v[129:130], v[2:3], v[20:21]
	v_mul_f64_e32 v[20:21], v[4:5], v[20:21]
	v_add_f64_e32 v[16:17], v[123:124], v[135:136]
	v_add_f64_e32 v[123:124], v[125:126], v[131:132]
	s_wait_loadcnt_dscnt 0x700
	v_mul_f64_e32 v[125:126], v[6:7], v[24:25]
	v_mul_f64_e32 v[24:25], v[8:9], v[24:25]
	v_fma_f64 v[129:130], v[4:5], v[18:19], v[129:130]
	v_fma_f64 v[18:19], v[2:3], v[18:19], -v[20:21]
	ds_load_b128 v[2:5], v1 offset:1040
	v_add_f64_e32 v[14:15], v[16:17], v[14:15]
	v_add_f64_e32 v[16:17], v[123:124], v[127:128]
	v_fma_f64 v[123:124], v[8:9], v[22:23], v[125:126]
	v_fma_f64 v[22:23], v[6:7], v[22:23], -v[24:25]
	ds_load_b128 v[6:9], v1 offset:1056
	s_wait_loadcnt_dscnt 0x500
	v_mul_f64_e32 v[125:126], v[6:7], v[32:33]
	v_mul_f64_e32 v[32:33], v[8:9], v[32:33]
	v_add_f64_e32 v[18:19], v[14:15], v[18:19]
	v_add_f64_e32 v[24:25], v[16:17], v[129:130]
	scratch_load_b128 v[14:17], off, off offset:208
	v_mul_f64_e32 v[20:21], v[2:3], v[28:29]
	v_mul_f64_e32 v[28:29], v[4:5], v[28:29]
	v_add_f64_e32 v[18:19], v[18:19], v[22:23]
	v_add_f64_e32 v[22:23], v[24:25], v[123:124]
	s_delay_alu instid0(VALU_DEP_4) | instskip(NEXT) | instid1(VALU_DEP_4)
	v_fma_f64 v[20:21], v[4:5], v[26:27], v[20:21]
	v_fma_f64 v[26:27], v[2:3], v[26:27], -v[28:29]
	ds_load_b128 v[2:5], v1 offset:1072
	s_wait_loadcnt_dscnt 0x500
	v_mul_f64_e32 v[24:25], v[2:3], v[113:114]
	v_mul_f64_e32 v[28:29], v[4:5], v[113:114]
	v_fma_f64 v[113:114], v[8:9], v[30:31], v[125:126]
	v_fma_f64 v[30:31], v[6:7], v[30:31], -v[32:33]
	ds_load_b128 v[6:9], v1 offset:1088
	v_add_f64_e32 v[20:21], v[22:23], v[20:21]
	v_add_f64_e32 v[18:19], v[18:19], v[26:27]
	v_fma_f64 v[24:25], v[4:5], v[111:112], v[24:25]
	v_fma_f64 v[28:29], v[2:3], v[111:112], -v[28:29]
	ds_load_b128 v[2:5], v1 offset:1104
	s_wait_loadcnt_dscnt 0x401
	v_mul_f64_e32 v[22:23], v[6:7], v[121:122]
	v_mul_f64_e32 v[26:27], v[8:9], v[121:122]
	v_add_f64_e32 v[20:21], v[20:21], v[113:114]
	v_add_f64_e32 v[18:19], v[18:19], v[30:31]
	s_wait_loadcnt_dscnt 0x300
	v_mul_f64_e32 v[30:31], v[2:3], v[36:37]
	v_mul_f64_e32 v[32:33], v[4:5], v[36:37]
	v_fma_f64 v[22:23], v[8:9], v[119:120], v[22:23]
	v_fma_f64 v[26:27], v[6:7], v[119:120], -v[26:27]
	ds_load_b128 v[6:9], v1 offset:1120
	v_add_f64_e32 v[20:21], v[20:21], v[24:25]
	v_add_f64_e32 v[18:19], v[18:19], v[28:29]
	v_fma_f64 v[30:31], v[4:5], v[34:35], v[30:31]
	v_fma_f64 v[32:33], v[2:3], v[34:35], -v[32:33]
	ds_load_b128 v[2:5], v1 offset:1136
	s_wait_loadcnt_dscnt 0x201
	v_mul_f64_e32 v[24:25], v[6:7], v[117:118]
	v_mul_f64_e32 v[28:29], v[8:9], v[117:118]
	v_add_f64_e32 v[20:21], v[20:21], v[22:23]
	v_add_f64_e32 v[18:19], v[18:19], v[26:27]
	s_wait_loadcnt_dscnt 0x100
	v_mul_f64_e32 v[22:23], v[2:3], v[12:13]
	v_mul_f64_e32 v[12:13], v[4:5], v[12:13]
	v_fma_f64 v[8:9], v[8:9], v[115:116], v[24:25]
	v_fma_f64 v[6:7], v[6:7], v[115:116], -v[28:29]
	v_add_f64_e32 v[20:21], v[20:21], v[30:31]
	v_add_f64_e32 v[18:19], v[18:19], v[32:33]
	v_fma_f64 v[4:5], v[4:5], v[10:11], v[22:23]
	v_fma_f64 v[2:3], v[2:3], v[10:11], -v[12:13]
	s_delay_alu instid0(VALU_DEP_4) | instskip(NEXT) | instid1(VALU_DEP_4)
	v_add_f64_e32 v[8:9], v[20:21], v[8:9]
	v_add_f64_e32 v[6:7], v[18:19], v[6:7]
	s_delay_alu instid0(VALU_DEP_2) | instskip(NEXT) | instid1(VALU_DEP_2)
	v_add_f64_e32 v[4:5], v[8:9], v[4:5]
	v_add_f64_e32 v[2:3], v[6:7], v[2:3]
	s_wait_loadcnt 0x0
	s_delay_alu instid0(VALU_DEP_2) | instskip(NEXT) | instid1(VALU_DEP_2)
	v_add_f64_e64 v[4:5], v[16:17], -v[4:5]
	v_add_f64_e64 v[2:3], v[14:15], -v[2:3]
	scratch_store_b128 off, v[2:5], off offset:208
	v_cmpx_lt_u32_e32 11, v0
	s_cbranch_execz .LBB35_207
; %bb.206:
	scratch_load_b128 v[5:8], off, s38
	v_dual_mov_b32 v2, v1 :: v_dual_mov_b32 v3, v1
	v_mov_b32_e32 v4, v1
	scratch_store_b128 off, v[1:4], off offset:192
	s_wait_loadcnt 0x0
	ds_store_b128 v110, v[5:8]
.LBB35_207:
	s_wait_alu 0xfffe
	s_or_b32 exec_lo, exec_lo, s0
	s_wait_storecnt_dscnt 0x0
	s_barrier_signal -1
	s_barrier_wait -1
	global_inv scope:SCOPE_SE
	s_clause 0x7
	scratch_load_b128 v[2:5], off, off offset:208
	scratch_load_b128 v[6:9], off, off offset:224
	;; [unrolled: 1-line block ×8, first 2 shown]
	ds_load_b128 v[34:37], v1 offset:768
	ds_load_b128 v[115:118], v1 offset:784
	s_clause 0x1
	scratch_load_b128 v[111:114], off, off offset:336
	scratch_load_b128 v[119:122], off, off offset:352
	s_mov_b32 s0, exec_lo
	s_wait_loadcnt_dscnt 0x901
	v_mul_f64_e32 v[123:124], v[36:37], v[4:5]
	v_mul_f64_e32 v[4:5], v[34:35], v[4:5]
	s_wait_loadcnt_dscnt 0x800
	v_mul_f64_e32 v[125:126], v[115:116], v[8:9]
	v_mul_f64_e32 v[8:9], v[117:118], v[8:9]
	s_delay_alu instid0(VALU_DEP_4) | instskip(NEXT) | instid1(VALU_DEP_4)
	v_fma_f64 v[123:124], v[34:35], v[2:3], -v[123:124]
	v_fma_f64 v[127:128], v[36:37], v[2:3], v[4:5]
	ds_load_b128 v[2:5], v1 offset:800
	scratch_load_b128 v[34:37], off, off offset:368
	v_fma_f64 v[125:126], v[117:118], v[6:7], v[125:126]
	v_fma_f64 v[131:132], v[115:116], v[6:7], -v[8:9]
	ds_load_b128 v[6:9], v1 offset:816
	scratch_load_b128 v[115:118], off, off offset:384
	s_wait_loadcnt_dscnt 0x901
	v_mul_f64_e32 v[129:130], v[2:3], v[12:13]
	v_mul_f64_e32 v[12:13], v[4:5], v[12:13]
	s_wait_loadcnt_dscnt 0x800
	v_mul_f64_e32 v[133:134], v[6:7], v[16:17]
	v_mul_f64_e32 v[16:17], v[8:9], v[16:17]
	v_add_f64_e32 v[123:124], 0, v[123:124]
	v_add_f64_e32 v[127:128], 0, v[127:128]
	v_fma_f64 v[129:130], v[4:5], v[10:11], v[129:130]
	v_fma_f64 v[135:136], v[2:3], v[10:11], -v[12:13]
	ds_load_b128 v[2:5], v1 offset:832
	scratch_load_b128 v[10:13], off, off offset:400
	v_add_f64_e32 v[123:124], v[123:124], v[131:132]
	v_add_f64_e32 v[125:126], v[127:128], v[125:126]
	v_fma_f64 v[131:132], v[8:9], v[14:15], v[133:134]
	v_fma_f64 v[133:134], v[6:7], v[14:15], -v[16:17]
	ds_load_b128 v[6:9], v1 offset:848
	scratch_load_b128 v[14:17], off, off offset:416
	s_wait_loadcnt_dscnt 0x901
	v_mul_f64_e32 v[127:128], v[2:3], v[20:21]
	v_mul_f64_e32 v[20:21], v[4:5], v[20:21]
	v_add_f64_e32 v[123:124], v[123:124], v[135:136]
	v_add_f64_e32 v[125:126], v[125:126], v[129:130]
	s_wait_loadcnt_dscnt 0x800
	v_mul_f64_e32 v[129:130], v[6:7], v[24:25]
	v_mul_f64_e32 v[24:25], v[8:9], v[24:25]
	v_fma_f64 v[127:128], v[4:5], v[18:19], v[127:128]
	v_fma_f64 v[135:136], v[2:3], v[18:19], -v[20:21]
	ds_load_b128 v[2:5], v1 offset:864
	scratch_load_b128 v[18:21], off, off offset:432
	v_add_f64_e32 v[123:124], v[123:124], v[133:134]
	v_add_f64_e32 v[125:126], v[125:126], v[131:132]
	v_fma_f64 v[129:130], v[8:9], v[22:23], v[129:130]
	v_fma_f64 v[133:134], v[6:7], v[22:23], -v[24:25]
	ds_load_b128 v[6:9], v1 offset:880
	s_wait_loadcnt_dscnt 0x801
	v_mul_f64_e32 v[131:132], v[2:3], v[28:29]
	v_mul_f64_e32 v[28:29], v[4:5], v[28:29]
	scratch_load_b128 v[22:25], off, off offset:448
	v_add_f64_e32 v[123:124], v[123:124], v[135:136]
	v_add_f64_e32 v[125:126], v[125:126], v[127:128]
	s_wait_loadcnt_dscnt 0x800
	v_mul_f64_e32 v[127:128], v[6:7], v[32:33]
	v_mul_f64_e32 v[32:33], v[8:9], v[32:33]
	v_fma_f64 v[131:132], v[4:5], v[26:27], v[131:132]
	v_fma_f64 v[135:136], v[2:3], v[26:27], -v[28:29]
	ds_load_b128 v[2:5], v1 offset:896
	scratch_load_b128 v[26:29], off, off offset:464
	v_add_f64_e32 v[123:124], v[123:124], v[133:134]
	v_add_f64_e32 v[125:126], v[125:126], v[129:130]
	v_fma_f64 v[127:128], v[8:9], v[30:31], v[127:128]
	v_fma_f64 v[133:134], v[6:7], v[30:31], -v[32:33]
	ds_load_b128 v[6:9], v1 offset:912
	s_wait_loadcnt_dscnt 0x801
	v_mul_f64_e32 v[129:130], v[2:3], v[113:114]
	v_mul_f64_e32 v[113:114], v[4:5], v[113:114]
	scratch_load_b128 v[30:33], off, off offset:480
	v_add_f64_e32 v[123:124], v[123:124], v[135:136]
	v_add_f64_e32 v[125:126], v[125:126], v[131:132]
	s_wait_loadcnt_dscnt 0x800
	v_mul_f64_e32 v[131:132], v[6:7], v[121:122]
	v_mul_f64_e32 v[121:122], v[8:9], v[121:122]
	v_fma_f64 v[129:130], v[4:5], v[111:112], v[129:130]
	v_fma_f64 v[135:136], v[2:3], v[111:112], -v[113:114]
	ds_load_b128 v[2:5], v1 offset:928
	scratch_load_b128 v[111:114], off, off offset:496
	v_add_f64_e32 v[123:124], v[123:124], v[133:134]
	v_add_f64_e32 v[125:126], v[125:126], v[127:128]
	v_fma_f64 v[131:132], v[8:9], v[119:120], v[131:132]
	v_fma_f64 v[133:134], v[6:7], v[119:120], -v[121:122]
	ds_load_b128 v[6:9], v1 offset:944
	scratch_load_b128 v[119:122], off, off offset:512
	s_wait_loadcnt_dscnt 0x901
	v_mul_f64_e32 v[127:128], v[2:3], v[36:37]
	v_mul_f64_e32 v[36:37], v[4:5], v[36:37]
	v_add_f64_e32 v[123:124], v[123:124], v[135:136]
	v_add_f64_e32 v[125:126], v[125:126], v[129:130]
	s_wait_loadcnt_dscnt 0x800
	v_mul_f64_e32 v[129:130], v[6:7], v[117:118]
	v_mul_f64_e32 v[117:118], v[8:9], v[117:118]
	v_fma_f64 v[127:128], v[4:5], v[34:35], v[127:128]
	v_fma_f64 v[135:136], v[2:3], v[34:35], -v[36:37]
	ds_load_b128 v[2:5], v1 offset:960
	scratch_load_b128 v[34:37], off, off offset:528
	v_add_f64_e32 v[123:124], v[123:124], v[133:134]
	v_add_f64_e32 v[125:126], v[125:126], v[131:132]
	v_fma_f64 v[129:130], v[8:9], v[115:116], v[129:130]
	v_fma_f64 v[133:134], v[6:7], v[115:116], -v[117:118]
	ds_load_b128 v[6:9], v1 offset:976
	s_wait_loadcnt_dscnt 0x801
	v_mul_f64_e32 v[131:132], v[2:3], v[12:13]
	v_mul_f64_e32 v[12:13], v[4:5], v[12:13]
	scratch_load_b128 v[115:118], off, off offset:544
	v_add_f64_e32 v[123:124], v[123:124], v[135:136]
	v_add_f64_e32 v[125:126], v[125:126], v[127:128]
	s_wait_loadcnt_dscnt 0x800
	v_mul_f64_e32 v[127:128], v[6:7], v[16:17]
	v_mul_f64_e32 v[16:17], v[8:9], v[16:17]
	v_fma_f64 v[131:132], v[4:5], v[10:11], v[131:132]
	v_fma_f64 v[135:136], v[2:3], v[10:11], -v[12:13]
	ds_load_b128 v[2:5], v1 offset:992
	scratch_load_b128 v[10:13], off, off offset:560
	v_add_f64_e32 v[123:124], v[123:124], v[133:134]
	v_add_f64_e32 v[125:126], v[125:126], v[129:130]
	v_fma_f64 v[127:128], v[8:9], v[14:15], v[127:128]
	v_fma_f64 v[133:134], v[6:7], v[14:15], -v[16:17]
	ds_load_b128 v[6:9], v1 offset:1008
	s_wait_loadcnt_dscnt 0x801
	v_mul_f64_e32 v[129:130], v[2:3], v[20:21]
	v_mul_f64_e32 v[20:21], v[4:5], v[20:21]
	scratch_load_b128 v[14:17], off, off offset:576
	v_add_f64_e32 v[123:124], v[123:124], v[135:136]
	v_add_f64_e32 v[125:126], v[125:126], v[131:132]
	s_wait_loadcnt_dscnt 0x800
	v_mul_f64_e32 v[131:132], v[6:7], v[24:25]
	v_mul_f64_e32 v[24:25], v[8:9], v[24:25]
	v_fma_f64 v[129:130], v[4:5], v[18:19], v[129:130]
	v_fma_f64 v[18:19], v[2:3], v[18:19], -v[20:21]
	ds_load_b128 v[2:5], v1 offset:1024
	v_add_f64_e32 v[20:21], v[123:124], v[133:134]
	v_add_f64_e32 v[123:124], v[125:126], v[127:128]
	v_fma_f64 v[127:128], v[8:9], v[22:23], v[131:132]
	v_fma_f64 v[22:23], v[6:7], v[22:23], -v[24:25]
	ds_load_b128 v[6:9], v1 offset:1040
	s_wait_loadcnt_dscnt 0x701
	v_mul_f64_e32 v[125:126], v[2:3], v[28:29]
	v_mul_f64_e32 v[28:29], v[4:5], v[28:29]
	v_add_f64_e32 v[18:19], v[20:21], v[18:19]
	v_add_f64_e32 v[20:21], v[123:124], v[129:130]
	s_delay_alu instid0(VALU_DEP_4) | instskip(NEXT) | instid1(VALU_DEP_4)
	v_fma_f64 v[123:124], v[4:5], v[26:27], v[125:126]
	v_fma_f64 v[26:27], v[2:3], v[26:27], -v[28:29]
	ds_load_b128 v[2:5], v1 offset:1056
	v_add_f64_e32 v[22:23], v[18:19], v[22:23]
	v_add_f64_e32 v[28:29], v[20:21], v[127:128]
	scratch_load_b128 v[18:21], off, off offset:192
	s_wait_loadcnt_dscnt 0x701
	v_mul_f64_e32 v[24:25], v[6:7], v[32:33]
	v_mul_f64_e32 v[32:33], v[8:9], v[32:33]
	v_add_f64_e32 v[22:23], v[22:23], v[26:27]
	v_add_f64_e32 v[26:27], v[28:29], v[123:124]
	s_delay_alu instid0(VALU_DEP_4) | instskip(NEXT) | instid1(VALU_DEP_4)
	v_fma_f64 v[24:25], v[8:9], v[30:31], v[24:25]
	v_fma_f64 v[30:31], v[6:7], v[30:31], -v[32:33]
	ds_load_b128 v[6:9], v1 offset:1072
	s_wait_loadcnt_dscnt 0x601
	v_mul_f64_e32 v[125:126], v[2:3], v[113:114]
	v_mul_f64_e32 v[113:114], v[4:5], v[113:114]
	s_wait_loadcnt_dscnt 0x500
	v_mul_f64_e32 v[28:29], v[6:7], v[121:122]
	v_mul_f64_e32 v[32:33], v[8:9], v[121:122]
	v_add_f64_e32 v[24:25], v[26:27], v[24:25]
	v_add_f64_e32 v[22:23], v[22:23], v[30:31]
	v_fma_f64 v[121:122], v[4:5], v[111:112], v[125:126]
	v_fma_f64 v[111:112], v[2:3], v[111:112], -v[113:114]
	ds_load_b128 v[2:5], v1 offset:1088
	v_fma_f64 v[28:29], v[8:9], v[119:120], v[28:29]
	v_fma_f64 v[32:33], v[6:7], v[119:120], -v[32:33]
	ds_load_b128 v[6:9], v1 offset:1104
	s_wait_loadcnt_dscnt 0x401
	v_mul_f64_e32 v[26:27], v[2:3], v[36:37]
	v_mul_f64_e32 v[30:31], v[4:5], v[36:37]
	v_add_f64_e32 v[24:25], v[24:25], v[121:122]
	v_add_f64_e32 v[22:23], v[22:23], v[111:112]
	s_wait_loadcnt_dscnt 0x300
	v_mul_f64_e32 v[36:37], v[6:7], v[117:118]
	v_mul_f64_e32 v[111:112], v[8:9], v[117:118]
	v_fma_f64 v[26:27], v[4:5], v[34:35], v[26:27]
	v_fma_f64 v[30:31], v[2:3], v[34:35], -v[30:31]
	ds_load_b128 v[2:5], v1 offset:1120
	v_add_f64_e32 v[24:25], v[24:25], v[28:29]
	v_add_f64_e32 v[22:23], v[22:23], v[32:33]
	v_fma_f64 v[32:33], v[8:9], v[115:116], v[36:37]
	v_fma_f64 v[34:35], v[6:7], v[115:116], -v[111:112]
	ds_load_b128 v[6:9], v1 offset:1136
	s_wait_loadcnt_dscnt 0x201
	v_mul_f64_e32 v[28:29], v[2:3], v[12:13]
	v_mul_f64_e32 v[12:13], v[4:5], v[12:13]
	v_add_f64_e32 v[24:25], v[24:25], v[26:27]
	v_add_f64_e32 v[22:23], v[22:23], v[30:31]
	s_wait_loadcnt_dscnt 0x100
	v_mul_f64_e32 v[26:27], v[6:7], v[16:17]
	v_mul_f64_e32 v[16:17], v[8:9], v[16:17]
	v_fma_f64 v[4:5], v[4:5], v[10:11], v[28:29]
	v_fma_f64 v[1:2], v[2:3], v[10:11], -v[12:13]
	v_add_f64_e32 v[12:13], v[24:25], v[32:33]
	v_add_f64_e32 v[10:11], v[22:23], v[34:35]
	v_fma_f64 v[8:9], v[8:9], v[14:15], v[26:27]
	v_fma_f64 v[6:7], v[6:7], v[14:15], -v[16:17]
	s_delay_alu instid0(VALU_DEP_4) | instskip(NEXT) | instid1(VALU_DEP_4)
	v_add_f64_e32 v[3:4], v[12:13], v[4:5]
	v_add_f64_e32 v[1:2], v[10:11], v[1:2]
	s_delay_alu instid0(VALU_DEP_2) | instskip(NEXT) | instid1(VALU_DEP_2)
	v_add_f64_e32 v[3:4], v[3:4], v[8:9]
	v_add_f64_e32 v[1:2], v[1:2], v[6:7]
	s_wait_loadcnt 0x0
	s_delay_alu instid0(VALU_DEP_2) | instskip(NEXT) | instid1(VALU_DEP_2)
	v_add_f64_e64 v[3:4], v[20:21], -v[3:4]
	v_add_f64_e64 v[1:2], v[18:19], -v[1:2]
	scratch_store_b128 off, v[1:4], off offset:192
	v_cmpx_lt_u32_e32 10, v0
	s_cbranch_execz .LBB35_209
; %bb.208:
	scratch_load_b128 v[1:4], off, s39
	v_mov_b32_e32 v5, 0
	s_delay_alu instid0(VALU_DEP_1)
	v_dual_mov_b32 v6, v5 :: v_dual_mov_b32 v7, v5
	v_mov_b32_e32 v8, v5
	scratch_store_b128 off, v[5:8], off offset:176
	s_wait_loadcnt 0x0
	ds_store_b128 v110, v[1:4]
.LBB35_209:
	s_wait_alu 0xfffe
	s_or_b32 exec_lo, exec_lo, s0
	s_wait_storecnt_dscnt 0x0
	s_barrier_signal -1
	s_barrier_wait -1
	global_inv scope:SCOPE_SE
	s_clause 0x7
	scratch_load_b128 v[2:5], off, off offset:192
	scratch_load_b128 v[6:9], off, off offset:208
	;; [unrolled: 1-line block ×8, first 2 shown]
	v_mov_b32_e32 v1, 0
	s_clause 0x1
	scratch_load_b128 v[111:114], off, off offset:320
	scratch_load_b128 v[119:122], off, off offset:336
	s_mov_b32 s0, exec_lo
	ds_load_b128 v[34:37], v1 offset:752
	ds_load_b128 v[115:118], v1 offset:768
	s_wait_loadcnt_dscnt 0x901
	v_mul_f64_e32 v[123:124], v[36:37], v[4:5]
	v_mul_f64_e32 v[4:5], v[34:35], v[4:5]
	s_wait_loadcnt_dscnt 0x800
	v_mul_f64_e32 v[125:126], v[115:116], v[8:9]
	v_mul_f64_e32 v[8:9], v[117:118], v[8:9]
	s_delay_alu instid0(VALU_DEP_4) | instskip(NEXT) | instid1(VALU_DEP_4)
	v_fma_f64 v[123:124], v[34:35], v[2:3], -v[123:124]
	v_fma_f64 v[127:128], v[36:37], v[2:3], v[4:5]
	ds_load_b128 v[2:5], v1 offset:784
	scratch_load_b128 v[34:37], off, off offset:352
	v_fma_f64 v[125:126], v[117:118], v[6:7], v[125:126]
	v_fma_f64 v[131:132], v[115:116], v[6:7], -v[8:9]
	ds_load_b128 v[6:9], v1 offset:800
	scratch_load_b128 v[115:118], off, off offset:368
	s_wait_loadcnt_dscnt 0x901
	v_mul_f64_e32 v[129:130], v[2:3], v[12:13]
	v_mul_f64_e32 v[12:13], v[4:5], v[12:13]
	s_wait_loadcnt_dscnt 0x800
	v_mul_f64_e32 v[133:134], v[6:7], v[16:17]
	v_mul_f64_e32 v[16:17], v[8:9], v[16:17]
	v_add_f64_e32 v[123:124], 0, v[123:124]
	v_add_f64_e32 v[127:128], 0, v[127:128]
	v_fma_f64 v[129:130], v[4:5], v[10:11], v[129:130]
	v_fma_f64 v[135:136], v[2:3], v[10:11], -v[12:13]
	ds_load_b128 v[2:5], v1 offset:816
	scratch_load_b128 v[10:13], off, off offset:384
	v_add_f64_e32 v[123:124], v[123:124], v[131:132]
	v_add_f64_e32 v[125:126], v[127:128], v[125:126]
	v_fma_f64 v[131:132], v[8:9], v[14:15], v[133:134]
	v_fma_f64 v[133:134], v[6:7], v[14:15], -v[16:17]
	ds_load_b128 v[6:9], v1 offset:832
	scratch_load_b128 v[14:17], off, off offset:400
	s_wait_loadcnt_dscnt 0x901
	v_mul_f64_e32 v[127:128], v[2:3], v[20:21]
	v_mul_f64_e32 v[20:21], v[4:5], v[20:21]
	v_add_f64_e32 v[123:124], v[123:124], v[135:136]
	v_add_f64_e32 v[125:126], v[125:126], v[129:130]
	s_wait_loadcnt_dscnt 0x800
	v_mul_f64_e32 v[129:130], v[6:7], v[24:25]
	v_mul_f64_e32 v[24:25], v[8:9], v[24:25]
	v_fma_f64 v[127:128], v[4:5], v[18:19], v[127:128]
	v_fma_f64 v[135:136], v[2:3], v[18:19], -v[20:21]
	ds_load_b128 v[2:5], v1 offset:848
	scratch_load_b128 v[18:21], off, off offset:416
	v_add_f64_e32 v[123:124], v[123:124], v[133:134]
	v_add_f64_e32 v[125:126], v[125:126], v[131:132]
	v_fma_f64 v[129:130], v[8:9], v[22:23], v[129:130]
	v_fma_f64 v[133:134], v[6:7], v[22:23], -v[24:25]
	ds_load_b128 v[6:9], v1 offset:864
	s_wait_loadcnt_dscnt 0x801
	v_mul_f64_e32 v[131:132], v[2:3], v[28:29]
	v_mul_f64_e32 v[28:29], v[4:5], v[28:29]
	scratch_load_b128 v[22:25], off, off offset:432
	v_add_f64_e32 v[123:124], v[123:124], v[135:136]
	v_add_f64_e32 v[125:126], v[125:126], v[127:128]
	s_wait_loadcnt_dscnt 0x800
	v_mul_f64_e32 v[127:128], v[6:7], v[32:33]
	v_mul_f64_e32 v[32:33], v[8:9], v[32:33]
	v_fma_f64 v[131:132], v[4:5], v[26:27], v[131:132]
	v_fma_f64 v[135:136], v[2:3], v[26:27], -v[28:29]
	ds_load_b128 v[2:5], v1 offset:880
	scratch_load_b128 v[26:29], off, off offset:448
	v_add_f64_e32 v[123:124], v[123:124], v[133:134]
	v_add_f64_e32 v[125:126], v[125:126], v[129:130]
	v_fma_f64 v[127:128], v[8:9], v[30:31], v[127:128]
	v_fma_f64 v[133:134], v[6:7], v[30:31], -v[32:33]
	ds_load_b128 v[6:9], v1 offset:896
	s_wait_loadcnt_dscnt 0x801
	v_mul_f64_e32 v[129:130], v[2:3], v[113:114]
	v_mul_f64_e32 v[113:114], v[4:5], v[113:114]
	scratch_load_b128 v[30:33], off, off offset:464
	v_add_f64_e32 v[123:124], v[123:124], v[135:136]
	v_add_f64_e32 v[125:126], v[125:126], v[131:132]
	s_wait_loadcnt_dscnt 0x800
	v_mul_f64_e32 v[131:132], v[6:7], v[121:122]
	v_mul_f64_e32 v[121:122], v[8:9], v[121:122]
	v_fma_f64 v[129:130], v[4:5], v[111:112], v[129:130]
	v_fma_f64 v[135:136], v[2:3], v[111:112], -v[113:114]
	ds_load_b128 v[2:5], v1 offset:912
	scratch_load_b128 v[111:114], off, off offset:480
	v_add_f64_e32 v[123:124], v[123:124], v[133:134]
	v_add_f64_e32 v[125:126], v[125:126], v[127:128]
	v_fma_f64 v[131:132], v[8:9], v[119:120], v[131:132]
	v_fma_f64 v[133:134], v[6:7], v[119:120], -v[121:122]
	ds_load_b128 v[6:9], v1 offset:928
	scratch_load_b128 v[119:122], off, off offset:496
	s_wait_loadcnt_dscnt 0x901
	v_mul_f64_e32 v[127:128], v[2:3], v[36:37]
	v_mul_f64_e32 v[36:37], v[4:5], v[36:37]
	v_add_f64_e32 v[123:124], v[123:124], v[135:136]
	v_add_f64_e32 v[125:126], v[125:126], v[129:130]
	s_wait_loadcnt_dscnt 0x800
	v_mul_f64_e32 v[129:130], v[6:7], v[117:118]
	v_mul_f64_e32 v[117:118], v[8:9], v[117:118]
	v_fma_f64 v[127:128], v[4:5], v[34:35], v[127:128]
	v_fma_f64 v[135:136], v[2:3], v[34:35], -v[36:37]
	ds_load_b128 v[2:5], v1 offset:944
	scratch_load_b128 v[34:37], off, off offset:512
	v_add_f64_e32 v[123:124], v[123:124], v[133:134]
	v_add_f64_e32 v[125:126], v[125:126], v[131:132]
	v_fma_f64 v[129:130], v[8:9], v[115:116], v[129:130]
	v_fma_f64 v[133:134], v[6:7], v[115:116], -v[117:118]
	ds_load_b128 v[6:9], v1 offset:960
	s_wait_loadcnt_dscnt 0x801
	v_mul_f64_e32 v[131:132], v[2:3], v[12:13]
	v_mul_f64_e32 v[12:13], v[4:5], v[12:13]
	scratch_load_b128 v[115:118], off, off offset:528
	v_add_f64_e32 v[123:124], v[123:124], v[135:136]
	v_add_f64_e32 v[125:126], v[125:126], v[127:128]
	s_wait_loadcnt_dscnt 0x800
	v_mul_f64_e32 v[127:128], v[6:7], v[16:17]
	v_mul_f64_e32 v[16:17], v[8:9], v[16:17]
	v_fma_f64 v[131:132], v[4:5], v[10:11], v[131:132]
	v_fma_f64 v[135:136], v[2:3], v[10:11], -v[12:13]
	ds_load_b128 v[2:5], v1 offset:976
	scratch_load_b128 v[10:13], off, off offset:544
	v_add_f64_e32 v[123:124], v[123:124], v[133:134]
	v_add_f64_e32 v[125:126], v[125:126], v[129:130]
	v_fma_f64 v[127:128], v[8:9], v[14:15], v[127:128]
	v_fma_f64 v[133:134], v[6:7], v[14:15], -v[16:17]
	ds_load_b128 v[6:9], v1 offset:992
	s_wait_loadcnt_dscnt 0x801
	v_mul_f64_e32 v[129:130], v[2:3], v[20:21]
	v_mul_f64_e32 v[20:21], v[4:5], v[20:21]
	scratch_load_b128 v[14:17], off, off offset:560
	v_add_f64_e32 v[123:124], v[123:124], v[135:136]
	v_add_f64_e32 v[125:126], v[125:126], v[131:132]
	s_wait_loadcnt_dscnt 0x800
	v_mul_f64_e32 v[131:132], v[6:7], v[24:25]
	v_mul_f64_e32 v[24:25], v[8:9], v[24:25]
	v_fma_f64 v[129:130], v[4:5], v[18:19], v[129:130]
	v_fma_f64 v[135:136], v[2:3], v[18:19], -v[20:21]
	ds_load_b128 v[2:5], v1 offset:1008
	scratch_load_b128 v[18:21], off, off offset:576
	v_add_f64_e32 v[123:124], v[123:124], v[133:134]
	v_add_f64_e32 v[125:126], v[125:126], v[127:128]
	v_fma_f64 v[131:132], v[8:9], v[22:23], v[131:132]
	v_fma_f64 v[22:23], v[6:7], v[22:23], -v[24:25]
	ds_load_b128 v[6:9], v1 offset:1024
	s_wait_loadcnt_dscnt 0x801
	v_mul_f64_e32 v[127:128], v[2:3], v[28:29]
	v_mul_f64_e32 v[28:29], v[4:5], v[28:29]
	v_add_f64_e32 v[24:25], v[123:124], v[135:136]
	v_add_f64_e32 v[123:124], v[125:126], v[129:130]
	s_wait_loadcnt_dscnt 0x700
	v_mul_f64_e32 v[125:126], v[6:7], v[32:33]
	v_mul_f64_e32 v[32:33], v[8:9], v[32:33]
	v_fma_f64 v[127:128], v[4:5], v[26:27], v[127:128]
	v_fma_f64 v[26:27], v[2:3], v[26:27], -v[28:29]
	ds_load_b128 v[2:5], v1 offset:1040
	v_add_f64_e32 v[22:23], v[24:25], v[22:23]
	v_add_f64_e32 v[24:25], v[123:124], v[131:132]
	v_fma_f64 v[123:124], v[8:9], v[30:31], v[125:126]
	v_fma_f64 v[30:31], v[6:7], v[30:31], -v[32:33]
	ds_load_b128 v[6:9], v1 offset:1056
	s_wait_loadcnt_dscnt 0x500
	v_mul_f64_e32 v[125:126], v[6:7], v[121:122]
	v_mul_f64_e32 v[121:122], v[8:9], v[121:122]
	v_add_f64_e32 v[26:27], v[22:23], v[26:27]
	v_add_f64_e32 v[32:33], v[24:25], v[127:128]
	scratch_load_b128 v[22:25], off, off offset:176
	v_mul_f64_e32 v[28:29], v[2:3], v[113:114]
	v_mul_f64_e32 v[113:114], v[4:5], v[113:114]
	v_add_f64_e32 v[26:27], v[26:27], v[30:31]
	v_add_f64_e32 v[30:31], v[32:33], v[123:124]
	s_delay_alu instid0(VALU_DEP_4) | instskip(NEXT) | instid1(VALU_DEP_4)
	v_fma_f64 v[28:29], v[4:5], v[111:112], v[28:29]
	v_fma_f64 v[111:112], v[2:3], v[111:112], -v[113:114]
	ds_load_b128 v[2:5], v1 offset:1072
	v_fma_f64 v[113:114], v[8:9], v[119:120], v[125:126]
	v_fma_f64 v[119:120], v[6:7], v[119:120], -v[121:122]
	ds_load_b128 v[6:9], v1 offset:1088
	s_wait_loadcnt_dscnt 0x501
	v_mul_f64_e32 v[32:33], v[2:3], v[36:37]
	v_mul_f64_e32 v[36:37], v[4:5], v[36:37]
	v_add_f64_e32 v[28:29], v[30:31], v[28:29]
	v_add_f64_e32 v[26:27], v[26:27], v[111:112]
	s_wait_loadcnt_dscnt 0x400
	v_mul_f64_e32 v[30:31], v[6:7], v[117:118]
	v_mul_f64_e32 v[111:112], v[8:9], v[117:118]
	v_fma_f64 v[32:33], v[4:5], v[34:35], v[32:33]
	v_fma_f64 v[34:35], v[2:3], v[34:35], -v[36:37]
	ds_load_b128 v[2:5], v1 offset:1104
	v_add_f64_e32 v[28:29], v[28:29], v[113:114]
	v_add_f64_e32 v[26:27], v[26:27], v[119:120]
	v_fma_f64 v[30:31], v[8:9], v[115:116], v[30:31]
	v_fma_f64 v[111:112], v[6:7], v[115:116], -v[111:112]
	ds_load_b128 v[6:9], v1 offset:1120
	s_wait_loadcnt_dscnt 0x301
	v_mul_f64_e32 v[36:37], v[2:3], v[12:13]
	v_mul_f64_e32 v[12:13], v[4:5], v[12:13]
	v_add_f64_e32 v[28:29], v[28:29], v[32:33]
	v_add_f64_e32 v[26:27], v[26:27], v[34:35]
	s_wait_loadcnt_dscnt 0x200
	v_mul_f64_e32 v[32:33], v[6:7], v[16:17]
	v_mul_f64_e32 v[16:17], v[8:9], v[16:17]
	v_fma_f64 v[34:35], v[4:5], v[10:11], v[36:37]
	v_fma_f64 v[10:11], v[2:3], v[10:11], -v[12:13]
	ds_load_b128 v[2:5], v1 offset:1136
	v_add_f64_e32 v[12:13], v[26:27], v[111:112]
	v_add_f64_e32 v[26:27], v[28:29], v[30:31]
	s_wait_loadcnt_dscnt 0x100
	v_mul_f64_e32 v[28:29], v[2:3], v[20:21]
	v_mul_f64_e32 v[20:21], v[4:5], v[20:21]
	v_fma_f64 v[8:9], v[8:9], v[14:15], v[32:33]
	v_fma_f64 v[6:7], v[6:7], v[14:15], -v[16:17]
	v_add_f64_e32 v[10:11], v[12:13], v[10:11]
	v_add_f64_e32 v[12:13], v[26:27], v[34:35]
	v_fma_f64 v[4:5], v[4:5], v[18:19], v[28:29]
	v_fma_f64 v[2:3], v[2:3], v[18:19], -v[20:21]
	s_delay_alu instid0(VALU_DEP_4) | instskip(NEXT) | instid1(VALU_DEP_4)
	v_add_f64_e32 v[6:7], v[10:11], v[6:7]
	v_add_f64_e32 v[8:9], v[12:13], v[8:9]
	s_delay_alu instid0(VALU_DEP_2) | instskip(NEXT) | instid1(VALU_DEP_2)
	v_add_f64_e32 v[2:3], v[6:7], v[2:3]
	v_add_f64_e32 v[4:5], v[8:9], v[4:5]
	s_wait_loadcnt 0x0
	s_delay_alu instid0(VALU_DEP_2) | instskip(NEXT) | instid1(VALU_DEP_2)
	v_add_f64_e64 v[2:3], v[22:23], -v[2:3]
	v_add_f64_e64 v[4:5], v[24:25], -v[4:5]
	scratch_store_b128 off, v[2:5], off offset:176
	v_cmpx_lt_u32_e32 9, v0
	s_cbranch_execz .LBB35_211
; %bb.210:
	scratch_load_b128 v[5:8], off, s40
	v_dual_mov_b32 v2, v1 :: v_dual_mov_b32 v3, v1
	v_mov_b32_e32 v4, v1
	scratch_store_b128 off, v[1:4], off offset:160
	s_wait_loadcnt 0x0
	ds_store_b128 v110, v[5:8]
.LBB35_211:
	s_wait_alu 0xfffe
	s_or_b32 exec_lo, exec_lo, s0
	s_wait_storecnt_dscnt 0x0
	s_barrier_signal -1
	s_barrier_wait -1
	global_inv scope:SCOPE_SE
	s_clause 0x7
	scratch_load_b128 v[2:5], off, off offset:176
	scratch_load_b128 v[6:9], off, off offset:192
	;; [unrolled: 1-line block ×8, first 2 shown]
	ds_load_b128 v[34:37], v1 offset:736
	ds_load_b128 v[115:118], v1 offset:752
	s_clause 0x1
	scratch_load_b128 v[111:114], off, off offset:304
	scratch_load_b128 v[119:122], off, off offset:320
	s_mov_b32 s0, exec_lo
	s_wait_loadcnt_dscnt 0x901
	v_mul_f64_e32 v[123:124], v[36:37], v[4:5]
	v_mul_f64_e32 v[4:5], v[34:35], v[4:5]
	s_wait_loadcnt_dscnt 0x800
	v_mul_f64_e32 v[125:126], v[115:116], v[8:9]
	v_mul_f64_e32 v[8:9], v[117:118], v[8:9]
	s_delay_alu instid0(VALU_DEP_4) | instskip(NEXT) | instid1(VALU_DEP_4)
	v_fma_f64 v[123:124], v[34:35], v[2:3], -v[123:124]
	v_fma_f64 v[127:128], v[36:37], v[2:3], v[4:5]
	ds_load_b128 v[2:5], v1 offset:768
	scratch_load_b128 v[34:37], off, off offset:336
	v_fma_f64 v[125:126], v[117:118], v[6:7], v[125:126]
	v_fma_f64 v[131:132], v[115:116], v[6:7], -v[8:9]
	ds_load_b128 v[6:9], v1 offset:784
	scratch_load_b128 v[115:118], off, off offset:352
	s_wait_loadcnt_dscnt 0x901
	v_mul_f64_e32 v[129:130], v[2:3], v[12:13]
	v_mul_f64_e32 v[12:13], v[4:5], v[12:13]
	s_wait_loadcnt_dscnt 0x800
	v_mul_f64_e32 v[133:134], v[6:7], v[16:17]
	v_mul_f64_e32 v[16:17], v[8:9], v[16:17]
	v_add_f64_e32 v[123:124], 0, v[123:124]
	v_add_f64_e32 v[127:128], 0, v[127:128]
	v_fma_f64 v[129:130], v[4:5], v[10:11], v[129:130]
	v_fma_f64 v[135:136], v[2:3], v[10:11], -v[12:13]
	ds_load_b128 v[2:5], v1 offset:800
	scratch_load_b128 v[10:13], off, off offset:368
	v_add_f64_e32 v[123:124], v[123:124], v[131:132]
	v_add_f64_e32 v[125:126], v[127:128], v[125:126]
	v_fma_f64 v[131:132], v[8:9], v[14:15], v[133:134]
	v_fma_f64 v[133:134], v[6:7], v[14:15], -v[16:17]
	ds_load_b128 v[6:9], v1 offset:816
	scratch_load_b128 v[14:17], off, off offset:384
	s_wait_loadcnt_dscnt 0x901
	v_mul_f64_e32 v[127:128], v[2:3], v[20:21]
	v_mul_f64_e32 v[20:21], v[4:5], v[20:21]
	v_add_f64_e32 v[123:124], v[123:124], v[135:136]
	v_add_f64_e32 v[125:126], v[125:126], v[129:130]
	s_wait_loadcnt_dscnt 0x800
	v_mul_f64_e32 v[129:130], v[6:7], v[24:25]
	v_mul_f64_e32 v[24:25], v[8:9], v[24:25]
	v_fma_f64 v[127:128], v[4:5], v[18:19], v[127:128]
	v_fma_f64 v[135:136], v[2:3], v[18:19], -v[20:21]
	ds_load_b128 v[2:5], v1 offset:832
	scratch_load_b128 v[18:21], off, off offset:400
	v_add_f64_e32 v[123:124], v[123:124], v[133:134]
	v_add_f64_e32 v[125:126], v[125:126], v[131:132]
	v_fma_f64 v[129:130], v[8:9], v[22:23], v[129:130]
	v_fma_f64 v[133:134], v[6:7], v[22:23], -v[24:25]
	ds_load_b128 v[6:9], v1 offset:848
	s_wait_loadcnt_dscnt 0x801
	v_mul_f64_e32 v[131:132], v[2:3], v[28:29]
	v_mul_f64_e32 v[28:29], v[4:5], v[28:29]
	scratch_load_b128 v[22:25], off, off offset:416
	v_add_f64_e32 v[123:124], v[123:124], v[135:136]
	v_add_f64_e32 v[125:126], v[125:126], v[127:128]
	s_wait_loadcnt_dscnt 0x800
	v_mul_f64_e32 v[127:128], v[6:7], v[32:33]
	v_mul_f64_e32 v[32:33], v[8:9], v[32:33]
	v_fma_f64 v[131:132], v[4:5], v[26:27], v[131:132]
	v_fma_f64 v[135:136], v[2:3], v[26:27], -v[28:29]
	ds_load_b128 v[2:5], v1 offset:864
	scratch_load_b128 v[26:29], off, off offset:432
	v_add_f64_e32 v[123:124], v[123:124], v[133:134]
	v_add_f64_e32 v[125:126], v[125:126], v[129:130]
	v_fma_f64 v[127:128], v[8:9], v[30:31], v[127:128]
	v_fma_f64 v[133:134], v[6:7], v[30:31], -v[32:33]
	ds_load_b128 v[6:9], v1 offset:880
	s_wait_loadcnt_dscnt 0x801
	v_mul_f64_e32 v[129:130], v[2:3], v[113:114]
	v_mul_f64_e32 v[113:114], v[4:5], v[113:114]
	scratch_load_b128 v[30:33], off, off offset:448
	v_add_f64_e32 v[123:124], v[123:124], v[135:136]
	v_add_f64_e32 v[125:126], v[125:126], v[131:132]
	s_wait_loadcnt_dscnt 0x800
	v_mul_f64_e32 v[131:132], v[6:7], v[121:122]
	v_mul_f64_e32 v[121:122], v[8:9], v[121:122]
	v_fma_f64 v[129:130], v[4:5], v[111:112], v[129:130]
	v_fma_f64 v[135:136], v[2:3], v[111:112], -v[113:114]
	ds_load_b128 v[2:5], v1 offset:896
	scratch_load_b128 v[111:114], off, off offset:464
	v_add_f64_e32 v[123:124], v[123:124], v[133:134]
	v_add_f64_e32 v[125:126], v[125:126], v[127:128]
	v_fma_f64 v[131:132], v[8:9], v[119:120], v[131:132]
	v_fma_f64 v[133:134], v[6:7], v[119:120], -v[121:122]
	ds_load_b128 v[6:9], v1 offset:912
	scratch_load_b128 v[119:122], off, off offset:480
	s_wait_loadcnt_dscnt 0x901
	v_mul_f64_e32 v[127:128], v[2:3], v[36:37]
	v_mul_f64_e32 v[36:37], v[4:5], v[36:37]
	v_add_f64_e32 v[123:124], v[123:124], v[135:136]
	v_add_f64_e32 v[125:126], v[125:126], v[129:130]
	s_wait_loadcnt_dscnt 0x800
	v_mul_f64_e32 v[129:130], v[6:7], v[117:118]
	v_mul_f64_e32 v[117:118], v[8:9], v[117:118]
	v_fma_f64 v[127:128], v[4:5], v[34:35], v[127:128]
	v_fma_f64 v[135:136], v[2:3], v[34:35], -v[36:37]
	ds_load_b128 v[2:5], v1 offset:928
	scratch_load_b128 v[34:37], off, off offset:496
	v_add_f64_e32 v[123:124], v[123:124], v[133:134]
	v_add_f64_e32 v[125:126], v[125:126], v[131:132]
	v_fma_f64 v[129:130], v[8:9], v[115:116], v[129:130]
	v_fma_f64 v[133:134], v[6:7], v[115:116], -v[117:118]
	ds_load_b128 v[6:9], v1 offset:944
	s_wait_loadcnt_dscnt 0x801
	v_mul_f64_e32 v[131:132], v[2:3], v[12:13]
	v_mul_f64_e32 v[12:13], v[4:5], v[12:13]
	scratch_load_b128 v[115:118], off, off offset:512
	v_add_f64_e32 v[123:124], v[123:124], v[135:136]
	v_add_f64_e32 v[125:126], v[125:126], v[127:128]
	s_wait_loadcnt_dscnt 0x800
	v_mul_f64_e32 v[127:128], v[6:7], v[16:17]
	v_mul_f64_e32 v[16:17], v[8:9], v[16:17]
	v_fma_f64 v[131:132], v[4:5], v[10:11], v[131:132]
	v_fma_f64 v[135:136], v[2:3], v[10:11], -v[12:13]
	ds_load_b128 v[2:5], v1 offset:960
	scratch_load_b128 v[10:13], off, off offset:528
	v_add_f64_e32 v[123:124], v[123:124], v[133:134]
	v_add_f64_e32 v[125:126], v[125:126], v[129:130]
	v_fma_f64 v[127:128], v[8:9], v[14:15], v[127:128]
	v_fma_f64 v[133:134], v[6:7], v[14:15], -v[16:17]
	ds_load_b128 v[6:9], v1 offset:976
	s_wait_loadcnt_dscnt 0x801
	v_mul_f64_e32 v[129:130], v[2:3], v[20:21]
	v_mul_f64_e32 v[20:21], v[4:5], v[20:21]
	scratch_load_b128 v[14:17], off, off offset:544
	;; [unrolled: 18-line block ×3, first 2 shown]
	v_add_f64_e32 v[123:124], v[123:124], v[135:136]
	v_add_f64_e32 v[125:126], v[125:126], v[129:130]
	s_wait_loadcnt_dscnt 0x800
	v_mul_f64_e32 v[129:130], v[6:7], v[32:33]
	v_mul_f64_e32 v[32:33], v[8:9], v[32:33]
	v_fma_f64 v[127:128], v[4:5], v[26:27], v[127:128]
	v_fma_f64 v[26:27], v[2:3], v[26:27], -v[28:29]
	ds_load_b128 v[2:5], v1 offset:1024
	v_add_f64_e32 v[28:29], v[123:124], v[133:134]
	v_add_f64_e32 v[123:124], v[125:126], v[131:132]
	v_fma_f64 v[129:130], v[8:9], v[30:31], v[129:130]
	v_fma_f64 v[30:31], v[6:7], v[30:31], -v[32:33]
	ds_load_b128 v[6:9], v1 offset:1040
	s_wait_loadcnt_dscnt 0x701
	v_mul_f64_e32 v[125:126], v[2:3], v[113:114]
	v_mul_f64_e32 v[113:114], v[4:5], v[113:114]
	v_add_f64_e32 v[26:27], v[28:29], v[26:27]
	v_add_f64_e32 v[28:29], v[123:124], v[127:128]
	s_delay_alu instid0(VALU_DEP_4) | instskip(NEXT) | instid1(VALU_DEP_4)
	v_fma_f64 v[123:124], v[4:5], v[111:112], v[125:126]
	v_fma_f64 v[111:112], v[2:3], v[111:112], -v[113:114]
	ds_load_b128 v[2:5], v1 offset:1056
	v_add_f64_e32 v[30:31], v[26:27], v[30:31]
	v_add_f64_e32 v[113:114], v[28:29], v[129:130]
	scratch_load_b128 v[26:29], off, off offset:160
	s_wait_loadcnt_dscnt 0x701
	v_mul_f64_e32 v[32:33], v[6:7], v[121:122]
	v_mul_f64_e32 v[121:122], v[8:9], v[121:122]
	v_add_f64_e32 v[30:31], v[30:31], v[111:112]
	v_add_f64_e32 v[111:112], v[113:114], v[123:124]
	s_delay_alu instid0(VALU_DEP_4) | instskip(NEXT) | instid1(VALU_DEP_4)
	v_fma_f64 v[32:33], v[8:9], v[119:120], v[32:33]
	v_fma_f64 v[119:120], v[6:7], v[119:120], -v[121:122]
	ds_load_b128 v[6:9], v1 offset:1072
	s_wait_loadcnt_dscnt 0x601
	v_mul_f64_e32 v[125:126], v[2:3], v[36:37]
	v_mul_f64_e32 v[36:37], v[4:5], v[36:37]
	s_wait_loadcnt_dscnt 0x500
	v_mul_f64_e32 v[113:114], v[6:7], v[117:118]
	v_mul_f64_e32 v[117:118], v[8:9], v[117:118]
	v_add_f64_e32 v[32:33], v[111:112], v[32:33]
	v_add_f64_e32 v[30:31], v[30:31], v[119:120]
	v_fma_f64 v[121:122], v[4:5], v[34:35], v[125:126]
	v_fma_f64 v[34:35], v[2:3], v[34:35], -v[36:37]
	ds_load_b128 v[2:5], v1 offset:1088
	v_fma_f64 v[111:112], v[8:9], v[115:116], v[113:114]
	v_fma_f64 v[113:114], v[6:7], v[115:116], -v[117:118]
	ds_load_b128 v[6:9], v1 offset:1104
	s_wait_loadcnt_dscnt 0x401
	v_mul_f64_e32 v[36:37], v[2:3], v[12:13]
	v_mul_f64_e32 v[12:13], v[4:5], v[12:13]
	v_add_f64_e32 v[32:33], v[32:33], v[121:122]
	v_add_f64_e32 v[30:31], v[30:31], v[34:35]
	s_wait_loadcnt_dscnt 0x300
	v_mul_f64_e32 v[34:35], v[6:7], v[16:17]
	v_mul_f64_e32 v[16:17], v[8:9], v[16:17]
	v_fma_f64 v[36:37], v[4:5], v[10:11], v[36:37]
	v_fma_f64 v[10:11], v[2:3], v[10:11], -v[12:13]
	ds_load_b128 v[2:5], v1 offset:1120
	v_add_f64_e32 v[12:13], v[30:31], v[113:114]
	v_add_f64_e32 v[30:31], v[32:33], v[111:112]
	v_fma_f64 v[34:35], v[8:9], v[14:15], v[34:35]
	v_fma_f64 v[14:15], v[6:7], v[14:15], -v[16:17]
	ds_load_b128 v[6:9], v1 offset:1136
	s_wait_loadcnt_dscnt 0x201
	v_mul_f64_e32 v[32:33], v[2:3], v[20:21]
	v_mul_f64_e32 v[20:21], v[4:5], v[20:21]
	s_wait_loadcnt_dscnt 0x100
	v_mul_f64_e32 v[16:17], v[6:7], v[24:25]
	v_mul_f64_e32 v[24:25], v[8:9], v[24:25]
	v_add_f64_e32 v[10:11], v[12:13], v[10:11]
	v_add_f64_e32 v[12:13], v[30:31], v[36:37]
	v_fma_f64 v[4:5], v[4:5], v[18:19], v[32:33]
	v_fma_f64 v[1:2], v[2:3], v[18:19], -v[20:21]
	v_fma_f64 v[8:9], v[8:9], v[22:23], v[16:17]
	v_fma_f64 v[6:7], v[6:7], v[22:23], -v[24:25]
	v_add_f64_e32 v[10:11], v[10:11], v[14:15]
	v_add_f64_e32 v[12:13], v[12:13], v[34:35]
	s_delay_alu instid0(VALU_DEP_2) | instskip(NEXT) | instid1(VALU_DEP_2)
	v_add_f64_e32 v[1:2], v[10:11], v[1:2]
	v_add_f64_e32 v[3:4], v[12:13], v[4:5]
	s_delay_alu instid0(VALU_DEP_2) | instskip(NEXT) | instid1(VALU_DEP_2)
	v_add_f64_e32 v[1:2], v[1:2], v[6:7]
	v_add_f64_e32 v[3:4], v[3:4], v[8:9]
	s_wait_loadcnt 0x0
	s_delay_alu instid0(VALU_DEP_2) | instskip(NEXT) | instid1(VALU_DEP_2)
	v_add_f64_e64 v[1:2], v[26:27], -v[1:2]
	v_add_f64_e64 v[3:4], v[28:29], -v[3:4]
	scratch_store_b128 off, v[1:4], off offset:160
	v_cmpx_lt_u32_e32 8, v0
	s_cbranch_execz .LBB35_213
; %bb.212:
	scratch_load_b128 v[1:4], off, s41
	v_mov_b32_e32 v5, 0
	s_delay_alu instid0(VALU_DEP_1)
	v_dual_mov_b32 v6, v5 :: v_dual_mov_b32 v7, v5
	v_mov_b32_e32 v8, v5
	scratch_store_b128 off, v[5:8], off offset:144
	s_wait_loadcnt 0x0
	ds_store_b128 v110, v[1:4]
.LBB35_213:
	s_wait_alu 0xfffe
	s_or_b32 exec_lo, exec_lo, s0
	s_wait_storecnt_dscnt 0x0
	s_barrier_signal -1
	s_barrier_wait -1
	global_inv scope:SCOPE_SE
	s_clause 0x7
	scratch_load_b128 v[2:5], off, off offset:160
	scratch_load_b128 v[6:9], off, off offset:176
	;; [unrolled: 1-line block ×8, first 2 shown]
	v_mov_b32_e32 v1, 0
	s_clause 0x1
	scratch_load_b128 v[111:114], off, off offset:288
	scratch_load_b128 v[119:122], off, off offset:304
	s_mov_b32 s0, exec_lo
	ds_load_b128 v[34:37], v1 offset:720
	ds_load_b128 v[115:118], v1 offset:736
	s_wait_loadcnt_dscnt 0x901
	v_mul_f64_e32 v[123:124], v[36:37], v[4:5]
	v_mul_f64_e32 v[4:5], v[34:35], v[4:5]
	s_wait_loadcnt_dscnt 0x800
	v_mul_f64_e32 v[125:126], v[115:116], v[8:9]
	v_mul_f64_e32 v[8:9], v[117:118], v[8:9]
	s_delay_alu instid0(VALU_DEP_4) | instskip(NEXT) | instid1(VALU_DEP_4)
	v_fma_f64 v[123:124], v[34:35], v[2:3], -v[123:124]
	v_fma_f64 v[127:128], v[36:37], v[2:3], v[4:5]
	ds_load_b128 v[2:5], v1 offset:752
	scratch_load_b128 v[34:37], off, off offset:320
	v_fma_f64 v[125:126], v[117:118], v[6:7], v[125:126]
	v_fma_f64 v[131:132], v[115:116], v[6:7], -v[8:9]
	ds_load_b128 v[6:9], v1 offset:768
	scratch_load_b128 v[115:118], off, off offset:336
	s_wait_loadcnt_dscnt 0x901
	v_mul_f64_e32 v[129:130], v[2:3], v[12:13]
	v_mul_f64_e32 v[12:13], v[4:5], v[12:13]
	s_wait_loadcnt_dscnt 0x800
	v_mul_f64_e32 v[133:134], v[6:7], v[16:17]
	v_mul_f64_e32 v[16:17], v[8:9], v[16:17]
	v_add_f64_e32 v[123:124], 0, v[123:124]
	v_add_f64_e32 v[127:128], 0, v[127:128]
	v_fma_f64 v[129:130], v[4:5], v[10:11], v[129:130]
	v_fma_f64 v[135:136], v[2:3], v[10:11], -v[12:13]
	ds_load_b128 v[2:5], v1 offset:784
	scratch_load_b128 v[10:13], off, off offset:352
	v_add_f64_e32 v[123:124], v[123:124], v[131:132]
	v_add_f64_e32 v[125:126], v[127:128], v[125:126]
	v_fma_f64 v[131:132], v[8:9], v[14:15], v[133:134]
	v_fma_f64 v[133:134], v[6:7], v[14:15], -v[16:17]
	ds_load_b128 v[6:9], v1 offset:800
	scratch_load_b128 v[14:17], off, off offset:368
	s_wait_loadcnt_dscnt 0x901
	v_mul_f64_e32 v[127:128], v[2:3], v[20:21]
	v_mul_f64_e32 v[20:21], v[4:5], v[20:21]
	v_add_f64_e32 v[123:124], v[123:124], v[135:136]
	v_add_f64_e32 v[125:126], v[125:126], v[129:130]
	s_wait_loadcnt_dscnt 0x800
	v_mul_f64_e32 v[129:130], v[6:7], v[24:25]
	v_mul_f64_e32 v[24:25], v[8:9], v[24:25]
	v_fma_f64 v[127:128], v[4:5], v[18:19], v[127:128]
	v_fma_f64 v[135:136], v[2:3], v[18:19], -v[20:21]
	ds_load_b128 v[2:5], v1 offset:816
	scratch_load_b128 v[18:21], off, off offset:384
	v_add_f64_e32 v[123:124], v[123:124], v[133:134]
	v_add_f64_e32 v[125:126], v[125:126], v[131:132]
	v_fma_f64 v[129:130], v[8:9], v[22:23], v[129:130]
	v_fma_f64 v[133:134], v[6:7], v[22:23], -v[24:25]
	ds_load_b128 v[6:9], v1 offset:832
	s_wait_loadcnt_dscnt 0x801
	v_mul_f64_e32 v[131:132], v[2:3], v[28:29]
	v_mul_f64_e32 v[28:29], v[4:5], v[28:29]
	scratch_load_b128 v[22:25], off, off offset:400
	v_add_f64_e32 v[123:124], v[123:124], v[135:136]
	v_add_f64_e32 v[125:126], v[125:126], v[127:128]
	s_wait_loadcnt_dscnt 0x800
	v_mul_f64_e32 v[127:128], v[6:7], v[32:33]
	v_mul_f64_e32 v[32:33], v[8:9], v[32:33]
	v_fma_f64 v[131:132], v[4:5], v[26:27], v[131:132]
	v_fma_f64 v[135:136], v[2:3], v[26:27], -v[28:29]
	ds_load_b128 v[2:5], v1 offset:848
	scratch_load_b128 v[26:29], off, off offset:416
	v_add_f64_e32 v[123:124], v[123:124], v[133:134]
	v_add_f64_e32 v[125:126], v[125:126], v[129:130]
	v_fma_f64 v[127:128], v[8:9], v[30:31], v[127:128]
	v_fma_f64 v[133:134], v[6:7], v[30:31], -v[32:33]
	ds_load_b128 v[6:9], v1 offset:864
	s_wait_loadcnt_dscnt 0x801
	v_mul_f64_e32 v[129:130], v[2:3], v[113:114]
	v_mul_f64_e32 v[113:114], v[4:5], v[113:114]
	scratch_load_b128 v[30:33], off, off offset:432
	v_add_f64_e32 v[123:124], v[123:124], v[135:136]
	v_add_f64_e32 v[125:126], v[125:126], v[131:132]
	s_wait_loadcnt_dscnt 0x800
	v_mul_f64_e32 v[131:132], v[6:7], v[121:122]
	v_mul_f64_e32 v[121:122], v[8:9], v[121:122]
	v_fma_f64 v[129:130], v[4:5], v[111:112], v[129:130]
	v_fma_f64 v[135:136], v[2:3], v[111:112], -v[113:114]
	ds_load_b128 v[2:5], v1 offset:880
	scratch_load_b128 v[111:114], off, off offset:448
	v_add_f64_e32 v[123:124], v[123:124], v[133:134]
	v_add_f64_e32 v[125:126], v[125:126], v[127:128]
	v_fma_f64 v[131:132], v[8:9], v[119:120], v[131:132]
	v_fma_f64 v[133:134], v[6:7], v[119:120], -v[121:122]
	ds_load_b128 v[6:9], v1 offset:896
	scratch_load_b128 v[119:122], off, off offset:464
	s_wait_loadcnt_dscnt 0x901
	v_mul_f64_e32 v[127:128], v[2:3], v[36:37]
	v_mul_f64_e32 v[36:37], v[4:5], v[36:37]
	v_add_f64_e32 v[123:124], v[123:124], v[135:136]
	v_add_f64_e32 v[125:126], v[125:126], v[129:130]
	s_wait_loadcnt_dscnt 0x800
	v_mul_f64_e32 v[129:130], v[6:7], v[117:118]
	v_mul_f64_e32 v[117:118], v[8:9], v[117:118]
	v_fma_f64 v[127:128], v[4:5], v[34:35], v[127:128]
	v_fma_f64 v[135:136], v[2:3], v[34:35], -v[36:37]
	ds_load_b128 v[2:5], v1 offset:912
	scratch_load_b128 v[34:37], off, off offset:480
	v_add_f64_e32 v[123:124], v[123:124], v[133:134]
	v_add_f64_e32 v[125:126], v[125:126], v[131:132]
	v_fma_f64 v[129:130], v[8:9], v[115:116], v[129:130]
	v_fma_f64 v[133:134], v[6:7], v[115:116], -v[117:118]
	ds_load_b128 v[6:9], v1 offset:928
	s_wait_loadcnt_dscnt 0x801
	v_mul_f64_e32 v[131:132], v[2:3], v[12:13]
	v_mul_f64_e32 v[12:13], v[4:5], v[12:13]
	scratch_load_b128 v[115:118], off, off offset:496
	v_add_f64_e32 v[123:124], v[123:124], v[135:136]
	v_add_f64_e32 v[125:126], v[125:126], v[127:128]
	s_wait_loadcnt_dscnt 0x800
	v_mul_f64_e32 v[127:128], v[6:7], v[16:17]
	v_mul_f64_e32 v[16:17], v[8:9], v[16:17]
	v_fma_f64 v[131:132], v[4:5], v[10:11], v[131:132]
	v_fma_f64 v[135:136], v[2:3], v[10:11], -v[12:13]
	ds_load_b128 v[2:5], v1 offset:944
	scratch_load_b128 v[10:13], off, off offset:512
	v_add_f64_e32 v[123:124], v[123:124], v[133:134]
	v_add_f64_e32 v[125:126], v[125:126], v[129:130]
	v_fma_f64 v[127:128], v[8:9], v[14:15], v[127:128]
	v_fma_f64 v[133:134], v[6:7], v[14:15], -v[16:17]
	ds_load_b128 v[6:9], v1 offset:960
	s_wait_loadcnt_dscnt 0x801
	v_mul_f64_e32 v[129:130], v[2:3], v[20:21]
	v_mul_f64_e32 v[20:21], v[4:5], v[20:21]
	scratch_load_b128 v[14:17], off, off offset:528
	;; [unrolled: 18-line block ×3, first 2 shown]
	v_add_f64_e32 v[123:124], v[123:124], v[135:136]
	v_add_f64_e32 v[125:126], v[125:126], v[129:130]
	s_wait_loadcnt_dscnt 0x800
	v_mul_f64_e32 v[129:130], v[6:7], v[32:33]
	v_mul_f64_e32 v[32:33], v[8:9], v[32:33]
	v_fma_f64 v[127:128], v[4:5], v[26:27], v[127:128]
	v_fma_f64 v[135:136], v[2:3], v[26:27], -v[28:29]
	ds_load_b128 v[2:5], v1 offset:1008
	scratch_load_b128 v[26:29], off, off offset:576
	v_add_f64_e32 v[123:124], v[123:124], v[133:134]
	v_add_f64_e32 v[125:126], v[125:126], v[131:132]
	v_fma_f64 v[129:130], v[8:9], v[30:31], v[129:130]
	v_fma_f64 v[30:31], v[6:7], v[30:31], -v[32:33]
	ds_load_b128 v[6:9], v1 offset:1024
	s_wait_loadcnt_dscnt 0x801
	v_mul_f64_e32 v[131:132], v[2:3], v[113:114]
	v_mul_f64_e32 v[113:114], v[4:5], v[113:114]
	v_add_f64_e32 v[32:33], v[123:124], v[135:136]
	v_add_f64_e32 v[123:124], v[125:126], v[127:128]
	s_wait_loadcnt_dscnt 0x700
	v_mul_f64_e32 v[125:126], v[6:7], v[121:122]
	v_mul_f64_e32 v[121:122], v[8:9], v[121:122]
	v_fma_f64 v[127:128], v[4:5], v[111:112], v[131:132]
	v_fma_f64 v[111:112], v[2:3], v[111:112], -v[113:114]
	ds_load_b128 v[2:5], v1 offset:1040
	v_add_f64_e32 v[30:31], v[32:33], v[30:31]
	v_add_f64_e32 v[32:33], v[123:124], v[129:130]
	v_fma_f64 v[123:124], v[8:9], v[119:120], v[125:126]
	v_fma_f64 v[119:120], v[6:7], v[119:120], -v[121:122]
	ds_load_b128 v[6:9], v1 offset:1056
	s_wait_loadcnt_dscnt 0x500
	v_mul_f64_e32 v[125:126], v[6:7], v[117:118]
	v_mul_f64_e32 v[117:118], v[8:9], v[117:118]
	v_add_f64_e32 v[111:112], v[30:31], v[111:112]
	v_add_f64_e32 v[121:122], v[32:33], v[127:128]
	scratch_load_b128 v[30:33], off, off offset:144
	v_mul_f64_e32 v[113:114], v[2:3], v[36:37]
	v_mul_f64_e32 v[36:37], v[4:5], v[36:37]
	s_delay_alu instid0(VALU_DEP_2) | instskip(NEXT) | instid1(VALU_DEP_2)
	v_fma_f64 v[113:114], v[4:5], v[34:35], v[113:114]
	v_fma_f64 v[34:35], v[2:3], v[34:35], -v[36:37]
	v_add_f64_e32 v[36:37], v[111:112], v[119:120]
	v_add_f64_e32 v[111:112], v[121:122], v[123:124]
	ds_load_b128 v[2:5], v1 offset:1072
	v_fma_f64 v[121:122], v[8:9], v[115:116], v[125:126]
	v_fma_f64 v[115:116], v[6:7], v[115:116], -v[117:118]
	ds_load_b128 v[6:9], v1 offset:1088
	s_wait_loadcnt_dscnt 0x501
	v_mul_f64_e32 v[119:120], v[2:3], v[12:13]
	v_mul_f64_e32 v[12:13], v[4:5], v[12:13]
	v_add_f64_e32 v[34:35], v[36:37], v[34:35]
	v_add_f64_e32 v[36:37], v[111:112], v[113:114]
	s_wait_loadcnt_dscnt 0x400
	v_mul_f64_e32 v[111:112], v[6:7], v[16:17]
	v_mul_f64_e32 v[16:17], v[8:9], v[16:17]
	v_fma_f64 v[113:114], v[4:5], v[10:11], v[119:120]
	v_fma_f64 v[10:11], v[2:3], v[10:11], -v[12:13]
	ds_load_b128 v[2:5], v1 offset:1104
	v_add_f64_e32 v[12:13], v[34:35], v[115:116]
	v_add_f64_e32 v[34:35], v[36:37], v[121:122]
	v_fma_f64 v[111:112], v[8:9], v[14:15], v[111:112]
	v_fma_f64 v[14:15], v[6:7], v[14:15], -v[16:17]
	ds_load_b128 v[6:9], v1 offset:1120
	s_wait_loadcnt_dscnt 0x301
	v_mul_f64_e32 v[36:37], v[2:3], v[20:21]
	v_mul_f64_e32 v[20:21], v[4:5], v[20:21]
	s_wait_loadcnt_dscnt 0x200
	v_mul_f64_e32 v[16:17], v[6:7], v[24:25]
	v_mul_f64_e32 v[24:25], v[8:9], v[24:25]
	v_add_f64_e32 v[10:11], v[12:13], v[10:11]
	v_add_f64_e32 v[12:13], v[34:35], v[113:114]
	v_fma_f64 v[34:35], v[4:5], v[18:19], v[36:37]
	v_fma_f64 v[18:19], v[2:3], v[18:19], -v[20:21]
	ds_load_b128 v[2:5], v1 offset:1136
	v_fma_f64 v[8:9], v[8:9], v[22:23], v[16:17]
	v_fma_f64 v[6:7], v[6:7], v[22:23], -v[24:25]
	s_wait_loadcnt_dscnt 0x100
	v_mul_f64_e32 v[20:21], v[4:5], v[28:29]
	v_add_f64_e32 v[10:11], v[10:11], v[14:15]
	v_add_f64_e32 v[12:13], v[12:13], v[111:112]
	v_mul_f64_e32 v[14:15], v[2:3], v[28:29]
	s_delay_alu instid0(VALU_DEP_4) | instskip(NEXT) | instid1(VALU_DEP_4)
	v_fma_f64 v[2:3], v[2:3], v[26:27], -v[20:21]
	v_add_f64_e32 v[10:11], v[10:11], v[18:19]
	s_delay_alu instid0(VALU_DEP_4) | instskip(NEXT) | instid1(VALU_DEP_4)
	v_add_f64_e32 v[12:13], v[12:13], v[34:35]
	v_fma_f64 v[4:5], v[4:5], v[26:27], v[14:15]
	s_delay_alu instid0(VALU_DEP_3) | instskip(NEXT) | instid1(VALU_DEP_3)
	v_add_f64_e32 v[6:7], v[10:11], v[6:7]
	v_add_f64_e32 v[8:9], v[12:13], v[8:9]
	s_delay_alu instid0(VALU_DEP_2) | instskip(NEXT) | instid1(VALU_DEP_2)
	v_add_f64_e32 v[2:3], v[6:7], v[2:3]
	v_add_f64_e32 v[4:5], v[8:9], v[4:5]
	s_wait_loadcnt 0x0
	s_delay_alu instid0(VALU_DEP_2) | instskip(NEXT) | instid1(VALU_DEP_2)
	v_add_f64_e64 v[2:3], v[30:31], -v[2:3]
	v_add_f64_e64 v[4:5], v[32:33], -v[4:5]
	scratch_store_b128 off, v[2:5], off offset:144
	v_cmpx_lt_u32_e32 7, v0
	s_cbranch_execz .LBB35_215
; %bb.214:
	scratch_load_b128 v[5:8], off, s42
	v_dual_mov_b32 v2, v1 :: v_dual_mov_b32 v3, v1
	v_mov_b32_e32 v4, v1
	scratch_store_b128 off, v[1:4], off offset:128
	s_wait_loadcnt 0x0
	ds_store_b128 v110, v[5:8]
.LBB35_215:
	s_wait_alu 0xfffe
	s_or_b32 exec_lo, exec_lo, s0
	s_wait_storecnt_dscnt 0x0
	s_barrier_signal -1
	s_barrier_wait -1
	global_inv scope:SCOPE_SE
	s_clause 0x7
	scratch_load_b128 v[2:5], off, off offset:144
	scratch_load_b128 v[6:9], off, off offset:160
	;; [unrolled: 1-line block ×8, first 2 shown]
	ds_load_b128 v[34:37], v1 offset:704
	ds_load_b128 v[115:118], v1 offset:720
	s_clause 0x1
	scratch_load_b128 v[111:114], off, off offset:272
	scratch_load_b128 v[119:122], off, off offset:288
	s_mov_b32 s0, exec_lo
	s_wait_loadcnt_dscnt 0x901
	v_mul_f64_e32 v[123:124], v[36:37], v[4:5]
	v_mul_f64_e32 v[4:5], v[34:35], v[4:5]
	s_wait_loadcnt_dscnt 0x800
	v_mul_f64_e32 v[125:126], v[115:116], v[8:9]
	v_mul_f64_e32 v[8:9], v[117:118], v[8:9]
	s_delay_alu instid0(VALU_DEP_4) | instskip(NEXT) | instid1(VALU_DEP_4)
	v_fma_f64 v[123:124], v[34:35], v[2:3], -v[123:124]
	v_fma_f64 v[127:128], v[36:37], v[2:3], v[4:5]
	scratch_load_b128 v[34:37], off, off offset:304
	ds_load_b128 v[2:5], v1 offset:736
	v_fma_f64 v[125:126], v[117:118], v[6:7], v[125:126]
	v_fma_f64 v[131:132], v[115:116], v[6:7], -v[8:9]
	ds_load_b128 v[6:9], v1 offset:752
	scratch_load_b128 v[115:118], off, off offset:320
	s_wait_loadcnt_dscnt 0x901
	v_mul_f64_e32 v[129:130], v[2:3], v[12:13]
	v_mul_f64_e32 v[12:13], v[4:5], v[12:13]
	s_wait_loadcnt_dscnt 0x800
	v_mul_f64_e32 v[133:134], v[6:7], v[16:17]
	v_mul_f64_e32 v[16:17], v[8:9], v[16:17]
	v_add_f64_e32 v[123:124], 0, v[123:124]
	v_add_f64_e32 v[127:128], 0, v[127:128]
	v_fma_f64 v[129:130], v[4:5], v[10:11], v[129:130]
	v_fma_f64 v[135:136], v[2:3], v[10:11], -v[12:13]
	ds_load_b128 v[2:5], v1 offset:768
	scratch_load_b128 v[10:13], off, off offset:336
	v_add_f64_e32 v[123:124], v[123:124], v[131:132]
	v_add_f64_e32 v[125:126], v[127:128], v[125:126]
	v_fma_f64 v[131:132], v[8:9], v[14:15], v[133:134]
	v_fma_f64 v[133:134], v[6:7], v[14:15], -v[16:17]
	ds_load_b128 v[6:9], v1 offset:784
	scratch_load_b128 v[14:17], off, off offset:352
	s_wait_loadcnt_dscnt 0x901
	v_mul_f64_e32 v[127:128], v[2:3], v[20:21]
	v_mul_f64_e32 v[20:21], v[4:5], v[20:21]
	v_add_f64_e32 v[123:124], v[123:124], v[135:136]
	v_add_f64_e32 v[125:126], v[125:126], v[129:130]
	s_wait_loadcnt_dscnt 0x800
	v_mul_f64_e32 v[129:130], v[6:7], v[24:25]
	v_mul_f64_e32 v[24:25], v[8:9], v[24:25]
	v_fma_f64 v[127:128], v[4:5], v[18:19], v[127:128]
	v_fma_f64 v[135:136], v[2:3], v[18:19], -v[20:21]
	ds_load_b128 v[2:5], v1 offset:800
	scratch_load_b128 v[18:21], off, off offset:368
	v_add_f64_e32 v[123:124], v[123:124], v[133:134]
	v_add_f64_e32 v[125:126], v[125:126], v[131:132]
	v_fma_f64 v[129:130], v[8:9], v[22:23], v[129:130]
	v_fma_f64 v[133:134], v[6:7], v[22:23], -v[24:25]
	ds_load_b128 v[6:9], v1 offset:816
	s_wait_loadcnt_dscnt 0x801
	v_mul_f64_e32 v[131:132], v[2:3], v[28:29]
	v_mul_f64_e32 v[28:29], v[4:5], v[28:29]
	scratch_load_b128 v[22:25], off, off offset:384
	v_add_f64_e32 v[123:124], v[123:124], v[135:136]
	v_add_f64_e32 v[125:126], v[125:126], v[127:128]
	s_wait_loadcnt_dscnt 0x800
	v_mul_f64_e32 v[127:128], v[6:7], v[32:33]
	v_mul_f64_e32 v[32:33], v[8:9], v[32:33]
	v_fma_f64 v[131:132], v[4:5], v[26:27], v[131:132]
	v_fma_f64 v[135:136], v[2:3], v[26:27], -v[28:29]
	ds_load_b128 v[2:5], v1 offset:832
	scratch_load_b128 v[26:29], off, off offset:400
	v_add_f64_e32 v[123:124], v[123:124], v[133:134]
	v_add_f64_e32 v[125:126], v[125:126], v[129:130]
	v_fma_f64 v[127:128], v[8:9], v[30:31], v[127:128]
	v_fma_f64 v[133:134], v[6:7], v[30:31], -v[32:33]
	ds_load_b128 v[6:9], v1 offset:848
	s_wait_loadcnt_dscnt 0x801
	v_mul_f64_e32 v[129:130], v[2:3], v[113:114]
	v_mul_f64_e32 v[113:114], v[4:5], v[113:114]
	scratch_load_b128 v[30:33], off, off offset:416
	v_add_f64_e32 v[123:124], v[123:124], v[135:136]
	v_add_f64_e32 v[125:126], v[125:126], v[131:132]
	s_wait_loadcnt_dscnt 0x800
	v_mul_f64_e32 v[131:132], v[6:7], v[121:122]
	v_mul_f64_e32 v[121:122], v[8:9], v[121:122]
	v_fma_f64 v[129:130], v[4:5], v[111:112], v[129:130]
	v_fma_f64 v[135:136], v[2:3], v[111:112], -v[113:114]
	ds_load_b128 v[2:5], v1 offset:864
	scratch_load_b128 v[111:114], off, off offset:432
	v_add_f64_e32 v[123:124], v[123:124], v[133:134]
	v_add_f64_e32 v[125:126], v[125:126], v[127:128]
	v_fma_f64 v[131:132], v[8:9], v[119:120], v[131:132]
	v_fma_f64 v[133:134], v[6:7], v[119:120], -v[121:122]
	ds_load_b128 v[6:9], v1 offset:880
	scratch_load_b128 v[119:122], off, off offset:448
	s_wait_loadcnt_dscnt 0x901
	v_mul_f64_e32 v[127:128], v[2:3], v[36:37]
	v_mul_f64_e32 v[36:37], v[4:5], v[36:37]
	v_add_f64_e32 v[123:124], v[123:124], v[135:136]
	v_add_f64_e32 v[125:126], v[125:126], v[129:130]
	s_wait_loadcnt_dscnt 0x800
	v_mul_f64_e32 v[129:130], v[6:7], v[117:118]
	v_mul_f64_e32 v[117:118], v[8:9], v[117:118]
	v_fma_f64 v[127:128], v[4:5], v[34:35], v[127:128]
	v_fma_f64 v[135:136], v[2:3], v[34:35], -v[36:37]
	scratch_load_b128 v[34:37], off, off offset:464
	ds_load_b128 v[2:5], v1 offset:896
	v_add_f64_e32 v[123:124], v[123:124], v[133:134]
	v_add_f64_e32 v[125:126], v[125:126], v[131:132]
	v_fma_f64 v[129:130], v[8:9], v[115:116], v[129:130]
	v_fma_f64 v[133:134], v[6:7], v[115:116], -v[117:118]
	ds_load_b128 v[6:9], v1 offset:912
	s_wait_loadcnt_dscnt 0x801
	v_mul_f64_e32 v[131:132], v[2:3], v[12:13]
	v_mul_f64_e32 v[12:13], v[4:5], v[12:13]
	scratch_load_b128 v[115:118], off, off offset:480
	v_add_f64_e32 v[123:124], v[123:124], v[135:136]
	v_add_f64_e32 v[125:126], v[125:126], v[127:128]
	s_wait_loadcnt_dscnt 0x800
	v_mul_f64_e32 v[127:128], v[6:7], v[16:17]
	v_mul_f64_e32 v[16:17], v[8:9], v[16:17]
	v_fma_f64 v[131:132], v[4:5], v[10:11], v[131:132]
	v_fma_f64 v[135:136], v[2:3], v[10:11], -v[12:13]
	ds_load_b128 v[2:5], v1 offset:928
	scratch_load_b128 v[10:13], off, off offset:496
	v_add_f64_e32 v[123:124], v[123:124], v[133:134]
	v_add_f64_e32 v[125:126], v[125:126], v[129:130]
	v_fma_f64 v[127:128], v[8:9], v[14:15], v[127:128]
	v_fma_f64 v[133:134], v[6:7], v[14:15], -v[16:17]
	ds_load_b128 v[6:9], v1 offset:944
	s_wait_loadcnt_dscnt 0x801
	v_mul_f64_e32 v[129:130], v[2:3], v[20:21]
	v_mul_f64_e32 v[20:21], v[4:5], v[20:21]
	scratch_load_b128 v[14:17], off, off offset:512
	v_add_f64_e32 v[123:124], v[123:124], v[135:136]
	v_add_f64_e32 v[125:126], v[125:126], v[131:132]
	s_wait_loadcnt_dscnt 0x800
	v_mul_f64_e32 v[131:132], v[6:7], v[24:25]
	v_mul_f64_e32 v[24:25], v[8:9], v[24:25]
	v_fma_f64 v[129:130], v[4:5], v[18:19], v[129:130]
	v_fma_f64 v[135:136], v[2:3], v[18:19], -v[20:21]
	ds_load_b128 v[2:5], v1 offset:960
	scratch_load_b128 v[18:21], off, off offset:528
	;; [unrolled: 18-line block ×3, first 2 shown]
	v_add_f64_e32 v[123:124], v[123:124], v[133:134]
	v_add_f64_e32 v[125:126], v[125:126], v[131:132]
	v_fma_f64 v[129:130], v[8:9], v[30:31], v[129:130]
	v_fma_f64 v[133:134], v[6:7], v[30:31], -v[32:33]
	ds_load_b128 v[6:9], v1 offset:1008
	s_wait_loadcnt_dscnt 0x801
	v_mul_f64_e32 v[131:132], v[2:3], v[113:114]
	v_mul_f64_e32 v[113:114], v[4:5], v[113:114]
	scratch_load_b128 v[30:33], off, off offset:576
	v_add_f64_e32 v[123:124], v[123:124], v[135:136]
	v_add_f64_e32 v[125:126], v[125:126], v[127:128]
	v_fma_f64 v[131:132], v[4:5], v[111:112], v[131:132]
	v_fma_f64 v[111:112], v[2:3], v[111:112], -v[113:114]
	ds_load_b128 v[2:5], v1 offset:1024
	v_add_f64_e32 v[113:114], v[123:124], v[133:134]
	v_add_f64_e32 v[123:124], v[125:126], v[129:130]
	s_wait_loadcnt_dscnt 0x700
	v_mul_f64_e32 v[125:126], v[2:3], v[36:37]
	v_mul_f64_e32 v[36:37], v[4:5], v[36:37]
	s_delay_alu instid0(VALU_DEP_4) | instskip(NEXT) | instid1(VALU_DEP_4)
	v_add_f64_e32 v[111:112], v[113:114], v[111:112]
	v_add_f64_e32 v[113:114], v[123:124], v[131:132]
	s_delay_alu instid0(VALU_DEP_4) | instskip(NEXT) | instid1(VALU_DEP_4)
	v_fma_f64 v[123:124], v[4:5], v[34:35], v[125:126]
	v_fma_f64 v[125:126], v[2:3], v[34:35], -v[36:37]
	scratch_load_b128 v[34:37], off, off offset:128
	v_mul_f64_e32 v[127:128], v[6:7], v[121:122]
	v_mul_f64_e32 v[121:122], v[8:9], v[121:122]
	ds_load_b128 v[2:5], v1 offset:1056
	v_fma_f64 v[127:128], v[8:9], v[119:120], v[127:128]
	v_fma_f64 v[119:120], v[6:7], v[119:120], -v[121:122]
	ds_load_b128 v[6:9], v1 offset:1040
	s_wait_loadcnt_dscnt 0x700
	v_mul_f64_e32 v[121:122], v[6:7], v[117:118]
	v_mul_f64_e32 v[117:118], v[8:9], v[117:118]
	v_add_f64_e32 v[113:114], v[113:114], v[127:128]
	v_add_f64_e32 v[111:112], v[111:112], v[119:120]
	s_wait_loadcnt 0x6
	v_mul_f64_e32 v[119:120], v[2:3], v[12:13]
	v_mul_f64_e32 v[12:13], v[4:5], v[12:13]
	v_fma_f64 v[121:122], v[8:9], v[115:116], v[121:122]
	v_fma_f64 v[115:116], v[6:7], v[115:116], -v[117:118]
	ds_load_b128 v[6:9], v1 offset:1072
	v_add_f64_e32 v[113:114], v[113:114], v[123:124]
	v_add_f64_e32 v[111:112], v[111:112], v[125:126]
	v_fma_f64 v[119:120], v[4:5], v[10:11], v[119:120]
	v_fma_f64 v[10:11], v[2:3], v[10:11], -v[12:13]
	ds_load_b128 v[2:5], v1 offset:1088
	s_wait_loadcnt_dscnt 0x501
	v_mul_f64_e32 v[117:118], v[6:7], v[16:17]
	v_mul_f64_e32 v[16:17], v[8:9], v[16:17]
	v_add_f64_e32 v[12:13], v[111:112], v[115:116]
	v_add_f64_e32 v[111:112], v[113:114], v[121:122]
	s_wait_loadcnt_dscnt 0x400
	v_mul_f64_e32 v[113:114], v[2:3], v[20:21]
	v_mul_f64_e32 v[20:21], v[4:5], v[20:21]
	v_fma_f64 v[115:116], v[8:9], v[14:15], v[117:118]
	v_fma_f64 v[14:15], v[6:7], v[14:15], -v[16:17]
	ds_load_b128 v[6:9], v1 offset:1104
	v_add_f64_e32 v[10:11], v[12:13], v[10:11]
	v_add_f64_e32 v[12:13], v[111:112], v[119:120]
	v_fma_f64 v[111:112], v[4:5], v[18:19], v[113:114]
	v_fma_f64 v[18:19], v[2:3], v[18:19], -v[20:21]
	ds_load_b128 v[2:5], v1 offset:1120
	s_wait_loadcnt_dscnt 0x301
	v_mul_f64_e32 v[16:17], v[6:7], v[24:25]
	v_mul_f64_e32 v[24:25], v[8:9], v[24:25]
	s_wait_loadcnt_dscnt 0x200
	v_mul_f64_e32 v[20:21], v[4:5], v[28:29]
	v_add_f64_e32 v[10:11], v[10:11], v[14:15]
	v_add_f64_e32 v[12:13], v[12:13], v[115:116]
	v_mul_f64_e32 v[14:15], v[2:3], v[28:29]
	v_fma_f64 v[16:17], v[8:9], v[22:23], v[16:17]
	v_fma_f64 v[22:23], v[6:7], v[22:23], -v[24:25]
	ds_load_b128 v[6:9], v1 offset:1136
	v_fma_f64 v[1:2], v[2:3], v[26:27], -v[20:21]
	s_wait_loadcnt_dscnt 0x100
	v_mul_f64_e32 v[24:25], v[8:9], v[32:33]
	v_add_f64_e32 v[10:11], v[10:11], v[18:19]
	v_add_f64_e32 v[12:13], v[12:13], v[111:112]
	v_mul_f64_e32 v[18:19], v[6:7], v[32:33]
	v_fma_f64 v[4:5], v[4:5], v[26:27], v[14:15]
	v_fma_f64 v[6:7], v[6:7], v[30:31], -v[24:25]
	v_add_f64_e32 v[10:11], v[10:11], v[22:23]
	v_add_f64_e32 v[12:13], v[12:13], v[16:17]
	v_fma_f64 v[8:9], v[8:9], v[30:31], v[18:19]
	s_delay_alu instid0(VALU_DEP_3) | instskip(NEXT) | instid1(VALU_DEP_3)
	v_add_f64_e32 v[1:2], v[10:11], v[1:2]
	v_add_f64_e32 v[3:4], v[12:13], v[4:5]
	s_delay_alu instid0(VALU_DEP_2) | instskip(NEXT) | instid1(VALU_DEP_2)
	v_add_f64_e32 v[1:2], v[1:2], v[6:7]
	v_add_f64_e32 v[3:4], v[3:4], v[8:9]
	s_wait_loadcnt 0x0
	s_delay_alu instid0(VALU_DEP_2) | instskip(NEXT) | instid1(VALU_DEP_2)
	v_add_f64_e64 v[1:2], v[34:35], -v[1:2]
	v_add_f64_e64 v[3:4], v[36:37], -v[3:4]
	scratch_store_b128 off, v[1:4], off offset:128
	v_cmpx_lt_u32_e32 6, v0
	s_cbranch_execz .LBB35_217
; %bb.216:
	scratch_load_b128 v[1:4], off, s43
	v_mov_b32_e32 v5, 0
	s_delay_alu instid0(VALU_DEP_1)
	v_dual_mov_b32 v6, v5 :: v_dual_mov_b32 v7, v5
	v_mov_b32_e32 v8, v5
	scratch_store_b128 off, v[5:8], off offset:112
	s_wait_loadcnt 0x0
	ds_store_b128 v110, v[1:4]
.LBB35_217:
	s_wait_alu 0xfffe
	s_or_b32 exec_lo, exec_lo, s0
	s_wait_storecnt_dscnt 0x0
	s_barrier_signal -1
	s_barrier_wait -1
	global_inv scope:SCOPE_SE
	s_clause 0x7
	scratch_load_b128 v[2:5], off, off offset:128
	scratch_load_b128 v[6:9], off, off offset:144
	;; [unrolled: 1-line block ×8, first 2 shown]
	v_mov_b32_e32 v1, 0
	s_clause 0x1
	scratch_load_b128 v[111:114], off, off offset:256
	scratch_load_b128 v[119:122], off, off offset:272
	s_mov_b32 s0, exec_lo
	ds_load_b128 v[34:37], v1 offset:688
	ds_load_b128 v[115:118], v1 offset:704
	s_wait_loadcnt_dscnt 0x901
	v_mul_f64_e32 v[123:124], v[36:37], v[4:5]
	v_mul_f64_e32 v[4:5], v[34:35], v[4:5]
	s_wait_loadcnt_dscnt 0x800
	v_mul_f64_e32 v[125:126], v[115:116], v[8:9]
	v_mul_f64_e32 v[8:9], v[117:118], v[8:9]
	s_delay_alu instid0(VALU_DEP_4) | instskip(NEXT) | instid1(VALU_DEP_4)
	v_fma_f64 v[123:124], v[34:35], v[2:3], -v[123:124]
	v_fma_f64 v[127:128], v[36:37], v[2:3], v[4:5]
	ds_load_b128 v[2:5], v1 offset:720
	scratch_load_b128 v[34:37], off, off offset:288
	v_fma_f64 v[125:126], v[117:118], v[6:7], v[125:126]
	v_fma_f64 v[131:132], v[115:116], v[6:7], -v[8:9]
	ds_load_b128 v[6:9], v1 offset:736
	scratch_load_b128 v[115:118], off, off offset:304
	s_wait_loadcnt_dscnt 0x901
	v_mul_f64_e32 v[129:130], v[2:3], v[12:13]
	v_mul_f64_e32 v[12:13], v[4:5], v[12:13]
	s_wait_loadcnt_dscnt 0x800
	v_mul_f64_e32 v[133:134], v[6:7], v[16:17]
	v_mul_f64_e32 v[16:17], v[8:9], v[16:17]
	v_add_f64_e32 v[123:124], 0, v[123:124]
	v_add_f64_e32 v[127:128], 0, v[127:128]
	v_fma_f64 v[129:130], v[4:5], v[10:11], v[129:130]
	v_fma_f64 v[135:136], v[2:3], v[10:11], -v[12:13]
	ds_load_b128 v[2:5], v1 offset:752
	scratch_load_b128 v[10:13], off, off offset:320
	v_add_f64_e32 v[123:124], v[123:124], v[131:132]
	v_add_f64_e32 v[125:126], v[127:128], v[125:126]
	v_fma_f64 v[131:132], v[8:9], v[14:15], v[133:134]
	v_fma_f64 v[133:134], v[6:7], v[14:15], -v[16:17]
	ds_load_b128 v[6:9], v1 offset:768
	scratch_load_b128 v[14:17], off, off offset:336
	s_wait_loadcnt_dscnt 0x901
	v_mul_f64_e32 v[127:128], v[2:3], v[20:21]
	v_mul_f64_e32 v[20:21], v[4:5], v[20:21]
	v_add_f64_e32 v[123:124], v[123:124], v[135:136]
	v_add_f64_e32 v[125:126], v[125:126], v[129:130]
	s_wait_loadcnt_dscnt 0x800
	v_mul_f64_e32 v[129:130], v[6:7], v[24:25]
	v_mul_f64_e32 v[24:25], v[8:9], v[24:25]
	v_fma_f64 v[127:128], v[4:5], v[18:19], v[127:128]
	v_fma_f64 v[135:136], v[2:3], v[18:19], -v[20:21]
	ds_load_b128 v[2:5], v1 offset:784
	scratch_load_b128 v[18:21], off, off offset:352
	v_add_f64_e32 v[123:124], v[123:124], v[133:134]
	v_add_f64_e32 v[125:126], v[125:126], v[131:132]
	v_fma_f64 v[129:130], v[8:9], v[22:23], v[129:130]
	v_fma_f64 v[133:134], v[6:7], v[22:23], -v[24:25]
	ds_load_b128 v[6:9], v1 offset:800
	s_wait_loadcnt_dscnt 0x801
	v_mul_f64_e32 v[131:132], v[2:3], v[28:29]
	v_mul_f64_e32 v[28:29], v[4:5], v[28:29]
	scratch_load_b128 v[22:25], off, off offset:368
	v_add_f64_e32 v[123:124], v[123:124], v[135:136]
	v_add_f64_e32 v[125:126], v[125:126], v[127:128]
	s_wait_loadcnt_dscnt 0x800
	v_mul_f64_e32 v[127:128], v[6:7], v[32:33]
	v_mul_f64_e32 v[32:33], v[8:9], v[32:33]
	v_fma_f64 v[131:132], v[4:5], v[26:27], v[131:132]
	v_fma_f64 v[135:136], v[2:3], v[26:27], -v[28:29]
	ds_load_b128 v[2:5], v1 offset:816
	scratch_load_b128 v[26:29], off, off offset:384
	v_add_f64_e32 v[123:124], v[123:124], v[133:134]
	v_add_f64_e32 v[125:126], v[125:126], v[129:130]
	v_fma_f64 v[127:128], v[8:9], v[30:31], v[127:128]
	v_fma_f64 v[133:134], v[6:7], v[30:31], -v[32:33]
	ds_load_b128 v[6:9], v1 offset:832
	s_wait_loadcnt_dscnt 0x801
	v_mul_f64_e32 v[129:130], v[2:3], v[113:114]
	v_mul_f64_e32 v[113:114], v[4:5], v[113:114]
	scratch_load_b128 v[30:33], off, off offset:400
	v_add_f64_e32 v[123:124], v[123:124], v[135:136]
	v_add_f64_e32 v[125:126], v[125:126], v[131:132]
	s_wait_loadcnt_dscnt 0x800
	v_mul_f64_e32 v[131:132], v[6:7], v[121:122]
	v_mul_f64_e32 v[121:122], v[8:9], v[121:122]
	v_fma_f64 v[129:130], v[4:5], v[111:112], v[129:130]
	v_fma_f64 v[135:136], v[2:3], v[111:112], -v[113:114]
	ds_load_b128 v[2:5], v1 offset:848
	scratch_load_b128 v[111:114], off, off offset:416
	v_add_f64_e32 v[123:124], v[123:124], v[133:134]
	v_add_f64_e32 v[125:126], v[125:126], v[127:128]
	v_fma_f64 v[131:132], v[8:9], v[119:120], v[131:132]
	v_fma_f64 v[133:134], v[6:7], v[119:120], -v[121:122]
	ds_load_b128 v[6:9], v1 offset:864
	scratch_load_b128 v[119:122], off, off offset:432
	s_wait_loadcnt_dscnt 0x901
	v_mul_f64_e32 v[127:128], v[2:3], v[36:37]
	v_mul_f64_e32 v[36:37], v[4:5], v[36:37]
	v_add_f64_e32 v[123:124], v[123:124], v[135:136]
	v_add_f64_e32 v[125:126], v[125:126], v[129:130]
	s_wait_loadcnt_dscnt 0x800
	v_mul_f64_e32 v[129:130], v[6:7], v[117:118]
	v_mul_f64_e32 v[117:118], v[8:9], v[117:118]
	v_fma_f64 v[127:128], v[4:5], v[34:35], v[127:128]
	v_fma_f64 v[135:136], v[2:3], v[34:35], -v[36:37]
	ds_load_b128 v[2:5], v1 offset:880
	scratch_load_b128 v[34:37], off, off offset:448
	v_add_f64_e32 v[123:124], v[123:124], v[133:134]
	v_add_f64_e32 v[125:126], v[125:126], v[131:132]
	v_fma_f64 v[129:130], v[8:9], v[115:116], v[129:130]
	v_fma_f64 v[133:134], v[6:7], v[115:116], -v[117:118]
	ds_load_b128 v[6:9], v1 offset:896
	s_wait_loadcnt_dscnt 0x801
	v_mul_f64_e32 v[131:132], v[2:3], v[12:13]
	v_mul_f64_e32 v[12:13], v[4:5], v[12:13]
	scratch_load_b128 v[115:118], off, off offset:464
	v_add_f64_e32 v[123:124], v[123:124], v[135:136]
	v_add_f64_e32 v[125:126], v[125:126], v[127:128]
	s_wait_loadcnt_dscnt 0x800
	v_mul_f64_e32 v[127:128], v[6:7], v[16:17]
	v_mul_f64_e32 v[16:17], v[8:9], v[16:17]
	v_fma_f64 v[131:132], v[4:5], v[10:11], v[131:132]
	v_fma_f64 v[135:136], v[2:3], v[10:11], -v[12:13]
	ds_load_b128 v[2:5], v1 offset:912
	scratch_load_b128 v[10:13], off, off offset:480
	v_add_f64_e32 v[123:124], v[123:124], v[133:134]
	v_add_f64_e32 v[125:126], v[125:126], v[129:130]
	v_fma_f64 v[127:128], v[8:9], v[14:15], v[127:128]
	v_fma_f64 v[133:134], v[6:7], v[14:15], -v[16:17]
	ds_load_b128 v[6:9], v1 offset:928
	s_wait_loadcnt_dscnt 0x801
	v_mul_f64_e32 v[129:130], v[2:3], v[20:21]
	v_mul_f64_e32 v[20:21], v[4:5], v[20:21]
	scratch_load_b128 v[14:17], off, off offset:496
	v_add_f64_e32 v[123:124], v[123:124], v[135:136]
	v_add_f64_e32 v[125:126], v[125:126], v[131:132]
	s_wait_loadcnt_dscnt 0x800
	v_mul_f64_e32 v[131:132], v[6:7], v[24:25]
	v_mul_f64_e32 v[24:25], v[8:9], v[24:25]
	v_fma_f64 v[129:130], v[4:5], v[18:19], v[129:130]
	v_fma_f64 v[135:136], v[2:3], v[18:19], -v[20:21]
	ds_load_b128 v[2:5], v1 offset:944
	scratch_load_b128 v[18:21], off, off offset:512
	v_add_f64_e32 v[123:124], v[123:124], v[133:134]
	v_add_f64_e32 v[125:126], v[125:126], v[127:128]
	v_fma_f64 v[131:132], v[8:9], v[22:23], v[131:132]
	v_fma_f64 v[133:134], v[6:7], v[22:23], -v[24:25]
	ds_load_b128 v[6:9], v1 offset:960
	s_wait_loadcnt_dscnt 0x801
	v_mul_f64_e32 v[127:128], v[2:3], v[28:29]
	v_mul_f64_e32 v[28:29], v[4:5], v[28:29]
	scratch_load_b128 v[22:25], off, off offset:528
	v_add_f64_e32 v[123:124], v[123:124], v[135:136]
	v_add_f64_e32 v[125:126], v[125:126], v[129:130]
	s_wait_loadcnt_dscnt 0x800
	v_mul_f64_e32 v[129:130], v[6:7], v[32:33]
	v_mul_f64_e32 v[32:33], v[8:9], v[32:33]
	v_fma_f64 v[127:128], v[4:5], v[26:27], v[127:128]
	v_fma_f64 v[135:136], v[2:3], v[26:27], -v[28:29]
	ds_load_b128 v[2:5], v1 offset:976
	scratch_load_b128 v[26:29], off, off offset:544
	v_add_f64_e32 v[123:124], v[123:124], v[133:134]
	v_add_f64_e32 v[125:126], v[125:126], v[131:132]
	v_fma_f64 v[129:130], v[8:9], v[30:31], v[129:130]
	v_fma_f64 v[133:134], v[6:7], v[30:31], -v[32:33]
	ds_load_b128 v[6:9], v1 offset:992
	s_wait_loadcnt_dscnt 0x801
	v_mul_f64_e32 v[131:132], v[2:3], v[113:114]
	v_mul_f64_e32 v[113:114], v[4:5], v[113:114]
	scratch_load_b128 v[30:33], off, off offset:560
	v_add_f64_e32 v[123:124], v[123:124], v[135:136]
	v_add_f64_e32 v[125:126], v[125:126], v[127:128]
	s_wait_loadcnt_dscnt 0x800
	v_mul_f64_e32 v[127:128], v[6:7], v[121:122]
	v_mul_f64_e32 v[121:122], v[8:9], v[121:122]
	v_fma_f64 v[131:132], v[4:5], v[111:112], v[131:132]
	v_fma_f64 v[135:136], v[2:3], v[111:112], -v[113:114]
	ds_load_b128 v[2:5], v1 offset:1008
	scratch_load_b128 v[111:114], off, off offset:576
	v_add_f64_e32 v[123:124], v[123:124], v[133:134]
	v_add_f64_e32 v[125:126], v[125:126], v[129:130]
	v_fma_f64 v[127:128], v[8:9], v[119:120], v[127:128]
	v_fma_f64 v[119:120], v[6:7], v[119:120], -v[121:122]
	ds_load_b128 v[6:9], v1 offset:1024
	s_wait_loadcnt_dscnt 0x801
	v_mul_f64_e32 v[129:130], v[2:3], v[36:37]
	v_mul_f64_e32 v[36:37], v[4:5], v[36:37]
	v_add_f64_e32 v[121:122], v[123:124], v[135:136]
	v_add_f64_e32 v[123:124], v[125:126], v[131:132]
	s_wait_loadcnt_dscnt 0x700
	v_mul_f64_e32 v[125:126], v[6:7], v[117:118]
	v_mul_f64_e32 v[117:118], v[8:9], v[117:118]
	v_fma_f64 v[129:130], v[4:5], v[34:35], v[129:130]
	v_fma_f64 v[34:35], v[2:3], v[34:35], -v[36:37]
	ds_load_b128 v[2:5], v1 offset:1040
	v_add_f64_e32 v[36:37], v[121:122], v[119:120]
	v_add_f64_e32 v[119:120], v[123:124], v[127:128]
	v_fma_f64 v[123:124], v[8:9], v[115:116], v[125:126]
	v_fma_f64 v[115:116], v[6:7], v[115:116], -v[117:118]
	ds_load_b128 v[6:9], v1 offset:1056
	s_wait_loadcnt_dscnt 0x500
	v_mul_f64_e32 v[125:126], v[6:7], v[16:17]
	v_mul_f64_e32 v[16:17], v[8:9], v[16:17]
	v_add_f64_e32 v[117:118], v[36:37], v[34:35]
	v_add_f64_e32 v[119:120], v[119:120], v[129:130]
	scratch_load_b128 v[34:37], off, off offset:112
	v_mul_f64_e32 v[121:122], v[2:3], v[12:13]
	v_mul_f64_e32 v[12:13], v[4:5], v[12:13]
	s_delay_alu instid0(VALU_DEP_2) | instskip(NEXT) | instid1(VALU_DEP_2)
	v_fma_f64 v[121:122], v[4:5], v[10:11], v[121:122]
	v_fma_f64 v[10:11], v[2:3], v[10:11], -v[12:13]
	v_add_f64_e32 v[12:13], v[117:118], v[115:116]
	v_add_f64_e32 v[115:116], v[119:120], v[123:124]
	ds_load_b128 v[2:5], v1 offset:1072
	v_fma_f64 v[119:120], v[8:9], v[14:15], v[125:126]
	v_fma_f64 v[14:15], v[6:7], v[14:15], -v[16:17]
	ds_load_b128 v[6:9], v1 offset:1088
	s_wait_loadcnt_dscnt 0x501
	v_mul_f64_e32 v[117:118], v[2:3], v[20:21]
	v_mul_f64_e32 v[20:21], v[4:5], v[20:21]
	s_wait_loadcnt_dscnt 0x400
	v_mul_f64_e32 v[16:17], v[6:7], v[24:25]
	v_mul_f64_e32 v[24:25], v[8:9], v[24:25]
	v_add_f64_e32 v[10:11], v[12:13], v[10:11]
	v_add_f64_e32 v[12:13], v[115:116], v[121:122]
	v_fma_f64 v[115:116], v[4:5], v[18:19], v[117:118]
	v_fma_f64 v[18:19], v[2:3], v[18:19], -v[20:21]
	ds_load_b128 v[2:5], v1 offset:1104
	v_fma_f64 v[16:17], v[8:9], v[22:23], v[16:17]
	v_fma_f64 v[22:23], v[6:7], v[22:23], -v[24:25]
	ds_load_b128 v[6:9], v1 offset:1120
	v_add_f64_e32 v[10:11], v[10:11], v[14:15]
	v_add_f64_e32 v[12:13], v[12:13], v[119:120]
	s_wait_loadcnt_dscnt 0x301
	v_mul_f64_e32 v[14:15], v[2:3], v[28:29]
	v_mul_f64_e32 v[20:21], v[4:5], v[28:29]
	s_wait_loadcnt_dscnt 0x200
	v_mul_f64_e32 v[24:25], v[8:9], v[32:33]
	v_add_f64_e32 v[10:11], v[10:11], v[18:19]
	v_add_f64_e32 v[12:13], v[12:13], v[115:116]
	v_mul_f64_e32 v[18:19], v[6:7], v[32:33]
	v_fma_f64 v[14:15], v[4:5], v[26:27], v[14:15]
	v_fma_f64 v[20:21], v[2:3], v[26:27], -v[20:21]
	ds_load_b128 v[2:5], v1 offset:1136
	v_fma_f64 v[6:7], v[6:7], v[30:31], -v[24:25]
	v_add_f64_e32 v[10:11], v[10:11], v[22:23]
	v_add_f64_e32 v[12:13], v[12:13], v[16:17]
	s_wait_loadcnt_dscnt 0x100
	v_mul_f64_e32 v[16:17], v[2:3], v[113:114]
	v_mul_f64_e32 v[22:23], v[4:5], v[113:114]
	v_fma_f64 v[8:9], v[8:9], v[30:31], v[18:19]
	v_add_f64_e32 v[10:11], v[10:11], v[20:21]
	v_add_f64_e32 v[12:13], v[12:13], v[14:15]
	v_fma_f64 v[4:5], v[4:5], v[111:112], v[16:17]
	v_fma_f64 v[2:3], v[2:3], v[111:112], -v[22:23]
	s_delay_alu instid0(VALU_DEP_4) | instskip(NEXT) | instid1(VALU_DEP_4)
	v_add_f64_e32 v[6:7], v[10:11], v[6:7]
	v_add_f64_e32 v[8:9], v[12:13], v[8:9]
	s_delay_alu instid0(VALU_DEP_2) | instskip(NEXT) | instid1(VALU_DEP_2)
	v_add_f64_e32 v[2:3], v[6:7], v[2:3]
	v_add_f64_e32 v[4:5], v[8:9], v[4:5]
	s_wait_loadcnt 0x0
	s_delay_alu instid0(VALU_DEP_2) | instskip(NEXT) | instid1(VALU_DEP_2)
	v_add_f64_e64 v[2:3], v[34:35], -v[2:3]
	v_add_f64_e64 v[4:5], v[36:37], -v[4:5]
	scratch_store_b128 off, v[2:5], off offset:112
	v_cmpx_lt_u32_e32 5, v0
	s_cbranch_execz .LBB35_219
; %bb.218:
	scratch_load_b128 v[5:8], off, s44
	v_dual_mov_b32 v2, v1 :: v_dual_mov_b32 v3, v1
	v_mov_b32_e32 v4, v1
	scratch_store_b128 off, v[1:4], off offset:96
	s_wait_loadcnt 0x0
	ds_store_b128 v110, v[5:8]
.LBB35_219:
	s_wait_alu 0xfffe
	s_or_b32 exec_lo, exec_lo, s0
	s_wait_storecnt_dscnt 0x0
	s_barrier_signal -1
	s_barrier_wait -1
	global_inv scope:SCOPE_SE
	s_clause 0x7
	scratch_load_b128 v[2:5], off, off offset:112
	scratch_load_b128 v[6:9], off, off offset:128
	;; [unrolled: 1-line block ×8, first 2 shown]
	ds_load_b128 v[34:37], v1 offset:672
	ds_load_b128 v[115:118], v1 offset:688
	s_clause 0x1
	scratch_load_b128 v[111:114], off, off offset:240
	scratch_load_b128 v[119:122], off, off offset:256
	s_mov_b32 s0, exec_lo
	s_wait_loadcnt_dscnt 0x901
	v_mul_f64_e32 v[123:124], v[36:37], v[4:5]
	v_mul_f64_e32 v[4:5], v[34:35], v[4:5]
	s_wait_loadcnt_dscnt 0x800
	v_mul_f64_e32 v[125:126], v[115:116], v[8:9]
	v_mul_f64_e32 v[8:9], v[117:118], v[8:9]
	s_delay_alu instid0(VALU_DEP_4) | instskip(NEXT) | instid1(VALU_DEP_4)
	v_fma_f64 v[123:124], v[34:35], v[2:3], -v[123:124]
	v_fma_f64 v[127:128], v[36:37], v[2:3], v[4:5]
	ds_load_b128 v[2:5], v1 offset:704
	scratch_load_b128 v[34:37], off, off offset:272
	v_fma_f64 v[125:126], v[117:118], v[6:7], v[125:126]
	v_fma_f64 v[131:132], v[115:116], v[6:7], -v[8:9]
	ds_load_b128 v[6:9], v1 offset:720
	scratch_load_b128 v[115:118], off, off offset:288
	s_wait_loadcnt_dscnt 0x901
	v_mul_f64_e32 v[129:130], v[2:3], v[12:13]
	v_mul_f64_e32 v[12:13], v[4:5], v[12:13]
	s_wait_loadcnt_dscnt 0x800
	v_mul_f64_e32 v[133:134], v[6:7], v[16:17]
	v_mul_f64_e32 v[16:17], v[8:9], v[16:17]
	v_add_f64_e32 v[123:124], 0, v[123:124]
	v_add_f64_e32 v[127:128], 0, v[127:128]
	v_fma_f64 v[129:130], v[4:5], v[10:11], v[129:130]
	v_fma_f64 v[135:136], v[2:3], v[10:11], -v[12:13]
	scratch_load_b128 v[10:13], off, off offset:304
	ds_load_b128 v[2:5], v1 offset:736
	v_add_f64_e32 v[123:124], v[123:124], v[131:132]
	v_add_f64_e32 v[125:126], v[127:128], v[125:126]
	v_fma_f64 v[131:132], v[8:9], v[14:15], v[133:134]
	v_fma_f64 v[133:134], v[6:7], v[14:15], -v[16:17]
	ds_load_b128 v[6:9], v1 offset:752
	scratch_load_b128 v[14:17], off, off offset:320
	s_wait_loadcnt_dscnt 0x901
	v_mul_f64_e32 v[127:128], v[2:3], v[20:21]
	v_mul_f64_e32 v[20:21], v[4:5], v[20:21]
	v_add_f64_e32 v[123:124], v[123:124], v[135:136]
	v_add_f64_e32 v[125:126], v[125:126], v[129:130]
	s_wait_loadcnt_dscnt 0x800
	v_mul_f64_e32 v[129:130], v[6:7], v[24:25]
	v_mul_f64_e32 v[24:25], v[8:9], v[24:25]
	v_fma_f64 v[127:128], v[4:5], v[18:19], v[127:128]
	v_fma_f64 v[135:136], v[2:3], v[18:19], -v[20:21]
	ds_load_b128 v[2:5], v1 offset:768
	scratch_load_b128 v[18:21], off, off offset:336
	v_add_f64_e32 v[123:124], v[123:124], v[133:134]
	v_add_f64_e32 v[125:126], v[125:126], v[131:132]
	v_fma_f64 v[129:130], v[8:9], v[22:23], v[129:130]
	v_fma_f64 v[133:134], v[6:7], v[22:23], -v[24:25]
	ds_load_b128 v[6:9], v1 offset:784
	s_wait_loadcnt_dscnt 0x801
	v_mul_f64_e32 v[131:132], v[2:3], v[28:29]
	v_mul_f64_e32 v[28:29], v[4:5], v[28:29]
	scratch_load_b128 v[22:25], off, off offset:352
	v_add_f64_e32 v[123:124], v[123:124], v[135:136]
	v_add_f64_e32 v[125:126], v[125:126], v[127:128]
	s_wait_loadcnt_dscnt 0x800
	v_mul_f64_e32 v[127:128], v[6:7], v[32:33]
	v_mul_f64_e32 v[32:33], v[8:9], v[32:33]
	v_fma_f64 v[131:132], v[4:5], v[26:27], v[131:132]
	v_fma_f64 v[135:136], v[2:3], v[26:27], -v[28:29]
	ds_load_b128 v[2:5], v1 offset:800
	scratch_load_b128 v[26:29], off, off offset:368
	v_add_f64_e32 v[123:124], v[123:124], v[133:134]
	v_add_f64_e32 v[125:126], v[125:126], v[129:130]
	v_fma_f64 v[127:128], v[8:9], v[30:31], v[127:128]
	v_fma_f64 v[133:134], v[6:7], v[30:31], -v[32:33]
	ds_load_b128 v[6:9], v1 offset:816
	s_wait_loadcnt_dscnt 0x801
	v_mul_f64_e32 v[129:130], v[2:3], v[113:114]
	v_mul_f64_e32 v[113:114], v[4:5], v[113:114]
	scratch_load_b128 v[30:33], off, off offset:384
	v_add_f64_e32 v[123:124], v[123:124], v[135:136]
	v_add_f64_e32 v[125:126], v[125:126], v[131:132]
	s_wait_loadcnt_dscnt 0x800
	v_mul_f64_e32 v[131:132], v[6:7], v[121:122]
	v_mul_f64_e32 v[121:122], v[8:9], v[121:122]
	v_fma_f64 v[129:130], v[4:5], v[111:112], v[129:130]
	v_fma_f64 v[135:136], v[2:3], v[111:112], -v[113:114]
	ds_load_b128 v[2:5], v1 offset:832
	scratch_load_b128 v[111:114], off, off offset:400
	v_add_f64_e32 v[123:124], v[123:124], v[133:134]
	v_add_f64_e32 v[125:126], v[125:126], v[127:128]
	v_fma_f64 v[131:132], v[8:9], v[119:120], v[131:132]
	v_fma_f64 v[133:134], v[6:7], v[119:120], -v[121:122]
	ds_load_b128 v[6:9], v1 offset:848
	scratch_load_b128 v[119:122], off, off offset:416
	s_wait_loadcnt_dscnt 0x901
	v_mul_f64_e32 v[127:128], v[2:3], v[36:37]
	v_mul_f64_e32 v[36:37], v[4:5], v[36:37]
	v_add_f64_e32 v[123:124], v[123:124], v[135:136]
	v_add_f64_e32 v[125:126], v[125:126], v[129:130]
	s_wait_loadcnt_dscnt 0x800
	v_mul_f64_e32 v[129:130], v[6:7], v[117:118]
	v_mul_f64_e32 v[117:118], v[8:9], v[117:118]
	v_fma_f64 v[127:128], v[4:5], v[34:35], v[127:128]
	v_fma_f64 v[135:136], v[2:3], v[34:35], -v[36:37]
	ds_load_b128 v[2:5], v1 offset:864
	scratch_load_b128 v[34:37], off, off offset:432
	v_add_f64_e32 v[123:124], v[123:124], v[133:134]
	v_add_f64_e32 v[125:126], v[125:126], v[131:132]
	v_fma_f64 v[129:130], v[8:9], v[115:116], v[129:130]
	v_fma_f64 v[133:134], v[6:7], v[115:116], -v[117:118]
	ds_load_b128 v[6:9], v1 offset:880
	s_wait_loadcnt_dscnt 0x801
	v_mul_f64_e32 v[131:132], v[2:3], v[12:13]
	v_mul_f64_e32 v[12:13], v[4:5], v[12:13]
	scratch_load_b128 v[115:118], off, off offset:448
	v_add_f64_e32 v[123:124], v[123:124], v[135:136]
	v_add_f64_e32 v[125:126], v[125:126], v[127:128]
	s_wait_loadcnt_dscnt 0x800
	v_mul_f64_e32 v[127:128], v[6:7], v[16:17]
	v_mul_f64_e32 v[16:17], v[8:9], v[16:17]
	v_fma_f64 v[131:132], v[4:5], v[10:11], v[131:132]
	v_fma_f64 v[135:136], v[2:3], v[10:11], -v[12:13]
	scratch_load_b128 v[10:13], off, off offset:464
	ds_load_b128 v[2:5], v1 offset:896
	v_add_f64_e32 v[123:124], v[123:124], v[133:134]
	v_add_f64_e32 v[125:126], v[125:126], v[129:130]
	v_fma_f64 v[127:128], v[8:9], v[14:15], v[127:128]
	v_fma_f64 v[133:134], v[6:7], v[14:15], -v[16:17]
	ds_load_b128 v[6:9], v1 offset:912
	s_wait_loadcnt_dscnt 0x801
	v_mul_f64_e32 v[129:130], v[2:3], v[20:21]
	v_mul_f64_e32 v[20:21], v[4:5], v[20:21]
	scratch_load_b128 v[14:17], off, off offset:480
	v_add_f64_e32 v[123:124], v[123:124], v[135:136]
	v_add_f64_e32 v[125:126], v[125:126], v[131:132]
	s_wait_loadcnt_dscnt 0x800
	v_mul_f64_e32 v[131:132], v[6:7], v[24:25]
	v_mul_f64_e32 v[24:25], v[8:9], v[24:25]
	v_fma_f64 v[129:130], v[4:5], v[18:19], v[129:130]
	v_fma_f64 v[135:136], v[2:3], v[18:19], -v[20:21]
	ds_load_b128 v[2:5], v1 offset:928
	scratch_load_b128 v[18:21], off, off offset:496
	v_add_f64_e32 v[123:124], v[123:124], v[133:134]
	v_add_f64_e32 v[125:126], v[125:126], v[127:128]
	v_fma_f64 v[131:132], v[8:9], v[22:23], v[131:132]
	v_fma_f64 v[133:134], v[6:7], v[22:23], -v[24:25]
	ds_load_b128 v[6:9], v1 offset:944
	s_wait_loadcnt_dscnt 0x801
	v_mul_f64_e32 v[127:128], v[2:3], v[28:29]
	v_mul_f64_e32 v[28:29], v[4:5], v[28:29]
	scratch_load_b128 v[22:25], off, off offset:512
	v_add_f64_e32 v[123:124], v[123:124], v[135:136]
	v_add_f64_e32 v[125:126], v[125:126], v[129:130]
	s_wait_loadcnt_dscnt 0x800
	v_mul_f64_e32 v[129:130], v[6:7], v[32:33]
	v_mul_f64_e32 v[32:33], v[8:9], v[32:33]
	v_fma_f64 v[127:128], v[4:5], v[26:27], v[127:128]
	v_fma_f64 v[135:136], v[2:3], v[26:27], -v[28:29]
	ds_load_b128 v[2:5], v1 offset:960
	scratch_load_b128 v[26:29], off, off offset:528
	;; [unrolled: 18-line block ×3, first 2 shown]
	v_add_f64_e32 v[123:124], v[123:124], v[133:134]
	v_add_f64_e32 v[125:126], v[125:126], v[129:130]
	v_fma_f64 v[127:128], v[8:9], v[119:120], v[127:128]
	v_fma_f64 v[133:134], v[6:7], v[119:120], -v[121:122]
	ds_load_b128 v[6:9], v1 offset:1008
	s_wait_loadcnt_dscnt 0x801
	v_mul_f64_e32 v[129:130], v[2:3], v[36:37]
	v_mul_f64_e32 v[36:37], v[4:5], v[36:37]
	scratch_load_b128 v[119:122], off, off offset:576
	v_add_f64_e32 v[123:124], v[123:124], v[135:136]
	v_add_f64_e32 v[125:126], v[125:126], v[131:132]
	v_fma_f64 v[129:130], v[4:5], v[34:35], v[129:130]
	v_fma_f64 v[34:35], v[2:3], v[34:35], -v[36:37]
	ds_load_b128 v[2:5], v1 offset:1024
	v_add_f64_e32 v[36:37], v[123:124], v[133:134]
	v_add_f64_e32 v[123:124], v[125:126], v[127:128]
	s_wait_loadcnt_dscnt 0x700
	v_mul_f64_e32 v[125:126], v[2:3], v[12:13]
	v_mul_f64_e32 v[12:13], v[4:5], v[12:13]
	s_delay_alu instid0(VALU_DEP_4) | instskip(NEXT) | instid1(VALU_DEP_4)
	v_add_f64_e32 v[34:35], v[36:37], v[34:35]
	v_add_f64_e32 v[36:37], v[123:124], v[129:130]
	s_delay_alu instid0(VALU_DEP_4) | instskip(NEXT) | instid1(VALU_DEP_4)
	v_fma_f64 v[123:124], v[4:5], v[10:11], v[125:126]
	v_fma_f64 v[125:126], v[2:3], v[10:11], -v[12:13]
	scratch_load_b128 v[10:13], off, off offset:96
	v_mul_f64_e32 v[131:132], v[6:7], v[117:118]
	v_mul_f64_e32 v[117:118], v[8:9], v[117:118]
	ds_load_b128 v[2:5], v1 offset:1056
	v_fma_f64 v[127:128], v[8:9], v[115:116], v[131:132]
	v_fma_f64 v[115:116], v[6:7], v[115:116], -v[117:118]
	ds_load_b128 v[6:9], v1 offset:1040
	s_wait_loadcnt_dscnt 0x700
	v_mul_f64_e32 v[117:118], v[6:7], v[16:17]
	v_mul_f64_e32 v[16:17], v[8:9], v[16:17]
	v_add_f64_e32 v[36:37], v[36:37], v[127:128]
	v_add_f64_e32 v[34:35], v[34:35], v[115:116]
	s_wait_loadcnt 0x6
	v_mul_f64_e32 v[115:116], v[2:3], v[20:21]
	v_mul_f64_e32 v[20:21], v[4:5], v[20:21]
	v_fma_f64 v[117:118], v[8:9], v[14:15], v[117:118]
	v_fma_f64 v[14:15], v[6:7], v[14:15], -v[16:17]
	ds_load_b128 v[6:9], v1 offset:1072
	v_add_f64_e32 v[16:17], v[34:35], v[125:126]
	v_add_f64_e32 v[34:35], v[36:37], v[123:124]
	v_fma_f64 v[115:116], v[4:5], v[18:19], v[115:116]
	v_fma_f64 v[18:19], v[2:3], v[18:19], -v[20:21]
	ds_load_b128 v[2:5], v1 offset:1088
	s_wait_loadcnt_dscnt 0x501
	v_mul_f64_e32 v[36:37], v[6:7], v[24:25]
	v_mul_f64_e32 v[24:25], v[8:9], v[24:25]
	s_wait_loadcnt_dscnt 0x400
	v_mul_f64_e32 v[20:21], v[2:3], v[28:29]
	v_mul_f64_e32 v[28:29], v[4:5], v[28:29]
	v_add_f64_e32 v[14:15], v[16:17], v[14:15]
	v_add_f64_e32 v[16:17], v[34:35], v[117:118]
	v_fma_f64 v[34:35], v[8:9], v[22:23], v[36:37]
	v_fma_f64 v[22:23], v[6:7], v[22:23], -v[24:25]
	ds_load_b128 v[6:9], v1 offset:1104
	v_fma_f64 v[20:21], v[4:5], v[26:27], v[20:21]
	v_fma_f64 v[26:27], v[2:3], v[26:27], -v[28:29]
	ds_load_b128 v[2:5], v1 offset:1120
	s_wait_loadcnt_dscnt 0x301
	v_mul_f64_e32 v[24:25], v[8:9], v[32:33]
	v_add_f64_e32 v[14:15], v[14:15], v[18:19]
	v_add_f64_e32 v[16:17], v[16:17], v[115:116]
	v_mul_f64_e32 v[18:19], v[6:7], v[32:33]
	s_wait_loadcnt_dscnt 0x200
	v_mul_f64_e32 v[28:29], v[4:5], v[113:114]
	v_fma_f64 v[24:25], v[6:7], v[30:31], -v[24:25]
	v_add_f64_e32 v[14:15], v[14:15], v[22:23]
	v_add_f64_e32 v[16:17], v[16:17], v[34:35]
	v_mul_f64_e32 v[22:23], v[2:3], v[113:114]
	v_fma_f64 v[18:19], v[8:9], v[30:31], v[18:19]
	ds_load_b128 v[6:9], v1 offset:1136
	v_fma_f64 v[1:2], v[2:3], v[111:112], -v[28:29]
	v_add_f64_e32 v[14:15], v[14:15], v[26:27]
	v_add_f64_e32 v[16:17], v[16:17], v[20:21]
	s_wait_loadcnt_dscnt 0x100
	v_mul_f64_e32 v[20:21], v[6:7], v[121:122]
	v_mul_f64_e32 v[26:27], v[8:9], v[121:122]
	v_fma_f64 v[4:5], v[4:5], v[111:112], v[22:23]
	v_add_f64_e32 v[14:15], v[14:15], v[24:25]
	v_add_f64_e32 v[16:17], v[16:17], v[18:19]
	v_fma_f64 v[8:9], v[8:9], v[119:120], v[20:21]
	v_fma_f64 v[6:7], v[6:7], v[119:120], -v[26:27]
	s_delay_alu instid0(VALU_DEP_4) | instskip(NEXT) | instid1(VALU_DEP_4)
	v_add_f64_e32 v[1:2], v[14:15], v[1:2]
	v_add_f64_e32 v[3:4], v[16:17], v[4:5]
	s_delay_alu instid0(VALU_DEP_2) | instskip(NEXT) | instid1(VALU_DEP_2)
	v_add_f64_e32 v[1:2], v[1:2], v[6:7]
	v_add_f64_e32 v[3:4], v[3:4], v[8:9]
	s_wait_loadcnt 0x0
	s_delay_alu instid0(VALU_DEP_2) | instskip(NEXT) | instid1(VALU_DEP_2)
	v_add_f64_e64 v[1:2], v[10:11], -v[1:2]
	v_add_f64_e64 v[3:4], v[12:13], -v[3:4]
	scratch_store_b128 off, v[1:4], off offset:96
	v_cmpx_lt_u32_e32 4, v0
	s_cbranch_execz .LBB35_221
; %bb.220:
	scratch_load_b128 v[1:4], off, s30
	v_mov_b32_e32 v5, 0
	s_delay_alu instid0(VALU_DEP_1)
	v_dual_mov_b32 v6, v5 :: v_dual_mov_b32 v7, v5
	v_mov_b32_e32 v8, v5
	scratch_store_b128 off, v[5:8], off offset:80
	s_wait_loadcnt 0x0
	ds_store_b128 v110, v[1:4]
.LBB35_221:
	s_wait_alu 0xfffe
	s_or_b32 exec_lo, exec_lo, s0
	s_wait_storecnt_dscnt 0x0
	s_barrier_signal -1
	s_barrier_wait -1
	global_inv scope:SCOPE_SE
	s_clause 0x7
	scratch_load_b128 v[2:5], off, off offset:96
	scratch_load_b128 v[6:9], off, off offset:112
	;; [unrolled: 1-line block ×8, first 2 shown]
	v_mov_b32_e32 v1, 0
	s_clause 0x1
	scratch_load_b128 v[111:114], off, off offset:224
	scratch_load_b128 v[119:122], off, off offset:240
	s_mov_b32 s0, exec_lo
	ds_load_b128 v[34:37], v1 offset:656
	ds_load_b128 v[115:118], v1 offset:672
	s_wait_loadcnt_dscnt 0x901
	v_mul_f64_e32 v[123:124], v[36:37], v[4:5]
	v_mul_f64_e32 v[4:5], v[34:35], v[4:5]
	s_wait_loadcnt_dscnt 0x800
	v_mul_f64_e32 v[125:126], v[115:116], v[8:9]
	v_mul_f64_e32 v[8:9], v[117:118], v[8:9]
	s_delay_alu instid0(VALU_DEP_4) | instskip(NEXT) | instid1(VALU_DEP_4)
	v_fma_f64 v[123:124], v[34:35], v[2:3], -v[123:124]
	v_fma_f64 v[127:128], v[36:37], v[2:3], v[4:5]
	ds_load_b128 v[2:5], v1 offset:688
	scratch_load_b128 v[34:37], off, off offset:256
	v_fma_f64 v[125:126], v[117:118], v[6:7], v[125:126]
	v_fma_f64 v[131:132], v[115:116], v[6:7], -v[8:9]
	ds_load_b128 v[6:9], v1 offset:704
	scratch_load_b128 v[115:118], off, off offset:272
	s_wait_loadcnt_dscnt 0x901
	v_mul_f64_e32 v[129:130], v[2:3], v[12:13]
	v_mul_f64_e32 v[12:13], v[4:5], v[12:13]
	s_wait_loadcnt_dscnt 0x800
	v_mul_f64_e32 v[133:134], v[6:7], v[16:17]
	v_mul_f64_e32 v[16:17], v[8:9], v[16:17]
	v_add_f64_e32 v[123:124], 0, v[123:124]
	v_add_f64_e32 v[127:128], 0, v[127:128]
	v_fma_f64 v[129:130], v[4:5], v[10:11], v[129:130]
	v_fma_f64 v[135:136], v[2:3], v[10:11], -v[12:13]
	ds_load_b128 v[2:5], v1 offset:720
	scratch_load_b128 v[10:13], off, off offset:288
	v_add_f64_e32 v[123:124], v[123:124], v[131:132]
	v_add_f64_e32 v[125:126], v[127:128], v[125:126]
	v_fma_f64 v[131:132], v[8:9], v[14:15], v[133:134]
	v_fma_f64 v[133:134], v[6:7], v[14:15], -v[16:17]
	ds_load_b128 v[6:9], v1 offset:736
	scratch_load_b128 v[14:17], off, off offset:304
	s_wait_loadcnt_dscnt 0x901
	v_mul_f64_e32 v[127:128], v[2:3], v[20:21]
	v_mul_f64_e32 v[20:21], v[4:5], v[20:21]
	v_add_f64_e32 v[123:124], v[123:124], v[135:136]
	v_add_f64_e32 v[125:126], v[125:126], v[129:130]
	s_wait_loadcnt_dscnt 0x800
	v_mul_f64_e32 v[129:130], v[6:7], v[24:25]
	v_mul_f64_e32 v[24:25], v[8:9], v[24:25]
	v_fma_f64 v[127:128], v[4:5], v[18:19], v[127:128]
	v_fma_f64 v[135:136], v[2:3], v[18:19], -v[20:21]
	ds_load_b128 v[2:5], v1 offset:752
	scratch_load_b128 v[18:21], off, off offset:320
	v_add_f64_e32 v[123:124], v[123:124], v[133:134]
	v_add_f64_e32 v[125:126], v[125:126], v[131:132]
	v_fma_f64 v[129:130], v[8:9], v[22:23], v[129:130]
	v_fma_f64 v[133:134], v[6:7], v[22:23], -v[24:25]
	ds_load_b128 v[6:9], v1 offset:768
	s_wait_loadcnt_dscnt 0x801
	v_mul_f64_e32 v[131:132], v[2:3], v[28:29]
	v_mul_f64_e32 v[28:29], v[4:5], v[28:29]
	scratch_load_b128 v[22:25], off, off offset:336
	v_add_f64_e32 v[123:124], v[123:124], v[135:136]
	v_add_f64_e32 v[125:126], v[125:126], v[127:128]
	s_wait_loadcnt_dscnt 0x800
	v_mul_f64_e32 v[127:128], v[6:7], v[32:33]
	v_mul_f64_e32 v[32:33], v[8:9], v[32:33]
	v_fma_f64 v[131:132], v[4:5], v[26:27], v[131:132]
	v_fma_f64 v[135:136], v[2:3], v[26:27], -v[28:29]
	ds_load_b128 v[2:5], v1 offset:784
	scratch_load_b128 v[26:29], off, off offset:352
	v_add_f64_e32 v[123:124], v[123:124], v[133:134]
	v_add_f64_e32 v[125:126], v[125:126], v[129:130]
	v_fma_f64 v[127:128], v[8:9], v[30:31], v[127:128]
	v_fma_f64 v[133:134], v[6:7], v[30:31], -v[32:33]
	ds_load_b128 v[6:9], v1 offset:800
	s_wait_loadcnt_dscnt 0x801
	v_mul_f64_e32 v[129:130], v[2:3], v[113:114]
	v_mul_f64_e32 v[113:114], v[4:5], v[113:114]
	scratch_load_b128 v[30:33], off, off offset:368
	v_add_f64_e32 v[123:124], v[123:124], v[135:136]
	v_add_f64_e32 v[125:126], v[125:126], v[131:132]
	s_wait_loadcnt_dscnt 0x800
	v_mul_f64_e32 v[131:132], v[6:7], v[121:122]
	v_mul_f64_e32 v[121:122], v[8:9], v[121:122]
	v_fma_f64 v[129:130], v[4:5], v[111:112], v[129:130]
	v_fma_f64 v[135:136], v[2:3], v[111:112], -v[113:114]
	ds_load_b128 v[2:5], v1 offset:816
	scratch_load_b128 v[111:114], off, off offset:384
	v_add_f64_e32 v[123:124], v[123:124], v[133:134]
	v_add_f64_e32 v[125:126], v[125:126], v[127:128]
	v_fma_f64 v[131:132], v[8:9], v[119:120], v[131:132]
	v_fma_f64 v[133:134], v[6:7], v[119:120], -v[121:122]
	ds_load_b128 v[6:9], v1 offset:832
	scratch_load_b128 v[119:122], off, off offset:400
	s_wait_loadcnt_dscnt 0x901
	v_mul_f64_e32 v[127:128], v[2:3], v[36:37]
	v_mul_f64_e32 v[36:37], v[4:5], v[36:37]
	v_add_f64_e32 v[123:124], v[123:124], v[135:136]
	v_add_f64_e32 v[125:126], v[125:126], v[129:130]
	s_wait_loadcnt_dscnt 0x800
	v_mul_f64_e32 v[129:130], v[6:7], v[117:118]
	v_mul_f64_e32 v[117:118], v[8:9], v[117:118]
	v_fma_f64 v[127:128], v[4:5], v[34:35], v[127:128]
	v_fma_f64 v[135:136], v[2:3], v[34:35], -v[36:37]
	ds_load_b128 v[2:5], v1 offset:848
	scratch_load_b128 v[34:37], off, off offset:416
	v_add_f64_e32 v[123:124], v[123:124], v[133:134]
	v_add_f64_e32 v[125:126], v[125:126], v[131:132]
	v_fma_f64 v[129:130], v[8:9], v[115:116], v[129:130]
	v_fma_f64 v[133:134], v[6:7], v[115:116], -v[117:118]
	ds_load_b128 v[6:9], v1 offset:864
	s_wait_loadcnt_dscnt 0x801
	v_mul_f64_e32 v[131:132], v[2:3], v[12:13]
	v_mul_f64_e32 v[12:13], v[4:5], v[12:13]
	scratch_load_b128 v[115:118], off, off offset:432
	v_add_f64_e32 v[123:124], v[123:124], v[135:136]
	v_add_f64_e32 v[125:126], v[125:126], v[127:128]
	s_wait_loadcnt_dscnt 0x800
	v_mul_f64_e32 v[127:128], v[6:7], v[16:17]
	v_mul_f64_e32 v[16:17], v[8:9], v[16:17]
	v_fma_f64 v[131:132], v[4:5], v[10:11], v[131:132]
	v_fma_f64 v[135:136], v[2:3], v[10:11], -v[12:13]
	ds_load_b128 v[2:5], v1 offset:880
	scratch_load_b128 v[10:13], off, off offset:448
	v_add_f64_e32 v[123:124], v[123:124], v[133:134]
	v_add_f64_e32 v[125:126], v[125:126], v[129:130]
	v_fma_f64 v[127:128], v[8:9], v[14:15], v[127:128]
	v_fma_f64 v[133:134], v[6:7], v[14:15], -v[16:17]
	ds_load_b128 v[6:9], v1 offset:896
	s_wait_loadcnt_dscnt 0x801
	v_mul_f64_e32 v[129:130], v[2:3], v[20:21]
	v_mul_f64_e32 v[20:21], v[4:5], v[20:21]
	scratch_load_b128 v[14:17], off, off offset:464
	;; [unrolled: 18-line block ×5, first 2 shown]
	v_add_f64_e32 v[123:124], v[123:124], v[135:136]
	v_add_f64_e32 v[125:126], v[125:126], v[131:132]
	s_wait_loadcnt_dscnt 0x800
	v_mul_f64_e32 v[131:132], v[6:7], v[117:118]
	v_mul_f64_e32 v[117:118], v[8:9], v[117:118]
	v_fma_f64 v[129:130], v[4:5], v[34:35], v[129:130]
	v_fma_f64 v[135:136], v[2:3], v[34:35], -v[36:37]
	ds_load_b128 v[2:5], v1 offset:1008
	scratch_load_b128 v[34:37], off, off offset:576
	v_add_f64_e32 v[123:124], v[123:124], v[133:134]
	v_add_f64_e32 v[125:126], v[125:126], v[127:128]
	v_fma_f64 v[131:132], v[8:9], v[115:116], v[131:132]
	v_fma_f64 v[115:116], v[6:7], v[115:116], -v[117:118]
	ds_load_b128 v[6:9], v1 offset:1024
	s_wait_loadcnt_dscnt 0x801
	v_mul_f64_e32 v[127:128], v[2:3], v[12:13]
	v_mul_f64_e32 v[12:13], v[4:5], v[12:13]
	v_add_f64_e32 v[117:118], v[123:124], v[135:136]
	v_add_f64_e32 v[123:124], v[125:126], v[129:130]
	s_wait_loadcnt_dscnt 0x700
	v_mul_f64_e32 v[125:126], v[6:7], v[16:17]
	v_mul_f64_e32 v[16:17], v[8:9], v[16:17]
	v_fma_f64 v[127:128], v[4:5], v[10:11], v[127:128]
	v_fma_f64 v[10:11], v[2:3], v[10:11], -v[12:13]
	ds_load_b128 v[2:5], v1 offset:1040
	v_add_f64_e32 v[12:13], v[117:118], v[115:116]
	v_add_f64_e32 v[115:116], v[123:124], v[131:132]
	v_fma_f64 v[123:124], v[8:9], v[14:15], v[125:126]
	v_fma_f64 v[14:15], v[6:7], v[14:15], -v[16:17]
	ds_load_b128 v[6:9], v1 offset:1056
	s_wait_loadcnt_dscnt 0x500
	v_mul_f64_e32 v[125:126], v[6:7], v[24:25]
	v_mul_f64_e32 v[24:25], v[8:9], v[24:25]
	v_add_f64_e32 v[16:17], v[12:13], v[10:11]
	v_add_f64_e32 v[115:116], v[115:116], v[127:128]
	scratch_load_b128 v[10:13], off, off offset:80
	v_mul_f64_e32 v[117:118], v[2:3], v[20:21]
	v_mul_f64_e32 v[20:21], v[4:5], v[20:21]
	v_add_f64_e32 v[14:15], v[16:17], v[14:15]
	v_add_f64_e32 v[16:17], v[115:116], v[123:124]
	v_fma_f64 v[115:116], v[8:9], v[22:23], v[125:126]
	v_fma_f64 v[117:118], v[4:5], v[18:19], v[117:118]
	v_fma_f64 v[18:19], v[2:3], v[18:19], -v[20:21]
	ds_load_b128 v[2:5], v1 offset:1072
	v_fma_f64 v[22:23], v[6:7], v[22:23], -v[24:25]
	ds_load_b128 v[6:9], v1 offset:1088
	s_wait_loadcnt_dscnt 0x501
	v_mul_f64_e32 v[20:21], v[2:3], v[28:29]
	v_mul_f64_e32 v[28:29], v[4:5], v[28:29]
	s_wait_loadcnt_dscnt 0x400
	v_mul_f64_e32 v[24:25], v[8:9], v[32:33]
	v_add_f64_e32 v[16:17], v[16:17], v[117:118]
	v_add_f64_e32 v[14:15], v[14:15], v[18:19]
	v_mul_f64_e32 v[18:19], v[6:7], v[32:33]
	v_fma_f64 v[20:21], v[4:5], v[26:27], v[20:21]
	v_fma_f64 v[26:27], v[2:3], v[26:27], -v[28:29]
	ds_load_b128 v[2:5], v1 offset:1104
	v_fma_f64 v[24:25], v[6:7], v[30:31], -v[24:25]
	v_add_f64_e32 v[16:17], v[16:17], v[115:116]
	v_add_f64_e32 v[14:15], v[14:15], v[22:23]
	v_fma_f64 v[18:19], v[8:9], v[30:31], v[18:19]
	ds_load_b128 v[6:9], v1 offset:1120
	s_wait_loadcnt_dscnt 0x301
	v_mul_f64_e32 v[22:23], v[2:3], v[113:114]
	v_mul_f64_e32 v[28:29], v[4:5], v[113:114]
	v_add_f64_e32 v[16:17], v[16:17], v[20:21]
	v_add_f64_e32 v[14:15], v[14:15], v[26:27]
	s_wait_loadcnt_dscnt 0x200
	v_mul_f64_e32 v[20:21], v[6:7], v[121:122]
	v_mul_f64_e32 v[26:27], v[8:9], v[121:122]
	v_fma_f64 v[22:23], v[4:5], v[111:112], v[22:23]
	v_fma_f64 v[28:29], v[2:3], v[111:112], -v[28:29]
	ds_load_b128 v[2:5], v1 offset:1136
	v_add_f64_e32 v[16:17], v[16:17], v[18:19]
	v_add_f64_e32 v[14:15], v[14:15], v[24:25]
	s_wait_loadcnt_dscnt 0x100
	v_mul_f64_e32 v[18:19], v[2:3], v[36:37]
	v_mul_f64_e32 v[24:25], v[4:5], v[36:37]
	v_fma_f64 v[8:9], v[8:9], v[119:120], v[20:21]
	v_fma_f64 v[6:7], v[6:7], v[119:120], -v[26:27]
	v_add_f64_e32 v[16:17], v[16:17], v[22:23]
	v_add_f64_e32 v[14:15], v[14:15], v[28:29]
	v_fma_f64 v[4:5], v[4:5], v[34:35], v[18:19]
	v_fma_f64 v[2:3], v[2:3], v[34:35], -v[24:25]
	s_delay_alu instid0(VALU_DEP_4) | instskip(NEXT) | instid1(VALU_DEP_4)
	v_add_f64_e32 v[8:9], v[16:17], v[8:9]
	v_add_f64_e32 v[6:7], v[14:15], v[6:7]
	s_delay_alu instid0(VALU_DEP_2) | instskip(NEXT) | instid1(VALU_DEP_2)
	v_add_f64_e32 v[4:5], v[8:9], v[4:5]
	v_add_f64_e32 v[2:3], v[6:7], v[2:3]
	s_wait_loadcnt 0x0
	s_delay_alu instid0(VALU_DEP_2) | instskip(NEXT) | instid1(VALU_DEP_2)
	v_add_f64_e64 v[4:5], v[12:13], -v[4:5]
	v_add_f64_e64 v[2:3], v[10:11], -v[2:3]
	scratch_store_b128 off, v[2:5], off offset:80
	v_cmpx_lt_u32_e32 3, v0
	s_cbranch_execz .LBB35_223
; %bb.222:
	scratch_load_b128 v[5:8], off, s31
	v_dual_mov_b32 v2, v1 :: v_dual_mov_b32 v3, v1
	v_mov_b32_e32 v4, v1
	scratch_store_b128 off, v[1:4], off offset:64
	s_wait_loadcnt 0x0
	ds_store_b128 v110, v[5:8]
.LBB35_223:
	s_wait_alu 0xfffe
	s_or_b32 exec_lo, exec_lo, s0
	s_wait_storecnt_dscnt 0x0
	s_barrier_signal -1
	s_barrier_wait -1
	global_inv scope:SCOPE_SE
	s_clause 0x7
	scratch_load_b128 v[2:5], off, off offset:80
	scratch_load_b128 v[6:9], off, off offset:96
	;; [unrolled: 1-line block ×8, first 2 shown]
	ds_load_b128 v[34:37], v1 offset:640
	ds_load_b128 v[115:118], v1 offset:656
	s_clause 0x1
	scratch_load_b128 v[111:114], off, off offset:208
	scratch_load_b128 v[119:122], off, off offset:224
	s_mov_b32 s0, exec_lo
	s_wait_loadcnt_dscnt 0x901
	v_mul_f64_e32 v[123:124], v[36:37], v[4:5]
	v_mul_f64_e32 v[4:5], v[34:35], v[4:5]
	s_wait_loadcnt_dscnt 0x800
	v_mul_f64_e32 v[125:126], v[115:116], v[8:9]
	v_mul_f64_e32 v[8:9], v[117:118], v[8:9]
	s_delay_alu instid0(VALU_DEP_4) | instskip(NEXT) | instid1(VALU_DEP_4)
	v_fma_f64 v[123:124], v[34:35], v[2:3], -v[123:124]
	v_fma_f64 v[127:128], v[36:37], v[2:3], v[4:5]
	ds_load_b128 v[2:5], v1 offset:672
	scratch_load_b128 v[34:37], off, off offset:240
	v_fma_f64 v[125:126], v[117:118], v[6:7], v[125:126]
	v_fma_f64 v[131:132], v[115:116], v[6:7], -v[8:9]
	ds_load_b128 v[6:9], v1 offset:688
	scratch_load_b128 v[115:118], off, off offset:256
	s_wait_loadcnt_dscnt 0x901
	v_mul_f64_e32 v[129:130], v[2:3], v[12:13]
	v_mul_f64_e32 v[12:13], v[4:5], v[12:13]
	s_wait_loadcnt_dscnt 0x800
	v_mul_f64_e32 v[133:134], v[6:7], v[16:17]
	v_mul_f64_e32 v[16:17], v[8:9], v[16:17]
	v_add_f64_e32 v[123:124], 0, v[123:124]
	v_add_f64_e32 v[127:128], 0, v[127:128]
	v_fma_f64 v[129:130], v[4:5], v[10:11], v[129:130]
	v_fma_f64 v[135:136], v[2:3], v[10:11], -v[12:13]
	ds_load_b128 v[2:5], v1 offset:704
	scratch_load_b128 v[10:13], off, off offset:272
	v_add_f64_e32 v[123:124], v[123:124], v[131:132]
	v_add_f64_e32 v[125:126], v[127:128], v[125:126]
	v_fma_f64 v[131:132], v[8:9], v[14:15], v[133:134]
	v_fma_f64 v[133:134], v[6:7], v[14:15], -v[16:17]
	ds_load_b128 v[6:9], v1 offset:720
	scratch_load_b128 v[14:17], off, off offset:288
	s_wait_loadcnt_dscnt 0x901
	v_mul_f64_e32 v[127:128], v[2:3], v[20:21]
	v_mul_f64_e32 v[20:21], v[4:5], v[20:21]
	v_add_f64_e32 v[123:124], v[123:124], v[135:136]
	v_add_f64_e32 v[125:126], v[125:126], v[129:130]
	s_wait_loadcnt_dscnt 0x800
	v_mul_f64_e32 v[129:130], v[6:7], v[24:25]
	v_mul_f64_e32 v[24:25], v[8:9], v[24:25]
	v_fma_f64 v[127:128], v[4:5], v[18:19], v[127:128]
	v_fma_f64 v[135:136], v[2:3], v[18:19], -v[20:21]
	ds_load_b128 v[2:5], v1 offset:736
	scratch_load_b128 v[18:21], off, off offset:304
	v_add_f64_e32 v[123:124], v[123:124], v[133:134]
	v_add_f64_e32 v[125:126], v[125:126], v[131:132]
	v_fma_f64 v[129:130], v[8:9], v[22:23], v[129:130]
	v_fma_f64 v[133:134], v[6:7], v[22:23], -v[24:25]
	ds_load_b128 v[6:9], v1 offset:752
	s_wait_loadcnt_dscnt 0x801
	v_mul_f64_e32 v[131:132], v[2:3], v[28:29]
	v_mul_f64_e32 v[28:29], v[4:5], v[28:29]
	scratch_load_b128 v[22:25], off, off offset:320
	v_add_f64_e32 v[123:124], v[123:124], v[135:136]
	v_add_f64_e32 v[125:126], v[125:126], v[127:128]
	s_wait_loadcnt_dscnt 0x800
	v_mul_f64_e32 v[127:128], v[6:7], v[32:33]
	v_mul_f64_e32 v[32:33], v[8:9], v[32:33]
	v_fma_f64 v[131:132], v[4:5], v[26:27], v[131:132]
	v_fma_f64 v[135:136], v[2:3], v[26:27], -v[28:29]
	ds_load_b128 v[2:5], v1 offset:768
	scratch_load_b128 v[26:29], off, off offset:336
	v_add_f64_e32 v[123:124], v[123:124], v[133:134]
	v_add_f64_e32 v[125:126], v[125:126], v[129:130]
	v_fma_f64 v[127:128], v[8:9], v[30:31], v[127:128]
	v_fma_f64 v[133:134], v[6:7], v[30:31], -v[32:33]
	ds_load_b128 v[6:9], v1 offset:784
	s_wait_loadcnt_dscnt 0x801
	v_mul_f64_e32 v[129:130], v[2:3], v[113:114]
	v_mul_f64_e32 v[113:114], v[4:5], v[113:114]
	scratch_load_b128 v[30:33], off, off offset:352
	v_add_f64_e32 v[123:124], v[123:124], v[135:136]
	v_add_f64_e32 v[125:126], v[125:126], v[131:132]
	s_wait_loadcnt_dscnt 0x800
	v_mul_f64_e32 v[131:132], v[6:7], v[121:122]
	v_mul_f64_e32 v[121:122], v[8:9], v[121:122]
	v_fma_f64 v[129:130], v[4:5], v[111:112], v[129:130]
	v_fma_f64 v[135:136], v[2:3], v[111:112], -v[113:114]
	ds_load_b128 v[2:5], v1 offset:800
	scratch_load_b128 v[111:114], off, off offset:368
	v_add_f64_e32 v[123:124], v[123:124], v[133:134]
	v_add_f64_e32 v[125:126], v[125:126], v[127:128]
	v_fma_f64 v[131:132], v[8:9], v[119:120], v[131:132]
	v_fma_f64 v[133:134], v[6:7], v[119:120], -v[121:122]
	ds_load_b128 v[6:9], v1 offset:816
	scratch_load_b128 v[119:122], off, off offset:384
	s_wait_loadcnt_dscnt 0x901
	v_mul_f64_e32 v[127:128], v[2:3], v[36:37]
	v_mul_f64_e32 v[36:37], v[4:5], v[36:37]
	v_add_f64_e32 v[123:124], v[123:124], v[135:136]
	v_add_f64_e32 v[125:126], v[125:126], v[129:130]
	s_wait_loadcnt_dscnt 0x800
	v_mul_f64_e32 v[129:130], v[6:7], v[117:118]
	v_mul_f64_e32 v[117:118], v[8:9], v[117:118]
	v_fma_f64 v[127:128], v[4:5], v[34:35], v[127:128]
	v_fma_f64 v[135:136], v[2:3], v[34:35], -v[36:37]
	ds_load_b128 v[2:5], v1 offset:832
	scratch_load_b128 v[34:37], off, off offset:400
	v_add_f64_e32 v[123:124], v[123:124], v[133:134]
	v_add_f64_e32 v[125:126], v[125:126], v[131:132]
	v_fma_f64 v[129:130], v[8:9], v[115:116], v[129:130]
	v_fma_f64 v[133:134], v[6:7], v[115:116], -v[117:118]
	ds_load_b128 v[6:9], v1 offset:848
	s_wait_loadcnt_dscnt 0x801
	v_mul_f64_e32 v[131:132], v[2:3], v[12:13]
	v_mul_f64_e32 v[12:13], v[4:5], v[12:13]
	scratch_load_b128 v[115:118], off, off offset:416
	v_add_f64_e32 v[123:124], v[123:124], v[135:136]
	v_add_f64_e32 v[125:126], v[125:126], v[127:128]
	s_wait_loadcnt_dscnt 0x800
	v_mul_f64_e32 v[127:128], v[6:7], v[16:17]
	v_mul_f64_e32 v[16:17], v[8:9], v[16:17]
	v_fma_f64 v[131:132], v[4:5], v[10:11], v[131:132]
	v_fma_f64 v[135:136], v[2:3], v[10:11], -v[12:13]
	ds_load_b128 v[2:5], v1 offset:864
	scratch_load_b128 v[10:13], off, off offset:432
	v_add_f64_e32 v[123:124], v[123:124], v[133:134]
	v_add_f64_e32 v[125:126], v[125:126], v[129:130]
	v_fma_f64 v[127:128], v[8:9], v[14:15], v[127:128]
	v_fma_f64 v[133:134], v[6:7], v[14:15], -v[16:17]
	ds_load_b128 v[6:9], v1 offset:880
	s_wait_loadcnt_dscnt 0x801
	v_mul_f64_e32 v[129:130], v[2:3], v[20:21]
	v_mul_f64_e32 v[20:21], v[4:5], v[20:21]
	scratch_load_b128 v[14:17], off, off offset:448
	;; [unrolled: 18-line block ×6, first 2 shown]
	v_add_f64_e32 v[123:124], v[123:124], v[135:136]
	v_add_f64_e32 v[125:126], v[125:126], v[129:130]
	s_wait_loadcnt_dscnt 0x800
	v_mul_f64_e32 v[129:130], v[6:7], v[16:17]
	v_mul_f64_e32 v[16:17], v[8:9], v[16:17]
	v_fma_f64 v[127:128], v[4:5], v[10:11], v[127:128]
	v_fma_f64 v[10:11], v[2:3], v[10:11], -v[12:13]
	ds_load_b128 v[2:5], v1 offset:1024
	v_add_f64_e32 v[12:13], v[123:124], v[133:134]
	v_add_f64_e32 v[123:124], v[125:126], v[131:132]
	v_fma_f64 v[129:130], v[8:9], v[14:15], v[129:130]
	v_fma_f64 v[14:15], v[6:7], v[14:15], -v[16:17]
	ds_load_b128 v[6:9], v1 offset:1040
	s_wait_loadcnt_dscnt 0x701
	v_mul_f64_e32 v[125:126], v[2:3], v[20:21]
	v_mul_f64_e32 v[20:21], v[4:5], v[20:21]
	v_add_f64_e32 v[10:11], v[12:13], v[10:11]
	v_add_f64_e32 v[12:13], v[123:124], v[127:128]
	s_delay_alu instid0(VALU_DEP_4) | instskip(NEXT) | instid1(VALU_DEP_4)
	v_fma_f64 v[123:124], v[4:5], v[18:19], v[125:126]
	v_fma_f64 v[18:19], v[2:3], v[18:19], -v[20:21]
	ds_load_b128 v[2:5], v1 offset:1056
	v_add_f64_e32 v[14:15], v[10:11], v[14:15]
	v_add_f64_e32 v[20:21], v[12:13], v[129:130]
	scratch_load_b128 v[10:13], off, off offset:64
	s_wait_loadcnt_dscnt 0x701
	v_mul_f64_e32 v[16:17], v[6:7], v[24:25]
	v_mul_f64_e32 v[24:25], v[8:9], v[24:25]
	v_add_f64_e32 v[14:15], v[14:15], v[18:19]
	v_add_f64_e32 v[18:19], v[20:21], v[123:124]
	s_delay_alu instid0(VALU_DEP_4) | instskip(NEXT) | instid1(VALU_DEP_4)
	v_fma_f64 v[16:17], v[8:9], v[22:23], v[16:17]
	v_fma_f64 v[22:23], v[6:7], v[22:23], -v[24:25]
	ds_load_b128 v[6:9], v1 offset:1072
	s_wait_loadcnt_dscnt 0x601
	v_mul_f64_e32 v[125:126], v[2:3], v[28:29]
	v_mul_f64_e32 v[28:29], v[4:5], v[28:29]
	s_wait_loadcnt_dscnt 0x500
	v_mul_f64_e32 v[20:21], v[6:7], v[32:33]
	v_mul_f64_e32 v[24:25], v[8:9], v[32:33]
	v_add_f64_e32 v[16:17], v[18:19], v[16:17]
	v_add_f64_e32 v[14:15], v[14:15], v[22:23]
	v_fma_f64 v[32:33], v[4:5], v[26:27], v[125:126]
	v_fma_f64 v[26:27], v[2:3], v[26:27], -v[28:29]
	ds_load_b128 v[2:5], v1 offset:1088
	v_fma_f64 v[20:21], v[8:9], v[30:31], v[20:21]
	v_fma_f64 v[24:25], v[6:7], v[30:31], -v[24:25]
	ds_load_b128 v[6:9], v1 offset:1104
	s_wait_loadcnt_dscnt 0x401
	v_mul_f64_e32 v[18:19], v[2:3], v[113:114]
	v_mul_f64_e32 v[22:23], v[4:5], v[113:114]
	v_add_f64_e32 v[16:17], v[16:17], v[32:33]
	v_add_f64_e32 v[14:15], v[14:15], v[26:27]
	s_wait_loadcnt_dscnt 0x300
	v_mul_f64_e32 v[26:27], v[6:7], v[121:122]
	v_mul_f64_e32 v[28:29], v[8:9], v[121:122]
	v_fma_f64 v[18:19], v[4:5], v[111:112], v[18:19]
	v_fma_f64 v[22:23], v[2:3], v[111:112], -v[22:23]
	ds_load_b128 v[2:5], v1 offset:1120
	v_add_f64_e32 v[16:17], v[16:17], v[20:21]
	v_add_f64_e32 v[14:15], v[14:15], v[24:25]
	v_fma_f64 v[26:27], v[8:9], v[119:120], v[26:27]
	v_fma_f64 v[28:29], v[6:7], v[119:120], -v[28:29]
	ds_load_b128 v[6:9], v1 offset:1136
	s_wait_loadcnt_dscnt 0x201
	v_mul_f64_e32 v[20:21], v[2:3], v[36:37]
	v_mul_f64_e32 v[24:25], v[4:5], v[36:37]
	v_add_f64_e32 v[16:17], v[16:17], v[18:19]
	v_add_f64_e32 v[14:15], v[14:15], v[22:23]
	s_wait_loadcnt_dscnt 0x100
	v_mul_f64_e32 v[18:19], v[6:7], v[117:118]
	v_mul_f64_e32 v[22:23], v[8:9], v[117:118]
	v_fma_f64 v[4:5], v[4:5], v[34:35], v[20:21]
	v_fma_f64 v[1:2], v[2:3], v[34:35], -v[24:25]
	v_add_f64_e32 v[16:17], v[16:17], v[26:27]
	v_add_f64_e32 v[14:15], v[14:15], v[28:29]
	v_fma_f64 v[8:9], v[8:9], v[115:116], v[18:19]
	v_fma_f64 v[6:7], v[6:7], v[115:116], -v[22:23]
	s_delay_alu instid0(VALU_DEP_4) | instskip(NEXT) | instid1(VALU_DEP_4)
	v_add_f64_e32 v[3:4], v[16:17], v[4:5]
	v_add_f64_e32 v[1:2], v[14:15], v[1:2]
	s_delay_alu instid0(VALU_DEP_2) | instskip(NEXT) | instid1(VALU_DEP_2)
	v_add_f64_e32 v[3:4], v[3:4], v[8:9]
	v_add_f64_e32 v[1:2], v[1:2], v[6:7]
	s_wait_loadcnt 0x0
	s_delay_alu instid0(VALU_DEP_2) | instskip(NEXT) | instid1(VALU_DEP_2)
	v_add_f64_e64 v[3:4], v[12:13], -v[3:4]
	v_add_f64_e64 v[1:2], v[10:11], -v[1:2]
	scratch_store_b128 off, v[1:4], off offset:64
	v_cmpx_lt_u32_e32 2, v0
	s_cbranch_execz .LBB35_225
; %bb.224:
	scratch_load_b128 v[1:4], off, s33
	v_mov_b32_e32 v5, 0
	s_delay_alu instid0(VALU_DEP_1)
	v_dual_mov_b32 v6, v5 :: v_dual_mov_b32 v7, v5
	v_mov_b32_e32 v8, v5
	scratch_store_b128 off, v[5:8], off offset:48
	s_wait_loadcnt 0x0
	ds_store_b128 v110, v[1:4]
.LBB35_225:
	s_wait_alu 0xfffe
	s_or_b32 exec_lo, exec_lo, s0
	s_wait_storecnt_dscnt 0x0
	s_barrier_signal -1
	s_barrier_wait -1
	global_inv scope:SCOPE_SE
	s_clause 0x7
	scratch_load_b128 v[2:5], off, off offset:64
	scratch_load_b128 v[6:9], off, off offset:80
	;; [unrolled: 1-line block ×8, first 2 shown]
	v_mov_b32_e32 v1, 0
	s_clause 0x1
	scratch_load_b128 v[111:114], off, off offset:192
	scratch_load_b128 v[119:122], off, off offset:208
	s_mov_b32 s0, exec_lo
	ds_load_b128 v[34:37], v1 offset:624
	ds_load_b128 v[115:118], v1 offset:640
	s_wait_loadcnt_dscnt 0x901
	v_mul_f64_e32 v[123:124], v[36:37], v[4:5]
	v_mul_f64_e32 v[4:5], v[34:35], v[4:5]
	s_wait_loadcnt_dscnt 0x800
	v_mul_f64_e32 v[125:126], v[115:116], v[8:9]
	v_mul_f64_e32 v[8:9], v[117:118], v[8:9]
	s_delay_alu instid0(VALU_DEP_4) | instskip(NEXT) | instid1(VALU_DEP_4)
	v_fma_f64 v[123:124], v[34:35], v[2:3], -v[123:124]
	v_fma_f64 v[127:128], v[36:37], v[2:3], v[4:5]
	ds_load_b128 v[2:5], v1 offset:656
	scratch_load_b128 v[34:37], off, off offset:224
	v_fma_f64 v[125:126], v[117:118], v[6:7], v[125:126]
	v_fma_f64 v[131:132], v[115:116], v[6:7], -v[8:9]
	ds_load_b128 v[6:9], v1 offset:672
	scratch_load_b128 v[115:118], off, off offset:240
	s_wait_loadcnt_dscnt 0x901
	v_mul_f64_e32 v[129:130], v[2:3], v[12:13]
	v_mul_f64_e32 v[12:13], v[4:5], v[12:13]
	s_wait_loadcnt_dscnt 0x800
	v_mul_f64_e32 v[133:134], v[6:7], v[16:17]
	v_mul_f64_e32 v[16:17], v[8:9], v[16:17]
	v_add_f64_e32 v[123:124], 0, v[123:124]
	v_add_f64_e32 v[127:128], 0, v[127:128]
	v_fma_f64 v[129:130], v[4:5], v[10:11], v[129:130]
	v_fma_f64 v[135:136], v[2:3], v[10:11], -v[12:13]
	ds_load_b128 v[2:5], v1 offset:688
	scratch_load_b128 v[10:13], off, off offset:256
	v_add_f64_e32 v[123:124], v[123:124], v[131:132]
	v_add_f64_e32 v[125:126], v[127:128], v[125:126]
	v_fma_f64 v[131:132], v[8:9], v[14:15], v[133:134]
	v_fma_f64 v[133:134], v[6:7], v[14:15], -v[16:17]
	ds_load_b128 v[6:9], v1 offset:704
	scratch_load_b128 v[14:17], off, off offset:272
	s_wait_loadcnt_dscnt 0x901
	v_mul_f64_e32 v[127:128], v[2:3], v[20:21]
	v_mul_f64_e32 v[20:21], v[4:5], v[20:21]
	v_add_f64_e32 v[123:124], v[123:124], v[135:136]
	v_add_f64_e32 v[125:126], v[125:126], v[129:130]
	s_wait_loadcnt_dscnt 0x800
	v_mul_f64_e32 v[129:130], v[6:7], v[24:25]
	v_mul_f64_e32 v[24:25], v[8:9], v[24:25]
	v_fma_f64 v[127:128], v[4:5], v[18:19], v[127:128]
	v_fma_f64 v[135:136], v[2:3], v[18:19], -v[20:21]
	ds_load_b128 v[2:5], v1 offset:720
	scratch_load_b128 v[18:21], off, off offset:288
	v_add_f64_e32 v[123:124], v[123:124], v[133:134]
	v_add_f64_e32 v[125:126], v[125:126], v[131:132]
	v_fma_f64 v[129:130], v[8:9], v[22:23], v[129:130]
	v_fma_f64 v[133:134], v[6:7], v[22:23], -v[24:25]
	ds_load_b128 v[6:9], v1 offset:736
	s_wait_loadcnt_dscnt 0x801
	v_mul_f64_e32 v[131:132], v[2:3], v[28:29]
	v_mul_f64_e32 v[28:29], v[4:5], v[28:29]
	scratch_load_b128 v[22:25], off, off offset:304
	v_add_f64_e32 v[123:124], v[123:124], v[135:136]
	v_add_f64_e32 v[125:126], v[125:126], v[127:128]
	s_wait_loadcnt_dscnt 0x800
	v_mul_f64_e32 v[127:128], v[6:7], v[32:33]
	v_mul_f64_e32 v[32:33], v[8:9], v[32:33]
	v_fma_f64 v[131:132], v[4:5], v[26:27], v[131:132]
	v_fma_f64 v[135:136], v[2:3], v[26:27], -v[28:29]
	ds_load_b128 v[2:5], v1 offset:752
	scratch_load_b128 v[26:29], off, off offset:320
	v_add_f64_e32 v[123:124], v[123:124], v[133:134]
	v_add_f64_e32 v[125:126], v[125:126], v[129:130]
	v_fma_f64 v[127:128], v[8:9], v[30:31], v[127:128]
	v_fma_f64 v[133:134], v[6:7], v[30:31], -v[32:33]
	ds_load_b128 v[6:9], v1 offset:768
	s_wait_loadcnt_dscnt 0x801
	v_mul_f64_e32 v[129:130], v[2:3], v[113:114]
	v_mul_f64_e32 v[113:114], v[4:5], v[113:114]
	scratch_load_b128 v[30:33], off, off offset:336
	v_add_f64_e32 v[123:124], v[123:124], v[135:136]
	v_add_f64_e32 v[125:126], v[125:126], v[131:132]
	s_wait_loadcnt_dscnt 0x800
	v_mul_f64_e32 v[131:132], v[6:7], v[121:122]
	v_mul_f64_e32 v[121:122], v[8:9], v[121:122]
	v_fma_f64 v[129:130], v[4:5], v[111:112], v[129:130]
	v_fma_f64 v[135:136], v[2:3], v[111:112], -v[113:114]
	ds_load_b128 v[2:5], v1 offset:784
	scratch_load_b128 v[111:114], off, off offset:352
	v_add_f64_e32 v[123:124], v[123:124], v[133:134]
	v_add_f64_e32 v[125:126], v[125:126], v[127:128]
	v_fma_f64 v[131:132], v[8:9], v[119:120], v[131:132]
	v_fma_f64 v[133:134], v[6:7], v[119:120], -v[121:122]
	ds_load_b128 v[6:9], v1 offset:800
	scratch_load_b128 v[119:122], off, off offset:368
	s_wait_loadcnt_dscnt 0x901
	v_mul_f64_e32 v[127:128], v[2:3], v[36:37]
	v_mul_f64_e32 v[36:37], v[4:5], v[36:37]
	v_add_f64_e32 v[123:124], v[123:124], v[135:136]
	v_add_f64_e32 v[125:126], v[125:126], v[129:130]
	s_wait_loadcnt_dscnt 0x800
	v_mul_f64_e32 v[129:130], v[6:7], v[117:118]
	v_mul_f64_e32 v[117:118], v[8:9], v[117:118]
	v_fma_f64 v[127:128], v[4:5], v[34:35], v[127:128]
	v_fma_f64 v[135:136], v[2:3], v[34:35], -v[36:37]
	ds_load_b128 v[2:5], v1 offset:816
	scratch_load_b128 v[34:37], off, off offset:384
	v_add_f64_e32 v[123:124], v[123:124], v[133:134]
	v_add_f64_e32 v[125:126], v[125:126], v[131:132]
	v_fma_f64 v[129:130], v[8:9], v[115:116], v[129:130]
	v_fma_f64 v[133:134], v[6:7], v[115:116], -v[117:118]
	ds_load_b128 v[6:9], v1 offset:832
	s_wait_loadcnt_dscnt 0x801
	v_mul_f64_e32 v[131:132], v[2:3], v[12:13]
	v_mul_f64_e32 v[12:13], v[4:5], v[12:13]
	scratch_load_b128 v[115:118], off, off offset:400
	v_add_f64_e32 v[123:124], v[123:124], v[135:136]
	v_add_f64_e32 v[125:126], v[125:126], v[127:128]
	s_wait_loadcnt_dscnt 0x800
	v_mul_f64_e32 v[127:128], v[6:7], v[16:17]
	v_mul_f64_e32 v[16:17], v[8:9], v[16:17]
	v_fma_f64 v[131:132], v[4:5], v[10:11], v[131:132]
	v_fma_f64 v[135:136], v[2:3], v[10:11], -v[12:13]
	ds_load_b128 v[2:5], v1 offset:848
	scratch_load_b128 v[10:13], off, off offset:416
	v_add_f64_e32 v[123:124], v[123:124], v[133:134]
	v_add_f64_e32 v[125:126], v[125:126], v[129:130]
	v_fma_f64 v[127:128], v[8:9], v[14:15], v[127:128]
	v_fma_f64 v[133:134], v[6:7], v[14:15], -v[16:17]
	ds_load_b128 v[6:9], v1 offset:864
	s_wait_loadcnt_dscnt 0x801
	v_mul_f64_e32 v[129:130], v[2:3], v[20:21]
	v_mul_f64_e32 v[20:21], v[4:5], v[20:21]
	scratch_load_b128 v[14:17], off, off offset:432
	;; [unrolled: 18-line block ×6, first 2 shown]
	v_add_f64_e32 v[123:124], v[123:124], v[135:136]
	v_add_f64_e32 v[125:126], v[125:126], v[129:130]
	s_wait_loadcnt_dscnt 0x800
	v_mul_f64_e32 v[129:130], v[6:7], v[16:17]
	v_mul_f64_e32 v[16:17], v[8:9], v[16:17]
	v_fma_f64 v[127:128], v[4:5], v[10:11], v[127:128]
	v_fma_f64 v[135:136], v[2:3], v[10:11], -v[12:13]
	ds_load_b128 v[2:5], v1 offset:1008
	scratch_load_b128 v[10:13], off, off offset:576
	v_add_f64_e32 v[123:124], v[123:124], v[133:134]
	v_add_f64_e32 v[125:126], v[125:126], v[131:132]
	v_fma_f64 v[129:130], v[8:9], v[14:15], v[129:130]
	v_fma_f64 v[14:15], v[6:7], v[14:15], -v[16:17]
	ds_load_b128 v[6:9], v1 offset:1024
	s_wait_loadcnt_dscnt 0x801
	v_mul_f64_e32 v[131:132], v[2:3], v[20:21]
	v_mul_f64_e32 v[20:21], v[4:5], v[20:21]
	v_add_f64_e32 v[16:17], v[123:124], v[135:136]
	v_add_f64_e32 v[123:124], v[125:126], v[127:128]
	s_wait_loadcnt_dscnt 0x700
	v_mul_f64_e32 v[125:126], v[6:7], v[24:25]
	v_mul_f64_e32 v[24:25], v[8:9], v[24:25]
	v_fma_f64 v[127:128], v[4:5], v[18:19], v[131:132]
	v_fma_f64 v[18:19], v[2:3], v[18:19], -v[20:21]
	ds_load_b128 v[2:5], v1 offset:1040
	v_add_f64_e32 v[14:15], v[16:17], v[14:15]
	v_add_f64_e32 v[16:17], v[123:124], v[129:130]
	v_fma_f64 v[123:124], v[8:9], v[22:23], v[125:126]
	v_fma_f64 v[22:23], v[6:7], v[22:23], -v[24:25]
	ds_load_b128 v[6:9], v1 offset:1056
	s_wait_loadcnt_dscnt 0x500
	v_mul_f64_e32 v[125:126], v[6:7], v[32:33]
	v_mul_f64_e32 v[32:33], v[8:9], v[32:33]
	v_add_f64_e32 v[18:19], v[14:15], v[18:19]
	v_add_f64_e32 v[24:25], v[16:17], v[127:128]
	scratch_load_b128 v[14:17], off, off offset:48
	v_mul_f64_e32 v[20:21], v[2:3], v[28:29]
	v_mul_f64_e32 v[28:29], v[4:5], v[28:29]
	v_add_f64_e32 v[18:19], v[18:19], v[22:23]
	v_add_f64_e32 v[22:23], v[24:25], v[123:124]
	s_delay_alu instid0(VALU_DEP_4) | instskip(NEXT) | instid1(VALU_DEP_4)
	v_fma_f64 v[20:21], v[4:5], v[26:27], v[20:21]
	v_fma_f64 v[26:27], v[2:3], v[26:27], -v[28:29]
	ds_load_b128 v[2:5], v1 offset:1072
	s_wait_loadcnt_dscnt 0x500
	v_mul_f64_e32 v[24:25], v[2:3], v[113:114]
	v_mul_f64_e32 v[28:29], v[4:5], v[113:114]
	v_fma_f64 v[113:114], v[8:9], v[30:31], v[125:126]
	v_fma_f64 v[30:31], v[6:7], v[30:31], -v[32:33]
	ds_load_b128 v[6:9], v1 offset:1088
	v_add_f64_e32 v[20:21], v[22:23], v[20:21]
	v_add_f64_e32 v[18:19], v[18:19], v[26:27]
	v_fma_f64 v[24:25], v[4:5], v[111:112], v[24:25]
	v_fma_f64 v[28:29], v[2:3], v[111:112], -v[28:29]
	ds_load_b128 v[2:5], v1 offset:1104
	s_wait_loadcnt_dscnt 0x401
	v_mul_f64_e32 v[22:23], v[6:7], v[121:122]
	v_mul_f64_e32 v[26:27], v[8:9], v[121:122]
	v_add_f64_e32 v[20:21], v[20:21], v[113:114]
	v_add_f64_e32 v[18:19], v[18:19], v[30:31]
	s_wait_loadcnt_dscnt 0x300
	v_mul_f64_e32 v[30:31], v[2:3], v[36:37]
	v_mul_f64_e32 v[32:33], v[4:5], v[36:37]
	v_fma_f64 v[22:23], v[8:9], v[119:120], v[22:23]
	v_fma_f64 v[26:27], v[6:7], v[119:120], -v[26:27]
	ds_load_b128 v[6:9], v1 offset:1120
	v_add_f64_e32 v[20:21], v[20:21], v[24:25]
	v_add_f64_e32 v[18:19], v[18:19], v[28:29]
	v_fma_f64 v[30:31], v[4:5], v[34:35], v[30:31]
	v_fma_f64 v[32:33], v[2:3], v[34:35], -v[32:33]
	ds_load_b128 v[2:5], v1 offset:1136
	s_wait_loadcnt_dscnt 0x201
	v_mul_f64_e32 v[24:25], v[6:7], v[117:118]
	v_mul_f64_e32 v[28:29], v[8:9], v[117:118]
	v_add_f64_e32 v[20:21], v[20:21], v[22:23]
	v_add_f64_e32 v[18:19], v[18:19], v[26:27]
	s_wait_loadcnt_dscnt 0x100
	v_mul_f64_e32 v[22:23], v[2:3], v[12:13]
	v_mul_f64_e32 v[12:13], v[4:5], v[12:13]
	v_fma_f64 v[8:9], v[8:9], v[115:116], v[24:25]
	v_fma_f64 v[6:7], v[6:7], v[115:116], -v[28:29]
	v_add_f64_e32 v[20:21], v[20:21], v[30:31]
	v_add_f64_e32 v[18:19], v[18:19], v[32:33]
	v_fma_f64 v[4:5], v[4:5], v[10:11], v[22:23]
	v_fma_f64 v[2:3], v[2:3], v[10:11], -v[12:13]
	s_delay_alu instid0(VALU_DEP_4) | instskip(NEXT) | instid1(VALU_DEP_4)
	v_add_f64_e32 v[8:9], v[20:21], v[8:9]
	v_add_f64_e32 v[6:7], v[18:19], v[6:7]
	s_delay_alu instid0(VALU_DEP_2) | instskip(NEXT) | instid1(VALU_DEP_2)
	v_add_f64_e32 v[4:5], v[8:9], v[4:5]
	v_add_f64_e32 v[2:3], v[6:7], v[2:3]
	s_wait_loadcnt 0x0
	s_delay_alu instid0(VALU_DEP_2) | instskip(NEXT) | instid1(VALU_DEP_2)
	v_add_f64_e64 v[4:5], v[16:17], -v[4:5]
	v_add_f64_e64 v[2:3], v[14:15], -v[2:3]
	scratch_store_b128 off, v[2:5], off offset:48
	v_cmpx_lt_u32_e32 1, v0
	s_cbranch_execz .LBB35_227
; %bb.226:
	scratch_load_b128 v[5:8], off, s34
	v_dual_mov_b32 v2, v1 :: v_dual_mov_b32 v3, v1
	v_mov_b32_e32 v4, v1
	scratch_store_b128 off, v[1:4], off offset:32
	s_wait_loadcnt 0x0
	ds_store_b128 v110, v[5:8]
.LBB35_227:
	s_wait_alu 0xfffe
	s_or_b32 exec_lo, exec_lo, s0
	s_wait_storecnt_dscnt 0x0
	s_barrier_signal -1
	s_barrier_wait -1
	global_inv scope:SCOPE_SE
	s_clause 0x7
	scratch_load_b128 v[2:5], off, off offset:48
	scratch_load_b128 v[6:9], off, off offset:64
	;; [unrolled: 1-line block ×8, first 2 shown]
	ds_load_b128 v[111:114], v1 offset:608
	ds_load_b128 v[115:118], v1 offset:624
	s_clause 0x1
	scratch_load_b128 v[34:37], off, off offset:176
	scratch_load_b128 v[119:122], off, off offset:192
	s_mov_b32 s0, exec_lo
	s_wait_loadcnt_dscnt 0x901
	v_mul_f64_e32 v[123:124], v[113:114], v[4:5]
	v_mul_f64_e32 v[4:5], v[111:112], v[4:5]
	s_wait_loadcnt_dscnt 0x800
	v_mul_f64_e32 v[125:126], v[115:116], v[8:9]
	v_mul_f64_e32 v[8:9], v[117:118], v[8:9]
	s_delay_alu instid0(VALU_DEP_4) | instskip(NEXT) | instid1(VALU_DEP_4)
	v_fma_f64 v[123:124], v[111:112], v[2:3], -v[123:124]
	v_fma_f64 v[127:128], v[113:114], v[2:3], v[4:5]
	ds_load_b128 v[2:5], v1 offset:640
	scratch_load_b128 v[111:114], off, off offset:208
	v_fma_f64 v[125:126], v[117:118], v[6:7], v[125:126]
	v_fma_f64 v[131:132], v[115:116], v[6:7], -v[8:9]
	ds_load_b128 v[6:9], v1 offset:656
	scratch_load_b128 v[115:118], off, off offset:224
	s_wait_loadcnt_dscnt 0x901
	v_mul_f64_e32 v[129:130], v[2:3], v[12:13]
	v_mul_f64_e32 v[12:13], v[4:5], v[12:13]
	s_wait_loadcnt_dscnt 0x800
	v_mul_f64_e32 v[133:134], v[6:7], v[16:17]
	v_mul_f64_e32 v[16:17], v[8:9], v[16:17]
	v_add_f64_e32 v[123:124], 0, v[123:124]
	v_add_f64_e32 v[127:128], 0, v[127:128]
	v_fma_f64 v[129:130], v[4:5], v[10:11], v[129:130]
	v_fma_f64 v[135:136], v[2:3], v[10:11], -v[12:13]
	ds_load_b128 v[2:5], v1 offset:672
	scratch_load_b128 v[10:13], off, off offset:240
	v_add_f64_e32 v[123:124], v[123:124], v[131:132]
	v_add_f64_e32 v[125:126], v[127:128], v[125:126]
	v_fma_f64 v[131:132], v[8:9], v[14:15], v[133:134]
	v_fma_f64 v[133:134], v[6:7], v[14:15], -v[16:17]
	ds_load_b128 v[6:9], v1 offset:688
	scratch_load_b128 v[14:17], off, off offset:256
	s_wait_loadcnt_dscnt 0x901
	v_mul_f64_e32 v[127:128], v[2:3], v[20:21]
	v_mul_f64_e32 v[20:21], v[4:5], v[20:21]
	v_add_f64_e32 v[123:124], v[123:124], v[135:136]
	v_add_f64_e32 v[125:126], v[125:126], v[129:130]
	s_wait_loadcnt_dscnt 0x800
	v_mul_f64_e32 v[129:130], v[6:7], v[24:25]
	v_mul_f64_e32 v[24:25], v[8:9], v[24:25]
	v_fma_f64 v[127:128], v[4:5], v[18:19], v[127:128]
	v_fma_f64 v[135:136], v[2:3], v[18:19], -v[20:21]
	ds_load_b128 v[2:5], v1 offset:704
	scratch_load_b128 v[18:21], off, off offset:272
	v_add_f64_e32 v[123:124], v[123:124], v[133:134]
	v_add_f64_e32 v[125:126], v[125:126], v[131:132]
	v_fma_f64 v[129:130], v[8:9], v[22:23], v[129:130]
	v_fma_f64 v[133:134], v[6:7], v[22:23], -v[24:25]
	ds_load_b128 v[6:9], v1 offset:720
	s_wait_loadcnt_dscnt 0x801
	v_mul_f64_e32 v[131:132], v[2:3], v[28:29]
	v_mul_f64_e32 v[28:29], v[4:5], v[28:29]
	scratch_load_b128 v[22:25], off, off offset:288
	v_add_f64_e32 v[123:124], v[123:124], v[135:136]
	v_add_f64_e32 v[125:126], v[125:126], v[127:128]
	s_wait_loadcnt_dscnt 0x800
	v_mul_f64_e32 v[127:128], v[6:7], v[32:33]
	v_mul_f64_e32 v[32:33], v[8:9], v[32:33]
	v_fma_f64 v[131:132], v[4:5], v[26:27], v[131:132]
	v_fma_f64 v[135:136], v[2:3], v[26:27], -v[28:29]
	ds_load_b128 v[2:5], v1 offset:736
	scratch_load_b128 v[26:29], off, off offset:304
	v_add_f64_e32 v[123:124], v[123:124], v[133:134]
	v_add_f64_e32 v[125:126], v[125:126], v[129:130]
	v_fma_f64 v[127:128], v[8:9], v[30:31], v[127:128]
	v_fma_f64 v[133:134], v[6:7], v[30:31], -v[32:33]
	ds_load_b128 v[6:9], v1 offset:752
	s_wait_loadcnt_dscnt 0x801
	v_mul_f64_e32 v[129:130], v[2:3], v[36:37]
	v_mul_f64_e32 v[36:37], v[4:5], v[36:37]
	scratch_load_b128 v[30:33], off, off offset:320
	v_add_f64_e32 v[123:124], v[123:124], v[135:136]
	v_add_f64_e32 v[125:126], v[125:126], v[131:132]
	s_wait_loadcnt_dscnt 0x800
	v_mul_f64_e32 v[131:132], v[6:7], v[121:122]
	v_mul_f64_e32 v[121:122], v[8:9], v[121:122]
	v_fma_f64 v[129:130], v[4:5], v[34:35], v[129:130]
	v_fma_f64 v[135:136], v[2:3], v[34:35], -v[36:37]
	ds_load_b128 v[2:5], v1 offset:768
	scratch_load_b128 v[34:37], off, off offset:336
	v_add_f64_e32 v[123:124], v[123:124], v[133:134]
	v_add_f64_e32 v[125:126], v[125:126], v[127:128]
	v_fma_f64 v[131:132], v[8:9], v[119:120], v[131:132]
	v_fma_f64 v[133:134], v[6:7], v[119:120], -v[121:122]
	ds_load_b128 v[6:9], v1 offset:784
	scratch_load_b128 v[119:122], off, off offset:352
	s_wait_loadcnt_dscnt 0x901
	v_mul_f64_e32 v[127:128], v[2:3], v[113:114]
	v_mul_f64_e32 v[113:114], v[4:5], v[113:114]
	v_add_f64_e32 v[123:124], v[123:124], v[135:136]
	v_add_f64_e32 v[125:126], v[125:126], v[129:130]
	s_wait_loadcnt_dscnt 0x800
	v_mul_f64_e32 v[129:130], v[6:7], v[117:118]
	v_mul_f64_e32 v[117:118], v[8:9], v[117:118]
	v_fma_f64 v[127:128], v[4:5], v[111:112], v[127:128]
	v_fma_f64 v[135:136], v[2:3], v[111:112], -v[113:114]
	ds_load_b128 v[2:5], v1 offset:800
	scratch_load_b128 v[111:114], off, off offset:368
	v_add_f64_e32 v[123:124], v[123:124], v[133:134]
	v_add_f64_e32 v[125:126], v[125:126], v[131:132]
	v_fma_f64 v[129:130], v[8:9], v[115:116], v[129:130]
	v_fma_f64 v[133:134], v[6:7], v[115:116], -v[117:118]
	ds_load_b128 v[6:9], v1 offset:816
	s_wait_loadcnt_dscnt 0x801
	v_mul_f64_e32 v[131:132], v[2:3], v[12:13]
	v_mul_f64_e32 v[12:13], v[4:5], v[12:13]
	scratch_load_b128 v[115:118], off, off offset:384
	v_add_f64_e32 v[123:124], v[123:124], v[135:136]
	v_add_f64_e32 v[125:126], v[125:126], v[127:128]
	s_wait_loadcnt_dscnt 0x800
	v_mul_f64_e32 v[127:128], v[6:7], v[16:17]
	v_mul_f64_e32 v[16:17], v[8:9], v[16:17]
	v_fma_f64 v[131:132], v[4:5], v[10:11], v[131:132]
	v_fma_f64 v[135:136], v[2:3], v[10:11], -v[12:13]
	ds_load_b128 v[2:5], v1 offset:832
	scratch_load_b128 v[10:13], off, off offset:400
	v_add_f64_e32 v[123:124], v[123:124], v[133:134]
	v_add_f64_e32 v[125:126], v[125:126], v[129:130]
	v_fma_f64 v[127:128], v[8:9], v[14:15], v[127:128]
	v_fma_f64 v[133:134], v[6:7], v[14:15], -v[16:17]
	ds_load_b128 v[6:9], v1 offset:848
	s_wait_loadcnt_dscnt 0x801
	v_mul_f64_e32 v[129:130], v[2:3], v[20:21]
	v_mul_f64_e32 v[20:21], v[4:5], v[20:21]
	scratch_load_b128 v[14:17], off, off offset:416
	;; [unrolled: 18-line block ×7, first 2 shown]
	v_add_f64_e32 v[123:124], v[123:124], v[135:136]
	v_add_f64_e32 v[125:126], v[125:126], v[127:128]
	s_wait_loadcnt_dscnt 0x800
	v_mul_f64_e32 v[127:128], v[6:7], v[24:25]
	v_mul_f64_e32 v[24:25], v[8:9], v[24:25]
	v_fma_f64 v[131:132], v[4:5], v[18:19], v[131:132]
	v_fma_f64 v[18:19], v[2:3], v[18:19], -v[20:21]
	ds_load_b128 v[2:5], v1 offset:1024
	v_add_f64_e32 v[20:21], v[123:124], v[133:134]
	v_add_f64_e32 v[123:124], v[125:126], v[129:130]
	v_fma_f64 v[127:128], v[8:9], v[22:23], v[127:128]
	v_fma_f64 v[22:23], v[6:7], v[22:23], -v[24:25]
	ds_load_b128 v[6:9], v1 offset:1040
	s_wait_loadcnt_dscnt 0x701
	v_mul_f64_e32 v[125:126], v[2:3], v[28:29]
	v_mul_f64_e32 v[28:29], v[4:5], v[28:29]
	v_add_f64_e32 v[18:19], v[20:21], v[18:19]
	v_add_f64_e32 v[20:21], v[123:124], v[131:132]
	s_delay_alu instid0(VALU_DEP_4) | instskip(NEXT) | instid1(VALU_DEP_4)
	v_fma_f64 v[123:124], v[4:5], v[26:27], v[125:126]
	v_fma_f64 v[26:27], v[2:3], v[26:27], -v[28:29]
	ds_load_b128 v[2:5], v1 offset:1056
	v_add_f64_e32 v[22:23], v[18:19], v[22:23]
	v_add_f64_e32 v[28:29], v[20:21], v[127:128]
	scratch_load_b128 v[18:21], off, off offset:32
	s_wait_loadcnt_dscnt 0x701
	v_mul_f64_e32 v[24:25], v[6:7], v[32:33]
	v_mul_f64_e32 v[32:33], v[8:9], v[32:33]
	v_add_f64_e32 v[22:23], v[22:23], v[26:27]
	v_add_f64_e32 v[26:27], v[28:29], v[123:124]
	s_delay_alu instid0(VALU_DEP_4) | instskip(NEXT) | instid1(VALU_DEP_4)
	v_fma_f64 v[24:25], v[8:9], v[30:31], v[24:25]
	v_fma_f64 v[30:31], v[6:7], v[30:31], -v[32:33]
	ds_load_b128 v[6:9], v1 offset:1072
	s_wait_loadcnt_dscnt 0x601
	v_mul_f64_e32 v[125:126], v[2:3], v[36:37]
	v_mul_f64_e32 v[36:37], v[4:5], v[36:37]
	s_wait_loadcnt_dscnt 0x500
	v_mul_f64_e32 v[28:29], v[6:7], v[121:122]
	v_mul_f64_e32 v[32:33], v[8:9], v[121:122]
	v_add_f64_e32 v[24:25], v[26:27], v[24:25]
	v_add_f64_e32 v[22:23], v[22:23], v[30:31]
	v_fma_f64 v[121:122], v[4:5], v[34:35], v[125:126]
	v_fma_f64 v[34:35], v[2:3], v[34:35], -v[36:37]
	ds_load_b128 v[2:5], v1 offset:1088
	v_fma_f64 v[28:29], v[8:9], v[119:120], v[28:29]
	v_fma_f64 v[32:33], v[6:7], v[119:120], -v[32:33]
	ds_load_b128 v[6:9], v1 offset:1104
	s_wait_loadcnt_dscnt 0x401
	v_mul_f64_e32 v[26:27], v[2:3], v[113:114]
	v_mul_f64_e32 v[30:31], v[4:5], v[113:114]
	v_add_f64_e32 v[24:25], v[24:25], v[121:122]
	v_add_f64_e32 v[22:23], v[22:23], v[34:35]
	s_wait_loadcnt_dscnt 0x300
	v_mul_f64_e32 v[34:35], v[6:7], v[117:118]
	v_mul_f64_e32 v[36:37], v[8:9], v[117:118]
	v_fma_f64 v[26:27], v[4:5], v[111:112], v[26:27]
	v_fma_f64 v[30:31], v[2:3], v[111:112], -v[30:31]
	ds_load_b128 v[2:5], v1 offset:1120
	v_add_f64_e32 v[24:25], v[24:25], v[28:29]
	v_add_f64_e32 v[22:23], v[22:23], v[32:33]
	v_fma_f64 v[32:33], v[8:9], v[115:116], v[34:35]
	v_fma_f64 v[34:35], v[6:7], v[115:116], -v[36:37]
	ds_load_b128 v[6:9], v1 offset:1136
	s_wait_loadcnt_dscnt 0x201
	v_mul_f64_e32 v[28:29], v[2:3], v[12:13]
	v_mul_f64_e32 v[12:13], v[4:5], v[12:13]
	v_add_f64_e32 v[24:25], v[24:25], v[26:27]
	v_add_f64_e32 v[22:23], v[22:23], v[30:31]
	s_wait_loadcnt_dscnt 0x100
	v_mul_f64_e32 v[26:27], v[6:7], v[16:17]
	v_mul_f64_e32 v[16:17], v[8:9], v[16:17]
	v_fma_f64 v[4:5], v[4:5], v[10:11], v[28:29]
	v_fma_f64 v[1:2], v[2:3], v[10:11], -v[12:13]
	v_add_f64_e32 v[12:13], v[24:25], v[32:33]
	v_add_f64_e32 v[10:11], v[22:23], v[34:35]
	v_fma_f64 v[8:9], v[8:9], v[14:15], v[26:27]
	v_fma_f64 v[6:7], v[6:7], v[14:15], -v[16:17]
	s_delay_alu instid0(VALU_DEP_4) | instskip(NEXT) | instid1(VALU_DEP_4)
	v_add_f64_e32 v[3:4], v[12:13], v[4:5]
	v_add_f64_e32 v[1:2], v[10:11], v[1:2]
	s_delay_alu instid0(VALU_DEP_2) | instskip(NEXT) | instid1(VALU_DEP_2)
	v_add_f64_e32 v[3:4], v[3:4], v[8:9]
	v_add_f64_e32 v[1:2], v[1:2], v[6:7]
	s_wait_loadcnt 0x0
	s_delay_alu instid0(VALU_DEP_2) | instskip(NEXT) | instid1(VALU_DEP_2)
	v_add_f64_e64 v[3:4], v[20:21], -v[3:4]
	v_add_f64_e64 v[1:2], v[18:19], -v[1:2]
	scratch_store_b128 off, v[1:4], off offset:32
	v_cmpx_ne_u32_e32 0, v0
	s_cbranch_execz .LBB35_229
; %bb.228:
	scratch_load_b128 v[0:3], off, off offset:16
	v_mov_b32_e32 v4, 0
	s_delay_alu instid0(VALU_DEP_1)
	v_dual_mov_b32 v5, v4 :: v_dual_mov_b32 v6, v4
	v_mov_b32_e32 v7, v4
	scratch_store_b128 off, v[4:7], off offset:16
	s_wait_loadcnt 0x0
	ds_store_b128 v110, v[0:3]
.LBB35_229:
	s_wait_alu 0xfffe
	s_or_b32 exec_lo, exec_lo, s0
	s_wait_storecnt_dscnt 0x0
	s_barrier_signal -1
	s_barrier_wait -1
	global_inv scope:SCOPE_SE
	s_clause 0x7
	scratch_load_b128 v[0:3], off, off offset:32
	scratch_load_b128 v[4:7], off, off offset:48
	;; [unrolled: 1-line block ×8, first 2 shown]
	v_mov_b32_e32 v36, 0
	s_and_b32 vcc_lo, exec_lo, s18
	ds_load_b128 v[110:113], v36 offset:592
	s_clause 0x1
	scratch_load_b128 v[32:35], off, off offset:160
	scratch_load_b128 v[114:117], off, off offset:16
	ds_load_b128 v[118:121], v36 offset:608
	scratch_load_b128 v[122:125], off, off offset:176
	s_wait_loadcnt_dscnt 0xa01
	v_mul_f64_e32 v[126:127], v[112:113], v[2:3]
	v_mul_f64_e32 v[2:3], v[110:111], v[2:3]
	s_delay_alu instid0(VALU_DEP_2) | instskip(NEXT) | instid1(VALU_DEP_2)
	v_fma_f64 v[132:133], v[110:111], v[0:1], -v[126:127]
	v_fma_f64 v[134:135], v[112:113], v[0:1], v[2:3]
	ds_load_b128 v[0:3], v36 offset:624
	s_wait_loadcnt_dscnt 0x901
	v_mul_f64_e32 v[130:131], v[118:119], v[6:7]
	v_mul_f64_e32 v[6:7], v[120:121], v[6:7]
	scratch_load_b128 v[110:113], off, off offset:192
	ds_load_b128 v[126:129], v36 offset:640
	s_wait_loadcnt_dscnt 0x901
	v_mul_f64_e32 v[136:137], v[0:1], v[10:11]
	v_mul_f64_e32 v[10:11], v[2:3], v[10:11]
	v_fma_f64 v[120:121], v[120:121], v[4:5], v[130:131]
	v_fma_f64 v[118:119], v[118:119], v[4:5], -v[6:7]
	v_add_f64_e32 v[130:131], 0, v[132:133]
	v_add_f64_e32 v[132:133], 0, v[134:135]
	scratch_load_b128 v[4:7], off, off offset:208
	v_fma_f64 v[136:137], v[2:3], v[8:9], v[136:137]
	v_fma_f64 v[138:139], v[0:1], v[8:9], -v[10:11]
	ds_load_b128 v[0:3], v36 offset:656
	s_wait_loadcnt_dscnt 0x901
	v_mul_f64_e32 v[134:135], v[126:127], v[14:15]
	v_mul_f64_e32 v[14:15], v[128:129], v[14:15]
	scratch_load_b128 v[8:11], off, off offset:224
	v_add_f64_e32 v[130:131], v[130:131], v[118:119]
	v_add_f64_e32 v[132:133], v[132:133], v[120:121]
	s_wait_loadcnt_dscnt 0x900
	v_mul_f64_e32 v[140:141], v[0:1], v[18:19]
	v_mul_f64_e32 v[18:19], v[2:3], v[18:19]
	ds_load_b128 v[118:121], v36 offset:672
	v_fma_f64 v[128:129], v[128:129], v[12:13], v[134:135]
	v_fma_f64 v[126:127], v[126:127], v[12:13], -v[14:15]
	scratch_load_b128 v[12:15], off, off offset:240
	v_add_f64_e32 v[130:131], v[130:131], v[138:139]
	v_add_f64_e32 v[132:133], v[132:133], v[136:137]
	v_fma_f64 v[136:137], v[2:3], v[16:17], v[140:141]
	v_fma_f64 v[138:139], v[0:1], v[16:17], -v[18:19]
	ds_load_b128 v[0:3], v36 offset:688
	s_wait_loadcnt_dscnt 0x901
	v_mul_f64_e32 v[134:135], v[118:119], v[22:23]
	v_mul_f64_e32 v[22:23], v[120:121], v[22:23]
	scratch_load_b128 v[16:19], off, off offset:256
	s_wait_loadcnt_dscnt 0x900
	v_mul_f64_e32 v[140:141], v[0:1], v[26:27]
	v_mul_f64_e32 v[26:27], v[2:3], v[26:27]
	v_add_f64_e32 v[130:131], v[130:131], v[126:127]
	v_add_f64_e32 v[132:133], v[132:133], v[128:129]
	ds_load_b128 v[126:129], v36 offset:704
	v_fma_f64 v[120:121], v[120:121], v[20:21], v[134:135]
	v_fma_f64 v[118:119], v[118:119], v[20:21], -v[22:23]
	scratch_load_b128 v[20:23], off, off offset:272
	v_add_f64_e32 v[130:131], v[130:131], v[138:139]
	v_add_f64_e32 v[132:133], v[132:133], v[136:137]
	v_fma_f64 v[136:137], v[2:3], v[24:25], v[140:141]
	v_fma_f64 v[138:139], v[0:1], v[24:25], -v[26:27]
	ds_load_b128 v[0:3], v36 offset:720
	s_wait_loadcnt_dscnt 0x901
	v_mul_f64_e32 v[134:135], v[126:127], v[30:31]
	v_mul_f64_e32 v[30:31], v[128:129], v[30:31]
	scratch_load_b128 v[24:27], off, off offset:288
	s_wait_loadcnt_dscnt 0x900
	v_mul_f64_e32 v[140:141], v[0:1], v[34:35]
	v_mul_f64_e32 v[34:35], v[2:3], v[34:35]
	v_add_f64_e32 v[130:131], v[130:131], v[118:119]
	v_add_f64_e32 v[132:133], v[132:133], v[120:121]
	ds_load_b128 v[118:121], v36 offset:736
	v_fma_f64 v[128:129], v[128:129], v[28:29], v[134:135]
	v_fma_f64 v[126:127], v[126:127], v[28:29], -v[30:31]
	scratch_load_b128 v[28:31], off, off offset:304
	v_add_f64_e32 v[130:131], v[130:131], v[138:139]
	v_add_f64_e32 v[132:133], v[132:133], v[136:137]
	v_fma_f64 v[138:139], v[2:3], v[32:33], v[140:141]
	v_fma_f64 v[140:141], v[0:1], v[32:33], -v[34:35]
	ds_load_b128 v[0:3], v36 offset:752
	s_wait_loadcnt_dscnt 0x801
	v_mul_f64_e32 v[134:135], v[118:119], v[124:125]
	v_mul_f64_e32 v[136:137], v[120:121], v[124:125]
	scratch_load_b128 v[32:35], off, off offset:320
	v_add_f64_e32 v[130:131], v[130:131], v[126:127]
	v_add_f64_e32 v[128:129], v[132:133], v[128:129]
	ds_load_b128 v[124:127], v36 offset:768
	v_fma_f64 v[134:135], v[120:121], v[122:123], v[134:135]
	v_fma_f64 v[122:123], v[118:119], v[122:123], -v[136:137]
	scratch_load_b128 v[118:121], off, off offset:336
	s_wait_loadcnt_dscnt 0x901
	v_mul_f64_e32 v[132:133], v[0:1], v[112:113]
	v_mul_f64_e32 v[112:113], v[2:3], v[112:113]
	v_add_f64_e32 v[130:131], v[130:131], v[140:141]
	v_add_f64_e32 v[128:129], v[128:129], v[138:139]
	s_delay_alu instid0(VALU_DEP_4) | instskip(NEXT) | instid1(VALU_DEP_4)
	v_fma_f64 v[132:133], v[2:3], v[110:111], v[132:133]
	v_fma_f64 v[138:139], v[0:1], v[110:111], -v[112:113]
	ds_load_b128 v[0:3], v36 offset:784
	s_wait_loadcnt_dscnt 0x801
	v_mul_f64_e32 v[136:137], v[124:125], v[6:7]
	v_mul_f64_e32 v[6:7], v[126:127], v[6:7]
	scratch_load_b128 v[110:113], off, off offset:352
	s_wait_loadcnt_dscnt 0x800
	v_mul_f64_e32 v[140:141], v[0:1], v[10:11]
	v_add_f64_e32 v[122:123], v[130:131], v[122:123]
	v_add_f64_e32 v[134:135], v[128:129], v[134:135]
	v_mul_f64_e32 v[10:11], v[2:3], v[10:11]
	ds_load_b128 v[128:131], v36 offset:800
	v_fma_f64 v[126:127], v[126:127], v[4:5], v[136:137]
	v_fma_f64 v[124:125], v[124:125], v[4:5], -v[6:7]
	scratch_load_b128 v[4:7], off, off offset:368
	v_fma_f64 v[136:137], v[2:3], v[8:9], v[140:141]
	v_add_f64_e32 v[122:123], v[122:123], v[138:139]
	v_add_f64_e32 v[132:133], v[134:135], v[132:133]
	v_fma_f64 v[138:139], v[0:1], v[8:9], -v[10:11]
	ds_load_b128 v[0:3], v36 offset:816
	s_wait_loadcnt_dscnt 0x801
	v_mul_f64_e32 v[134:135], v[128:129], v[14:15]
	v_mul_f64_e32 v[14:15], v[130:131], v[14:15]
	scratch_load_b128 v[8:11], off, off offset:384
	v_add_f64_e32 v[140:141], v[122:123], v[124:125]
	v_add_f64_e32 v[126:127], v[132:133], v[126:127]
	s_wait_loadcnt_dscnt 0x800
	v_mul_f64_e32 v[132:133], v[0:1], v[18:19]
	v_mul_f64_e32 v[18:19], v[2:3], v[18:19]
	v_fma_f64 v[130:131], v[130:131], v[12:13], v[134:135]
	v_fma_f64 v[128:129], v[128:129], v[12:13], -v[14:15]
	ds_load_b128 v[122:125], v36 offset:832
	scratch_load_b128 v[12:15], off, off offset:400
	v_add_f64_e32 v[134:135], v[140:141], v[138:139]
	v_add_f64_e32 v[126:127], v[126:127], v[136:137]
	v_fma_f64 v[132:133], v[2:3], v[16:17], v[132:133]
	v_fma_f64 v[138:139], v[0:1], v[16:17], -v[18:19]
	ds_load_b128 v[0:3], v36 offset:848
	s_wait_loadcnt_dscnt 0x801
	v_mul_f64_e32 v[136:137], v[122:123], v[22:23]
	v_mul_f64_e32 v[22:23], v[124:125], v[22:23]
	scratch_load_b128 v[16:19], off, off offset:416
	s_wait_loadcnt_dscnt 0x800
	v_mul_f64_e32 v[140:141], v[0:1], v[26:27]
	v_mul_f64_e32 v[26:27], v[2:3], v[26:27]
	v_add_f64_e32 v[134:135], v[134:135], v[128:129]
	v_add_f64_e32 v[130:131], v[126:127], v[130:131]
	ds_load_b128 v[126:129], v36 offset:864
	v_fma_f64 v[124:125], v[124:125], v[20:21], v[136:137]
	v_fma_f64 v[122:123], v[122:123], v[20:21], -v[22:23]
	scratch_load_b128 v[20:23], off, off offset:432
	v_fma_f64 v[136:137], v[2:3], v[24:25], v[140:141]
	v_add_f64_e32 v[134:135], v[134:135], v[138:139]
	v_add_f64_e32 v[130:131], v[130:131], v[132:133]
	v_fma_f64 v[138:139], v[0:1], v[24:25], -v[26:27]
	ds_load_b128 v[0:3], v36 offset:880
	s_wait_loadcnt_dscnt 0x801
	v_mul_f64_e32 v[132:133], v[126:127], v[30:31]
	v_mul_f64_e32 v[30:31], v[128:129], v[30:31]
	scratch_load_b128 v[24:27], off, off offset:448
	s_wait_loadcnt_dscnt 0x800
	v_mul_f64_e32 v[140:141], v[0:1], v[34:35]
	v_mul_f64_e32 v[34:35], v[2:3], v[34:35]
	v_add_f64_e32 v[134:135], v[134:135], v[122:123]
	v_add_f64_e32 v[130:131], v[130:131], v[124:125]
	ds_load_b128 v[122:125], v36 offset:896
	v_fma_f64 v[128:129], v[128:129], v[28:29], v[132:133]
	v_fma_f64 v[126:127], v[126:127], v[28:29], -v[30:31]
	scratch_load_b128 v[28:31], off, off offset:464
	v_add_f64_e32 v[132:133], v[134:135], v[138:139]
	v_add_f64_e32 v[130:131], v[130:131], v[136:137]
	v_fma_f64 v[136:137], v[2:3], v[32:33], v[140:141]
	v_fma_f64 v[138:139], v[0:1], v[32:33], -v[34:35]
	ds_load_b128 v[0:3], v36 offset:912
	s_wait_loadcnt_dscnt 0x801
	v_mul_f64_e32 v[134:135], v[122:123], v[120:121]
	v_mul_f64_e32 v[120:121], v[124:125], v[120:121]
	scratch_load_b128 v[32:35], off, off offset:480
	s_wait_loadcnt_dscnt 0x800
	v_mul_f64_e32 v[140:141], v[0:1], v[112:113]
	v_mul_f64_e32 v[112:113], v[2:3], v[112:113]
	v_add_f64_e32 v[132:133], v[132:133], v[126:127]
	v_add_f64_e32 v[130:131], v[130:131], v[128:129]
	ds_load_b128 v[126:129], v36 offset:928
	v_fma_f64 v[124:125], v[124:125], v[118:119], v[134:135]
	v_fma_f64 v[122:123], v[122:123], v[118:119], -v[120:121]
	scratch_load_b128 v[118:121], off, off offset:496
	v_add_f64_e32 v[132:133], v[132:133], v[138:139]
	v_add_f64_e32 v[130:131], v[130:131], v[136:137]
	v_fma_f64 v[136:137], v[2:3], v[110:111], v[140:141]
	;; [unrolled: 18-line block ×4, first 2 shown]
	v_fma_f64 v[138:139], v[0:1], v[16:17], -v[18:19]
	ds_load_b128 v[0:3], v36 offset:1008
	s_wait_loadcnt_dscnt 0x801
	v_mul_f64_e32 v[134:135], v[126:127], v[22:23]
	v_mul_f64_e32 v[22:23], v[128:129], v[22:23]
	scratch_load_b128 v[16:19], off, off offset:576
	s_wait_loadcnt_dscnt 0x800
	v_mul_f64_e32 v[140:141], v[0:1], v[26:27]
	v_mul_f64_e32 v[26:27], v[2:3], v[26:27]
	v_add_f64_e32 v[132:133], v[132:133], v[122:123]
	v_add_f64_e32 v[130:131], v[130:131], v[124:125]
	ds_load_b128 v[122:125], v36 offset:1024
	v_fma_f64 v[128:129], v[128:129], v[20:21], v[134:135]
	v_fma_f64 v[20:21], v[126:127], v[20:21], -v[22:23]
	v_add_f64_e32 v[22:23], v[132:133], v[138:139]
	v_add_f64_e32 v[126:127], v[130:131], v[136:137]
	s_wait_loadcnt_dscnt 0x700
	v_mul_f64_e32 v[130:131], v[122:123], v[30:31]
	v_mul_f64_e32 v[30:31], v[124:125], v[30:31]
	v_fma_f64 v[132:133], v[2:3], v[24:25], v[140:141]
	v_fma_f64 v[24:25], v[0:1], v[24:25], -v[26:27]
	v_add_f64_e32 v[26:27], v[22:23], v[20:21]
	v_add_f64_e32 v[126:127], v[126:127], v[128:129]
	ds_load_b128 v[0:3], v36 offset:1040
	ds_load_b128 v[20:23], v36 offset:1056
	v_fma_f64 v[124:125], v[124:125], v[28:29], v[130:131]
	v_fma_f64 v[28:29], v[122:123], v[28:29], -v[30:31]
	s_wait_loadcnt_dscnt 0x601
	v_mul_f64_e32 v[128:129], v[0:1], v[34:35]
	v_mul_f64_e32 v[34:35], v[2:3], v[34:35]
	s_wait_loadcnt_dscnt 0x500
	v_mul_f64_e32 v[30:31], v[20:21], v[120:121]
	v_mul_f64_e32 v[120:121], v[22:23], v[120:121]
	v_add_f64_e32 v[24:25], v[26:27], v[24:25]
	v_add_f64_e32 v[26:27], v[126:127], v[132:133]
	v_fma_f64 v[122:123], v[2:3], v[32:33], v[128:129]
	v_fma_f64 v[32:33], v[0:1], v[32:33], -v[34:35]
	v_fma_f64 v[22:23], v[22:23], v[118:119], v[30:31]
	v_fma_f64 v[20:21], v[20:21], v[118:119], -v[120:121]
	v_add_f64_e32 v[28:29], v[24:25], v[28:29]
	v_add_f64_e32 v[34:35], v[26:27], v[124:125]
	ds_load_b128 v[0:3], v36 offset:1072
	ds_load_b128 v[24:27], v36 offset:1088
	s_wait_loadcnt_dscnt 0x401
	v_mul_f64_e32 v[124:125], v[0:1], v[112:113]
	v_mul_f64_e32 v[112:113], v[2:3], v[112:113]
	v_add_f64_e32 v[28:29], v[28:29], v[32:33]
	v_add_f64_e32 v[30:31], v[34:35], v[122:123]
	s_wait_loadcnt_dscnt 0x300
	v_mul_f64_e32 v[32:33], v[24:25], v[6:7]
	v_mul_f64_e32 v[6:7], v[26:27], v[6:7]
	v_fma_f64 v[34:35], v[2:3], v[110:111], v[124:125]
	v_fma_f64 v[110:111], v[0:1], v[110:111], -v[112:113]
	v_add_f64_e32 v[28:29], v[28:29], v[20:21]
	v_add_f64_e32 v[30:31], v[30:31], v[22:23]
	ds_load_b128 v[0:3], v36 offset:1104
	ds_load_b128 v[20:23], v36 offset:1120
	v_fma_f64 v[26:27], v[26:27], v[4:5], v[32:33]
	v_fma_f64 v[4:5], v[24:25], v[4:5], -v[6:7]
	s_wait_loadcnt_dscnt 0x201
	v_mul_f64_e32 v[112:113], v[0:1], v[10:11]
	v_mul_f64_e32 v[10:11], v[2:3], v[10:11]
	v_add_f64_e32 v[6:7], v[28:29], v[110:111]
	v_add_f64_e32 v[24:25], v[30:31], v[34:35]
	s_wait_loadcnt_dscnt 0x100
	v_mul_f64_e32 v[28:29], v[20:21], v[14:15]
	v_mul_f64_e32 v[14:15], v[22:23], v[14:15]
	v_fma_f64 v[30:31], v[2:3], v[8:9], v[112:113]
	v_fma_f64 v[8:9], v[0:1], v[8:9], -v[10:11]
	ds_load_b128 v[0:3], v36 offset:1136
	v_add_f64_e32 v[4:5], v[6:7], v[4:5]
	v_add_f64_e32 v[6:7], v[24:25], v[26:27]
	v_fma_f64 v[22:23], v[22:23], v[12:13], v[28:29]
	v_fma_f64 v[12:13], v[20:21], v[12:13], -v[14:15]
	s_wait_loadcnt_dscnt 0x0
	v_mul_f64_e32 v[10:11], v[0:1], v[18:19]
	v_mul_f64_e32 v[18:19], v[2:3], v[18:19]
	v_add_f64_e32 v[4:5], v[4:5], v[8:9]
	v_add_f64_e32 v[6:7], v[6:7], v[30:31]
	s_delay_alu instid0(VALU_DEP_4) | instskip(NEXT) | instid1(VALU_DEP_4)
	v_fma_f64 v[2:3], v[2:3], v[16:17], v[10:11]
	v_fma_f64 v[0:1], v[0:1], v[16:17], -v[18:19]
	s_delay_alu instid0(VALU_DEP_4) | instskip(NEXT) | instid1(VALU_DEP_4)
	v_add_f64_e32 v[4:5], v[4:5], v[12:13]
	v_add_f64_e32 v[6:7], v[6:7], v[22:23]
	s_delay_alu instid0(VALU_DEP_2) | instskip(NEXT) | instid1(VALU_DEP_2)
	v_add_f64_e32 v[0:1], v[4:5], v[0:1]
	v_add_f64_e32 v[2:3], v[6:7], v[2:3]
	s_delay_alu instid0(VALU_DEP_2) | instskip(NEXT) | instid1(VALU_DEP_2)
	v_add_f64_e64 v[0:1], v[114:115], -v[0:1]
	v_add_f64_e64 v[2:3], v[116:117], -v[2:3]
	scratch_store_b128 off, v[0:3], off offset:16
	s_wait_alu 0xfffe
	s_cbranch_vccz .LBB35_300
; %bb.230:
	global_load_b32 v0, v36, s[2:3] offset:136
	s_wait_loadcnt 0x0
	v_cmp_ne_u32_e32 vcc_lo, 35, v0
	s_cbranch_vccz .LBB35_232
; %bb.231:
	v_lshlrev_b32_e32 v0, 4, v0
	s_delay_alu instid0(VALU_DEP_1)
	v_add_nc_u32_e32 v8, 16, v0
	s_clause 0x1
	scratch_load_b128 v[0:3], v8, off offset:-16
	scratch_load_b128 v[4:7], off, s28
	s_wait_loadcnt 0x1
	scratch_store_b128 off, v[0:3], s28
	s_wait_loadcnt 0x0
	scratch_store_b128 v8, v[4:7], off offset:-16
.LBB35_232:
	v_mov_b32_e32 v0, 0
	global_load_b32 v1, v0, s[2:3] offset:132
	s_wait_loadcnt 0x0
	v_cmp_eq_u32_e32 vcc_lo, 34, v1
	s_cbranch_vccnz .LBB35_234
; %bb.233:
	v_lshlrev_b32_e32 v1, 4, v1
	s_delay_alu instid0(VALU_DEP_1)
	v_add_nc_u32_e32 v9, 16, v1
	s_clause 0x1
	scratch_load_b128 v[1:4], v9, off offset:-16
	scratch_load_b128 v[5:8], off, s25
	s_wait_loadcnt 0x1
	scratch_store_b128 off, v[1:4], s25
	s_wait_loadcnt 0x0
	scratch_store_b128 v9, v[5:8], off offset:-16
.LBB35_234:
	global_load_b32 v0, v0, s[2:3] offset:128
	s_wait_loadcnt 0x0
	v_cmp_eq_u32_e32 vcc_lo, 33, v0
	s_cbranch_vccnz .LBB35_236
; %bb.235:
	v_lshlrev_b32_e32 v0, 4, v0
	s_delay_alu instid0(VALU_DEP_1)
	v_add_nc_u32_e32 v8, 16, v0
	s_clause 0x1
	scratch_load_b128 v[0:3], v8, off offset:-16
	scratch_load_b128 v[4:7], off, s27
	s_wait_loadcnt 0x1
	scratch_store_b128 off, v[0:3], s27
	s_wait_loadcnt 0x0
	scratch_store_b128 v8, v[4:7], off offset:-16
.LBB35_236:
	v_mov_b32_e32 v0, 0
	global_load_b32 v1, v0, s[2:3] offset:124
	s_wait_loadcnt 0x0
	v_cmp_eq_u32_e32 vcc_lo, 32, v1
	s_cbranch_vccnz .LBB35_238
; %bb.237:
	v_lshlrev_b32_e32 v1, 4, v1
	s_delay_alu instid0(VALU_DEP_1)
	v_add_nc_u32_e32 v9, 16, v1
	s_clause 0x1
	scratch_load_b128 v[1:4], v9, off offset:-16
	scratch_load_b128 v[5:8], off, s23
	s_wait_loadcnt 0x1
	scratch_store_b128 off, v[1:4], s23
	s_wait_loadcnt 0x0
	scratch_store_b128 v9, v[5:8], off offset:-16
.LBB35_238:
	global_load_b32 v0, v0, s[2:3] offset:120
	s_wait_loadcnt 0x0
	v_cmp_eq_u32_e32 vcc_lo, 31, v0
	s_cbranch_vccnz .LBB35_240
; %bb.239:
	v_lshlrev_b32_e32 v0, 4, v0
	s_delay_alu instid0(VALU_DEP_1)
	v_add_nc_u32_e32 v8, 16, v0
	s_clause 0x1
	scratch_load_b128 v[0:3], v8, off offset:-16
	scratch_load_b128 v[4:7], off, s26
	s_wait_loadcnt 0x1
	scratch_store_b128 off, v[0:3], s26
	s_wait_loadcnt 0x0
	scratch_store_b128 v8, v[4:7], off offset:-16
.LBB35_240:
	;; [unrolled: 33-line block ×16, first 2 shown]
	v_mov_b32_e32 v0, 0
	global_load_b32 v1, v0, s[2:3] offset:4
	s_wait_loadcnt 0x0
	v_cmp_eq_u32_e32 vcc_lo, 2, v1
	s_cbranch_vccnz .LBB35_298
; %bb.297:
	v_lshlrev_b32_e32 v1, 4, v1
	s_delay_alu instid0(VALU_DEP_1)
	v_add_nc_u32_e32 v9, 16, v1
	s_clause 0x1
	scratch_load_b128 v[1:4], v9, off offset:-16
	scratch_load_b128 v[5:8], off, s34
	s_wait_loadcnt 0x1
	scratch_store_b128 off, v[1:4], s34
	s_wait_loadcnt 0x0
	scratch_store_b128 v9, v[5:8], off offset:-16
.LBB35_298:
	global_load_b32 v0, v0, s[2:3]
	s_wait_loadcnt 0x0
	v_cmp_eq_u32_e32 vcc_lo, 1, v0
	s_cbranch_vccnz .LBB35_300
; %bb.299:
	v_lshlrev_b32_e32 v0, 4, v0
	s_delay_alu instid0(VALU_DEP_1)
	v_add_nc_u32_e32 v8, 16, v0
	scratch_load_b128 v[0:3], v8, off offset:-16
	scratch_load_b128 v[4:7], off, off offset:16
	s_wait_loadcnt 0x1
	scratch_store_b128 off, v[0:3], off offset:16
	s_wait_loadcnt 0x0
	scratch_store_b128 v8, v[4:7], off offset:-16
.LBB35_300:
	scratch_load_b128 v[0:3], off, off offset:16
	s_clause 0xe
	scratch_load_b128 v[4:7], off, s34
	scratch_load_b128 v[8:11], off, s33
	;; [unrolled: 1-line block ×15, first 2 shown]
	s_wait_loadcnt 0xf
	global_store_b128 v[38:39], v[0:3], off
	s_clause 0x1
	scratch_load_b128 v[0:3], off, s20
	scratch_load_b128 v[36:39], off, s21
	s_wait_loadcnt 0x10
	global_store_b128 v[40:41], v[4:7], off
	s_clause 0x1
	scratch_load_b128 v[4:7], off, s15
	scratch_load_b128 v[138:141], off, s19
	s_wait_loadcnt 0x11
	global_store_b128 v[42:43], v[8:11], off
	s_wait_loadcnt 0x10
	global_store_b128 v[44:45], v[12:15], off
	s_clause 0x1
	scratch_load_b128 v[8:11], off, s13
	scratch_load_b128 v[12:15], off, s14
	s_wait_loadcnt 0x11
	global_store_b128 v[46:47], v[16:19], off
	s_clause 0x1
	scratch_load_b128 v[16:19], off, s11
	scratch_load_b128 v[40:43], off, s12
	s_wait_loadcnt 0x12
	global_store_b128 v[48:49], v[20:23], off
	s_clause 0x1
	scratch_load_b128 v[20:23], off, s9
	scratch_load_b128 v[44:47], off, s10
	s_wait_loadcnt 0x13
	global_store_b128 v[50:51], v[24:27], off
	s_wait_loadcnt 0x12
	global_store_b128 v[52:53], v[28:31], off
	s_clause 0x1
	scratch_load_b128 v[24:27], off, s5
	scratch_load_b128 v[28:31], off, s8
	;; [unrolled: 17-line block ×3, first 2 shown]
	s_wait_loadcnt 0x15
	global_store_b128 v[62:63], v[122:125], off
	s_clause 0x1
	scratch_load_b128 v[60:63], off, s25
	scratch_load_b128 v[118:121], off, s28
	s_wait_loadcnt 0x16
	global_store_b128 v[64:65], v[126:129], off
	s_wait_loadcnt 0x15
	global_store_b128 v[66:67], v[130:133], off
	s_wait_loadcnt 0x13
	global_store_b128 v[68:69], v[0:3], off
	s_wait_loadcnt 0x12
	global_store_b128 v[70:71], v[36:39], off
	s_wait_loadcnt 0x11
	global_store_b128 v[72:73], v[4:7], off
	s_wait_loadcnt 0x10
	global_store_b128 v[74:75], v[138:141], off
	s_wait_loadcnt 0xf
	global_store_b128 v[76:77], v[8:11], off
	s_wait_loadcnt 0xe
	global_store_b128 v[78:79], v[12:15], off
	s_wait_loadcnt 0xd
	global_store_b128 v[80:81], v[16:19], off
	s_wait_loadcnt 0xc
	global_store_b128 v[82:83], v[40:43], off
	s_wait_loadcnt 0xb
	global_store_b128 v[84:85], v[20:23], off
	s_wait_loadcnt 0xa
	global_store_b128 v[86:87], v[44:47], off
	s_wait_loadcnt 0x9
	global_store_b128 v[88:89], v[24:27], off
	s_wait_loadcnt 0x8
	global_store_b128 v[90:91], v[28:31], off
	s_wait_loadcnt 0x7
	global_store_b128 v[92:93], v[32:35], off
	s_wait_loadcnt 0x6
	global_store_b128 v[94:95], v[48:51], off
	s_wait_loadcnt 0x5
	global_store_b128 v[96:97], v[52:55], off
	s_wait_loadcnt 0x4
	global_store_b128 v[98:99], v[110:113], off
	s_wait_loadcnt 0x3
	global_store_b128 v[100:101], v[56:59], off
	s_wait_loadcnt 0x2
	global_store_b128 v[102:103], v[114:117], off
	s_wait_loadcnt 0x1
	global_store_b128 v[104:105], v[60:63], off
	s_wait_loadcnt 0x0
	s_clause 0x1
	global_store_b128 v[106:107], v[118:121], off
	global_store_b128 v[108:109], v[134:137], off
	s_nop 0
	s_sendmsg sendmsg(MSG_DEALLOC_VGPRS)
	s_endpgm
	.section	.rodata,"a",@progbits
	.p2align	6, 0x0
	.amdhsa_kernel _ZN9rocsolver6v33100L18getri_kernel_smallILi36E19rocblas_complex_numIdEPS3_EEvT1_iilPiilS6_bb
		.amdhsa_group_segment_fixed_size 1160
		.amdhsa_private_segment_fixed_size 608
		.amdhsa_kernarg_size 60
		.amdhsa_user_sgpr_count 2
		.amdhsa_user_sgpr_dispatch_ptr 0
		.amdhsa_user_sgpr_queue_ptr 0
		.amdhsa_user_sgpr_kernarg_segment_ptr 1
		.amdhsa_user_sgpr_dispatch_id 0
		.amdhsa_user_sgpr_private_segment_size 0
		.amdhsa_wavefront_size32 1
		.amdhsa_uses_dynamic_stack 0
		.amdhsa_enable_private_segment 1
		.amdhsa_system_sgpr_workgroup_id_x 1
		.amdhsa_system_sgpr_workgroup_id_y 0
		.amdhsa_system_sgpr_workgroup_id_z 0
		.amdhsa_system_sgpr_workgroup_info 0
		.amdhsa_system_vgpr_workitem_id 0
		.amdhsa_next_free_vgpr 148
		.amdhsa_next_free_sgpr 49
		.amdhsa_reserve_vcc 1
		.amdhsa_float_round_mode_32 0
		.amdhsa_float_round_mode_16_64 0
		.amdhsa_float_denorm_mode_32 3
		.amdhsa_float_denorm_mode_16_64 3
		.amdhsa_fp16_overflow 0
		.amdhsa_workgroup_processor_mode 1
		.amdhsa_memory_ordered 1
		.amdhsa_forward_progress 1
		.amdhsa_inst_pref_size 255
		.amdhsa_round_robin_scheduling 0
		.amdhsa_exception_fp_ieee_invalid_op 0
		.amdhsa_exception_fp_denorm_src 0
		.amdhsa_exception_fp_ieee_div_zero 0
		.amdhsa_exception_fp_ieee_overflow 0
		.amdhsa_exception_fp_ieee_underflow 0
		.amdhsa_exception_fp_ieee_inexact 0
		.amdhsa_exception_int_div_zero 0
	.end_amdhsa_kernel
	.section	.text._ZN9rocsolver6v33100L18getri_kernel_smallILi36E19rocblas_complex_numIdEPS3_EEvT1_iilPiilS6_bb,"axG",@progbits,_ZN9rocsolver6v33100L18getri_kernel_smallILi36E19rocblas_complex_numIdEPS3_EEvT1_iilPiilS6_bb,comdat
.Lfunc_end35:
	.size	_ZN9rocsolver6v33100L18getri_kernel_smallILi36E19rocblas_complex_numIdEPS3_EEvT1_iilPiilS6_bb, .Lfunc_end35-_ZN9rocsolver6v33100L18getri_kernel_smallILi36E19rocblas_complex_numIdEPS3_EEvT1_iilPiilS6_bb
                                        ; -- End function
	.set _ZN9rocsolver6v33100L18getri_kernel_smallILi36E19rocblas_complex_numIdEPS3_EEvT1_iilPiilS6_bb.num_vgpr, 148
	.set _ZN9rocsolver6v33100L18getri_kernel_smallILi36E19rocblas_complex_numIdEPS3_EEvT1_iilPiilS6_bb.num_agpr, 0
	.set _ZN9rocsolver6v33100L18getri_kernel_smallILi36E19rocblas_complex_numIdEPS3_EEvT1_iilPiilS6_bb.numbered_sgpr, 49
	.set _ZN9rocsolver6v33100L18getri_kernel_smallILi36E19rocblas_complex_numIdEPS3_EEvT1_iilPiilS6_bb.num_named_barrier, 0
	.set _ZN9rocsolver6v33100L18getri_kernel_smallILi36E19rocblas_complex_numIdEPS3_EEvT1_iilPiilS6_bb.private_seg_size, 608
	.set _ZN9rocsolver6v33100L18getri_kernel_smallILi36E19rocblas_complex_numIdEPS3_EEvT1_iilPiilS6_bb.uses_vcc, 1
	.set _ZN9rocsolver6v33100L18getri_kernel_smallILi36E19rocblas_complex_numIdEPS3_EEvT1_iilPiilS6_bb.uses_flat_scratch, 1
	.set _ZN9rocsolver6v33100L18getri_kernel_smallILi36E19rocblas_complex_numIdEPS3_EEvT1_iilPiilS6_bb.has_dyn_sized_stack, 0
	.set _ZN9rocsolver6v33100L18getri_kernel_smallILi36E19rocblas_complex_numIdEPS3_EEvT1_iilPiilS6_bb.has_recursion, 0
	.set _ZN9rocsolver6v33100L18getri_kernel_smallILi36E19rocblas_complex_numIdEPS3_EEvT1_iilPiilS6_bb.has_indirect_call, 0
	.section	.AMDGPU.csdata,"",@progbits
; Kernel info:
; codeLenInByte = 59640
; TotalNumSgprs: 51
; NumVgprs: 148
; ScratchSize: 608
; MemoryBound: 0
; FloatMode: 240
; IeeeMode: 1
; LDSByteSize: 1160 bytes/workgroup (compile time only)
; SGPRBlocks: 0
; VGPRBlocks: 18
; NumSGPRsForWavesPerEU: 51
; NumVGPRsForWavesPerEU: 148
; Occupancy: 9
; WaveLimiterHint : 1
; COMPUTE_PGM_RSRC2:SCRATCH_EN: 1
; COMPUTE_PGM_RSRC2:USER_SGPR: 2
; COMPUTE_PGM_RSRC2:TRAP_HANDLER: 0
; COMPUTE_PGM_RSRC2:TGID_X_EN: 1
; COMPUTE_PGM_RSRC2:TGID_Y_EN: 0
; COMPUTE_PGM_RSRC2:TGID_Z_EN: 0
; COMPUTE_PGM_RSRC2:TIDIG_COMP_CNT: 0
	.section	.text._ZN9rocsolver6v33100L18getri_kernel_smallILi37E19rocblas_complex_numIdEPS3_EEvT1_iilPiilS6_bb,"axG",@progbits,_ZN9rocsolver6v33100L18getri_kernel_smallILi37E19rocblas_complex_numIdEPS3_EEvT1_iilPiilS6_bb,comdat
	.globl	_ZN9rocsolver6v33100L18getri_kernel_smallILi37E19rocblas_complex_numIdEPS3_EEvT1_iilPiilS6_bb ; -- Begin function _ZN9rocsolver6v33100L18getri_kernel_smallILi37E19rocblas_complex_numIdEPS3_EEvT1_iilPiilS6_bb
	.p2align	8
	.type	_ZN9rocsolver6v33100L18getri_kernel_smallILi37E19rocblas_complex_numIdEPS3_EEvT1_iilPiilS6_bb,@function
_ZN9rocsolver6v33100L18getri_kernel_smallILi37E19rocblas_complex_numIdEPS3_EEvT1_iilPiilS6_bb: ; @_ZN9rocsolver6v33100L18getri_kernel_smallILi37E19rocblas_complex_numIdEPS3_EEvT1_iilPiilS6_bb
; %bb.0:
	s_mov_b32 s2, exec_lo
	v_cmpx_gt_u32_e32 37, v0
	s_cbranch_execz .LBB36_162
; %bb.1:
	s_clause 0x2
	s_load_b32 s2, s[0:1], 0x38
	s_load_b128 s[12:15], s[0:1], 0x10
	s_load_b128 s[4:7], s[0:1], 0x28
	s_mov_b32 s16, ttmp9
	s_wait_kmcnt 0x0
	s_bitcmp1_b32 s2, 8
	s_cselect_b32 s18, -1, 0
	s_bfe_u32 s2, s2, 0x10008
	s_ashr_i32 s17, ttmp9, 31
	s_cmp_eq_u32 s2, 0
                                        ; implicit-def: $sgpr2_sgpr3
	s_cbranch_scc1 .LBB36_3
; %bb.2:
	s_load_b32 s2, s[0:1], 0x20
	s_mul_u64 s[4:5], s[4:5], s[16:17]
	s_delay_alu instid0(SALU_CYCLE_1) | instskip(NEXT) | instid1(SALU_CYCLE_1)
	s_lshl_b64 s[4:5], s[4:5], 2
	s_add_nc_u64 s[4:5], s[14:15], s[4:5]
	s_wait_kmcnt 0x0
	s_ashr_i32 s3, s2, 31
	s_delay_alu instid0(SALU_CYCLE_1) | instskip(NEXT) | instid1(SALU_CYCLE_1)
	s_lshl_b64 s[2:3], s[2:3], 2
	s_add_nc_u64 s[2:3], s[4:5], s[2:3]
.LBB36_3:
	s_clause 0x1
	s_load_b128 s[8:11], s[0:1], 0x0
	s_load_b32 s46, s[0:1], 0x38
	s_mul_u64 s[0:1], s[12:13], s[16:17]
	v_lshlrev_b32_e32 v15, 4, v0
	s_lshl_b64 s[0:1], s[0:1], 4
	s_movk_i32 s12, 0xd0
	s_movk_i32 s13, 0xe0
	;; [unrolled: 1-line block ×15, first 2 shown]
	s_wait_kmcnt 0x0
	v_add3_u32 v1, s11, s11, v0
	s_ashr_i32 s5, s10, 31
	s_mov_b32 s4, s10
	s_add_nc_u64 s[0:1], s[8:9], s[0:1]
	s_lshl_b64 s[4:5], s[4:5], 4
	v_add_nc_u32_e32 v3, s11, v1
	v_ashrrev_i32_e32 v2, 31, v1
	s_add_nc_u64 s[0:1], s[0:1], s[4:5]
	s_ashr_i32 s9, s11, 31
	v_add_co_u32 v38, s4, s0, v15
	v_add_nc_u32_e32 v13, s11, v3
	v_ashrrev_i32_e32 v4, 31, v3
	s_mov_b32 s8, s11
	v_lshlrev_b64_e32 v[1:2], 4, v[1:2]
	v_add_co_ci_u32_e64 v39, null, s1, 0, s4
	v_ashrrev_i32_e32 v14, 31, v13
	s_lshl_b64 s[8:9], s[8:9], 4
	v_lshlrev_b64_e32 v[16:17], 4, v[3:4]
	v_add_co_u32 v40, vcc_lo, v38, s8
	s_delay_alu instid0(VALU_DEP_3)
	v_lshlrev_b64_e32 v[18:19], 4, v[13:14]
	v_add_co_ci_u32_e64 v41, null, s9, v39, vcc_lo
	v_add_co_u32 v42, vcc_lo, s0, v1
	s_wait_alu 0xfffd
	v_add_co_ci_u32_e64 v43, null, s1, v2, vcc_lo
	v_add_co_u32 v44, vcc_lo, s0, v16
	s_wait_alu 0xfffd
	;; [unrolled: 3-line block ×3, first 2 shown]
	v_add_co_ci_u32_e64 v47, null, s1, v19, vcc_lo
	s_clause 0x4
	global_load_b128 v[1:4], v15, s[0:1]
	global_load_b128 v[9:12], v[40:41], off
	global_load_b128 v[5:8], v[42:43], off
	global_load_b128 v[16:19], v[44:45], off
	global_load_b128 v[20:23], v[46:47], off
	v_add_nc_u32_e32 v13, s11, v13
	s_movk_i32 s8, 0x90
	s_movk_i32 s10, 0xb0
	;; [unrolled: 1-line block ×3, first 2 shown]
	s_wait_alu 0xfffe
	s_add_co_i32 s41, s8, 16
	v_add_nc_u32_e32 v24, s11, v13
	v_ashrrev_i32_e32 v14, 31, v13
	s_add_co_i32 s39, s10, 16
	s_movk_i32 s5, 0x80
	s_movk_i32 s9, 0xa0
	v_add_nc_u32_e32 v26, s11, v24
	v_lshlrev_b64_e32 v[13:14], 4, v[13:14]
	v_ashrrev_i32_e32 v25, 31, v24
	s_movk_i32 s53, 0x1c0
	s_movk_i32 s54, 0x1d0
	v_add_nc_u32_e32 v28, s11, v26
	v_ashrrev_i32_e32 v27, 31, v26
	v_lshlrev_b64_e32 v[24:25], 4, v[24:25]
	v_add_co_u32 v58, vcc_lo, s0, v13
	s_delay_alu instid0(VALU_DEP_4)
	v_add_nc_u32_e32 v32, s11, v28
	s_wait_alu 0xfffd
	v_add_co_ci_u32_e64 v59, null, s1, v14, vcc_lo
	v_lshlrev_b64_e32 v[13:14], 4, v[26:27]
	v_ashrrev_i32_e32 v29, 31, v28
	v_add_nc_u32_e32 v36, s11, v32
	v_ashrrev_i32_e32 v33, 31, v32
	v_add_co_u32 v50, vcc_lo, s0, v24
	s_wait_alu 0xfffd
	v_add_co_ci_u32_e64 v51, null, s1, v25, vcc_lo
	v_add_nc_u32_e32 v54, s11, v36
	v_ashrrev_i32_e32 v37, 31, v36
	v_lshlrev_b64_e32 v[34:35], 4, v[28:29]
	v_add_co_u32 v48, vcc_lo, s0, v13
	s_delay_alu instid0(VALU_DEP_4)
	v_add_nc_u32_e32 v56, s11, v54
	s_wait_alu 0xfffd
	v_add_co_ci_u32_e64 v49, null, s1, v14, vcc_lo
	v_lshlrev_b64_e32 v[13:14], 4, v[32:33]
	v_lshlrev_b64_e32 v[36:37], 4, v[36:37]
	v_add_nc_u32_e32 v62, s11, v56
	v_ashrrev_i32_e32 v55, 31, v54
	v_add_co_u32 v60, vcc_lo, s0, v34
	v_ashrrev_i32_e32 v57, 31, v56
	s_delay_alu instid0(VALU_DEP_4) | instskip(SKIP_3) | instid1(VALU_DEP_3)
	v_add_nc_u32_e32 v64, s11, v62
	s_wait_alu 0xfffd
	v_add_co_ci_u32_e64 v61, null, s1, v35, vcc_lo
	v_add_co_u32 v52, vcc_lo, s0, v13
	v_add_nc_u32_e32 v66, s11, v64
	s_wait_alu 0xfffd
	v_add_co_ci_u32_e64 v53, null, s1, v14, vcc_lo
	v_lshlrev_b64_e32 v[13:14], 4, v[54:55]
	v_add_co_u32 v54, vcc_lo, s0, v36
	s_wait_alu 0xfffd
	v_add_co_ci_u32_e64 v55, null, s1, v37, vcc_lo
	v_lshlrev_b64_e32 v[36:37], 4, v[56:57]
	v_ashrrev_i32_e32 v63, 31, v62
	v_add_nc_u32_e32 v68, s11, v66
	v_ashrrev_i32_e32 v65, 31, v64
	v_add_co_u32 v56, vcc_lo, s0, v13
	s_wait_alu 0xfffd
	v_add_co_ci_u32_e64 v57, null, s1, v14, vcc_lo
	v_lshlrev_b64_e32 v[13:14], 4, v[62:63]
	v_add_co_u32 v62, vcc_lo, s0, v36
	v_add_nc_u32_e32 v70, s11, v68
	s_wait_alu 0xfffd
	v_add_co_ci_u32_e64 v63, null, s1, v37, vcc_lo
	v_lshlrev_b64_e32 v[36:37], 4, v[64:65]
	v_ashrrev_i32_e32 v67, 31, v66
	v_ashrrev_i32_e32 v69, 31, v68
	v_add_co_u32 v64, vcc_lo, s0, v13
	v_add_nc_u32_e32 v72, s11, v70
	s_wait_alu 0xfffd
	v_add_co_ci_u32_e64 v65, null, s1, v14, vcc_lo
	v_lshlrev_b64_e32 v[13:14], 4, v[66:67]
	v_add_co_u32 v66, vcc_lo, s0, v36
	s_wait_alu 0xfffd
	v_add_co_ci_u32_e64 v67, null, s1, v37, vcc_lo
	v_lshlrev_b64_e32 v[36:37], 4, v[68:69]
	v_ashrrev_i32_e32 v71, 31, v70
	v_add_nc_u32_e32 v74, s11, v72
	v_ashrrev_i32_e32 v73, 31, v72
	v_add_co_u32 v68, vcc_lo, s0, v13
	s_wait_alu 0xfffd
	v_add_co_ci_u32_e64 v69, null, s1, v14, vcc_lo
	v_lshlrev_b64_e32 v[13:14], 4, v[70:71]
	v_add_co_u32 v70, vcc_lo, s0, v36
	v_add_nc_u32_e32 v76, s11, v74
	s_wait_alu 0xfffd
	v_add_co_ci_u32_e64 v71, null, s1, v37, vcc_lo
	v_lshlrev_b64_e32 v[36:37], 4, v[72:73]
	v_ashrrev_i32_e32 v75, 31, v74
	v_ashrrev_i32_e32 v77, 31, v76
	v_add_co_u32 v72, vcc_lo, s0, v13
	v_add_nc_u32_e32 v78, s11, v76
	s_wait_alu 0xfffd
	v_add_co_ci_u32_e64 v73, null, s1, v14, vcc_lo
	v_lshlrev_b64_e32 v[13:14], 4, v[74:75]
	v_add_co_u32 v74, vcc_lo, s0, v36
	s_wait_alu 0xfffd
	v_add_co_ci_u32_e64 v75, null, s1, v37, vcc_lo
	v_lshlrev_b64_e32 v[36:37], 4, v[76:77]
	v_ashrrev_i32_e32 v79, 31, v78
	v_add_co_u32 v76, vcc_lo, s0, v13
	v_add_nc_u32_e32 v80, s11, v78
	s_wait_alu 0xfffd
	v_add_co_ci_u32_e64 v77, null, s1, v14, vcc_lo
	v_lshlrev_b64_e32 v[13:14], 4, v[78:79]
	v_add_co_u32 v78, vcc_lo, s0, v36
	s_clause 0x1
	global_load_b128 v[24:27], v[58:59], off
	global_load_b128 v[28:31], v[50:51], off
	s_wait_alu 0xfffd
	v_add_co_ci_u32_e64 v79, null, s1, v37, vcc_lo
	s_clause 0x8
	global_load_b128 v[32:35], v[48:49], off
	global_load_b128 v[112:115], v[60:61], off
	;; [unrolled: 1-line block ×9, first 2 shown]
	v_add_nc_u32_e32 v82, s11, v80
	v_ashrrev_i32_e32 v81, 31, v80
	s_add_co_i32 s43, s4, 16
	s_add_co_i32 s37, s12, 16
	s_wait_alu 0xfffe
	s_add_co_i32 s42, s5, 16
	v_add_nc_u32_e32 v84, s11, v82
	v_lshlrev_b64_e32 v[36:37], 4, v[80:81]
	v_ashrrev_i32_e32 v83, 31, v82
	v_add_co_u32 v80, vcc_lo, s0, v13
	s_delay_alu instid0(VALU_DEP_4)
	v_add_nc_u32_e32 v86, s11, v84
	v_ashrrev_i32_e32 v85, 31, v84
	s_wait_alu 0xfffd
	v_add_co_ci_u32_e64 v81, null, s1, v14, vcc_lo
	v_lshlrev_b64_e32 v[13:14], 4, v[82:83]
	v_add_nc_u32_e32 v88, s11, v86
	v_add_co_u32 v82, vcc_lo, s0, v36
	s_wait_alu 0xfffd
	v_add_co_ci_u32_e64 v83, null, s1, v37, vcc_lo
	s_delay_alu instid0(VALU_DEP_3)
	v_add_nc_u32_e32 v90, s11, v88
	v_lshlrev_b64_e32 v[36:37], 4, v[84:85]
	v_ashrrev_i32_e32 v87, 31, v86
	v_ashrrev_i32_e32 v89, 31, v88
	v_add_co_u32 v84, vcc_lo, s0, v13
	v_add_nc_u32_e32 v92, s11, v90
	s_wait_alu 0xfffd
	v_add_co_ci_u32_e64 v85, null, s1, v14, vcc_lo
	v_lshlrev_b64_e32 v[13:14], 4, v[86:87]
	v_add_co_u32 v86, vcc_lo, s0, v36
	v_add_nc_u32_e32 v94, s11, v92
	s_wait_alu 0xfffd
	v_add_co_ci_u32_e64 v87, null, s1, v37, vcc_lo
	v_lshlrev_b64_e32 v[36:37], 4, v[88:89]
	v_ashrrev_i32_e32 v91, 31, v90
	v_add_nc_u32_e32 v96, s11, v94
	v_ashrrev_i32_e32 v93, 31, v92
	v_add_co_u32 v88, vcc_lo, s0, v13
	s_wait_alu 0xfffd
	v_add_co_ci_u32_e64 v89, null, s1, v14, vcc_lo
	v_add_nc_u32_e32 v98, s11, v96
	v_lshlrev_b64_e32 v[13:14], 4, v[90:91]
	v_add_co_u32 v90, vcc_lo, s0, v36
	s_wait_alu 0xfffd
	v_add_co_ci_u32_e64 v91, null, s1, v37, vcc_lo
	v_lshlrev_b64_e32 v[36:37], 4, v[92:93]
	v_ashrrev_i32_e32 v95, 31, v94
	v_add_nc_u32_e32 v100, s11, v98
	v_ashrrev_i32_e32 v97, 31, v96
	v_add_co_u32 v92, vcc_lo, s0, v13
	s_wait_alu 0xfffd
	v_add_co_ci_u32_e64 v93, null, s1, v14, vcc_lo
	v_lshlrev_b64_e32 v[13:14], 4, v[94:95]
	v_add_co_u32 v94, vcc_lo, s0, v36
	v_add_nc_u32_e32 v102, s11, v100
	s_wait_alu 0xfffd
	v_add_co_ci_u32_e64 v95, null, s1, v37, vcc_lo
	v_lshlrev_b64_e32 v[36:37], 4, v[96:97]
	v_ashrrev_i32_e32 v99, 31, v98
	v_ashrrev_i32_e32 v101, 31, v100
	v_add_co_u32 v96, vcc_lo, s0, v13
	v_add_nc_u32_e32 v104, s11, v102
	s_wait_alu 0xfffd
	v_add_co_ci_u32_e64 v97, null, s1, v14, vcc_lo
	v_lshlrev_b64_e32 v[13:14], 4, v[98:99]
	v_add_co_u32 v98, vcc_lo, s0, v36
	s_wait_alu 0xfffd
	v_add_co_ci_u32_e64 v99, null, s1, v37, vcc_lo
	v_lshlrev_b64_e32 v[36:37], 4, v[100:101]
	v_ashrrev_i32_e32 v103, 31, v102
	v_add_nc_u32_e32 v106, s11, v104
	v_ashrrev_i32_e32 v105, 31, v104
	v_add_co_u32 v100, vcc_lo, s0, v13
	s_wait_alu 0xfffd
	v_add_co_ci_u32_e64 v101, null, s1, v14, vcc_lo
	v_lshlrev_b64_e32 v[13:14], 4, v[102:103]
	v_add_co_u32 v102, vcc_lo, s0, v36
	v_add_nc_u32_e32 v108, s11, v106
	s_wait_alu 0xfffd
	v_add_co_ci_u32_e64 v103, null, s1, v37, vcc_lo
	v_lshlrev_b64_e32 v[36:37], 4, v[104:105]
	v_ashrrev_i32_e32 v107, 31, v106
	v_ashrrev_i32_e32 v109, 31, v108
	v_add_co_u32 v104, vcc_lo, s0, v13
	s_wait_alu 0xfffd
	v_add_co_ci_u32_e64 v105, null, s1, v14, vcc_lo
	v_lshlrev_b64_e32 v[13:14], 4, v[106:107]
	v_add_co_u32 v106, vcc_lo, s0, v36
	s_wait_alu 0xfffd
	v_add_co_ci_u32_e64 v107, null, s1, v37, vcc_lo
	v_lshlrev_b64_e32 v[36:37], 4, v[108:109]
	s_delay_alu instid0(VALU_DEP_4)
	v_add_co_u32 v108, vcc_lo, s0, v13
	s_wait_alu 0xfffd
	v_add_co_ci_u32_e64 v109, null, s1, v14, vcc_lo
	s_movk_i32 s11, 0xc0
	v_add_co_u32 v110, vcc_lo, s0, v36
	s_wait_alu 0xfffd
	v_add_co_ci_u32_e64 v111, null, s1, v37, vcc_lo
	s_movk_i32 s0, 0x50
	s_movk_i32 s1, 0x60
	s_wait_alu 0xfffe
	s_add_co_i32 s45, s0, 16
	s_movk_i32 s0, 0x1e0
	s_add_co_i32 s44, s1, 16
	s_add_co_i32 s38, s11, 16
	s_movk_i32 s1, 0x1f0
	s_wait_alu 0xfffe
	s_add_co_i32 s11, s0, 16
	s_movk_i32 s0, 0x200
	s_add_co_i32 s8, s1, 16
	s_movk_i32 s1, 0x210
	s_wait_alu 0xfffe
	s_add_co_i32 s10, s0, 16
	s_movk_i32 s0, 0x220
	;; [unrolled: 5-line block ×3, first 2 shown]
	s_add_co_i32 s40, s9, 16
	s_add_co_i32 s34, s13, 16
	;; [unrolled: 1-line block ×18, first 2 shown]
	s_wait_alu 0xfffe
	s_add_co_i32 s13, s0, 16
	s_mov_b32 s36, 32
	s_mov_b32 s35, 48
	;; [unrolled: 1-line block ×3, first 2 shown]
	s_movk_i32 s30, 0x50
	s_bitcmp0_b32 s46, 0
	s_mov_b32 s1, -1
	s_wait_loadcnt 0xf
	scratch_store_b128 off, v[1:4], off offset:16
	s_wait_loadcnt 0xe
	scratch_store_b128 off, v[9:12], off offset:32
	s_clause 0x1
	global_load_b128 v[1:4], v[70:71], off
	global_load_b128 v[9:12], v[72:73], off
	s_wait_loadcnt 0xf
	scratch_store_b128 off, v[5:8], off offset:48
	s_wait_loadcnt 0xe
	scratch_store_b128 off, v[16:19], off offset:64
	s_clause 0x1
	global_load_b128 v[5:8], v[74:75], off
	global_load_b128 v[16:19], v[76:77], off
	s_wait_loadcnt 0xf
	scratch_store_b128 off, v[20:23], off offset:80
	global_load_b128 v[20:23], v[78:79], off
	s_wait_loadcnt 0xf
	scratch_store_b128 off, v[24:27], off offset:96
	s_wait_loadcnt 0xe
	scratch_store_b128 off, v[28:31], off offset:112
	s_clause 0x1
	global_load_b128 v[24:27], v[80:81], off
	global_load_b128 v[28:31], v[82:83], off
	s_wait_loadcnt 0xf
	scratch_store_b128 off, v[32:35], off offset:128
	s_wait_loadcnt 0xe
	scratch_store_b128 off, v[112:115], off offset:144
	s_clause 0x1
	global_load_b128 v[32:35], v[84:85], off
	;; [unrolled: 7-line block ×5, first 2 shown]
	global_load_b128 v[136:139], v[98:99], off
	s_wait_loadcnt 0xf
	scratch_store_b128 off, v[140:143], off offset:256
	global_load_b128 v[140:143], v[100:101], off
	s_wait_loadcnt 0xf
	scratch_store_b128 off, v[1:4], off offset:272
	;; [unrolled: 3-line block ×5, first 2 shown]
	s_wait_loadcnt 0xe
	scratch_store_b128 off, v[20:23], off offset:336
	s_clause 0x1
	global_load_b128 v[16:19], v[108:109], off
	global_load_b128 v[20:23], v[110:111], off
	s_wait_loadcnt 0xf
	scratch_store_b128 off, v[24:27], off offset:352
	s_wait_loadcnt 0xe
	scratch_store_b128 off, v[28:31], off offset:368
	;; [unrolled: 2-line block ×16, first 2 shown]
	s_cbranch_scc1 .LBB36_160
; %bb.4:
	v_cmp_eq_u32_e64 s0, 0, v0
	s_and_saveexec_b32 s1, s0
; %bb.5:
	v_mov_b32_e32 v1, 0
	ds_store_b32 v1, v1 offset:1184
; %bb.6:
	s_wait_alu 0xfffe
	s_or_b32 exec_lo, exec_lo, s1
	s_wait_storecnt_dscnt 0x0
	s_barrier_signal -1
	s_barrier_wait -1
	global_inv scope:SCOPE_SE
	scratch_load_b128 v[1:4], v15, off offset:16
	s_wait_loadcnt 0x0
	v_cmp_eq_f64_e32 vcc_lo, 0, v[1:2]
	v_cmp_eq_f64_e64 s1, 0, v[3:4]
	s_and_b32 s1, vcc_lo, s1
	s_wait_alu 0xfffe
	s_and_saveexec_b32 s46, s1
	s_cbranch_execz .LBB36_10
; %bb.7:
	v_mov_b32_e32 v1, 0
	s_mov_b32 s47, 0
	ds_load_b32 v2, v1 offset:1184
	s_wait_dscnt 0x0
	v_readfirstlane_b32 s1, v2
	v_add_nc_u32_e32 v2, 1, v0
	s_cmp_eq_u32 s1, 0
	s_delay_alu instid0(VALU_DEP_1) | instskip(SKIP_1) | instid1(SALU_CYCLE_1)
	v_cmp_gt_i32_e32 vcc_lo, s1, v2
	s_cselect_b32 s48, -1, 0
	s_or_b32 s48, s48, vcc_lo
	s_delay_alu instid0(SALU_CYCLE_1)
	s_and_b32 exec_lo, exec_lo, s48
	s_cbranch_execz .LBB36_10
; %bb.8:
	v_mov_b32_e32 v3, s1
.LBB36_9:                               ; =>This Inner Loop Header: Depth=1
	ds_cmpstore_rtn_b32 v3, v1, v2, v3 offset:1184
	s_wait_dscnt 0x0
	v_cmp_ne_u32_e32 vcc_lo, 0, v3
	v_cmp_le_i32_e64 s1, v3, v2
	s_and_b32 s1, vcc_lo, s1
	s_wait_alu 0xfffe
	s_and_b32 s1, exec_lo, s1
	s_wait_alu 0xfffe
	s_or_b32 s47, s1, s47
	s_delay_alu instid0(SALU_CYCLE_1)
	s_and_not1_b32 exec_lo, exec_lo, s47
	s_cbranch_execnz .LBB36_9
.LBB36_10:
	s_or_b32 exec_lo, exec_lo, s46
	v_mov_b32_e32 v1, 0
	s_barrier_signal -1
	s_barrier_wait -1
	global_inv scope:SCOPE_SE
	ds_load_b32 v2, v1 offset:1184
	s_and_saveexec_b32 s1, s0
	s_cbranch_execz .LBB36_12
; %bb.11:
	s_lshl_b64 s[46:47], s[16:17], 2
	s_delay_alu instid0(SALU_CYCLE_1)
	s_add_nc_u64 s[46:47], s[6:7], s[46:47]
	s_wait_dscnt 0x0
	global_store_b32 v1, v2, s[46:47]
.LBB36_12:
	s_wait_alu 0xfffe
	s_or_b32 exec_lo, exec_lo, s1
	s_wait_dscnt 0x0
	v_cmp_ne_u32_e32 vcc_lo, 0, v2
	s_mov_b32 s1, 0
	s_cbranch_vccnz .LBB36_160
; %bb.13:
	v_add_nc_u32_e32 v13, 16, v15
                                        ; implicit-def: $vgpr1_vgpr2
                                        ; implicit-def: $vgpr9_vgpr10
	scratch_load_b128 v[5:8], v13, off
	s_wait_loadcnt 0x0
	v_cmp_ngt_f64_e64 s1, |v[5:6]|, |v[7:8]|
	s_wait_alu 0xfffe
	s_and_saveexec_b32 s46, s1
	s_delay_alu instid0(SALU_CYCLE_1)
	s_xor_b32 s1, exec_lo, s46
	s_cbranch_execz .LBB36_15
; %bb.14:
	v_div_scale_f64 v[1:2], null, v[7:8], v[7:8], v[5:6]
	v_div_scale_f64 v[11:12], vcc_lo, v[5:6], v[7:8], v[5:6]
	s_delay_alu instid0(VALU_DEP_2) | instskip(NEXT) | instid1(TRANS32_DEP_1)
	v_rcp_f64_e32 v[3:4], v[1:2]
	v_fma_f64 v[9:10], -v[1:2], v[3:4], 1.0
	s_delay_alu instid0(VALU_DEP_1) | instskip(NEXT) | instid1(VALU_DEP_1)
	v_fma_f64 v[3:4], v[3:4], v[9:10], v[3:4]
	v_fma_f64 v[9:10], -v[1:2], v[3:4], 1.0
	s_delay_alu instid0(VALU_DEP_1) | instskip(NEXT) | instid1(VALU_DEP_1)
	v_fma_f64 v[3:4], v[3:4], v[9:10], v[3:4]
	v_mul_f64_e32 v[9:10], v[11:12], v[3:4]
	s_delay_alu instid0(VALU_DEP_1) | instskip(SKIP_1) | instid1(VALU_DEP_1)
	v_fma_f64 v[1:2], -v[1:2], v[9:10], v[11:12]
	s_wait_alu 0xfffd
	v_div_fmas_f64 v[1:2], v[1:2], v[3:4], v[9:10]
	s_delay_alu instid0(VALU_DEP_1) | instskip(NEXT) | instid1(VALU_DEP_1)
	v_div_fixup_f64 v[1:2], v[1:2], v[7:8], v[5:6]
	v_fma_f64 v[3:4], v[5:6], v[1:2], v[7:8]
	s_delay_alu instid0(VALU_DEP_1) | instskip(SKIP_1) | instid1(VALU_DEP_2)
	v_div_scale_f64 v[5:6], null, v[3:4], v[3:4], 1.0
	v_div_scale_f64 v[11:12], vcc_lo, 1.0, v[3:4], 1.0
	v_rcp_f64_e32 v[7:8], v[5:6]
	s_delay_alu instid0(TRANS32_DEP_1) | instskip(NEXT) | instid1(VALU_DEP_1)
	v_fma_f64 v[9:10], -v[5:6], v[7:8], 1.0
	v_fma_f64 v[7:8], v[7:8], v[9:10], v[7:8]
	s_delay_alu instid0(VALU_DEP_1) | instskip(NEXT) | instid1(VALU_DEP_1)
	v_fma_f64 v[9:10], -v[5:6], v[7:8], 1.0
	v_fma_f64 v[7:8], v[7:8], v[9:10], v[7:8]
	s_delay_alu instid0(VALU_DEP_1) | instskip(NEXT) | instid1(VALU_DEP_1)
	v_mul_f64_e32 v[9:10], v[11:12], v[7:8]
	v_fma_f64 v[5:6], -v[5:6], v[9:10], v[11:12]
	s_wait_alu 0xfffd
	s_delay_alu instid0(VALU_DEP_1) | instskip(NEXT) | instid1(VALU_DEP_1)
	v_div_fmas_f64 v[5:6], v[5:6], v[7:8], v[9:10]
	v_div_fixup_f64 v[3:4], v[5:6], v[3:4], 1.0
                                        ; implicit-def: $vgpr5_vgpr6
	s_delay_alu instid0(VALU_DEP_1) | instskip(SKIP_1) | instid1(VALU_DEP_2)
	v_mul_f64_e32 v[1:2], v[1:2], v[3:4]
	v_xor_b32_e32 v4, 0x80000000, v4
	v_xor_b32_e32 v10, 0x80000000, v2
	s_delay_alu instid0(VALU_DEP_3)
	v_mov_b32_e32 v9, v1
.LBB36_15:
	s_wait_alu 0xfffe
	s_and_not1_saveexec_b32 s1, s1
	s_cbranch_execz .LBB36_17
; %bb.16:
	v_div_scale_f64 v[1:2], null, v[5:6], v[5:6], v[7:8]
	v_div_scale_f64 v[11:12], vcc_lo, v[7:8], v[5:6], v[7:8]
	s_delay_alu instid0(VALU_DEP_2) | instskip(NEXT) | instid1(TRANS32_DEP_1)
	v_rcp_f64_e32 v[3:4], v[1:2]
	v_fma_f64 v[9:10], -v[1:2], v[3:4], 1.0
	s_delay_alu instid0(VALU_DEP_1) | instskip(NEXT) | instid1(VALU_DEP_1)
	v_fma_f64 v[3:4], v[3:4], v[9:10], v[3:4]
	v_fma_f64 v[9:10], -v[1:2], v[3:4], 1.0
	s_delay_alu instid0(VALU_DEP_1) | instskip(NEXT) | instid1(VALU_DEP_1)
	v_fma_f64 v[3:4], v[3:4], v[9:10], v[3:4]
	v_mul_f64_e32 v[9:10], v[11:12], v[3:4]
	s_delay_alu instid0(VALU_DEP_1) | instskip(SKIP_1) | instid1(VALU_DEP_1)
	v_fma_f64 v[1:2], -v[1:2], v[9:10], v[11:12]
	s_wait_alu 0xfffd
	v_div_fmas_f64 v[1:2], v[1:2], v[3:4], v[9:10]
	s_delay_alu instid0(VALU_DEP_1) | instskip(NEXT) | instid1(VALU_DEP_1)
	v_div_fixup_f64 v[3:4], v[1:2], v[5:6], v[7:8]
	v_fma_f64 v[1:2], v[7:8], v[3:4], v[5:6]
	s_delay_alu instid0(VALU_DEP_1) | instskip(NEXT) | instid1(VALU_DEP_1)
	v_div_scale_f64 v[5:6], null, v[1:2], v[1:2], 1.0
	v_rcp_f64_e32 v[7:8], v[5:6]
	s_delay_alu instid0(TRANS32_DEP_1) | instskip(NEXT) | instid1(VALU_DEP_1)
	v_fma_f64 v[9:10], -v[5:6], v[7:8], 1.0
	v_fma_f64 v[7:8], v[7:8], v[9:10], v[7:8]
	s_delay_alu instid0(VALU_DEP_1) | instskip(NEXT) | instid1(VALU_DEP_1)
	v_fma_f64 v[9:10], -v[5:6], v[7:8], 1.0
	v_fma_f64 v[7:8], v[7:8], v[9:10], v[7:8]
	v_div_scale_f64 v[9:10], vcc_lo, 1.0, v[1:2], 1.0
	s_delay_alu instid0(VALU_DEP_1) | instskip(NEXT) | instid1(VALU_DEP_1)
	v_mul_f64_e32 v[11:12], v[9:10], v[7:8]
	v_fma_f64 v[5:6], -v[5:6], v[11:12], v[9:10]
	s_wait_alu 0xfffd
	s_delay_alu instid0(VALU_DEP_1) | instskip(NEXT) | instid1(VALU_DEP_1)
	v_div_fmas_f64 v[5:6], v[5:6], v[7:8], v[11:12]
	v_div_fixup_f64 v[1:2], v[5:6], v[1:2], 1.0
	s_delay_alu instid0(VALU_DEP_1)
	v_mul_f64_e64 v[3:4], v[3:4], -v[1:2]
	v_xor_b32_e32 v10, 0x80000000, v2
	v_mov_b32_e32 v9, v1
.LBB36_17:
	s_wait_alu 0xfffe
	s_or_b32 exec_lo, exec_lo, s1
	scratch_store_b128 v13, v[1:4], off
	scratch_load_b128 v[16:19], off, s36
	v_xor_b32_e32 v12, 0x80000000, v4
	v_mov_b32_e32 v11, v3
	v_add_nc_u32_e32 v5, 0x250, v15
	ds_store_b128 v15, v[9:12]
	s_wait_loadcnt 0x0
	ds_store_b128 v15, v[16:19] offset:592
	s_wait_storecnt_dscnt 0x0
	s_barrier_signal -1
	s_barrier_wait -1
	global_inv scope:SCOPE_SE
	s_and_saveexec_b32 s1, s0
	s_cbranch_execz .LBB36_19
; %bb.18:
	scratch_load_b128 v[1:4], v13, off
	ds_load_b128 v[6:9], v5
	v_mov_b32_e32 v10, 0
	ds_load_b128 v[16:19], v10 offset:16
	s_wait_loadcnt_dscnt 0x1
	v_mul_f64_e32 v[10:11], v[6:7], v[3:4]
	v_mul_f64_e32 v[3:4], v[8:9], v[3:4]
	s_delay_alu instid0(VALU_DEP_2) | instskip(NEXT) | instid1(VALU_DEP_2)
	v_fma_f64 v[8:9], v[8:9], v[1:2], v[10:11]
	v_fma_f64 v[1:2], v[6:7], v[1:2], -v[3:4]
	s_delay_alu instid0(VALU_DEP_2) | instskip(NEXT) | instid1(VALU_DEP_2)
	v_add_f64_e32 v[3:4], 0, v[8:9]
	v_add_f64_e32 v[1:2], 0, v[1:2]
	s_wait_dscnt 0x0
	s_delay_alu instid0(VALU_DEP_2) | instskip(NEXT) | instid1(VALU_DEP_2)
	v_mul_f64_e32 v[6:7], v[3:4], v[18:19]
	v_mul_f64_e32 v[8:9], v[1:2], v[18:19]
	s_delay_alu instid0(VALU_DEP_2) | instskip(NEXT) | instid1(VALU_DEP_2)
	v_fma_f64 v[1:2], v[1:2], v[16:17], -v[6:7]
	v_fma_f64 v[3:4], v[3:4], v[16:17], v[8:9]
	scratch_store_b128 off, v[1:4], off offset:32
.LBB36_19:
	s_wait_alu 0xfffe
	s_or_b32 exec_lo, exec_lo, s1
	s_wait_loadcnt 0x0
	s_wait_storecnt 0x0
	s_barrier_signal -1
	s_barrier_wait -1
	global_inv scope:SCOPE_SE
	scratch_load_b128 v[1:4], off, s35
	s_mov_b32 s1, exec_lo
	s_wait_loadcnt 0x0
	ds_store_b128 v5, v[1:4]
	s_wait_dscnt 0x0
	s_barrier_signal -1
	s_barrier_wait -1
	global_inv scope:SCOPE_SE
	v_cmpx_gt_u32_e32 2, v0
	s_cbranch_execz .LBB36_23
; %bb.20:
	scratch_load_b128 v[1:4], v13, off
	ds_load_b128 v[6:9], v5
	s_wait_loadcnt_dscnt 0x0
	v_mul_f64_e32 v[10:11], v[8:9], v[3:4]
	v_mul_f64_e32 v[3:4], v[6:7], v[3:4]
	s_delay_alu instid0(VALU_DEP_2) | instskip(NEXT) | instid1(VALU_DEP_2)
	v_fma_f64 v[6:7], v[6:7], v[1:2], -v[10:11]
	v_fma_f64 v[3:4], v[8:9], v[1:2], v[3:4]
	s_delay_alu instid0(VALU_DEP_2) | instskip(NEXT) | instid1(VALU_DEP_2)
	v_add_f64_e32 v[1:2], 0, v[6:7]
	v_add_f64_e32 v[3:4], 0, v[3:4]
	s_and_saveexec_b32 s46, s0
	s_cbranch_execz .LBB36_22
; %bb.21:
	scratch_load_b128 v[6:9], off, off offset:32
	v_mov_b32_e32 v10, 0
	ds_load_b128 v[16:19], v10 offset:608
	s_wait_loadcnt_dscnt 0x0
	v_mul_f64_e32 v[10:11], v[16:17], v[8:9]
	v_mul_f64_e32 v[8:9], v[18:19], v[8:9]
	s_delay_alu instid0(VALU_DEP_2) | instskip(NEXT) | instid1(VALU_DEP_2)
	v_fma_f64 v[10:11], v[18:19], v[6:7], v[10:11]
	v_fma_f64 v[6:7], v[16:17], v[6:7], -v[8:9]
	s_delay_alu instid0(VALU_DEP_2) | instskip(NEXT) | instid1(VALU_DEP_2)
	v_add_f64_e32 v[3:4], v[3:4], v[10:11]
	v_add_f64_e32 v[1:2], v[1:2], v[6:7]
.LBB36_22:
	s_or_b32 exec_lo, exec_lo, s46
	v_mov_b32_e32 v6, 0
	ds_load_b128 v[6:9], v6 offset:32
	s_wait_dscnt 0x0
	v_mul_f64_e32 v[10:11], v[3:4], v[8:9]
	v_mul_f64_e32 v[8:9], v[1:2], v[8:9]
	s_delay_alu instid0(VALU_DEP_2) | instskip(NEXT) | instid1(VALU_DEP_2)
	v_fma_f64 v[1:2], v[1:2], v[6:7], -v[10:11]
	v_fma_f64 v[3:4], v[3:4], v[6:7], v[8:9]
	scratch_store_b128 off, v[1:4], off offset:48
.LBB36_23:
	s_wait_alu 0xfffe
	s_or_b32 exec_lo, exec_lo, s1
	s_wait_loadcnt 0x0
	s_wait_storecnt 0x0
	s_barrier_signal -1
	s_barrier_wait -1
	global_inv scope:SCOPE_SE
	scratch_load_b128 v[1:4], off, s33
	v_add_nc_u32_e32 v6, -1, v0
	s_mov_b32 s0, exec_lo
	s_wait_loadcnt 0x0
	ds_store_b128 v5, v[1:4]
	s_wait_dscnt 0x0
	s_barrier_signal -1
	s_barrier_wait -1
	global_inv scope:SCOPE_SE
	v_cmpx_gt_u32_e32 3, v0
	s_cbranch_execz .LBB36_27
; %bb.24:
	v_dual_mov_b32 v1, 0 :: v_dual_add_nc_u32 v8, 0x250, v15
	v_mov_b32_e32 v3, 0
	v_dual_mov_b32 v2, 0 :: v_dual_add_nc_u32 v7, -1, v0
	v_mov_b32_e32 v4, 0
	v_or_b32_e32 v9, 8, v13
	s_mov_b32 s1, 0
.LBB36_25:                              ; =>This Inner Loop Header: Depth=1
	scratch_load_b128 v[16:19], v9, off offset:-8
	ds_load_b128 v[20:23], v8
	v_add_nc_u32_e32 v7, 1, v7
	v_add_nc_u32_e32 v8, 16, v8
	v_add_nc_u32_e32 v9, 16, v9
	s_delay_alu instid0(VALU_DEP_3)
	v_cmp_lt_u32_e32 vcc_lo, 1, v7
	s_wait_alu 0xfffe
	s_or_b32 s1, vcc_lo, s1
	s_wait_loadcnt_dscnt 0x0
	v_mul_f64_e32 v[10:11], v[22:23], v[18:19]
	v_mul_f64_e32 v[18:19], v[20:21], v[18:19]
	s_delay_alu instid0(VALU_DEP_2) | instskip(NEXT) | instid1(VALU_DEP_2)
	v_fma_f64 v[10:11], v[20:21], v[16:17], -v[10:11]
	v_fma_f64 v[16:17], v[22:23], v[16:17], v[18:19]
	s_delay_alu instid0(VALU_DEP_2) | instskip(NEXT) | instid1(VALU_DEP_2)
	v_add_f64_e32 v[3:4], v[3:4], v[10:11]
	v_add_f64_e32 v[1:2], v[1:2], v[16:17]
	s_wait_alu 0xfffe
	s_and_not1_b32 exec_lo, exec_lo, s1
	s_cbranch_execnz .LBB36_25
; %bb.26:
	s_or_b32 exec_lo, exec_lo, s1
	v_mov_b32_e32 v7, 0
	ds_load_b128 v[7:10], v7 offset:48
	s_wait_dscnt 0x0
	v_mul_f64_e32 v[11:12], v[1:2], v[9:10]
	v_mul_f64_e32 v[16:17], v[3:4], v[9:10]
	s_delay_alu instid0(VALU_DEP_2) | instskip(NEXT) | instid1(VALU_DEP_2)
	v_fma_f64 v[9:10], v[3:4], v[7:8], -v[11:12]
	v_fma_f64 v[11:12], v[1:2], v[7:8], v[16:17]
	scratch_store_b128 off, v[9:12], off offset:64
.LBB36_27:
	s_wait_alu 0xfffe
	s_or_b32 exec_lo, exec_lo, s0
	s_wait_loadcnt 0x0
	s_wait_storecnt 0x0
	s_barrier_signal -1
	s_barrier_wait -1
	global_inv scope:SCOPE_SE
	scratch_load_b128 v[1:4], off, s30
	s_mov_b32 s0, exec_lo
	s_wait_loadcnt 0x0
	ds_store_b128 v5, v[1:4]
	s_wait_dscnt 0x0
	s_barrier_signal -1
	s_barrier_wait -1
	global_inv scope:SCOPE_SE
	v_cmpx_gt_u32_e32 4, v0
	s_cbranch_execz .LBB36_31
; %bb.28:
	v_dual_mov_b32 v1, 0 :: v_dual_add_nc_u32 v8, 0x250, v15
	v_mov_b32_e32 v3, 0
	v_dual_mov_b32 v2, 0 :: v_dual_add_nc_u32 v7, -1, v0
	v_mov_b32_e32 v4, 0
	v_or_b32_e32 v9, 8, v13
	s_mov_b32 s1, 0
.LBB36_29:                              ; =>This Inner Loop Header: Depth=1
	scratch_load_b128 v[16:19], v9, off offset:-8
	ds_load_b128 v[20:23], v8
	v_add_nc_u32_e32 v7, 1, v7
	v_add_nc_u32_e32 v8, 16, v8
	v_add_nc_u32_e32 v9, 16, v9
	s_delay_alu instid0(VALU_DEP_3)
	v_cmp_lt_u32_e32 vcc_lo, 2, v7
	s_wait_alu 0xfffe
	s_or_b32 s1, vcc_lo, s1
	s_wait_loadcnt_dscnt 0x0
	v_mul_f64_e32 v[10:11], v[22:23], v[18:19]
	v_mul_f64_e32 v[18:19], v[20:21], v[18:19]
	s_delay_alu instid0(VALU_DEP_2) | instskip(NEXT) | instid1(VALU_DEP_2)
	v_fma_f64 v[10:11], v[20:21], v[16:17], -v[10:11]
	v_fma_f64 v[16:17], v[22:23], v[16:17], v[18:19]
	s_delay_alu instid0(VALU_DEP_2) | instskip(NEXT) | instid1(VALU_DEP_2)
	v_add_f64_e32 v[3:4], v[3:4], v[10:11]
	v_add_f64_e32 v[1:2], v[1:2], v[16:17]
	s_wait_alu 0xfffe
	s_and_not1_b32 exec_lo, exec_lo, s1
	s_cbranch_execnz .LBB36_29
; %bb.30:
	s_or_b32 exec_lo, exec_lo, s1
	v_mov_b32_e32 v7, 0
	ds_load_b128 v[7:10], v7 offset:64
	s_wait_dscnt 0x0
	v_mul_f64_e32 v[11:12], v[1:2], v[9:10]
	v_mul_f64_e32 v[16:17], v[3:4], v[9:10]
	s_delay_alu instid0(VALU_DEP_2) | instskip(NEXT) | instid1(VALU_DEP_2)
	v_fma_f64 v[9:10], v[3:4], v[7:8], -v[11:12]
	v_fma_f64 v[11:12], v[1:2], v[7:8], v[16:17]
	scratch_store_b128 off, v[9:12], off offset:80
.LBB36_31:
	s_wait_alu 0xfffe
	s_or_b32 exec_lo, exec_lo, s0
	s_wait_loadcnt 0x0
	s_wait_storecnt 0x0
	s_barrier_signal -1
	s_barrier_wait -1
	global_inv scope:SCOPE_SE
	scratch_load_b128 v[1:4], off, s45
	;; [unrolled: 58-line block ×19, first 2 shown]
	s_mov_b32 s0, exec_lo
	s_wait_loadcnt 0x0
	ds_store_b128 v5, v[1:4]
	s_wait_dscnt 0x0
	s_barrier_signal -1
	s_barrier_wait -1
	global_inv scope:SCOPE_SE
	v_cmpx_gt_u32_e32 22, v0
	s_cbranch_execz .LBB36_103
; %bb.100:
	v_dual_mov_b32 v1, 0 :: v_dual_add_nc_u32 v8, 0x250, v15
	v_mov_b32_e32 v3, 0
	v_dual_mov_b32 v2, 0 :: v_dual_add_nc_u32 v7, -1, v0
	v_mov_b32_e32 v4, 0
	v_or_b32_e32 v9, 8, v13
	s_mov_b32 s1, 0
.LBB36_101:                             ; =>This Inner Loop Header: Depth=1
	scratch_load_b128 v[16:19], v9, off offset:-8
	ds_load_b128 v[20:23], v8
	v_add_nc_u32_e32 v7, 1, v7
	v_add_nc_u32_e32 v8, 16, v8
	v_add_nc_u32_e32 v9, 16, v9
	s_delay_alu instid0(VALU_DEP_3)
	v_cmp_lt_u32_e32 vcc_lo, 20, v7
	s_wait_alu 0xfffe
	s_or_b32 s1, vcc_lo, s1
	s_wait_loadcnt_dscnt 0x0
	v_mul_f64_e32 v[10:11], v[22:23], v[18:19]
	v_mul_f64_e32 v[18:19], v[20:21], v[18:19]
	s_delay_alu instid0(VALU_DEP_2) | instskip(NEXT) | instid1(VALU_DEP_2)
	v_fma_f64 v[10:11], v[20:21], v[16:17], -v[10:11]
	v_fma_f64 v[16:17], v[22:23], v[16:17], v[18:19]
	s_delay_alu instid0(VALU_DEP_2) | instskip(NEXT) | instid1(VALU_DEP_2)
	v_add_f64_e32 v[3:4], v[3:4], v[10:11]
	v_add_f64_e32 v[1:2], v[1:2], v[16:17]
	s_wait_alu 0xfffe
	s_and_not1_b32 exec_lo, exec_lo, s1
	s_cbranch_execnz .LBB36_101
; %bb.102:
	s_or_b32 exec_lo, exec_lo, s1
	v_mov_b32_e32 v7, 0
	ds_load_b128 v[7:10], v7 offset:352
	s_wait_dscnt 0x0
	v_mul_f64_e32 v[11:12], v[1:2], v[9:10]
	v_mul_f64_e32 v[16:17], v[3:4], v[9:10]
	s_delay_alu instid0(VALU_DEP_2) | instskip(NEXT) | instid1(VALU_DEP_2)
	v_fma_f64 v[9:10], v[3:4], v[7:8], -v[11:12]
	v_fma_f64 v[11:12], v[1:2], v[7:8], v[16:17]
	scratch_store_b128 off, v[9:12], off offset:368
.LBB36_103:
	s_wait_alu 0xfffe
	s_or_b32 exec_lo, exec_lo, s0
	s_wait_loadcnt 0x0
	s_wait_storecnt 0x0
	s_barrier_signal -1
	s_barrier_wait -1
	global_inv scope:SCOPE_SE
	scratch_load_b128 v[1:4], off, s15
	s_mov_b32 s0, exec_lo
	s_wait_loadcnt 0x0
	ds_store_b128 v5, v[1:4]
	s_wait_dscnt 0x0
	s_barrier_signal -1
	s_barrier_wait -1
	global_inv scope:SCOPE_SE
	v_cmpx_gt_u32_e32 23, v0
	s_cbranch_execz .LBB36_107
; %bb.104:
	v_dual_mov_b32 v1, 0 :: v_dual_add_nc_u32 v8, 0x250, v15
	v_mov_b32_e32 v3, 0
	v_dual_mov_b32 v2, 0 :: v_dual_add_nc_u32 v7, -1, v0
	v_mov_b32_e32 v4, 0
	v_or_b32_e32 v9, 8, v13
	s_mov_b32 s1, 0
.LBB36_105:                             ; =>This Inner Loop Header: Depth=1
	scratch_load_b128 v[16:19], v9, off offset:-8
	ds_load_b128 v[20:23], v8
	v_add_nc_u32_e32 v7, 1, v7
	v_add_nc_u32_e32 v8, 16, v8
	v_add_nc_u32_e32 v9, 16, v9
	s_delay_alu instid0(VALU_DEP_3)
	v_cmp_lt_u32_e32 vcc_lo, 21, v7
	s_wait_alu 0xfffe
	s_or_b32 s1, vcc_lo, s1
	s_wait_loadcnt_dscnt 0x0
	v_mul_f64_e32 v[10:11], v[22:23], v[18:19]
	v_mul_f64_e32 v[18:19], v[20:21], v[18:19]
	s_delay_alu instid0(VALU_DEP_2) | instskip(NEXT) | instid1(VALU_DEP_2)
	v_fma_f64 v[10:11], v[20:21], v[16:17], -v[10:11]
	v_fma_f64 v[16:17], v[22:23], v[16:17], v[18:19]
	s_delay_alu instid0(VALU_DEP_2) | instskip(NEXT) | instid1(VALU_DEP_2)
	v_add_f64_e32 v[3:4], v[3:4], v[10:11]
	v_add_f64_e32 v[1:2], v[1:2], v[16:17]
	s_wait_alu 0xfffe
	s_and_not1_b32 exec_lo, exec_lo, s1
	s_cbranch_execnz .LBB36_105
; %bb.106:
	s_or_b32 exec_lo, exec_lo, s1
	v_mov_b32_e32 v7, 0
	ds_load_b128 v[7:10], v7 offset:368
	s_wait_dscnt 0x0
	v_mul_f64_e32 v[11:12], v[1:2], v[9:10]
	v_mul_f64_e32 v[16:17], v[3:4], v[9:10]
	s_delay_alu instid0(VALU_DEP_2) | instskip(NEXT) | instid1(VALU_DEP_2)
	v_fma_f64 v[9:10], v[3:4], v[7:8], -v[11:12]
	v_fma_f64 v[11:12], v[1:2], v[7:8], v[16:17]
	scratch_store_b128 off, v[9:12], off offset:384
.LBB36_107:
	s_wait_alu 0xfffe
	s_or_b32 exec_lo, exec_lo, s0
	s_wait_loadcnt 0x0
	s_wait_storecnt 0x0
	s_barrier_signal -1
	s_barrier_wait -1
	global_inv scope:SCOPE_SE
	scratch_load_b128 v[1:4], off, s19
	;; [unrolled: 58-line block ×14, first 2 shown]
	s_mov_b32 s0, exec_lo
	s_wait_loadcnt 0x0
	ds_store_b128 v5, v[1:4]
	s_wait_dscnt 0x0
	s_barrier_signal -1
	s_barrier_wait -1
	global_inv scope:SCOPE_SE
	v_cmpx_ne_u32_e32 36, v0
	s_cbranch_execz .LBB36_159
; %bb.156:
	v_mov_b32_e32 v1, 0
	v_dual_mov_b32 v2, 0 :: v_dual_mov_b32 v3, 0
	v_mov_b32_e32 v4, 0
	v_or_b32_e32 v7, 8, v13
	s_mov_b32 s1, 0
.LBB36_157:                             ; =>This Inner Loop Header: Depth=1
	scratch_load_b128 v[8:11], v7, off offset:-8
	ds_load_b128 v[12:15], v5
	v_add_nc_u32_e32 v6, 1, v6
	v_add_nc_u32_e32 v5, 16, v5
	;; [unrolled: 1-line block ×3, first 2 shown]
	s_delay_alu instid0(VALU_DEP_3)
	v_cmp_lt_u32_e32 vcc_lo, 34, v6
	s_wait_alu 0xfffe
	s_or_b32 s1, vcc_lo, s1
	s_wait_loadcnt_dscnt 0x0
	v_mul_f64_e32 v[16:17], v[14:15], v[10:11]
	v_mul_f64_e32 v[10:11], v[12:13], v[10:11]
	s_delay_alu instid0(VALU_DEP_2) | instskip(NEXT) | instid1(VALU_DEP_2)
	v_fma_f64 v[12:13], v[12:13], v[8:9], -v[16:17]
	v_fma_f64 v[8:9], v[14:15], v[8:9], v[10:11]
	s_delay_alu instid0(VALU_DEP_2) | instskip(NEXT) | instid1(VALU_DEP_2)
	v_add_f64_e32 v[3:4], v[3:4], v[12:13]
	v_add_f64_e32 v[1:2], v[1:2], v[8:9]
	s_wait_alu 0xfffe
	s_and_not1_b32 exec_lo, exec_lo, s1
	s_cbranch_execnz .LBB36_157
; %bb.158:
	s_or_b32 exec_lo, exec_lo, s1
	v_mov_b32_e32 v5, 0
	ds_load_b128 v[5:8], v5 offset:576
	s_wait_dscnt 0x0
	v_mul_f64_e32 v[9:10], v[1:2], v[7:8]
	v_mul_f64_e32 v[7:8], v[3:4], v[7:8]
	s_delay_alu instid0(VALU_DEP_2) | instskip(NEXT) | instid1(VALU_DEP_2)
	v_fma_f64 v[3:4], v[3:4], v[5:6], -v[9:10]
	v_fma_f64 v[5:6], v[1:2], v[5:6], v[7:8]
	scratch_store_b128 off, v[3:6], off offset:592
.LBB36_159:
	s_wait_alu 0xfffe
	s_or_b32 exec_lo, exec_lo, s0
	s_mov_b32 s1, -1
	s_wait_loadcnt 0x0
	s_wait_storecnt 0x0
	s_barrier_signal -1
	s_barrier_wait -1
	global_inv scope:SCOPE_SE
.LBB36_160:
	s_wait_alu 0xfffe
	s_and_b32 vcc_lo, exec_lo, s1
	s_wait_alu 0xfffe
	s_cbranch_vccz .LBB36_162
; %bb.161:
	v_mov_b32_e32 v1, 0
	s_lshl_b64 s[0:1], s[16:17], 2
	s_wait_alu 0xfffe
	s_add_nc_u64 s[0:1], s[6:7], s[0:1]
	global_load_b32 v1, v1, s[0:1]
	s_wait_loadcnt 0x0
	v_cmp_ne_u32_e32 vcc_lo, 0, v1
	s_cbranch_vccz .LBB36_163
.LBB36_162:
	s_nop 0
	s_sendmsg sendmsg(MSG_DEALLOC_VGPRS)
	s_endpgm
.LBB36_163:
	v_lshl_add_u32 v112, v0, 4, 0x250
	s_mov_b32 s0, exec_lo
	v_cmpx_eq_u32_e32 36, v0
	s_cbranch_execz .LBB36_165
; %bb.164:
	scratch_load_b128 v[1:4], off, s9
	v_mov_b32_e32 v5, 0
	s_delay_alu instid0(VALU_DEP_1)
	v_dual_mov_b32 v6, v5 :: v_dual_mov_b32 v7, v5
	v_mov_b32_e32 v8, v5
	scratch_store_b128 off, v[5:8], off offset:576
	s_wait_loadcnt 0x0
	ds_store_b128 v112, v[1:4]
.LBB36_165:
	s_wait_alu 0xfffe
	s_or_b32 exec_lo, exec_lo, s0
	s_wait_storecnt_dscnt 0x0
	s_barrier_signal -1
	s_barrier_wait -1
	global_inv scope:SCOPE_SE
	s_clause 0x1
	scratch_load_b128 v[2:5], off, off offset:592
	scratch_load_b128 v[6:9], off, off offset:576
	v_mov_b32_e32 v1, 0
	s_mov_b32 s0, exec_lo
	ds_load_b128 v[10:13], v1 offset:1168
	s_wait_loadcnt_dscnt 0x100
	v_mul_f64_e32 v[14:15], v[12:13], v[4:5]
	v_mul_f64_e32 v[4:5], v[10:11], v[4:5]
	s_delay_alu instid0(VALU_DEP_2) | instskip(NEXT) | instid1(VALU_DEP_2)
	v_fma_f64 v[10:11], v[10:11], v[2:3], -v[14:15]
	v_fma_f64 v[2:3], v[12:13], v[2:3], v[4:5]
	s_delay_alu instid0(VALU_DEP_2) | instskip(NEXT) | instid1(VALU_DEP_2)
	v_add_f64_e32 v[4:5], 0, v[10:11]
	v_add_f64_e32 v[10:11], 0, v[2:3]
	s_wait_loadcnt 0x0
	s_delay_alu instid0(VALU_DEP_2) | instskip(NEXT) | instid1(VALU_DEP_2)
	v_add_f64_e64 v[2:3], v[6:7], -v[4:5]
	v_add_f64_e64 v[4:5], v[8:9], -v[10:11]
	scratch_store_b128 off, v[2:5], off offset:576
	v_cmpx_lt_u32_e32 34, v0
	s_cbranch_execz .LBB36_167
; %bb.166:
	scratch_load_b128 v[5:8], off, s12
	v_dual_mov_b32 v2, v1 :: v_dual_mov_b32 v3, v1
	v_mov_b32_e32 v4, v1
	scratch_store_b128 off, v[1:4], off offset:560
	s_wait_loadcnt 0x0
	ds_store_b128 v112, v[5:8]
.LBB36_167:
	s_wait_alu 0xfffe
	s_or_b32 exec_lo, exec_lo, s0
	s_wait_storecnt_dscnt 0x0
	s_barrier_signal -1
	s_barrier_wait -1
	global_inv scope:SCOPE_SE
	s_clause 0x2
	scratch_load_b128 v[2:5], off, off offset:576
	scratch_load_b128 v[6:9], off, off offset:592
	;; [unrolled: 1-line block ×3, first 2 shown]
	ds_load_b128 v[14:17], v1 offset:1152
	ds_load_b128 v[18:21], v1 offset:1168
	s_mov_b32 s0, exec_lo
	s_wait_loadcnt_dscnt 0x201
	v_mul_f64_e32 v[22:23], v[16:17], v[4:5]
	v_mul_f64_e32 v[4:5], v[14:15], v[4:5]
	s_wait_loadcnt_dscnt 0x100
	v_mul_f64_e32 v[24:25], v[18:19], v[8:9]
	v_mul_f64_e32 v[8:9], v[20:21], v[8:9]
	s_delay_alu instid0(VALU_DEP_4) | instskip(NEXT) | instid1(VALU_DEP_4)
	v_fma_f64 v[14:15], v[14:15], v[2:3], -v[22:23]
	v_fma_f64 v[1:2], v[16:17], v[2:3], v[4:5]
	s_delay_alu instid0(VALU_DEP_4) | instskip(NEXT) | instid1(VALU_DEP_4)
	v_fma_f64 v[3:4], v[20:21], v[6:7], v[24:25]
	v_fma_f64 v[5:6], v[18:19], v[6:7], -v[8:9]
	s_delay_alu instid0(VALU_DEP_4) | instskip(NEXT) | instid1(VALU_DEP_4)
	v_add_f64_e32 v[7:8], 0, v[14:15]
	v_add_f64_e32 v[1:2], 0, v[1:2]
	s_delay_alu instid0(VALU_DEP_2) | instskip(NEXT) | instid1(VALU_DEP_2)
	v_add_f64_e32 v[5:6], v[7:8], v[5:6]
	v_add_f64_e32 v[3:4], v[1:2], v[3:4]
	s_wait_loadcnt 0x0
	s_delay_alu instid0(VALU_DEP_2) | instskip(NEXT) | instid1(VALU_DEP_2)
	v_add_f64_e64 v[1:2], v[10:11], -v[5:6]
	v_add_f64_e64 v[3:4], v[12:13], -v[3:4]
	scratch_store_b128 off, v[1:4], off offset:560
	v_cmpx_lt_u32_e32 33, v0
	s_cbranch_execz .LBB36_169
; %bb.168:
	scratch_load_b128 v[1:4], off, s4
	v_mov_b32_e32 v5, 0
	s_delay_alu instid0(VALU_DEP_1)
	v_dual_mov_b32 v6, v5 :: v_dual_mov_b32 v7, v5
	v_mov_b32_e32 v8, v5
	scratch_store_b128 off, v[5:8], off offset:544
	s_wait_loadcnt 0x0
	ds_store_b128 v112, v[1:4]
.LBB36_169:
	s_wait_alu 0xfffe
	s_or_b32 exec_lo, exec_lo, s0
	s_wait_storecnt_dscnt 0x0
	s_barrier_signal -1
	s_barrier_wait -1
	global_inv scope:SCOPE_SE
	s_clause 0x3
	scratch_load_b128 v[2:5], off, off offset:560
	scratch_load_b128 v[6:9], off, off offset:576
	;; [unrolled: 1-line block ×4, first 2 shown]
	v_mov_b32_e32 v1, 0
	ds_load_b128 v[18:21], v1 offset:1136
	ds_load_b128 v[22:25], v1 offset:1152
	s_mov_b32 s0, exec_lo
	s_wait_loadcnt_dscnt 0x301
	v_mul_f64_e32 v[26:27], v[20:21], v[4:5]
	v_mul_f64_e32 v[4:5], v[18:19], v[4:5]
	s_wait_loadcnt_dscnt 0x200
	v_mul_f64_e32 v[28:29], v[22:23], v[8:9]
	v_mul_f64_e32 v[8:9], v[24:25], v[8:9]
	s_delay_alu instid0(VALU_DEP_4) | instskip(NEXT) | instid1(VALU_DEP_4)
	v_fma_f64 v[18:19], v[18:19], v[2:3], -v[26:27]
	v_fma_f64 v[20:21], v[20:21], v[2:3], v[4:5]
	ds_load_b128 v[2:5], v1 offset:1168
	v_fma_f64 v[24:25], v[24:25], v[6:7], v[28:29]
	v_fma_f64 v[6:7], v[22:23], v[6:7], -v[8:9]
	s_wait_loadcnt_dscnt 0x100
	v_mul_f64_e32 v[26:27], v[2:3], v[12:13]
	v_mul_f64_e32 v[12:13], v[4:5], v[12:13]
	v_add_f64_e32 v[8:9], 0, v[18:19]
	v_add_f64_e32 v[18:19], 0, v[20:21]
	s_delay_alu instid0(VALU_DEP_4) | instskip(NEXT) | instid1(VALU_DEP_4)
	v_fma_f64 v[4:5], v[4:5], v[10:11], v[26:27]
	v_fma_f64 v[2:3], v[2:3], v[10:11], -v[12:13]
	s_delay_alu instid0(VALU_DEP_4) | instskip(NEXT) | instid1(VALU_DEP_4)
	v_add_f64_e32 v[6:7], v[8:9], v[6:7]
	v_add_f64_e32 v[8:9], v[18:19], v[24:25]
	s_delay_alu instid0(VALU_DEP_2) | instskip(NEXT) | instid1(VALU_DEP_2)
	v_add_f64_e32 v[2:3], v[6:7], v[2:3]
	v_add_f64_e32 v[4:5], v[8:9], v[4:5]
	s_wait_loadcnt 0x0
	s_delay_alu instid0(VALU_DEP_2) | instskip(NEXT) | instid1(VALU_DEP_2)
	v_add_f64_e64 v[2:3], v[14:15], -v[2:3]
	v_add_f64_e64 v[4:5], v[16:17], -v[4:5]
	scratch_store_b128 off, v[2:5], off offset:544
	v_cmpx_lt_u32_e32 32, v0
	s_cbranch_execz .LBB36_171
; %bb.170:
	scratch_load_b128 v[5:8], off, s10
	v_dual_mov_b32 v2, v1 :: v_dual_mov_b32 v3, v1
	v_mov_b32_e32 v4, v1
	scratch_store_b128 off, v[1:4], off offset:528
	s_wait_loadcnt 0x0
	ds_store_b128 v112, v[5:8]
.LBB36_171:
	s_wait_alu 0xfffe
	s_or_b32 exec_lo, exec_lo, s0
	s_wait_storecnt_dscnt 0x0
	s_barrier_signal -1
	s_barrier_wait -1
	global_inv scope:SCOPE_SE
	s_clause 0x4
	scratch_load_b128 v[2:5], off, off offset:544
	scratch_load_b128 v[6:9], off, off offset:560
	;; [unrolled: 1-line block ×5, first 2 shown]
	ds_load_b128 v[22:25], v1 offset:1120
	ds_load_b128 v[26:29], v1 offset:1136
	s_mov_b32 s0, exec_lo
	s_wait_loadcnt_dscnt 0x401
	v_mul_f64_e32 v[30:31], v[24:25], v[4:5]
	v_mul_f64_e32 v[4:5], v[22:23], v[4:5]
	s_wait_loadcnt_dscnt 0x300
	v_mul_f64_e32 v[32:33], v[26:27], v[8:9]
	v_mul_f64_e32 v[8:9], v[28:29], v[8:9]
	s_delay_alu instid0(VALU_DEP_4) | instskip(NEXT) | instid1(VALU_DEP_4)
	v_fma_f64 v[30:31], v[22:23], v[2:3], -v[30:31]
	v_fma_f64 v[34:35], v[24:25], v[2:3], v[4:5]
	ds_load_b128 v[2:5], v1 offset:1152
	ds_load_b128 v[22:25], v1 offset:1168
	v_fma_f64 v[28:29], v[28:29], v[6:7], v[32:33]
	v_fma_f64 v[6:7], v[26:27], v[6:7], -v[8:9]
	s_wait_loadcnt_dscnt 0x201
	v_mul_f64_e32 v[36:37], v[2:3], v[12:13]
	v_mul_f64_e32 v[12:13], v[4:5], v[12:13]
	v_add_f64_e32 v[8:9], 0, v[30:31]
	v_add_f64_e32 v[26:27], 0, v[34:35]
	s_wait_loadcnt_dscnt 0x100
	v_mul_f64_e32 v[30:31], v[22:23], v[16:17]
	v_mul_f64_e32 v[16:17], v[24:25], v[16:17]
	v_fma_f64 v[4:5], v[4:5], v[10:11], v[36:37]
	v_fma_f64 v[1:2], v[2:3], v[10:11], -v[12:13]
	v_add_f64_e32 v[6:7], v[8:9], v[6:7]
	v_add_f64_e32 v[8:9], v[26:27], v[28:29]
	v_fma_f64 v[10:11], v[24:25], v[14:15], v[30:31]
	v_fma_f64 v[12:13], v[22:23], v[14:15], -v[16:17]
	s_delay_alu instid0(VALU_DEP_4) | instskip(NEXT) | instid1(VALU_DEP_4)
	v_add_f64_e32 v[1:2], v[6:7], v[1:2]
	v_add_f64_e32 v[3:4], v[8:9], v[4:5]
	s_delay_alu instid0(VALU_DEP_2) | instskip(NEXT) | instid1(VALU_DEP_2)
	v_add_f64_e32 v[1:2], v[1:2], v[12:13]
	v_add_f64_e32 v[3:4], v[3:4], v[10:11]
	s_wait_loadcnt 0x0
	s_delay_alu instid0(VALU_DEP_2) | instskip(NEXT) | instid1(VALU_DEP_2)
	v_add_f64_e64 v[1:2], v[18:19], -v[1:2]
	v_add_f64_e64 v[3:4], v[20:21], -v[3:4]
	scratch_store_b128 off, v[1:4], off offset:528
	v_cmpx_lt_u32_e32 31, v0
	s_cbranch_execz .LBB36_173
; %bb.172:
	scratch_load_b128 v[1:4], off, s8
	v_mov_b32_e32 v5, 0
	s_delay_alu instid0(VALU_DEP_1)
	v_dual_mov_b32 v6, v5 :: v_dual_mov_b32 v7, v5
	v_mov_b32_e32 v8, v5
	scratch_store_b128 off, v[5:8], off offset:512
	s_wait_loadcnt 0x0
	ds_store_b128 v112, v[1:4]
.LBB36_173:
	s_wait_alu 0xfffe
	s_or_b32 exec_lo, exec_lo, s0
	s_wait_storecnt_dscnt 0x0
	s_barrier_signal -1
	s_barrier_wait -1
	global_inv scope:SCOPE_SE
	s_clause 0x5
	scratch_load_b128 v[2:5], off, off offset:528
	scratch_load_b128 v[6:9], off, off offset:544
	;; [unrolled: 1-line block ×6, first 2 shown]
	v_mov_b32_e32 v1, 0
	ds_load_b128 v[26:29], v1 offset:1104
	ds_load_b128 v[30:33], v1 offset:1120
	s_mov_b32 s0, exec_lo
	s_wait_loadcnt_dscnt 0x501
	v_mul_f64_e32 v[34:35], v[28:29], v[4:5]
	v_mul_f64_e32 v[4:5], v[26:27], v[4:5]
	s_wait_loadcnt_dscnt 0x400
	v_mul_f64_e32 v[36:37], v[30:31], v[8:9]
	v_mul_f64_e32 v[8:9], v[32:33], v[8:9]
	s_delay_alu instid0(VALU_DEP_4) | instskip(NEXT) | instid1(VALU_DEP_4)
	v_fma_f64 v[34:35], v[26:27], v[2:3], -v[34:35]
	v_fma_f64 v[113:114], v[28:29], v[2:3], v[4:5]
	ds_load_b128 v[2:5], v1 offset:1136
	ds_load_b128 v[26:29], v1 offset:1152
	v_fma_f64 v[32:33], v[32:33], v[6:7], v[36:37]
	v_fma_f64 v[6:7], v[30:31], v[6:7], -v[8:9]
	s_wait_loadcnt_dscnt 0x301
	v_mul_f64_e32 v[115:116], v[2:3], v[12:13]
	v_mul_f64_e32 v[12:13], v[4:5], v[12:13]
	v_add_f64_e32 v[8:9], 0, v[34:35]
	v_add_f64_e32 v[30:31], 0, v[113:114]
	s_wait_loadcnt_dscnt 0x200
	v_mul_f64_e32 v[34:35], v[26:27], v[16:17]
	v_mul_f64_e32 v[16:17], v[28:29], v[16:17]
	v_fma_f64 v[36:37], v[4:5], v[10:11], v[115:116]
	v_fma_f64 v[10:11], v[2:3], v[10:11], -v[12:13]
	ds_load_b128 v[2:5], v1 offset:1168
	v_add_f64_e32 v[6:7], v[8:9], v[6:7]
	v_add_f64_e32 v[8:9], v[30:31], v[32:33]
	v_fma_f64 v[28:29], v[28:29], v[14:15], v[34:35]
	v_fma_f64 v[14:15], v[26:27], v[14:15], -v[16:17]
	s_wait_loadcnt_dscnt 0x100
	v_mul_f64_e32 v[12:13], v[2:3], v[20:21]
	v_mul_f64_e32 v[20:21], v[4:5], v[20:21]
	v_add_f64_e32 v[6:7], v[6:7], v[10:11]
	v_add_f64_e32 v[8:9], v[8:9], v[36:37]
	s_delay_alu instid0(VALU_DEP_4) | instskip(NEXT) | instid1(VALU_DEP_4)
	v_fma_f64 v[4:5], v[4:5], v[18:19], v[12:13]
	v_fma_f64 v[2:3], v[2:3], v[18:19], -v[20:21]
	s_delay_alu instid0(VALU_DEP_4) | instskip(NEXT) | instid1(VALU_DEP_4)
	v_add_f64_e32 v[6:7], v[6:7], v[14:15]
	v_add_f64_e32 v[8:9], v[8:9], v[28:29]
	s_delay_alu instid0(VALU_DEP_2) | instskip(NEXT) | instid1(VALU_DEP_2)
	v_add_f64_e32 v[2:3], v[6:7], v[2:3]
	v_add_f64_e32 v[4:5], v[8:9], v[4:5]
	s_wait_loadcnt 0x0
	s_delay_alu instid0(VALU_DEP_2) | instskip(NEXT) | instid1(VALU_DEP_2)
	v_add_f64_e64 v[2:3], v[22:23], -v[2:3]
	v_add_f64_e64 v[4:5], v[24:25], -v[4:5]
	scratch_store_b128 off, v[2:5], off offset:512
	v_cmpx_lt_u32_e32 30, v0
	s_cbranch_execz .LBB36_175
; %bb.174:
	scratch_load_b128 v[5:8], off, s11
	v_dual_mov_b32 v2, v1 :: v_dual_mov_b32 v3, v1
	v_mov_b32_e32 v4, v1
	scratch_store_b128 off, v[1:4], off offset:496
	s_wait_loadcnt 0x0
	ds_store_b128 v112, v[5:8]
.LBB36_175:
	s_wait_alu 0xfffe
	s_or_b32 exec_lo, exec_lo, s0
	s_wait_storecnt_dscnt 0x0
	s_barrier_signal -1
	s_barrier_wait -1
	global_inv scope:SCOPE_SE
	s_clause 0x5
	scratch_load_b128 v[2:5], off, off offset:512
	scratch_load_b128 v[6:9], off, off offset:528
	;; [unrolled: 1-line block ×6, first 2 shown]
	ds_load_b128 v[26:29], v1 offset:1088
	ds_load_b128 v[34:37], v1 offset:1104
	scratch_load_b128 v[30:33], off, off offset:496
	s_mov_b32 s0, exec_lo
	s_wait_loadcnt_dscnt 0x601
	v_mul_f64_e32 v[113:114], v[28:29], v[4:5]
	v_mul_f64_e32 v[4:5], v[26:27], v[4:5]
	s_wait_loadcnt_dscnt 0x500
	v_mul_f64_e32 v[115:116], v[34:35], v[8:9]
	v_mul_f64_e32 v[8:9], v[36:37], v[8:9]
	s_delay_alu instid0(VALU_DEP_4) | instskip(NEXT) | instid1(VALU_DEP_4)
	v_fma_f64 v[113:114], v[26:27], v[2:3], -v[113:114]
	v_fma_f64 v[117:118], v[28:29], v[2:3], v[4:5]
	ds_load_b128 v[2:5], v1 offset:1120
	ds_load_b128 v[26:29], v1 offset:1136
	v_fma_f64 v[36:37], v[36:37], v[6:7], v[115:116]
	v_fma_f64 v[6:7], v[34:35], v[6:7], -v[8:9]
	s_wait_loadcnt_dscnt 0x401
	v_mul_f64_e32 v[119:120], v[2:3], v[12:13]
	v_mul_f64_e32 v[12:13], v[4:5], v[12:13]
	v_add_f64_e32 v[8:9], 0, v[113:114]
	v_add_f64_e32 v[34:35], 0, v[117:118]
	s_wait_loadcnt_dscnt 0x300
	v_mul_f64_e32 v[113:114], v[26:27], v[16:17]
	v_mul_f64_e32 v[16:17], v[28:29], v[16:17]
	v_fma_f64 v[115:116], v[4:5], v[10:11], v[119:120]
	v_fma_f64 v[10:11], v[2:3], v[10:11], -v[12:13]
	v_add_f64_e32 v[12:13], v[8:9], v[6:7]
	v_add_f64_e32 v[34:35], v[34:35], v[36:37]
	ds_load_b128 v[2:5], v1 offset:1152
	ds_load_b128 v[6:9], v1 offset:1168
	v_fma_f64 v[28:29], v[28:29], v[14:15], v[113:114]
	v_fma_f64 v[14:15], v[26:27], v[14:15], -v[16:17]
	s_wait_loadcnt_dscnt 0x201
	v_mul_f64_e32 v[36:37], v[2:3], v[20:21]
	v_mul_f64_e32 v[20:21], v[4:5], v[20:21]
	s_wait_loadcnt_dscnt 0x100
	v_mul_f64_e32 v[16:17], v[6:7], v[24:25]
	v_mul_f64_e32 v[24:25], v[8:9], v[24:25]
	v_add_f64_e32 v[10:11], v[12:13], v[10:11]
	v_add_f64_e32 v[12:13], v[34:35], v[115:116]
	v_fma_f64 v[4:5], v[4:5], v[18:19], v[36:37]
	v_fma_f64 v[1:2], v[2:3], v[18:19], -v[20:21]
	v_fma_f64 v[8:9], v[8:9], v[22:23], v[16:17]
	v_fma_f64 v[6:7], v[6:7], v[22:23], -v[24:25]
	v_add_f64_e32 v[10:11], v[10:11], v[14:15]
	v_add_f64_e32 v[12:13], v[12:13], v[28:29]
	s_delay_alu instid0(VALU_DEP_2) | instskip(NEXT) | instid1(VALU_DEP_2)
	v_add_f64_e32 v[1:2], v[10:11], v[1:2]
	v_add_f64_e32 v[3:4], v[12:13], v[4:5]
	s_delay_alu instid0(VALU_DEP_2) | instskip(NEXT) | instid1(VALU_DEP_2)
	v_add_f64_e32 v[1:2], v[1:2], v[6:7]
	v_add_f64_e32 v[3:4], v[3:4], v[8:9]
	s_wait_loadcnt 0x0
	s_delay_alu instid0(VALU_DEP_2) | instskip(NEXT) | instid1(VALU_DEP_2)
	v_add_f64_e64 v[1:2], v[30:31], -v[1:2]
	v_add_f64_e64 v[3:4], v[32:33], -v[3:4]
	scratch_store_b128 off, v[1:4], off offset:496
	v_cmpx_lt_u32_e32 29, v0
	s_cbranch_execz .LBB36_177
; %bb.176:
	scratch_load_b128 v[1:4], off, s5
	v_mov_b32_e32 v5, 0
	s_delay_alu instid0(VALU_DEP_1)
	v_dual_mov_b32 v6, v5 :: v_dual_mov_b32 v7, v5
	v_mov_b32_e32 v8, v5
	scratch_store_b128 off, v[5:8], off offset:480
	s_wait_loadcnt 0x0
	ds_store_b128 v112, v[1:4]
.LBB36_177:
	s_wait_alu 0xfffe
	s_or_b32 exec_lo, exec_lo, s0
	s_wait_storecnt_dscnt 0x0
	s_barrier_signal -1
	s_barrier_wait -1
	global_inv scope:SCOPE_SE
	s_clause 0x6
	scratch_load_b128 v[2:5], off, off offset:496
	scratch_load_b128 v[6:9], off, off offset:512
	;; [unrolled: 1-line block ×7, first 2 shown]
	v_mov_b32_e32 v1, 0
	scratch_load_b128 v[34:37], off, off offset:480
	s_mov_b32 s0, exec_lo
	ds_load_b128 v[30:33], v1 offset:1072
	ds_load_b128 v[113:116], v1 offset:1088
	s_wait_loadcnt_dscnt 0x701
	v_mul_f64_e32 v[117:118], v[32:33], v[4:5]
	v_mul_f64_e32 v[4:5], v[30:31], v[4:5]
	s_wait_loadcnt_dscnt 0x600
	v_mul_f64_e32 v[119:120], v[113:114], v[8:9]
	v_mul_f64_e32 v[8:9], v[115:116], v[8:9]
	s_delay_alu instid0(VALU_DEP_4) | instskip(NEXT) | instid1(VALU_DEP_4)
	v_fma_f64 v[117:118], v[30:31], v[2:3], -v[117:118]
	v_fma_f64 v[121:122], v[32:33], v[2:3], v[4:5]
	ds_load_b128 v[2:5], v1 offset:1104
	ds_load_b128 v[30:33], v1 offset:1120
	v_fma_f64 v[115:116], v[115:116], v[6:7], v[119:120]
	v_fma_f64 v[6:7], v[113:114], v[6:7], -v[8:9]
	s_wait_loadcnt_dscnt 0x501
	v_mul_f64_e32 v[123:124], v[2:3], v[12:13]
	v_mul_f64_e32 v[12:13], v[4:5], v[12:13]
	v_add_f64_e32 v[8:9], 0, v[117:118]
	v_add_f64_e32 v[113:114], 0, v[121:122]
	s_wait_loadcnt_dscnt 0x400
	v_mul_f64_e32 v[117:118], v[30:31], v[16:17]
	v_mul_f64_e32 v[16:17], v[32:33], v[16:17]
	v_fma_f64 v[119:120], v[4:5], v[10:11], v[123:124]
	v_fma_f64 v[10:11], v[2:3], v[10:11], -v[12:13]
	v_add_f64_e32 v[12:13], v[8:9], v[6:7]
	v_add_f64_e32 v[113:114], v[113:114], v[115:116]
	ds_load_b128 v[2:5], v1 offset:1136
	ds_load_b128 v[6:9], v1 offset:1152
	v_fma_f64 v[32:33], v[32:33], v[14:15], v[117:118]
	v_fma_f64 v[14:15], v[30:31], v[14:15], -v[16:17]
	s_wait_loadcnt_dscnt 0x301
	v_mul_f64_e32 v[115:116], v[2:3], v[20:21]
	v_mul_f64_e32 v[20:21], v[4:5], v[20:21]
	s_wait_loadcnt_dscnt 0x200
	v_mul_f64_e32 v[16:17], v[6:7], v[24:25]
	v_mul_f64_e32 v[24:25], v[8:9], v[24:25]
	v_add_f64_e32 v[10:11], v[12:13], v[10:11]
	v_add_f64_e32 v[12:13], v[113:114], v[119:120]
	v_fma_f64 v[30:31], v[4:5], v[18:19], v[115:116]
	v_fma_f64 v[18:19], v[2:3], v[18:19], -v[20:21]
	ds_load_b128 v[2:5], v1 offset:1168
	v_fma_f64 v[8:9], v[8:9], v[22:23], v[16:17]
	v_fma_f64 v[6:7], v[6:7], v[22:23], -v[24:25]
	v_add_f64_e32 v[10:11], v[10:11], v[14:15]
	v_add_f64_e32 v[12:13], v[12:13], v[32:33]
	s_wait_loadcnt_dscnt 0x100
	v_mul_f64_e32 v[14:15], v[2:3], v[28:29]
	v_mul_f64_e32 v[20:21], v[4:5], v[28:29]
	s_delay_alu instid0(VALU_DEP_4) | instskip(NEXT) | instid1(VALU_DEP_4)
	v_add_f64_e32 v[10:11], v[10:11], v[18:19]
	v_add_f64_e32 v[12:13], v[12:13], v[30:31]
	s_delay_alu instid0(VALU_DEP_4) | instskip(NEXT) | instid1(VALU_DEP_4)
	v_fma_f64 v[4:5], v[4:5], v[26:27], v[14:15]
	v_fma_f64 v[2:3], v[2:3], v[26:27], -v[20:21]
	s_delay_alu instid0(VALU_DEP_4) | instskip(NEXT) | instid1(VALU_DEP_4)
	v_add_f64_e32 v[6:7], v[10:11], v[6:7]
	v_add_f64_e32 v[8:9], v[12:13], v[8:9]
	s_delay_alu instid0(VALU_DEP_2) | instskip(NEXT) | instid1(VALU_DEP_2)
	v_add_f64_e32 v[2:3], v[6:7], v[2:3]
	v_add_f64_e32 v[4:5], v[8:9], v[4:5]
	s_wait_loadcnt 0x0
	s_delay_alu instid0(VALU_DEP_2) | instskip(NEXT) | instid1(VALU_DEP_2)
	v_add_f64_e64 v[2:3], v[34:35], -v[2:3]
	v_add_f64_e64 v[4:5], v[36:37], -v[4:5]
	scratch_store_b128 off, v[2:5], off offset:480
	v_cmpx_lt_u32_e32 28, v0
	s_cbranch_execz .LBB36_179
; %bb.178:
	scratch_load_b128 v[5:8], off, s14
	v_dual_mov_b32 v2, v1 :: v_dual_mov_b32 v3, v1
	v_mov_b32_e32 v4, v1
	scratch_store_b128 off, v[1:4], off offset:464
	s_wait_loadcnt 0x0
	ds_store_b128 v112, v[5:8]
.LBB36_179:
	s_wait_alu 0xfffe
	s_or_b32 exec_lo, exec_lo, s0
	s_wait_storecnt_dscnt 0x0
	s_barrier_signal -1
	s_barrier_wait -1
	global_inv scope:SCOPE_SE
	s_clause 0x7
	scratch_load_b128 v[2:5], off, off offset:480
	scratch_load_b128 v[6:9], off, off offset:496
	;; [unrolled: 1-line block ×8, first 2 shown]
	ds_load_b128 v[34:37], v1 offset:1056
	ds_load_b128 v[113:116], v1 offset:1072
	scratch_load_b128 v[117:120], off, off offset:464
	s_mov_b32 s0, exec_lo
	s_wait_loadcnt_dscnt 0x801
	v_mul_f64_e32 v[121:122], v[36:37], v[4:5]
	v_mul_f64_e32 v[4:5], v[34:35], v[4:5]
	s_wait_loadcnt_dscnt 0x700
	v_mul_f64_e32 v[123:124], v[113:114], v[8:9]
	v_mul_f64_e32 v[8:9], v[115:116], v[8:9]
	s_delay_alu instid0(VALU_DEP_4) | instskip(NEXT) | instid1(VALU_DEP_4)
	v_fma_f64 v[121:122], v[34:35], v[2:3], -v[121:122]
	v_fma_f64 v[125:126], v[36:37], v[2:3], v[4:5]
	ds_load_b128 v[2:5], v1 offset:1088
	ds_load_b128 v[34:37], v1 offset:1104
	v_fma_f64 v[115:116], v[115:116], v[6:7], v[123:124]
	v_fma_f64 v[6:7], v[113:114], v[6:7], -v[8:9]
	s_wait_loadcnt_dscnt 0x601
	v_mul_f64_e32 v[127:128], v[2:3], v[12:13]
	v_mul_f64_e32 v[12:13], v[4:5], v[12:13]
	v_add_f64_e32 v[8:9], 0, v[121:122]
	v_add_f64_e32 v[113:114], 0, v[125:126]
	s_wait_loadcnt_dscnt 0x500
	v_mul_f64_e32 v[121:122], v[34:35], v[16:17]
	v_mul_f64_e32 v[16:17], v[36:37], v[16:17]
	v_fma_f64 v[123:124], v[4:5], v[10:11], v[127:128]
	v_fma_f64 v[10:11], v[2:3], v[10:11], -v[12:13]
	v_add_f64_e32 v[12:13], v[8:9], v[6:7]
	v_add_f64_e32 v[113:114], v[113:114], v[115:116]
	ds_load_b128 v[2:5], v1 offset:1120
	ds_load_b128 v[6:9], v1 offset:1136
	v_fma_f64 v[36:37], v[36:37], v[14:15], v[121:122]
	v_fma_f64 v[14:15], v[34:35], v[14:15], -v[16:17]
	s_wait_loadcnt_dscnt 0x401
	v_mul_f64_e32 v[115:116], v[2:3], v[20:21]
	v_mul_f64_e32 v[20:21], v[4:5], v[20:21]
	s_wait_loadcnt_dscnt 0x300
	v_mul_f64_e32 v[16:17], v[6:7], v[24:25]
	v_mul_f64_e32 v[24:25], v[8:9], v[24:25]
	v_add_f64_e32 v[10:11], v[12:13], v[10:11]
	v_add_f64_e32 v[12:13], v[113:114], v[123:124]
	v_fma_f64 v[34:35], v[4:5], v[18:19], v[115:116]
	v_fma_f64 v[18:19], v[2:3], v[18:19], -v[20:21]
	v_fma_f64 v[8:9], v[8:9], v[22:23], v[16:17]
	v_fma_f64 v[6:7], v[6:7], v[22:23], -v[24:25]
	v_add_f64_e32 v[14:15], v[10:11], v[14:15]
	v_add_f64_e32 v[20:21], v[12:13], v[36:37]
	ds_load_b128 v[2:5], v1 offset:1152
	ds_load_b128 v[10:13], v1 offset:1168
	s_wait_loadcnt_dscnt 0x201
	v_mul_f64_e32 v[36:37], v[2:3], v[28:29]
	v_mul_f64_e32 v[28:29], v[4:5], v[28:29]
	v_add_f64_e32 v[14:15], v[14:15], v[18:19]
	v_add_f64_e32 v[16:17], v[20:21], v[34:35]
	s_wait_loadcnt_dscnt 0x100
	v_mul_f64_e32 v[18:19], v[10:11], v[32:33]
	v_mul_f64_e32 v[20:21], v[12:13], v[32:33]
	v_fma_f64 v[4:5], v[4:5], v[26:27], v[36:37]
	v_fma_f64 v[1:2], v[2:3], v[26:27], -v[28:29]
	v_add_f64_e32 v[6:7], v[14:15], v[6:7]
	v_add_f64_e32 v[8:9], v[16:17], v[8:9]
	v_fma_f64 v[12:13], v[12:13], v[30:31], v[18:19]
	v_fma_f64 v[10:11], v[10:11], v[30:31], -v[20:21]
	s_delay_alu instid0(VALU_DEP_4) | instskip(NEXT) | instid1(VALU_DEP_4)
	v_add_f64_e32 v[1:2], v[6:7], v[1:2]
	v_add_f64_e32 v[3:4], v[8:9], v[4:5]
	s_delay_alu instid0(VALU_DEP_2) | instskip(NEXT) | instid1(VALU_DEP_2)
	v_add_f64_e32 v[1:2], v[1:2], v[10:11]
	v_add_f64_e32 v[3:4], v[3:4], v[12:13]
	s_wait_loadcnt 0x0
	s_delay_alu instid0(VALU_DEP_2) | instskip(NEXT) | instid1(VALU_DEP_2)
	v_add_f64_e64 v[1:2], v[117:118], -v[1:2]
	v_add_f64_e64 v[3:4], v[119:120], -v[3:4]
	scratch_store_b128 off, v[1:4], off offset:464
	v_cmpx_lt_u32_e32 27, v0
	s_cbranch_execz .LBB36_181
; %bb.180:
	scratch_load_b128 v[1:4], off, s20
	v_mov_b32_e32 v5, 0
	s_delay_alu instid0(VALU_DEP_1)
	v_dual_mov_b32 v6, v5 :: v_dual_mov_b32 v7, v5
	v_mov_b32_e32 v8, v5
	scratch_store_b128 off, v[5:8], off offset:448
	s_wait_loadcnt 0x0
	ds_store_b128 v112, v[1:4]
.LBB36_181:
	s_wait_alu 0xfffe
	s_or_b32 exec_lo, exec_lo, s0
	s_wait_storecnt_dscnt 0x0
	s_barrier_signal -1
	s_barrier_wait -1
	global_inv scope:SCOPE_SE
	s_clause 0x7
	scratch_load_b128 v[2:5], off, off offset:464
	scratch_load_b128 v[6:9], off, off offset:480
	;; [unrolled: 1-line block ×8, first 2 shown]
	v_mov_b32_e32 v1, 0
	s_mov_b32 s0, exec_lo
	ds_load_b128 v[34:37], v1 offset:1040
	s_clause 0x1
	scratch_load_b128 v[113:116], off, off offset:592
	scratch_load_b128 v[117:120], off, off offset:448
	ds_load_b128 v[121:124], v1 offset:1056
	s_wait_loadcnt_dscnt 0x901
	v_mul_f64_e32 v[125:126], v[36:37], v[4:5]
	v_mul_f64_e32 v[4:5], v[34:35], v[4:5]
	s_wait_loadcnt_dscnt 0x800
	v_mul_f64_e32 v[127:128], v[121:122], v[8:9]
	v_mul_f64_e32 v[8:9], v[123:124], v[8:9]
	s_delay_alu instid0(VALU_DEP_4) | instskip(NEXT) | instid1(VALU_DEP_4)
	v_fma_f64 v[125:126], v[34:35], v[2:3], -v[125:126]
	v_fma_f64 v[129:130], v[36:37], v[2:3], v[4:5]
	ds_load_b128 v[2:5], v1 offset:1072
	ds_load_b128 v[34:37], v1 offset:1088
	v_fma_f64 v[123:124], v[123:124], v[6:7], v[127:128]
	v_fma_f64 v[6:7], v[121:122], v[6:7], -v[8:9]
	s_wait_loadcnt_dscnt 0x701
	v_mul_f64_e32 v[131:132], v[2:3], v[12:13]
	v_mul_f64_e32 v[12:13], v[4:5], v[12:13]
	v_add_f64_e32 v[8:9], 0, v[125:126]
	v_add_f64_e32 v[121:122], 0, v[129:130]
	s_wait_loadcnt_dscnt 0x600
	v_mul_f64_e32 v[125:126], v[34:35], v[16:17]
	v_mul_f64_e32 v[16:17], v[36:37], v[16:17]
	v_fma_f64 v[127:128], v[4:5], v[10:11], v[131:132]
	v_fma_f64 v[10:11], v[2:3], v[10:11], -v[12:13]
	v_add_f64_e32 v[12:13], v[8:9], v[6:7]
	v_add_f64_e32 v[121:122], v[121:122], v[123:124]
	ds_load_b128 v[2:5], v1 offset:1104
	ds_load_b128 v[6:9], v1 offset:1120
	v_fma_f64 v[36:37], v[36:37], v[14:15], v[125:126]
	v_fma_f64 v[14:15], v[34:35], v[14:15], -v[16:17]
	s_wait_loadcnt_dscnt 0x501
	v_mul_f64_e32 v[123:124], v[2:3], v[20:21]
	v_mul_f64_e32 v[20:21], v[4:5], v[20:21]
	s_wait_loadcnt_dscnt 0x400
	v_mul_f64_e32 v[16:17], v[6:7], v[24:25]
	v_mul_f64_e32 v[24:25], v[8:9], v[24:25]
	v_add_f64_e32 v[10:11], v[12:13], v[10:11]
	v_add_f64_e32 v[12:13], v[121:122], v[127:128]
	v_fma_f64 v[34:35], v[4:5], v[18:19], v[123:124]
	v_fma_f64 v[18:19], v[2:3], v[18:19], -v[20:21]
	v_fma_f64 v[8:9], v[8:9], v[22:23], v[16:17]
	v_fma_f64 v[6:7], v[6:7], v[22:23], -v[24:25]
	v_add_f64_e32 v[14:15], v[10:11], v[14:15]
	v_add_f64_e32 v[20:21], v[12:13], v[36:37]
	ds_load_b128 v[2:5], v1 offset:1136
	ds_load_b128 v[10:13], v1 offset:1152
	s_wait_loadcnt_dscnt 0x301
	v_mul_f64_e32 v[36:37], v[2:3], v[28:29]
	v_mul_f64_e32 v[28:29], v[4:5], v[28:29]
	v_add_f64_e32 v[14:15], v[14:15], v[18:19]
	v_add_f64_e32 v[16:17], v[20:21], v[34:35]
	s_wait_loadcnt_dscnt 0x200
	v_mul_f64_e32 v[18:19], v[10:11], v[32:33]
	v_mul_f64_e32 v[20:21], v[12:13], v[32:33]
	v_fma_f64 v[22:23], v[4:5], v[26:27], v[36:37]
	v_fma_f64 v[24:25], v[2:3], v[26:27], -v[28:29]
	ds_load_b128 v[2:5], v1 offset:1168
	v_add_f64_e32 v[6:7], v[14:15], v[6:7]
	v_add_f64_e32 v[8:9], v[16:17], v[8:9]
	v_fma_f64 v[12:13], v[12:13], v[30:31], v[18:19]
	v_fma_f64 v[10:11], v[10:11], v[30:31], -v[20:21]
	s_wait_loadcnt_dscnt 0x100
	v_mul_f64_e32 v[14:15], v[2:3], v[115:116]
	v_mul_f64_e32 v[16:17], v[4:5], v[115:116]
	v_add_f64_e32 v[6:7], v[6:7], v[24:25]
	v_add_f64_e32 v[8:9], v[8:9], v[22:23]
	s_delay_alu instid0(VALU_DEP_4) | instskip(NEXT) | instid1(VALU_DEP_4)
	v_fma_f64 v[4:5], v[4:5], v[113:114], v[14:15]
	v_fma_f64 v[2:3], v[2:3], v[113:114], -v[16:17]
	s_delay_alu instid0(VALU_DEP_4) | instskip(NEXT) | instid1(VALU_DEP_4)
	v_add_f64_e32 v[6:7], v[6:7], v[10:11]
	v_add_f64_e32 v[8:9], v[8:9], v[12:13]
	s_delay_alu instid0(VALU_DEP_2) | instskip(NEXT) | instid1(VALU_DEP_2)
	v_add_f64_e32 v[2:3], v[6:7], v[2:3]
	v_add_f64_e32 v[4:5], v[8:9], v[4:5]
	s_wait_loadcnt 0x0
	s_delay_alu instid0(VALU_DEP_2) | instskip(NEXT) | instid1(VALU_DEP_2)
	v_add_f64_e64 v[2:3], v[117:118], -v[2:3]
	v_add_f64_e64 v[4:5], v[119:120], -v[4:5]
	scratch_store_b128 off, v[2:5], off offset:448
	v_cmpx_lt_u32_e32 26, v0
	s_cbranch_execz .LBB36_183
; %bb.182:
	scratch_load_b128 v[5:8], off, s21
	v_dual_mov_b32 v2, v1 :: v_dual_mov_b32 v3, v1
	v_mov_b32_e32 v4, v1
	scratch_store_b128 off, v[1:4], off offset:432
	s_wait_loadcnt 0x0
	ds_store_b128 v112, v[5:8]
.LBB36_183:
	s_wait_alu 0xfffe
	s_or_b32 exec_lo, exec_lo, s0
	s_wait_storecnt_dscnt 0x0
	s_barrier_signal -1
	s_barrier_wait -1
	global_inv scope:SCOPE_SE
	s_clause 0x8
	scratch_load_b128 v[2:5], off, off offset:448
	scratch_load_b128 v[6:9], off, off offset:464
	scratch_load_b128 v[10:13], off, off offset:480
	scratch_load_b128 v[14:17], off, off offset:496
	scratch_load_b128 v[18:21], off, off offset:512
	scratch_load_b128 v[22:25], off, off offset:528
	scratch_load_b128 v[26:29], off, off offset:544
	scratch_load_b128 v[30:33], off, off offset:560
	scratch_load_b128 v[34:37], off, off offset:576
	ds_load_b128 v[113:116], v1 offset:1024
	ds_load_b128 v[117:120], v1 offset:1040
	s_clause 0x1
	scratch_load_b128 v[121:124], off, off offset:432
	scratch_load_b128 v[125:128], off, off offset:592
	s_mov_b32 s0, exec_lo
	s_wait_loadcnt_dscnt 0xa01
	v_mul_f64_e32 v[129:130], v[115:116], v[4:5]
	v_mul_f64_e32 v[4:5], v[113:114], v[4:5]
	s_wait_loadcnt_dscnt 0x900
	v_mul_f64_e32 v[131:132], v[117:118], v[8:9]
	v_mul_f64_e32 v[8:9], v[119:120], v[8:9]
	s_delay_alu instid0(VALU_DEP_4) | instskip(NEXT) | instid1(VALU_DEP_4)
	v_fma_f64 v[129:130], v[113:114], v[2:3], -v[129:130]
	v_fma_f64 v[133:134], v[115:116], v[2:3], v[4:5]
	ds_load_b128 v[2:5], v1 offset:1056
	ds_load_b128 v[113:116], v1 offset:1072
	v_fma_f64 v[119:120], v[119:120], v[6:7], v[131:132]
	v_fma_f64 v[6:7], v[117:118], v[6:7], -v[8:9]
	s_wait_loadcnt_dscnt 0x801
	v_mul_f64_e32 v[135:136], v[2:3], v[12:13]
	v_mul_f64_e32 v[12:13], v[4:5], v[12:13]
	v_add_f64_e32 v[8:9], 0, v[129:130]
	v_add_f64_e32 v[117:118], 0, v[133:134]
	s_wait_loadcnt_dscnt 0x700
	v_mul_f64_e32 v[129:130], v[113:114], v[16:17]
	v_mul_f64_e32 v[16:17], v[115:116], v[16:17]
	v_fma_f64 v[131:132], v[4:5], v[10:11], v[135:136]
	v_fma_f64 v[10:11], v[2:3], v[10:11], -v[12:13]
	v_add_f64_e32 v[12:13], v[8:9], v[6:7]
	v_add_f64_e32 v[117:118], v[117:118], v[119:120]
	ds_load_b128 v[2:5], v1 offset:1088
	ds_load_b128 v[6:9], v1 offset:1104
	v_fma_f64 v[115:116], v[115:116], v[14:15], v[129:130]
	v_fma_f64 v[14:15], v[113:114], v[14:15], -v[16:17]
	s_wait_loadcnt_dscnt 0x601
	v_mul_f64_e32 v[119:120], v[2:3], v[20:21]
	v_mul_f64_e32 v[20:21], v[4:5], v[20:21]
	s_wait_loadcnt_dscnt 0x500
	v_mul_f64_e32 v[16:17], v[6:7], v[24:25]
	v_mul_f64_e32 v[24:25], v[8:9], v[24:25]
	v_add_f64_e32 v[10:11], v[12:13], v[10:11]
	v_add_f64_e32 v[12:13], v[117:118], v[131:132]
	v_fma_f64 v[113:114], v[4:5], v[18:19], v[119:120]
	v_fma_f64 v[18:19], v[2:3], v[18:19], -v[20:21]
	v_fma_f64 v[8:9], v[8:9], v[22:23], v[16:17]
	v_fma_f64 v[6:7], v[6:7], v[22:23], -v[24:25]
	v_add_f64_e32 v[14:15], v[10:11], v[14:15]
	v_add_f64_e32 v[20:21], v[12:13], v[115:116]
	ds_load_b128 v[2:5], v1 offset:1120
	ds_load_b128 v[10:13], v1 offset:1136
	s_wait_loadcnt_dscnt 0x401
	v_mul_f64_e32 v[115:116], v[2:3], v[28:29]
	v_mul_f64_e32 v[28:29], v[4:5], v[28:29]
	v_add_f64_e32 v[14:15], v[14:15], v[18:19]
	v_add_f64_e32 v[16:17], v[20:21], v[113:114]
	s_wait_loadcnt_dscnt 0x300
	v_mul_f64_e32 v[18:19], v[10:11], v[32:33]
	v_mul_f64_e32 v[20:21], v[12:13], v[32:33]
	v_fma_f64 v[22:23], v[4:5], v[26:27], v[115:116]
	v_fma_f64 v[24:25], v[2:3], v[26:27], -v[28:29]
	v_add_f64_e32 v[14:15], v[14:15], v[6:7]
	v_add_f64_e32 v[16:17], v[16:17], v[8:9]
	ds_load_b128 v[2:5], v1 offset:1152
	ds_load_b128 v[6:9], v1 offset:1168
	v_fma_f64 v[12:13], v[12:13], v[30:31], v[18:19]
	v_fma_f64 v[10:11], v[10:11], v[30:31], -v[20:21]
	s_wait_loadcnt_dscnt 0x201
	v_mul_f64_e32 v[26:27], v[2:3], v[36:37]
	v_mul_f64_e32 v[28:29], v[4:5], v[36:37]
	s_wait_loadcnt_dscnt 0x0
	v_mul_f64_e32 v[18:19], v[6:7], v[127:128]
	v_mul_f64_e32 v[20:21], v[8:9], v[127:128]
	v_add_f64_e32 v[14:15], v[14:15], v[24:25]
	v_add_f64_e32 v[16:17], v[16:17], v[22:23]
	v_fma_f64 v[4:5], v[4:5], v[34:35], v[26:27]
	v_fma_f64 v[1:2], v[2:3], v[34:35], -v[28:29]
	v_fma_f64 v[8:9], v[8:9], v[125:126], v[18:19]
	v_fma_f64 v[6:7], v[6:7], v[125:126], -v[20:21]
	v_add_f64_e32 v[10:11], v[14:15], v[10:11]
	v_add_f64_e32 v[12:13], v[16:17], v[12:13]
	s_delay_alu instid0(VALU_DEP_2) | instskip(NEXT) | instid1(VALU_DEP_2)
	v_add_f64_e32 v[1:2], v[10:11], v[1:2]
	v_add_f64_e32 v[3:4], v[12:13], v[4:5]
	s_delay_alu instid0(VALU_DEP_2) | instskip(NEXT) | instid1(VALU_DEP_2)
	;; [unrolled: 3-line block ×3, first 2 shown]
	v_add_f64_e64 v[1:2], v[121:122], -v[1:2]
	v_add_f64_e64 v[3:4], v[123:124], -v[3:4]
	scratch_store_b128 off, v[1:4], off offset:432
	v_cmpx_lt_u32_e32 25, v0
	s_cbranch_execz .LBB36_185
; %bb.184:
	scratch_load_b128 v[1:4], off, s22
	v_mov_b32_e32 v5, 0
	s_delay_alu instid0(VALU_DEP_1)
	v_dual_mov_b32 v6, v5 :: v_dual_mov_b32 v7, v5
	v_mov_b32_e32 v8, v5
	scratch_store_b128 off, v[5:8], off offset:416
	s_wait_loadcnt 0x0
	ds_store_b128 v112, v[1:4]
.LBB36_185:
	s_wait_alu 0xfffe
	s_or_b32 exec_lo, exec_lo, s0
	s_wait_storecnt_dscnt 0x0
	s_barrier_signal -1
	s_barrier_wait -1
	global_inv scope:SCOPE_SE
	s_clause 0x7
	scratch_load_b128 v[2:5], off, off offset:432
	scratch_load_b128 v[6:9], off, off offset:448
	scratch_load_b128 v[10:13], off, off offset:464
	scratch_load_b128 v[14:17], off, off offset:480
	scratch_load_b128 v[18:21], off, off offset:496
	scratch_load_b128 v[22:25], off, off offset:512
	scratch_load_b128 v[26:29], off, off offset:528
	scratch_load_b128 v[30:33], off, off offset:544
	v_mov_b32_e32 v1, 0
	s_mov_b32 s0, exec_lo
	ds_load_b128 v[34:37], v1 offset:1008
	s_clause 0x1
	scratch_load_b128 v[113:116], off, off offset:560
	scratch_load_b128 v[117:120], off, off offset:416
	ds_load_b128 v[121:124], v1 offset:1024
	scratch_load_b128 v[125:128], off, off offset:576
	s_wait_loadcnt_dscnt 0xa01
	v_mul_f64_e32 v[129:130], v[36:37], v[4:5]
	v_mul_f64_e32 v[4:5], v[34:35], v[4:5]
	s_delay_alu instid0(VALU_DEP_2) | instskip(NEXT) | instid1(VALU_DEP_2)
	v_fma_f64 v[135:136], v[34:35], v[2:3], -v[129:130]
	v_fma_f64 v[137:138], v[36:37], v[2:3], v[4:5]
	ds_load_b128 v[2:5], v1 offset:1040
	s_wait_loadcnt_dscnt 0x901
	v_mul_f64_e32 v[133:134], v[121:122], v[8:9]
	v_mul_f64_e32 v[8:9], v[123:124], v[8:9]
	scratch_load_b128 v[34:37], off, off offset:592
	ds_load_b128 v[129:132], v1 offset:1056
	s_wait_loadcnt_dscnt 0x901
	v_mul_f64_e32 v[139:140], v[2:3], v[12:13]
	v_mul_f64_e32 v[12:13], v[4:5], v[12:13]
	v_fma_f64 v[123:124], v[123:124], v[6:7], v[133:134]
	v_fma_f64 v[6:7], v[121:122], v[6:7], -v[8:9]
	v_add_f64_e32 v[8:9], 0, v[135:136]
	v_add_f64_e32 v[121:122], 0, v[137:138]
	s_wait_loadcnt_dscnt 0x800
	v_mul_f64_e32 v[133:134], v[129:130], v[16:17]
	v_mul_f64_e32 v[16:17], v[131:132], v[16:17]
	v_fma_f64 v[135:136], v[4:5], v[10:11], v[139:140]
	v_fma_f64 v[10:11], v[2:3], v[10:11], -v[12:13]
	v_add_f64_e32 v[12:13], v[8:9], v[6:7]
	v_add_f64_e32 v[121:122], v[121:122], v[123:124]
	ds_load_b128 v[2:5], v1 offset:1072
	ds_load_b128 v[6:9], v1 offset:1088
	v_fma_f64 v[131:132], v[131:132], v[14:15], v[133:134]
	v_fma_f64 v[14:15], v[129:130], v[14:15], -v[16:17]
	s_wait_loadcnt_dscnt 0x701
	v_mul_f64_e32 v[123:124], v[2:3], v[20:21]
	v_mul_f64_e32 v[20:21], v[4:5], v[20:21]
	s_wait_loadcnt_dscnt 0x600
	v_mul_f64_e32 v[16:17], v[6:7], v[24:25]
	v_mul_f64_e32 v[24:25], v[8:9], v[24:25]
	v_add_f64_e32 v[10:11], v[12:13], v[10:11]
	v_add_f64_e32 v[12:13], v[121:122], v[135:136]
	v_fma_f64 v[121:122], v[4:5], v[18:19], v[123:124]
	v_fma_f64 v[18:19], v[2:3], v[18:19], -v[20:21]
	v_fma_f64 v[8:9], v[8:9], v[22:23], v[16:17]
	v_fma_f64 v[6:7], v[6:7], v[22:23], -v[24:25]
	v_add_f64_e32 v[14:15], v[10:11], v[14:15]
	v_add_f64_e32 v[20:21], v[12:13], v[131:132]
	ds_load_b128 v[2:5], v1 offset:1104
	ds_load_b128 v[10:13], v1 offset:1120
	s_wait_loadcnt_dscnt 0x501
	v_mul_f64_e32 v[123:124], v[2:3], v[28:29]
	v_mul_f64_e32 v[28:29], v[4:5], v[28:29]
	v_add_f64_e32 v[14:15], v[14:15], v[18:19]
	v_add_f64_e32 v[16:17], v[20:21], v[121:122]
	s_wait_loadcnt_dscnt 0x400
	v_mul_f64_e32 v[18:19], v[10:11], v[32:33]
	v_mul_f64_e32 v[20:21], v[12:13], v[32:33]
	v_fma_f64 v[22:23], v[4:5], v[26:27], v[123:124]
	v_fma_f64 v[24:25], v[2:3], v[26:27], -v[28:29]
	v_add_f64_e32 v[14:15], v[14:15], v[6:7]
	v_add_f64_e32 v[16:17], v[16:17], v[8:9]
	ds_load_b128 v[2:5], v1 offset:1136
	ds_load_b128 v[6:9], v1 offset:1152
	v_fma_f64 v[12:13], v[12:13], v[30:31], v[18:19]
	v_fma_f64 v[10:11], v[10:11], v[30:31], -v[20:21]
	s_wait_loadcnt_dscnt 0x301
	v_mul_f64_e32 v[26:27], v[2:3], v[115:116]
	v_mul_f64_e32 v[28:29], v[4:5], v[115:116]
	s_wait_loadcnt_dscnt 0x100
	v_mul_f64_e32 v[18:19], v[6:7], v[127:128]
	v_mul_f64_e32 v[20:21], v[8:9], v[127:128]
	v_add_f64_e32 v[14:15], v[14:15], v[24:25]
	v_add_f64_e32 v[16:17], v[16:17], v[22:23]
	v_fma_f64 v[22:23], v[4:5], v[113:114], v[26:27]
	v_fma_f64 v[24:25], v[2:3], v[113:114], -v[28:29]
	ds_load_b128 v[2:5], v1 offset:1168
	v_fma_f64 v[8:9], v[8:9], v[125:126], v[18:19]
	v_fma_f64 v[6:7], v[6:7], v[125:126], -v[20:21]
	v_add_f64_e32 v[10:11], v[14:15], v[10:11]
	v_add_f64_e32 v[12:13], v[16:17], v[12:13]
	s_wait_loadcnt_dscnt 0x0
	v_mul_f64_e32 v[14:15], v[2:3], v[36:37]
	v_mul_f64_e32 v[16:17], v[4:5], v[36:37]
	s_delay_alu instid0(VALU_DEP_4) | instskip(NEXT) | instid1(VALU_DEP_4)
	v_add_f64_e32 v[10:11], v[10:11], v[24:25]
	v_add_f64_e32 v[12:13], v[12:13], v[22:23]
	s_delay_alu instid0(VALU_DEP_4) | instskip(NEXT) | instid1(VALU_DEP_4)
	v_fma_f64 v[4:5], v[4:5], v[34:35], v[14:15]
	v_fma_f64 v[2:3], v[2:3], v[34:35], -v[16:17]
	s_delay_alu instid0(VALU_DEP_4) | instskip(NEXT) | instid1(VALU_DEP_4)
	v_add_f64_e32 v[6:7], v[10:11], v[6:7]
	v_add_f64_e32 v[8:9], v[12:13], v[8:9]
	s_delay_alu instid0(VALU_DEP_2) | instskip(NEXT) | instid1(VALU_DEP_2)
	v_add_f64_e32 v[2:3], v[6:7], v[2:3]
	v_add_f64_e32 v[4:5], v[8:9], v[4:5]
	s_delay_alu instid0(VALU_DEP_2) | instskip(NEXT) | instid1(VALU_DEP_2)
	v_add_f64_e64 v[2:3], v[117:118], -v[2:3]
	v_add_f64_e64 v[4:5], v[119:120], -v[4:5]
	scratch_store_b128 off, v[2:5], off offset:416
	v_cmpx_lt_u32_e32 24, v0
	s_cbranch_execz .LBB36_187
; %bb.186:
	scratch_load_b128 v[5:8], off, s19
	v_dual_mov_b32 v2, v1 :: v_dual_mov_b32 v3, v1
	v_mov_b32_e32 v4, v1
	scratch_store_b128 off, v[1:4], off offset:400
	s_wait_loadcnt 0x0
	ds_store_b128 v112, v[5:8]
.LBB36_187:
	s_wait_alu 0xfffe
	s_or_b32 exec_lo, exec_lo, s0
	s_wait_storecnt_dscnt 0x0
	s_barrier_signal -1
	s_barrier_wait -1
	global_inv scope:SCOPE_SE
	s_clause 0x8
	scratch_load_b128 v[2:5], off, off offset:416
	scratch_load_b128 v[6:9], off, off offset:432
	;; [unrolled: 1-line block ×9, first 2 shown]
	ds_load_b128 v[113:116], v1 offset:992
	ds_load_b128 v[117:120], v1 offset:1008
	s_clause 0x1
	scratch_load_b128 v[121:124], off, off offset:400
	scratch_load_b128 v[125:128], off, off offset:560
	s_mov_b32 s0, exec_lo
	s_wait_loadcnt_dscnt 0xa01
	v_mul_f64_e32 v[129:130], v[115:116], v[4:5]
	v_mul_f64_e32 v[4:5], v[113:114], v[4:5]
	s_wait_loadcnt_dscnt 0x900
	v_mul_f64_e32 v[133:134], v[117:118], v[8:9]
	v_mul_f64_e32 v[8:9], v[119:120], v[8:9]
	s_delay_alu instid0(VALU_DEP_4) | instskip(NEXT) | instid1(VALU_DEP_4)
	v_fma_f64 v[135:136], v[113:114], v[2:3], -v[129:130]
	v_fma_f64 v[137:138], v[115:116], v[2:3], v[4:5]
	ds_load_b128 v[2:5], v1 offset:1024
	ds_load_b128 v[129:132], v1 offset:1040
	scratch_load_b128 v[113:116], off, off offset:576
	v_fma_f64 v[119:120], v[119:120], v[6:7], v[133:134]
	v_fma_f64 v[117:118], v[117:118], v[6:7], -v[8:9]
	scratch_load_b128 v[6:9], off, off offset:592
	s_wait_loadcnt_dscnt 0xa01
	v_mul_f64_e32 v[139:140], v[2:3], v[12:13]
	v_mul_f64_e32 v[12:13], v[4:5], v[12:13]
	v_add_f64_e32 v[133:134], 0, v[135:136]
	v_add_f64_e32 v[135:136], 0, v[137:138]
	s_wait_loadcnt_dscnt 0x900
	v_mul_f64_e32 v[137:138], v[129:130], v[16:17]
	v_mul_f64_e32 v[16:17], v[131:132], v[16:17]
	v_fma_f64 v[139:140], v[4:5], v[10:11], v[139:140]
	v_fma_f64 v[141:142], v[2:3], v[10:11], -v[12:13]
	ds_load_b128 v[2:5], v1 offset:1056
	ds_load_b128 v[10:13], v1 offset:1072
	v_add_f64_e32 v[117:118], v[133:134], v[117:118]
	v_add_f64_e32 v[119:120], v[135:136], v[119:120]
	v_fma_f64 v[131:132], v[131:132], v[14:15], v[137:138]
	v_fma_f64 v[14:15], v[129:130], v[14:15], -v[16:17]
	s_wait_loadcnt_dscnt 0x801
	v_mul_f64_e32 v[133:134], v[2:3], v[20:21]
	v_mul_f64_e32 v[20:21], v[4:5], v[20:21]
	v_add_f64_e32 v[16:17], v[117:118], v[141:142]
	v_add_f64_e32 v[117:118], v[119:120], v[139:140]
	s_wait_loadcnt_dscnt 0x700
	v_mul_f64_e32 v[119:120], v[10:11], v[24:25]
	v_mul_f64_e32 v[24:25], v[12:13], v[24:25]
	v_fma_f64 v[129:130], v[4:5], v[18:19], v[133:134]
	v_fma_f64 v[18:19], v[2:3], v[18:19], -v[20:21]
	v_add_f64_e32 v[20:21], v[16:17], v[14:15]
	v_add_f64_e32 v[117:118], v[117:118], v[131:132]
	ds_load_b128 v[2:5], v1 offset:1088
	ds_load_b128 v[14:17], v1 offset:1104
	v_fma_f64 v[12:13], v[12:13], v[22:23], v[119:120]
	v_fma_f64 v[10:11], v[10:11], v[22:23], -v[24:25]
	s_wait_loadcnt_dscnt 0x601
	v_mul_f64_e32 v[131:132], v[2:3], v[28:29]
	v_mul_f64_e32 v[28:29], v[4:5], v[28:29]
	s_wait_loadcnt_dscnt 0x500
	v_mul_f64_e32 v[22:23], v[14:15], v[32:33]
	v_mul_f64_e32 v[24:25], v[16:17], v[32:33]
	v_add_f64_e32 v[18:19], v[20:21], v[18:19]
	v_add_f64_e32 v[20:21], v[117:118], v[129:130]
	v_fma_f64 v[32:33], v[4:5], v[26:27], v[131:132]
	v_fma_f64 v[26:27], v[2:3], v[26:27], -v[28:29]
	v_fma_f64 v[16:17], v[16:17], v[30:31], v[22:23]
	v_fma_f64 v[14:15], v[14:15], v[30:31], -v[24:25]
	v_add_f64_e32 v[18:19], v[18:19], v[10:11]
	v_add_f64_e32 v[20:21], v[20:21], v[12:13]
	ds_load_b128 v[2:5], v1 offset:1120
	ds_load_b128 v[10:13], v1 offset:1136
	s_wait_loadcnt_dscnt 0x401
	v_mul_f64_e32 v[28:29], v[2:3], v[36:37]
	v_mul_f64_e32 v[36:37], v[4:5], v[36:37]
	s_wait_loadcnt_dscnt 0x200
	v_mul_f64_e32 v[22:23], v[10:11], v[127:128]
	v_mul_f64_e32 v[24:25], v[12:13], v[127:128]
	v_add_f64_e32 v[18:19], v[18:19], v[26:27]
	v_add_f64_e32 v[20:21], v[20:21], v[32:33]
	v_fma_f64 v[26:27], v[4:5], v[34:35], v[28:29]
	v_fma_f64 v[28:29], v[2:3], v[34:35], -v[36:37]
	v_fma_f64 v[12:13], v[12:13], v[125:126], v[22:23]
	v_fma_f64 v[10:11], v[10:11], v[125:126], -v[24:25]
	v_add_f64_e32 v[18:19], v[18:19], v[14:15]
	v_add_f64_e32 v[20:21], v[20:21], v[16:17]
	ds_load_b128 v[2:5], v1 offset:1152
	ds_load_b128 v[14:17], v1 offset:1168
	s_wait_loadcnt_dscnt 0x101
	v_mul_f64_e32 v[30:31], v[2:3], v[115:116]
	v_mul_f64_e32 v[32:33], v[4:5], v[115:116]
	s_wait_loadcnt_dscnt 0x0
	v_mul_f64_e32 v[22:23], v[14:15], v[8:9]
	v_mul_f64_e32 v[8:9], v[16:17], v[8:9]
	v_add_f64_e32 v[18:19], v[18:19], v[28:29]
	v_add_f64_e32 v[20:21], v[20:21], v[26:27]
	v_fma_f64 v[4:5], v[4:5], v[113:114], v[30:31]
	v_fma_f64 v[1:2], v[2:3], v[113:114], -v[32:33]
	v_fma_f64 v[16:17], v[16:17], v[6:7], v[22:23]
	v_fma_f64 v[6:7], v[14:15], v[6:7], -v[8:9]
	v_add_f64_e32 v[10:11], v[18:19], v[10:11]
	v_add_f64_e32 v[12:13], v[20:21], v[12:13]
	s_delay_alu instid0(VALU_DEP_2) | instskip(NEXT) | instid1(VALU_DEP_2)
	v_add_f64_e32 v[1:2], v[10:11], v[1:2]
	v_add_f64_e32 v[3:4], v[12:13], v[4:5]
	s_delay_alu instid0(VALU_DEP_2) | instskip(NEXT) | instid1(VALU_DEP_2)
	;; [unrolled: 3-line block ×3, first 2 shown]
	v_add_f64_e64 v[1:2], v[121:122], -v[1:2]
	v_add_f64_e64 v[3:4], v[123:124], -v[3:4]
	scratch_store_b128 off, v[1:4], off offset:400
	v_cmpx_lt_u32_e32 23, v0
	s_cbranch_execz .LBB36_189
; %bb.188:
	scratch_load_b128 v[1:4], off, s15
	v_mov_b32_e32 v5, 0
	s_delay_alu instid0(VALU_DEP_1)
	v_dual_mov_b32 v6, v5 :: v_dual_mov_b32 v7, v5
	v_mov_b32_e32 v8, v5
	scratch_store_b128 off, v[5:8], off offset:384
	s_wait_loadcnt 0x0
	ds_store_b128 v112, v[1:4]
.LBB36_189:
	s_wait_alu 0xfffe
	s_or_b32 exec_lo, exec_lo, s0
	s_wait_storecnt_dscnt 0x0
	s_barrier_signal -1
	s_barrier_wait -1
	global_inv scope:SCOPE_SE
	s_clause 0x7
	scratch_load_b128 v[2:5], off, off offset:400
	scratch_load_b128 v[6:9], off, off offset:416
	;; [unrolled: 1-line block ×8, first 2 shown]
	v_mov_b32_e32 v1, 0
	s_clause 0x1
	scratch_load_b128 v[113:116], off, off offset:528
	scratch_load_b128 v[121:124], off, off offset:544
	s_mov_b32 s0, exec_lo
	ds_load_b128 v[34:37], v1 offset:976
	ds_load_b128 v[117:120], v1 offset:992
	s_wait_loadcnt_dscnt 0x901
	v_mul_f64_e32 v[125:126], v[36:37], v[4:5]
	v_mul_f64_e32 v[4:5], v[34:35], v[4:5]
	s_wait_loadcnt_dscnt 0x800
	v_mul_f64_e32 v[127:128], v[117:118], v[8:9]
	v_mul_f64_e32 v[8:9], v[119:120], v[8:9]
	s_delay_alu instid0(VALU_DEP_4) | instskip(NEXT) | instid1(VALU_DEP_4)
	v_fma_f64 v[125:126], v[34:35], v[2:3], -v[125:126]
	v_fma_f64 v[129:130], v[36:37], v[2:3], v[4:5]
	ds_load_b128 v[2:5], v1 offset:1008
	scratch_load_b128 v[34:37], off, off offset:560
	v_fma_f64 v[127:128], v[119:120], v[6:7], v[127:128]
	v_fma_f64 v[133:134], v[117:118], v[6:7], -v[8:9]
	ds_load_b128 v[6:9], v1 offset:1024
	scratch_load_b128 v[117:120], off, off offset:576
	s_wait_loadcnt_dscnt 0x901
	v_mul_f64_e32 v[131:132], v[2:3], v[12:13]
	v_mul_f64_e32 v[12:13], v[4:5], v[12:13]
	s_wait_loadcnt_dscnt 0x800
	v_mul_f64_e32 v[135:136], v[6:7], v[16:17]
	v_mul_f64_e32 v[16:17], v[8:9], v[16:17]
	v_add_f64_e32 v[125:126], 0, v[125:126]
	v_add_f64_e32 v[129:130], 0, v[129:130]
	v_fma_f64 v[131:132], v[4:5], v[10:11], v[131:132]
	v_fma_f64 v[137:138], v[2:3], v[10:11], -v[12:13]
	ds_load_b128 v[2:5], v1 offset:1040
	scratch_load_b128 v[10:13], off, off offset:592
	v_add_f64_e32 v[125:126], v[125:126], v[133:134]
	v_add_f64_e32 v[127:128], v[129:130], v[127:128]
	v_fma_f64 v[133:134], v[8:9], v[14:15], v[135:136]
	v_fma_f64 v[14:15], v[6:7], v[14:15], -v[16:17]
	ds_load_b128 v[6:9], v1 offset:1056
	s_wait_loadcnt_dscnt 0x801
	v_mul_f64_e32 v[129:130], v[2:3], v[20:21]
	v_mul_f64_e32 v[20:21], v[4:5], v[20:21]
	v_add_f64_e32 v[16:17], v[125:126], v[137:138]
	v_add_f64_e32 v[125:126], v[127:128], v[131:132]
	s_wait_loadcnt_dscnt 0x700
	v_mul_f64_e32 v[127:128], v[6:7], v[24:25]
	v_mul_f64_e32 v[24:25], v[8:9], v[24:25]
	v_fma_f64 v[129:130], v[4:5], v[18:19], v[129:130]
	v_fma_f64 v[18:19], v[2:3], v[18:19], -v[20:21]
	ds_load_b128 v[2:5], v1 offset:1072
	v_add_f64_e32 v[14:15], v[16:17], v[14:15]
	v_add_f64_e32 v[16:17], v[125:126], v[133:134]
	v_fma_f64 v[125:126], v[8:9], v[22:23], v[127:128]
	v_fma_f64 v[22:23], v[6:7], v[22:23], -v[24:25]
	ds_load_b128 v[6:9], v1 offset:1088
	s_wait_loadcnt_dscnt 0x601
	v_mul_f64_e32 v[20:21], v[2:3], v[28:29]
	v_mul_f64_e32 v[28:29], v[4:5], v[28:29]
	s_wait_loadcnt_dscnt 0x500
	v_mul_f64_e32 v[127:128], v[6:7], v[32:33]
	v_mul_f64_e32 v[32:33], v[8:9], v[32:33]
	v_add_f64_e32 v[18:19], v[14:15], v[18:19]
	v_add_f64_e32 v[24:25], v[16:17], v[129:130]
	scratch_load_b128 v[14:17], off, off offset:384
	v_fma_f64 v[20:21], v[4:5], v[26:27], v[20:21]
	v_fma_f64 v[26:27], v[2:3], v[26:27], -v[28:29]
	ds_load_b128 v[2:5], v1 offset:1104
	s_wait_loadcnt_dscnt 0x500
	v_mul_f64_e32 v[28:29], v[4:5], v[115:116]
	v_add_f64_e32 v[18:19], v[18:19], v[22:23]
	v_add_f64_e32 v[22:23], v[24:25], v[125:126]
	v_mul_f64_e32 v[24:25], v[2:3], v[115:116]
	v_fma_f64 v[115:116], v[8:9], v[30:31], v[127:128]
	v_fma_f64 v[30:31], v[6:7], v[30:31], -v[32:33]
	ds_load_b128 v[6:9], v1 offset:1120
	v_fma_f64 v[28:29], v[2:3], v[113:114], -v[28:29]
	v_add_f64_e32 v[18:19], v[18:19], v[26:27]
	v_add_f64_e32 v[20:21], v[22:23], v[20:21]
	v_fma_f64 v[24:25], v[4:5], v[113:114], v[24:25]
	ds_load_b128 v[2:5], v1 offset:1136
	s_wait_loadcnt_dscnt 0x401
	v_mul_f64_e32 v[22:23], v[6:7], v[123:124]
	v_mul_f64_e32 v[26:27], v[8:9], v[123:124]
	v_add_f64_e32 v[18:19], v[18:19], v[30:31]
	v_add_f64_e32 v[20:21], v[20:21], v[115:116]
	s_delay_alu instid0(VALU_DEP_4) | instskip(NEXT) | instid1(VALU_DEP_4)
	v_fma_f64 v[22:23], v[8:9], v[121:122], v[22:23]
	v_fma_f64 v[26:27], v[6:7], v[121:122], -v[26:27]
	ds_load_b128 v[6:9], v1 offset:1152
	s_wait_loadcnt_dscnt 0x301
	v_mul_f64_e32 v[30:31], v[2:3], v[36:37]
	v_mul_f64_e32 v[32:33], v[4:5], v[36:37]
	v_add_f64_e32 v[18:19], v[18:19], v[28:29]
	v_add_f64_e32 v[20:21], v[20:21], v[24:25]
	s_delay_alu instid0(VALU_DEP_4) | instskip(NEXT) | instid1(VALU_DEP_4)
	v_fma_f64 v[30:31], v[4:5], v[34:35], v[30:31]
	v_fma_f64 v[32:33], v[2:3], v[34:35], -v[32:33]
	ds_load_b128 v[2:5], v1 offset:1168
	s_wait_loadcnt_dscnt 0x201
	v_mul_f64_e32 v[24:25], v[6:7], v[119:120]
	v_mul_f64_e32 v[28:29], v[8:9], v[119:120]
	v_add_f64_e32 v[18:19], v[18:19], v[26:27]
	v_add_f64_e32 v[20:21], v[20:21], v[22:23]
	s_wait_loadcnt_dscnt 0x100
	v_mul_f64_e32 v[22:23], v[2:3], v[12:13]
	v_mul_f64_e32 v[12:13], v[4:5], v[12:13]
	v_fma_f64 v[8:9], v[8:9], v[117:118], v[24:25]
	v_fma_f64 v[6:7], v[6:7], v[117:118], -v[28:29]
	v_add_f64_e32 v[18:19], v[18:19], v[32:33]
	v_add_f64_e32 v[20:21], v[20:21], v[30:31]
	v_fma_f64 v[4:5], v[4:5], v[10:11], v[22:23]
	v_fma_f64 v[2:3], v[2:3], v[10:11], -v[12:13]
	s_delay_alu instid0(VALU_DEP_4) | instskip(NEXT) | instid1(VALU_DEP_4)
	v_add_f64_e32 v[6:7], v[18:19], v[6:7]
	v_add_f64_e32 v[8:9], v[20:21], v[8:9]
	s_delay_alu instid0(VALU_DEP_2) | instskip(NEXT) | instid1(VALU_DEP_2)
	v_add_f64_e32 v[2:3], v[6:7], v[2:3]
	v_add_f64_e32 v[4:5], v[8:9], v[4:5]
	s_wait_loadcnt 0x0
	s_delay_alu instid0(VALU_DEP_2) | instskip(NEXT) | instid1(VALU_DEP_2)
	v_add_f64_e64 v[2:3], v[14:15], -v[2:3]
	v_add_f64_e64 v[4:5], v[16:17], -v[4:5]
	scratch_store_b128 off, v[2:5], off offset:384
	v_cmpx_lt_u32_e32 22, v0
	s_cbranch_execz .LBB36_191
; %bb.190:
	scratch_load_b128 v[5:8], off, s23
	v_dual_mov_b32 v2, v1 :: v_dual_mov_b32 v3, v1
	v_mov_b32_e32 v4, v1
	scratch_store_b128 off, v[1:4], off offset:368
	s_wait_loadcnt 0x0
	ds_store_b128 v112, v[5:8]
.LBB36_191:
	s_wait_alu 0xfffe
	s_or_b32 exec_lo, exec_lo, s0
	s_wait_storecnt_dscnt 0x0
	s_barrier_signal -1
	s_barrier_wait -1
	global_inv scope:SCOPE_SE
	s_clause 0x7
	scratch_load_b128 v[2:5], off, off offset:384
	scratch_load_b128 v[6:9], off, off offset:400
	;; [unrolled: 1-line block ×8, first 2 shown]
	ds_load_b128 v[34:37], v1 offset:960
	ds_load_b128 v[117:120], v1 offset:976
	s_clause 0x1
	scratch_load_b128 v[113:116], off, off offset:512
	scratch_load_b128 v[121:124], off, off offset:528
	s_mov_b32 s0, exec_lo
	s_wait_loadcnt_dscnt 0x901
	v_mul_f64_e32 v[125:126], v[36:37], v[4:5]
	v_mul_f64_e32 v[4:5], v[34:35], v[4:5]
	s_wait_loadcnt_dscnt 0x800
	v_mul_f64_e32 v[127:128], v[117:118], v[8:9]
	v_mul_f64_e32 v[8:9], v[119:120], v[8:9]
	s_delay_alu instid0(VALU_DEP_4) | instskip(NEXT) | instid1(VALU_DEP_4)
	v_fma_f64 v[125:126], v[34:35], v[2:3], -v[125:126]
	v_fma_f64 v[129:130], v[36:37], v[2:3], v[4:5]
	ds_load_b128 v[2:5], v1 offset:992
	scratch_load_b128 v[34:37], off, off offset:544
	v_fma_f64 v[127:128], v[119:120], v[6:7], v[127:128]
	v_fma_f64 v[133:134], v[117:118], v[6:7], -v[8:9]
	ds_load_b128 v[6:9], v1 offset:1008
	scratch_load_b128 v[117:120], off, off offset:560
	s_wait_loadcnt_dscnt 0x901
	v_mul_f64_e32 v[131:132], v[2:3], v[12:13]
	v_mul_f64_e32 v[12:13], v[4:5], v[12:13]
	s_wait_loadcnt_dscnt 0x800
	v_mul_f64_e32 v[135:136], v[6:7], v[16:17]
	v_mul_f64_e32 v[16:17], v[8:9], v[16:17]
	v_add_f64_e32 v[125:126], 0, v[125:126]
	v_add_f64_e32 v[129:130], 0, v[129:130]
	v_fma_f64 v[131:132], v[4:5], v[10:11], v[131:132]
	v_fma_f64 v[137:138], v[2:3], v[10:11], -v[12:13]
	ds_load_b128 v[2:5], v1 offset:1024
	scratch_load_b128 v[10:13], off, off offset:576
	v_add_f64_e32 v[125:126], v[125:126], v[133:134]
	v_add_f64_e32 v[127:128], v[129:130], v[127:128]
	v_fma_f64 v[133:134], v[8:9], v[14:15], v[135:136]
	v_fma_f64 v[135:136], v[6:7], v[14:15], -v[16:17]
	ds_load_b128 v[6:9], v1 offset:1040
	scratch_load_b128 v[14:17], off, off offset:592
	s_wait_loadcnt_dscnt 0x901
	v_mul_f64_e32 v[129:130], v[2:3], v[20:21]
	v_mul_f64_e32 v[20:21], v[4:5], v[20:21]
	v_add_f64_e32 v[125:126], v[125:126], v[137:138]
	v_add_f64_e32 v[127:128], v[127:128], v[131:132]
	s_wait_loadcnt_dscnt 0x800
	v_mul_f64_e32 v[131:132], v[6:7], v[24:25]
	v_mul_f64_e32 v[24:25], v[8:9], v[24:25]
	v_fma_f64 v[129:130], v[4:5], v[18:19], v[129:130]
	v_fma_f64 v[18:19], v[2:3], v[18:19], -v[20:21]
	ds_load_b128 v[2:5], v1 offset:1056
	v_add_f64_e32 v[20:21], v[125:126], v[135:136]
	v_add_f64_e32 v[125:126], v[127:128], v[133:134]
	v_fma_f64 v[131:132], v[8:9], v[22:23], v[131:132]
	v_fma_f64 v[22:23], v[6:7], v[22:23], -v[24:25]
	ds_load_b128 v[6:9], v1 offset:1072
	s_wait_loadcnt_dscnt 0x701
	v_mul_f64_e32 v[127:128], v[2:3], v[28:29]
	v_mul_f64_e32 v[28:29], v[4:5], v[28:29]
	s_wait_loadcnt_dscnt 0x600
	v_mul_f64_e32 v[24:25], v[6:7], v[32:33]
	v_mul_f64_e32 v[32:33], v[8:9], v[32:33]
	v_add_f64_e32 v[18:19], v[20:21], v[18:19]
	v_add_f64_e32 v[20:21], v[125:126], v[129:130]
	v_fma_f64 v[125:126], v[4:5], v[26:27], v[127:128]
	v_fma_f64 v[26:27], v[2:3], v[26:27], -v[28:29]
	ds_load_b128 v[2:5], v1 offset:1088
	v_fma_f64 v[24:25], v[8:9], v[30:31], v[24:25]
	v_fma_f64 v[30:31], v[6:7], v[30:31], -v[32:33]
	ds_load_b128 v[6:9], v1 offset:1104
	v_add_f64_e32 v[22:23], v[18:19], v[22:23]
	v_add_f64_e32 v[28:29], v[20:21], v[131:132]
	scratch_load_b128 v[18:21], off, off offset:368
	s_wait_loadcnt_dscnt 0x601
	v_mul_f64_e32 v[127:128], v[2:3], v[115:116]
	v_mul_f64_e32 v[115:116], v[4:5], v[115:116]
	s_wait_loadcnt_dscnt 0x500
	v_mul_f64_e32 v[32:33], v[8:9], v[123:124]
	v_add_f64_e32 v[22:23], v[22:23], v[26:27]
	v_add_f64_e32 v[26:27], v[28:29], v[125:126]
	v_mul_f64_e32 v[28:29], v[6:7], v[123:124]
	v_fma_f64 v[123:124], v[4:5], v[113:114], v[127:128]
	v_fma_f64 v[113:114], v[2:3], v[113:114], -v[115:116]
	ds_load_b128 v[2:5], v1 offset:1120
	v_fma_f64 v[32:33], v[6:7], v[121:122], -v[32:33]
	v_add_f64_e32 v[22:23], v[22:23], v[30:31]
	v_add_f64_e32 v[24:25], v[26:27], v[24:25]
	v_fma_f64 v[28:29], v[8:9], v[121:122], v[28:29]
	ds_load_b128 v[6:9], v1 offset:1136
	s_wait_loadcnt_dscnt 0x401
	v_mul_f64_e32 v[26:27], v[2:3], v[36:37]
	v_mul_f64_e32 v[30:31], v[4:5], v[36:37]
	s_wait_loadcnt_dscnt 0x300
	v_mul_f64_e32 v[36:37], v[6:7], v[119:120]
	v_add_f64_e32 v[22:23], v[22:23], v[113:114]
	v_add_f64_e32 v[24:25], v[24:25], v[123:124]
	v_mul_f64_e32 v[113:114], v[8:9], v[119:120]
	v_fma_f64 v[26:27], v[4:5], v[34:35], v[26:27]
	v_fma_f64 v[30:31], v[2:3], v[34:35], -v[30:31]
	ds_load_b128 v[2:5], v1 offset:1152
	v_add_f64_e32 v[22:23], v[22:23], v[32:33]
	v_add_f64_e32 v[24:25], v[24:25], v[28:29]
	v_fma_f64 v[32:33], v[8:9], v[117:118], v[36:37]
	v_fma_f64 v[34:35], v[6:7], v[117:118], -v[113:114]
	ds_load_b128 v[6:9], v1 offset:1168
	s_wait_loadcnt_dscnt 0x201
	v_mul_f64_e32 v[28:29], v[2:3], v[12:13]
	v_mul_f64_e32 v[12:13], v[4:5], v[12:13]
	v_add_f64_e32 v[22:23], v[22:23], v[30:31]
	v_add_f64_e32 v[24:25], v[24:25], v[26:27]
	s_wait_loadcnt_dscnt 0x100
	v_mul_f64_e32 v[26:27], v[6:7], v[16:17]
	v_mul_f64_e32 v[16:17], v[8:9], v[16:17]
	v_fma_f64 v[4:5], v[4:5], v[10:11], v[28:29]
	v_fma_f64 v[1:2], v[2:3], v[10:11], -v[12:13]
	v_add_f64_e32 v[10:11], v[22:23], v[34:35]
	v_add_f64_e32 v[12:13], v[24:25], v[32:33]
	v_fma_f64 v[8:9], v[8:9], v[14:15], v[26:27]
	v_fma_f64 v[6:7], v[6:7], v[14:15], -v[16:17]
	s_delay_alu instid0(VALU_DEP_4) | instskip(NEXT) | instid1(VALU_DEP_4)
	v_add_f64_e32 v[1:2], v[10:11], v[1:2]
	v_add_f64_e32 v[3:4], v[12:13], v[4:5]
	s_delay_alu instid0(VALU_DEP_2) | instskip(NEXT) | instid1(VALU_DEP_2)
	v_add_f64_e32 v[1:2], v[1:2], v[6:7]
	v_add_f64_e32 v[3:4], v[3:4], v[8:9]
	s_wait_loadcnt 0x0
	s_delay_alu instid0(VALU_DEP_2) | instskip(NEXT) | instid1(VALU_DEP_2)
	v_add_f64_e64 v[1:2], v[18:19], -v[1:2]
	v_add_f64_e64 v[3:4], v[20:21], -v[3:4]
	scratch_store_b128 off, v[1:4], off offset:368
	v_cmpx_lt_u32_e32 21, v0
	s_cbranch_execz .LBB36_193
; %bb.192:
	scratch_load_b128 v[1:4], off, s24
	v_mov_b32_e32 v5, 0
	s_delay_alu instid0(VALU_DEP_1)
	v_dual_mov_b32 v6, v5 :: v_dual_mov_b32 v7, v5
	v_mov_b32_e32 v8, v5
	scratch_store_b128 off, v[5:8], off offset:352
	s_wait_loadcnt 0x0
	ds_store_b128 v112, v[1:4]
.LBB36_193:
	s_wait_alu 0xfffe
	s_or_b32 exec_lo, exec_lo, s0
	s_wait_storecnt_dscnt 0x0
	s_barrier_signal -1
	s_barrier_wait -1
	global_inv scope:SCOPE_SE
	s_clause 0x7
	scratch_load_b128 v[2:5], off, off offset:368
	scratch_load_b128 v[6:9], off, off offset:384
	;; [unrolled: 1-line block ×8, first 2 shown]
	v_mov_b32_e32 v1, 0
	s_clause 0x1
	scratch_load_b128 v[113:116], off, off offset:496
	scratch_load_b128 v[121:124], off, off offset:512
	s_mov_b32 s0, exec_lo
	ds_load_b128 v[34:37], v1 offset:944
	ds_load_b128 v[117:120], v1 offset:960
	s_wait_loadcnt_dscnt 0x901
	v_mul_f64_e32 v[125:126], v[36:37], v[4:5]
	v_mul_f64_e32 v[4:5], v[34:35], v[4:5]
	s_wait_loadcnt_dscnt 0x800
	v_mul_f64_e32 v[127:128], v[117:118], v[8:9]
	v_mul_f64_e32 v[8:9], v[119:120], v[8:9]
	s_delay_alu instid0(VALU_DEP_4) | instskip(NEXT) | instid1(VALU_DEP_4)
	v_fma_f64 v[125:126], v[34:35], v[2:3], -v[125:126]
	v_fma_f64 v[129:130], v[36:37], v[2:3], v[4:5]
	ds_load_b128 v[2:5], v1 offset:976
	scratch_load_b128 v[34:37], off, off offset:528
	v_fma_f64 v[127:128], v[119:120], v[6:7], v[127:128]
	v_fma_f64 v[133:134], v[117:118], v[6:7], -v[8:9]
	ds_load_b128 v[6:9], v1 offset:992
	scratch_load_b128 v[117:120], off, off offset:544
	s_wait_loadcnt_dscnt 0x901
	v_mul_f64_e32 v[131:132], v[2:3], v[12:13]
	v_mul_f64_e32 v[12:13], v[4:5], v[12:13]
	s_wait_loadcnt_dscnt 0x800
	v_mul_f64_e32 v[135:136], v[6:7], v[16:17]
	v_mul_f64_e32 v[16:17], v[8:9], v[16:17]
	v_add_f64_e32 v[125:126], 0, v[125:126]
	v_add_f64_e32 v[129:130], 0, v[129:130]
	v_fma_f64 v[131:132], v[4:5], v[10:11], v[131:132]
	v_fma_f64 v[137:138], v[2:3], v[10:11], -v[12:13]
	ds_load_b128 v[2:5], v1 offset:1008
	scratch_load_b128 v[10:13], off, off offset:560
	v_add_f64_e32 v[125:126], v[125:126], v[133:134]
	v_add_f64_e32 v[127:128], v[129:130], v[127:128]
	v_fma_f64 v[133:134], v[8:9], v[14:15], v[135:136]
	v_fma_f64 v[135:136], v[6:7], v[14:15], -v[16:17]
	ds_load_b128 v[6:9], v1 offset:1024
	scratch_load_b128 v[14:17], off, off offset:576
	s_wait_loadcnt_dscnt 0x901
	v_mul_f64_e32 v[129:130], v[2:3], v[20:21]
	v_mul_f64_e32 v[20:21], v[4:5], v[20:21]
	v_add_f64_e32 v[125:126], v[125:126], v[137:138]
	v_add_f64_e32 v[127:128], v[127:128], v[131:132]
	s_wait_loadcnt_dscnt 0x800
	v_mul_f64_e32 v[131:132], v[6:7], v[24:25]
	v_mul_f64_e32 v[24:25], v[8:9], v[24:25]
	v_fma_f64 v[129:130], v[4:5], v[18:19], v[129:130]
	v_fma_f64 v[137:138], v[2:3], v[18:19], -v[20:21]
	ds_load_b128 v[2:5], v1 offset:1040
	scratch_load_b128 v[18:21], off, off offset:592
	v_add_f64_e32 v[125:126], v[125:126], v[135:136]
	v_add_f64_e32 v[127:128], v[127:128], v[133:134]
	v_fma_f64 v[131:132], v[8:9], v[22:23], v[131:132]
	v_fma_f64 v[22:23], v[6:7], v[22:23], -v[24:25]
	ds_load_b128 v[6:9], v1 offset:1056
	s_wait_loadcnt_dscnt 0x801
	v_mul_f64_e32 v[133:134], v[2:3], v[28:29]
	v_mul_f64_e32 v[28:29], v[4:5], v[28:29]
	v_add_f64_e32 v[24:25], v[125:126], v[137:138]
	v_add_f64_e32 v[125:126], v[127:128], v[129:130]
	s_wait_loadcnt_dscnt 0x700
	v_mul_f64_e32 v[127:128], v[6:7], v[32:33]
	v_mul_f64_e32 v[32:33], v[8:9], v[32:33]
	v_fma_f64 v[129:130], v[4:5], v[26:27], v[133:134]
	v_fma_f64 v[26:27], v[2:3], v[26:27], -v[28:29]
	ds_load_b128 v[2:5], v1 offset:1072
	v_add_f64_e32 v[22:23], v[24:25], v[22:23]
	v_add_f64_e32 v[24:25], v[125:126], v[131:132]
	v_fma_f64 v[125:126], v[8:9], v[30:31], v[127:128]
	v_fma_f64 v[30:31], v[6:7], v[30:31], -v[32:33]
	ds_load_b128 v[6:9], v1 offset:1088
	s_wait_loadcnt_dscnt 0x500
	v_mul_f64_e32 v[127:128], v[6:7], v[123:124]
	v_mul_f64_e32 v[123:124], v[8:9], v[123:124]
	v_add_f64_e32 v[26:27], v[22:23], v[26:27]
	v_add_f64_e32 v[32:33], v[24:25], v[129:130]
	scratch_load_b128 v[22:25], off, off offset:352
	v_mul_f64_e32 v[28:29], v[2:3], v[115:116]
	v_mul_f64_e32 v[115:116], v[4:5], v[115:116]
	v_add_f64_e32 v[26:27], v[26:27], v[30:31]
	v_add_f64_e32 v[30:31], v[32:33], v[125:126]
	s_delay_alu instid0(VALU_DEP_4) | instskip(NEXT) | instid1(VALU_DEP_4)
	v_fma_f64 v[28:29], v[4:5], v[113:114], v[28:29]
	v_fma_f64 v[113:114], v[2:3], v[113:114], -v[115:116]
	ds_load_b128 v[2:5], v1 offset:1104
	v_fma_f64 v[115:116], v[8:9], v[121:122], v[127:128]
	v_fma_f64 v[121:122], v[6:7], v[121:122], -v[123:124]
	ds_load_b128 v[6:9], v1 offset:1120
	s_wait_loadcnt_dscnt 0x501
	v_mul_f64_e32 v[32:33], v[2:3], v[36:37]
	v_mul_f64_e32 v[36:37], v[4:5], v[36:37]
	v_add_f64_e32 v[28:29], v[30:31], v[28:29]
	v_add_f64_e32 v[26:27], v[26:27], v[113:114]
	s_wait_loadcnt_dscnt 0x400
	v_mul_f64_e32 v[30:31], v[6:7], v[119:120]
	v_mul_f64_e32 v[113:114], v[8:9], v[119:120]
	v_fma_f64 v[32:33], v[4:5], v[34:35], v[32:33]
	v_fma_f64 v[34:35], v[2:3], v[34:35], -v[36:37]
	ds_load_b128 v[2:5], v1 offset:1136
	v_add_f64_e32 v[28:29], v[28:29], v[115:116]
	v_add_f64_e32 v[26:27], v[26:27], v[121:122]
	v_fma_f64 v[30:31], v[8:9], v[117:118], v[30:31]
	v_fma_f64 v[113:114], v[6:7], v[117:118], -v[113:114]
	ds_load_b128 v[6:9], v1 offset:1152
	s_wait_loadcnt_dscnt 0x301
	v_mul_f64_e32 v[36:37], v[2:3], v[12:13]
	v_mul_f64_e32 v[12:13], v[4:5], v[12:13]
	v_add_f64_e32 v[28:29], v[28:29], v[32:33]
	v_add_f64_e32 v[26:27], v[26:27], v[34:35]
	s_wait_loadcnt_dscnt 0x200
	v_mul_f64_e32 v[32:33], v[6:7], v[16:17]
	v_mul_f64_e32 v[16:17], v[8:9], v[16:17]
	v_fma_f64 v[34:35], v[4:5], v[10:11], v[36:37]
	v_fma_f64 v[10:11], v[2:3], v[10:11], -v[12:13]
	ds_load_b128 v[2:5], v1 offset:1168
	v_add_f64_e32 v[12:13], v[26:27], v[113:114]
	v_add_f64_e32 v[26:27], v[28:29], v[30:31]
	s_wait_loadcnt_dscnt 0x100
	v_mul_f64_e32 v[28:29], v[2:3], v[20:21]
	v_mul_f64_e32 v[20:21], v[4:5], v[20:21]
	v_fma_f64 v[8:9], v[8:9], v[14:15], v[32:33]
	v_fma_f64 v[6:7], v[6:7], v[14:15], -v[16:17]
	v_add_f64_e32 v[10:11], v[12:13], v[10:11]
	v_add_f64_e32 v[12:13], v[26:27], v[34:35]
	v_fma_f64 v[4:5], v[4:5], v[18:19], v[28:29]
	v_fma_f64 v[2:3], v[2:3], v[18:19], -v[20:21]
	s_delay_alu instid0(VALU_DEP_4) | instskip(NEXT) | instid1(VALU_DEP_4)
	v_add_f64_e32 v[6:7], v[10:11], v[6:7]
	v_add_f64_e32 v[8:9], v[12:13], v[8:9]
	s_delay_alu instid0(VALU_DEP_2) | instskip(NEXT) | instid1(VALU_DEP_2)
	v_add_f64_e32 v[2:3], v[6:7], v[2:3]
	v_add_f64_e32 v[4:5], v[8:9], v[4:5]
	s_wait_loadcnt 0x0
	s_delay_alu instid0(VALU_DEP_2) | instskip(NEXT) | instid1(VALU_DEP_2)
	v_add_f64_e64 v[2:3], v[22:23], -v[2:3]
	v_add_f64_e64 v[4:5], v[24:25], -v[4:5]
	scratch_store_b128 off, v[2:5], off offset:352
	v_cmpx_lt_u32_e32 20, v0
	s_cbranch_execz .LBB36_195
; %bb.194:
	scratch_load_b128 v[5:8], off, s25
	v_dual_mov_b32 v2, v1 :: v_dual_mov_b32 v3, v1
	v_mov_b32_e32 v4, v1
	scratch_store_b128 off, v[1:4], off offset:336
	s_wait_loadcnt 0x0
	ds_store_b128 v112, v[5:8]
.LBB36_195:
	s_wait_alu 0xfffe
	s_or_b32 exec_lo, exec_lo, s0
	s_wait_storecnt_dscnt 0x0
	s_barrier_signal -1
	s_barrier_wait -1
	global_inv scope:SCOPE_SE
	s_clause 0x7
	scratch_load_b128 v[2:5], off, off offset:352
	scratch_load_b128 v[6:9], off, off offset:368
	;; [unrolled: 1-line block ×8, first 2 shown]
	ds_load_b128 v[34:37], v1 offset:928
	ds_load_b128 v[117:120], v1 offset:944
	s_clause 0x1
	scratch_load_b128 v[113:116], off, off offset:480
	scratch_load_b128 v[121:124], off, off offset:496
	s_mov_b32 s0, exec_lo
	s_wait_loadcnt_dscnt 0x901
	v_mul_f64_e32 v[125:126], v[36:37], v[4:5]
	v_mul_f64_e32 v[4:5], v[34:35], v[4:5]
	s_wait_loadcnt_dscnt 0x800
	v_mul_f64_e32 v[127:128], v[117:118], v[8:9]
	v_mul_f64_e32 v[8:9], v[119:120], v[8:9]
	s_delay_alu instid0(VALU_DEP_4) | instskip(NEXT) | instid1(VALU_DEP_4)
	v_fma_f64 v[125:126], v[34:35], v[2:3], -v[125:126]
	v_fma_f64 v[129:130], v[36:37], v[2:3], v[4:5]
	ds_load_b128 v[2:5], v1 offset:960
	scratch_load_b128 v[34:37], off, off offset:512
	v_fma_f64 v[127:128], v[119:120], v[6:7], v[127:128]
	v_fma_f64 v[133:134], v[117:118], v[6:7], -v[8:9]
	ds_load_b128 v[6:9], v1 offset:976
	scratch_load_b128 v[117:120], off, off offset:528
	s_wait_loadcnt_dscnt 0x901
	v_mul_f64_e32 v[131:132], v[2:3], v[12:13]
	v_mul_f64_e32 v[12:13], v[4:5], v[12:13]
	s_wait_loadcnt_dscnt 0x800
	v_mul_f64_e32 v[135:136], v[6:7], v[16:17]
	v_mul_f64_e32 v[16:17], v[8:9], v[16:17]
	v_add_f64_e32 v[125:126], 0, v[125:126]
	v_add_f64_e32 v[129:130], 0, v[129:130]
	v_fma_f64 v[131:132], v[4:5], v[10:11], v[131:132]
	v_fma_f64 v[137:138], v[2:3], v[10:11], -v[12:13]
	ds_load_b128 v[2:5], v1 offset:992
	scratch_load_b128 v[10:13], off, off offset:544
	v_add_f64_e32 v[125:126], v[125:126], v[133:134]
	v_add_f64_e32 v[127:128], v[129:130], v[127:128]
	v_fma_f64 v[133:134], v[8:9], v[14:15], v[135:136]
	v_fma_f64 v[135:136], v[6:7], v[14:15], -v[16:17]
	ds_load_b128 v[6:9], v1 offset:1008
	scratch_load_b128 v[14:17], off, off offset:560
	s_wait_loadcnt_dscnt 0x901
	v_mul_f64_e32 v[129:130], v[2:3], v[20:21]
	v_mul_f64_e32 v[20:21], v[4:5], v[20:21]
	v_add_f64_e32 v[125:126], v[125:126], v[137:138]
	v_add_f64_e32 v[127:128], v[127:128], v[131:132]
	s_wait_loadcnt_dscnt 0x800
	v_mul_f64_e32 v[131:132], v[6:7], v[24:25]
	v_mul_f64_e32 v[24:25], v[8:9], v[24:25]
	v_fma_f64 v[129:130], v[4:5], v[18:19], v[129:130]
	v_fma_f64 v[137:138], v[2:3], v[18:19], -v[20:21]
	ds_load_b128 v[2:5], v1 offset:1024
	scratch_load_b128 v[18:21], off, off offset:576
	v_add_f64_e32 v[125:126], v[125:126], v[135:136]
	v_add_f64_e32 v[127:128], v[127:128], v[133:134]
	v_fma_f64 v[131:132], v[8:9], v[22:23], v[131:132]
	v_fma_f64 v[135:136], v[6:7], v[22:23], -v[24:25]
	ds_load_b128 v[6:9], v1 offset:1040
	s_wait_loadcnt_dscnt 0x801
	v_mul_f64_e32 v[133:134], v[2:3], v[28:29]
	v_mul_f64_e32 v[28:29], v[4:5], v[28:29]
	scratch_load_b128 v[22:25], off, off offset:592
	v_add_f64_e32 v[125:126], v[125:126], v[137:138]
	v_add_f64_e32 v[127:128], v[127:128], v[129:130]
	s_wait_loadcnt_dscnt 0x800
	v_mul_f64_e32 v[129:130], v[6:7], v[32:33]
	v_mul_f64_e32 v[32:33], v[8:9], v[32:33]
	v_fma_f64 v[133:134], v[4:5], v[26:27], v[133:134]
	v_fma_f64 v[26:27], v[2:3], v[26:27], -v[28:29]
	ds_load_b128 v[2:5], v1 offset:1056
	v_add_f64_e32 v[28:29], v[125:126], v[135:136]
	v_add_f64_e32 v[125:126], v[127:128], v[131:132]
	v_fma_f64 v[129:130], v[8:9], v[30:31], v[129:130]
	v_fma_f64 v[30:31], v[6:7], v[30:31], -v[32:33]
	ds_load_b128 v[6:9], v1 offset:1072
	s_wait_loadcnt_dscnt 0x701
	v_mul_f64_e32 v[127:128], v[2:3], v[115:116]
	v_mul_f64_e32 v[115:116], v[4:5], v[115:116]
	v_add_f64_e32 v[26:27], v[28:29], v[26:27]
	v_add_f64_e32 v[28:29], v[125:126], v[133:134]
	s_delay_alu instid0(VALU_DEP_4) | instskip(NEXT) | instid1(VALU_DEP_4)
	v_fma_f64 v[125:126], v[4:5], v[113:114], v[127:128]
	v_fma_f64 v[113:114], v[2:3], v[113:114], -v[115:116]
	ds_load_b128 v[2:5], v1 offset:1088
	v_add_f64_e32 v[30:31], v[26:27], v[30:31]
	v_add_f64_e32 v[115:116], v[28:29], v[129:130]
	scratch_load_b128 v[26:29], off, off offset:336
	s_wait_loadcnt_dscnt 0x701
	v_mul_f64_e32 v[32:33], v[6:7], v[123:124]
	v_mul_f64_e32 v[123:124], v[8:9], v[123:124]
	v_add_f64_e32 v[30:31], v[30:31], v[113:114]
	v_add_f64_e32 v[113:114], v[115:116], v[125:126]
	s_delay_alu instid0(VALU_DEP_4) | instskip(NEXT) | instid1(VALU_DEP_4)
	v_fma_f64 v[32:33], v[8:9], v[121:122], v[32:33]
	v_fma_f64 v[121:122], v[6:7], v[121:122], -v[123:124]
	ds_load_b128 v[6:9], v1 offset:1104
	s_wait_loadcnt_dscnt 0x601
	v_mul_f64_e32 v[127:128], v[2:3], v[36:37]
	v_mul_f64_e32 v[36:37], v[4:5], v[36:37]
	s_wait_loadcnt_dscnt 0x500
	v_mul_f64_e32 v[115:116], v[6:7], v[119:120]
	v_mul_f64_e32 v[119:120], v[8:9], v[119:120]
	v_add_f64_e32 v[32:33], v[113:114], v[32:33]
	v_add_f64_e32 v[30:31], v[30:31], v[121:122]
	v_fma_f64 v[123:124], v[4:5], v[34:35], v[127:128]
	v_fma_f64 v[34:35], v[2:3], v[34:35], -v[36:37]
	ds_load_b128 v[2:5], v1 offset:1120
	v_fma_f64 v[113:114], v[8:9], v[117:118], v[115:116]
	v_fma_f64 v[115:116], v[6:7], v[117:118], -v[119:120]
	ds_load_b128 v[6:9], v1 offset:1136
	s_wait_loadcnt_dscnt 0x401
	v_mul_f64_e32 v[36:37], v[2:3], v[12:13]
	v_mul_f64_e32 v[12:13], v[4:5], v[12:13]
	v_add_f64_e32 v[32:33], v[32:33], v[123:124]
	v_add_f64_e32 v[30:31], v[30:31], v[34:35]
	s_wait_loadcnt_dscnt 0x300
	v_mul_f64_e32 v[34:35], v[6:7], v[16:17]
	v_mul_f64_e32 v[16:17], v[8:9], v[16:17]
	v_fma_f64 v[36:37], v[4:5], v[10:11], v[36:37]
	v_fma_f64 v[10:11], v[2:3], v[10:11], -v[12:13]
	ds_load_b128 v[2:5], v1 offset:1152
	v_add_f64_e32 v[12:13], v[30:31], v[115:116]
	v_add_f64_e32 v[30:31], v[32:33], v[113:114]
	v_fma_f64 v[34:35], v[8:9], v[14:15], v[34:35]
	v_fma_f64 v[14:15], v[6:7], v[14:15], -v[16:17]
	ds_load_b128 v[6:9], v1 offset:1168
	s_wait_loadcnt_dscnt 0x201
	v_mul_f64_e32 v[32:33], v[2:3], v[20:21]
	v_mul_f64_e32 v[20:21], v[4:5], v[20:21]
	s_wait_loadcnt_dscnt 0x100
	v_mul_f64_e32 v[16:17], v[6:7], v[24:25]
	v_mul_f64_e32 v[24:25], v[8:9], v[24:25]
	v_add_f64_e32 v[10:11], v[12:13], v[10:11]
	v_add_f64_e32 v[12:13], v[30:31], v[36:37]
	v_fma_f64 v[4:5], v[4:5], v[18:19], v[32:33]
	v_fma_f64 v[1:2], v[2:3], v[18:19], -v[20:21]
	v_fma_f64 v[8:9], v[8:9], v[22:23], v[16:17]
	v_fma_f64 v[6:7], v[6:7], v[22:23], -v[24:25]
	v_add_f64_e32 v[10:11], v[10:11], v[14:15]
	v_add_f64_e32 v[12:13], v[12:13], v[34:35]
	s_delay_alu instid0(VALU_DEP_2) | instskip(NEXT) | instid1(VALU_DEP_2)
	v_add_f64_e32 v[1:2], v[10:11], v[1:2]
	v_add_f64_e32 v[3:4], v[12:13], v[4:5]
	s_delay_alu instid0(VALU_DEP_2) | instskip(NEXT) | instid1(VALU_DEP_2)
	v_add_f64_e32 v[1:2], v[1:2], v[6:7]
	v_add_f64_e32 v[3:4], v[3:4], v[8:9]
	s_wait_loadcnt 0x0
	s_delay_alu instid0(VALU_DEP_2) | instskip(NEXT) | instid1(VALU_DEP_2)
	v_add_f64_e64 v[1:2], v[26:27], -v[1:2]
	v_add_f64_e64 v[3:4], v[28:29], -v[3:4]
	scratch_store_b128 off, v[1:4], off offset:336
	v_cmpx_lt_u32_e32 19, v0
	s_cbranch_execz .LBB36_197
; %bb.196:
	scratch_load_b128 v[1:4], off, s26
	v_mov_b32_e32 v5, 0
	s_delay_alu instid0(VALU_DEP_1)
	v_dual_mov_b32 v6, v5 :: v_dual_mov_b32 v7, v5
	v_mov_b32_e32 v8, v5
	scratch_store_b128 off, v[5:8], off offset:320
	s_wait_loadcnt 0x0
	ds_store_b128 v112, v[1:4]
.LBB36_197:
	s_wait_alu 0xfffe
	s_or_b32 exec_lo, exec_lo, s0
	s_wait_storecnt_dscnt 0x0
	s_barrier_signal -1
	s_barrier_wait -1
	global_inv scope:SCOPE_SE
	s_clause 0x7
	scratch_load_b128 v[2:5], off, off offset:336
	scratch_load_b128 v[6:9], off, off offset:352
	;; [unrolled: 1-line block ×8, first 2 shown]
	v_mov_b32_e32 v1, 0
	s_clause 0x1
	scratch_load_b128 v[113:116], off, off offset:464
	scratch_load_b128 v[121:124], off, off offset:480
	s_mov_b32 s0, exec_lo
	ds_load_b128 v[34:37], v1 offset:912
	ds_load_b128 v[117:120], v1 offset:928
	s_wait_loadcnt_dscnt 0x901
	v_mul_f64_e32 v[125:126], v[36:37], v[4:5]
	v_mul_f64_e32 v[4:5], v[34:35], v[4:5]
	s_wait_loadcnt_dscnt 0x800
	v_mul_f64_e32 v[127:128], v[117:118], v[8:9]
	v_mul_f64_e32 v[8:9], v[119:120], v[8:9]
	s_delay_alu instid0(VALU_DEP_4) | instskip(NEXT) | instid1(VALU_DEP_4)
	v_fma_f64 v[125:126], v[34:35], v[2:3], -v[125:126]
	v_fma_f64 v[129:130], v[36:37], v[2:3], v[4:5]
	ds_load_b128 v[2:5], v1 offset:944
	scratch_load_b128 v[34:37], off, off offset:496
	v_fma_f64 v[127:128], v[119:120], v[6:7], v[127:128]
	v_fma_f64 v[133:134], v[117:118], v[6:7], -v[8:9]
	ds_load_b128 v[6:9], v1 offset:960
	scratch_load_b128 v[117:120], off, off offset:512
	s_wait_loadcnt_dscnt 0x901
	v_mul_f64_e32 v[131:132], v[2:3], v[12:13]
	v_mul_f64_e32 v[12:13], v[4:5], v[12:13]
	s_wait_loadcnt_dscnt 0x800
	v_mul_f64_e32 v[135:136], v[6:7], v[16:17]
	v_mul_f64_e32 v[16:17], v[8:9], v[16:17]
	v_add_f64_e32 v[125:126], 0, v[125:126]
	v_add_f64_e32 v[129:130], 0, v[129:130]
	v_fma_f64 v[131:132], v[4:5], v[10:11], v[131:132]
	v_fma_f64 v[137:138], v[2:3], v[10:11], -v[12:13]
	ds_load_b128 v[2:5], v1 offset:976
	scratch_load_b128 v[10:13], off, off offset:528
	v_add_f64_e32 v[125:126], v[125:126], v[133:134]
	v_add_f64_e32 v[127:128], v[129:130], v[127:128]
	v_fma_f64 v[133:134], v[8:9], v[14:15], v[135:136]
	v_fma_f64 v[135:136], v[6:7], v[14:15], -v[16:17]
	ds_load_b128 v[6:9], v1 offset:992
	scratch_load_b128 v[14:17], off, off offset:544
	s_wait_loadcnt_dscnt 0x901
	v_mul_f64_e32 v[129:130], v[2:3], v[20:21]
	v_mul_f64_e32 v[20:21], v[4:5], v[20:21]
	v_add_f64_e32 v[125:126], v[125:126], v[137:138]
	v_add_f64_e32 v[127:128], v[127:128], v[131:132]
	s_wait_loadcnt_dscnt 0x800
	v_mul_f64_e32 v[131:132], v[6:7], v[24:25]
	v_mul_f64_e32 v[24:25], v[8:9], v[24:25]
	v_fma_f64 v[129:130], v[4:5], v[18:19], v[129:130]
	v_fma_f64 v[137:138], v[2:3], v[18:19], -v[20:21]
	ds_load_b128 v[2:5], v1 offset:1008
	scratch_load_b128 v[18:21], off, off offset:560
	v_add_f64_e32 v[125:126], v[125:126], v[135:136]
	v_add_f64_e32 v[127:128], v[127:128], v[133:134]
	v_fma_f64 v[131:132], v[8:9], v[22:23], v[131:132]
	v_fma_f64 v[135:136], v[6:7], v[22:23], -v[24:25]
	ds_load_b128 v[6:9], v1 offset:1024
	s_wait_loadcnt_dscnt 0x801
	v_mul_f64_e32 v[133:134], v[2:3], v[28:29]
	v_mul_f64_e32 v[28:29], v[4:5], v[28:29]
	scratch_load_b128 v[22:25], off, off offset:576
	v_add_f64_e32 v[125:126], v[125:126], v[137:138]
	v_add_f64_e32 v[127:128], v[127:128], v[129:130]
	s_wait_loadcnt_dscnt 0x800
	v_mul_f64_e32 v[129:130], v[6:7], v[32:33]
	v_mul_f64_e32 v[32:33], v[8:9], v[32:33]
	v_fma_f64 v[133:134], v[4:5], v[26:27], v[133:134]
	v_fma_f64 v[137:138], v[2:3], v[26:27], -v[28:29]
	ds_load_b128 v[2:5], v1 offset:1040
	scratch_load_b128 v[26:29], off, off offset:592
	v_add_f64_e32 v[125:126], v[125:126], v[135:136]
	v_add_f64_e32 v[127:128], v[127:128], v[131:132]
	v_fma_f64 v[129:130], v[8:9], v[30:31], v[129:130]
	v_fma_f64 v[30:31], v[6:7], v[30:31], -v[32:33]
	ds_load_b128 v[6:9], v1 offset:1056
	s_wait_loadcnt_dscnt 0x801
	v_mul_f64_e32 v[131:132], v[2:3], v[115:116]
	v_mul_f64_e32 v[115:116], v[4:5], v[115:116]
	v_add_f64_e32 v[32:33], v[125:126], v[137:138]
	v_add_f64_e32 v[125:126], v[127:128], v[133:134]
	s_wait_loadcnt_dscnt 0x700
	v_mul_f64_e32 v[127:128], v[6:7], v[123:124]
	v_mul_f64_e32 v[123:124], v[8:9], v[123:124]
	v_fma_f64 v[131:132], v[4:5], v[113:114], v[131:132]
	v_fma_f64 v[113:114], v[2:3], v[113:114], -v[115:116]
	ds_load_b128 v[2:5], v1 offset:1072
	v_add_f64_e32 v[30:31], v[32:33], v[30:31]
	v_add_f64_e32 v[32:33], v[125:126], v[129:130]
	v_fma_f64 v[125:126], v[8:9], v[121:122], v[127:128]
	v_fma_f64 v[121:122], v[6:7], v[121:122], -v[123:124]
	ds_load_b128 v[6:9], v1 offset:1088
	s_wait_loadcnt_dscnt 0x500
	v_mul_f64_e32 v[127:128], v[6:7], v[119:120]
	v_mul_f64_e32 v[119:120], v[8:9], v[119:120]
	v_add_f64_e32 v[113:114], v[30:31], v[113:114]
	v_add_f64_e32 v[123:124], v[32:33], v[131:132]
	scratch_load_b128 v[30:33], off, off offset:320
	v_mul_f64_e32 v[115:116], v[2:3], v[36:37]
	v_mul_f64_e32 v[36:37], v[4:5], v[36:37]
	s_delay_alu instid0(VALU_DEP_2) | instskip(NEXT) | instid1(VALU_DEP_2)
	v_fma_f64 v[115:116], v[4:5], v[34:35], v[115:116]
	v_fma_f64 v[34:35], v[2:3], v[34:35], -v[36:37]
	v_add_f64_e32 v[36:37], v[113:114], v[121:122]
	v_add_f64_e32 v[113:114], v[123:124], v[125:126]
	ds_load_b128 v[2:5], v1 offset:1104
	v_fma_f64 v[123:124], v[8:9], v[117:118], v[127:128]
	v_fma_f64 v[117:118], v[6:7], v[117:118], -v[119:120]
	ds_load_b128 v[6:9], v1 offset:1120
	s_wait_loadcnt_dscnt 0x501
	v_mul_f64_e32 v[121:122], v[2:3], v[12:13]
	v_mul_f64_e32 v[12:13], v[4:5], v[12:13]
	v_add_f64_e32 v[34:35], v[36:37], v[34:35]
	v_add_f64_e32 v[36:37], v[113:114], v[115:116]
	s_wait_loadcnt_dscnt 0x400
	v_mul_f64_e32 v[113:114], v[6:7], v[16:17]
	v_mul_f64_e32 v[16:17], v[8:9], v[16:17]
	v_fma_f64 v[115:116], v[4:5], v[10:11], v[121:122]
	v_fma_f64 v[10:11], v[2:3], v[10:11], -v[12:13]
	ds_load_b128 v[2:5], v1 offset:1136
	v_add_f64_e32 v[12:13], v[34:35], v[117:118]
	v_add_f64_e32 v[34:35], v[36:37], v[123:124]
	v_fma_f64 v[113:114], v[8:9], v[14:15], v[113:114]
	v_fma_f64 v[14:15], v[6:7], v[14:15], -v[16:17]
	ds_load_b128 v[6:9], v1 offset:1152
	s_wait_loadcnt_dscnt 0x301
	v_mul_f64_e32 v[36:37], v[2:3], v[20:21]
	v_mul_f64_e32 v[20:21], v[4:5], v[20:21]
	s_wait_loadcnt_dscnt 0x200
	v_mul_f64_e32 v[16:17], v[6:7], v[24:25]
	v_mul_f64_e32 v[24:25], v[8:9], v[24:25]
	v_add_f64_e32 v[10:11], v[12:13], v[10:11]
	v_add_f64_e32 v[12:13], v[34:35], v[115:116]
	v_fma_f64 v[34:35], v[4:5], v[18:19], v[36:37]
	v_fma_f64 v[18:19], v[2:3], v[18:19], -v[20:21]
	ds_load_b128 v[2:5], v1 offset:1168
	v_fma_f64 v[8:9], v[8:9], v[22:23], v[16:17]
	v_fma_f64 v[6:7], v[6:7], v[22:23], -v[24:25]
	s_wait_loadcnt_dscnt 0x100
	v_mul_f64_e32 v[20:21], v[4:5], v[28:29]
	v_add_f64_e32 v[10:11], v[10:11], v[14:15]
	v_add_f64_e32 v[12:13], v[12:13], v[113:114]
	v_mul_f64_e32 v[14:15], v[2:3], v[28:29]
	s_delay_alu instid0(VALU_DEP_4) | instskip(NEXT) | instid1(VALU_DEP_4)
	v_fma_f64 v[2:3], v[2:3], v[26:27], -v[20:21]
	v_add_f64_e32 v[10:11], v[10:11], v[18:19]
	s_delay_alu instid0(VALU_DEP_4) | instskip(NEXT) | instid1(VALU_DEP_4)
	v_add_f64_e32 v[12:13], v[12:13], v[34:35]
	v_fma_f64 v[4:5], v[4:5], v[26:27], v[14:15]
	s_delay_alu instid0(VALU_DEP_3) | instskip(NEXT) | instid1(VALU_DEP_3)
	v_add_f64_e32 v[6:7], v[10:11], v[6:7]
	v_add_f64_e32 v[8:9], v[12:13], v[8:9]
	s_delay_alu instid0(VALU_DEP_2) | instskip(NEXT) | instid1(VALU_DEP_2)
	v_add_f64_e32 v[2:3], v[6:7], v[2:3]
	v_add_f64_e32 v[4:5], v[8:9], v[4:5]
	s_wait_loadcnt 0x0
	s_delay_alu instid0(VALU_DEP_2) | instskip(NEXT) | instid1(VALU_DEP_2)
	v_add_f64_e64 v[2:3], v[30:31], -v[2:3]
	v_add_f64_e64 v[4:5], v[32:33], -v[4:5]
	scratch_store_b128 off, v[2:5], off offset:320
	v_cmpx_lt_u32_e32 18, v0
	s_cbranch_execz .LBB36_199
; %bb.198:
	scratch_load_b128 v[5:8], off, s28
	v_dual_mov_b32 v2, v1 :: v_dual_mov_b32 v3, v1
	v_mov_b32_e32 v4, v1
	scratch_store_b128 off, v[1:4], off offset:304
	s_wait_loadcnt 0x0
	ds_store_b128 v112, v[5:8]
.LBB36_199:
	s_wait_alu 0xfffe
	s_or_b32 exec_lo, exec_lo, s0
	s_wait_storecnt_dscnt 0x0
	s_barrier_signal -1
	s_barrier_wait -1
	global_inv scope:SCOPE_SE
	s_clause 0x7
	scratch_load_b128 v[2:5], off, off offset:320
	scratch_load_b128 v[6:9], off, off offset:336
	;; [unrolled: 1-line block ×8, first 2 shown]
	ds_load_b128 v[34:37], v1 offset:896
	ds_load_b128 v[117:120], v1 offset:912
	s_clause 0x1
	scratch_load_b128 v[113:116], off, off offset:448
	scratch_load_b128 v[121:124], off, off offset:464
	s_mov_b32 s0, exec_lo
	s_wait_loadcnt_dscnt 0x901
	v_mul_f64_e32 v[125:126], v[36:37], v[4:5]
	v_mul_f64_e32 v[4:5], v[34:35], v[4:5]
	s_wait_loadcnt_dscnt 0x800
	v_mul_f64_e32 v[127:128], v[117:118], v[8:9]
	v_mul_f64_e32 v[8:9], v[119:120], v[8:9]
	s_delay_alu instid0(VALU_DEP_4) | instskip(NEXT) | instid1(VALU_DEP_4)
	v_fma_f64 v[125:126], v[34:35], v[2:3], -v[125:126]
	v_fma_f64 v[129:130], v[36:37], v[2:3], v[4:5]
	scratch_load_b128 v[34:37], off, off offset:480
	ds_load_b128 v[2:5], v1 offset:928
	v_fma_f64 v[127:128], v[119:120], v[6:7], v[127:128]
	v_fma_f64 v[133:134], v[117:118], v[6:7], -v[8:9]
	ds_load_b128 v[6:9], v1 offset:944
	scratch_load_b128 v[117:120], off, off offset:496
	s_wait_loadcnt_dscnt 0x901
	v_mul_f64_e32 v[131:132], v[2:3], v[12:13]
	v_mul_f64_e32 v[12:13], v[4:5], v[12:13]
	s_wait_loadcnt_dscnt 0x800
	v_mul_f64_e32 v[135:136], v[6:7], v[16:17]
	v_mul_f64_e32 v[16:17], v[8:9], v[16:17]
	v_add_f64_e32 v[125:126], 0, v[125:126]
	v_add_f64_e32 v[129:130], 0, v[129:130]
	v_fma_f64 v[131:132], v[4:5], v[10:11], v[131:132]
	v_fma_f64 v[137:138], v[2:3], v[10:11], -v[12:13]
	ds_load_b128 v[2:5], v1 offset:960
	scratch_load_b128 v[10:13], off, off offset:512
	v_add_f64_e32 v[125:126], v[125:126], v[133:134]
	v_add_f64_e32 v[127:128], v[129:130], v[127:128]
	v_fma_f64 v[133:134], v[8:9], v[14:15], v[135:136]
	v_fma_f64 v[135:136], v[6:7], v[14:15], -v[16:17]
	ds_load_b128 v[6:9], v1 offset:976
	scratch_load_b128 v[14:17], off, off offset:528
	s_wait_loadcnt_dscnt 0x901
	v_mul_f64_e32 v[129:130], v[2:3], v[20:21]
	v_mul_f64_e32 v[20:21], v[4:5], v[20:21]
	v_add_f64_e32 v[125:126], v[125:126], v[137:138]
	v_add_f64_e32 v[127:128], v[127:128], v[131:132]
	s_wait_loadcnt_dscnt 0x800
	v_mul_f64_e32 v[131:132], v[6:7], v[24:25]
	v_mul_f64_e32 v[24:25], v[8:9], v[24:25]
	v_fma_f64 v[129:130], v[4:5], v[18:19], v[129:130]
	v_fma_f64 v[137:138], v[2:3], v[18:19], -v[20:21]
	ds_load_b128 v[2:5], v1 offset:992
	scratch_load_b128 v[18:21], off, off offset:544
	v_add_f64_e32 v[125:126], v[125:126], v[135:136]
	v_add_f64_e32 v[127:128], v[127:128], v[133:134]
	v_fma_f64 v[131:132], v[8:9], v[22:23], v[131:132]
	v_fma_f64 v[135:136], v[6:7], v[22:23], -v[24:25]
	ds_load_b128 v[6:9], v1 offset:1008
	s_wait_loadcnt_dscnt 0x801
	v_mul_f64_e32 v[133:134], v[2:3], v[28:29]
	v_mul_f64_e32 v[28:29], v[4:5], v[28:29]
	scratch_load_b128 v[22:25], off, off offset:560
	v_add_f64_e32 v[125:126], v[125:126], v[137:138]
	v_add_f64_e32 v[127:128], v[127:128], v[129:130]
	s_wait_loadcnt_dscnt 0x800
	v_mul_f64_e32 v[129:130], v[6:7], v[32:33]
	v_mul_f64_e32 v[32:33], v[8:9], v[32:33]
	v_fma_f64 v[133:134], v[4:5], v[26:27], v[133:134]
	v_fma_f64 v[137:138], v[2:3], v[26:27], -v[28:29]
	ds_load_b128 v[2:5], v1 offset:1024
	scratch_load_b128 v[26:29], off, off offset:576
	v_add_f64_e32 v[125:126], v[125:126], v[135:136]
	v_add_f64_e32 v[127:128], v[127:128], v[131:132]
	v_fma_f64 v[129:130], v[8:9], v[30:31], v[129:130]
	v_fma_f64 v[135:136], v[6:7], v[30:31], -v[32:33]
	ds_load_b128 v[6:9], v1 offset:1040
	s_wait_loadcnt_dscnt 0x801
	v_mul_f64_e32 v[131:132], v[2:3], v[115:116]
	v_mul_f64_e32 v[115:116], v[4:5], v[115:116]
	scratch_load_b128 v[30:33], off, off offset:592
	v_add_f64_e32 v[125:126], v[125:126], v[137:138]
	v_add_f64_e32 v[127:128], v[127:128], v[133:134]
	v_fma_f64 v[131:132], v[4:5], v[113:114], v[131:132]
	v_fma_f64 v[113:114], v[2:3], v[113:114], -v[115:116]
	ds_load_b128 v[2:5], v1 offset:1056
	v_add_f64_e32 v[115:116], v[125:126], v[135:136]
	v_add_f64_e32 v[125:126], v[127:128], v[129:130]
	s_wait_loadcnt_dscnt 0x700
	v_mul_f64_e32 v[127:128], v[2:3], v[36:37]
	v_mul_f64_e32 v[36:37], v[4:5], v[36:37]
	s_delay_alu instid0(VALU_DEP_4) | instskip(NEXT) | instid1(VALU_DEP_4)
	v_add_f64_e32 v[113:114], v[115:116], v[113:114]
	v_add_f64_e32 v[115:116], v[125:126], v[131:132]
	s_delay_alu instid0(VALU_DEP_4) | instskip(NEXT) | instid1(VALU_DEP_4)
	v_fma_f64 v[125:126], v[4:5], v[34:35], v[127:128]
	v_fma_f64 v[127:128], v[2:3], v[34:35], -v[36:37]
	scratch_load_b128 v[34:37], off, off offset:304
	v_mul_f64_e32 v[133:134], v[6:7], v[123:124]
	v_mul_f64_e32 v[123:124], v[8:9], v[123:124]
	ds_load_b128 v[2:5], v1 offset:1088
	v_fma_f64 v[129:130], v[8:9], v[121:122], v[133:134]
	v_fma_f64 v[121:122], v[6:7], v[121:122], -v[123:124]
	ds_load_b128 v[6:9], v1 offset:1072
	s_wait_loadcnt_dscnt 0x700
	v_mul_f64_e32 v[123:124], v[6:7], v[119:120]
	v_mul_f64_e32 v[119:120], v[8:9], v[119:120]
	v_add_f64_e32 v[115:116], v[115:116], v[129:130]
	v_add_f64_e32 v[113:114], v[113:114], v[121:122]
	s_wait_loadcnt 0x6
	v_mul_f64_e32 v[121:122], v[2:3], v[12:13]
	v_mul_f64_e32 v[12:13], v[4:5], v[12:13]
	v_fma_f64 v[123:124], v[8:9], v[117:118], v[123:124]
	v_fma_f64 v[117:118], v[6:7], v[117:118], -v[119:120]
	ds_load_b128 v[6:9], v1 offset:1104
	v_add_f64_e32 v[115:116], v[115:116], v[125:126]
	v_add_f64_e32 v[113:114], v[113:114], v[127:128]
	v_fma_f64 v[121:122], v[4:5], v[10:11], v[121:122]
	v_fma_f64 v[10:11], v[2:3], v[10:11], -v[12:13]
	ds_load_b128 v[2:5], v1 offset:1120
	s_wait_loadcnt_dscnt 0x501
	v_mul_f64_e32 v[119:120], v[6:7], v[16:17]
	v_mul_f64_e32 v[16:17], v[8:9], v[16:17]
	v_add_f64_e32 v[12:13], v[113:114], v[117:118]
	v_add_f64_e32 v[113:114], v[115:116], v[123:124]
	s_wait_loadcnt_dscnt 0x400
	v_mul_f64_e32 v[115:116], v[2:3], v[20:21]
	v_mul_f64_e32 v[20:21], v[4:5], v[20:21]
	v_fma_f64 v[117:118], v[8:9], v[14:15], v[119:120]
	v_fma_f64 v[14:15], v[6:7], v[14:15], -v[16:17]
	ds_load_b128 v[6:9], v1 offset:1136
	v_add_f64_e32 v[10:11], v[12:13], v[10:11]
	v_add_f64_e32 v[12:13], v[113:114], v[121:122]
	v_fma_f64 v[113:114], v[4:5], v[18:19], v[115:116]
	v_fma_f64 v[18:19], v[2:3], v[18:19], -v[20:21]
	ds_load_b128 v[2:5], v1 offset:1152
	s_wait_loadcnt_dscnt 0x301
	v_mul_f64_e32 v[16:17], v[6:7], v[24:25]
	v_mul_f64_e32 v[24:25], v[8:9], v[24:25]
	s_wait_loadcnt_dscnt 0x200
	v_mul_f64_e32 v[20:21], v[4:5], v[28:29]
	v_add_f64_e32 v[10:11], v[10:11], v[14:15]
	v_add_f64_e32 v[12:13], v[12:13], v[117:118]
	v_mul_f64_e32 v[14:15], v[2:3], v[28:29]
	v_fma_f64 v[16:17], v[8:9], v[22:23], v[16:17]
	v_fma_f64 v[22:23], v[6:7], v[22:23], -v[24:25]
	ds_load_b128 v[6:9], v1 offset:1168
	v_fma_f64 v[1:2], v[2:3], v[26:27], -v[20:21]
	s_wait_loadcnt_dscnt 0x100
	v_mul_f64_e32 v[24:25], v[8:9], v[32:33]
	v_add_f64_e32 v[10:11], v[10:11], v[18:19]
	v_add_f64_e32 v[12:13], v[12:13], v[113:114]
	v_mul_f64_e32 v[18:19], v[6:7], v[32:33]
	v_fma_f64 v[4:5], v[4:5], v[26:27], v[14:15]
	v_fma_f64 v[6:7], v[6:7], v[30:31], -v[24:25]
	v_add_f64_e32 v[10:11], v[10:11], v[22:23]
	v_add_f64_e32 v[12:13], v[12:13], v[16:17]
	v_fma_f64 v[8:9], v[8:9], v[30:31], v[18:19]
	s_delay_alu instid0(VALU_DEP_3) | instskip(NEXT) | instid1(VALU_DEP_3)
	v_add_f64_e32 v[1:2], v[10:11], v[1:2]
	v_add_f64_e32 v[3:4], v[12:13], v[4:5]
	s_delay_alu instid0(VALU_DEP_2) | instskip(NEXT) | instid1(VALU_DEP_2)
	v_add_f64_e32 v[1:2], v[1:2], v[6:7]
	v_add_f64_e32 v[3:4], v[3:4], v[8:9]
	s_wait_loadcnt 0x0
	s_delay_alu instid0(VALU_DEP_2) | instskip(NEXT) | instid1(VALU_DEP_2)
	v_add_f64_e64 v[1:2], v[34:35], -v[1:2]
	v_add_f64_e64 v[3:4], v[36:37], -v[3:4]
	scratch_store_b128 off, v[1:4], off offset:304
	v_cmpx_lt_u32_e32 17, v0
	s_cbranch_execz .LBB36_201
; %bb.200:
	scratch_load_b128 v[1:4], off, s27
	v_mov_b32_e32 v5, 0
	s_delay_alu instid0(VALU_DEP_1)
	v_dual_mov_b32 v6, v5 :: v_dual_mov_b32 v7, v5
	v_mov_b32_e32 v8, v5
	scratch_store_b128 off, v[5:8], off offset:288
	s_wait_loadcnt 0x0
	ds_store_b128 v112, v[1:4]
.LBB36_201:
	s_wait_alu 0xfffe
	s_or_b32 exec_lo, exec_lo, s0
	s_wait_storecnt_dscnt 0x0
	s_barrier_signal -1
	s_barrier_wait -1
	global_inv scope:SCOPE_SE
	s_clause 0x7
	scratch_load_b128 v[2:5], off, off offset:304
	scratch_load_b128 v[6:9], off, off offset:320
	;; [unrolled: 1-line block ×8, first 2 shown]
	v_mov_b32_e32 v1, 0
	s_clause 0x1
	scratch_load_b128 v[113:116], off, off offset:432
	scratch_load_b128 v[121:124], off, off offset:448
	s_mov_b32 s0, exec_lo
	ds_load_b128 v[34:37], v1 offset:880
	ds_load_b128 v[117:120], v1 offset:896
	s_wait_loadcnt_dscnt 0x901
	v_mul_f64_e32 v[125:126], v[36:37], v[4:5]
	v_mul_f64_e32 v[4:5], v[34:35], v[4:5]
	s_wait_loadcnt_dscnt 0x800
	v_mul_f64_e32 v[127:128], v[117:118], v[8:9]
	v_mul_f64_e32 v[8:9], v[119:120], v[8:9]
	s_delay_alu instid0(VALU_DEP_4) | instskip(NEXT) | instid1(VALU_DEP_4)
	v_fma_f64 v[125:126], v[34:35], v[2:3], -v[125:126]
	v_fma_f64 v[129:130], v[36:37], v[2:3], v[4:5]
	ds_load_b128 v[2:5], v1 offset:912
	scratch_load_b128 v[34:37], off, off offset:464
	v_fma_f64 v[127:128], v[119:120], v[6:7], v[127:128]
	v_fma_f64 v[133:134], v[117:118], v[6:7], -v[8:9]
	ds_load_b128 v[6:9], v1 offset:928
	scratch_load_b128 v[117:120], off, off offset:480
	s_wait_loadcnt_dscnt 0x901
	v_mul_f64_e32 v[131:132], v[2:3], v[12:13]
	v_mul_f64_e32 v[12:13], v[4:5], v[12:13]
	s_wait_loadcnt_dscnt 0x800
	v_mul_f64_e32 v[135:136], v[6:7], v[16:17]
	v_mul_f64_e32 v[16:17], v[8:9], v[16:17]
	v_add_f64_e32 v[125:126], 0, v[125:126]
	v_add_f64_e32 v[129:130], 0, v[129:130]
	v_fma_f64 v[131:132], v[4:5], v[10:11], v[131:132]
	v_fma_f64 v[137:138], v[2:3], v[10:11], -v[12:13]
	ds_load_b128 v[2:5], v1 offset:944
	scratch_load_b128 v[10:13], off, off offset:496
	v_add_f64_e32 v[125:126], v[125:126], v[133:134]
	v_add_f64_e32 v[127:128], v[129:130], v[127:128]
	v_fma_f64 v[133:134], v[8:9], v[14:15], v[135:136]
	v_fma_f64 v[135:136], v[6:7], v[14:15], -v[16:17]
	ds_load_b128 v[6:9], v1 offset:960
	scratch_load_b128 v[14:17], off, off offset:512
	s_wait_loadcnt_dscnt 0x901
	v_mul_f64_e32 v[129:130], v[2:3], v[20:21]
	v_mul_f64_e32 v[20:21], v[4:5], v[20:21]
	v_add_f64_e32 v[125:126], v[125:126], v[137:138]
	v_add_f64_e32 v[127:128], v[127:128], v[131:132]
	s_wait_loadcnt_dscnt 0x800
	v_mul_f64_e32 v[131:132], v[6:7], v[24:25]
	v_mul_f64_e32 v[24:25], v[8:9], v[24:25]
	v_fma_f64 v[129:130], v[4:5], v[18:19], v[129:130]
	v_fma_f64 v[137:138], v[2:3], v[18:19], -v[20:21]
	ds_load_b128 v[2:5], v1 offset:976
	scratch_load_b128 v[18:21], off, off offset:528
	v_add_f64_e32 v[125:126], v[125:126], v[135:136]
	v_add_f64_e32 v[127:128], v[127:128], v[133:134]
	v_fma_f64 v[131:132], v[8:9], v[22:23], v[131:132]
	v_fma_f64 v[135:136], v[6:7], v[22:23], -v[24:25]
	ds_load_b128 v[6:9], v1 offset:992
	s_wait_loadcnt_dscnt 0x801
	v_mul_f64_e32 v[133:134], v[2:3], v[28:29]
	v_mul_f64_e32 v[28:29], v[4:5], v[28:29]
	scratch_load_b128 v[22:25], off, off offset:544
	v_add_f64_e32 v[125:126], v[125:126], v[137:138]
	v_add_f64_e32 v[127:128], v[127:128], v[129:130]
	s_wait_loadcnt_dscnt 0x800
	v_mul_f64_e32 v[129:130], v[6:7], v[32:33]
	v_mul_f64_e32 v[32:33], v[8:9], v[32:33]
	v_fma_f64 v[133:134], v[4:5], v[26:27], v[133:134]
	v_fma_f64 v[137:138], v[2:3], v[26:27], -v[28:29]
	ds_load_b128 v[2:5], v1 offset:1008
	scratch_load_b128 v[26:29], off, off offset:560
	v_add_f64_e32 v[125:126], v[125:126], v[135:136]
	v_add_f64_e32 v[127:128], v[127:128], v[131:132]
	v_fma_f64 v[129:130], v[8:9], v[30:31], v[129:130]
	v_fma_f64 v[135:136], v[6:7], v[30:31], -v[32:33]
	ds_load_b128 v[6:9], v1 offset:1024
	s_wait_loadcnt_dscnt 0x801
	v_mul_f64_e32 v[131:132], v[2:3], v[115:116]
	v_mul_f64_e32 v[115:116], v[4:5], v[115:116]
	scratch_load_b128 v[30:33], off, off offset:576
	v_add_f64_e32 v[125:126], v[125:126], v[137:138]
	v_add_f64_e32 v[127:128], v[127:128], v[133:134]
	s_wait_loadcnt_dscnt 0x800
	v_mul_f64_e32 v[133:134], v[6:7], v[123:124]
	v_mul_f64_e32 v[123:124], v[8:9], v[123:124]
	v_fma_f64 v[131:132], v[4:5], v[113:114], v[131:132]
	v_fma_f64 v[137:138], v[2:3], v[113:114], -v[115:116]
	ds_load_b128 v[2:5], v1 offset:1040
	scratch_load_b128 v[113:116], off, off offset:592
	v_add_f64_e32 v[125:126], v[125:126], v[135:136]
	v_add_f64_e32 v[127:128], v[127:128], v[129:130]
	v_fma_f64 v[133:134], v[8:9], v[121:122], v[133:134]
	v_fma_f64 v[121:122], v[6:7], v[121:122], -v[123:124]
	ds_load_b128 v[6:9], v1 offset:1056
	s_wait_loadcnt_dscnt 0x801
	v_mul_f64_e32 v[129:130], v[2:3], v[36:37]
	v_mul_f64_e32 v[36:37], v[4:5], v[36:37]
	v_add_f64_e32 v[123:124], v[125:126], v[137:138]
	v_add_f64_e32 v[125:126], v[127:128], v[131:132]
	s_wait_loadcnt_dscnt 0x700
	v_mul_f64_e32 v[127:128], v[6:7], v[119:120]
	v_mul_f64_e32 v[119:120], v[8:9], v[119:120]
	v_fma_f64 v[129:130], v[4:5], v[34:35], v[129:130]
	v_fma_f64 v[34:35], v[2:3], v[34:35], -v[36:37]
	ds_load_b128 v[2:5], v1 offset:1072
	v_add_f64_e32 v[36:37], v[123:124], v[121:122]
	v_add_f64_e32 v[121:122], v[125:126], v[133:134]
	v_fma_f64 v[125:126], v[8:9], v[117:118], v[127:128]
	v_fma_f64 v[117:118], v[6:7], v[117:118], -v[119:120]
	ds_load_b128 v[6:9], v1 offset:1088
	s_wait_loadcnt_dscnt 0x500
	v_mul_f64_e32 v[127:128], v[6:7], v[16:17]
	v_mul_f64_e32 v[16:17], v[8:9], v[16:17]
	v_add_f64_e32 v[119:120], v[36:37], v[34:35]
	v_add_f64_e32 v[121:122], v[121:122], v[129:130]
	scratch_load_b128 v[34:37], off, off offset:288
	v_mul_f64_e32 v[123:124], v[2:3], v[12:13]
	v_mul_f64_e32 v[12:13], v[4:5], v[12:13]
	s_delay_alu instid0(VALU_DEP_2) | instskip(NEXT) | instid1(VALU_DEP_2)
	v_fma_f64 v[123:124], v[4:5], v[10:11], v[123:124]
	v_fma_f64 v[10:11], v[2:3], v[10:11], -v[12:13]
	v_add_f64_e32 v[12:13], v[119:120], v[117:118]
	v_add_f64_e32 v[117:118], v[121:122], v[125:126]
	ds_load_b128 v[2:5], v1 offset:1104
	v_fma_f64 v[121:122], v[8:9], v[14:15], v[127:128]
	v_fma_f64 v[14:15], v[6:7], v[14:15], -v[16:17]
	ds_load_b128 v[6:9], v1 offset:1120
	s_wait_loadcnt_dscnt 0x501
	v_mul_f64_e32 v[119:120], v[2:3], v[20:21]
	v_mul_f64_e32 v[20:21], v[4:5], v[20:21]
	s_wait_loadcnt_dscnt 0x400
	v_mul_f64_e32 v[16:17], v[6:7], v[24:25]
	v_mul_f64_e32 v[24:25], v[8:9], v[24:25]
	v_add_f64_e32 v[10:11], v[12:13], v[10:11]
	v_add_f64_e32 v[12:13], v[117:118], v[123:124]
	v_fma_f64 v[117:118], v[4:5], v[18:19], v[119:120]
	v_fma_f64 v[18:19], v[2:3], v[18:19], -v[20:21]
	ds_load_b128 v[2:5], v1 offset:1136
	v_fma_f64 v[16:17], v[8:9], v[22:23], v[16:17]
	v_fma_f64 v[22:23], v[6:7], v[22:23], -v[24:25]
	ds_load_b128 v[6:9], v1 offset:1152
	v_add_f64_e32 v[10:11], v[10:11], v[14:15]
	v_add_f64_e32 v[12:13], v[12:13], v[121:122]
	s_wait_loadcnt_dscnt 0x301
	v_mul_f64_e32 v[14:15], v[2:3], v[28:29]
	v_mul_f64_e32 v[20:21], v[4:5], v[28:29]
	s_wait_loadcnt_dscnt 0x200
	v_mul_f64_e32 v[24:25], v[8:9], v[32:33]
	v_add_f64_e32 v[10:11], v[10:11], v[18:19]
	v_add_f64_e32 v[12:13], v[12:13], v[117:118]
	v_mul_f64_e32 v[18:19], v[6:7], v[32:33]
	v_fma_f64 v[14:15], v[4:5], v[26:27], v[14:15]
	v_fma_f64 v[20:21], v[2:3], v[26:27], -v[20:21]
	ds_load_b128 v[2:5], v1 offset:1168
	v_fma_f64 v[6:7], v[6:7], v[30:31], -v[24:25]
	v_add_f64_e32 v[10:11], v[10:11], v[22:23]
	v_add_f64_e32 v[12:13], v[12:13], v[16:17]
	s_wait_loadcnt_dscnt 0x100
	v_mul_f64_e32 v[16:17], v[2:3], v[115:116]
	v_mul_f64_e32 v[22:23], v[4:5], v[115:116]
	v_fma_f64 v[8:9], v[8:9], v[30:31], v[18:19]
	v_add_f64_e32 v[10:11], v[10:11], v[20:21]
	v_add_f64_e32 v[12:13], v[12:13], v[14:15]
	v_fma_f64 v[4:5], v[4:5], v[113:114], v[16:17]
	v_fma_f64 v[2:3], v[2:3], v[113:114], -v[22:23]
	s_delay_alu instid0(VALU_DEP_4) | instskip(NEXT) | instid1(VALU_DEP_4)
	v_add_f64_e32 v[6:7], v[10:11], v[6:7]
	v_add_f64_e32 v[8:9], v[12:13], v[8:9]
	s_delay_alu instid0(VALU_DEP_2) | instskip(NEXT) | instid1(VALU_DEP_2)
	v_add_f64_e32 v[2:3], v[6:7], v[2:3]
	v_add_f64_e32 v[4:5], v[8:9], v[4:5]
	s_wait_loadcnt 0x0
	s_delay_alu instid0(VALU_DEP_2) | instskip(NEXT) | instid1(VALU_DEP_2)
	v_add_f64_e64 v[2:3], v[34:35], -v[2:3]
	v_add_f64_e64 v[4:5], v[36:37], -v[4:5]
	scratch_store_b128 off, v[2:5], off offset:288
	v_cmpx_lt_u32_e32 16, v0
	s_cbranch_execz .LBB36_203
; %bb.202:
	scratch_load_b128 v[5:8], off, s29
	v_dual_mov_b32 v2, v1 :: v_dual_mov_b32 v3, v1
	v_mov_b32_e32 v4, v1
	scratch_store_b128 off, v[1:4], off offset:272
	s_wait_loadcnt 0x0
	ds_store_b128 v112, v[5:8]
.LBB36_203:
	s_wait_alu 0xfffe
	s_or_b32 exec_lo, exec_lo, s0
	s_wait_storecnt_dscnt 0x0
	s_barrier_signal -1
	s_barrier_wait -1
	global_inv scope:SCOPE_SE
	s_clause 0x7
	scratch_load_b128 v[2:5], off, off offset:288
	scratch_load_b128 v[6:9], off, off offset:304
	;; [unrolled: 1-line block ×8, first 2 shown]
	ds_load_b128 v[34:37], v1 offset:864
	ds_load_b128 v[117:120], v1 offset:880
	s_clause 0x1
	scratch_load_b128 v[113:116], off, off offset:416
	scratch_load_b128 v[121:124], off, off offset:432
	s_mov_b32 s0, exec_lo
	s_wait_loadcnt_dscnt 0x901
	v_mul_f64_e32 v[125:126], v[36:37], v[4:5]
	v_mul_f64_e32 v[4:5], v[34:35], v[4:5]
	s_wait_loadcnt_dscnt 0x800
	v_mul_f64_e32 v[127:128], v[117:118], v[8:9]
	v_mul_f64_e32 v[8:9], v[119:120], v[8:9]
	s_delay_alu instid0(VALU_DEP_4) | instskip(NEXT) | instid1(VALU_DEP_4)
	v_fma_f64 v[125:126], v[34:35], v[2:3], -v[125:126]
	v_fma_f64 v[129:130], v[36:37], v[2:3], v[4:5]
	ds_load_b128 v[2:5], v1 offset:896
	scratch_load_b128 v[34:37], off, off offset:448
	v_fma_f64 v[127:128], v[119:120], v[6:7], v[127:128]
	v_fma_f64 v[133:134], v[117:118], v[6:7], -v[8:9]
	ds_load_b128 v[6:9], v1 offset:912
	scratch_load_b128 v[117:120], off, off offset:464
	s_wait_loadcnt_dscnt 0x901
	v_mul_f64_e32 v[131:132], v[2:3], v[12:13]
	v_mul_f64_e32 v[12:13], v[4:5], v[12:13]
	s_wait_loadcnt_dscnt 0x800
	v_mul_f64_e32 v[135:136], v[6:7], v[16:17]
	v_mul_f64_e32 v[16:17], v[8:9], v[16:17]
	v_add_f64_e32 v[125:126], 0, v[125:126]
	v_add_f64_e32 v[129:130], 0, v[129:130]
	v_fma_f64 v[131:132], v[4:5], v[10:11], v[131:132]
	v_fma_f64 v[137:138], v[2:3], v[10:11], -v[12:13]
	scratch_load_b128 v[10:13], off, off offset:480
	ds_load_b128 v[2:5], v1 offset:928
	v_add_f64_e32 v[125:126], v[125:126], v[133:134]
	v_add_f64_e32 v[127:128], v[129:130], v[127:128]
	v_fma_f64 v[133:134], v[8:9], v[14:15], v[135:136]
	v_fma_f64 v[135:136], v[6:7], v[14:15], -v[16:17]
	ds_load_b128 v[6:9], v1 offset:944
	scratch_load_b128 v[14:17], off, off offset:496
	s_wait_loadcnt_dscnt 0x901
	v_mul_f64_e32 v[129:130], v[2:3], v[20:21]
	v_mul_f64_e32 v[20:21], v[4:5], v[20:21]
	v_add_f64_e32 v[125:126], v[125:126], v[137:138]
	v_add_f64_e32 v[127:128], v[127:128], v[131:132]
	s_wait_loadcnt_dscnt 0x800
	v_mul_f64_e32 v[131:132], v[6:7], v[24:25]
	v_mul_f64_e32 v[24:25], v[8:9], v[24:25]
	v_fma_f64 v[129:130], v[4:5], v[18:19], v[129:130]
	v_fma_f64 v[137:138], v[2:3], v[18:19], -v[20:21]
	ds_load_b128 v[2:5], v1 offset:960
	scratch_load_b128 v[18:21], off, off offset:512
	v_add_f64_e32 v[125:126], v[125:126], v[135:136]
	v_add_f64_e32 v[127:128], v[127:128], v[133:134]
	v_fma_f64 v[131:132], v[8:9], v[22:23], v[131:132]
	v_fma_f64 v[135:136], v[6:7], v[22:23], -v[24:25]
	ds_load_b128 v[6:9], v1 offset:976
	s_wait_loadcnt_dscnt 0x801
	v_mul_f64_e32 v[133:134], v[2:3], v[28:29]
	v_mul_f64_e32 v[28:29], v[4:5], v[28:29]
	scratch_load_b128 v[22:25], off, off offset:528
	v_add_f64_e32 v[125:126], v[125:126], v[137:138]
	v_add_f64_e32 v[127:128], v[127:128], v[129:130]
	s_wait_loadcnt_dscnt 0x800
	v_mul_f64_e32 v[129:130], v[6:7], v[32:33]
	v_mul_f64_e32 v[32:33], v[8:9], v[32:33]
	v_fma_f64 v[133:134], v[4:5], v[26:27], v[133:134]
	v_fma_f64 v[137:138], v[2:3], v[26:27], -v[28:29]
	ds_load_b128 v[2:5], v1 offset:992
	scratch_load_b128 v[26:29], off, off offset:544
	v_add_f64_e32 v[125:126], v[125:126], v[135:136]
	v_add_f64_e32 v[127:128], v[127:128], v[131:132]
	v_fma_f64 v[129:130], v[8:9], v[30:31], v[129:130]
	v_fma_f64 v[135:136], v[6:7], v[30:31], -v[32:33]
	ds_load_b128 v[6:9], v1 offset:1008
	s_wait_loadcnt_dscnt 0x801
	v_mul_f64_e32 v[131:132], v[2:3], v[115:116]
	v_mul_f64_e32 v[115:116], v[4:5], v[115:116]
	scratch_load_b128 v[30:33], off, off offset:560
	v_add_f64_e32 v[125:126], v[125:126], v[137:138]
	v_add_f64_e32 v[127:128], v[127:128], v[133:134]
	s_wait_loadcnt_dscnt 0x800
	v_mul_f64_e32 v[133:134], v[6:7], v[123:124]
	v_mul_f64_e32 v[123:124], v[8:9], v[123:124]
	v_fma_f64 v[131:132], v[4:5], v[113:114], v[131:132]
	v_fma_f64 v[137:138], v[2:3], v[113:114], -v[115:116]
	ds_load_b128 v[2:5], v1 offset:1024
	scratch_load_b128 v[113:116], off, off offset:576
	v_add_f64_e32 v[125:126], v[125:126], v[135:136]
	v_add_f64_e32 v[127:128], v[127:128], v[129:130]
	v_fma_f64 v[133:134], v[8:9], v[121:122], v[133:134]
	v_fma_f64 v[135:136], v[6:7], v[121:122], -v[123:124]
	ds_load_b128 v[6:9], v1 offset:1040
	scratch_load_b128 v[121:124], off, off offset:592
	s_wait_loadcnt_dscnt 0x901
	v_mul_f64_e32 v[129:130], v[2:3], v[36:37]
	v_mul_f64_e32 v[36:37], v[4:5], v[36:37]
	v_add_f64_e32 v[125:126], v[125:126], v[137:138]
	v_add_f64_e32 v[127:128], v[127:128], v[131:132]
	s_delay_alu instid0(VALU_DEP_4) | instskip(NEXT) | instid1(VALU_DEP_4)
	v_fma_f64 v[129:130], v[4:5], v[34:35], v[129:130]
	v_fma_f64 v[34:35], v[2:3], v[34:35], -v[36:37]
	ds_load_b128 v[2:5], v1 offset:1056
	v_add_f64_e32 v[36:37], v[125:126], v[135:136]
	v_add_f64_e32 v[125:126], v[127:128], v[133:134]
	s_wait_loadcnt_dscnt 0x700
	v_mul_f64_e32 v[127:128], v[2:3], v[12:13]
	v_mul_f64_e32 v[12:13], v[4:5], v[12:13]
	s_delay_alu instid0(VALU_DEP_4) | instskip(NEXT) | instid1(VALU_DEP_4)
	v_add_f64_e32 v[34:35], v[36:37], v[34:35]
	v_add_f64_e32 v[36:37], v[125:126], v[129:130]
	s_delay_alu instid0(VALU_DEP_4) | instskip(NEXT) | instid1(VALU_DEP_4)
	v_fma_f64 v[125:126], v[4:5], v[10:11], v[127:128]
	v_fma_f64 v[127:128], v[2:3], v[10:11], -v[12:13]
	scratch_load_b128 v[10:13], off, off offset:272
	v_mul_f64_e32 v[131:132], v[6:7], v[119:120]
	v_mul_f64_e32 v[119:120], v[8:9], v[119:120]
	ds_load_b128 v[2:5], v1 offset:1088
	v_fma_f64 v[131:132], v[8:9], v[117:118], v[131:132]
	v_fma_f64 v[117:118], v[6:7], v[117:118], -v[119:120]
	ds_load_b128 v[6:9], v1 offset:1072
	s_wait_loadcnt_dscnt 0x700
	v_mul_f64_e32 v[119:120], v[6:7], v[16:17]
	v_mul_f64_e32 v[16:17], v[8:9], v[16:17]
	v_add_f64_e32 v[36:37], v[36:37], v[131:132]
	v_add_f64_e32 v[34:35], v[34:35], v[117:118]
	s_wait_loadcnt 0x6
	v_mul_f64_e32 v[117:118], v[2:3], v[20:21]
	v_mul_f64_e32 v[20:21], v[4:5], v[20:21]
	v_fma_f64 v[119:120], v[8:9], v[14:15], v[119:120]
	v_fma_f64 v[14:15], v[6:7], v[14:15], -v[16:17]
	ds_load_b128 v[6:9], v1 offset:1104
	v_add_f64_e32 v[16:17], v[34:35], v[127:128]
	v_add_f64_e32 v[34:35], v[36:37], v[125:126]
	v_fma_f64 v[117:118], v[4:5], v[18:19], v[117:118]
	v_fma_f64 v[18:19], v[2:3], v[18:19], -v[20:21]
	ds_load_b128 v[2:5], v1 offset:1120
	s_wait_loadcnt_dscnt 0x501
	v_mul_f64_e32 v[36:37], v[6:7], v[24:25]
	v_mul_f64_e32 v[24:25], v[8:9], v[24:25]
	s_wait_loadcnt_dscnt 0x400
	v_mul_f64_e32 v[20:21], v[2:3], v[28:29]
	v_mul_f64_e32 v[28:29], v[4:5], v[28:29]
	v_add_f64_e32 v[14:15], v[16:17], v[14:15]
	v_add_f64_e32 v[16:17], v[34:35], v[119:120]
	v_fma_f64 v[34:35], v[8:9], v[22:23], v[36:37]
	v_fma_f64 v[22:23], v[6:7], v[22:23], -v[24:25]
	ds_load_b128 v[6:9], v1 offset:1136
	v_fma_f64 v[20:21], v[4:5], v[26:27], v[20:21]
	v_fma_f64 v[26:27], v[2:3], v[26:27], -v[28:29]
	ds_load_b128 v[2:5], v1 offset:1152
	s_wait_loadcnt_dscnt 0x301
	v_mul_f64_e32 v[24:25], v[8:9], v[32:33]
	v_add_f64_e32 v[14:15], v[14:15], v[18:19]
	v_add_f64_e32 v[16:17], v[16:17], v[117:118]
	v_mul_f64_e32 v[18:19], v[6:7], v[32:33]
	s_wait_loadcnt_dscnt 0x200
	v_mul_f64_e32 v[28:29], v[4:5], v[115:116]
	v_fma_f64 v[24:25], v[6:7], v[30:31], -v[24:25]
	v_add_f64_e32 v[14:15], v[14:15], v[22:23]
	v_add_f64_e32 v[16:17], v[16:17], v[34:35]
	v_mul_f64_e32 v[22:23], v[2:3], v[115:116]
	v_fma_f64 v[18:19], v[8:9], v[30:31], v[18:19]
	ds_load_b128 v[6:9], v1 offset:1168
	v_fma_f64 v[1:2], v[2:3], v[113:114], -v[28:29]
	v_add_f64_e32 v[14:15], v[14:15], v[26:27]
	v_add_f64_e32 v[16:17], v[16:17], v[20:21]
	s_wait_loadcnt_dscnt 0x100
	v_mul_f64_e32 v[20:21], v[6:7], v[123:124]
	v_mul_f64_e32 v[26:27], v[8:9], v[123:124]
	v_fma_f64 v[4:5], v[4:5], v[113:114], v[22:23]
	v_add_f64_e32 v[14:15], v[14:15], v[24:25]
	v_add_f64_e32 v[16:17], v[16:17], v[18:19]
	v_fma_f64 v[8:9], v[8:9], v[121:122], v[20:21]
	v_fma_f64 v[6:7], v[6:7], v[121:122], -v[26:27]
	s_delay_alu instid0(VALU_DEP_4) | instskip(NEXT) | instid1(VALU_DEP_4)
	v_add_f64_e32 v[1:2], v[14:15], v[1:2]
	v_add_f64_e32 v[3:4], v[16:17], v[4:5]
	s_delay_alu instid0(VALU_DEP_2) | instskip(NEXT) | instid1(VALU_DEP_2)
	v_add_f64_e32 v[1:2], v[1:2], v[6:7]
	v_add_f64_e32 v[3:4], v[3:4], v[8:9]
	s_wait_loadcnt 0x0
	s_delay_alu instid0(VALU_DEP_2) | instskip(NEXT) | instid1(VALU_DEP_2)
	v_add_f64_e64 v[1:2], v[10:11], -v[1:2]
	v_add_f64_e64 v[3:4], v[12:13], -v[3:4]
	scratch_store_b128 off, v[1:4], off offset:272
	v_cmpx_lt_u32_e32 15, v0
	s_cbranch_execz .LBB36_205
; %bb.204:
	scratch_load_b128 v[1:4], off, s31
	v_mov_b32_e32 v5, 0
	s_delay_alu instid0(VALU_DEP_1)
	v_dual_mov_b32 v6, v5 :: v_dual_mov_b32 v7, v5
	v_mov_b32_e32 v8, v5
	scratch_store_b128 off, v[5:8], off offset:256
	s_wait_loadcnt 0x0
	ds_store_b128 v112, v[1:4]
.LBB36_205:
	s_wait_alu 0xfffe
	s_or_b32 exec_lo, exec_lo, s0
	s_wait_storecnt_dscnt 0x0
	s_barrier_signal -1
	s_barrier_wait -1
	global_inv scope:SCOPE_SE
	s_clause 0x7
	scratch_load_b128 v[2:5], off, off offset:272
	scratch_load_b128 v[6:9], off, off offset:288
	;; [unrolled: 1-line block ×8, first 2 shown]
	v_mov_b32_e32 v1, 0
	s_clause 0x1
	scratch_load_b128 v[113:116], off, off offset:400
	scratch_load_b128 v[121:124], off, off offset:416
	s_mov_b32 s0, exec_lo
	ds_load_b128 v[34:37], v1 offset:848
	ds_load_b128 v[117:120], v1 offset:864
	s_wait_loadcnt_dscnt 0x901
	v_mul_f64_e32 v[125:126], v[36:37], v[4:5]
	v_mul_f64_e32 v[4:5], v[34:35], v[4:5]
	s_wait_loadcnt_dscnt 0x800
	v_mul_f64_e32 v[127:128], v[117:118], v[8:9]
	v_mul_f64_e32 v[8:9], v[119:120], v[8:9]
	s_delay_alu instid0(VALU_DEP_4) | instskip(NEXT) | instid1(VALU_DEP_4)
	v_fma_f64 v[125:126], v[34:35], v[2:3], -v[125:126]
	v_fma_f64 v[129:130], v[36:37], v[2:3], v[4:5]
	ds_load_b128 v[2:5], v1 offset:880
	scratch_load_b128 v[34:37], off, off offset:432
	v_fma_f64 v[127:128], v[119:120], v[6:7], v[127:128]
	v_fma_f64 v[133:134], v[117:118], v[6:7], -v[8:9]
	ds_load_b128 v[6:9], v1 offset:896
	scratch_load_b128 v[117:120], off, off offset:448
	s_wait_loadcnt_dscnt 0x901
	v_mul_f64_e32 v[131:132], v[2:3], v[12:13]
	v_mul_f64_e32 v[12:13], v[4:5], v[12:13]
	s_wait_loadcnt_dscnt 0x800
	v_mul_f64_e32 v[135:136], v[6:7], v[16:17]
	v_mul_f64_e32 v[16:17], v[8:9], v[16:17]
	v_add_f64_e32 v[125:126], 0, v[125:126]
	v_add_f64_e32 v[129:130], 0, v[129:130]
	v_fma_f64 v[131:132], v[4:5], v[10:11], v[131:132]
	v_fma_f64 v[137:138], v[2:3], v[10:11], -v[12:13]
	ds_load_b128 v[2:5], v1 offset:912
	scratch_load_b128 v[10:13], off, off offset:464
	v_add_f64_e32 v[125:126], v[125:126], v[133:134]
	v_add_f64_e32 v[127:128], v[129:130], v[127:128]
	v_fma_f64 v[133:134], v[8:9], v[14:15], v[135:136]
	v_fma_f64 v[135:136], v[6:7], v[14:15], -v[16:17]
	ds_load_b128 v[6:9], v1 offset:928
	scratch_load_b128 v[14:17], off, off offset:480
	s_wait_loadcnt_dscnt 0x901
	v_mul_f64_e32 v[129:130], v[2:3], v[20:21]
	v_mul_f64_e32 v[20:21], v[4:5], v[20:21]
	v_add_f64_e32 v[125:126], v[125:126], v[137:138]
	v_add_f64_e32 v[127:128], v[127:128], v[131:132]
	s_wait_loadcnt_dscnt 0x800
	v_mul_f64_e32 v[131:132], v[6:7], v[24:25]
	v_mul_f64_e32 v[24:25], v[8:9], v[24:25]
	v_fma_f64 v[129:130], v[4:5], v[18:19], v[129:130]
	v_fma_f64 v[137:138], v[2:3], v[18:19], -v[20:21]
	ds_load_b128 v[2:5], v1 offset:944
	scratch_load_b128 v[18:21], off, off offset:496
	v_add_f64_e32 v[125:126], v[125:126], v[135:136]
	v_add_f64_e32 v[127:128], v[127:128], v[133:134]
	v_fma_f64 v[131:132], v[8:9], v[22:23], v[131:132]
	v_fma_f64 v[135:136], v[6:7], v[22:23], -v[24:25]
	ds_load_b128 v[6:9], v1 offset:960
	s_wait_loadcnt_dscnt 0x801
	v_mul_f64_e32 v[133:134], v[2:3], v[28:29]
	v_mul_f64_e32 v[28:29], v[4:5], v[28:29]
	scratch_load_b128 v[22:25], off, off offset:512
	v_add_f64_e32 v[125:126], v[125:126], v[137:138]
	v_add_f64_e32 v[127:128], v[127:128], v[129:130]
	s_wait_loadcnt_dscnt 0x800
	v_mul_f64_e32 v[129:130], v[6:7], v[32:33]
	v_mul_f64_e32 v[32:33], v[8:9], v[32:33]
	v_fma_f64 v[133:134], v[4:5], v[26:27], v[133:134]
	v_fma_f64 v[137:138], v[2:3], v[26:27], -v[28:29]
	ds_load_b128 v[2:5], v1 offset:976
	scratch_load_b128 v[26:29], off, off offset:528
	v_add_f64_e32 v[125:126], v[125:126], v[135:136]
	v_add_f64_e32 v[127:128], v[127:128], v[131:132]
	v_fma_f64 v[129:130], v[8:9], v[30:31], v[129:130]
	v_fma_f64 v[135:136], v[6:7], v[30:31], -v[32:33]
	ds_load_b128 v[6:9], v1 offset:992
	s_wait_loadcnt_dscnt 0x801
	v_mul_f64_e32 v[131:132], v[2:3], v[115:116]
	v_mul_f64_e32 v[115:116], v[4:5], v[115:116]
	scratch_load_b128 v[30:33], off, off offset:544
	v_add_f64_e32 v[125:126], v[125:126], v[137:138]
	v_add_f64_e32 v[127:128], v[127:128], v[133:134]
	s_wait_loadcnt_dscnt 0x800
	v_mul_f64_e32 v[133:134], v[6:7], v[123:124]
	v_mul_f64_e32 v[123:124], v[8:9], v[123:124]
	v_fma_f64 v[131:132], v[4:5], v[113:114], v[131:132]
	v_fma_f64 v[137:138], v[2:3], v[113:114], -v[115:116]
	ds_load_b128 v[2:5], v1 offset:1008
	scratch_load_b128 v[113:116], off, off offset:560
	v_add_f64_e32 v[125:126], v[125:126], v[135:136]
	v_add_f64_e32 v[127:128], v[127:128], v[129:130]
	v_fma_f64 v[133:134], v[8:9], v[121:122], v[133:134]
	v_fma_f64 v[135:136], v[6:7], v[121:122], -v[123:124]
	ds_load_b128 v[6:9], v1 offset:1024
	scratch_load_b128 v[121:124], off, off offset:576
	s_wait_loadcnt_dscnt 0x901
	v_mul_f64_e32 v[129:130], v[2:3], v[36:37]
	v_mul_f64_e32 v[36:37], v[4:5], v[36:37]
	v_add_f64_e32 v[125:126], v[125:126], v[137:138]
	v_add_f64_e32 v[127:128], v[127:128], v[131:132]
	s_wait_loadcnt_dscnt 0x800
	v_mul_f64_e32 v[131:132], v[6:7], v[119:120]
	v_mul_f64_e32 v[119:120], v[8:9], v[119:120]
	v_fma_f64 v[129:130], v[4:5], v[34:35], v[129:130]
	v_fma_f64 v[137:138], v[2:3], v[34:35], -v[36:37]
	ds_load_b128 v[2:5], v1 offset:1040
	scratch_load_b128 v[34:37], off, off offset:592
	v_add_f64_e32 v[125:126], v[125:126], v[135:136]
	v_add_f64_e32 v[127:128], v[127:128], v[133:134]
	v_fma_f64 v[131:132], v[8:9], v[117:118], v[131:132]
	v_fma_f64 v[117:118], v[6:7], v[117:118], -v[119:120]
	ds_load_b128 v[6:9], v1 offset:1056
	s_wait_loadcnt_dscnt 0x801
	v_mul_f64_e32 v[133:134], v[2:3], v[12:13]
	v_mul_f64_e32 v[12:13], v[4:5], v[12:13]
	v_add_f64_e32 v[119:120], v[125:126], v[137:138]
	v_add_f64_e32 v[125:126], v[127:128], v[129:130]
	s_wait_loadcnt_dscnt 0x700
	v_mul_f64_e32 v[127:128], v[6:7], v[16:17]
	v_mul_f64_e32 v[16:17], v[8:9], v[16:17]
	v_fma_f64 v[129:130], v[4:5], v[10:11], v[133:134]
	v_fma_f64 v[10:11], v[2:3], v[10:11], -v[12:13]
	ds_load_b128 v[2:5], v1 offset:1072
	v_add_f64_e32 v[12:13], v[119:120], v[117:118]
	v_add_f64_e32 v[117:118], v[125:126], v[131:132]
	v_fma_f64 v[125:126], v[8:9], v[14:15], v[127:128]
	v_fma_f64 v[14:15], v[6:7], v[14:15], -v[16:17]
	ds_load_b128 v[6:9], v1 offset:1088
	s_wait_loadcnt_dscnt 0x500
	v_mul_f64_e32 v[127:128], v[6:7], v[24:25]
	v_mul_f64_e32 v[24:25], v[8:9], v[24:25]
	v_add_f64_e32 v[16:17], v[12:13], v[10:11]
	v_add_f64_e32 v[117:118], v[117:118], v[129:130]
	scratch_load_b128 v[10:13], off, off offset:256
	v_mul_f64_e32 v[119:120], v[2:3], v[20:21]
	v_mul_f64_e32 v[20:21], v[4:5], v[20:21]
	v_add_f64_e32 v[14:15], v[16:17], v[14:15]
	v_add_f64_e32 v[16:17], v[117:118], v[125:126]
	v_fma_f64 v[117:118], v[8:9], v[22:23], v[127:128]
	v_fma_f64 v[119:120], v[4:5], v[18:19], v[119:120]
	v_fma_f64 v[18:19], v[2:3], v[18:19], -v[20:21]
	ds_load_b128 v[2:5], v1 offset:1104
	v_fma_f64 v[22:23], v[6:7], v[22:23], -v[24:25]
	ds_load_b128 v[6:9], v1 offset:1120
	s_wait_loadcnt_dscnt 0x501
	v_mul_f64_e32 v[20:21], v[2:3], v[28:29]
	v_mul_f64_e32 v[28:29], v[4:5], v[28:29]
	s_wait_loadcnt_dscnt 0x400
	v_mul_f64_e32 v[24:25], v[8:9], v[32:33]
	v_add_f64_e32 v[16:17], v[16:17], v[119:120]
	v_add_f64_e32 v[14:15], v[14:15], v[18:19]
	v_mul_f64_e32 v[18:19], v[6:7], v[32:33]
	v_fma_f64 v[20:21], v[4:5], v[26:27], v[20:21]
	v_fma_f64 v[26:27], v[2:3], v[26:27], -v[28:29]
	ds_load_b128 v[2:5], v1 offset:1136
	v_fma_f64 v[24:25], v[6:7], v[30:31], -v[24:25]
	v_add_f64_e32 v[16:17], v[16:17], v[117:118]
	v_add_f64_e32 v[14:15], v[14:15], v[22:23]
	v_fma_f64 v[18:19], v[8:9], v[30:31], v[18:19]
	ds_load_b128 v[6:9], v1 offset:1152
	s_wait_loadcnt_dscnt 0x301
	v_mul_f64_e32 v[22:23], v[2:3], v[115:116]
	v_mul_f64_e32 v[28:29], v[4:5], v[115:116]
	v_add_f64_e32 v[16:17], v[16:17], v[20:21]
	v_add_f64_e32 v[14:15], v[14:15], v[26:27]
	s_wait_loadcnt_dscnt 0x200
	v_mul_f64_e32 v[20:21], v[6:7], v[123:124]
	v_mul_f64_e32 v[26:27], v[8:9], v[123:124]
	v_fma_f64 v[22:23], v[4:5], v[113:114], v[22:23]
	v_fma_f64 v[28:29], v[2:3], v[113:114], -v[28:29]
	ds_load_b128 v[2:5], v1 offset:1168
	v_add_f64_e32 v[16:17], v[16:17], v[18:19]
	v_add_f64_e32 v[14:15], v[14:15], v[24:25]
	s_wait_loadcnt_dscnt 0x100
	v_mul_f64_e32 v[18:19], v[2:3], v[36:37]
	v_mul_f64_e32 v[24:25], v[4:5], v[36:37]
	v_fma_f64 v[8:9], v[8:9], v[121:122], v[20:21]
	v_fma_f64 v[6:7], v[6:7], v[121:122], -v[26:27]
	v_add_f64_e32 v[16:17], v[16:17], v[22:23]
	v_add_f64_e32 v[14:15], v[14:15], v[28:29]
	v_fma_f64 v[4:5], v[4:5], v[34:35], v[18:19]
	v_fma_f64 v[2:3], v[2:3], v[34:35], -v[24:25]
	s_delay_alu instid0(VALU_DEP_4) | instskip(NEXT) | instid1(VALU_DEP_4)
	v_add_f64_e32 v[8:9], v[16:17], v[8:9]
	v_add_f64_e32 v[6:7], v[14:15], v[6:7]
	s_delay_alu instid0(VALU_DEP_2) | instskip(NEXT) | instid1(VALU_DEP_2)
	v_add_f64_e32 v[4:5], v[8:9], v[4:5]
	v_add_f64_e32 v[2:3], v[6:7], v[2:3]
	s_wait_loadcnt 0x0
	s_delay_alu instid0(VALU_DEP_2) | instskip(NEXT) | instid1(VALU_DEP_2)
	v_add_f64_e64 v[4:5], v[12:13], -v[4:5]
	v_add_f64_e64 v[2:3], v[10:11], -v[2:3]
	scratch_store_b128 off, v[2:5], off offset:256
	v_cmpx_lt_u32_e32 14, v0
	s_cbranch_execz .LBB36_207
; %bb.206:
	scratch_load_b128 v[5:8], off, s34
	v_dual_mov_b32 v2, v1 :: v_dual_mov_b32 v3, v1
	v_mov_b32_e32 v4, v1
	scratch_store_b128 off, v[1:4], off offset:240
	s_wait_loadcnt 0x0
	ds_store_b128 v112, v[5:8]
.LBB36_207:
	s_wait_alu 0xfffe
	s_or_b32 exec_lo, exec_lo, s0
	s_wait_storecnt_dscnt 0x0
	s_barrier_signal -1
	s_barrier_wait -1
	global_inv scope:SCOPE_SE
	s_clause 0x7
	scratch_load_b128 v[2:5], off, off offset:256
	scratch_load_b128 v[6:9], off, off offset:272
	;; [unrolled: 1-line block ×8, first 2 shown]
	ds_load_b128 v[34:37], v1 offset:832
	ds_load_b128 v[117:120], v1 offset:848
	s_clause 0x1
	scratch_load_b128 v[113:116], off, off offset:384
	scratch_load_b128 v[121:124], off, off offset:400
	s_mov_b32 s0, exec_lo
	s_wait_loadcnt_dscnt 0x901
	v_mul_f64_e32 v[125:126], v[36:37], v[4:5]
	v_mul_f64_e32 v[4:5], v[34:35], v[4:5]
	s_wait_loadcnt_dscnt 0x800
	v_mul_f64_e32 v[127:128], v[117:118], v[8:9]
	v_mul_f64_e32 v[8:9], v[119:120], v[8:9]
	s_delay_alu instid0(VALU_DEP_4) | instskip(NEXT) | instid1(VALU_DEP_4)
	v_fma_f64 v[125:126], v[34:35], v[2:3], -v[125:126]
	v_fma_f64 v[129:130], v[36:37], v[2:3], v[4:5]
	ds_load_b128 v[2:5], v1 offset:864
	scratch_load_b128 v[34:37], off, off offset:416
	v_fma_f64 v[127:128], v[119:120], v[6:7], v[127:128]
	v_fma_f64 v[133:134], v[117:118], v[6:7], -v[8:9]
	ds_load_b128 v[6:9], v1 offset:880
	scratch_load_b128 v[117:120], off, off offset:432
	s_wait_loadcnt_dscnt 0x901
	v_mul_f64_e32 v[131:132], v[2:3], v[12:13]
	v_mul_f64_e32 v[12:13], v[4:5], v[12:13]
	s_wait_loadcnt_dscnt 0x800
	v_mul_f64_e32 v[135:136], v[6:7], v[16:17]
	v_mul_f64_e32 v[16:17], v[8:9], v[16:17]
	v_add_f64_e32 v[125:126], 0, v[125:126]
	v_add_f64_e32 v[129:130], 0, v[129:130]
	v_fma_f64 v[131:132], v[4:5], v[10:11], v[131:132]
	v_fma_f64 v[137:138], v[2:3], v[10:11], -v[12:13]
	ds_load_b128 v[2:5], v1 offset:896
	scratch_load_b128 v[10:13], off, off offset:448
	v_add_f64_e32 v[125:126], v[125:126], v[133:134]
	v_add_f64_e32 v[127:128], v[129:130], v[127:128]
	v_fma_f64 v[133:134], v[8:9], v[14:15], v[135:136]
	v_fma_f64 v[135:136], v[6:7], v[14:15], -v[16:17]
	ds_load_b128 v[6:9], v1 offset:912
	scratch_load_b128 v[14:17], off, off offset:464
	s_wait_loadcnt_dscnt 0x901
	v_mul_f64_e32 v[129:130], v[2:3], v[20:21]
	v_mul_f64_e32 v[20:21], v[4:5], v[20:21]
	v_add_f64_e32 v[125:126], v[125:126], v[137:138]
	v_add_f64_e32 v[127:128], v[127:128], v[131:132]
	s_wait_loadcnt_dscnt 0x800
	v_mul_f64_e32 v[131:132], v[6:7], v[24:25]
	v_mul_f64_e32 v[24:25], v[8:9], v[24:25]
	v_fma_f64 v[129:130], v[4:5], v[18:19], v[129:130]
	v_fma_f64 v[137:138], v[2:3], v[18:19], -v[20:21]
	ds_load_b128 v[2:5], v1 offset:928
	scratch_load_b128 v[18:21], off, off offset:480
	v_add_f64_e32 v[125:126], v[125:126], v[135:136]
	v_add_f64_e32 v[127:128], v[127:128], v[133:134]
	v_fma_f64 v[131:132], v[8:9], v[22:23], v[131:132]
	v_fma_f64 v[135:136], v[6:7], v[22:23], -v[24:25]
	ds_load_b128 v[6:9], v1 offset:944
	s_wait_loadcnt_dscnt 0x801
	v_mul_f64_e32 v[133:134], v[2:3], v[28:29]
	v_mul_f64_e32 v[28:29], v[4:5], v[28:29]
	scratch_load_b128 v[22:25], off, off offset:496
	v_add_f64_e32 v[125:126], v[125:126], v[137:138]
	v_add_f64_e32 v[127:128], v[127:128], v[129:130]
	s_wait_loadcnt_dscnt 0x800
	v_mul_f64_e32 v[129:130], v[6:7], v[32:33]
	v_mul_f64_e32 v[32:33], v[8:9], v[32:33]
	v_fma_f64 v[133:134], v[4:5], v[26:27], v[133:134]
	v_fma_f64 v[137:138], v[2:3], v[26:27], -v[28:29]
	ds_load_b128 v[2:5], v1 offset:960
	scratch_load_b128 v[26:29], off, off offset:512
	v_add_f64_e32 v[125:126], v[125:126], v[135:136]
	v_add_f64_e32 v[127:128], v[127:128], v[131:132]
	v_fma_f64 v[129:130], v[8:9], v[30:31], v[129:130]
	v_fma_f64 v[135:136], v[6:7], v[30:31], -v[32:33]
	ds_load_b128 v[6:9], v1 offset:976
	s_wait_loadcnt_dscnt 0x801
	v_mul_f64_e32 v[131:132], v[2:3], v[115:116]
	v_mul_f64_e32 v[115:116], v[4:5], v[115:116]
	scratch_load_b128 v[30:33], off, off offset:528
	v_add_f64_e32 v[125:126], v[125:126], v[137:138]
	v_add_f64_e32 v[127:128], v[127:128], v[133:134]
	s_wait_loadcnt_dscnt 0x800
	v_mul_f64_e32 v[133:134], v[6:7], v[123:124]
	v_mul_f64_e32 v[123:124], v[8:9], v[123:124]
	v_fma_f64 v[131:132], v[4:5], v[113:114], v[131:132]
	v_fma_f64 v[137:138], v[2:3], v[113:114], -v[115:116]
	ds_load_b128 v[2:5], v1 offset:992
	scratch_load_b128 v[113:116], off, off offset:544
	v_add_f64_e32 v[125:126], v[125:126], v[135:136]
	v_add_f64_e32 v[127:128], v[127:128], v[129:130]
	v_fma_f64 v[133:134], v[8:9], v[121:122], v[133:134]
	v_fma_f64 v[135:136], v[6:7], v[121:122], -v[123:124]
	ds_load_b128 v[6:9], v1 offset:1008
	scratch_load_b128 v[121:124], off, off offset:560
	s_wait_loadcnt_dscnt 0x901
	v_mul_f64_e32 v[129:130], v[2:3], v[36:37]
	v_mul_f64_e32 v[36:37], v[4:5], v[36:37]
	v_add_f64_e32 v[125:126], v[125:126], v[137:138]
	v_add_f64_e32 v[127:128], v[127:128], v[131:132]
	s_wait_loadcnt_dscnt 0x800
	v_mul_f64_e32 v[131:132], v[6:7], v[119:120]
	v_mul_f64_e32 v[119:120], v[8:9], v[119:120]
	v_fma_f64 v[129:130], v[4:5], v[34:35], v[129:130]
	v_fma_f64 v[137:138], v[2:3], v[34:35], -v[36:37]
	ds_load_b128 v[2:5], v1 offset:1024
	scratch_load_b128 v[34:37], off, off offset:576
	v_add_f64_e32 v[125:126], v[125:126], v[135:136]
	v_add_f64_e32 v[127:128], v[127:128], v[133:134]
	v_fma_f64 v[131:132], v[8:9], v[117:118], v[131:132]
	v_fma_f64 v[135:136], v[6:7], v[117:118], -v[119:120]
	ds_load_b128 v[6:9], v1 offset:1040
	s_wait_loadcnt_dscnt 0x801
	v_mul_f64_e32 v[133:134], v[2:3], v[12:13]
	v_mul_f64_e32 v[12:13], v[4:5], v[12:13]
	scratch_load_b128 v[117:120], off, off offset:592
	v_add_f64_e32 v[125:126], v[125:126], v[137:138]
	v_add_f64_e32 v[127:128], v[127:128], v[129:130]
	s_wait_loadcnt_dscnt 0x800
	v_mul_f64_e32 v[129:130], v[6:7], v[16:17]
	v_mul_f64_e32 v[16:17], v[8:9], v[16:17]
	v_fma_f64 v[133:134], v[4:5], v[10:11], v[133:134]
	v_fma_f64 v[10:11], v[2:3], v[10:11], -v[12:13]
	ds_load_b128 v[2:5], v1 offset:1056
	v_add_f64_e32 v[12:13], v[125:126], v[135:136]
	v_add_f64_e32 v[125:126], v[127:128], v[131:132]
	v_fma_f64 v[129:130], v[8:9], v[14:15], v[129:130]
	v_fma_f64 v[14:15], v[6:7], v[14:15], -v[16:17]
	ds_load_b128 v[6:9], v1 offset:1072
	s_wait_loadcnt_dscnt 0x701
	v_mul_f64_e32 v[127:128], v[2:3], v[20:21]
	v_mul_f64_e32 v[20:21], v[4:5], v[20:21]
	v_add_f64_e32 v[10:11], v[12:13], v[10:11]
	v_add_f64_e32 v[12:13], v[125:126], v[133:134]
	s_delay_alu instid0(VALU_DEP_4) | instskip(NEXT) | instid1(VALU_DEP_4)
	v_fma_f64 v[125:126], v[4:5], v[18:19], v[127:128]
	v_fma_f64 v[18:19], v[2:3], v[18:19], -v[20:21]
	ds_load_b128 v[2:5], v1 offset:1088
	v_add_f64_e32 v[14:15], v[10:11], v[14:15]
	v_add_f64_e32 v[20:21], v[12:13], v[129:130]
	scratch_load_b128 v[10:13], off, off offset:240
	s_wait_loadcnt_dscnt 0x701
	v_mul_f64_e32 v[16:17], v[6:7], v[24:25]
	v_mul_f64_e32 v[24:25], v[8:9], v[24:25]
	v_add_f64_e32 v[14:15], v[14:15], v[18:19]
	v_add_f64_e32 v[18:19], v[20:21], v[125:126]
	s_delay_alu instid0(VALU_DEP_4) | instskip(NEXT) | instid1(VALU_DEP_4)
	v_fma_f64 v[16:17], v[8:9], v[22:23], v[16:17]
	v_fma_f64 v[22:23], v[6:7], v[22:23], -v[24:25]
	ds_load_b128 v[6:9], v1 offset:1104
	s_wait_loadcnt_dscnt 0x601
	v_mul_f64_e32 v[127:128], v[2:3], v[28:29]
	v_mul_f64_e32 v[28:29], v[4:5], v[28:29]
	s_wait_loadcnt_dscnt 0x500
	v_mul_f64_e32 v[20:21], v[6:7], v[32:33]
	v_mul_f64_e32 v[24:25], v[8:9], v[32:33]
	v_add_f64_e32 v[16:17], v[18:19], v[16:17]
	v_add_f64_e32 v[14:15], v[14:15], v[22:23]
	v_fma_f64 v[32:33], v[4:5], v[26:27], v[127:128]
	v_fma_f64 v[26:27], v[2:3], v[26:27], -v[28:29]
	ds_load_b128 v[2:5], v1 offset:1120
	v_fma_f64 v[20:21], v[8:9], v[30:31], v[20:21]
	v_fma_f64 v[24:25], v[6:7], v[30:31], -v[24:25]
	ds_load_b128 v[6:9], v1 offset:1136
	s_wait_loadcnt_dscnt 0x401
	v_mul_f64_e32 v[18:19], v[2:3], v[115:116]
	v_mul_f64_e32 v[22:23], v[4:5], v[115:116]
	v_add_f64_e32 v[16:17], v[16:17], v[32:33]
	v_add_f64_e32 v[14:15], v[14:15], v[26:27]
	s_wait_loadcnt_dscnt 0x300
	v_mul_f64_e32 v[26:27], v[6:7], v[123:124]
	v_mul_f64_e32 v[28:29], v[8:9], v[123:124]
	v_fma_f64 v[18:19], v[4:5], v[113:114], v[18:19]
	v_fma_f64 v[22:23], v[2:3], v[113:114], -v[22:23]
	ds_load_b128 v[2:5], v1 offset:1152
	v_add_f64_e32 v[16:17], v[16:17], v[20:21]
	v_add_f64_e32 v[14:15], v[14:15], v[24:25]
	v_fma_f64 v[26:27], v[8:9], v[121:122], v[26:27]
	v_fma_f64 v[28:29], v[6:7], v[121:122], -v[28:29]
	ds_load_b128 v[6:9], v1 offset:1168
	s_wait_loadcnt_dscnt 0x201
	v_mul_f64_e32 v[20:21], v[2:3], v[36:37]
	v_mul_f64_e32 v[24:25], v[4:5], v[36:37]
	v_add_f64_e32 v[16:17], v[16:17], v[18:19]
	v_add_f64_e32 v[14:15], v[14:15], v[22:23]
	s_wait_loadcnt_dscnt 0x100
	v_mul_f64_e32 v[18:19], v[6:7], v[119:120]
	v_mul_f64_e32 v[22:23], v[8:9], v[119:120]
	v_fma_f64 v[4:5], v[4:5], v[34:35], v[20:21]
	v_fma_f64 v[1:2], v[2:3], v[34:35], -v[24:25]
	v_add_f64_e32 v[16:17], v[16:17], v[26:27]
	v_add_f64_e32 v[14:15], v[14:15], v[28:29]
	v_fma_f64 v[8:9], v[8:9], v[117:118], v[18:19]
	v_fma_f64 v[6:7], v[6:7], v[117:118], -v[22:23]
	s_delay_alu instid0(VALU_DEP_4) | instskip(NEXT) | instid1(VALU_DEP_4)
	v_add_f64_e32 v[3:4], v[16:17], v[4:5]
	v_add_f64_e32 v[1:2], v[14:15], v[1:2]
	s_delay_alu instid0(VALU_DEP_2) | instskip(NEXT) | instid1(VALU_DEP_2)
	v_add_f64_e32 v[3:4], v[3:4], v[8:9]
	v_add_f64_e32 v[1:2], v[1:2], v[6:7]
	s_wait_loadcnt 0x0
	s_delay_alu instid0(VALU_DEP_2) | instskip(NEXT) | instid1(VALU_DEP_2)
	v_add_f64_e64 v[3:4], v[12:13], -v[3:4]
	v_add_f64_e64 v[1:2], v[10:11], -v[1:2]
	scratch_store_b128 off, v[1:4], off offset:240
	v_cmpx_lt_u32_e32 13, v0
	s_cbranch_execz .LBB36_209
; %bb.208:
	scratch_load_b128 v[1:4], off, s37
	v_mov_b32_e32 v5, 0
	s_delay_alu instid0(VALU_DEP_1)
	v_dual_mov_b32 v6, v5 :: v_dual_mov_b32 v7, v5
	v_mov_b32_e32 v8, v5
	scratch_store_b128 off, v[5:8], off offset:224
	s_wait_loadcnt 0x0
	ds_store_b128 v112, v[1:4]
.LBB36_209:
	s_wait_alu 0xfffe
	s_or_b32 exec_lo, exec_lo, s0
	s_wait_storecnt_dscnt 0x0
	s_barrier_signal -1
	s_barrier_wait -1
	global_inv scope:SCOPE_SE
	s_clause 0x7
	scratch_load_b128 v[2:5], off, off offset:240
	scratch_load_b128 v[6:9], off, off offset:256
	;; [unrolled: 1-line block ×8, first 2 shown]
	v_mov_b32_e32 v1, 0
	s_clause 0x1
	scratch_load_b128 v[113:116], off, off offset:368
	scratch_load_b128 v[121:124], off, off offset:384
	s_mov_b32 s0, exec_lo
	ds_load_b128 v[34:37], v1 offset:816
	ds_load_b128 v[117:120], v1 offset:832
	s_wait_loadcnt_dscnt 0x901
	v_mul_f64_e32 v[125:126], v[36:37], v[4:5]
	v_mul_f64_e32 v[4:5], v[34:35], v[4:5]
	s_wait_loadcnt_dscnt 0x800
	v_mul_f64_e32 v[127:128], v[117:118], v[8:9]
	v_mul_f64_e32 v[8:9], v[119:120], v[8:9]
	s_delay_alu instid0(VALU_DEP_4) | instskip(NEXT) | instid1(VALU_DEP_4)
	v_fma_f64 v[125:126], v[34:35], v[2:3], -v[125:126]
	v_fma_f64 v[129:130], v[36:37], v[2:3], v[4:5]
	ds_load_b128 v[2:5], v1 offset:848
	scratch_load_b128 v[34:37], off, off offset:400
	v_fma_f64 v[127:128], v[119:120], v[6:7], v[127:128]
	v_fma_f64 v[133:134], v[117:118], v[6:7], -v[8:9]
	ds_load_b128 v[6:9], v1 offset:864
	scratch_load_b128 v[117:120], off, off offset:416
	s_wait_loadcnt_dscnt 0x901
	v_mul_f64_e32 v[131:132], v[2:3], v[12:13]
	v_mul_f64_e32 v[12:13], v[4:5], v[12:13]
	s_wait_loadcnt_dscnt 0x800
	v_mul_f64_e32 v[135:136], v[6:7], v[16:17]
	v_mul_f64_e32 v[16:17], v[8:9], v[16:17]
	v_add_f64_e32 v[125:126], 0, v[125:126]
	v_add_f64_e32 v[129:130], 0, v[129:130]
	v_fma_f64 v[131:132], v[4:5], v[10:11], v[131:132]
	v_fma_f64 v[137:138], v[2:3], v[10:11], -v[12:13]
	ds_load_b128 v[2:5], v1 offset:880
	scratch_load_b128 v[10:13], off, off offset:432
	v_add_f64_e32 v[125:126], v[125:126], v[133:134]
	v_add_f64_e32 v[127:128], v[129:130], v[127:128]
	v_fma_f64 v[133:134], v[8:9], v[14:15], v[135:136]
	v_fma_f64 v[135:136], v[6:7], v[14:15], -v[16:17]
	ds_load_b128 v[6:9], v1 offset:896
	scratch_load_b128 v[14:17], off, off offset:448
	s_wait_loadcnt_dscnt 0x901
	v_mul_f64_e32 v[129:130], v[2:3], v[20:21]
	v_mul_f64_e32 v[20:21], v[4:5], v[20:21]
	v_add_f64_e32 v[125:126], v[125:126], v[137:138]
	v_add_f64_e32 v[127:128], v[127:128], v[131:132]
	s_wait_loadcnt_dscnt 0x800
	v_mul_f64_e32 v[131:132], v[6:7], v[24:25]
	v_mul_f64_e32 v[24:25], v[8:9], v[24:25]
	v_fma_f64 v[129:130], v[4:5], v[18:19], v[129:130]
	v_fma_f64 v[137:138], v[2:3], v[18:19], -v[20:21]
	ds_load_b128 v[2:5], v1 offset:912
	scratch_load_b128 v[18:21], off, off offset:464
	v_add_f64_e32 v[125:126], v[125:126], v[135:136]
	v_add_f64_e32 v[127:128], v[127:128], v[133:134]
	v_fma_f64 v[131:132], v[8:9], v[22:23], v[131:132]
	v_fma_f64 v[135:136], v[6:7], v[22:23], -v[24:25]
	ds_load_b128 v[6:9], v1 offset:928
	s_wait_loadcnt_dscnt 0x801
	v_mul_f64_e32 v[133:134], v[2:3], v[28:29]
	v_mul_f64_e32 v[28:29], v[4:5], v[28:29]
	scratch_load_b128 v[22:25], off, off offset:480
	v_add_f64_e32 v[125:126], v[125:126], v[137:138]
	v_add_f64_e32 v[127:128], v[127:128], v[129:130]
	s_wait_loadcnt_dscnt 0x800
	v_mul_f64_e32 v[129:130], v[6:7], v[32:33]
	v_mul_f64_e32 v[32:33], v[8:9], v[32:33]
	v_fma_f64 v[133:134], v[4:5], v[26:27], v[133:134]
	v_fma_f64 v[137:138], v[2:3], v[26:27], -v[28:29]
	ds_load_b128 v[2:5], v1 offset:944
	scratch_load_b128 v[26:29], off, off offset:496
	v_add_f64_e32 v[125:126], v[125:126], v[135:136]
	v_add_f64_e32 v[127:128], v[127:128], v[131:132]
	v_fma_f64 v[129:130], v[8:9], v[30:31], v[129:130]
	v_fma_f64 v[135:136], v[6:7], v[30:31], -v[32:33]
	ds_load_b128 v[6:9], v1 offset:960
	s_wait_loadcnt_dscnt 0x801
	v_mul_f64_e32 v[131:132], v[2:3], v[115:116]
	v_mul_f64_e32 v[115:116], v[4:5], v[115:116]
	scratch_load_b128 v[30:33], off, off offset:512
	v_add_f64_e32 v[125:126], v[125:126], v[137:138]
	v_add_f64_e32 v[127:128], v[127:128], v[133:134]
	s_wait_loadcnt_dscnt 0x800
	v_mul_f64_e32 v[133:134], v[6:7], v[123:124]
	v_mul_f64_e32 v[123:124], v[8:9], v[123:124]
	v_fma_f64 v[131:132], v[4:5], v[113:114], v[131:132]
	v_fma_f64 v[137:138], v[2:3], v[113:114], -v[115:116]
	ds_load_b128 v[2:5], v1 offset:976
	scratch_load_b128 v[113:116], off, off offset:528
	v_add_f64_e32 v[125:126], v[125:126], v[135:136]
	v_add_f64_e32 v[127:128], v[127:128], v[129:130]
	v_fma_f64 v[133:134], v[8:9], v[121:122], v[133:134]
	v_fma_f64 v[135:136], v[6:7], v[121:122], -v[123:124]
	ds_load_b128 v[6:9], v1 offset:992
	scratch_load_b128 v[121:124], off, off offset:544
	s_wait_loadcnt_dscnt 0x901
	v_mul_f64_e32 v[129:130], v[2:3], v[36:37]
	v_mul_f64_e32 v[36:37], v[4:5], v[36:37]
	v_add_f64_e32 v[125:126], v[125:126], v[137:138]
	v_add_f64_e32 v[127:128], v[127:128], v[131:132]
	s_wait_loadcnt_dscnt 0x800
	v_mul_f64_e32 v[131:132], v[6:7], v[119:120]
	v_mul_f64_e32 v[119:120], v[8:9], v[119:120]
	v_fma_f64 v[129:130], v[4:5], v[34:35], v[129:130]
	v_fma_f64 v[137:138], v[2:3], v[34:35], -v[36:37]
	ds_load_b128 v[2:5], v1 offset:1008
	scratch_load_b128 v[34:37], off, off offset:560
	v_add_f64_e32 v[125:126], v[125:126], v[135:136]
	v_add_f64_e32 v[127:128], v[127:128], v[133:134]
	v_fma_f64 v[131:132], v[8:9], v[117:118], v[131:132]
	v_fma_f64 v[135:136], v[6:7], v[117:118], -v[119:120]
	ds_load_b128 v[6:9], v1 offset:1024
	s_wait_loadcnt_dscnt 0x801
	v_mul_f64_e32 v[133:134], v[2:3], v[12:13]
	v_mul_f64_e32 v[12:13], v[4:5], v[12:13]
	scratch_load_b128 v[117:120], off, off offset:576
	v_add_f64_e32 v[125:126], v[125:126], v[137:138]
	v_add_f64_e32 v[127:128], v[127:128], v[129:130]
	s_wait_loadcnt_dscnt 0x800
	v_mul_f64_e32 v[129:130], v[6:7], v[16:17]
	v_mul_f64_e32 v[16:17], v[8:9], v[16:17]
	v_fma_f64 v[133:134], v[4:5], v[10:11], v[133:134]
	v_fma_f64 v[137:138], v[2:3], v[10:11], -v[12:13]
	ds_load_b128 v[2:5], v1 offset:1040
	scratch_load_b128 v[10:13], off, off offset:592
	v_add_f64_e32 v[125:126], v[125:126], v[135:136]
	v_add_f64_e32 v[127:128], v[127:128], v[131:132]
	v_fma_f64 v[129:130], v[8:9], v[14:15], v[129:130]
	v_fma_f64 v[14:15], v[6:7], v[14:15], -v[16:17]
	ds_load_b128 v[6:9], v1 offset:1056
	s_wait_loadcnt_dscnt 0x801
	v_mul_f64_e32 v[131:132], v[2:3], v[20:21]
	v_mul_f64_e32 v[20:21], v[4:5], v[20:21]
	v_add_f64_e32 v[16:17], v[125:126], v[137:138]
	v_add_f64_e32 v[125:126], v[127:128], v[133:134]
	s_wait_loadcnt_dscnt 0x700
	v_mul_f64_e32 v[127:128], v[6:7], v[24:25]
	v_mul_f64_e32 v[24:25], v[8:9], v[24:25]
	v_fma_f64 v[131:132], v[4:5], v[18:19], v[131:132]
	v_fma_f64 v[18:19], v[2:3], v[18:19], -v[20:21]
	ds_load_b128 v[2:5], v1 offset:1072
	v_add_f64_e32 v[14:15], v[16:17], v[14:15]
	v_add_f64_e32 v[16:17], v[125:126], v[129:130]
	v_fma_f64 v[125:126], v[8:9], v[22:23], v[127:128]
	v_fma_f64 v[22:23], v[6:7], v[22:23], -v[24:25]
	ds_load_b128 v[6:9], v1 offset:1088
	s_wait_loadcnt_dscnt 0x500
	v_mul_f64_e32 v[127:128], v[6:7], v[32:33]
	v_mul_f64_e32 v[32:33], v[8:9], v[32:33]
	v_add_f64_e32 v[18:19], v[14:15], v[18:19]
	v_add_f64_e32 v[24:25], v[16:17], v[131:132]
	scratch_load_b128 v[14:17], off, off offset:224
	v_mul_f64_e32 v[20:21], v[2:3], v[28:29]
	v_mul_f64_e32 v[28:29], v[4:5], v[28:29]
	v_add_f64_e32 v[18:19], v[18:19], v[22:23]
	v_add_f64_e32 v[22:23], v[24:25], v[125:126]
	s_delay_alu instid0(VALU_DEP_4) | instskip(NEXT) | instid1(VALU_DEP_4)
	v_fma_f64 v[20:21], v[4:5], v[26:27], v[20:21]
	v_fma_f64 v[26:27], v[2:3], v[26:27], -v[28:29]
	ds_load_b128 v[2:5], v1 offset:1104
	s_wait_loadcnt_dscnt 0x500
	v_mul_f64_e32 v[24:25], v[2:3], v[115:116]
	v_mul_f64_e32 v[28:29], v[4:5], v[115:116]
	v_fma_f64 v[115:116], v[8:9], v[30:31], v[127:128]
	v_fma_f64 v[30:31], v[6:7], v[30:31], -v[32:33]
	ds_load_b128 v[6:9], v1 offset:1120
	v_add_f64_e32 v[20:21], v[22:23], v[20:21]
	v_add_f64_e32 v[18:19], v[18:19], v[26:27]
	v_fma_f64 v[24:25], v[4:5], v[113:114], v[24:25]
	v_fma_f64 v[28:29], v[2:3], v[113:114], -v[28:29]
	ds_load_b128 v[2:5], v1 offset:1136
	s_wait_loadcnt_dscnt 0x401
	v_mul_f64_e32 v[22:23], v[6:7], v[123:124]
	v_mul_f64_e32 v[26:27], v[8:9], v[123:124]
	v_add_f64_e32 v[20:21], v[20:21], v[115:116]
	v_add_f64_e32 v[18:19], v[18:19], v[30:31]
	s_wait_loadcnt_dscnt 0x300
	v_mul_f64_e32 v[30:31], v[2:3], v[36:37]
	v_mul_f64_e32 v[32:33], v[4:5], v[36:37]
	v_fma_f64 v[22:23], v[8:9], v[121:122], v[22:23]
	v_fma_f64 v[26:27], v[6:7], v[121:122], -v[26:27]
	ds_load_b128 v[6:9], v1 offset:1152
	v_add_f64_e32 v[20:21], v[20:21], v[24:25]
	v_add_f64_e32 v[18:19], v[18:19], v[28:29]
	v_fma_f64 v[30:31], v[4:5], v[34:35], v[30:31]
	v_fma_f64 v[32:33], v[2:3], v[34:35], -v[32:33]
	ds_load_b128 v[2:5], v1 offset:1168
	s_wait_loadcnt_dscnt 0x201
	v_mul_f64_e32 v[24:25], v[6:7], v[119:120]
	v_mul_f64_e32 v[28:29], v[8:9], v[119:120]
	v_add_f64_e32 v[20:21], v[20:21], v[22:23]
	v_add_f64_e32 v[18:19], v[18:19], v[26:27]
	s_wait_loadcnt_dscnt 0x100
	v_mul_f64_e32 v[22:23], v[2:3], v[12:13]
	v_mul_f64_e32 v[12:13], v[4:5], v[12:13]
	v_fma_f64 v[8:9], v[8:9], v[117:118], v[24:25]
	v_fma_f64 v[6:7], v[6:7], v[117:118], -v[28:29]
	v_add_f64_e32 v[20:21], v[20:21], v[30:31]
	v_add_f64_e32 v[18:19], v[18:19], v[32:33]
	v_fma_f64 v[4:5], v[4:5], v[10:11], v[22:23]
	v_fma_f64 v[2:3], v[2:3], v[10:11], -v[12:13]
	s_delay_alu instid0(VALU_DEP_4) | instskip(NEXT) | instid1(VALU_DEP_4)
	v_add_f64_e32 v[8:9], v[20:21], v[8:9]
	v_add_f64_e32 v[6:7], v[18:19], v[6:7]
	s_delay_alu instid0(VALU_DEP_2) | instskip(NEXT) | instid1(VALU_DEP_2)
	v_add_f64_e32 v[4:5], v[8:9], v[4:5]
	v_add_f64_e32 v[2:3], v[6:7], v[2:3]
	s_wait_loadcnt 0x0
	s_delay_alu instid0(VALU_DEP_2) | instskip(NEXT) | instid1(VALU_DEP_2)
	v_add_f64_e64 v[4:5], v[16:17], -v[4:5]
	v_add_f64_e64 v[2:3], v[14:15], -v[2:3]
	scratch_store_b128 off, v[2:5], off offset:224
	v_cmpx_lt_u32_e32 12, v0
	s_cbranch_execz .LBB36_211
; %bb.210:
	scratch_load_b128 v[5:8], off, s38
	v_dual_mov_b32 v2, v1 :: v_dual_mov_b32 v3, v1
	v_mov_b32_e32 v4, v1
	scratch_store_b128 off, v[1:4], off offset:208
	s_wait_loadcnt 0x0
	ds_store_b128 v112, v[5:8]
.LBB36_211:
	s_wait_alu 0xfffe
	s_or_b32 exec_lo, exec_lo, s0
	s_wait_storecnt_dscnt 0x0
	s_barrier_signal -1
	s_barrier_wait -1
	global_inv scope:SCOPE_SE
	s_clause 0x7
	scratch_load_b128 v[2:5], off, off offset:224
	scratch_load_b128 v[6:9], off, off offset:240
	;; [unrolled: 1-line block ×8, first 2 shown]
	ds_load_b128 v[34:37], v1 offset:800
	ds_load_b128 v[117:120], v1 offset:816
	s_clause 0x1
	scratch_load_b128 v[113:116], off, off offset:352
	scratch_load_b128 v[121:124], off, off offset:368
	s_mov_b32 s0, exec_lo
	s_wait_loadcnt_dscnt 0x901
	v_mul_f64_e32 v[125:126], v[36:37], v[4:5]
	v_mul_f64_e32 v[4:5], v[34:35], v[4:5]
	s_wait_loadcnt_dscnt 0x800
	v_mul_f64_e32 v[127:128], v[117:118], v[8:9]
	v_mul_f64_e32 v[8:9], v[119:120], v[8:9]
	s_delay_alu instid0(VALU_DEP_4) | instskip(NEXT) | instid1(VALU_DEP_4)
	v_fma_f64 v[125:126], v[34:35], v[2:3], -v[125:126]
	v_fma_f64 v[129:130], v[36:37], v[2:3], v[4:5]
	ds_load_b128 v[2:5], v1 offset:832
	scratch_load_b128 v[34:37], off, off offset:384
	v_fma_f64 v[127:128], v[119:120], v[6:7], v[127:128]
	v_fma_f64 v[133:134], v[117:118], v[6:7], -v[8:9]
	ds_load_b128 v[6:9], v1 offset:848
	scratch_load_b128 v[117:120], off, off offset:400
	s_wait_loadcnt_dscnt 0x901
	v_mul_f64_e32 v[131:132], v[2:3], v[12:13]
	v_mul_f64_e32 v[12:13], v[4:5], v[12:13]
	s_wait_loadcnt_dscnt 0x800
	v_mul_f64_e32 v[135:136], v[6:7], v[16:17]
	v_mul_f64_e32 v[16:17], v[8:9], v[16:17]
	v_add_f64_e32 v[125:126], 0, v[125:126]
	v_add_f64_e32 v[129:130], 0, v[129:130]
	v_fma_f64 v[131:132], v[4:5], v[10:11], v[131:132]
	v_fma_f64 v[137:138], v[2:3], v[10:11], -v[12:13]
	ds_load_b128 v[2:5], v1 offset:864
	scratch_load_b128 v[10:13], off, off offset:416
	v_add_f64_e32 v[125:126], v[125:126], v[133:134]
	v_add_f64_e32 v[127:128], v[129:130], v[127:128]
	v_fma_f64 v[133:134], v[8:9], v[14:15], v[135:136]
	v_fma_f64 v[135:136], v[6:7], v[14:15], -v[16:17]
	ds_load_b128 v[6:9], v1 offset:880
	scratch_load_b128 v[14:17], off, off offset:432
	s_wait_loadcnt_dscnt 0x901
	v_mul_f64_e32 v[129:130], v[2:3], v[20:21]
	v_mul_f64_e32 v[20:21], v[4:5], v[20:21]
	v_add_f64_e32 v[125:126], v[125:126], v[137:138]
	v_add_f64_e32 v[127:128], v[127:128], v[131:132]
	s_wait_loadcnt_dscnt 0x800
	v_mul_f64_e32 v[131:132], v[6:7], v[24:25]
	v_mul_f64_e32 v[24:25], v[8:9], v[24:25]
	v_fma_f64 v[129:130], v[4:5], v[18:19], v[129:130]
	v_fma_f64 v[137:138], v[2:3], v[18:19], -v[20:21]
	ds_load_b128 v[2:5], v1 offset:896
	scratch_load_b128 v[18:21], off, off offset:448
	v_add_f64_e32 v[125:126], v[125:126], v[135:136]
	v_add_f64_e32 v[127:128], v[127:128], v[133:134]
	v_fma_f64 v[131:132], v[8:9], v[22:23], v[131:132]
	v_fma_f64 v[135:136], v[6:7], v[22:23], -v[24:25]
	ds_load_b128 v[6:9], v1 offset:912
	s_wait_loadcnt_dscnt 0x801
	v_mul_f64_e32 v[133:134], v[2:3], v[28:29]
	v_mul_f64_e32 v[28:29], v[4:5], v[28:29]
	scratch_load_b128 v[22:25], off, off offset:464
	v_add_f64_e32 v[125:126], v[125:126], v[137:138]
	v_add_f64_e32 v[127:128], v[127:128], v[129:130]
	s_wait_loadcnt_dscnt 0x800
	v_mul_f64_e32 v[129:130], v[6:7], v[32:33]
	v_mul_f64_e32 v[32:33], v[8:9], v[32:33]
	v_fma_f64 v[133:134], v[4:5], v[26:27], v[133:134]
	v_fma_f64 v[137:138], v[2:3], v[26:27], -v[28:29]
	ds_load_b128 v[2:5], v1 offset:928
	scratch_load_b128 v[26:29], off, off offset:480
	v_add_f64_e32 v[125:126], v[125:126], v[135:136]
	v_add_f64_e32 v[127:128], v[127:128], v[131:132]
	v_fma_f64 v[129:130], v[8:9], v[30:31], v[129:130]
	v_fma_f64 v[135:136], v[6:7], v[30:31], -v[32:33]
	ds_load_b128 v[6:9], v1 offset:944
	s_wait_loadcnt_dscnt 0x801
	v_mul_f64_e32 v[131:132], v[2:3], v[115:116]
	v_mul_f64_e32 v[115:116], v[4:5], v[115:116]
	scratch_load_b128 v[30:33], off, off offset:496
	v_add_f64_e32 v[125:126], v[125:126], v[137:138]
	v_add_f64_e32 v[127:128], v[127:128], v[133:134]
	s_wait_loadcnt_dscnt 0x800
	v_mul_f64_e32 v[133:134], v[6:7], v[123:124]
	v_mul_f64_e32 v[123:124], v[8:9], v[123:124]
	v_fma_f64 v[131:132], v[4:5], v[113:114], v[131:132]
	v_fma_f64 v[137:138], v[2:3], v[113:114], -v[115:116]
	ds_load_b128 v[2:5], v1 offset:960
	scratch_load_b128 v[113:116], off, off offset:512
	v_add_f64_e32 v[125:126], v[125:126], v[135:136]
	v_add_f64_e32 v[127:128], v[127:128], v[129:130]
	v_fma_f64 v[133:134], v[8:9], v[121:122], v[133:134]
	v_fma_f64 v[135:136], v[6:7], v[121:122], -v[123:124]
	ds_load_b128 v[6:9], v1 offset:976
	scratch_load_b128 v[121:124], off, off offset:528
	s_wait_loadcnt_dscnt 0x901
	v_mul_f64_e32 v[129:130], v[2:3], v[36:37]
	v_mul_f64_e32 v[36:37], v[4:5], v[36:37]
	v_add_f64_e32 v[125:126], v[125:126], v[137:138]
	v_add_f64_e32 v[127:128], v[127:128], v[131:132]
	s_wait_loadcnt_dscnt 0x800
	v_mul_f64_e32 v[131:132], v[6:7], v[119:120]
	v_mul_f64_e32 v[119:120], v[8:9], v[119:120]
	v_fma_f64 v[129:130], v[4:5], v[34:35], v[129:130]
	v_fma_f64 v[137:138], v[2:3], v[34:35], -v[36:37]
	ds_load_b128 v[2:5], v1 offset:992
	scratch_load_b128 v[34:37], off, off offset:544
	v_add_f64_e32 v[125:126], v[125:126], v[135:136]
	v_add_f64_e32 v[127:128], v[127:128], v[133:134]
	v_fma_f64 v[131:132], v[8:9], v[117:118], v[131:132]
	v_fma_f64 v[135:136], v[6:7], v[117:118], -v[119:120]
	ds_load_b128 v[6:9], v1 offset:1008
	s_wait_loadcnt_dscnt 0x801
	v_mul_f64_e32 v[133:134], v[2:3], v[12:13]
	v_mul_f64_e32 v[12:13], v[4:5], v[12:13]
	scratch_load_b128 v[117:120], off, off offset:560
	v_add_f64_e32 v[125:126], v[125:126], v[137:138]
	v_add_f64_e32 v[127:128], v[127:128], v[129:130]
	s_wait_loadcnt_dscnt 0x800
	v_mul_f64_e32 v[129:130], v[6:7], v[16:17]
	v_mul_f64_e32 v[16:17], v[8:9], v[16:17]
	v_fma_f64 v[133:134], v[4:5], v[10:11], v[133:134]
	v_fma_f64 v[137:138], v[2:3], v[10:11], -v[12:13]
	ds_load_b128 v[2:5], v1 offset:1024
	scratch_load_b128 v[10:13], off, off offset:576
	v_add_f64_e32 v[125:126], v[125:126], v[135:136]
	v_add_f64_e32 v[127:128], v[127:128], v[131:132]
	v_fma_f64 v[129:130], v[8:9], v[14:15], v[129:130]
	v_fma_f64 v[135:136], v[6:7], v[14:15], -v[16:17]
	ds_load_b128 v[6:9], v1 offset:1040
	s_wait_loadcnt_dscnt 0x801
	v_mul_f64_e32 v[131:132], v[2:3], v[20:21]
	v_mul_f64_e32 v[20:21], v[4:5], v[20:21]
	scratch_load_b128 v[14:17], off, off offset:592
	v_add_f64_e32 v[125:126], v[125:126], v[137:138]
	v_add_f64_e32 v[127:128], v[127:128], v[133:134]
	s_wait_loadcnt_dscnt 0x800
	v_mul_f64_e32 v[133:134], v[6:7], v[24:25]
	v_mul_f64_e32 v[24:25], v[8:9], v[24:25]
	v_fma_f64 v[131:132], v[4:5], v[18:19], v[131:132]
	v_fma_f64 v[18:19], v[2:3], v[18:19], -v[20:21]
	ds_load_b128 v[2:5], v1 offset:1056
	v_add_f64_e32 v[20:21], v[125:126], v[135:136]
	v_add_f64_e32 v[125:126], v[127:128], v[129:130]
	v_fma_f64 v[129:130], v[8:9], v[22:23], v[133:134]
	v_fma_f64 v[22:23], v[6:7], v[22:23], -v[24:25]
	ds_load_b128 v[6:9], v1 offset:1072
	s_wait_loadcnt_dscnt 0x701
	v_mul_f64_e32 v[127:128], v[2:3], v[28:29]
	v_mul_f64_e32 v[28:29], v[4:5], v[28:29]
	v_add_f64_e32 v[18:19], v[20:21], v[18:19]
	v_add_f64_e32 v[20:21], v[125:126], v[131:132]
	s_delay_alu instid0(VALU_DEP_4) | instskip(NEXT) | instid1(VALU_DEP_4)
	v_fma_f64 v[125:126], v[4:5], v[26:27], v[127:128]
	v_fma_f64 v[26:27], v[2:3], v[26:27], -v[28:29]
	ds_load_b128 v[2:5], v1 offset:1088
	v_add_f64_e32 v[22:23], v[18:19], v[22:23]
	v_add_f64_e32 v[28:29], v[20:21], v[129:130]
	scratch_load_b128 v[18:21], off, off offset:208
	s_wait_loadcnt_dscnt 0x701
	v_mul_f64_e32 v[24:25], v[6:7], v[32:33]
	v_mul_f64_e32 v[32:33], v[8:9], v[32:33]
	v_add_f64_e32 v[22:23], v[22:23], v[26:27]
	v_add_f64_e32 v[26:27], v[28:29], v[125:126]
	s_delay_alu instid0(VALU_DEP_4) | instskip(NEXT) | instid1(VALU_DEP_4)
	v_fma_f64 v[24:25], v[8:9], v[30:31], v[24:25]
	v_fma_f64 v[30:31], v[6:7], v[30:31], -v[32:33]
	ds_load_b128 v[6:9], v1 offset:1104
	s_wait_loadcnt_dscnt 0x601
	v_mul_f64_e32 v[127:128], v[2:3], v[115:116]
	v_mul_f64_e32 v[115:116], v[4:5], v[115:116]
	s_wait_loadcnt_dscnt 0x500
	v_mul_f64_e32 v[28:29], v[6:7], v[123:124]
	v_mul_f64_e32 v[32:33], v[8:9], v[123:124]
	v_add_f64_e32 v[24:25], v[26:27], v[24:25]
	v_add_f64_e32 v[22:23], v[22:23], v[30:31]
	v_fma_f64 v[123:124], v[4:5], v[113:114], v[127:128]
	v_fma_f64 v[113:114], v[2:3], v[113:114], -v[115:116]
	ds_load_b128 v[2:5], v1 offset:1120
	v_fma_f64 v[28:29], v[8:9], v[121:122], v[28:29]
	v_fma_f64 v[32:33], v[6:7], v[121:122], -v[32:33]
	ds_load_b128 v[6:9], v1 offset:1136
	s_wait_loadcnt_dscnt 0x401
	v_mul_f64_e32 v[26:27], v[2:3], v[36:37]
	v_mul_f64_e32 v[30:31], v[4:5], v[36:37]
	v_add_f64_e32 v[24:25], v[24:25], v[123:124]
	v_add_f64_e32 v[22:23], v[22:23], v[113:114]
	s_wait_loadcnt_dscnt 0x300
	v_mul_f64_e32 v[36:37], v[6:7], v[119:120]
	v_mul_f64_e32 v[113:114], v[8:9], v[119:120]
	v_fma_f64 v[26:27], v[4:5], v[34:35], v[26:27]
	v_fma_f64 v[30:31], v[2:3], v[34:35], -v[30:31]
	ds_load_b128 v[2:5], v1 offset:1152
	v_add_f64_e32 v[24:25], v[24:25], v[28:29]
	v_add_f64_e32 v[22:23], v[22:23], v[32:33]
	v_fma_f64 v[32:33], v[8:9], v[117:118], v[36:37]
	v_fma_f64 v[34:35], v[6:7], v[117:118], -v[113:114]
	ds_load_b128 v[6:9], v1 offset:1168
	s_wait_loadcnt_dscnt 0x201
	v_mul_f64_e32 v[28:29], v[2:3], v[12:13]
	v_mul_f64_e32 v[12:13], v[4:5], v[12:13]
	v_add_f64_e32 v[24:25], v[24:25], v[26:27]
	v_add_f64_e32 v[22:23], v[22:23], v[30:31]
	s_wait_loadcnt_dscnt 0x100
	v_mul_f64_e32 v[26:27], v[6:7], v[16:17]
	v_mul_f64_e32 v[16:17], v[8:9], v[16:17]
	v_fma_f64 v[4:5], v[4:5], v[10:11], v[28:29]
	v_fma_f64 v[1:2], v[2:3], v[10:11], -v[12:13]
	v_add_f64_e32 v[12:13], v[24:25], v[32:33]
	v_add_f64_e32 v[10:11], v[22:23], v[34:35]
	v_fma_f64 v[8:9], v[8:9], v[14:15], v[26:27]
	v_fma_f64 v[6:7], v[6:7], v[14:15], -v[16:17]
	s_delay_alu instid0(VALU_DEP_4) | instskip(NEXT) | instid1(VALU_DEP_4)
	v_add_f64_e32 v[3:4], v[12:13], v[4:5]
	v_add_f64_e32 v[1:2], v[10:11], v[1:2]
	s_delay_alu instid0(VALU_DEP_2) | instskip(NEXT) | instid1(VALU_DEP_2)
	v_add_f64_e32 v[3:4], v[3:4], v[8:9]
	v_add_f64_e32 v[1:2], v[1:2], v[6:7]
	s_wait_loadcnt 0x0
	s_delay_alu instid0(VALU_DEP_2) | instskip(NEXT) | instid1(VALU_DEP_2)
	v_add_f64_e64 v[3:4], v[20:21], -v[3:4]
	v_add_f64_e64 v[1:2], v[18:19], -v[1:2]
	scratch_store_b128 off, v[1:4], off offset:208
	v_cmpx_lt_u32_e32 11, v0
	s_cbranch_execz .LBB36_213
; %bb.212:
	scratch_load_b128 v[1:4], off, s39
	v_mov_b32_e32 v5, 0
	s_delay_alu instid0(VALU_DEP_1)
	v_dual_mov_b32 v6, v5 :: v_dual_mov_b32 v7, v5
	v_mov_b32_e32 v8, v5
	scratch_store_b128 off, v[5:8], off offset:192
	s_wait_loadcnt 0x0
	ds_store_b128 v112, v[1:4]
.LBB36_213:
	s_wait_alu 0xfffe
	s_or_b32 exec_lo, exec_lo, s0
	s_wait_storecnt_dscnt 0x0
	s_barrier_signal -1
	s_barrier_wait -1
	global_inv scope:SCOPE_SE
	s_clause 0x7
	scratch_load_b128 v[2:5], off, off offset:208
	scratch_load_b128 v[6:9], off, off offset:224
	;; [unrolled: 1-line block ×8, first 2 shown]
	v_mov_b32_e32 v1, 0
	s_clause 0x1
	scratch_load_b128 v[113:116], off, off offset:336
	scratch_load_b128 v[121:124], off, off offset:352
	s_mov_b32 s0, exec_lo
	ds_load_b128 v[34:37], v1 offset:784
	ds_load_b128 v[117:120], v1 offset:800
	s_wait_loadcnt_dscnt 0x901
	v_mul_f64_e32 v[125:126], v[36:37], v[4:5]
	v_mul_f64_e32 v[4:5], v[34:35], v[4:5]
	s_wait_loadcnt_dscnt 0x800
	v_mul_f64_e32 v[127:128], v[117:118], v[8:9]
	v_mul_f64_e32 v[8:9], v[119:120], v[8:9]
	s_delay_alu instid0(VALU_DEP_4) | instskip(NEXT) | instid1(VALU_DEP_4)
	v_fma_f64 v[125:126], v[34:35], v[2:3], -v[125:126]
	v_fma_f64 v[129:130], v[36:37], v[2:3], v[4:5]
	ds_load_b128 v[2:5], v1 offset:816
	scratch_load_b128 v[34:37], off, off offset:368
	v_fma_f64 v[127:128], v[119:120], v[6:7], v[127:128]
	v_fma_f64 v[133:134], v[117:118], v[6:7], -v[8:9]
	ds_load_b128 v[6:9], v1 offset:832
	scratch_load_b128 v[117:120], off, off offset:384
	s_wait_loadcnt_dscnt 0x901
	v_mul_f64_e32 v[131:132], v[2:3], v[12:13]
	v_mul_f64_e32 v[12:13], v[4:5], v[12:13]
	s_wait_loadcnt_dscnt 0x800
	v_mul_f64_e32 v[135:136], v[6:7], v[16:17]
	v_mul_f64_e32 v[16:17], v[8:9], v[16:17]
	v_add_f64_e32 v[125:126], 0, v[125:126]
	v_add_f64_e32 v[129:130], 0, v[129:130]
	v_fma_f64 v[131:132], v[4:5], v[10:11], v[131:132]
	v_fma_f64 v[137:138], v[2:3], v[10:11], -v[12:13]
	ds_load_b128 v[2:5], v1 offset:848
	scratch_load_b128 v[10:13], off, off offset:400
	v_add_f64_e32 v[125:126], v[125:126], v[133:134]
	v_add_f64_e32 v[127:128], v[129:130], v[127:128]
	v_fma_f64 v[133:134], v[8:9], v[14:15], v[135:136]
	v_fma_f64 v[135:136], v[6:7], v[14:15], -v[16:17]
	ds_load_b128 v[6:9], v1 offset:864
	scratch_load_b128 v[14:17], off, off offset:416
	s_wait_loadcnt_dscnt 0x901
	v_mul_f64_e32 v[129:130], v[2:3], v[20:21]
	v_mul_f64_e32 v[20:21], v[4:5], v[20:21]
	v_add_f64_e32 v[125:126], v[125:126], v[137:138]
	v_add_f64_e32 v[127:128], v[127:128], v[131:132]
	s_wait_loadcnt_dscnt 0x800
	v_mul_f64_e32 v[131:132], v[6:7], v[24:25]
	v_mul_f64_e32 v[24:25], v[8:9], v[24:25]
	v_fma_f64 v[129:130], v[4:5], v[18:19], v[129:130]
	v_fma_f64 v[137:138], v[2:3], v[18:19], -v[20:21]
	ds_load_b128 v[2:5], v1 offset:880
	scratch_load_b128 v[18:21], off, off offset:432
	v_add_f64_e32 v[125:126], v[125:126], v[135:136]
	v_add_f64_e32 v[127:128], v[127:128], v[133:134]
	v_fma_f64 v[131:132], v[8:9], v[22:23], v[131:132]
	v_fma_f64 v[135:136], v[6:7], v[22:23], -v[24:25]
	ds_load_b128 v[6:9], v1 offset:896
	s_wait_loadcnt_dscnt 0x801
	v_mul_f64_e32 v[133:134], v[2:3], v[28:29]
	v_mul_f64_e32 v[28:29], v[4:5], v[28:29]
	scratch_load_b128 v[22:25], off, off offset:448
	v_add_f64_e32 v[125:126], v[125:126], v[137:138]
	v_add_f64_e32 v[127:128], v[127:128], v[129:130]
	s_wait_loadcnt_dscnt 0x800
	v_mul_f64_e32 v[129:130], v[6:7], v[32:33]
	v_mul_f64_e32 v[32:33], v[8:9], v[32:33]
	v_fma_f64 v[133:134], v[4:5], v[26:27], v[133:134]
	v_fma_f64 v[137:138], v[2:3], v[26:27], -v[28:29]
	ds_load_b128 v[2:5], v1 offset:912
	scratch_load_b128 v[26:29], off, off offset:464
	v_add_f64_e32 v[125:126], v[125:126], v[135:136]
	v_add_f64_e32 v[127:128], v[127:128], v[131:132]
	v_fma_f64 v[129:130], v[8:9], v[30:31], v[129:130]
	v_fma_f64 v[135:136], v[6:7], v[30:31], -v[32:33]
	ds_load_b128 v[6:9], v1 offset:928
	s_wait_loadcnt_dscnt 0x801
	v_mul_f64_e32 v[131:132], v[2:3], v[115:116]
	v_mul_f64_e32 v[115:116], v[4:5], v[115:116]
	scratch_load_b128 v[30:33], off, off offset:480
	v_add_f64_e32 v[125:126], v[125:126], v[137:138]
	v_add_f64_e32 v[127:128], v[127:128], v[133:134]
	s_wait_loadcnt_dscnt 0x800
	v_mul_f64_e32 v[133:134], v[6:7], v[123:124]
	v_mul_f64_e32 v[123:124], v[8:9], v[123:124]
	v_fma_f64 v[131:132], v[4:5], v[113:114], v[131:132]
	v_fma_f64 v[137:138], v[2:3], v[113:114], -v[115:116]
	ds_load_b128 v[2:5], v1 offset:944
	scratch_load_b128 v[113:116], off, off offset:496
	v_add_f64_e32 v[125:126], v[125:126], v[135:136]
	v_add_f64_e32 v[127:128], v[127:128], v[129:130]
	v_fma_f64 v[133:134], v[8:9], v[121:122], v[133:134]
	v_fma_f64 v[135:136], v[6:7], v[121:122], -v[123:124]
	ds_load_b128 v[6:9], v1 offset:960
	scratch_load_b128 v[121:124], off, off offset:512
	s_wait_loadcnt_dscnt 0x901
	v_mul_f64_e32 v[129:130], v[2:3], v[36:37]
	v_mul_f64_e32 v[36:37], v[4:5], v[36:37]
	v_add_f64_e32 v[125:126], v[125:126], v[137:138]
	v_add_f64_e32 v[127:128], v[127:128], v[131:132]
	s_wait_loadcnt_dscnt 0x800
	v_mul_f64_e32 v[131:132], v[6:7], v[119:120]
	v_mul_f64_e32 v[119:120], v[8:9], v[119:120]
	v_fma_f64 v[129:130], v[4:5], v[34:35], v[129:130]
	v_fma_f64 v[137:138], v[2:3], v[34:35], -v[36:37]
	ds_load_b128 v[2:5], v1 offset:976
	scratch_load_b128 v[34:37], off, off offset:528
	v_add_f64_e32 v[125:126], v[125:126], v[135:136]
	v_add_f64_e32 v[127:128], v[127:128], v[133:134]
	v_fma_f64 v[131:132], v[8:9], v[117:118], v[131:132]
	v_fma_f64 v[135:136], v[6:7], v[117:118], -v[119:120]
	ds_load_b128 v[6:9], v1 offset:992
	s_wait_loadcnt_dscnt 0x801
	v_mul_f64_e32 v[133:134], v[2:3], v[12:13]
	v_mul_f64_e32 v[12:13], v[4:5], v[12:13]
	scratch_load_b128 v[117:120], off, off offset:544
	v_add_f64_e32 v[125:126], v[125:126], v[137:138]
	v_add_f64_e32 v[127:128], v[127:128], v[129:130]
	s_wait_loadcnt_dscnt 0x800
	v_mul_f64_e32 v[129:130], v[6:7], v[16:17]
	v_mul_f64_e32 v[16:17], v[8:9], v[16:17]
	v_fma_f64 v[133:134], v[4:5], v[10:11], v[133:134]
	v_fma_f64 v[137:138], v[2:3], v[10:11], -v[12:13]
	ds_load_b128 v[2:5], v1 offset:1008
	scratch_load_b128 v[10:13], off, off offset:560
	v_add_f64_e32 v[125:126], v[125:126], v[135:136]
	v_add_f64_e32 v[127:128], v[127:128], v[131:132]
	v_fma_f64 v[129:130], v[8:9], v[14:15], v[129:130]
	v_fma_f64 v[135:136], v[6:7], v[14:15], -v[16:17]
	ds_load_b128 v[6:9], v1 offset:1024
	s_wait_loadcnt_dscnt 0x801
	v_mul_f64_e32 v[131:132], v[2:3], v[20:21]
	v_mul_f64_e32 v[20:21], v[4:5], v[20:21]
	scratch_load_b128 v[14:17], off, off offset:576
	v_add_f64_e32 v[125:126], v[125:126], v[137:138]
	v_add_f64_e32 v[127:128], v[127:128], v[133:134]
	s_wait_loadcnt_dscnt 0x800
	v_mul_f64_e32 v[133:134], v[6:7], v[24:25]
	v_mul_f64_e32 v[24:25], v[8:9], v[24:25]
	v_fma_f64 v[131:132], v[4:5], v[18:19], v[131:132]
	v_fma_f64 v[137:138], v[2:3], v[18:19], -v[20:21]
	ds_load_b128 v[2:5], v1 offset:1040
	scratch_load_b128 v[18:21], off, off offset:592
	v_add_f64_e32 v[125:126], v[125:126], v[135:136]
	v_add_f64_e32 v[127:128], v[127:128], v[129:130]
	v_fma_f64 v[133:134], v[8:9], v[22:23], v[133:134]
	v_fma_f64 v[22:23], v[6:7], v[22:23], -v[24:25]
	ds_load_b128 v[6:9], v1 offset:1056
	s_wait_loadcnt_dscnt 0x801
	v_mul_f64_e32 v[129:130], v[2:3], v[28:29]
	v_mul_f64_e32 v[28:29], v[4:5], v[28:29]
	v_add_f64_e32 v[24:25], v[125:126], v[137:138]
	v_add_f64_e32 v[125:126], v[127:128], v[131:132]
	s_wait_loadcnt_dscnt 0x700
	v_mul_f64_e32 v[127:128], v[6:7], v[32:33]
	v_mul_f64_e32 v[32:33], v[8:9], v[32:33]
	v_fma_f64 v[129:130], v[4:5], v[26:27], v[129:130]
	v_fma_f64 v[26:27], v[2:3], v[26:27], -v[28:29]
	ds_load_b128 v[2:5], v1 offset:1072
	v_add_f64_e32 v[22:23], v[24:25], v[22:23]
	v_add_f64_e32 v[24:25], v[125:126], v[133:134]
	v_fma_f64 v[125:126], v[8:9], v[30:31], v[127:128]
	v_fma_f64 v[30:31], v[6:7], v[30:31], -v[32:33]
	ds_load_b128 v[6:9], v1 offset:1088
	s_wait_loadcnt_dscnt 0x500
	v_mul_f64_e32 v[127:128], v[6:7], v[123:124]
	v_mul_f64_e32 v[123:124], v[8:9], v[123:124]
	v_add_f64_e32 v[26:27], v[22:23], v[26:27]
	v_add_f64_e32 v[32:33], v[24:25], v[129:130]
	scratch_load_b128 v[22:25], off, off offset:192
	v_mul_f64_e32 v[28:29], v[2:3], v[115:116]
	v_mul_f64_e32 v[115:116], v[4:5], v[115:116]
	v_add_f64_e32 v[26:27], v[26:27], v[30:31]
	v_add_f64_e32 v[30:31], v[32:33], v[125:126]
	s_delay_alu instid0(VALU_DEP_4) | instskip(NEXT) | instid1(VALU_DEP_4)
	v_fma_f64 v[28:29], v[4:5], v[113:114], v[28:29]
	v_fma_f64 v[113:114], v[2:3], v[113:114], -v[115:116]
	ds_load_b128 v[2:5], v1 offset:1104
	v_fma_f64 v[115:116], v[8:9], v[121:122], v[127:128]
	v_fma_f64 v[121:122], v[6:7], v[121:122], -v[123:124]
	ds_load_b128 v[6:9], v1 offset:1120
	s_wait_loadcnt_dscnt 0x501
	v_mul_f64_e32 v[32:33], v[2:3], v[36:37]
	v_mul_f64_e32 v[36:37], v[4:5], v[36:37]
	v_add_f64_e32 v[28:29], v[30:31], v[28:29]
	v_add_f64_e32 v[26:27], v[26:27], v[113:114]
	s_wait_loadcnt_dscnt 0x400
	v_mul_f64_e32 v[30:31], v[6:7], v[119:120]
	v_mul_f64_e32 v[113:114], v[8:9], v[119:120]
	v_fma_f64 v[32:33], v[4:5], v[34:35], v[32:33]
	v_fma_f64 v[34:35], v[2:3], v[34:35], -v[36:37]
	ds_load_b128 v[2:5], v1 offset:1136
	v_add_f64_e32 v[28:29], v[28:29], v[115:116]
	v_add_f64_e32 v[26:27], v[26:27], v[121:122]
	v_fma_f64 v[30:31], v[8:9], v[117:118], v[30:31]
	v_fma_f64 v[113:114], v[6:7], v[117:118], -v[113:114]
	ds_load_b128 v[6:9], v1 offset:1152
	s_wait_loadcnt_dscnt 0x301
	v_mul_f64_e32 v[36:37], v[2:3], v[12:13]
	v_mul_f64_e32 v[12:13], v[4:5], v[12:13]
	v_add_f64_e32 v[28:29], v[28:29], v[32:33]
	v_add_f64_e32 v[26:27], v[26:27], v[34:35]
	s_wait_loadcnt_dscnt 0x200
	v_mul_f64_e32 v[32:33], v[6:7], v[16:17]
	v_mul_f64_e32 v[16:17], v[8:9], v[16:17]
	v_fma_f64 v[34:35], v[4:5], v[10:11], v[36:37]
	v_fma_f64 v[10:11], v[2:3], v[10:11], -v[12:13]
	ds_load_b128 v[2:5], v1 offset:1168
	v_add_f64_e32 v[12:13], v[26:27], v[113:114]
	v_add_f64_e32 v[26:27], v[28:29], v[30:31]
	s_wait_loadcnt_dscnt 0x100
	v_mul_f64_e32 v[28:29], v[2:3], v[20:21]
	v_mul_f64_e32 v[20:21], v[4:5], v[20:21]
	v_fma_f64 v[8:9], v[8:9], v[14:15], v[32:33]
	v_fma_f64 v[6:7], v[6:7], v[14:15], -v[16:17]
	v_add_f64_e32 v[10:11], v[12:13], v[10:11]
	v_add_f64_e32 v[12:13], v[26:27], v[34:35]
	v_fma_f64 v[4:5], v[4:5], v[18:19], v[28:29]
	v_fma_f64 v[2:3], v[2:3], v[18:19], -v[20:21]
	s_delay_alu instid0(VALU_DEP_4) | instskip(NEXT) | instid1(VALU_DEP_4)
	v_add_f64_e32 v[6:7], v[10:11], v[6:7]
	v_add_f64_e32 v[8:9], v[12:13], v[8:9]
	s_delay_alu instid0(VALU_DEP_2) | instskip(NEXT) | instid1(VALU_DEP_2)
	v_add_f64_e32 v[2:3], v[6:7], v[2:3]
	v_add_f64_e32 v[4:5], v[8:9], v[4:5]
	s_wait_loadcnt 0x0
	s_delay_alu instid0(VALU_DEP_2) | instskip(NEXT) | instid1(VALU_DEP_2)
	v_add_f64_e64 v[2:3], v[22:23], -v[2:3]
	v_add_f64_e64 v[4:5], v[24:25], -v[4:5]
	scratch_store_b128 off, v[2:5], off offset:192
	v_cmpx_lt_u32_e32 10, v0
	s_cbranch_execz .LBB36_215
; %bb.214:
	scratch_load_b128 v[5:8], off, s40
	v_dual_mov_b32 v2, v1 :: v_dual_mov_b32 v3, v1
	v_mov_b32_e32 v4, v1
	scratch_store_b128 off, v[1:4], off offset:176
	s_wait_loadcnt 0x0
	ds_store_b128 v112, v[5:8]
.LBB36_215:
	s_wait_alu 0xfffe
	s_or_b32 exec_lo, exec_lo, s0
	s_wait_storecnt_dscnt 0x0
	s_barrier_signal -1
	s_barrier_wait -1
	global_inv scope:SCOPE_SE
	s_clause 0x7
	scratch_load_b128 v[2:5], off, off offset:192
	scratch_load_b128 v[6:9], off, off offset:208
	;; [unrolled: 1-line block ×8, first 2 shown]
	ds_load_b128 v[34:37], v1 offset:768
	ds_load_b128 v[117:120], v1 offset:784
	s_clause 0x1
	scratch_load_b128 v[113:116], off, off offset:320
	scratch_load_b128 v[121:124], off, off offset:336
	s_mov_b32 s0, exec_lo
	s_wait_loadcnt_dscnt 0x901
	v_mul_f64_e32 v[125:126], v[36:37], v[4:5]
	v_mul_f64_e32 v[4:5], v[34:35], v[4:5]
	s_wait_loadcnt_dscnt 0x800
	v_mul_f64_e32 v[127:128], v[117:118], v[8:9]
	v_mul_f64_e32 v[8:9], v[119:120], v[8:9]
	s_delay_alu instid0(VALU_DEP_4) | instskip(NEXT) | instid1(VALU_DEP_4)
	v_fma_f64 v[125:126], v[34:35], v[2:3], -v[125:126]
	v_fma_f64 v[129:130], v[36:37], v[2:3], v[4:5]
	ds_load_b128 v[2:5], v1 offset:800
	scratch_load_b128 v[34:37], off, off offset:352
	v_fma_f64 v[127:128], v[119:120], v[6:7], v[127:128]
	v_fma_f64 v[133:134], v[117:118], v[6:7], -v[8:9]
	ds_load_b128 v[6:9], v1 offset:816
	scratch_load_b128 v[117:120], off, off offset:368
	s_wait_loadcnt_dscnt 0x901
	v_mul_f64_e32 v[131:132], v[2:3], v[12:13]
	v_mul_f64_e32 v[12:13], v[4:5], v[12:13]
	s_wait_loadcnt_dscnt 0x800
	v_mul_f64_e32 v[135:136], v[6:7], v[16:17]
	v_mul_f64_e32 v[16:17], v[8:9], v[16:17]
	v_add_f64_e32 v[125:126], 0, v[125:126]
	v_add_f64_e32 v[129:130], 0, v[129:130]
	v_fma_f64 v[131:132], v[4:5], v[10:11], v[131:132]
	v_fma_f64 v[137:138], v[2:3], v[10:11], -v[12:13]
	ds_load_b128 v[2:5], v1 offset:832
	scratch_load_b128 v[10:13], off, off offset:384
	v_add_f64_e32 v[125:126], v[125:126], v[133:134]
	v_add_f64_e32 v[127:128], v[129:130], v[127:128]
	v_fma_f64 v[133:134], v[8:9], v[14:15], v[135:136]
	v_fma_f64 v[135:136], v[6:7], v[14:15], -v[16:17]
	ds_load_b128 v[6:9], v1 offset:848
	scratch_load_b128 v[14:17], off, off offset:400
	s_wait_loadcnt_dscnt 0x901
	v_mul_f64_e32 v[129:130], v[2:3], v[20:21]
	v_mul_f64_e32 v[20:21], v[4:5], v[20:21]
	v_add_f64_e32 v[125:126], v[125:126], v[137:138]
	v_add_f64_e32 v[127:128], v[127:128], v[131:132]
	s_wait_loadcnt_dscnt 0x800
	v_mul_f64_e32 v[131:132], v[6:7], v[24:25]
	v_mul_f64_e32 v[24:25], v[8:9], v[24:25]
	v_fma_f64 v[129:130], v[4:5], v[18:19], v[129:130]
	v_fma_f64 v[137:138], v[2:3], v[18:19], -v[20:21]
	ds_load_b128 v[2:5], v1 offset:864
	scratch_load_b128 v[18:21], off, off offset:416
	v_add_f64_e32 v[125:126], v[125:126], v[135:136]
	v_add_f64_e32 v[127:128], v[127:128], v[133:134]
	v_fma_f64 v[131:132], v[8:9], v[22:23], v[131:132]
	v_fma_f64 v[135:136], v[6:7], v[22:23], -v[24:25]
	ds_load_b128 v[6:9], v1 offset:880
	s_wait_loadcnt_dscnt 0x801
	v_mul_f64_e32 v[133:134], v[2:3], v[28:29]
	v_mul_f64_e32 v[28:29], v[4:5], v[28:29]
	scratch_load_b128 v[22:25], off, off offset:432
	v_add_f64_e32 v[125:126], v[125:126], v[137:138]
	v_add_f64_e32 v[127:128], v[127:128], v[129:130]
	s_wait_loadcnt_dscnt 0x800
	v_mul_f64_e32 v[129:130], v[6:7], v[32:33]
	v_mul_f64_e32 v[32:33], v[8:9], v[32:33]
	v_fma_f64 v[133:134], v[4:5], v[26:27], v[133:134]
	v_fma_f64 v[137:138], v[2:3], v[26:27], -v[28:29]
	ds_load_b128 v[2:5], v1 offset:896
	scratch_load_b128 v[26:29], off, off offset:448
	v_add_f64_e32 v[125:126], v[125:126], v[135:136]
	v_add_f64_e32 v[127:128], v[127:128], v[131:132]
	v_fma_f64 v[129:130], v[8:9], v[30:31], v[129:130]
	v_fma_f64 v[135:136], v[6:7], v[30:31], -v[32:33]
	ds_load_b128 v[6:9], v1 offset:912
	s_wait_loadcnt_dscnt 0x801
	v_mul_f64_e32 v[131:132], v[2:3], v[115:116]
	v_mul_f64_e32 v[115:116], v[4:5], v[115:116]
	scratch_load_b128 v[30:33], off, off offset:464
	v_add_f64_e32 v[125:126], v[125:126], v[137:138]
	v_add_f64_e32 v[127:128], v[127:128], v[133:134]
	s_wait_loadcnt_dscnt 0x800
	v_mul_f64_e32 v[133:134], v[6:7], v[123:124]
	v_mul_f64_e32 v[123:124], v[8:9], v[123:124]
	v_fma_f64 v[131:132], v[4:5], v[113:114], v[131:132]
	v_fma_f64 v[137:138], v[2:3], v[113:114], -v[115:116]
	ds_load_b128 v[2:5], v1 offset:928
	scratch_load_b128 v[113:116], off, off offset:480
	v_add_f64_e32 v[125:126], v[125:126], v[135:136]
	v_add_f64_e32 v[127:128], v[127:128], v[129:130]
	v_fma_f64 v[133:134], v[8:9], v[121:122], v[133:134]
	v_fma_f64 v[135:136], v[6:7], v[121:122], -v[123:124]
	ds_load_b128 v[6:9], v1 offset:944
	scratch_load_b128 v[121:124], off, off offset:496
	s_wait_loadcnt_dscnt 0x901
	v_mul_f64_e32 v[129:130], v[2:3], v[36:37]
	v_mul_f64_e32 v[36:37], v[4:5], v[36:37]
	v_add_f64_e32 v[125:126], v[125:126], v[137:138]
	v_add_f64_e32 v[127:128], v[127:128], v[131:132]
	s_wait_loadcnt_dscnt 0x800
	v_mul_f64_e32 v[131:132], v[6:7], v[119:120]
	v_mul_f64_e32 v[119:120], v[8:9], v[119:120]
	v_fma_f64 v[129:130], v[4:5], v[34:35], v[129:130]
	v_fma_f64 v[137:138], v[2:3], v[34:35], -v[36:37]
	ds_load_b128 v[2:5], v1 offset:960
	scratch_load_b128 v[34:37], off, off offset:512
	v_add_f64_e32 v[125:126], v[125:126], v[135:136]
	v_add_f64_e32 v[127:128], v[127:128], v[133:134]
	v_fma_f64 v[131:132], v[8:9], v[117:118], v[131:132]
	v_fma_f64 v[135:136], v[6:7], v[117:118], -v[119:120]
	ds_load_b128 v[6:9], v1 offset:976
	s_wait_loadcnt_dscnt 0x801
	v_mul_f64_e32 v[133:134], v[2:3], v[12:13]
	v_mul_f64_e32 v[12:13], v[4:5], v[12:13]
	scratch_load_b128 v[117:120], off, off offset:528
	v_add_f64_e32 v[125:126], v[125:126], v[137:138]
	v_add_f64_e32 v[127:128], v[127:128], v[129:130]
	s_wait_loadcnt_dscnt 0x800
	v_mul_f64_e32 v[129:130], v[6:7], v[16:17]
	v_mul_f64_e32 v[16:17], v[8:9], v[16:17]
	v_fma_f64 v[133:134], v[4:5], v[10:11], v[133:134]
	v_fma_f64 v[137:138], v[2:3], v[10:11], -v[12:13]
	ds_load_b128 v[2:5], v1 offset:992
	scratch_load_b128 v[10:13], off, off offset:544
	v_add_f64_e32 v[125:126], v[125:126], v[135:136]
	v_add_f64_e32 v[127:128], v[127:128], v[131:132]
	v_fma_f64 v[129:130], v[8:9], v[14:15], v[129:130]
	v_fma_f64 v[135:136], v[6:7], v[14:15], -v[16:17]
	ds_load_b128 v[6:9], v1 offset:1008
	s_wait_loadcnt_dscnt 0x801
	v_mul_f64_e32 v[131:132], v[2:3], v[20:21]
	v_mul_f64_e32 v[20:21], v[4:5], v[20:21]
	scratch_load_b128 v[14:17], off, off offset:560
	;; [unrolled: 18-line block ×3, first 2 shown]
	v_add_f64_e32 v[125:126], v[125:126], v[137:138]
	v_add_f64_e32 v[127:128], v[127:128], v[131:132]
	s_wait_loadcnt_dscnt 0x800
	v_mul_f64_e32 v[131:132], v[6:7], v[32:33]
	v_mul_f64_e32 v[32:33], v[8:9], v[32:33]
	v_fma_f64 v[129:130], v[4:5], v[26:27], v[129:130]
	v_fma_f64 v[26:27], v[2:3], v[26:27], -v[28:29]
	ds_load_b128 v[2:5], v1 offset:1056
	v_add_f64_e32 v[28:29], v[125:126], v[135:136]
	v_add_f64_e32 v[125:126], v[127:128], v[133:134]
	v_fma_f64 v[131:132], v[8:9], v[30:31], v[131:132]
	v_fma_f64 v[30:31], v[6:7], v[30:31], -v[32:33]
	ds_load_b128 v[6:9], v1 offset:1072
	s_wait_loadcnt_dscnt 0x701
	v_mul_f64_e32 v[127:128], v[2:3], v[115:116]
	v_mul_f64_e32 v[115:116], v[4:5], v[115:116]
	v_add_f64_e32 v[26:27], v[28:29], v[26:27]
	v_add_f64_e32 v[28:29], v[125:126], v[129:130]
	s_delay_alu instid0(VALU_DEP_4) | instskip(NEXT) | instid1(VALU_DEP_4)
	v_fma_f64 v[125:126], v[4:5], v[113:114], v[127:128]
	v_fma_f64 v[113:114], v[2:3], v[113:114], -v[115:116]
	ds_load_b128 v[2:5], v1 offset:1088
	v_add_f64_e32 v[30:31], v[26:27], v[30:31]
	v_add_f64_e32 v[115:116], v[28:29], v[131:132]
	scratch_load_b128 v[26:29], off, off offset:176
	s_wait_loadcnt_dscnt 0x701
	v_mul_f64_e32 v[32:33], v[6:7], v[123:124]
	v_mul_f64_e32 v[123:124], v[8:9], v[123:124]
	v_add_f64_e32 v[30:31], v[30:31], v[113:114]
	v_add_f64_e32 v[113:114], v[115:116], v[125:126]
	s_delay_alu instid0(VALU_DEP_4) | instskip(NEXT) | instid1(VALU_DEP_4)
	v_fma_f64 v[32:33], v[8:9], v[121:122], v[32:33]
	v_fma_f64 v[121:122], v[6:7], v[121:122], -v[123:124]
	ds_load_b128 v[6:9], v1 offset:1104
	s_wait_loadcnt_dscnt 0x601
	v_mul_f64_e32 v[127:128], v[2:3], v[36:37]
	v_mul_f64_e32 v[36:37], v[4:5], v[36:37]
	s_wait_loadcnt_dscnt 0x500
	v_mul_f64_e32 v[115:116], v[6:7], v[119:120]
	v_mul_f64_e32 v[119:120], v[8:9], v[119:120]
	v_add_f64_e32 v[32:33], v[113:114], v[32:33]
	v_add_f64_e32 v[30:31], v[30:31], v[121:122]
	v_fma_f64 v[123:124], v[4:5], v[34:35], v[127:128]
	v_fma_f64 v[34:35], v[2:3], v[34:35], -v[36:37]
	ds_load_b128 v[2:5], v1 offset:1120
	v_fma_f64 v[113:114], v[8:9], v[117:118], v[115:116]
	v_fma_f64 v[115:116], v[6:7], v[117:118], -v[119:120]
	ds_load_b128 v[6:9], v1 offset:1136
	s_wait_loadcnt_dscnt 0x401
	v_mul_f64_e32 v[36:37], v[2:3], v[12:13]
	v_mul_f64_e32 v[12:13], v[4:5], v[12:13]
	v_add_f64_e32 v[32:33], v[32:33], v[123:124]
	v_add_f64_e32 v[30:31], v[30:31], v[34:35]
	s_wait_loadcnt_dscnt 0x300
	v_mul_f64_e32 v[34:35], v[6:7], v[16:17]
	v_mul_f64_e32 v[16:17], v[8:9], v[16:17]
	v_fma_f64 v[36:37], v[4:5], v[10:11], v[36:37]
	v_fma_f64 v[10:11], v[2:3], v[10:11], -v[12:13]
	ds_load_b128 v[2:5], v1 offset:1152
	v_add_f64_e32 v[12:13], v[30:31], v[115:116]
	v_add_f64_e32 v[30:31], v[32:33], v[113:114]
	v_fma_f64 v[34:35], v[8:9], v[14:15], v[34:35]
	v_fma_f64 v[14:15], v[6:7], v[14:15], -v[16:17]
	ds_load_b128 v[6:9], v1 offset:1168
	s_wait_loadcnt_dscnt 0x201
	v_mul_f64_e32 v[32:33], v[2:3], v[20:21]
	v_mul_f64_e32 v[20:21], v[4:5], v[20:21]
	s_wait_loadcnt_dscnt 0x100
	v_mul_f64_e32 v[16:17], v[6:7], v[24:25]
	v_mul_f64_e32 v[24:25], v[8:9], v[24:25]
	v_add_f64_e32 v[10:11], v[12:13], v[10:11]
	v_add_f64_e32 v[12:13], v[30:31], v[36:37]
	v_fma_f64 v[4:5], v[4:5], v[18:19], v[32:33]
	v_fma_f64 v[1:2], v[2:3], v[18:19], -v[20:21]
	v_fma_f64 v[8:9], v[8:9], v[22:23], v[16:17]
	v_fma_f64 v[6:7], v[6:7], v[22:23], -v[24:25]
	v_add_f64_e32 v[10:11], v[10:11], v[14:15]
	v_add_f64_e32 v[12:13], v[12:13], v[34:35]
	s_delay_alu instid0(VALU_DEP_2) | instskip(NEXT) | instid1(VALU_DEP_2)
	v_add_f64_e32 v[1:2], v[10:11], v[1:2]
	v_add_f64_e32 v[3:4], v[12:13], v[4:5]
	s_delay_alu instid0(VALU_DEP_2) | instskip(NEXT) | instid1(VALU_DEP_2)
	v_add_f64_e32 v[1:2], v[1:2], v[6:7]
	v_add_f64_e32 v[3:4], v[3:4], v[8:9]
	s_wait_loadcnt 0x0
	s_delay_alu instid0(VALU_DEP_2) | instskip(NEXT) | instid1(VALU_DEP_2)
	v_add_f64_e64 v[1:2], v[26:27], -v[1:2]
	v_add_f64_e64 v[3:4], v[28:29], -v[3:4]
	scratch_store_b128 off, v[1:4], off offset:176
	v_cmpx_lt_u32_e32 9, v0
	s_cbranch_execz .LBB36_217
; %bb.216:
	scratch_load_b128 v[1:4], off, s41
	v_mov_b32_e32 v5, 0
	s_delay_alu instid0(VALU_DEP_1)
	v_dual_mov_b32 v6, v5 :: v_dual_mov_b32 v7, v5
	v_mov_b32_e32 v8, v5
	scratch_store_b128 off, v[5:8], off offset:160
	s_wait_loadcnt 0x0
	ds_store_b128 v112, v[1:4]
.LBB36_217:
	s_wait_alu 0xfffe
	s_or_b32 exec_lo, exec_lo, s0
	s_wait_storecnt_dscnt 0x0
	s_barrier_signal -1
	s_barrier_wait -1
	global_inv scope:SCOPE_SE
	s_clause 0x7
	scratch_load_b128 v[2:5], off, off offset:176
	scratch_load_b128 v[6:9], off, off offset:192
	;; [unrolled: 1-line block ×8, first 2 shown]
	v_mov_b32_e32 v1, 0
	s_clause 0x1
	scratch_load_b128 v[113:116], off, off offset:304
	scratch_load_b128 v[121:124], off, off offset:320
	s_mov_b32 s0, exec_lo
	ds_load_b128 v[34:37], v1 offset:752
	ds_load_b128 v[117:120], v1 offset:768
	s_wait_loadcnt_dscnt 0x901
	v_mul_f64_e32 v[125:126], v[36:37], v[4:5]
	v_mul_f64_e32 v[4:5], v[34:35], v[4:5]
	s_wait_loadcnt_dscnt 0x800
	v_mul_f64_e32 v[127:128], v[117:118], v[8:9]
	v_mul_f64_e32 v[8:9], v[119:120], v[8:9]
	s_delay_alu instid0(VALU_DEP_4) | instskip(NEXT) | instid1(VALU_DEP_4)
	v_fma_f64 v[125:126], v[34:35], v[2:3], -v[125:126]
	v_fma_f64 v[129:130], v[36:37], v[2:3], v[4:5]
	ds_load_b128 v[2:5], v1 offset:784
	scratch_load_b128 v[34:37], off, off offset:336
	v_fma_f64 v[127:128], v[119:120], v[6:7], v[127:128]
	v_fma_f64 v[133:134], v[117:118], v[6:7], -v[8:9]
	ds_load_b128 v[6:9], v1 offset:800
	scratch_load_b128 v[117:120], off, off offset:352
	s_wait_loadcnt_dscnt 0x901
	v_mul_f64_e32 v[131:132], v[2:3], v[12:13]
	v_mul_f64_e32 v[12:13], v[4:5], v[12:13]
	s_wait_loadcnt_dscnt 0x800
	v_mul_f64_e32 v[135:136], v[6:7], v[16:17]
	v_mul_f64_e32 v[16:17], v[8:9], v[16:17]
	v_add_f64_e32 v[125:126], 0, v[125:126]
	v_add_f64_e32 v[129:130], 0, v[129:130]
	v_fma_f64 v[131:132], v[4:5], v[10:11], v[131:132]
	v_fma_f64 v[137:138], v[2:3], v[10:11], -v[12:13]
	ds_load_b128 v[2:5], v1 offset:816
	scratch_load_b128 v[10:13], off, off offset:368
	v_add_f64_e32 v[125:126], v[125:126], v[133:134]
	v_add_f64_e32 v[127:128], v[129:130], v[127:128]
	v_fma_f64 v[133:134], v[8:9], v[14:15], v[135:136]
	v_fma_f64 v[135:136], v[6:7], v[14:15], -v[16:17]
	ds_load_b128 v[6:9], v1 offset:832
	scratch_load_b128 v[14:17], off, off offset:384
	s_wait_loadcnt_dscnt 0x901
	v_mul_f64_e32 v[129:130], v[2:3], v[20:21]
	v_mul_f64_e32 v[20:21], v[4:5], v[20:21]
	v_add_f64_e32 v[125:126], v[125:126], v[137:138]
	v_add_f64_e32 v[127:128], v[127:128], v[131:132]
	s_wait_loadcnt_dscnt 0x800
	v_mul_f64_e32 v[131:132], v[6:7], v[24:25]
	v_mul_f64_e32 v[24:25], v[8:9], v[24:25]
	v_fma_f64 v[129:130], v[4:5], v[18:19], v[129:130]
	v_fma_f64 v[137:138], v[2:3], v[18:19], -v[20:21]
	ds_load_b128 v[2:5], v1 offset:848
	scratch_load_b128 v[18:21], off, off offset:400
	v_add_f64_e32 v[125:126], v[125:126], v[135:136]
	v_add_f64_e32 v[127:128], v[127:128], v[133:134]
	v_fma_f64 v[131:132], v[8:9], v[22:23], v[131:132]
	v_fma_f64 v[135:136], v[6:7], v[22:23], -v[24:25]
	ds_load_b128 v[6:9], v1 offset:864
	s_wait_loadcnt_dscnt 0x801
	v_mul_f64_e32 v[133:134], v[2:3], v[28:29]
	v_mul_f64_e32 v[28:29], v[4:5], v[28:29]
	scratch_load_b128 v[22:25], off, off offset:416
	v_add_f64_e32 v[125:126], v[125:126], v[137:138]
	v_add_f64_e32 v[127:128], v[127:128], v[129:130]
	s_wait_loadcnt_dscnt 0x800
	v_mul_f64_e32 v[129:130], v[6:7], v[32:33]
	v_mul_f64_e32 v[32:33], v[8:9], v[32:33]
	v_fma_f64 v[133:134], v[4:5], v[26:27], v[133:134]
	v_fma_f64 v[137:138], v[2:3], v[26:27], -v[28:29]
	ds_load_b128 v[2:5], v1 offset:880
	scratch_load_b128 v[26:29], off, off offset:432
	v_add_f64_e32 v[125:126], v[125:126], v[135:136]
	v_add_f64_e32 v[127:128], v[127:128], v[131:132]
	v_fma_f64 v[129:130], v[8:9], v[30:31], v[129:130]
	v_fma_f64 v[135:136], v[6:7], v[30:31], -v[32:33]
	ds_load_b128 v[6:9], v1 offset:896
	s_wait_loadcnt_dscnt 0x801
	v_mul_f64_e32 v[131:132], v[2:3], v[115:116]
	v_mul_f64_e32 v[115:116], v[4:5], v[115:116]
	scratch_load_b128 v[30:33], off, off offset:448
	v_add_f64_e32 v[125:126], v[125:126], v[137:138]
	v_add_f64_e32 v[127:128], v[127:128], v[133:134]
	s_wait_loadcnt_dscnt 0x800
	v_mul_f64_e32 v[133:134], v[6:7], v[123:124]
	v_mul_f64_e32 v[123:124], v[8:9], v[123:124]
	v_fma_f64 v[131:132], v[4:5], v[113:114], v[131:132]
	v_fma_f64 v[137:138], v[2:3], v[113:114], -v[115:116]
	ds_load_b128 v[2:5], v1 offset:912
	scratch_load_b128 v[113:116], off, off offset:464
	v_add_f64_e32 v[125:126], v[125:126], v[135:136]
	v_add_f64_e32 v[127:128], v[127:128], v[129:130]
	v_fma_f64 v[133:134], v[8:9], v[121:122], v[133:134]
	v_fma_f64 v[135:136], v[6:7], v[121:122], -v[123:124]
	ds_load_b128 v[6:9], v1 offset:928
	scratch_load_b128 v[121:124], off, off offset:480
	s_wait_loadcnt_dscnt 0x901
	v_mul_f64_e32 v[129:130], v[2:3], v[36:37]
	v_mul_f64_e32 v[36:37], v[4:5], v[36:37]
	v_add_f64_e32 v[125:126], v[125:126], v[137:138]
	v_add_f64_e32 v[127:128], v[127:128], v[131:132]
	s_wait_loadcnt_dscnt 0x800
	v_mul_f64_e32 v[131:132], v[6:7], v[119:120]
	v_mul_f64_e32 v[119:120], v[8:9], v[119:120]
	v_fma_f64 v[129:130], v[4:5], v[34:35], v[129:130]
	v_fma_f64 v[137:138], v[2:3], v[34:35], -v[36:37]
	ds_load_b128 v[2:5], v1 offset:944
	scratch_load_b128 v[34:37], off, off offset:496
	v_add_f64_e32 v[125:126], v[125:126], v[135:136]
	v_add_f64_e32 v[127:128], v[127:128], v[133:134]
	v_fma_f64 v[131:132], v[8:9], v[117:118], v[131:132]
	v_fma_f64 v[135:136], v[6:7], v[117:118], -v[119:120]
	ds_load_b128 v[6:9], v1 offset:960
	s_wait_loadcnt_dscnt 0x801
	v_mul_f64_e32 v[133:134], v[2:3], v[12:13]
	v_mul_f64_e32 v[12:13], v[4:5], v[12:13]
	scratch_load_b128 v[117:120], off, off offset:512
	v_add_f64_e32 v[125:126], v[125:126], v[137:138]
	v_add_f64_e32 v[127:128], v[127:128], v[129:130]
	s_wait_loadcnt_dscnt 0x800
	v_mul_f64_e32 v[129:130], v[6:7], v[16:17]
	v_mul_f64_e32 v[16:17], v[8:9], v[16:17]
	v_fma_f64 v[133:134], v[4:5], v[10:11], v[133:134]
	v_fma_f64 v[137:138], v[2:3], v[10:11], -v[12:13]
	ds_load_b128 v[2:5], v1 offset:976
	scratch_load_b128 v[10:13], off, off offset:528
	v_add_f64_e32 v[125:126], v[125:126], v[135:136]
	v_add_f64_e32 v[127:128], v[127:128], v[131:132]
	v_fma_f64 v[129:130], v[8:9], v[14:15], v[129:130]
	v_fma_f64 v[135:136], v[6:7], v[14:15], -v[16:17]
	ds_load_b128 v[6:9], v1 offset:992
	s_wait_loadcnt_dscnt 0x801
	v_mul_f64_e32 v[131:132], v[2:3], v[20:21]
	v_mul_f64_e32 v[20:21], v[4:5], v[20:21]
	scratch_load_b128 v[14:17], off, off offset:544
	;; [unrolled: 18-line block ×3, first 2 shown]
	v_add_f64_e32 v[125:126], v[125:126], v[137:138]
	v_add_f64_e32 v[127:128], v[127:128], v[131:132]
	s_wait_loadcnt_dscnt 0x800
	v_mul_f64_e32 v[131:132], v[6:7], v[32:33]
	v_mul_f64_e32 v[32:33], v[8:9], v[32:33]
	v_fma_f64 v[129:130], v[4:5], v[26:27], v[129:130]
	v_fma_f64 v[137:138], v[2:3], v[26:27], -v[28:29]
	ds_load_b128 v[2:5], v1 offset:1040
	scratch_load_b128 v[26:29], off, off offset:592
	v_add_f64_e32 v[125:126], v[125:126], v[135:136]
	v_add_f64_e32 v[127:128], v[127:128], v[133:134]
	v_fma_f64 v[131:132], v[8:9], v[30:31], v[131:132]
	v_fma_f64 v[30:31], v[6:7], v[30:31], -v[32:33]
	ds_load_b128 v[6:9], v1 offset:1056
	s_wait_loadcnt_dscnt 0x801
	v_mul_f64_e32 v[133:134], v[2:3], v[115:116]
	v_mul_f64_e32 v[115:116], v[4:5], v[115:116]
	v_add_f64_e32 v[32:33], v[125:126], v[137:138]
	v_add_f64_e32 v[125:126], v[127:128], v[129:130]
	s_wait_loadcnt_dscnt 0x700
	v_mul_f64_e32 v[127:128], v[6:7], v[123:124]
	v_mul_f64_e32 v[123:124], v[8:9], v[123:124]
	v_fma_f64 v[129:130], v[4:5], v[113:114], v[133:134]
	v_fma_f64 v[113:114], v[2:3], v[113:114], -v[115:116]
	ds_load_b128 v[2:5], v1 offset:1072
	v_add_f64_e32 v[30:31], v[32:33], v[30:31]
	v_add_f64_e32 v[32:33], v[125:126], v[131:132]
	v_fma_f64 v[125:126], v[8:9], v[121:122], v[127:128]
	v_fma_f64 v[121:122], v[6:7], v[121:122], -v[123:124]
	ds_load_b128 v[6:9], v1 offset:1088
	s_wait_loadcnt_dscnt 0x500
	v_mul_f64_e32 v[127:128], v[6:7], v[119:120]
	v_mul_f64_e32 v[119:120], v[8:9], v[119:120]
	v_add_f64_e32 v[113:114], v[30:31], v[113:114]
	v_add_f64_e32 v[123:124], v[32:33], v[129:130]
	scratch_load_b128 v[30:33], off, off offset:160
	v_mul_f64_e32 v[115:116], v[2:3], v[36:37]
	v_mul_f64_e32 v[36:37], v[4:5], v[36:37]
	s_delay_alu instid0(VALU_DEP_2) | instskip(NEXT) | instid1(VALU_DEP_2)
	v_fma_f64 v[115:116], v[4:5], v[34:35], v[115:116]
	v_fma_f64 v[34:35], v[2:3], v[34:35], -v[36:37]
	v_add_f64_e32 v[36:37], v[113:114], v[121:122]
	v_add_f64_e32 v[113:114], v[123:124], v[125:126]
	ds_load_b128 v[2:5], v1 offset:1104
	v_fma_f64 v[123:124], v[8:9], v[117:118], v[127:128]
	v_fma_f64 v[117:118], v[6:7], v[117:118], -v[119:120]
	ds_load_b128 v[6:9], v1 offset:1120
	s_wait_loadcnt_dscnt 0x501
	v_mul_f64_e32 v[121:122], v[2:3], v[12:13]
	v_mul_f64_e32 v[12:13], v[4:5], v[12:13]
	v_add_f64_e32 v[34:35], v[36:37], v[34:35]
	v_add_f64_e32 v[36:37], v[113:114], v[115:116]
	s_wait_loadcnt_dscnt 0x400
	v_mul_f64_e32 v[113:114], v[6:7], v[16:17]
	v_mul_f64_e32 v[16:17], v[8:9], v[16:17]
	v_fma_f64 v[115:116], v[4:5], v[10:11], v[121:122]
	v_fma_f64 v[10:11], v[2:3], v[10:11], -v[12:13]
	ds_load_b128 v[2:5], v1 offset:1136
	v_add_f64_e32 v[12:13], v[34:35], v[117:118]
	v_add_f64_e32 v[34:35], v[36:37], v[123:124]
	v_fma_f64 v[113:114], v[8:9], v[14:15], v[113:114]
	v_fma_f64 v[14:15], v[6:7], v[14:15], -v[16:17]
	ds_load_b128 v[6:9], v1 offset:1152
	s_wait_loadcnt_dscnt 0x301
	v_mul_f64_e32 v[36:37], v[2:3], v[20:21]
	v_mul_f64_e32 v[20:21], v[4:5], v[20:21]
	s_wait_loadcnt_dscnt 0x200
	v_mul_f64_e32 v[16:17], v[6:7], v[24:25]
	v_mul_f64_e32 v[24:25], v[8:9], v[24:25]
	v_add_f64_e32 v[10:11], v[12:13], v[10:11]
	v_add_f64_e32 v[12:13], v[34:35], v[115:116]
	v_fma_f64 v[34:35], v[4:5], v[18:19], v[36:37]
	v_fma_f64 v[18:19], v[2:3], v[18:19], -v[20:21]
	ds_load_b128 v[2:5], v1 offset:1168
	v_fma_f64 v[8:9], v[8:9], v[22:23], v[16:17]
	v_fma_f64 v[6:7], v[6:7], v[22:23], -v[24:25]
	s_wait_loadcnt_dscnt 0x100
	v_mul_f64_e32 v[20:21], v[4:5], v[28:29]
	v_add_f64_e32 v[10:11], v[10:11], v[14:15]
	v_add_f64_e32 v[12:13], v[12:13], v[113:114]
	v_mul_f64_e32 v[14:15], v[2:3], v[28:29]
	s_delay_alu instid0(VALU_DEP_4) | instskip(NEXT) | instid1(VALU_DEP_4)
	v_fma_f64 v[2:3], v[2:3], v[26:27], -v[20:21]
	v_add_f64_e32 v[10:11], v[10:11], v[18:19]
	s_delay_alu instid0(VALU_DEP_4) | instskip(NEXT) | instid1(VALU_DEP_4)
	v_add_f64_e32 v[12:13], v[12:13], v[34:35]
	v_fma_f64 v[4:5], v[4:5], v[26:27], v[14:15]
	s_delay_alu instid0(VALU_DEP_3) | instskip(NEXT) | instid1(VALU_DEP_3)
	v_add_f64_e32 v[6:7], v[10:11], v[6:7]
	v_add_f64_e32 v[8:9], v[12:13], v[8:9]
	s_delay_alu instid0(VALU_DEP_2) | instskip(NEXT) | instid1(VALU_DEP_2)
	v_add_f64_e32 v[2:3], v[6:7], v[2:3]
	v_add_f64_e32 v[4:5], v[8:9], v[4:5]
	s_wait_loadcnt 0x0
	s_delay_alu instid0(VALU_DEP_2) | instskip(NEXT) | instid1(VALU_DEP_2)
	v_add_f64_e64 v[2:3], v[30:31], -v[2:3]
	v_add_f64_e64 v[4:5], v[32:33], -v[4:5]
	scratch_store_b128 off, v[2:5], off offset:160
	v_cmpx_lt_u32_e32 8, v0
	s_cbranch_execz .LBB36_219
; %bb.218:
	scratch_load_b128 v[5:8], off, s42
	v_dual_mov_b32 v2, v1 :: v_dual_mov_b32 v3, v1
	v_mov_b32_e32 v4, v1
	scratch_store_b128 off, v[1:4], off offset:144
	s_wait_loadcnt 0x0
	ds_store_b128 v112, v[5:8]
.LBB36_219:
	s_wait_alu 0xfffe
	s_or_b32 exec_lo, exec_lo, s0
	s_wait_storecnt_dscnt 0x0
	s_barrier_signal -1
	s_barrier_wait -1
	global_inv scope:SCOPE_SE
	s_clause 0x7
	scratch_load_b128 v[2:5], off, off offset:160
	scratch_load_b128 v[6:9], off, off offset:176
	;; [unrolled: 1-line block ×8, first 2 shown]
	ds_load_b128 v[34:37], v1 offset:736
	ds_load_b128 v[117:120], v1 offset:752
	s_clause 0x1
	scratch_load_b128 v[113:116], off, off offset:288
	scratch_load_b128 v[121:124], off, off offset:304
	s_mov_b32 s0, exec_lo
	s_wait_loadcnt_dscnt 0x901
	v_mul_f64_e32 v[125:126], v[36:37], v[4:5]
	v_mul_f64_e32 v[4:5], v[34:35], v[4:5]
	s_wait_loadcnt_dscnt 0x800
	v_mul_f64_e32 v[127:128], v[117:118], v[8:9]
	v_mul_f64_e32 v[8:9], v[119:120], v[8:9]
	s_delay_alu instid0(VALU_DEP_4) | instskip(NEXT) | instid1(VALU_DEP_4)
	v_fma_f64 v[125:126], v[34:35], v[2:3], -v[125:126]
	v_fma_f64 v[129:130], v[36:37], v[2:3], v[4:5]
	scratch_load_b128 v[34:37], off, off offset:320
	ds_load_b128 v[2:5], v1 offset:768
	v_fma_f64 v[127:128], v[119:120], v[6:7], v[127:128]
	v_fma_f64 v[133:134], v[117:118], v[6:7], -v[8:9]
	ds_load_b128 v[6:9], v1 offset:784
	scratch_load_b128 v[117:120], off, off offset:336
	s_wait_loadcnt_dscnt 0x901
	v_mul_f64_e32 v[131:132], v[2:3], v[12:13]
	v_mul_f64_e32 v[12:13], v[4:5], v[12:13]
	s_wait_loadcnt_dscnt 0x800
	v_mul_f64_e32 v[135:136], v[6:7], v[16:17]
	v_mul_f64_e32 v[16:17], v[8:9], v[16:17]
	v_add_f64_e32 v[125:126], 0, v[125:126]
	v_add_f64_e32 v[129:130], 0, v[129:130]
	v_fma_f64 v[131:132], v[4:5], v[10:11], v[131:132]
	v_fma_f64 v[137:138], v[2:3], v[10:11], -v[12:13]
	ds_load_b128 v[2:5], v1 offset:800
	scratch_load_b128 v[10:13], off, off offset:352
	v_add_f64_e32 v[125:126], v[125:126], v[133:134]
	v_add_f64_e32 v[127:128], v[129:130], v[127:128]
	v_fma_f64 v[133:134], v[8:9], v[14:15], v[135:136]
	v_fma_f64 v[135:136], v[6:7], v[14:15], -v[16:17]
	ds_load_b128 v[6:9], v1 offset:816
	scratch_load_b128 v[14:17], off, off offset:368
	s_wait_loadcnt_dscnt 0x901
	v_mul_f64_e32 v[129:130], v[2:3], v[20:21]
	v_mul_f64_e32 v[20:21], v[4:5], v[20:21]
	v_add_f64_e32 v[125:126], v[125:126], v[137:138]
	v_add_f64_e32 v[127:128], v[127:128], v[131:132]
	s_wait_loadcnt_dscnt 0x800
	v_mul_f64_e32 v[131:132], v[6:7], v[24:25]
	v_mul_f64_e32 v[24:25], v[8:9], v[24:25]
	v_fma_f64 v[129:130], v[4:5], v[18:19], v[129:130]
	v_fma_f64 v[137:138], v[2:3], v[18:19], -v[20:21]
	ds_load_b128 v[2:5], v1 offset:832
	scratch_load_b128 v[18:21], off, off offset:384
	v_add_f64_e32 v[125:126], v[125:126], v[135:136]
	v_add_f64_e32 v[127:128], v[127:128], v[133:134]
	v_fma_f64 v[131:132], v[8:9], v[22:23], v[131:132]
	v_fma_f64 v[135:136], v[6:7], v[22:23], -v[24:25]
	ds_load_b128 v[6:9], v1 offset:848
	s_wait_loadcnt_dscnt 0x801
	v_mul_f64_e32 v[133:134], v[2:3], v[28:29]
	v_mul_f64_e32 v[28:29], v[4:5], v[28:29]
	scratch_load_b128 v[22:25], off, off offset:400
	v_add_f64_e32 v[125:126], v[125:126], v[137:138]
	v_add_f64_e32 v[127:128], v[127:128], v[129:130]
	s_wait_loadcnt_dscnt 0x800
	v_mul_f64_e32 v[129:130], v[6:7], v[32:33]
	v_mul_f64_e32 v[32:33], v[8:9], v[32:33]
	v_fma_f64 v[133:134], v[4:5], v[26:27], v[133:134]
	v_fma_f64 v[137:138], v[2:3], v[26:27], -v[28:29]
	ds_load_b128 v[2:5], v1 offset:864
	scratch_load_b128 v[26:29], off, off offset:416
	v_add_f64_e32 v[125:126], v[125:126], v[135:136]
	v_add_f64_e32 v[127:128], v[127:128], v[131:132]
	v_fma_f64 v[129:130], v[8:9], v[30:31], v[129:130]
	v_fma_f64 v[135:136], v[6:7], v[30:31], -v[32:33]
	ds_load_b128 v[6:9], v1 offset:880
	s_wait_loadcnt_dscnt 0x801
	v_mul_f64_e32 v[131:132], v[2:3], v[115:116]
	v_mul_f64_e32 v[115:116], v[4:5], v[115:116]
	scratch_load_b128 v[30:33], off, off offset:432
	v_add_f64_e32 v[125:126], v[125:126], v[137:138]
	v_add_f64_e32 v[127:128], v[127:128], v[133:134]
	s_wait_loadcnt_dscnt 0x800
	v_mul_f64_e32 v[133:134], v[6:7], v[123:124]
	v_mul_f64_e32 v[123:124], v[8:9], v[123:124]
	v_fma_f64 v[131:132], v[4:5], v[113:114], v[131:132]
	v_fma_f64 v[137:138], v[2:3], v[113:114], -v[115:116]
	ds_load_b128 v[2:5], v1 offset:896
	scratch_load_b128 v[113:116], off, off offset:448
	v_add_f64_e32 v[125:126], v[125:126], v[135:136]
	v_add_f64_e32 v[127:128], v[127:128], v[129:130]
	v_fma_f64 v[133:134], v[8:9], v[121:122], v[133:134]
	v_fma_f64 v[135:136], v[6:7], v[121:122], -v[123:124]
	ds_load_b128 v[6:9], v1 offset:912
	scratch_load_b128 v[121:124], off, off offset:464
	s_wait_loadcnt_dscnt 0x901
	v_mul_f64_e32 v[129:130], v[2:3], v[36:37]
	v_mul_f64_e32 v[36:37], v[4:5], v[36:37]
	v_add_f64_e32 v[125:126], v[125:126], v[137:138]
	v_add_f64_e32 v[127:128], v[127:128], v[131:132]
	s_wait_loadcnt_dscnt 0x800
	v_mul_f64_e32 v[131:132], v[6:7], v[119:120]
	v_mul_f64_e32 v[119:120], v[8:9], v[119:120]
	v_fma_f64 v[129:130], v[4:5], v[34:35], v[129:130]
	v_fma_f64 v[137:138], v[2:3], v[34:35], -v[36:37]
	scratch_load_b128 v[34:37], off, off offset:480
	ds_load_b128 v[2:5], v1 offset:928
	v_add_f64_e32 v[125:126], v[125:126], v[135:136]
	v_add_f64_e32 v[127:128], v[127:128], v[133:134]
	v_fma_f64 v[131:132], v[8:9], v[117:118], v[131:132]
	v_fma_f64 v[135:136], v[6:7], v[117:118], -v[119:120]
	ds_load_b128 v[6:9], v1 offset:944
	s_wait_loadcnt_dscnt 0x801
	v_mul_f64_e32 v[133:134], v[2:3], v[12:13]
	v_mul_f64_e32 v[12:13], v[4:5], v[12:13]
	scratch_load_b128 v[117:120], off, off offset:496
	v_add_f64_e32 v[125:126], v[125:126], v[137:138]
	v_add_f64_e32 v[127:128], v[127:128], v[129:130]
	s_wait_loadcnt_dscnt 0x800
	v_mul_f64_e32 v[129:130], v[6:7], v[16:17]
	v_mul_f64_e32 v[16:17], v[8:9], v[16:17]
	v_fma_f64 v[133:134], v[4:5], v[10:11], v[133:134]
	v_fma_f64 v[137:138], v[2:3], v[10:11], -v[12:13]
	ds_load_b128 v[2:5], v1 offset:960
	scratch_load_b128 v[10:13], off, off offset:512
	v_add_f64_e32 v[125:126], v[125:126], v[135:136]
	v_add_f64_e32 v[127:128], v[127:128], v[131:132]
	v_fma_f64 v[129:130], v[8:9], v[14:15], v[129:130]
	v_fma_f64 v[135:136], v[6:7], v[14:15], -v[16:17]
	ds_load_b128 v[6:9], v1 offset:976
	s_wait_loadcnt_dscnt 0x801
	v_mul_f64_e32 v[131:132], v[2:3], v[20:21]
	v_mul_f64_e32 v[20:21], v[4:5], v[20:21]
	scratch_load_b128 v[14:17], off, off offset:528
	v_add_f64_e32 v[125:126], v[125:126], v[137:138]
	v_add_f64_e32 v[127:128], v[127:128], v[133:134]
	s_wait_loadcnt_dscnt 0x800
	v_mul_f64_e32 v[133:134], v[6:7], v[24:25]
	v_mul_f64_e32 v[24:25], v[8:9], v[24:25]
	v_fma_f64 v[131:132], v[4:5], v[18:19], v[131:132]
	v_fma_f64 v[137:138], v[2:3], v[18:19], -v[20:21]
	ds_load_b128 v[2:5], v1 offset:992
	scratch_load_b128 v[18:21], off, off offset:544
	;; [unrolled: 18-line block ×3, first 2 shown]
	v_add_f64_e32 v[125:126], v[125:126], v[135:136]
	v_add_f64_e32 v[127:128], v[127:128], v[133:134]
	v_fma_f64 v[131:132], v[8:9], v[30:31], v[131:132]
	v_fma_f64 v[135:136], v[6:7], v[30:31], -v[32:33]
	ds_load_b128 v[6:9], v1 offset:1040
	s_wait_loadcnt_dscnt 0x801
	v_mul_f64_e32 v[133:134], v[2:3], v[115:116]
	v_mul_f64_e32 v[115:116], v[4:5], v[115:116]
	scratch_load_b128 v[30:33], off, off offset:592
	v_add_f64_e32 v[125:126], v[125:126], v[137:138]
	v_add_f64_e32 v[127:128], v[127:128], v[129:130]
	v_fma_f64 v[133:134], v[4:5], v[113:114], v[133:134]
	v_fma_f64 v[113:114], v[2:3], v[113:114], -v[115:116]
	ds_load_b128 v[2:5], v1 offset:1056
	v_add_f64_e32 v[115:116], v[125:126], v[135:136]
	v_add_f64_e32 v[125:126], v[127:128], v[131:132]
	s_wait_loadcnt_dscnt 0x700
	v_mul_f64_e32 v[127:128], v[2:3], v[36:37]
	v_mul_f64_e32 v[36:37], v[4:5], v[36:37]
	s_delay_alu instid0(VALU_DEP_4) | instskip(NEXT) | instid1(VALU_DEP_4)
	v_add_f64_e32 v[113:114], v[115:116], v[113:114]
	v_add_f64_e32 v[115:116], v[125:126], v[133:134]
	s_delay_alu instid0(VALU_DEP_4) | instskip(NEXT) | instid1(VALU_DEP_4)
	v_fma_f64 v[125:126], v[4:5], v[34:35], v[127:128]
	v_fma_f64 v[127:128], v[2:3], v[34:35], -v[36:37]
	scratch_load_b128 v[34:37], off, off offset:144
	v_mul_f64_e32 v[129:130], v[6:7], v[123:124]
	v_mul_f64_e32 v[123:124], v[8:9], v[123:124]
	ds_load_b128 v[2:5], v1 offset:1088
	v_fma_f64 v[129:130], v[8:9], v[121:122], v[129:130]
	v_fma_f64 v[121:122], v[6:7], v[121:122], -v[123:124]
	ds_load_b128 v[6:9], v1 offset:1072
	s_wait_loadcnt_dscnt 0x700
	v_mul_f64_e32 v[123:124], v[6:7], v[119:120]
	v_mul_f64_e32 v[119:120], v[8:9], v[119:120]
	v_add_f64_e32 v[115:116], v[115:116], v[129:130]
	v_add_f64_e32 v[113:114], v[113:114], v[121:122]
	s_wait_loadcnt 0x6
	v_mul_f64_e32 v[121:122], v[2:3], v[12:13]
	v_mul_f64_e32 v[12:13], v[4:5], v[12:13]
	v_fma_f64 v[123:124], v[8:9], v[117:118], v[123:124]
	v_fma_f64 v[117:118], v[6:7], v[117:118], -v[119:120]
	ds_load_b128 v[6:9], v1 offset:1104
	v_add_f64_e32 v[115:116], v[115:116], v[125:126]
	v_add_f64_e32 v[113:114], v[113:114], v[127:128]
	v_fma_f64 v[121:122], v[4:5], v[10:11], v[121:122]
	v_fma_f64 v[10:11], v[2:3], v[10:11], -v[12:13]
	ds_load_b128 v[2:5], v1 offset:1120
	s_wait_loadcnt_dscnt 0x501
	v_mul_f64_e32 v[119:120], v[6:7], v[16:17]
	v_mul_f64_e32 v[16:17], v[8:9], v[16:17]
	v_add_f64_e32 v[12:13], v[113:114], v[117:118]
	v_add_f64_e32 v[113:114], v[115:116], v[123:124]
	s_wait_loadcnt_dscnt 0x400
	v_mul_f64_e32 v[115:116], v[2:3], v[20:21]
	v_mul_f64_e32 v[20:21], v[4:5], v[20:21]
	v_fma_f64 v[117:118], v[8:9], v[14:15], v[119:120]
	v_fma_f64 v[14:15], v[6:7], v[14:15], -v[16:17]
	ds_load_b128 v[6:9], v1 offset:1136
	v_add_f64_e32 v[10:11], v[12:13], v[10:11]
	v_add_f64_e32 v[12:13], v[113:114], v[121:122]
	v_fma_f64 v[113:114], v[4:5], v[18:19], v[115:116]
	v_fma_f64 v[18:19], v[2:3], v[18:19], -v[20:21]
	ds_load_b128 v[2:5], v1 offset:1152
	s_wait_loadcnt_dscnt 0x301
	v_mul_f64_e32 v[16:17], v[6:7], v[24:25]
	v_mul_f64_e32 v[24:25], v[8:9], v[24:25]
	s_wait_loadcnt_dscnt 0x200
	v_mul_f64_e32 v[20:21], v[4:5], v[28:29]
	v_add_f64_e32 v[10:11], v[10:11], v[14:15]
	v_add_f64_e32 v[12:13], v[12:13], v[117:118]
	v_mul_f64_e32 v[14:15], v[2:3], v[28:29]
	v_fma_f64 v[16:17], v[8:9], v[22:23], v[16:17]
	v_fma_f64 v[22:23], v[6:7], v[22:23], -v[24:25]
	ds_load_b128 v[6:9], v1 offset:1168
	v_fma_f64 v[1:2], v[2:3], v[26:27], -v[20:21]
	s_wait_loadcnt_dscnt 0x100
	v_mul_f64_e32 v[24:25], v[8:9], v[32:33]
	v_add_f64_e32 v[10:11], v[10:11], v[18:19]
	v_add_f64_e32 v[12:13], v[12:13], v[113:114]
	v_mul_f64_e32 v[18:19], v[6:7], v[32:33]
	v_fma_f64 v[4:5], v[4:5], v[26:27], v[14:15]
	v_fma_f64 v[6:7], v[6:7], v[30:31], -v[24:25]
	v_add_f64_e32 v[10:11], v[10:11], v[22:23]
	v_add_f64_e32 v[12:13], v[12:13], v[16:17]
	v_fma_f64 v[8:9], v[8:9], v[30:31], v[18:19]
	s_delay_alu instid0(VALU_DEP_3) | instskip(NEXT) | instid1(VALU_DEP_3)
	v_add_f64_e32 v[1:2], v[10:11], v[1:2]
	v_add_f64_e32 v[3:4], v[12:13], v[4:5]
	s_delay_alu instid0(VALU_DEP_2) | instskip(NEXT) | instid1(VALU_DEP_2)
	v_add_f64_e32 v[1:2], v[1:2], v[6:7]
	v_add_f64_e32 v[3:4], v[3:4], v[8:9]
	s_wait_loadcnt 0x0
	s_delay_alu instid0(VALU_DEP_2) | instskip(NEXT) | instid1(VALU_DEP_2)
	v_add_f64_e64 v[1:2], v[34:35], -v[1:2]
	v_add_f64_e64 v[3:4], v[36:37], -v[3:4]
	scratch_store_b128 off, v[1:4], off offset:144
	v_cmpx_lt_u32_e32 7, v0
	s_cbranch_execz .LBB36_221
; %bb.220:
	scratch_load_b128 v[1:4], off, s43
	v_mov_b32_e32 v5, 0
	s_delay_alu instid0(VALU_DEP_1)
	v_dual_mov_b32 v6, v5 :: v_dual_mov_b32 v7, v5
	v_mov_b32_e32 v8, v5
	scratch_store_b128 off, v[5:8], off offset:128
	s_wait_loadcnt 0x0
	ds_store_b128 v112, v[1:4]
.LBB36_221:
	s_wait_alu 0xfffe
	s_or_b32 exec_lo, exec_lo, s0
	s_wait_storecnt_dscnt 0x0
	s_barrier_signal -1
	s_barrier_wait -1
	global_inv scope:SCOPE_SE
	s_clause 0x7
	scratch_load_b128 v[2:5], off, off offset:144
	scratch_load_b128 v[6:9], off, off offset:160
	;; [unrolled: 1-line block ×8, first 2 shown]
	v_mov_b32_e32 v1, 0
	s_clause 0x1
	scratch_load_b128 v[113:116], off, off offset:272
	scratch_load_b128 v[121:124], off, off offset:288
	s_mov_b32 s0, exec_lo
	ds_load_b128 v[34:37], v1 offset:720
	ds_load_b128 v[117:120], v1 offset:736
	s_wait_loadcnt_dscnt 0x901
	v_mul_f64_e32 v[125:126], v[36:37], v[4:5]
	v_mul_f64_e32 v[4:5], v[34:35], v[4:5]
	s_wait_loadcnt_dscnt 0x800
	v_mul_f64_e32 v[127:128], v[117:118], v[8:9]
	v_mul_f64_e32 v[8:9], v[119:120], v[8:9]
	s_delay_alu instid0(VALU_DEP_4) | instskip(NEXT) | instid1(VALU_DEP_4)
	v_fma_f64 v[125:126], v[34:35], v[2:3], -v[125:126]
	v_fma_f64 v[129:130], v[36:37], v[2:3], v[4:5]
	ds_load_b128 v[2:5], v1 offset:752
	scratch_load_b128 v[34:37], off, off offset:304
	v_fma_f64 v[127:128], v[119:120], v[6:7], v[127:128]
	v_fma_f64 v[133:134], v[117:118], v[6:7], -v[8:9]
	ds_load_b128 v[6:9], v1 offset:768
	scratch_load_b128 v[117:120], off, off offset:320
	s_wait_loadcnt_dscnt 0x901
	v_mul_f64_e32 v[131:132], v[2:3], v[12:13]
	v_mul_f64_e32 v[12:13], v[4:5], v[12:13]
	s_wait_loadcnt_dscnt 0x800
	v_mul_f64_e32 v[135:136], v[6:7], v[16:17]
	v_mul_f64_e32 v[16:17], v[8:9], v[16:17]
	v_add_f64_e32 v[125:126], 0, v[125:126]
	v_add_f64_e32 v[129:130], 0, v[129:130]
	v_fma_f64 v[131:132], v[4:5], v[10:11], v[131:132]
	v_fma_f64 v[137:138], v[2:3], v[10:11], -v[12:13]
	ds_load_b128 v[2:5], v1 offset:784
	scratch_load_b128 v[10:13], off, off offset:336
	v_add_f64_e32 v[125:126], v[125:126], v[133:134]
	v_add_f64_e32 v[127:128], v[129:130], v[127:128]
	v_fma_f64 v[133:134], v[8:9], v[14:15], v[135:136]
	v_fma_f64 v[135:136], v[6:7], v[14:15], -v[16:17]
	ds_load_b128 v[6:9], v1 offset:800
	scratch_load_b128 v[14:17], off, off offset:352
	s_wait_loadcnt_dscnt 0x901
	v_mul_f64_e32 v[129:130], v[2:3], v[20:21]
	v_mul_f64_e32 v[20:21], v[4:5], v[20:21]
	v_add_f64_e32 v[125:126], v[125:126], v[137:138]
	v_add_f64_e32 v[127:128], v[127:128], v[131:132]
	s_wait_loadcnt_dscnt 0x800
	v_mul_f64_e32 v[131:132], v[6:7], v[24:25]
	v_mul_f64_e32 v[24:25], v[8:9], v[24:25]
	v_fma_f64 v[129:130], v[4:5], v[18:19], v[129:130]
	v_fma_f64 v[137:138], v[2:3], v[18:19], -v[20:21]
	ds_load_b128 v[2:5], v1 offset:816
	scratch_load_b128 v[18:21], off, off offset:368
	v_add_f64_e32 v[125:126], v[125:126], v[135:136]
	v_add_f64_e32 v[127:128], v[127:128], v[133:134]
	v_fma_f64 v[131:132], v[8:9], v[22:23], v[131:132]
	v_fma_f64 v[135:136], v[6:7], v[22:23], -v[24:25]
	ds_load_b128 v[6:9], v1 offset:832
	s_wait_loadcnt_dscnt 0x801
	v_mul_f64_e32 v[133:134], v[2:3], v[28:29]
	v_mul_f64_e32 v[28:29], v[4:5], v[28:29]
	scratch_load_b128 v[22:25], off, off offset:384
	v_add_f64_e32 v[125:126], v[125:126], v[137:138]
	v_add_f64_e32 v[127:128], v[127:128], v[129:130]
	s_wait_loadcnt_dscnt 0x800
	v_mul_f64_e32 v[129:130], v[6:7], v[32:33]
	v_mul_f64_e32 v[32:33], v[8:9], v[32:33]
	v_fma_f64 v[133:134], v[4:5], v[26:27], v[133:134]
	v_fma_f64 v[137:138], v[2:3], v[26:27], -v[28:29]
	ds_load_b128 v[2:5], v1 offset:848
	scratch_load_b128 v[26:29], off, off offset:400
	v_add_f64_e32 v[125:126], v[125:126], v[135:136]
	v_add_f64_e32 v[127:128], v[127:128], v[131:132]
	v_fma_f64 v[129:130], v[8:9], v[30:31], v[129:130]
	v_fma_f64 v[135:136], v[6:7], v[30:31], -v[32:33]
	ds_load_b128 v[6:9], v1 offset:864
	s_wait_loadcnt_dscnt 0x801
	v_mul_f64_e32 v[131:132], v[2:3], v[115:116]
	v_mul_f64_e32 v[115:116], v[4:5], v[115:116]
	scratch_load_b128 v[30:33], off, off offset:416
	v_add_f64_e32 v[125:126], v[125:126], v[137:138]
	v_add_f64_e32 v[127:128], v[127:128], v[133:134]
	s_wait_loadcnt_dscnt 0x800
	v_mul_f64_e32 v[133:134], v[6:7], v[123:124]
	v_mul_f64_e32 v[123:124], v[8:9], v[123:124]
	v_fma_f64 v[131:132], v[4:5], v[113:114], v[131:132]
	v_fma_f64 v[137:138], v[2:3], v[113:114], -v[115:116]
	ds_load_b128 v[2:5], v1 offset:880
	scratch_load_b128 v[113:116], off, off offset:432
	v_add_f64_e32 v[125:126], v[125:126], v[135:136]
	v_add_f64_e32 v[127:128], v[127:128], v[129:130]
	v_fma_f64 v[133:134], v[8:9], v[121:122], v[133:134]
	v_fma_f64 v[135:136], v[6:7], v[121:122], -v[123:124]
	ds_load_b128 v[6:9], v1 offset:896
	scratch_load_b128 v[121:124], off, off offset:448
	s_wait_loadcnt_dscnt 0x901
	v_mul_f64_e32 v[129:130], v[2:3], v[36:37]
	v_mul_f64_e32 v[36:37], v[4:5], v[36:37]
	v_add_f64_e32 v[125:126], v[125:126], v[137:138]
	v_add_f64_e32 v[127:128], v[127:128], v[131:132]
	s_wait_loadcnt_dscnt 0x800
	v_mul_f64_e32 v[131:132], v[6:7], v[119:120]
	v_mul_f64_e32 v[119:120], v[8:9], v[119:120]
	v_fma_f64 v[129:130], v[4:5], v[34:35], v[129:130]
	v_fma_f64 v[137:138], v[2:3], v[34:35], -v[36:37]
	ds_load_b128 v[2:5], v1 offset:912
	scratch_load_b128 v[34:37], off, off offset:464
	v_add_f64_e32 v[125:126], v[125:126], v[135:136]
	v_add_f64_e32 v[127:128], v[127:128], v[133:134]
	v_fma_f64 v[131:132], v[8:9], v[117:118], v[131:132]
	v_fma_f64 v[135:136], v[6:7], v[117:118], -v[119:120]
	ds_load_b128 v[6:9], v1 offset:928
	s_wait_loadcnt_dscnt 0x801
	v_mul_f64_e32 v[133:134], v[2:3], v[12:13]
	v_mul_f64_e32 v[12:13], v[4:5], v[12:13]
	scratch_load_b128 v[117:120], off, off offset:480
	v_add_f64_e32 v[125:126], v[125:126], v[137:138]
	v_add_f64_e32 v[127:128], v[127:128], v[129:130]
	s_wait_loadcnt_dscnt 0x800
	v_mul_f64_e32 v[129:130], v[6:7], v[16:17]
	v_mul_f64_e32 v[16:17], v[8:9], v[16:17]
	v_fma_f64 v[133:134], v[4:5], v[10:11], v[133:134]
	v_fma_f64 v[137:138], v[2:3], v[10:11], -v[12:13]
	ds_load_b128 v[2:5], v1 offset:944
	scratch_load_b128 v[10:13], off, off offset:496
	v_add_f64_e32 v[125:126], v[125:126], v[135:136]
	v_add_f64_e32 v[127:128], v[127:128], v[131:132]
	v_fma_f64 v[129:130], v[8:9], v[14:15], v[129:130]
	v_fma_f64 v[135:136], v[6:7], v[14:15], -v[16:17]
	ds_load_b128 v[6:9], v1 offset:960
	s_wait_loadcnt_dscnt 0x801
	v_mul_f64_e32 v[131:132], v[2:3], v[20:21]
	v_mul_f64_e32 v[20:21], v[4:5], v[20:21]
	scratch_load_b128 v[14:17], off, off offset:512
	;; [unrolled: 18-line block ×4, first 2 shown]
	v_add_f64_e32 v[125:126], v[125:126], v[137:138]
	v_add_f64_e32 v[127:128], v[127:128], v[129:130]
	s_wait_loadcnt_dscnt 0x800
	v_mul_f64_e32 v[129:130], v[6:7], v[123:124]
	v_mul_f64_e32 v[123:124], v[8:9], v[123:124]
	v_fma_f64 v[133:134], v[4:5], v[113:114], v[133:134]
	v_fma_f64 v[137:138], v[2:3], v[113:114], -v[115:116]
	ds_load_b128 v[2:5], v1 offset:1040
	scratch_load_b128 v[113:116], off, off offset:592
	v_add_f64_e32 v[125:126], v[125:126], v[135:136]
	v_add_f64_e32 v[127:128], v[127:128], v[131:132]
	v_fma_f64 v[129:130], v[8:9], v[121:122], v[129:130]
	v_fma_f64 v[121:122], v[6:7], v[121:122], -v[123:124]
	ds_load_b128 v[6:9], v1 offset:1056
	s_wait_loadcnt_dscnt 0x801
	v_mul_f64_e32 v[131:132], v[2:3], v[36:37]
	v_mul_f64_e32 v[36:37], v[4:5], v[36:37]
	v_add_f64_e32 v[123:124], v[125:126], v[137:138]
	v_add_f64_e32 v[125:126], v[127:128], v[133:134]
	s_wait_loadcnt_dscnt 0x700
	v_mul_f64_e32 v[127:128], v[6:7], v[119:120]
	v_mul_f64_e32 v[119:120], v[8:9], v[119:120]
	v_fma_f64 v[131:132], v[4:5], v[34:35], v[131:132]
	v_fma_f64 v[34:35], v[2:3], v[34:35], -v[36:37]
	ds_load_b128 v[2:5], v1 offset:1072
	v_add_f64_e32 v[36:37], v[123:124], v[121:122]
	v_add_f64_e32 v[121:122], v[125:126], v[129:130]
	v_fma_f64 v[125:126], v[8:9], v[117:118], v[127:128]
	v_fma_f64 v[117:118], v[6:7], v[117:118], -v[119:120]
	ds_load_b128 v[6:9], v1 offset:1088
	s_wait_loadcnt_dscnt 0x500
	v_mul_f64_e32 v[127:128], v[6:7], v[16:17]
	v_mul_f64_e32 v[16:17], v[8:9], v[16:17]
	v_add_f64_e32 v[119:120], v[36:37], v[34:35]
	v_add_f64_e32 v[121:122], v[121:122], v[131:132]
	scratch_load_b128 v[34:37], off, off offset:128
	v_mul_f64_e32 v[123:124], v[2:3], v[12:13]
	v_mul_f64_e32 v[12:13], v[4:5], v[12:13]
	s_delay_alu instid0(VALU_DEP_2) | instskip(NEXT) | instid1(VALU_DEP_2)
	v_fma_f64 v[123:124], v[4:5], v[10:11], v[123:124]
	v_fma_f64 v[10:11], v[2:3], v[10:11], -v[12:13]
	v_add_f64_e32 v[12:13], v[119:120], v[117:118]
	v_add_f64_e32 v[117:118], v[121:122], v[125:126]
	ds_load_b128 v[2:5], v1 offset:1104
	v_fma_f64 v[121:122], v[8:9], v[14:15], v[127:128]
	v_fma_f64 v[14:15], v[6:7], v[14:15], -v[16:17]
	ds_load_b128 v[6:9], v1 offset:1120
	s_wait_loadcnt_dscnt 0x501
	v_mul_f64_e32 v[119:120], v[2:3], v[20:21]
	v_mul_f64_e32 v[20:21], v[4:5], v[20:21]
	s_wait_loadcnt_dscnt 0x400
	v_mul_f64_e32 v[16:17], v[6:7], v[24:25]
	v_mul_f64_e32 v[24:25], v[8:9], v[24:25]
	v_add_f64_e32 v[10:11], v[12:13], v[10:11]
	v_add_f64_e32 v[12:13], v[117:118], v[123:124]
	v_fma_f64 v[117:118], v[4:5], v[18:19], v[119:120]
	v_fma_f64 v[18:19], v[2:3], v[18:19], -v[20:21]
	ds_load_b128 v[2:5], v1 offset:1136
	v_fma_f64 v[16:17], v[8:9], v[22:23], v[16:17]
	v_fma_f64 v[22:23], v[6:7], v[22:23], -v[24:25]
	ds_load_b128 v[6:9], v1 offset:1152
	v_add_f64_e32 v[10:11], v[10:11], v[14:15]
	v_add_f64_e32 v[12:13], v[12:13], v[121:122]
	s_wait_loadcnt_dscnt 0x301
	v_mul_f64_e32 v[14:15], v[2:3], v[28:29]
	v_mul_f64_e32 v[20:21], v[4:5], v[28:29]
	s_wait_loadcnt_dscnt 0x200
	v_mul_f64_e32 v[24:25], v[8:9], v[32:33]
	v_add_f64_e32 v[10:11], v[10:11], v[18:19]
	v_add_f64_e32 v[12:13], v[12:13], v[117:118]
	v_mul_f64_e32 v[18:19], v[6:7], v[32:33]
	v_fma_f64 v[14:15], v[4:5], v[26:27], v[14:15]
	v_fma_f64 v[20:21], v[2:3], v[26:27], -v[20:21]
	ds_load_b128 v[2:5], v1 offset:1168
	v_fma_f64 v[6:7], v[6:7], v[30:31], -v[24:25]
	v_add_f64_e32 v[10:11], v[10:11], v[22:23]
	v_add_f64_e32 v[12:13], v[12:13], v[16:17]
	s_wait_loadcnt_dscnt 0x100
	v_mul_f64_e32 v[16:17], v[2:3], v[115:116]
	v_mul_f64_e32 v[22:23], v[4:5], v[115:116]
	v_fma_f64 v[8:9], v[8:9], v[30:31], v[18:19]
	v_add_f64_e32 v[10:11], v[10:11], v[20:21]
	v_add_f64_e32 v[12:13], v[12:13], v[14:15]
	v_fma_f64 v[4:5], v[4:5], v[113:114], v[16:17]
	v_fma_f64 v[2:3], v[2:3], v[113:114], -v[22:23]
	s_delay_alu instid0(VALU_DEP_4) | instskip(NEXT) | instid1(VALU_DEP_4)
	v_add_f64_e32 v[6:7], v[10:11], v[6:7]
	v_add_f64_e32 v[8:9], v[12:13], v[8:9]
	s_delay_alu instid0(VALU_DEP_2) | instskip(NEXT) | instid1(VALU_DEP_2)
	v_add_f64_e32 v[2:3], v[6:7], v[2:3]
	v_add_f64_e32 v[4:5], v[8:9], v[4:5]
	s_wait_loadcnt 0x0
	s_delay_alu instid0(VALU_DEP_2) | instskip(NEXT) | instid1(VALU_DEP_2)
	v_add_f64_e64 v[2:3], v[34:35], -v[2:3]
	v_add_f64_e64 v[4:5], v[36:37], -v[4:5]
	scratch_store_b128 off, v[2:5], off offset:128
	v_cmpx_lt_u32_e32 6, v0
	s_cbranch_execz .LBB36_223
; %bb.222:
	scratch_load_b128 v[5:8], off, s44
	v_dual_mov_b32 v2, v1 :: v_dual_mov_b32 v3, v1
	v_mov_b32_e32 v4, v1
	scratch_store_b128 off, v[1:4], off offset:112
	s_wait_loadcnt 0x0
	ds_store_b128 v112, v[5:8]
.LBB36_223:
	s_wait_alu 0xfffe
	s_or_b32 exec_lo, exec_lo, s0
	s_wait_storecnt_dscnt 0x0
	s_barrier_signal -1
	s_barrier_wait -1
	global_inv scope:SCOPE_SE
	s_clause 0x7
	scratch_load_b128 v[2:5], off, off offset:128
	scratch_load_b128 v[6:9], off, off offset:144
	;; [unrolled: 1-line block ×8, first 2 shown]
	ds_load_b128 v[34:37], v1 offset:704
	ds_load_b128 v[117:120], v1 offset:720
	s_clause 0x1
	scratch_load_b128 v[113:116], off, off offset:256
	scratch_load_b128 v[121:124], off, off offset:272
	s_mov_b32 s0, exec_lo
	s_wait_loadcnt_dscnt 0x901
	v_mul_f64_e32 v[125:126], v[36:37], v[4:5]
	v_mul_f64_e32 v[4:5], v[34:35], v[4:5]
	s_wait_loadcnt_dscnt 0x800
	v_mul_f64_e32 v[127:128], v[117:118], v[8:9]
	v_mul_f64_e32 v[8:9], v[119:120], v[8:9]
	s_delay_alu instid0(VALU_DEP_4) | instskip(NEXT) | instid1(VALU_DEP_4)
	v_fma_f64 v[125:126], v[34:35], v[2:3], -v[125:126]
	v_fma_f64 v[129:130], v[36:37], v[2:3], v[4:5]
	ds_load_b128 v[2:5], v1 offset:736
	scratch_load_b128 v[34:37], off, off offset:288
	v_fma_f64 v[127:128], v[119:120], v[6:7], v[127:128]
	v_fma_f64 v[133:134], v[117:118], v[6:7], -v[8:9]
	ds_load_b128 v[6:9], v1 offset:752
	scratch_load_b128 v[117:120], off, off offset:304
	s_wait_loadcnt_dscnt 0x901
	v_mul_f64_e32 v[131:132], v[2:3], v[12:13]
	v_mul_f64_e32 v[12:13], v[4:5], v[12:13]
	s_wait_loadcnt_dscnt 0x800
	v_mul_f64_e32 v[135:136], v[6:7], v[16:17]
	v_mul_f64_e32 v[16:17], v[8:9], v[16:17]
	v_add_f64_e32 v[125:126], 0, v[125:126]
	v_add_f64_e32 v[129:130], 0, v[129:130]
	v_fma_f64 v[131:132], v[4:5], v[10:11], v[131:132]
	v_fma_f64 v[137:138], v[2:3], v[10:11], -v[12:13]
	scratch_load_b128 v[10:13], off, off offset:320
	ds_load_b128 v[2:5], v1 offset:768
	v_add_f64_e32 v[125:126], v[125:126], v[133:134]
	v_add_f64_e32 v[127:128], v[129:130], v[127:128]
	v_fma_f64 v[133:134], v[8:9], v[14:15], v[135:136]
	v_fma_f64 v[135:136], v[6:7], v[14:15], -v[16:17]
	ds_load_b128 v[6:9], v1 offset:784
	scratch_load_b128 v[14:17], off, off offset:336
	s_wait_loadcnt_dscnt 0x901
	v_mul_f64_e32 v[129:130], v[2:3], v[20:21]
	v_mul_f64_e32 v[20:21], v[4:5], v[20:21]
	v_add_f64_e32 v[125:126], v[125:126], v[137:138]
	v_add_f64_e32 v[127:128], v[127:128], v[131:132]
	s_wait_loadcnt_dscnt 0x800
	v_mul_f64_e32 v[131:132], v[6:7], v[24:25]
	v_mul_f64_e32 v[24:25], v[8:9], v[24:25]
	v_fma_f64 v[129:130], v[4:5], v[18:19], v[129:130]
	v_fma_f64 v[137:138], v[2:3], v[18:19], -v[20:21]
	ds_load_b128 v[2:5], v1 offset:800
	scratch_load_b128 v[18:21], off, off offset:352
	v_add_f64_e32 v[125:126], v[125:126], v[135:136]
	v_add_f64_e32 v[127:128], v[127:128], v[133:134]
	v_fma_f64 v[131:132], v[8:9], v[22:23], v[131:132]
	v_fma_f64 v[135:136], v[6:7], v[22:23], -v[24:25]
	ds_load_b128 v[6:9], v1 offset:816
	s_wait_loadcnt_dscnt 0x801
	v_mul_f64_e32 v[133:134], v[2:3], v[28:29]
	v_mul_f64_e32 v[28:29], v[4:5], v[28:29]
	scratch_load_b128 v[22:25], off, off offset:368
	v_add_f64_e32 v[125:126], v[125:126], v[137:138]
	v_add_f64_e32 v[127:128], v[127:128], v[129:130]
	s_wait_loadcnt_dscnt 0x800
	v_mul_f64_e32 v[129:130], v[6:7], v[32:33]
	v_mul_f64_e32 v[32:33], v[8:9], v[32:33]
	v_fma_f64 v[133:134], v[4:5], v[26:27], v[133:134]
	v_fma_f64 v[137:138], v[2:3], v[26:27], -v[28:29]
	ds_load_b128 v[2:5], v1 offset:832
	scratch_load_b128 v[26:29], off, off offset:384
	v_add_f64_e32 v[125:126], v[125:126], v[135:136]
	v_add_f64_e32 v[127:128], v[127:128], v[131:132]
	v_fma_f64 v[129:130], v[8:9], v[30:31], v[129:130]
	v_fma_f64 v[135:136], v[6:7], v[30:31], -v[32:33]
	ds_load_b128 v[6:9], v1 offset:848
	s_wait_loadcnt_dscnt 0x801
	v_mul_f64_e32 v[131:132], v[2:3], v[115:116]
	v_mul_f64_e32 v[115:116], v[4:5], v[115:116]
	scratch_load_b128 v[30:33], off, off offset:400
	v_add_f64_e32 v[125:126], v[125:126], v[137:138]
	v_add_f64_e32 v[127:128], v[127:128], v[133:134]
	s_wait_loadcnt_dscnt 0x800
	v_mul_f64_e32 v[133:134], v[6:7], v[123:124]
	v_mul_f64_e32 v[123:124], v[8:9], v[123:124]
	v_fma_f64 v[131:132], v[4:5], v[113:114], v[131:132]
	v_fma_f64 v[137:138], v[2:3], v[113:114], -v[115:116]
	ds_load_b128 v[2:5], v1 offset:864
	scratch_load_b128 v[113:116], off, off offset:416
	v_add_f64_e32 v[125:126], v[125:126], v[135:136]
	v_add_f64_e32 v[127:128], v[127:128], v[129:130]
	v_fma_f64 v[133:134], v[8:9], v[121:122], v[133:134]
	v_fma_f64 v[135:136], v[6:7], v[121:122], -v[123:124]
	ds_load_b128 v[6:9], v1 offset:880
	scratch_load_b128 v[121:124], off, off offset:432
	s_wait_loadcnt_dscnt 0x901
	v_mul_f64_e32 v[129:130], v[2:3], v[36:37]
	v_mul_f64_e32 v[36:37], v[4:5], v[36:37]
	v_add_f64_e32 v[125:126], v[125:126], v[137:138]
	v_add_f64_e32 v[127:128], v[127:128], v[131:132]
	s_wait_loadcnt_dscnt 0x800
	v_mul_f64_e32 v[131:132], v[6:7], v[119:120]
	v_mul_f64_e32 v[119:120], v[8:9], v[119:120]
	v_fma_f64 v[129:130], v[4:5], v[34:35], v[129:130]
	v_fma_f64 v[137:138], v[2:3], v[34:35], -v[36:37]
	ds_load_b128 v[2:5], v1 offset:896
	scratch_load_b128 v[34:37], off, off offset:448
	v_add_f64_e32 v[125:126], v[125:126], v[135:136]
	v_add_f64_e32 v[127:128], v[127:128], v[133:134]
	v_fma_f64 v[131:132], v[8:9], v[117:118], v[131:132]
	v_fma_f64 v[135:136], v[6:7], v[117:118], -v[119:120]
	ds_load_b128 v[6:9], v1 offset:912
	s_wait_loadcnt_dscnt 0x801
	v_mul_f64_e32 v[133:134], v[2:3], v[12:13]
	v_mul_f64_e32 v[12:13], v[4:5], v[12:13]
	scratch_load_b128 v[117:120], off, off offset:464
	v_add_f64_e32 v[125:126], v[125:126], v[137:138]
	v_add_f64_e32 v[127:128], v[127:128], v[129:130]
	s_wait_loadcnt_dscnt 0x800
	v_mul_f64_e32 v[129:130], v[6:7], v[16:17]
	v_mul_f64_e32 v[16:17], v[8:9], v[16:17]
	v_fma_f64 v[133:134], v[4:5], v[10:11], v[133:134]
	v_fma_f64 v[137:138], v[2:3], v[10:11], -v[12:13]
	scratch_load_b128 v[10:13], off, off offset:480
	ds_load_b128 v[2:5], v1 offset:928
	v_add_f64_e32 v[125:126], v[125:126], v[135:136]
	v_add_f64_e32 v[127:128], v[127:128], v[131:132]
	v_fma_f64 v[129:130], v[8:9], v[14:15], v[129:130]
	v_fma_f64 v[135:136], v[6:7], v[14:15], -v[16:17]
	ds_load_b128 v[6:9], v1 offset:944
	s_wait_loadcnt_dscnt 0x801
	v_mul_f64_e32 v[131:132], v[2:3], v[20:21]
	v_mul_f64_e32 v[20:21], v[4:5], v[20:21]
	scratch_load_b128 v[14:17], off, off offset:496
	v_add_f64_e32 v[125:126], v[125:126], v[137:138]
	v_add_f64_e32 v[127:128], v[127:128], v[133:134]
	s_wait_loadcnt_dscnt 0x800
	v_mul_f64_e32 v[133:134], v[6:7], v[24:25]
	v_mul_f64_e32 v[24:25], v[8:9], v[24:25]
	v_fma_f64 v[131:132], v[4:5], v[18:19], v[131:132]
	v_fma_f64 v[137:138], v[2:3], v[18:19], -v[20:21]
	ds_load_b128 v[2:5], v1 offset:960
	scratch_load_b128 v[18:21], off, off offset:512
	v_add_f64_e32 v[125:126], v[125:126], v[135:136]
	v_add_f64_e32 v[127:128], v[127:128], v[129:130]
	v_fma_f64 v[133:134], v[8:9], v[22:23], v[133:134]
	v_fma_f64 v[135:136], v[6:7], v[22:23], -v[24:25]
	ds_load_b128 v[6:9], v1 offset:976
	s_wait_loadcnt_dscnt 0x801
	v_mul_f64_e32 v[129:130], v[2:3], v[28:29]
	v_mul_f64_e32 v[28:29], v[4:5], v[28:29]
	scratch_load_b128 v[22:25], off, off offset:528
	v_add_f64_e32 v[125:126], v[125:126], v[137:138]
	v_add_f64_e32 v[127:128], v[127:128], v[131:132]
	s_wait_loadcnt_dscnt 0x800
	v_mul_f64_e32 v[131:132], v[6:7], v[32:33]
	v_mul_f64_e32 v[32:33], v[8:9], v[32:33]
	v_fma_f64 v[129:130], v[4:5], v[26:27], v[129:130]
	v_fma_f64 v[137:138], v[2:3], v[26:27], -v[28:29]
	ds_load_b128 v[2:5], v1 offset:992
	scratch_load_b128 v[26:29], off, off offset:544
	;; [unrolled: 18-line block ×3, first 2 shown]
	v_add_f64_e32 v[125:126], v[125:126], v[135:136]
	v_add_f64_e32 v[127:128], v[127:128], v[131:132]
	v_fma_f64 v[129:130], v[8:9], v[121:122], v[129:130]
	v_fma_f64 v[135:136], v[6:7], v[121:122], -v[123:124]
	ds_load_b128 v[6:9], v1 offset:1040
	s_wait_loadcnt_dscnt 0x801
	v_mul_f64_e32 v[131:132], v[2:3], v[36:37]
	v_mul_f64_e32 v[36:37], v[4:5], v[36:37]
	scratch_load_b128 v[121:124], off, off offset:592
	v_add_f64_e32 v[125:126], v[125:126], v[137:138]
	v_add_f64_e32 v[127:128], v[127:128], v[133:134]
	v_fma_f64 v[131:132], v[4:5], v[34:35], v[131:132]
	v_fma_f64 v[34:35], v[2:3], v[34:35], -v[36:37]
	ds_load_b128 v[2:5], v1 offset:1056
	v_add_f64_e32 v[36:37], v[125:126], v[135:136]
	v_add_f64_e32 v[125:126], v[127:128], v[129:130]
	s_wait_loadcnt_dscnt 0x700
	v_mul_f64_e32 v[127:128], v[2:3], v[12:13]
	v_mul_f64_e32 v[12:13], v[4:5], v[12:13]
	s_delay_alu instid0(VALU_DEP_4) | instskip(NEXT) | instid1(VALU_DEP_4)
	v_add_f64_e32 v[34:35], v[36:37], v[34:35]
	v_add_f64_e32 v[36:37], v[125:126], v[131:132]
	s_delay_alu instid0(VALU_DEP_4) | instskip(NEXT) | instid1(VALU_DEP_4)
	v_fma_f64 v[125:126], v[4:5], v[10:11], v[127:128]
	v_fma_f64 v[127:128], v[2:3], v[10:11], -v[12:13]
	scratch_load_b128 v[10:13], off, off offset:112
	v_mul_f64_e32 v[133:134], v[6:7], v[119:120]
	v_mul_f64_e32 v[119:120], v[8:9], v[119:120]
	ds_load_b128 v[2:5], v1 offset:1088
	v_fma_f64 v[129:130], v[8:9], v[117:118], v[133:134]
	v_fma_f64 v[117:118], v[6:7], v[117:118], -v[119:120]
	ds_load_b128 v[6:9], v1 offset:1072
	s_wait_loadcnt_dscnt 0x700
	v_mul_f64_e32 v[119:120], v[6:7], v[16:17]
	v_mul_f64_e32 v[16:17], v[8:9], v[16:17]
	v_add_f64_e32 v[36:37], v[36:37], v[129:130]
	v_add_f64_e32 v[34:35], v[34:35], v[117:118]
	s_wait_loadcnt 0x6
	v_mul_f64_e32 v[117:118], v[2:3], v[20:21]
	v_mul_f64_e32 v[20:21], v[4:5], v[20:21]
	v_fma_f64 v[119:120], v[8:9], v[14:15], v[119:120]
	v_fma_f64 v[14:15], v[6:7], v[14:15], -v[16:17]
	ds_load_b128 v[6:9], v1 offset:1104
	v_add_f64_e32 v[16:17], v[34:35], v[127:128]
	v_add_f64_e32 v[34:35], v[36:37], v[125:126]
	v_fma_f64 v[117:118], v[4:5], v[18:19], v[117:118]
	v_fma_f64 v[18:19], v[2:3], v[18:19], -v[20:21]
	ds_load_b128 v[2:5], v1 offset:1120
	s_wait_loadcnt_dscnt 0x501
	v_mul_f64_e32 v[36:37], v[6:7], v[24:25]
	v_mul_f64_e32 v[24:25], v[8:9], v[24:25]
	s_wait_loadcnt_dscnt 0x400
	v_mul_f64_e32 v[20:21], v[2:3], v[28:29]
	v_mul_f64_e32 v[28:29], v[4:5], v[28:29]
	v_add_f64_e32 v[14:15], v[16:17], v[14:15]
	v_add_f64_e32 v[16:17], v[34:35], v[119:120]
	v_fma_f64 v[34:35], v[8:9], v[22:23], v[36:37]
	v_fma_f64 v[22:23], v[6:7], v[22:23], -v[24:25]
	ds_load_b128 v[6:9], v1 offset:1136
	v_fma_f64 v[20:21], v[4:5], v[26:27], v[20:21]
	v_fma_f64 v[26:27], v[2:3], v[26:27], -v[28:29]
	ds_load_b128 v[2:5], v1 offset:1152
	s_wait_loadcnt_dscnt 0x301
	v_mul_f64_e32 v[24:25], v[8:9], v[32:33]
	v_add_f64_e32 v[14:15], v[14:15], v[18:19]
	v_add_f64_e32 v[16:17], v[16:17], v[117:118]
	v_mul_f64_e32 v[18:19], v[6:7], v[32:33]
	s_wait_loadcnt_dscnt 0x200
	v_mul_f64_e32 v[28:29], v[4:5], v[115:116]
	v_fma_f64 v[24:25], v[6:7], v[30:31], -v[24:25]
	v_add_f64_e32 v[14:15], v[14:15], v[22:23]
	v_add_f64_e32 v[16:17], v[16:17], v[34:35]
	v_mul_f64_e32 v[22:23], v[2:3], v[115:116]
	v_fma_f64 v[18:19], v[8:9], v[30:31], v[18:19]
	ds_load_b128 v[6:9], v1 offset:1168
	v_fma_f64 v[1:2], v[2:3], v[113:114], -v[28:29]
	v_add_f64_e32 v[14:15], v[14:15], v[26:27]
	v_add_f64_e32 v[16:17], v[16:17], v[20:21]
	s_wait_loadcnt_dscnt 0x100
	v_mul_f64_e32 v[20:21], v[6:7], v[123:124]
	v_mul_f64_e32 v[26:27], v[8:9], v[123:124]
	v_fma_f64 v[4:5], v[4:5], v[113:114], v[22:23]
	v_add_f64_e32 v[14:15], v[14:15], v[24:25]
	v_add_f64_e32 v[16:17], v[16:17], v[18:19]
	v_fma_f64 v[8:9], v[8:9], v[121:122], v[20:21]
	v_fma_f64 v[6:7], v[6:7], v[121:122], -v[26:27]
	s_delay_alu instid0(VALU_DEP_4) | instskip(NEXT) | instid1(VALU_DEP_4)
	v_add_f64_e32 v[1:2], v[14:15], v[1:2]
	v_add_f64_e32 v[3:4], v[16:17], v[4:5]
	s_delay_alu instid0(VALU_DEP_2) | instskip(NEXT) | instid1(VALU_DEP_2)
	v_add_f64_e32 v[1:2], v[1:2], v[6:7]
	v_add_f64_e32 v[3:4], v[3:4], v[8:9]
	s_wait_loadcnt 0x0
	s_delay_alu instid0(VALU_DEP_2) | instskip(NEXT) | instid1(VALU_DEP_2)
	v_add_f64_e64 v[1:2], v[10:11], -v[1:2]
	v_add_f64_e64 v[3:4], v[12:13], -v[3:4]
	scratch_store_b128 off, v[1:4], off offset:112
	v_cmpx_lt_u32_e32 5, v0
	s_cbranch_execz .LBB36_225
; %bb.224:
	scratch_load_b128 v[1:4], off, s45
	v_mov_b32_e32 v5, 0
	s_delay_alu instid0(VALU_DEP_1)
	v_dual_mov_b32 v6, v5 :: v_dual_mov_b32 v7, v5
	v_mov_b32_e32 v8, v5
	scratch_store_b128 off, v[5:8], off offset:96
	s_wait_loadcnt 0x0
	ds_store_b128 v112, v[1:4]
.LBB36_225:
	s_wait_alu 0xfffe
	s_or_b32 exec_lo, exec_lo, s0
	s_wait_storecnt_dscnt 0x0
	s_barrier_signal -1
	s_barrier_wait -1
	global_inv scope:SCOPE_SE
	s_clause 0x7
	scratch_load_b128 v[2:5], off, off offset:112
	scratch_load_b128 v[6:9], off, off offset:128
	scratch_load_b128 v[10:13], off, off offset:144
	scratch_load_b128 v[14:17], off, off offset:160
	scratch_load_b128 v[18:21], off, off offset:176
	scratch_load_b128 v[22:25], off, off offset:192
	scratch_load_b128 v[26:29], off, off offset:208
	scratch_load_b128 v[30:33], off, off offset:224
	v_mov_b32_e32 v1, 0
	s_clause 0x1
	scratch_load_b128 v[113:116], off, off offset:240
	scratch_load_b128 v[121:124], off, off offset:256
	s_mov_b32 s0, exec_lo
	ds_load_b128 v[34:37], v1 offset:688
	ds_load_b128 v[117:120], v1 offset:704
	s_wait_loadcnt_dscnt 0x901
	v_mul_f64_e32 v[125:126], v[36:37], v[4:5]
	v_mul_f64_e32 v[4:5], v[34:35], v[4:5]
	s_wait_loadcnt_dscnt 0x800
	v_mul_f64_e32 v[127:128], v[117:118], v[8:9]
	v_mul_f64_e32 v[8:9], v[119:120], v[8:9]
	s_delay_alu instid0(VALU_DEP_4) | instskip(NEXT) | instid1(VALU_DEP_4)
	v_fma_f64 v[125:126], v[34:35], v[2:3], -v[125:126]
	v_fma_f64 v[129:130], v[36:37], v[2:3], v[4:5]
	ds_load_b128 v[2:5], v1 offset:720
	scratch_load_b128 v[34:37], off, off offset:272
	v_fma_f64 v[127:128], v[119:120], v[6:7], v[127:128]
	v_fma_f64 v[133:134], v[117:118], v[6:7], -v[8:9]
	ds_load_b128 v[6:9], v1 offset:736
	scratch_load_b128 v[117:120], off, off offset:288
	s_wait_loadcnt_dscnt 0x901
	v_mul_f64_e32 v[131:132], v[2:3], v[12:13]
	v_mul_f64_e32 v[12:13], v[4:5], v[12:13]
	s_wait_loadcnt_dscnt 0x800
	v_mul_f64_e32 v[135:136], v[6:7], v[16:17]
	v_mul_f64_e32 v[16:17], v[8:9], v[16:17]
	v_add_f64_e32 v[125:126], 0, v[125:126]
	v_add_f64_e32 v[129:130], 0, v[129:130]
	v_fma_f64 v[131:132], v[4:5], v[10:11], v[131:132]
	v_fma_f64 v[137:138], v[2:3], v[10:11], -v[12:13]
	ds_load_b128 v[2:5], v1 offset:752
	scratch_load_b128 v[10:13], off, off offset:304
	v_add_f64_e32 v[125:126], v[125:126], v[133:134]
	v_add_f64_e32 v[127:128], v[129:130], v[127:128]
	v_fma_f64 v[133:134], v[8:9], v[14:15], v[135:136]
	v_fma_f64 v[135:136], v[6:7], v[14:15], -v[16:17]
	ds_load_b128 v[6:9], v1 offset:768
	scratch_load_b128 v[14:17], off, off offset:320
	s_wait_loadcnt_dscnt 0x901
	v_mul_f64_e32 v[129:130], v[2:3], v[20:21]
	v_mul_f64_e32 v[20:21], v[4:5], v[20:21]
	v_add_f64_e32 v[125:126], v[125:126], v[137:138]
	v_add_f64_e32 v[127:128], v[127:128], v[131:132]
	s_wait_loadcnt_dscnt 0x800
	v_mul_f64_e32 v[131:132], v[6:7], v[24:25]
	v_mul_f64_e32 v[24:25], v[8:9], v[24:25]
	v_fma_f64 v[129:130], v[4:5], v[18:19], v[129:130]
	v_fma_f64 v[137:138], v[2:3], v[18:19], -v[20:21]
	ds_load_b128 v[2:5], v1 offset:784
	scratch_load_b128 v[18:21], off, off offset:336
	v_add_f64_e32 v[125:126], v[125:126], v[135:136]
	v_add_f64_e32 v[127:128], v[127:128], v[133:134]
	v_fma_f64 v[131:132], v[8:9], v[22:23], v[131:132]
	v_fma_f64 v[135:136], v[6:7], v[22:23], -v[24:25]
	ds_load_b128 v[6:9], v1 offset:800
	s_wait_loadcnt_dscnt 0x801
	v_mul_f64_e32 v[133:134], v[2:3], v[28:29]
	v_mul_f64_e32 v[28:29], v[4:5], v[28:29]
	scratch_load_b128 v[22:25], off, off offset:352
	v_add_f64_e32 v[125:126], v[125:126], v[137:138]
	v_add_f64_e32 v[127:128], v[127:128], v[129:130]
	s_wait_loadcnt_dscnt 0x800
	v_mul_f64_e32 v[129:130], v[6:7], v[32:33]
	v_mul_f64_e32 v[32:33], v[8:9], v[32:33]
	v_fma_f64 v[133:134], v[4:5], v[26:27], v[133:134]
	v_fma_f64 v[137:138], v[2:3], v[26:27], -v[28:29]
	ds_load_b128 v[2:5], v1 offset:816
	scratch_load_b128 v[26:29], off, off offset:368
	v_add_f64_e32 v[125:126], v[125:126], v[135:136]
	v_add_f64_e32 v[127:128], v[127:128], v[131:132]
	v_fma_f64 v[129:130], v[8:9], v[30:31], v[129:130]
	v_fma_f64 v[135:136], v[6:7], v[30:31], -v[32:33]
	ds_load_b128 v[6:9], v1 offset:832
	s_wait_loadcnt_dscnt 0x801
	v_mul_f64_e32 v[131:132], v[2:3], v[115:116]
	v_mul_f64_e32 v[115:116], v[4:5], v[115:116]
	scratch_load_b128 v[30:33], off, off offset:384
	v_add_f64_e32 v[125:126], v[125:126], v[137:138]
	v_add_f64_e32 v[127:128], v[127:128], v[133:134]
	s_wait_loadcnt_dscnt 0x800
	v_mul_f64_e32 v[133:134], v[6:7], v[123:124]
	v_mul_f64_e32 v[123:124], v[8:9], v[123:124]
	v_fma_f64 v[131:132], v[4:5], v[113:114], v[131:132]
	v_fma_f64 v[137:138], v[2:3], v[113:114], -v[115:116]
	ds_load_b128 v[2:5], v1 offset:848
	scratch_load_b128 v[113:116], off, off offset:400
	v_add_f64_e32 v[125:126], v[125:126], v[135:136]
	v_add_f64_e32 v[127:128], v[127:128], v[129:130]
	v_fma_f64 v[133:134], v[8:9], v[121:122], v[133:134]
	v_fma_f64 v[135:136], v[6:7], v[121:122], -v[123:124]
	ds_load_b128 v[6:9], v1 offset:864
	scratch_load_b128 v[121:124], off, off offset:416
	s_wait_loadcnt_dscnt 0x901
	v_mul_f64_e32 v[129:130], v[2:3], v[36:37]
	v_mul_f64_e32 v[36:37], v[4:5], v[36:37]
	v_add_f64_e32 v[125:126], v[125:126], v[137:138]
	v_add_f64_e32 v[127:128], v[127:128], v[131:132]
	s_wait_loadcnt_dscnt 0x800
	v_mul_f64_e32 v[131:132], v[6:7], v[119:120]
	v_mul_f64_e32 v[119:120], v[8:9], v[119:120]
	v_fma_f64 v[129:130], v[4:5], v[34:35], v[129:130]
	v_fma_f64 v[137:138], v[2:3], v[34:35], -v[36:37]
	ds_load_b128 v[2:5], v1 offset:880
	scratch_load_b128 v[34:37], off, off offset:432
	v_add_f64_e32 v[125:126], v[125:126], v[135:136]
	v_add_f64_e32 v[127:128], v[127:128], v[133:134]
	v_fma_f64 v[131:132], v[8:9], v[117:118], v[131:132]
	v_fma_f64 v[135:136], v[6:7], v[117:118], -v[119:120]
	ds_load_b128 v[6:9], v1 offset:896
	s_wait_loadcnt_dscnt 0x801
	v_mul_f64_e32 v[133:134], v[2:3], v[12:13]
	v_mul_f64_e32 v[12:13], v[4:5], v[12:13]
	scratch_load_b128 v[117:120], off, off offset:448
	v_add_f64_e32 v[125:126], v[125:126], v[137:138]
	v_add_f64_e32 v[127:128], v[127:128], v[129:130]
	s_wait_loadcnt_dscnt 0x800
	v_mul_f64_e32 v[129:130], v[6:7], v[16:17]
	v_mul_f64_e32 v[16:17], v[8:9], v[16:17]
	v_fma_f64 v[133:134], v[4:5], v[10:11], v[133:134]
	v_fma_f64 v[137:138], v[2:3], v[10:11], -v[12:13]
	ds_load_b128 v[2:5], v1 offset:912
	scratch_load_b128 v[10:13], off, off offset:464
	v_add_f64_e32 v[125:126], v[125:126], v[135:136]
	v_add_f64_e32 v[127:128], v[127:128], v[131:132]
	v_fma_f64 v[129:130], v[8:9], v[14:15], v[129:130]
	v_fma_f64 v[135:136], v[6:7], v[14:15], -v[16:17]
	ds_load_b128 v[6:9], v1 offset:928
	s_wait_loadcnt_dscnt 0x801
	v_mul_f64_e32 v[131:132], v[2:3], v[20:21]
	v_mul_f64_e32 v[20:21], v[4:5], v[20:21]
	scratch_load_b128 v[14:17], off, off offset:480
	;; [unrolled: 18-line block ×5, first 2 shown]
	v_add_f64_e32 v[125:126], v[125:126], v[137:138]
	v_add_f64_e32 v[127:128], v[127:128], v[133:134]
	s_wait_loadcnt_dscnt 0x800
	v_mul_f64_e32 v[133:134], v[6:7], v[119:120]
	v_mul_f64_e32 v[119:120], v[8:9], v[119:120]
	v_fma_f64 v[131:132], v[4:5], v[34:35], v[131:132]
	v_fma_f64 v[137:138], v[2:3], v[34:35], -v[36:37]
	ds_load_b128 v[2:5], v1 offset:1040
	scratch_load_b128 v[34:37], off, off offset:592
	v_add_f64_e32 v[125:126], v[125:126], v[135:136]
	v_add_f64_e32 v[127:128], v[127:128], v[129:130]
	v_fma_f64 v[133:134], v[8:9], v[117:118], v[133:134]
	v_fma_f64 v[117:118], v[6:7], v[117:118], -v[119:120]
	ds_load_b128 v[6:9], v1 offset:1056
	s_wait_loadcnt_dscnt 0x801
	v_mul_f64_e32 v[129:130], v[2:3], v[12:13]
	v_mul_f64_e32 v[12:13], v[4:5], v[12:13]
	v_add_f64_e32 v[119:120], v[125:126], v[137:138]
	v_add_f64_e32 v[125:126], v[127:128], v[131:132]
	s_wait_loadcnt_dscnt 0x700
	v_mul_f64_e32 v[127:128], v[6:7], v[16:17]
	v_mul_f64_e32 v[16:17], v[8:9], v[16:17]
	v_fma_f64 v[129:130], v[4:5], v[10:11], v[129:130]
	v_fma_f64 v[10:11], v[2:3], v[10:11], -v[12:13]
	ds_load_b128 v[2:5], v1 offset:1072
	v_add_f64_e32 v[12:13], v[119:120], v[117:118]
	v_add_f64_e32 v[117:118], v[125:126], v[133:134]
	v_fma_f64 v[125:126], v[8:9], v[14:15], v[127:128]
	v_fma_f64 v[14:15], v[6:7], v[14:15], -v[16:17]
	ds_load_b128 v[6:9], v1 offset:1088
	s_wait_loadcnt_dscnt 0x500
	v_mul_f64_e32 v[127:128], v[6:7], v[24:25]
	v_mul_f64_e32 v[24:25], v[8:9], v[24:25]
	v_add_f64_e32 v[16:17], v[12:13], v[10:11]
	v_add_f64_e32 v[117:118], v[117:118], v[129:130]
	scratch_load_b128 v[10:13], off, off offset:96
	v_mul_f64_e32 v[119:120], v[2:3], v[20:21]
	v_mul_f64_e32 v[20:21], v[4:5], v[20:21]
	v_add_f64_e32 v[14:15], v[16:17], v[14:15]
	v_add_f64_e32 v[16:17], v[117:118], v[125:126]
	v_fma_f64 v[117:118], v[8:9], v[22:23], v[127:128]
	v_fma_f64 v[119:120], v[4:5], v[18:19], v[119:120]
	v_fma_f64 v[18:19], v[2:3], v[18:19], -v[20:21]
	ds_load_b128 v[2:5], v1 offset:1104
	v_fma_f64 v[22:23], v[6:7], v[22:23], -v[24:25]
	ds_load_b128 v[6:9], v1 offset:1120
	s_wait_loadcnt_dscnt 0x501
	v_mul_f64_e32 v[20:21], v[2:3], v[28:29]
	v_mul_f64_e32 v[28:29], v[4:5], v[28:29]
	s_wait_loadcnt_dscnt 0x400
	v_mul_f64_e32 v[24:25], v[8:9], v[32:33]
	v_add_f64_e32 v[16:17], v[16:17], v[119:120]
	v_add_f64_e32 v[14:15], v[14:15], v[18:19]
	v_mul_f64_e32 v[18:19], v[6:7], v[32:33]
	v_fma_f64 v[20:21], v[4:5], v[26:27], v[20:21]
	v_fma_f64 v[26:27], v[2:3], v[26:27], -v[28:29]
	ds_load_b128 v[2:5], v1 offset:1136
	v_fma_f64 v[24:25], v[6:7], v[30:31], -v[24:25]
	v_add_f64_e32 v[16:17], v[16:17], v[117:118]
	v_add_f64_e32 v[14:15], v[14:15], v[22:23]
	v_fma_f64 v[18:19], v[8:9], v[30:31], v[18:19]
	ds_load_b128 v[6:9], v1 offset:1152
	s_wait_loadcnt_dscnt 0x301
	v_mul_f64_e32 v[22:23], v[2:3], v[115:116]
	v_mul_f64_e32 v[28:29], v[4:5], v[115:116]
	v_add_f64_e32 v[16:17], v[16:17], v[20:21]
	v_add_f64_e32 v[14:15], v[14:15], v[26:27]
	s_wait_loadcnt_dscnt 0x200
	v_mul_f64_e32 v[20:21], v[6:7], v[123:124]
	v_mul_f64_e32 v[26:27], v[8:9], v[123:124]
	v_fma_f64 v[22:23], v[4:5], v[113:114], v[22:23]
	v_fma_f64 v[28:29], v[2:3], v[113:114], -v[28:29]
	ds_load_b128 v[2:5], v1 offset:1168
	v_add_f64_e32 v[16:17], v[16:17], v[18:19]
	v_add_f64_e32 v[14:15], v[14:15], v[24:25]
	s_wait_loadcnt_dscnt 0x100
	v_mul_f64_e32 v[18:19], v[2:3], v[36:37]
	v_mul_f64_e32 v[24:25], v[4:5], v[36:37]
	v_fma_f64 v[8:9], v[8:9], v[121:122], v[20:21]
	v_fma_f64 v[6:7], v[6:7], v[121:122], -v[26:27]
	v_add_f64_e32 v[16:17], v[16:17], v[22:23]
	v_add_f64_e32 v[14:15], v[14:15], v[28:29]
	v_fma_f64 v[4:5], v[4:5], v[34:35], v[18:19]
	v_fma_f64 v[2:3], v[2:3], v[34:35], -v[24:25]
	s_delay_alu instid0(VALU_DEP_4) | instskip(NEXT) | instid1(VALU_DEP_4)
	v_add_f64_e32 v[8:9], v[16:17], v[8:9]
	v_add_f64_e32 v[6:7], v[14:15], v[6:7]
	s_delay_alu instid0(VALU_DEP_2) | instskip(NEXT) | instid1(VALU_DEP_2)
	v_add_f64_e32 v[4:5], v[8:9], v[4:5]
	v_add_f64_e32 v[2:3], v[6:7], v[2:3]
	s_wait_loadcnt 0x0
	s_delay_alu instid0(VALU_DEP_2) | instskip(NEXT) | instid1(VALU_DEP_2)
	v_add_f64_e64 v[4:5], v[12:13], -v[4:5]
	v_add_f64_e64 v[2:3], v[10:11], -v[2:3]
	scratch_store_b128 off, v[2:5], off offset:96
	v_cmpx_lt_u32_e32 4, v0
	s_cbranch_execz .LBB36_227
; %bb.226:
	scratch_load_b128 v[5:8], off, s30
	v_dual_mov_b32 v2, v1 :: v_dual_mov_b32 v3, v1
	v_mov_b32_e32 v4, v1
	scratch_store_b128 off, v[1:4], off offset:80
	s_wait_loadcnt 0x0
	ds_store_b128 v112, v[5:8]
.LBB36_227:
	s_wait_alu 0xfffe
	s_or_b32 exec_lo, exec_lo, s0
	s_wait_storecnt_dscnt 0x0
	s_barrier_signal -1
	s_barrier_wait -1
	global_inv scope:SCOPE_SE
	s_clause 0x7
	scratch_load_b128 v[2:5], off, off offset:96
	scratch_load_b128 v[6:9], off, off offset:112
	;; [unrolled: 1-line block ×8, first 2 shown]
	ds_load_b128 v[34:37], v1 offset:672
	ds_load_b128 v[117:120], v1 offset:688
	s_clause 0x1
	scratch_load_b128 v[113:116], off, off offset:224
	scratch_load_b128 v[121:124], off, off offset:240
	s_mov_b32 s0, exec_lo
	s_wait_loadcnt_dscnt 0x901
	v_mul_f64_e32 v[125:126], v[36:37], v[4:5]
	v_mul_f64_e32 v[4:5], v[34:35], v[4:5]
	s_wait_loadcnt_dscnt 0x800
	v_mul_f64_e32 v[127:128], v[117:118], v[8:9]
	v_mul_f64_e32 v[8:9], v[119:120], v[8:9]
	s_delay_alu instid0(VALU_DEP_4) | instskip(NEXT) | instid1(VALU_DEP_4)
	v_fma_f64 v[125:126], v[34:35], v[2:3], -v[125:126]
	v_fma_f64 v[129:130], v[36:37], v[2:3], v[4:5]
	ds_load_b128 v[2:5], v1 offset:704
	scratch_load_b128 v[34:37], off, off offset:256
	v_fma_f64 v[127:128], v[119:120], v[6:7], v[127:128]
	v_fma_f64 v[133:134], v[117:118], v[6:7], -v[8:9]
	ds_load_b128 v[6:9], v1 offset:720
	scratch_load_b128 v[117:120], off, off offset:272
	s_wait_loadcnt_dscnt 0x901
	v_mul_f64_e32 v[131:132], v[2:3], v[12:13]
	v_mul_f64_e32 v[12:13], v[4:5], v[12:13]
	s_wait_loadcnt_dscnt 0x800
	v_mul_f64_e32 v[135:136], v[6:7], v[16:17]
	v_mul_f64_e32 v[16:17], v[8:9], v[16:17]
	v_add_f64_e32 v[125:126], 0, v[125:126]
	v_add_f64_e32 v[129:130], 0, v[129:130]
	v_fma_f64 v[131:132], v[4:5], v[10:11], v[131:132]
	v_fma_f64 v[137:138], v[2:3], v[10:11], -v[12:13]
	ds_load_b128 v[2:5], v1 offset:736
	scratch_load_b128 v[10:13], off, off offset:288
	v_add_f64_e32 v[125:126], v[125:126], v[133:134]
	v_add_f64_e32 v[127:128], v[129:130], v[127:128]
	v_fma_f64 v[133:134], v[8:9], v[14:15], v[135:136]
	v_fma_f64 v[135:136], v[6:7], v[14:15], -v[16:17]
	ds_load_b128 v[6:9], v1 offset:752
	scratch_load_b128 v[14:17], off, off offset:304
	s_wait_loadcnt_dscnt 0x901
	v_mul_f64_e32 v[129:130], v[2:3], v[20:21]
	v_mul_f64_e32 v[20:21], v[4:5], v[20:21]
	v_add_f64_e32 v[125:126], v[125:126], v[137:138]
	v_add_f64_e32 v[127:128], v[127:128], v[131:132]
	s_wait_loadcnt_dscnt 0x800
	v_mul_f64_e32 v[131:132], v[6:7], v[24:25]
	v_mul_f64_e32 v[24:25], v[8:9], v[24:25]
	v_fma_f64 v[129:130], v[4:5], v[18:19], v[129:130]
	v_fma_f64 v[137:138], v[2:3], v[18:19], -v[20:21]
	ds_load_b128 v[2:5], v1 offset:768
	scratch_load_b128 v[18:21], off, off offset:320
	v_add_f64_e32 v[125:126], v[125:126], v[135:136]
	v_add_f64_e32 v[127:128], v[127:128], v[133:134]
	v_fma_f64 v[131:132], v[8:9], v[22:23], v[131:132]
	v_fma_f64 v[135:136], v[6:7], v[22:23], -v[24:25]
	ds_load_b128 v[6:9], v1 offset:784
	s_wait_loadcnt_dscnt 0x801
	v_mul_f64_e32 v[133:134], v[2:3], v[28:29]
	v_mul_f64_e32 v[28:29], v[4:5], v[28:29]
	scratch_load_b128 v[22:25], off, off offset:336
	v_add_f64_e32 v[125:126], v[125:126], v[137:138]
	v_add_f64_e32 v[127:128], v[127:128], v[129:130]
	s_wait_loadcnt_dscnt 0x800
	v_mul_f64_e32 v[129:130], v[6:7], v[32:33]
	v_mul_f64_e32 v[32:33], v[8:9], v[32:33]
	v_fma_f64 v[133:134], v[4:5], v[26:27], v[133:134]
	v_fma_f64 v[137:138], v[2:3], v[26:27], -v[28:29]
	ds_load_b128 v[2:5], v1 offset:800
	scratch_load_b128 v[26:29], off, off offset:352
	v_add_f64_e32 v[125:126], v[125:126], v[135:136]
	v_add_f64_e32 v[127:128], v[127:128], v[131:132]
	v_fma_f64 v[129:130], v[8:9], v[30:31], v[129:130]
	v_fma_f64 v[135:136], v[6:7], v[30:31], -v[32:33]
	ds_load_b128 v[6:9], v1 offset:816
	s_wait_loadcnt_dscnt 0x801
	v_mul_f64_e32 v[131:132], v[2:3], v[115:116]
	v_mul_f64_e32 v[115:116], v[4:5], v[115:116]
	scratch_load_b128 v[30:33], off, off offset:368
	v_add_f64_e32 v[125:126], v[125:126], v[137:138]
	v_add_f64_e32 v[127:128], v[127:128], v[133:134]
	s_wait_loadcnt_dscnt 0x800
	v_mul_f64_e32 v[133:134], v[6:7], v[123:124]
	v_mul_f64_e32 v[123:124], v[8:9], v[123:124]
	v_fma_f64 v[131:132], v[4:5], v[113:114], v[131:132]
	v_fma_f64 v[137:138], v[2:3], v[113:114], -v[115:116]
	ds_load_b128 v[2:5], v1 offset:832
	scratch_load_b128 v[113:116], off, off offset:384
	v_add_f64_e32 v[125:126], v[125:126], v[135:136]
	v_add_f64_e32 v[127:128], v[127:128], v[129:130]
	v_fma_f64 v[133:134], v[8:9], v[121:122], v[133:134]
	v_fma_f64 v[135:136], v[6:7], v[121:122], -v[123:124]
	ds_load_b128 v[6:9], v1 offset:848
	scratch_load_b128 v[121:124], off, off offset:400
	s_wait_loadcnt_dscnt 0x901
	v_mul_f64_e32 v[129:130], v[2:3], v[36:37]
	v_mul_f64_e32 v[36:37], v[4:5], v[36:37]
	v_add_f64_e32 v[125:126], v[125:126], v[137:138]
	v_add_f64_e32 v[127:128], v[127:128], v[131:132]
	s_wait_loadcnt_dscnt 0x800
	v_mul_f64_e32 v[131:132], v[6:7], v[119:120]
	v_mul_f64_e32 v[119:120], v[8:9], v[119:120]
	v_fma_f64 v[129:130], v[4:5], v[34:35], v[129:130]
	v_fma_f64 v[137:138], v[2:3], v[34:35], -v[36:37]
	ds_load_b128 v[2:5], v1 offset:864
	scratch_load_b128 v[34:37], off, off offset:416
	v_add_f64_e32 v[125:126], v[125:126], v[135:136]
	v_add_f64_e32 v[127:128], v[127:128], v[133:134]
	v_fma_f64 v[131:132], v[8:9], v[117:118], v[131:132]
	v_fma_f64 v[135:136], v[6:7], v[117:118], -v[119:120]
	ds_load_b128 v[6:9], v1 offset:880
	s_wait_loadcnt_dscnt 0x801
	v_mul_f64_e32 v[133:134], v[2:3], v[12:13]
	v_mul_f64_e32 v[12:13], v[4:5], v[12:13]
	scratch_load_b128 v[117:120], off, off offset:432
	v_add_f64_e32 v[125:126], v[125:126], v[137:138]
	v_add_f64_e32 v[127:128], v[127:128], v[129:130]
	s_wait_loadcnt_dscnt 0x800
	v_mul_f64_e32 v[129:130], v[6:7], v[16:17]
	v_mul_f64_e32 v[16:17], v[8:9], v[16:17]
	v_fma_f64 v[133:134], v[4:5], v[10:11], v[133:134]
	v_fma_f64 v[137:138], v[2:3], v[10:11], -v[12:13]
	ds_load_b128 v[2:5], v1 offset:896
	scratch_load_b128 v[10:13], off, off offset:448
	v_add_f64_e32 v[125:126], v[125:126], v[135:136]
	v_add_f64_e32 v[127:128], v[127:128], v[131:132]
	v_fma_f64 v[129:130], v[8:9], v[14:15], v[129:130]
	v_fma_f64 v[135:136], v[6:7], v[14:15], -v[16:17]
	ds_load_b128 v[6:9], v1 offset:912
	s_wait_loadcnt_dscnt 0x801
	v_mul_f64_e32 v[131:132], v[2:3], v[20:21]
	v_mul_f64_e32 v[20:21], v[4:5], v[20:21]
	scratch_load_b128 v[14:17], off, off offset:464
	;; [unrolled: 18-line block ×6, first 2 shown]
	v_add_f64_e32 v[125:126], v[125:126], v[137:138]
	v_add_f64_e32 v[127:128], v[127:128], v[131:132]
	s_wait_loadcnt_dscnt 0x800
	v_mul_f64_e32 v[131:132], v[6:7], v[16:17]
	v_mul_f64_e32 v[16:17], v[8:9], v[16:17]
	v_fma_f64 v[129:130], v[4:5], v[10:11], v[129:130]
	v_fma_f64 v[10:11], v[2:3], v[10:11], -v[12:13]
	ds_load_b128 v[2:5], v1 offset:1056
	v_add_f64_e32 v[12:13], v[125:126], v[135:136]
	v_add_f64_e32 v[125:126], v[127:128], v[133:134]
	v_fma_f64 v[131:132], v[8:9], v[14:15], v[131:132]
	v_fma_f64 v[14:15], v[6:7], v[14:15], -v[16:17]
	ds_load_b128 v[6:9], v1 offset:1072
	s_wait_loadcnt_dscnt 0x701
	v_mul_f64_e32 v[127:128], v[2:3], v[20:21]
	v_mul_f64_e32 v[20:21], v[4:5], v[20:21]
	v_add_f64_e32 v[10:11], v[12:13], v[10:11]
	v_add_f64_e32 v[12:13], v[125:126], v[129:130]
	s_delay_alu instid0(VALU_DEP_4) | instskip(NEXT) | instid1(VALU_DEP_4)
	v_fma_f64 v[125:126], v[4:5], v[18:19], v[127:128]
	v_fma_f64 v[18:19], v[2:3], v[18:19], -v[20:21]
	ds_load_b128 v[2:5], v1 offset:1088
	v_add_f64_e32 v[14:15], v[10:11], v[14:15]
	v_add_f64_e32 v[20:21], v[12:13], v[131:132]
	scratch_load_b128 v[10:13], off, off offset:80
	s_wait_loadcnt_dscnt 0x701
	v_mul_f64_e32 v[16:17], v[6:7], v[24:25]
	v_mul_f64_e32 v[24:25], v[8:9], v[24:25]
	v_add_f64_e32 v[14:15], v[14:15], v[18:19]
	v_add_f64_e32 v[18:19], v[20:21], v[125:126]
	s_delay_alu instid0(VALU_DEP_4) | instskip(NEXT) | instid1(VALU_DEP_4)
	v_fma_f64 v[16:17], v[8:9], v[22:23], v[16:17]
	v_fma_f64 v[22:23], v[6:7], v[22:23], -v[24:25]
	ds_load_b128 v[6:9], v1 offset:1104
	s_wait_loadcnt_dscnt 0x601
	v_mul_f64_e32 v[127:128], v[2:3], v[28:29]
	v_mul_f64_e32 v[28:29], v[4:5], v[28:29]
	s_wait_loadcnt_dscnt 0x500
	v_mul_f64_e32 v[20:21], v[6:7], v[32:33]
	v_mul_f64_e32 v[24:25], v[8:9], v[32:33]
	v_add_f64_e32 v[16:17], v[18:19], v[16:17]
	v_add_f64_e32 v[14:15], v[14:15], v[22:23]
	v_fma_f64 v[32:33], v[4:5], v[26:27], v[127:128]
	v_fma_f64 v[26:27], v[2:3], v[26:27], -v[28:29]
	ds_load_b128 v[2:5], v1 offset:1120
	v_fma_f64 v[20:21], v[8:9], v[30:31], v[20:21]
	v_fma_f64 v[24:25], v[6:7], v[30:31], -v[24:25]
	ds_load_b128 v[6:9], v1 offset:1136
	s_wait_loadcnt_dscnt 0x401
	v_mul_f64_e32 v[18:19], v[2:3], v[115:116]
	v_mul_f64_e32 v[22:23], v[4:5], v[115:116]
	v_add_f64_e32 v[16:17], v[16:17], v[32:33]
	v_add_f64_e32 v[14:15], v[14:15], v[26:27]
	s_wait_loadcnt_dscnt 0x300
	v_mul_f64_e32 v[26:27], v[6:7], v[123:124]
	v_mul_f64_e32 v[28:29], v[8:9], v[123:124]
	v_fma_f64 v[18:19], v[4:5], v[113:114], v[18:19]
	v_fma_f64 v[22:23], v[2:3], v[113:114], -v[22:23]
	ds_load_b128 v[2:5], v1 offset:1152
	v_add_f64_e32 v[16:17], v[16:17], v[20:21]
	v_add_f64_e32 v[14:15], v[14:15], v[24:25]
	v_fma_f64 v[26:27], v[8:9], v[121:122], v[26:27]
	v_fma_f64 v[28:29], v[6:7], v[121:122], -v[28:29]
	ds_load_b128 v[6:9], v1 offset:1168
	s_wait_loadcnt_dscnt 0x201
	v_mul_f64_e32 v[20:21], v[2:3], v[36:37]
	v_mul_f64_e32 v[24:25], v[4:5], v[36:37]
	v_add_f64_e32 v[16:17], v[16:17], v[18:19]
	v_add_f64_e32 v[14:15], v[14:15], v[22:23]
	s_wait_loadcnt_dscnt 0x100
	v_mul_f64_e32 v[18:19], v[6:7], v[119:120]
	v_mul_f64_e32 v[22:23], v[8:9], v[119:120]
	v_fma_f64 v[4:5], v[4:5], v[34:35], v[20:21]
	v_fma_f64 v[1:2], v[2:3], v[34:35], -v[24:25]
	v_add_f64_e32 v[16:17], v[16:17], v[26:27]
	v_add_f64_e32 v[14:15], v[14:15], v[28:29]
	v_fma_f64 v[8:9], v[8:9], v[117:118], v[18:19]
	v_fma_f64 v[6:7], v[6:7], v[117:118], -v[22:23]
	s_delay_alu instid0(VALU_DEP_4) | instskip(NEXT) | instid1(VALU_DEP_4)
	v_add_f64_e32 v[3:4], v[16:17], v[4:5]
	v_add_f64_e32 v[1:2], v[14:15], v[1:2]
	s_delay_alu instid0(VALU_DEP_2) | instskip(NEXT) | instid1(VALU_DEP_2)
	v_add_f64_e32 v[3:4], v[3:4], v[8:9]
	v_add_f64_e32 v[1:2], v[1:2], v[6:7]
	s_wait_loadcnt 0x0
	s_delay_alu instid0(VALU_DEP_2) | instskip(NEXT) | instid1(VALU_DEP_2)
	v_add_f64_e64 v[3:4], v[12:13], -v[3:4]
	v_add_f64_e64 v[1:2], v[10:11], -v[1:2]
	scratch_store_b128 off, v[1:4], off offset:80
	v_cmpx_lt_u32_e32 3, v0
	s_cbranch_execz .LBB36_229
; %bb.228:
	scratch_load_b128 v[1:4], off, s33
	v_mov_b32_e32 v5, 0
	s_delay_alu instid0(VALU_DEP_1)
	v_dual_mov_b32 v6, v5 :: v_dual_mov_b32 v7, v5
	v_mov_b32_e32 v8, v5
	scratch_store_b128 off, v[5:8], off offset:64
	s_wait_loadcnt 0x0
	ds_store_b128 v112, v[1:4]
.LBB36_229:
	s_wait_alu 0xfffe
	s_or_b32 exec_lo, exec_lo, s0
	s_wait_storecnt_dscnt 0x0
	s_barrier_signal -1
	s_barrier_wait -1
	global_inv scope:SCOPE_SE
	s_clause 0x7
	scratch_load_b128 v[2:5], off, off offset:80
	scratch_load_b128 v[6:9], off, off offset:96
	;; [unrolled: 1-line block ×8, first 2 shown]
	v_mov_b32_e32 v1, 0
	s_clause 0x1
	scratch_load_b128 v[113:116], off, off offset:208
	scratch_load_b128 v[121:124], off, off offset:224
	s_mov_b32 s0, exec_lo
	ds_load_b128 v[34:37], v1 offset:656
	ds_load_b128 v[117:120], v1 offset:672
	s_wait_loadcnt_dscnt 0x901
	v_mul_f64_e32 v[125:126], v[36:37], v[4:5]
	v_mul_f64_e32 v[4:5], v[34:35], v[4:5]
	s_wait_loadcnt_dscnt 0x800
	v_mul_f64_e32 v[127:128], v[117:118], v[8:9]
	v_mul_f64_e32 v[8:9], v[119:120], v[8:9]
	s_delay_alu instid0(VALU_DEP_4) | instskip(NEXT) | instid1(VALU_DEP_4)
	v_fma_f64 v[125:126], v[34:35], v[2:3], -v[125:126]
	v_fma_f64 v[129:130], v[36:37], v[2:3], v[4:5]
	ds_load_b128 v[2:5], v1 offset:688
	scratch_load_b128 v[34:37], off, off offset:240
	v_fma_f64 v[127:128], v[119:120], v[6:7], v[127:128]
	v_fma_f64 v[133:134], v[117:118], v[6:7], -v[8:9]
	ds_load_b128 v[6:9], v1 offset:704
	scratch_load_b128 v[117:120], off, off offset:256
	s_wait_loadcnt_dscnt 0x901
	v_mul_f64_e32 v[131:132], v[2:3], v[12:13]
	v_mul_f64_e32 v[12:13], v[4:5], v[12:13]
	s_wait_loadcnt_dscnt 0x800
	v_mul_f64_e32 v[135:136], v[6:7], v[16:17]
	v_mul_f64_e32 v[16:17], v[8:9], v[16:17]
	v_add_f64_e32 v[125:126], 0, v[125:126]
	v_add_f64_e32 v[129:130], 0, v[129:130]
	v_fma_f64 v[131:132], v[4:5], v[10:11], v[131:132]
	v_fma_f64 v[137:138], v[2:3], v[10:11], -v[12:13]
	ds_load_b128 v[2:5], v1 offset:720
	scratch_load_b128 v[10:13], off, off offset:272
	v_add_f64_e32 v[125:126], v[125:126], v[133:134]
	v_add_f64_e32 v[127:128], v[129:130], v[127:128]
	v_fma_f64 v[133:134], v[8:9], v[14:15], v[135:136]
	v_fma_f64 v[135:136], v[6:7], v[14:15], -v[16:17]
	ds_load_b128 v[6:9], v1 offset:736
	scratch_load_b128 v[14:17], off, off offset:288
	s_wait_loadcnt_dscnt 0x901
	v_mul_f64_e32 v[129:130], v[2:3], v[20:21]
	v_mul_f64_e32 v[20:21], v[4:5], v[20:21]
	v_add_f64_e32 v[125:126], v[125:126], v[137:138]
	v_add_f64_e32 v[127:128], v[127:128], v[131:132]
	s_wait_loadcnt_dscnt 0x800
	v_mul_f64_e32 v[131:132], v[6:7], v[24:25]
	v_mul_f64_e32 v[24:25], v[8:9], v[24:25]
	v_fma_f64 v[129:130], v[4:5], v[18:19], v[129:130]
	v_fma_f64 v[137:138], v[2:3], v[18:19], -v[20:21]
	ds_load_b128 v[2:5], v1 offset:752
	scratch_load_b128 v[18:21], off, off offset:304
	v_add_f64_e32 v[125:126], v[125:126], v[135:136]
	v_add_f64_e32 v[127:128], v[127:128], v[133:134]
	v_fma_f64 v[131:132], v[8:9], v[22:23], v[131:132]
	v_fma_f64 v[135:136], v[6:7], v[22:23], -v[24:25]
	ds_load_b128 v[6:9], v1 offset:768
	s_wait_loadcnt_dscnt 0x801
	v_mul_f64_e32 v[133:134], v[2:3], v[28:29]
	v_mul_f64_e32 v[28:29], v[4:5], v[28:29]
	scratch_load_b128 v[22:25], off, off offset:320
	v_add_f64_e32 v[125:126], v[125:126], v[137:138]
	v_add_f64_e32 v[127:128], v[127:128], v[129:130]
	s_wait_loadcnt_dscnt 0x800
	v_mul_f64_e32 v[129:130], v[6:7], v[32:33]
	v_mul_f64_e32 v[32:33], v[8:9], v[32:33]
	v_fma_f64 v[133:134], v[4:5], v[26:27], v[133:134]
	v_fma_f64 v[137:138], v[2:3], v[26:27], -v[28:29]
	ds_load_b128 v[2:5], v1 offset:784
	scratch_load_b128 v[26:29], off, off offset:336
	v_add_f64_e32 v[125:126], v[125:126], v[135:136]
	v_add_f64_e32 v[127:128], v[127:128], v[131:132]
	v_fma_f64 v[129:130], v[8:9], v[30:31], v[129:130]
	v_fma_f64 v[135:136], v[6:7], v[30:31], -v[32:33]
	ds_load_b128 v[6:9], v1 offset:800
	s_wait_loadcnt_dscnt 0x801
	v_mul_f64_e32 v[131:132], v[2:3], v[115:116]
	v_mul_f64_e32 v[115:116], v[4:5], v[115:116]
	scratch_load_b128 v[30:33], off, off offset:352
	v_add_f64_e32 v[125:126], v[125:126], v[137:138]
	v_add_f64_e32 v[127:128], v[127:128], v[133:134]
	s_wait_loadcnt_dscnt 0x800
	v_mul_f64_e32 v[133:134], v[6:7], v[123:124]
	v_mul_f64_e32 v[123:124], v[8:9], v[123:124]
	v_fma_f64 v[131:132], v[4:5], v[113:114], v[131:132]
	v_fma_f64 v[137:138], v[2:3], v[113:114], -v[115:116]
	ds_load_b128 v[2:5], v1 offset:816
	scratch_load_b128 v[113:116], off, off offset:368
	v_add_f64_e32 v[125:126], v[125:126], v[135:136]
	v_add_f64_e32 v[127:128], v[127:128], v[129:130]
	v_fma_f64 v[133:134], v[8:9], v[121:122], v[133:134]
	v_fma_f64 v[135:136], v[6:7], v[121:122], -v[123:124]
	ds_load_b128 v[6:9], v1 offset:832
	scratch_load_b128 v[121:124], off, off offset:384
	s_wait_loadcnt_dscnt 0x901
	v_mul_f64_e32 v[129:130], v[2:3], v[36:37]
	v_mul_f64_e32 v[36:37], v[4:5], v[36:37]
	v_add_f64_e32 v[125:126], v[125:126], v[137:138]
	v_add_f64_e32 v[127:128], v[127:128], v[131:132]
	s_wait_loadcnt_dscnt 0x800
	v_mul_f64_e32 v[131:132], v[6:7], v[119:120]
	v_mul_f64_e32 v[119:120], v[8:9], v[119:120]
	v_fma_f64 v[129:130], v[4:5], v[34:35], v[129:130]
	v_fma_f64 v[137:138], v[2:3], v[34:35], -v[36:37]
	ds_load_b128 v[2:5], v1 offset:848
	scratch_load_b128 v[34:37], off, off offset:400
	v_add_f64_e32 v[125:126], v[125:126], v[135:136]
	v_add_f64_e32 v[127:128], v[127:128], v[133:134]
	v_fma_f64 v[131:132], v[8:9], v[117:118], v[131:132]
	v_fma_f64 v[135:136], v[6:7], v[117:118], -v[119:120]
	ds_load_b128 v[6:9], v1 offset:864
	s_wait_loadcnt_dscnt 0x801
	v_mul_f64_e32 v[133:134], v[2:3], v[12:13]
	v_mul_f64_e32 v[12:13], v[4:5], v[12:13]
	scratch_load_b128 v[117:120], off, off offset:416
	v_add_f64_e32 v[125:126], v[125:126], v[137:138]
	v_add_f64_e32 v[127:128], v[127:128], v[129:130]
	s_wait_loadcnt_dscnt 0x800
	v_mul_f64_e32 v[129:130], v[6:7], v[16:17]
	v_mul_f64_e32 v[16:17], v[8:9], v[16:17]
	v_fma_f64 v[133:134], v[4:5], v[10:11], v[133:134]
	v_fma_f64 v[137:138], v[2:3], v[10:11], -v[12:13]
	ds_load_b128 v[2:5], v1 offset:880
	scratch_load_b128 v[10:13], off, off offset:432
	v_add_f64_e32 v[125:126], v[125:126], v[135:136]
	v_add_f64_e32 v[127:128], v[127:128], v[131:132]
	v_fma_f64 v[129:130], v[8:9], v[14:15], v[129:130]
	v_fma_f64 v[135:136], v[6:7], v[14:15], -v[16:17]
	ds_load_b128 v[6:9], v1 offset:896
	s_wait_loadcnt_dscnt 0x801
	v_mul_f64_e32 v[131:132], v[2:3], v[20:21]
	v_mul_f64_e32 v[20:21], v[4:5], v[20:21]
	scratch_load_b128 v[14:17], off, off offset:448
	;; [unrolled: 18-line block ×6, first 2 shown]
	v_add_f64_e32 v[125:126], v[125:126], v[137:138]
	v_add_f64_e32 v[127:128], v[127:128], v[131:132]
	s_wait_loadcnt_dscnt 0x800
	v_mul_f64_e32 v[131:132], v[6:7], v[16:17]
	v_mul_f64_e32 v[16:17], v[8:9], v[16:17]
	v_fma_f64 v[129:130], v[4:5], v[10:11], v[129:130]
	v_fma_f64 v[137:138], v[2:3], v[10:11], -v[12:13]
	ds_load_b128 v[2:5], v1 offset:1040
	scratch_load_b128 v[10:13], off, off offset:592
	v_add_f64_e32 v[125:126], v[125:126], v[135:136]
	v_add_f64_e32 v[127:128], v[127:128], v[133:134]
	v_fma_f64 v[131:132], v[8:9], v[14:15], v[131:132]
	v_fma_f64 v[14:15], v[6:7], v[14:15], -v[16:17]
	ds_load_b128 v[6:9], v1 offset:1056
	s_wait_loadcnt_dscnt 0x801
	v_mul_f64_e32 v[133:134], v[2:3], v[20:21]
	v_mul_f64_e32 v[20:21], v[4:5], v[20:21]
	v_add_f64_e32 v[16:17], v[125:126], v[137:138]
	v_add_f64_e32 v[125:126], v[127:128], v[129:130]
	s_wait_loadcnt_dscnt 0x700
	v_mul_f64_e32 v[127:128], v[6:7], v[24:25]
	v_mul_f64_e32 v[24:25], v[8:9], v[24:25]
	v_fma_f64 v[129:130], v[4:5], v[18:19], v[133:134]
	v_fma_f64 v[18:19], v[2:3], v[18:19], -v[20:21]
	ds_load_b128 v[2:5], v1 offset:1072
	v_add_f64_e32 v[14:15], v[16:17], v[14:15]
	v_add_f64_e32 v[16:17], v[125:126], v[131:132]
	v_fma_f64 v[125:126], v[8:9], v[22:23], v[127:128]
	v_fma_f64 v[22:23], v[6:7], v[22:23], -v[24:25]
	ds_load_b128 v[6:9], v1 offset:1088
	s_wait_loadcnt_dscnt 0x500
	v_mul_f64_e32 v[127:128], v[6:7], v[32:33]
	v_mul_f64_e32 v[32:33], v[8:9], v[32:33]
	v_add_f64_e32 v[18:19], v[14:15], v[18:19]
	v_add_f64_e32 v[24:25], v[16:17], v[129:130]
	scratch_load_b128 v[14:17], off, off offset:64
	v_mul_f64_e32 v[20:21], v[2:3], v[28:29]
	v_mul_f64_e32 v[28:29], v[4:5], v[28:29]
	v_add_f64_e32 v[18:19], v[18:19], v[22:23]
	v_add_f64_e32 v[22:23], v[24:25], v[125:126]
	s_delay_alu instid0(VALU_DEP_4) | instskip(NEXT) | instid1(VALU_DEP_4)
	v_fma_f64 v[20:21], v[4:5], v[26:27], v[20:21]
	v_fma_f64 v[26:27], v[2:3], v[26:27], -v[28:29]
	ds_load_b128 v[2:5], v1 offset:1104
	s_wait_loadcnt_dscnt 0x500
	v_mul_f64_e32 v[24:25], v[2:3], v[115:116]
	v_mul_f64_e32 v[28:29], v[4:5], v[115:116]
	v_fma_f64 v[115:116], v[8:9], v[30:31], v[127:128]
	v_fma_f64 v[30:31], v[6:7], v[30:31], -v[32:33]
	ds_load_b128 v[6:9], v1 offset:1120
	v_add_f64_e32 v[20:21], v[22:23], v[20:21]
	v_add_f64_e32 v[18:19], v[18:19], v[26:27]
	v_fma_f64 v[24:25], v[4:5], v[113:114], v[24:25]
	v_fma_f64 v[28:29], v[2:3], v[113:114], -v[28:29]
	ds_load_b128 v[2:5], v1 offset:1136
	s_wait_loadcnt_dscnt 0x401
	v_mul_f64_e32 v[22:23], v[6:7], v[123:124]
	v_mul_f64_e32 v[26:27], v[8:9], v[123:124]
	v_add_f64_e32 v[20:21], v[20:21], v[115:116]
	v_add_f64_e32 v[18:19], v[18:19], v[30:31]
	s_wait_loadcnt_dscnt 0x300
	v_mul_f64_e32 v[30:31], v[2:3], v[36:37]
	v_mul_f64_e32 v[32:33], v[4:5], v[36:37]
	v_fma_f64 v[22:23], v[8:9], v[121:122], v[22:23]
	v_fma_f64 v[26:27], v[6:7], v[121:122], -v[26:27]
	ds_load_b128 v[6:9], v1 offset:1152
	v_add_f64_e32 v[20:21], v[20:21], v[24:25]
	v_add_f64_e32 v[18:19], v[18:19], v[28:29]
	v_fma_f64 v[30:31], v[4:5], v[34:35], v[30:31]
	v_fma_f64 v[32:33], v[2:3], v[34:35], -v[32:33]
	ds_load_b128 v[2:5], v1 offset:1168
	s_wait_loadcnt_dscnt 0x201
	v_mul_f64_e32 v[24:25], v[6:7], v[119:120]
	v_mul_f64_e32 v[28:29], v[8:9], v[119:120]
	v_add_f64_e32 v[20:21], v[20:21], v[22:23]
	v_add_f64_e32 v[18:19], v[18:19], v[26:27]
	s_wait_loadcnt_dscnt 0x100
	v_mul_f64_e32 v[22:23], v[2:3], v[12:13]
	v_mul_f64_e32 v[12:13], v[4:5], v[12:13]
	v_fma_f64 v[8:9], v[8:9], v[117:118], v[24:25]
	v_fma_f64 v[6:7], v[6:7], v[117:118], -v[28:29]
	v_add_f64_e32 v[20:21], v[20:21], v[30:31]
	v_add_f64_e32 v[18:19], v[18:19], v[32:33]
	v_fma_f64 v[4:5], v[4:5], v[10:11], v[22:23]
	v_fma_f64 v[2:3], v[2:3], v[10:11], -v[12:13]
	s_delay_alu instid0(VALU_DEP_4) | instskip(NEXT) | instid1(VALU_DEP_4)
	v_add_f64_e32 v[8:9], v[20:21], v[8:9]
	v_add_f64_e32 v[6:7], v[18:19], v[6:7]
	s_delay_alu instid0(VALU_DEP_2) | instskip(NEXT) | instid1(VALU_DEP_2)
	v_add_f64_e32 v[4:5], v[8:9], v[4:5]
	v_add_f64_e32 v[2:3], v[6:7], v[2:3]
	s_wait_loadcnt 0x0
	s_delay_alu instid0(VALU_DEP_2) | instskip(NEXT) | instid1(VALU_DEP_2)
	v_add_f64_e64 v[4:5], v[16:17], -v[4:5]
	v_add_f64_e64 v[2:3], v[14:15], -v[2:3]
	scratch_store_b128 off, v[2:5], off offset:64
	v_cmpx_lt_u32_e32 2, v0
	s_cbranch_execz .LBB36_231
; %bb.230:
	scratch_load_b128 v[5:8], off, s35
	v_dual_mov_b32 v2, v1 :: v_dual_mov_b32 v3, v1
	v_mov_b32_e32 v4, v1
	scratch_store_b128 off, v[1:4], off offset:48
	s_wait_loadcnt 0x0
	ds_store_b128 v112, v[5:8]
.LBB36_231:
	s_wait_alu 0xfffe
	s_or_b32 exec_lo, exec_lo, s0
	s_wait_storecnt_dscnt 0x0
	s_barrier_signal -1
	s_barrier_wait -1
	global_inv scope:SCOPE_SE
	s_clause 0x7
	scratch_load_b128 v[2:5], off, off offset:64
	scratch_load_b128 v[6:9], off, off offset:80
	;; [unrolled: 1-line block ×8, first 2 shown]
	ds_load_b128 v[113:116], v1 offset:640
	ds_load_b128 v[117:120], v1 offset:656
	s_clause 0x1
	scratch_load_b128 v[34:37], off, off offset:192
	scratch_load_b128 v[121:124], off, off offset:208
	s_mov_b32 s0, exec_lo
	s_wait_loadcnt_dscnt 0x901
	v_mul_f64_e32 v[125:126], v[115:116], v[4:5]
	v_mul_f64_e32 v[4:5], v[113:114], v[4:5]
	s_wait_loadcnt_dscnt 0x800
	v_mul_f64_e32 v[127:128], v[117:118], v[8:9]
	v_mul_f64_e32 v[8:9], v[119:120], v[8:9]
	s_delay_alu instid0(VALU_DEP_4) | instskip(NEXT) | instid1(VALU_DEP_4)
	v_fma_f64 v[125:126], v[113:114], v[2:3], -v[125:126]
	v_fma_f64 v[129:130], v[115:116], v[2:3], v[4:5]
	ds_load_b128 v[2:5], v1 offset:672
	scratch_load_b128 v[113:116], off, off offset:224
	v_fma_f64 v[127:128], v[119:120], v[6:7], v[127:128]
	v_fma_f64 v[133:134], v[117:118], v[6:7], -v[8:9]
	ds_load_b128 v[6:9], v1 offset:688
	scratch_load_b128 v[117:120], off, off offset:240
	s_wait_loadcnt_dscnt 0x901
	v_mul_f64_e32 v[131:132], v[2:3], v[12:13]
	v_mul_f64_e32 v[12:13], v[4:5], v[12:13]
	s_wait_loadcnt_dscnt 0x800
	v_mul_f64_e32 v[135:136], v[6:7], v[16:17]
	v_mul_f64_e32 v[16:17], v[8:9], v[16:17]
	v_add_f64_e32 v[125:126], 0, v[125:126]
	v_add_f64_e32 v[129:130], 0, v[129:130]
	v_fma_f64 v[131:132], v[4:5], v[10:11], v[131:132]
	v_fma_f64 v[137:138], v[2:3], v[10:11], -v[12:13]
	ds_load_b128 v[2:5], v1 offset:704
	scratch_load_b128 v[10:13], off, off offset:256
	v_add_f64_e32 v[125:126], v[125:126], v[133:134]
	v_add_f64_e32 v[127:128], v[129:130], v[127:128]
	v_fma_f64 v[133:134], v[8:9], v[14:15], v[135:136]
	v_fma_f64 v[135:136], v[6:7], v[14:15], -v[16:17]
	ds_load_b128 v[6:9], v1 offset:720
	scratch_load_b128 v[14:17], off, off offset:272
	s_wait_loadcnt_dscnt 0x901
	v_mul_f64_e32 v[129:130], v[2:3], v[20:21]
	v_mul_f64_e32 v[20:21], v[4:5], v[20:21]
	v_add_f64_e32 v[125:126], v[125:126], v[137:138]
	v_add_f64_e32 v[127:128], v[127:128], v[131:132]
	s_wait_loadcnt_dscnt 0x800
	v_mul_f64_e32 v[131:132], v[6:7], v[24:25]
	v_mul_f64_e32 v[24:25], v[8:9], v[24:25]
	v_fma_f64 v[129:130], v[4:5], v[18:19], v[129:130]
	v_fma_f64 v[137:138], v[2:3], v[18:19], -v[20:21]
	ds_load_b128 v[2:5], v1 offset:736
	scratch_load_b128 v[18:21], off, off offset:288
	v_add_f64_e32 v[125:126], v[125:126], v[135:136]
	v_add_f64_e32 v[127:128], v[127:128], v[133:134]
	v_fma_f64 v[131:132], v[8:9], v[22:23], v[131:132]
	v_fma_f64 v[135:136], v[6:7], v[22:23], -v[24:25]
	ds_load_b128 v[6:9], v1 offset:752
	s_wait_loadcnt_dscnt 0x801
	v_mul_f64_e32 v[133:134], v[2:3], v[28:29]
	v_mul_f64_e32 v[28:29], v[4:5], v[28:29]
	scratch_load_b128 v[22:25], off, off offset:304
	v_add_f64_e32 v[125:126], v[125:126], v[137:138]
	v_add_f64_e32 v[127:128], v[127:128], v[129:130]
	s_wait_loadcnt_dscnt 0x800
	v_mul_f64_e32 v[129:130], v[6:7], v[32:33]
	v_mul_f64_e32 v[32:33], v[8:9], v[32:33]
	v_fma_f64 v[133:134], v[4:5], v[26:27], v[133:134]
	v_fma_f64 v[137:138], v[2:3], v[26:27], -v[28:29]
	ds_load_b128 v[2:5], v1 offset:768
	scratch_load_b128 v[26:29], off, off offset:320
	v_add_f64_e32 v[125:126], v[125:126], v[135:136]
	v_add_f64_e32 v[127:128], v[127:128], v[131:132]
	v_fma_f64 v[129:130], v[8:9], v[30:31], v[129:130]
	v_fma_f64 v[135:136], v[6:7], v[30:31], -v[32:33]
	ds_load_b128 v[6:9], v1 offset:784
	s_wait_loadcnt_dscnt 0x801
	v_mul_f64_e32 v[131:132], v[2:3], v[36:37]
	v_mul_f64_e32 v[36:37], v[4:5], v[36:37]
	scratch_load_b128 v[30:33], off, off offset:336
	v_add_f64_e32 v[125:126], v[125:126], v[137:138]
	v_add_f64_e32 v[127:128], v[127:128], v[133:134]
	s_wait_loadcnt_dscnt 0x800
	v_mul_f64_e32 v[133:134], v[6:7], v[123:124]
	v_mul_f64_e32 v[123:124], v[8:9], v[123:124]
	v_fma_f64 v[131:132], v[4:5], v[34:35], v[131:132]
	v_fma_f64 v[137:138], v[2:3], v[34:35], -v[36:37]
	ds_load_b128 v[2:5], v1 offset:800
	scratch_load_b128 v[34:37], off, off offset:352
	v_add_f64_e32 v[125:126], v[125:126], v[135:136]
	v_add_f64_e32 v[127:128], v[127:128], v[129:130]
	v_fma_f64 v[133:134], v[8:9], v[121:122], v[133:134]
	v_fma_f64 v[135:136], v[6:7], v[121:122], -v[123:124]
	ds_load_b128 v[6:9], v1 offset:816
	scratch_load_b128 v[121:124], off, off offset:368
	s_wait_loadcnt_dscnt 0x901
	v_mul_f64_e32 v[129:130], v[2:3], v[115:116]
	v_mul_f64_e32 v[115:116], v[4:5], v[115:116]
	v_add_f64_e32 v[125:126], v[125:126], v[137:138]
	v_add_f64_e32 v[127:128], v[127:128], v[131:132]
	s_wait_loadcnt_dscnt 0x800
	v_mul_f64_e32 v[131:132], v[6:7], v[119:120]
	v_mul_f64_e32 v[119:120], v[8:9], v[119:120]
	v_fma_f64 v[129:130], v[4:5], v[113:114], v[129:130]
	v_fma_f64 v[137:138], v[2:3], v[113:114], -v[115:116]
	ds_load_b128 v[2:5], v1 offset:832
	scratch_load_b128 v[113:116], off, off offset:384
	v_add_f64_e32 v[125:126], v[125:126], v[135:136]
	v_add_f64_e32 v[127:128], v[127:128], v[133:134]
	v_fma_f64 v[131:132], v[8:9], v[117:118], v[131:132]
	v_fma_f64 v[135:136], v[6:7], v[117:118], -v[119:120]
	ds_load_b128 v[6:9], v1 offset:848
	s_wait_loadcnt_dscnt 0x801
	v_mul_f64_e32 v[133:134], v[2:3], v[12:13]
	v_mul_f64_e32 v[12:13], v[4:5], v[12:13]
	scratch_load_b128 v[117:120], off, off offset:400
	v_add_f64_e32 v[125:126], v[125:126], v[137:138]
	v_add_f64_e32 v[127:128], v[127:128], v[129:130]
	s_wait_loadcnt_dscnt 0x800
	v_mul_f64_e32 v[129:130], v[6:7], v[16:17]
	v_mul_f64_e32 v[16:17], v[8:9], v[16:17]
	v_fma_f64 v[133:134], v[4:5], v[10:11], v[133:134]
	v_fma_f64 v[137:138], v[2:3], v[10:11], -v[12:13]
	ds_load_b128 v[2:5], v1 offset:864
	scratch_load_b128 v[10:13], off, off offset:416
	v_add_f64_e32 v[125:126], v[125:126], v[135:136]
	v_add_f64_e32 v[127:128], v[127:128], v[131:132]
	v_fma_f64 v[129:130], v[8:9], v[14:15], v[129:130]
	v_fma_f64 v[135:136], v[6:7], v[14:15], -v[16:17]
	ds_load_b128 v[6:9], v1 offset:880
	s_wait_loadcnt_dscnt 0x801
	v_mul_f64_e32 v[131:132], v[2:3], v[20:21]
	v_mul_f64_e32 v[20:21], v[4:5], v[20:21]
	scratch_load_b128 v[14:17], off, off offset:432
	v_add_f64_e32 v[125:126], v[125:126], v[137:138]
	v_add_f64_e32 v[127:128], v[127:128], v[133:134]
	s_wait_loadcnt_dscnt 0x800
	v_mul_f64_e32 v[133:134], v[6:7], v[24:25]
	v_mul_f64_e32 v[24:25], v[8:9], v[24:25]
	v_fma_f64 v[131:132], v[4:5], v[18:19], v[131:132]
	v_fma_f64 v[137:138], v[2:3], v[18:19], -v[20:21]
	ds_load_b128 v[2:5], v1 offset:896
	scratch_load_b128 v[18:21], off, off offset:448
	v_add_f64_e32 v[125:126], v[125:126], v[135:136]
	v_add_f64_e32 v[127:128], v[127:128], v[129:130]
	v_fma_f64 v[133:134], v[8:9], v[22:23], v[133:134]
	v_fma_f64 v[135:136], v[6:7], v[22:23], -v[24:25]
	ds_load_b128 v[6:9], v1 offset:912
	s_wait_loadcnt_dscnt 0x801
	v_mul_f64_e32 v[129:130], v[2:3], v[28:29]
	v_mul_f64_e32 v[28:29], v[4:5], v[28:29]
	scratch_load_b128 v[22:25], off, off offset:464
	v_add_f64_e32 v[125:126], v[125:126], v[137:138]
	v_add_f64_e32 v[127:128], v[127:128], v[131:132]
	s_wait_loadcnt_dscnt 0x800
	v_mul_f64_e32 v[131:132], v[6:7], v[32:33]
	v_mul_f64_e32 v[32:33], v[8:9], v[32:33]
	v_fma_f64 v[129:130], v[4:5], v[26:27], v[129:130]
	v_fma_f64 v[137:138], v[2:3], v[26:27], -v[28:29]
	ds_load_b128 v[2:5], v1 offset:928
	scratch_load_b128 v[26:29], off, off offset:480
	v_add_f64_e32 v[125:126], v[125:126], v[135:136]
	v_add_f64_e32 v[127:128], v[127:128], v[133:134]
	v_fma_f64 v[131:132], v[8:9], v[30:31], v[131:132]
	v_fma_f64 v[135:136], v[6:7], v[30:31], -v[32:33]
	ds_load_b128 v[6:9], v1 offset:944
	s_wait_loadcnt_dscnt 0x801
	v_mul_f64_e32 v[133:134], v[2:3], v[36:37]
	v_mul_f64_e32 v[36:37], v[4:5], v[36:37]
	scratch_load_b128 v[30:33], off, off offset:496
	v_add_f64_e32 v[125:126], v[125:126], v[137:138]
	v_add_f64_e32 v[127:128], v[127:128], v[129:130]
	s_wait_loadcnt_dscnt 0x800
	v_mul_f64_e32 v[129:130], v[6:7], v[123:124]
	v_mul_f64_e32 v[123:124], v[8:9], v[123:124]
	v_fma_f64 v[133:134], v[4:5], v[34:35], v[133:134]
	v_fma_f64 v[137:138], v[2:3], v[34:35], -v[36:37]
	ds_load_b128 v[2:5], v1 offset:960
	scratch_load_b128 v[34:37], off, off offset:512
	v_add_f64_e32 v[125:126], v[125:126], v[135:136]
	v_add_f64_e32 v[127:128], v[127:128], v[131:132]
	v_fma_f64 v[129:130], v[8:9], v[121:122], v[129:130]
	v_fma_f64 v[135:136], v[6:7], v[121:122], -v[123:124]
	ds_load_b128 v[6:9], v1 offset:976
	s_wait_loadcnt_dscnt 0x801
	v_mul_f64_e32 v[131:132], v[2:3], v[115:116]
	v_mul_f64_e32 v[115:116], v[4:5], v[115:116]
	scratch_load_b128 v[121:124], off, off offset:528
	v_add_f64_e32 v[125:126], v[125:126], v[137:138]
	v_add_f64_e32 v[127:128], v[127:128], v[133:134]
	s_wait_loadcnt_dscnt 0x800
	v_mul_f64_e32 v[133:134], v[6:7], v[119:120]
	v_mul_f64_e32 v[119:120], v[8:9], v[119:120]
	v_fma_f64 v[131:132], v[4:5], v[113:114], v[131:132]
	v_fma_f64 v[137:138], v[2:3], v[113:114], -v[115:116]
	ds_load_b128 v[2:5], v1 offset:992
	scratch_load_b128 v[113:116], off, off offset:544
	v_add_f64_e32 v[125:126], v[125:126], v[135:136]
	v_add_f64_e32 v[127:128], v[127:128], v[129:130]
	v_fma_f64 v[133:134], v[8:9], v[117:118], v[133:134]
	v_fma_f64 v[135:136], v[6:7], v[117:118], -v[119:120]
	ds_load_b128 v[6:9], v1 offset:1008
	s_wait_loadcnt_dscnt 0x801
	v_mul_f64_e32 v[129:130], v[2:3], v[12:13]
	v_mul_f64_e32 v[12:13], v[4:5], v[12:13]
	scratch_load_b128 v[117:120], off, off offset:560
	v_add_f64_e32 v[125:126], v[125:126], v[137:138]
	v_add_f64_e32 v[127:128], v[127:128], v[131:132]
	s_wait_loadcnt_dscnt 0x800
	v_mul_f64_e32 v[131:132], v[6:7], v[16:17]
	v_mul_f64_e32 v[16:17], v[8:9], v[16:17]
	v_fma_f64 v[129:130], v[4:5], v[10:11], v[129:130]
	v_fma_f64 v[137:138], v[2:3], v[10:11], -v[12:13]
	ds_load_b128 v[2:5], v1 offset:1024
	scratch_load_b128 v[10:13], off, off offset:576
	v_add_f64_e32 v[125:126], v[125:126], v[135:136]
	v_add_f64_e32 v[127:128], v[127:128], v[133:134]
	v_fma_f64 v[131:132], v[8:9], v[14:15], v[131:132]
	v_fma_f64 v[135:136], v[6:7], v[14:15], -v[16:17]
	ds_load_b128 v[6:9], v1 offset:1040
	s_wait_loadcnt_dscnt 0x801
	v_mul_f64_e32 v[133:134], v[2:3], v[20:21]
	v_mul_f64_e32 v[20:21], v[4:5], v[20:21]
	scratch_load_b128 v[14:17], off, off offset:592
	v_add_f64_e32 v[125:126], v[125:126], v[137:138]
	v_add_f64_e32 v[127:128], v[127:128], v[129:130]
	s_wait_loadcnt_dscnt 0x800
	v_mul_f64_e32 v[129:130], v[6:7], v[24:25]
	v_mul_f64_e32 v[24:25], v[8:9], v[24:25]
	v_fma_f64 v[133:134], v[4:5], v[18:19], v[133:134]
	v_fma_f64 v[18:19], v[2:3], v[18:19], -v[20:21]
	ds_load_b128 v[2:5], v1 offset:1056
	v_add_f64_e32 v[20:21], v[125:126], v[135:136]
	v_add_f64_e32 v[125:126], v[127:128], v[131:132]
	v_fma_f64 v[129:130], v[8:9], v[22:23], v[129:130]
	v_fma_f64 v[22:23], v[6:7], v[22:23], -v[24:25]
	ds_load_b128 v[6:9], v1 offset:1072
	s_wait_loadcnt_dscnt 0x701
	v_mul_f64_e32 v[127:128], v[2:3], v[28:29]
	v_mul_f64_e32 v[28:29], v[4:5], v[28:29]
	v_add_f64_e32 v[18:19], v[20:21], v[18:19]
	v_add_f64_e32 v[20:21], v[125:126], v[133:134]
	s_delay_alu instid0(VALU_DEP_4) | instskip(NEXT) | instid1(VALU_DEP_4)
	v_fma_f64 v[125:126], v[4:5], v[26:27], v[127:128]
	v_fma_f64 v[26:27], v[2:3], v[26:27], -v[28:29]
	ds_load_b128 v[2:5], v1 offset:1088
	v_add_f64_e32 v[22:23], v[18:19], v[22:23]
	v_add_f64_e32 v[28:29], v[20:21], v[129:130]
	scratch_load_b128 v[18:21], off, off offset:48
	s_wait_loadcnt_dscnt 0x701
	v_mul_f64_e32 v[24:25], v[6:7], v[32:33]
	v_mul_f64_e32 v[32:33], v[8:9], v[32:33]
	v_add_f64_e32 v[22:23], v[22:23], v[26:27]
	v_add_f64_e32 v[26:27], v[28:29], v[125:126]
	s_delay_alu instid0(VALU_DEP_4) | instskip(NEXT) | instid1(VALU_DEP_4)
	v_fma_f64 v[24:25], v[8:9], v[30:31], v[24:25]
	v_fma_f64 v[30:31], v[6:7], v[30:31], -v[32:33]
	ds_load_b128 v[6:9], v1 offset:1104
	s_wait_loadcnt_dscnt 0x601
	v_mul_f64_e32 v[127:128], v[2:3], v[36:37]
	v_mul_f64_e32 v[36:37], v[4:5], v[36:37]
	s_wait_loadcnt_dscnt 0x500
	v_mul_f64_e32 v[28:29], v[6:7], v[123:124]
	v_mul_f64_e32 v[32:33], v[8:9], v[123:124]
	v_add_f64_e32 v[24:25], v[26:27], v[24:25]
	v_add_f64_e32 v[22:23], v[22:23], v[30:31]
	v_fma_f64 v[123:124], v[4:5], v[34:35], v[127:128]
	v_fma_f64 v[34:35], v[2:3], v[34:35], -v[36:37]
	ds_load_b128 v[2:5], v1 offset:1120
	v_fma_f64 v[28:29], v[8:9], v[121:122], v[28:29]
	v_fma_f64 v[32:33], v[6:7], v[121:122], -v[32:33]
	ds_load_b128 v[6:9], v1 offset:1136
	s_wait_loadcnt_dscnt 0x401
	v_mul_f64_e32 v[26:27], v[2:3], v[115:116]
	v_mul_f64_e32 v[30:31], v[4:5], v[115:116]
	v_add_f64_e32 v[24:25], v[24:25], v[123:124]
	v_add_f64_e32 v[22:23], v[22:23], v[34:35]
	s_wait_loadcnt_dscnt 0x300
	v_mul_f64_e32 v[34:35], v[6:7], v[119:120]
	v_mul_f64_e32 v[36:37], v[8:9], v[119:120]
	v_fma_f64 v[26:27], v[4:5], v[113:114], v[26:27]
	v_fma_f64 v[30:31], v[2:3], v[113:114], -v[30:31]
	ds_load_b128 v[2:5], v1 offset:1152
	v_add_f64_e32 v[24:25], v[24:25], v[28:29]
	v_add_f64_e32 v[22:23], v[22:23], v[32:33]
	v_fma_f64 v[32:33], v[8:9], v[117:118], v[34:35]
	v_fma_f64 v[34:35], v[6:7], v[117:118], -v[36:37]
	ds_load_b128 v[6:9], v1 offset:1168
	s_wait_loadcnt_dscnt 0x201
	v_mul_f64_e32 v[28:29], v[2:3], v[12:13]
	v_mul_f64_e32 v[12:13], v[4:5], v[12:13]
	v_add_f64_e32 v[24:25], v[24:25], v[26:27]
	v_add_f64_e32 v[22:23], v[22:23], v[30:31]
	s_wait_loadcnt_dscnt 0x100
	v_mul_f64_e32 v[26:27], v[6:7], v[16:17]
	v_mul_f64_e32 v[16:17], v[8:9], v[16:17]
	v_fma_f64 v[4:5], v[4:5], v[10:11], v[28:29]
	v_fma_f64 v[1:2], v[2:3], v[10:11], -v[12:13]
	v_add_f64_e32 v[12:13], v[24:25], v[32:33]
	v_add_f64_e32 v[10:11], v[22:23], v[34:35]
	v_fma_f64 v[8:9], v[8:9], v[14:15], v[26:27]
	v_fma_f64 v[6:7], v[6:7], v[14:15], -v[16:17]
	s_delay_alu instid0(VALU_DEP_4) | instskip(NEXT) | instid1(VALU_DEP_4)
	v_add_f64_e32 v[3:4], v[12:13], v[4:5]
	v_add_f64_e32 v[1:2], v[10:11], v[1:2]
	s_delay_alu instid0(VALU_DEP_2) | instskip(NEXT) | instid1(VALU_DEP_2)
	v_add_f64_e32 v[3:4], v[3:4], v[8:9]
	v_add_f64_e32 v[1:2], v[1:2], v[6:7]
	s_wait_loadcnt 0x0
	s_delay_alu instid0(VALU_DEP_2) | instskip(NEXT) | instid1(VALU_DEP_2)
	v_add_f64_e64 v[3:4], v[20:21], -v[3:4]
	v_add_f64_e64 v[1:2], v[18:19], -v[1:2]
	scratch_store_b128 off, v[1:4], off offset:48
	v_cmpx_lt_u32_e32 1, v0
	s_cbranch_execz .LBB36_233
; %bb.232:
	scratch_load_b128 v[1:4], off, s36
	v_mov_b32_e32 v5, 0
	s_delay_alu instid0(VALU_DEP_1)
	v_dual_mov_b32 v6, v5 :: v_dual_mov_b32 v7, v5
	v_mov_b32_e32 v8, v5
	scratch_store_b128 off, v[5:8], off offset:32
	s_wait_loadcnt 0x0
	ds_store_b128 v112, v[1:4]
.LBB36_233:
	s_wait_alu 0xfffe
	s_or_b32 exec_lo, exec_lo, s0
	s_wait_storecnt_dscnt 0x0
	s_barrier_signal -1
	s_barrier_wait -1
	global_inv scope:SCOPE_SE
	s_clause 0x7
	scratch_load_b128 v[2:5], off, off offset:48
	scratch_load_b128 v[6:9], off, off offset:64
	;; [unrolled: 1-line block ×8, first 2 shown]
	v_mov_b32_e32 v1, 0
	s_clause 0x1
	scratch_load_b128 v[34:37], off, off offset:176
	scratch_load_b128 v[121:124], off, off offset:192
	s_mov_b32 s0, exec_lo
	ds_load_b128 v[113:116], v1 offset:624
	ds_load_b128 v[117:120], v1 offset:640
	s_wait_loadcnt_dscnt 0x901
	v_mul_f64_e32 v[125:126], v[115:116], v[4:5]
	v_mul_f64_e32 v[4:5], v[113:114], v[4:5]
	s_wait_loadcnt_dscnt 0x800
	v_mul_f64_e32 v[127:128], v[117:118], v[8:9]
	v_mul_f64_e32 v[8:9], v[119:120], v[8:9]
	s_delay_alu instid0(VALU_DEP_4) | instskip(NEXT) | instid1(VALU_DEP_4)
	v_fma_f64 v[125:126], v[113:114], v[2:3], -v[125:126]
	v_fma_f64 v[129:130], v[115:116], v[2:3], v[4:5]
	ds_load_b128 v[2:5], v1 offset:656
	scratch_load_b128 v[113:116], off, off offset:208
	v_fma_f64 v[127:128], v[119:120], v[6:7], v[127:128]
	v_fma_f64 v[133:134], v[117:118], v[6:7], -v[8:9]
	ds_load_b128 v[6:9], v1 offset:672
	scratch_load_b128 v[117:120], off, off offset:224
	s_wait_loadcnt_dscnt 0x901
	v_mul_f64_e32 v[131:132], v[2:3], v[12:13]
	v_mul_f64_e32 v[12:13], v[4:5], v[12:13]
	s_wait_loadcnt_dscnt 0x800
	v_mul_f64_e32 v[135:136], v[6:7], v[16:17]
	v_mul_f64_e32 v[16:17], v[8:9], v[16:17]
	v_add_f64_e32 v[125:126], 0, v[125:126]
	v_add_f64_e32 v[129:130], 0, v[129:130]
	v_fma_f64 v[131:132], v[4:5], v[10:11], v[131:132]
	v_fma_f64 v[137:138], v[2:3], v[10:11], -v[12:13]
	ds_load_b128 v[2:5], v1 offset:688
	scratch_load_b128 v[10:13], off, off offset:240
	v_add_f64_e32 v[125:126], v[125:126], v[133:134]
	v_add_f64_e32 v[127:128], v[129:130], v[127:128]
	v_fma_f64 v[133:134], v[8:9], v[14:15], v[135:136]
	v_fma_f64 v[135:136], v[6:7], v[14:15], -v[16:17]
	ds_load_b128 v[6:9], v1 offset:704
	scratch_load_b128 v[14:17], off, off offset:256
	s_wait_loadcnt_dscnt 0x901
	v_mul_f64_e32 v[129:130], v[2:3], v[20:21]
	v_mul_f64_e32 v[20:21], v[4:5], v[20:21]
	v_add_f64_e32 v[125:126], v[125:126], v[137:138]
	v_add_f64_e32 v[127:128], v[127:128], v[131:132]
	s_wait_loadcnt_dscnt 0x800
	v_mul_f64_e32 v[131:132], v[6:7], v[24:25]
	v_mul_f64_e32 v[24:25], v[8:9], v[24:25]
	v_fma_f64 v[129:130], v[4:5], v[18:19], v[129:130]
	v_fma_f64 v[137:138], v[2:3], v[18:19], -v[20:21]
	ds_load_b128 v[2:5], v1 offset:720
	scratch_load_b128 v[18:21], off, off offset:272
	v_add_f64_e32 v[125:126], v[125:126], v[135:136]
	v_add_f64_e32 v[127:128], v[127:128], v[133:134]
	v_fma_f64 v[131:132], v[8:9], v[22:23], v[131:132]
	v_fma_f64 v[135:136], v[6:7], v[22:23], -v[24:25]
	ds_load_b128 v[6:9], v1 offset:736
	s_wait_loadcnt_dscnt 0x801
	v_mul_f64_e32 v[133:134], v[2:3], v[28:29]
	v_mul_f64_e32 v[28:29], v[4:5], v[28:29]
	scratch_load_b128 v[22:25], off, off offset:288
	v_add_f64_e32 v[125:126], v[125:126], v[137:138]
	v_add_f64_e32 v[127:128], v[127:128], v[129:130]
	s_wait_loadcnt_dscnt 0x800
	v_mul_f64_e32 v[129:130], v[6:7], v[32:33]
	v_mul_f64_e32 v[32:33], v[8:9], v[32:33]
	v_fma_f64 v[133:134], v[4:5], v[26:27], v[133:134]
	v_fma_f64 v[137:138], v[2:3], v[26:27], -v[28:29]
	ds_load_b128 v[2:5], v1 offset:752
	scratch_load_b128 v[26:29], off, off offset:304
	v_add_f64_e32 v[125:126], v[125:126], v[135:136]
	v_add_f64_e32 v[127:128], v[127:128], v[131:132]
	v_fma_f64 v[129:130], v[8:9], v[30:31], v[129:130]
	v_fma_f64 v[135:136], v[6:7], v[30:31], -v[32:33]
	ds_load_b128 v[6:9], v1 offset:768
	s_wait_loadcnt_dscnt 0x801
	v_mul_f64_e32 v[131:132], v[2:3], v[36:37]
	v_mul_f64_e32 v[36:37], v[4:5], v[36:37]
	scratch_load_b128 v[30:33], off, off offset:320
	v_add_f64_e32 v[125:126], v[125:126], v[137:138]
	v_add_f64_e32 v[127:128], v[127:128], v[133:134]
	s_wait_loadcnt_dscnt 0x800
	v_mul_f64_e32 v[133:134], v[6:7], v[123:124]
	v_mul_f64_e32 v[123:124], v[8:9], v[123:124]
	v_fma_f64 v[131:132], v[4:5], v[34:35], v[131:132]
	v_fma_f64 v[137:138], v[2:3], v[34:35], -v[36:37]
	ds_load_b128 v[2:5], v1 offset:784
	scratch_load_b128 v[34:37], off, off offset:336
	v_add_f64_e32 v[125:126], v[125:126], v[135:136]
	v_add_f64_e32 v[127:128], v[127:128], v[129:130]
	v_fma_f64 v[133:134], v[8:9], v[121:122], v[133:134]
	v_fma_f64 v[135:136], v[6:7], v[121:122], -v[123:124]
	ds_load_b128 v[6:9], v1 offset:800
	scratch_load_b128 v[121:124], off, off offset:352
	s_wait_loadcnt_dscnt 0x901
	v_mul_f64_e32 v[129:130], v[2:3], v[115:116]
	v_mul_f64_e32 v[115:116], v[4:5], v[115:116]
	v_add_f64_e32 v[125:126], v[125:126], v[137:138]
	v_add_f64_e32 v[127:128], v[127:128], v[131:132]
	s_wait_loadcnt_dscnt 0x800
	v_mul_f64_e32 v[131:132], v[6:7], v[119:120]
	v_mul_f64_e32 v[119:120], v[8:9], v[119:120]
	v_fma_f64 v[129:130], v[4:5], v[113:114], v[129:130]
	v_fma_f64 v[137:138], v[2:3], v[113:114], -v[115:116]
	ds_load_b128 v[2:5], v1 offset:816
	scratch_load_b128 v[113:116], off, off offset:368
	v_add_f64_e32 v[125:126], v[125:126], v[135:136]
	v_add_f64_e32 v[127:128], v[127:128], v[133:134]
	v_fma_f64 v[131:132], v[8:9], v[117:118], v[131:132]
	v_fma_f64 v[135:136], v[6:7], v[117:118], -v[119:120]
	ds_load_b128 v[6:9], v1 offset:832
	s_wait_loadcnt_dscnt 0x801
	v_mul_f64_e32 v[133:134], v[2:3], v[12:13]
	v_mul_f64_e32 v[12:13], v[4:5], v[12:13]
	scratch_load_b128 v[117:120], off, off offset:384
	v_add_f64_e32 v[125:126], v[125:126], v[137:138]
	v_add_f64_e32 v[127:128], v[127:128], v[129:130]
	s_wait_loadcnt_dscnt 0x800
	v_mul_f64_e32 v[129:130], v[6:7], v[16:17]
	v_mul_f64_e32 v[16:17], v[8:9], v[16:17]
	v_fma_f64 v[133:134], v[4:5], v[10:11], v[133:134]
	v_fma_f64 v[137:138], v[2:3], v[10:11], -v[12:13]
	ds_load_b128 v[2:5], v1 offset:848
	scratch_load_b128 v[10:13], off, off offset:400
	v_add_f64_e32 v[125:126], v[125:126], v[135:136]
	v_add_f64_e32 v[127:128], v[127:128], v[131:132]
	v_fma_f64 v[129:130], v[8:9], v[14:15], v[129:130]
	v_fma_f64 v[135:136], v[6:7], v[14:15], -v[16:17]
	ds_load_b128 v[6:9], v1 offset:864
	s_wait_loadcnt_dscnt 0x801
	v_mul_f64_e32 v[131:132], v[2:3], v[20:21]
	v_mul_f64_e32 v[20:21], v[4:5], v[20:21]
	scratch_load_b128 v[14:17], off, off offset:416
	;; [unrolled: 18-line block ×7, first 2 shown]
	v_add_f64_e32 v[125:126], v[125:126], v[137:138]
	v_add_f64_e32 v[127:128], v[127:128], v[129:130]
	s_wait_loadcnt_dscnt 0x800
	v_mul_f64_e32 v[129:130], v[6:7], v[24:25]
	v_mul_f64_e32 v[24:25], v[8:9], v[24:25]
	v_fma_f64 v[133:134], v[4:5], v[18:19], v[133:134]
	v_fma_f64 v[137:138], v[2:3], v[18:19], -v[20:21]
	ds_load_b128 v[2:5], v1 offset:1040
	scratch_load_b128 v[18:21], off, off offset:592
	v_add_f64_e32 v[125:126], v[125:126], v[135:136]
	v_add_f64_e32 v[127:128], v[127:128], v[131:132]
	v_fma_f64 v[129:130], v[8:9], v[22:23], v[129:130]
	v_fma_f64 v[22:23], v[6:7], v[22:23], -v[24:25]
	ds_load_b128 v[6:9], v1 offset:1056
	s_wait_loadcnt_dscnt 0x801
	v_mul_f64_e32 v[131:132], v[2:3], v[28:29]
	v_mul_f64_e32 v[28:29], v[4:5], v[28:29]
	v_add_f64_e32 v[24:25], v[125:126], v[137:138]
	v_add_f64_e32 v[125:126], v[127:128], v[133:134]
	s_wait_loadcnt_dscnt 0x700
	v_mul_f64_e32 v[127:128], v[6:7], v[32:33]
	v_mul_f64_e32 v[32:33], v[8:9], v[32:33]
	v_fma_f64 v[131:132], v[4:5], v[26:27], v[131:132]
	v_fma_f64 v[26:27], v[2:3], v[26:27], -v[28:29]
	ds_load_b128 v[2:5], v1 offset:1072
	v_add_f64_e32 v[22:23], v[24:25], v[22:23]
	v_add_f64_e32 v[24:25], v[125:126], v[129:130]
	v_fma_f64 v[125:126], v[8:9], v[30:31], v[127:128]
	v_fma_f64 v[30:31], v[6:7], v[30:31], -v[32:33]
	ds_load_b128 v[6:9], v1 offset:1088
	s_wait_loadcnt_dscnt 0x500
	v_mul_f64_e32 v[127:128], v[6:7], v[123:124]
	v_mul_f64_e32 v[123:124], v[8:9], v[123:124]
	v_add_f64_e32 v[26:27], v[22:23], v[26:27]
	v_add_f64_e32 v[32:33], v[24:25], v[131:132]
	scratch_load_b128 v[22:25], off, off offset:32
	v_mul_f64_e32 v[28:29], v[2:3], v[36:37]
	v_mul_f64_e32 v[36:37], v[4:5], v[36:37]
	v_add_f64_e32 v[26:27], v[26:27], v[30:31]
	v_add_f64_e32 v[30:31], v[32:33], v[125:126]
	s_delay_alu instid0(VALU_DEP_4) | instskip(NEXT) | instid1(VALU_DEP_4)
	v_fma_f64 v[28:29], v[4:5], v[34:35], v[28:29]
	v_fma_f64 v[34:35], v[2:3], v[34:35], -v[36:37]
	ds_load_b128 v[2:5], v1 offset:1104
	s_wait_loadcnt_dscnt 0x500
	v_mul_f64_e32 v[32:33], v[2:3], v[115:116]
	v_mul_f64_e32 v[36:37], v[4:5], v[115:116]
	v_fma_f64 v[115:116], v[8:9], v[121:122], v[127:128]
	v_fma_f64 v[121:122], v[6:7], v[121:122], -v[123:124]
	ds_load_b128 v[6:9], v1 offset:1120
	v_add_f64_e32 v[28:29], v[30:31], v[28:29]
	v_add_f64_e32 v[26:27], v[26:27], v[34:35]
	v_fma_f64 v[32:33], v[4:5], v[113:114], v[32:33]
	v_fma_f64 v[36:37], v[2:3], v[113:114], -v[36:37]
	ds_load_b128 v[2:5], v1 offset:1136
	s_wait_loadcnt_dscnt 0x401
	v_mul_f64_e32 v[30:31], v[6:7], v[119:120]
	v_mul_f64_e32 v[34:35], v[8:9], v[119:120]
	v_add_f64_e32 v[28:29], v[28:29], v[115:116]
	v_add_f64_e32 v[26:27], v[26:27], v[121:122]
	s_wait_loadcnt_dscnt 0x300
	v_mul_f64_e32 v[113:114], v[2:3], v[12:13]
	v_mul_f64_e32 v[12:13], v[4:5], v[12:13]
	v_fma_f64 v[30:31], v[8:9], v[117:118], v[30:31]
	v_fma_f64 v[34:35], v[6:7], v[117:118], -v[34:35]
	ds_load_b128 v[6:9], v1 offset:1152
	v_add_f64_e32 v[28:29], v[28:29], v[32:33]
	v_add_f64_e32 v[26:27], v[26:27], v[36:37]
	v_fma_f64 v[36:37], v[4:5], v[10:11], v[113:114]
	v_fma_f64 v[10:11], v[2:3], v[10:11], -v[12:13]
	ds_load_b128 v[2:5], v1 offset:1168
	s_wait_loadcnt_dscnt 0x201
	v_mul_f64_e32 v[32:33], v[6:7], v[16:17]
	v_mul_f64_e32 v[16:17], v[8:9], v[16:17]
	v_add_f64_e32 v[12:13], v[26:27], v[34:35]
	v_add_f64_e32 v[26:27], v[28:29], v[30:31]
	s_wait_loadcnt_dscnt 0x100
	v_mul_f64_e32 v[28:29], v[2:3], v[20:21]
	v_mul_f64_e32 v[20:21], v[4:5], v[20:21]
	v_fma_f64 v[8:9], v[8:9], v[14:15], v[32:33]
	v_fma_f64 v[6:7], v[6:7], v[14:15], -v[16:17]
	v_add_f64_e32 v[10:11], v[12:13], v[10:11]
	v_add_f64_e32 v[12:13], v[26:27], v[36:37]
	v_fma_f64 v[4:5], v[4:5], v[18:19], v[28:29]
	v_fma_f64 v[2:3], v[2:3], v[18:19], -v[20:21]
	s_delay_alu instid0(VALU_DEP_4) | instskip(NEXT) | instid1(VALU_DEP_4)
	v_add_f64_e32 v[6:7], v[10:11], v[6:7]
	v_add_f64_e32 v[8:9], v[12:13], v[8:9]
	s_delay_alu instid0(VALU_DEP_2) | instskip(NEXT) | instid1(VALU_DEP_2)
	v_add_f64_e32 v[2:3], v[6:7], v[2:3]
	v_add_f64_e32 v[4:5], v[8:9], v[4:5]
	s_wait_loadcnt 0x0
	s_delay_alu instid0(VALU_DEP_2) | instskip(NEXT) | instid1(VALU_DEP_2)
	v_add_f64_e64 v[2:3], v[22:23], -v[2:3]
	v_add_f64_e64 v[4:5], v[24:25], -v[4:5]
	scratch_store_b128 off, v[2:5], off offset:32
	v_cmpx_ne_u32_e32 0, v0
	s_cbranch_execz .LBB36_235
; %bb.234:
	scratch_load_b128 v[5:8], off, off offset:16
	v_dual_mov_b32 v2, v1 :: v_dual_mov_b32 v3, v1
	v_mov_b32_e32 v4, v1
	scratch_store_b128 off, v[1:4], off offset:16
	s_wait_loadcnt 0x0
	ds_store_b128 v112, v[5:8]
.LBB36_235:
	s_wait_alu 0xfffe
	s_or_b32 exec_lo, exec_lo, s0
	s_wait_storecnt_dscnt 0x0
	s_barrier_signal -1
	s_barrier_wait -1
	global_inv scope:SCOPE_SE
	s_clause 0x7
	scratch_load_b128 v[2:5], off, off offset:32
	scratch_load_b128 v[6:9], off, off offset:48
	;; [unrolled: 1-line block ×8, first 2 shown]
	ds_load_b128 v[112:115], v1 offset:608
	ds_load_b128 v[116:119], v1 offset:624
	s_clause 0x1
	scratch_load_b128 v[34:37], off, off offset:160
	scratch_load_b128 v[120:123], off, off offset:176
	s_and_b32 vcc_lo, exec_lo, s18
	s_wait_loadcnt_dscnt 0x901
	v_mul_f64_e32 v[124:125], v[114:115], v[4:5]
	v_mul_f64_e32 v[4:5], v[112:113], v[4:5]
	s_wait_loadcnt_dscnt 0x800
	v_mul_f64_e32 v[126:127], v[116:117], v[8:9]
	v_mul_f64_e32 v[8:9], v[118:119], v[8:9]
	s_delay_alu instid0(VALU_DEP_4) | instskip(NEXT) | instid1(VALU_DEP_4)
	v_fma_f64 v[124:125], v[112:113], v[2:3], -v[124:125]
	v_fma_f64 v[128:129], v[114:115], v[2:3], v[4:5]
	ds_load_b128 v[2:5], v1 offset:640
	scratch_load_b128 v[112:115], off, off offset:192
	v_fma_f64 v[126:127], v[118:119], v[6:7], v[126:127]
	v_fma_f64 v[132:133], v[116:117], v[6:7], -v[8:9]
	ds_load_b128 v[6:9], v1 offset:656
	scratch_load_b128 v[116:119], off, off offset:208
	s_wait_loadcnt_dscnt 0x901
	v_mul_f64_e32 v[130:131], v[2:3], v[12:13]
	v_mul_f64_e32 v[12:13], v[4:5], v[12:13]
	s_wait_loadcnt_dscnt 0x800
	v_mul_f64_e32 v[134:135], v[6:7], v[16:17]
	v_mul_f64_e32 v[16:17], v[8:9], v[16:17]
	v_add_f64_e32 v[124:125], 0, v[124:125]
	v_add_f64_e32 v[128:129], 0, v[128:129]
	v_fma_f64 v[130:131], v[4:5], v[10:11], v[130:131]
	v_fma_f64 v[136:137], v[2:3], v[10:11], -v[12:13]
	ds_load_b128 v[2:5], v1 offset:672
	scratch_load_b128 v[10:13], off, off offset:224
	v_add_f64_e32 v[124:125], v[124:125], v[132:133]
	v_add_f64_e32 v[126:127], v[128:129], v[126:127]
	v_fma_f64 v[132:133], v[8:9], v[14:15], v[134:135]
	v_fma_f64 v[134:135], v[6:7], v[14:15], -v[16:17]
	ds_load_b128 v[6:9], v1 offset:688
	scratch_load_b128 v[14:17], off, off offset:240
	s_wait_loadcnt_dscnt 0x901
	v_mul_f64_e32 v[128:129], v[2:3], v[20:21]
	v_mul_f64_e32 v[20:21], v[4:5], v[20:21]
	v_add_f64_e32 v[124:125], v[124:125], v[136:137]
	v_add_f64_e32 v[126:127], v[126:127], v[130:131]
	s_wait_loadcnt_dscnt 0x800
	v_mul_f64_e32 v[130:131], v[6:7], v[24:25]
	v_mul_f64_e32 v[24:25], v[8:9], v[24:25]
	v_fma_f64 v[128:129], v[4:5], v[18:19], v[128:129]
	v_fma_f64 v[136:137], v[2:3], v[18:19], -v[20:21]
	ds_load_b128 v[2:5], v1 offset:704
	scratch_load_b128 v[18:21], off, off offset:256
	v_add_f64_e32 v[124:125], v[124:125], v[134:135]
	v_add_f64_e32 v[126:127], v[126:127], v[132:133]
	v_fma_f64 v[130:131], v[8:9], v[22:23], v[130:131]
	v_fma_f64 v[134:135], v[6:7], v[22:23], -v[24:25]
	ds_load_b128 v[6:9], v1 offset:720
	s_wait_loadcnt_dscnt 0x801
	v_mul_f64_e32 v[132:133], v[2:3], v[28:29]
	v_mul_f64_e32 v[28:29], v[4:5], v[28:29]
	scratch_load_b128 v[22:25], off, off offset:272
	v_add_f64_e32 v[124:125], v[124:125], v[136:137]
	v_add_f64_e32 v[126:127], v[126:127], v[128:129]
	s_wait_loadcnt_dscnt 0x800
	v_mul_f64_e32 v[128:129], v[6:7], v[32:33]
	v_mul_f64_e32 v[32:33], v[8:9], v[32:33]
	v_fma_f64 v[132:133], v[4:5], v[26:27], v[132:133]
	v_fma_f64 v[136:137], v[2:3], v[26:27], -v[28:29]
	ds_load_b128 v[2:5], v1 offset:736
	scratch_load_b128 v[26:29], off, off offset:288
	v_add_f64_e32 v[124:125], v[124:125], v[134:135]
	v_add_f64_e32 v[126:127], v[126:127], v[130:131]
	v_fma_f64 v[128:129], v[8:9], v[30:31], v[128:129]
	v_fma_f64 v[134:135], v[6:7], v[30:31], -v[32:33]
	ds_load_b128 v[6:9], v1 offset:752
	s_wait_loadcnt_dscnt 0x801
	v_mul_f64_e32 v[130:131], v[2:3], v[36:37]
	v_mul_f64_e32 v[36:37], v[4:5], v[36:37]
	scratch_load_b128 v[30:33], off, off offset:304
	v_add_f64_e32 v[124:125], v[124:125], v[136:137]
	v_add_f64_e32 v[126:127], v[126:127], v[132:133]
	s_wait_loadcnt_dscnt 0x800
	v_mul_f64_e32 v[132:133], v[6:7], v[122:123]
	v_mul_f64_e32 v[122:123], v[8:9], v[122:123]
	v_fma_f64 v[130:131], v[4:5], v[34:35], v[130:131]
	v_fma_f64 v[136:137], v[2:3], v[34:35], -v[36:37]
	ds_load_b128 v[2:5], v1 offset:768
	scratch_load_b128 v[34:37], off, off offset:320
	v_add_f64_e32 v[124:125], v[124:125], v[134:135]
	v_add_f64_e32 v[126:127], v[126:127], v[128:129]
	v_fma_f64 v[132:133], v[8:9], v[120:121], v[132:133]
	v_fma_f64 v[134:135], v[6:7], v[120:121], -v[122:123]
	ds_load_b128 v[6:9], v1 offset:784
	scratch_load_b128 v[120:123], off, off offset:336
	s_wait_loadcnt_dscnt 0x901
	v_mul_f64_e32 v[128:129], v[2:3], v[114:115]
	v_mul_f64_e32 v[114:115], v[4:5], v[114:115]
	v_add_f64_e32 v[124:125], v[124:125], v[136:137]
	v_add_f64_e32 v[126:127], v[126:127], v[130:131]
	s_wait_loadcnt_dscnt 0x800
	v_mul_f64_e32 v[130:131], v[6:7], v[118:119]
	v_mul_f64_e32 v[118:119], v[8:9], v[118:119]
	v_fma_f64 v[128:129], v[4:5], v[112:113], v[128:129]
	v_fma_f64 v[136:137], v[2:3], v[112:113], -v[114:115]
	ds_load_b128 v[2:5], v1 offset:800
	scratch_load_b128 v[112:115], off, off offset:352
	v_add_f64_e32 v[124:125], v[124:125], v[134:135]
	v_add_f64_e32 v[126:127], v[126:127], v[132:133]
	v_fma_f64 v[130:131], v[8:9], v[116:117], v[130:131]
	v_fma_f64 v[134:135], v[6:7], v[116:117], -v[118:119]
	ds_load_b128 v[6:9], v1 offset:816
	s_wait_loadcnt_dscnt 0x801
	v_mul_f64_e32 v[132:133], v[2:3], v[12:13]
	v_mul_f64_e32 v[12:13], v[4:5], v[12:13]
	scratch_load_b128 v[116:119], off, off offset:368
	v_add_f64_e32 v[124:125], v[124:125], v[136:137]
	v_add_f64_e32 v[126:127], v[126:127], v[128:129]
	s_wait_loadcnt_dscnt 0x800
	v_mul_f64_e32 v[128:129], v[6:7], v[16:17]
	v_mul_f64_e32 v[16:17], v[8:9], v[16:17]
	v_fma_f64 v[132:133], v[4:5], v[10:11], v[132:133]
	v_fma_f64 v[136:137], v[2:3], v[10:11], -v[12:13]
	ds_load_b128 v[2:5], v1 offset:832
	scratch_load_b128 v[10:13], off, off offset:384
	v_add_f64_e32 v[124:125], v[124:125], v[134:135]
	v_add_f64_e32 v[126:127], v[126:127], v[130:131]
	v_fma_f64 v[128:129], v[8:9], v[14:15], v[128:129]
	v_fma_f64 v[134:135], v[6:7], v[14:15], -v[16:17]
	ds_load_b128 v[6:9], v1 offset:848
	s_wait_loadcnt_dscnt 0x801
	v_mul_f64_e32 v[130:131], v[2:3], v[20:21]
	v_mul_f64_e32 v[20:21], v[4:5], v[20:21]
	scratch_load_b128 v[14:17], off, off offset:400
	;; [unrolled: 18-line block ×8, first 2 shown]
	v_add_f64_e32 v[124:125], v[124:125], v[136:137]
	v_add_f64_e32 v[126:127], v[126:127], v[132:133]
	s_wait_loadcnt_dscnt 0x800
	v_mul_f64_e32 v[132:133], v[6:7], v[32:33]
	v_mul_f64_e32 v[32:33], v[8:9], v[32:33]
	v_fma_f64 v[130:131], v[4:5], v[26:27], v[130:131]
	v_fma_f64 v[26:27], v[2:3], v[26:27], -v[28:29]
	ds_load_b128 v[2:5], v1 offset:1056
	v_add_f64_e32 v[28:29], v[124:125], v[134:135]
	v_add_f64_e32 v[124:125], v[126:127], v[128:129]
	v_fma_f64 v[128:129], v[8:9], v[30:31], v[132:133]
	v_fma_f64 v[30:31], v[6:7], v[30:31], -v[32:33]
	ds_load_b128 v[6:9], v1 offset:1072
	s_wait_loadcnt_dscnt 0x701
	v_mul_f64_e32 v[126:127], v[2:3], v[36:37]
	v_mul_f64_e32 v[36:37], v[4:5], v[36:37]
	v_add_f64_e32 v[26:27], v[28:29], v[26:27]
	v_add_f64_e32 v[28:29], v[124:125], v[130:131]
	s_delay_alu instid0(VALU_DEP_4) | instskip(NEXT) | instid1(VALU_DEP_4)
	v_fma_f64 v[124:125], v[4:5], v[34:35], v[126:127]
	v_fma_f64 v[34:35], v[2:3], v[34:35], -v[36:37]
	ds_load_b128 v[2:5], v1 offset:1088
	v_add_f64_e32 v[30:31], v[26:27], v[30:31]
	v_add_f64_e32 v[36:37], v[28:29], v[128:129]
	scratch_load_b128 v[26:29], off, off offset:16
	s_wait_loadcnt_dscnt 0x701
	v_mul_f64_e32 v[32:33], v[6:7], v[122:123]
	v_mul_f64_e32 v[122:123], v[8:9], v[122:123]
	v_add_f64_e32 v[30:31], v[30:31], v[34:35]
	v_add_f64_e32 v[34:35], v[36:37], v[124:125]
	s_delay_alu instid0(VALU_DEP_4) | instskip(NEXT) | instid1(VALU_DEP_4)
	v_fma_f64 v[32:33], v[8:9], v[120:121], v[32:33]
	v_fma_f64 v[120:121], v[6:7], v[120:121], -v[122:123]
	ds_load_b128 v[6:9], v1 offset:1104
	s_wait_loadcnt_dscnt 0x601
	v_mul_f64_e32 v[126:127], v[2:3], v[114:115]
	v_mul_f64_e32 v[114:115], v[4:5], v[114:115]
	s_wait_loadcnt_dscnt 0x500
	v_mul_f64_e32 v[36:37], v[6:7], v[118:119]
	v_mul_f64_e32 v[118:119], v[8:9], v[118:119]
	v_add_f64_e32 v[32:33], v[34:35], v[32:33]
	v_add_f64_e32 v[30:31], v[30:31], v[120:121]
	v_fma_f64 v[122:123], v[4:5], v[112:113], v[126:127]
	v_fma_f64 v[112:113], v[2:3], v[112:113], -v[114:115]
	ds_load_b128 v[2:5], v1 offset:1120
	v_fma_f64 v[36:37], v[8:9], v[116:117], v[36:37]
	v_fma_f64 v[114:115], v[6:7], v[116:117], -v[118:119]
	ds_load_b128 v[6:9], v1 offset:1136
	s_wait_loadcnt_dscnt 0x401
	v_mul_f64_e32 v[34:35], v[2:3], v[12:13]
	v_mul_f64_e32 v[12:13], v[4:5], v[12:13]
	v_add_f64_e32 v[32:33], v[32:33], v[122:123]
	v_add_f64_e32 v[30:31], v[30:31], v[112:113]
	s_wait_loadcnt_dscnt 0x300
	v_mul_f64_e32 v[112:113], v[6:7], v[16:17]
	v_mul_f64_e32 v[16:17], v[8:9], v[16:17]
	v_fma_f64 v[34:35], v[4:5], v[10:11], v[34:35]
	v_fma_f64 v[10:11], v[2:3], v[10:11], -v[12:13]
	ds_load_b128 v[2:5], v1 offset:1152
	v_add_f64_e32 v[12:13], v[30:31], v[114:115]
	v_add_f64_e32 v[30:31], v[32:33], v[36:37]
	v_fma_f64 v[36:37], v[8:9], v[14:15], v[112:113]
	v_fma_f64 v[14:15], v[6:7], v[14:15], -v[16:17]
	ds_load_b128 v[6:9], v1 offset:1168
	s_wait_loadcnt_dscnt 0x201
	v_mul_f64_e32 v[32:33], v[2:3], v[20:21]
	v_mul_f64_e32 v[20:21], v[4:5], v[20:21]
	s_wait_loadcnt_dscnt 0x100
	v_mul_f64_e32 v[0:1], v[6:7], v[24:25]
	v_mul_f64_e32 v[16:17], v[8:9], v[24:25]
	v_add_f64_e32 v[10:11], v[12:13], v[10:11]
	v_add_f64_e32 v[12:13], v[30:31], v[34:35]
	v_fma_f64 v[4:5], v[4:5], v[18:19], v[32:33]
	v_fma_f64 v[2:3], v[2:3], v[18:19], -v[20:21]
	v_fma_f64 v[0:1], v[8:9], v[22:23], v[0:1]
	v_fma_f64 v[6:7], v[6:7], v[22:23], -v[16:17]
	v_add_f64_e32 v[10:11], v[10:11], v[14:15]
	v_add_f64_e32 v[12:13], v[12:13], v[36:37]
	s_delay_alu instid0(VALU_DEP_2) | instskip(NEXT) | instid1(VALU_DEP_2)
	v_add_f64_e32 v[2:3], v[10:11], v[2:3]
	v_add_f64_e32 v[4:5], v[12:13], v[4:5]
	s_delay_alu instid0(VALU_DEP_2) | instskip(NEXT) | instid1(VALU_DEP_2)
	v_add_f64_e32 v[2:3], v[2:3], v[6:7]
	v_add_f64_e32 v[4:5], v[4:5], v[0:1]
	s_wait_loadcnt 0x0
	s_delay_alu instid0(VALU_DEP_2) | instskip(NEXT) | instid1(VALU_DEP_2)
	v_add_f64_e64 v[0:1], v[26:27], -v[2:3]
	v_add_f64_e64 v[2:3], v[28:29], -v[4:5]
	scratch_store_b128 off, v[0:3], off offset:16
	s_wait_alu 0xfffe
	s_cbranch_vccz .LBB36_308
; %bb.236:
	v_mov_b32_e32 v0, 0
	global_load_b32 v1, v0, s[2:3] offset:140
	s_wait_loadcnt 0x0
	v_cmp_ne_u32_e32 vcc_lo, 36, v1
	s_cbranch_vccz .LBB36_238
; %bb.237:
	v_lshlrev_b32_e32 v1, 4, v1
	s_delay_alu instid0(VALU_DEP_1)
	v_add_nc_u32_e32 v9, 16, v1
	s_clause 0x1
	scratch_load_b128 v[1:4], v9, off offset:-16
	scratch_load_b128 v[5:8], off, s9
	s_wait_loadcnt 0x1
	scratch_store_b128 off, v[1:4], s9
	s_wait_loadcnt 0x0
	scratch_store_b128 v9, v[5:8], off offset:-16
.LBB36_238:
	global_load_b32 v0, v0, s[2:3] offset:136
	s_wait_loadcnt 0x0
	v_cmp_eq_u32_e32 vcc_lo, 35, v0
	s_cbranch_vccnz .LBB36_240
; %bb.239:
	v_lshlrev_b32_e32 v0, 4, v0
	s_delay_alu instid0(VALU_DEP_1)
	v_add_nc_u32_e32 v8, 16, v0
	s_clause 0x1
	scratch_load_b128 v[0:3], v8, off offset:-16
	scratch_load_b128 v[4:7], off, s12
	s_wait_loadcnt 0x1
	scratch_store_b128 off, v[0:3], s12
	s_wait_loadcnt 0x0
	scratch_store_b128 v8, v[4:7], off offset:-16
.LBB36_240:
	v_mov_b32_e32 v0, 0
	global_load_b32 v1, v0, s[2:3] offset:132
	s_wait_loadcnt 0x0
	v_cmp_eq_u32_e32 vcc_lo, 34, v1
	s_cbranch_vccnz .LBB36_242
; %bb.241:
	v_lshlrev_b32_e32 v1, 4, v1
	s_delay_alu instid0(VALU_DEP_1)
	v_add_nc_u32_e32 v9, 16, v1
	s_clause 0x1
	scratch_load_b128 v[1:4], v9, off offset:-16
	scratch_load_b128 v[5:8], off, s4
	s_wait_loadcnt 0x1
	scratch_store_b128 off, v[1:4], s4
	s_wait_loadcnt 0x0
	scratch_store_b128 v9, v[5:8], off offset:-16
.LBB36_242:
	global_load_b32 v0, v0, s[2:3] offset:128
	s_wait_loadcnt 0x0
	v_cmp_eq_u32_e32 vcc_lo, 33, v0
	s_cbranch_vccnz .LBB36_244
; %bb.243:
	v_lshlrev_b32_e32 v0, 4, v0
	s_delay_alu instid0(VALU_DEP_1)
	v_add_nc_u32_e32 v8, 16, v0
	s_clause 0x1
	scratch_load_b128 v[0:3], v8, off offset:-16
	scratch_load_b128 v[4:7], off, s10
	s_wait_loadcnt 0x1
	scratch_store_b128 off, v[0:3], s10
	s_wait_loadcnt 0x0
	scratch_store_b128 v8, v[4:7], off offset:-16
.LBB36_244:
	v_mov_b32_e32 v0, 0
	global_load_b32 v1, v0, s[2:3] offset:124
	s_wait_loadcnt 0x0
	v_cmp_eq_u32_e32 vcc_lo, 32, v1
	s_cbranch_vccnz .LBB36_246
; %bb.245:
	v_lshlrev_b32_e32 v1, 4, v1
	s_delay_alu instid0(VALU_DEP_1)
	v_add_nc_u32_e32 v9, 16, v1
	s_clause 0x1
	scratch_load_b128 v[1:4], v9, off offset:-16
	scratch_load_b128 v[5:8], off, s8
	s_wait_loadcnt 0x1
	scratch_store_b128 off, v[1:4], s8
	s_wait_loadcnt 0x0
	scratch_store_b128 v9, v[5:8], off offset:-16
.LBB36_246:
	;; [unrolled: 33-line block ×17, first 2 shown]
	global_load_b32 v0, v0, s[2:3]
	s_wait_loadcnt 0x0
	v_cmp_eq_u32_e32 vcc_lo, 1, v0
	s_cbranch_vccnz .LBB36_308
; %bb.307:
	v_lshlrev_b32_e32 v0, 4, v0
	s_delay_alu instid0(VALU_DEP_1)
	v_add_nc_u32_e32 v8, 16, v0
	scratch_load_b128 v[0:3], v8, off offset:-16
	scratch_load_b128 v[4:7], off, off offset:16
	s_wait_loadcnt 0x1
	scratch_store_b128 off, v[0:3], off offset:16
	s_wait_loadcnt 0x0
	scratch_store_b128 v8, v[4:7], off offset:-16
.LBB36_308:
	scratch_load_b128 v[0:3], off, off offset:16
	s_clause 0xd
	scratch_load_b128 v[4:7], off, s36
	scratch_load_b128 v[8:11], off, s35
	;; [unrolled: 1-line block ×14, first 2 shown]
	s_wait_loadcnt 0xe
	global_store_b128 v[38:39], v[0:3], off
	s_clause 0x1
	scratch_load_b128 v[0:3], off, s31
	scratch_load_b128 v[36:39], off, s29
	s_wait_loadcnt 0xf
	global_store_b128 v[40:41], v[4:7], off
	s_clause 0x1
	scratch_load_b128 v[4:7], off, s27
	scratch_load_b128 v[136:139], off, s28
	s_wait_loadcnt 0x10
	global_store_b128 v[42:43], v[8:11], off
	s_clause 0x1
	scratch_load_b128 v[8:11], off, s26
	scratch_load_b128 v[40:43], off, s25
	s_wait_loadcnt 0x11
	global_store_b128 v[44:45], v[12:15], off
	s_wait_loadcnt 0x10
	global_store_b128 v[46:47], v[16:19], off
	s_clause 0x1
	scratch_load_b128 v[12:15], off, s24
	scratch_load_b128 v[16:19], off, s23
	s_wait_loadcnt 0x11
	global_store_b128 v[58:59], v[20:23], off
	s_clause 0x1
	scratch_load_b128 v[20:23], off, s15
	scratch_load_b128 v[44:47], off, s19
	s_wait_loadcnt 0x12
	global_store_b128 v[50:51], v[24:27], off
	s_clause 0x1
	scratch_load_b128 v[24:27], off, s22
	scratch_load_b128 v[140:143], off, s21
	s_wait_loadcnt 0x13
	global_store_b128 v[48:49], v[28:31], off
	s_wait_loadcnt 0x12
	global_store_b128 v[60:61], v[32:35], off
	s_clause 0x1
	scratch_load_b128 v[28:31], off, s20
	scratch_load_b128 v[32:35], off, s14
	s_wait_loadcnt 0x13
	global_store_b128 v[52:53], v[112:115], off
	s_clause 0x1
	scratch_load_b128 v[48:51], off, s5
	scratch_load_b128 v[58:61], off, s11
	s_wait_loadcnt 0x14
	global_store_b128 v[54:55], v[116:119], off
	s_clause 0x1
	scratch_load_b128 v[52:55], off, s8
	scratch_load_b128 v[112:115], off, s10
	s_wait_loadcnt 0x15
	global_store_b128 v[56:57], v[120:123], off
	s_wait_loadcnt 0x14
	global_store_b128 v[62:63], v[124:127], off
	s_clause 0x1
	scratch_load_b128 v[116:119], off, s4
	scratch_load_b128 v[120:123], off, s12
	s_wait_loadcnt 0x15
	global_store_b128 v[64:65], v[128:131], off
	s_clause 0x1
	scratch_load_b128 v[62:65], off, s9
	scratch_load_b128 v[124:127], off, s13
	s_wait_loadcnt 0x16
	global_store_b128 v[66:67], v[132:135], off
	s_wait_loadcnt 0x15
	global_store_b128 v[68:69], v[0:3], off
	;; [unrolled: 2-line block ×23, first 2 shown]
	s_nop 0
	s_sendmsg sendmsg(MSG_DEALLOC_VGPRS)
	s_endpgm
	.section	.rodata,"a",@progbits
	.p2align	6, 0x0
	.amdhsa_kernel _ZN9rocsolver6v33100L18getri_kernel_smallILi37E19rocblas_complex_numIdEPS3_EEvT1_iilPiilS6_bb
		.amdhsa_group_segment_fixed_size 1192
		.amdhsa_private_segment_fixed_size 624
		.amdhsa_kernarg_size 60
		.amdhsa_user_sgpr_count 2
		.amdhsa_user_sgpr_dispatch_ptr 0
		.amdhsa_user_sgpr_queue_ptr 0
		.amdhsa_user_sgpr_kernarg_segment_ptr 1
		.amdhsa_user_sgpr_dispatch_id 0
		.amdhsa_user_sgpr_private_segment_size 0
		.amdhsa_wavefront_size32 1
		.amdhsa_uses_dynamic_stack 0
		.amdhsa_enable_private_segment 1
		.amdhsa_system_sgpr_workgroup_id_x 1
		.amdhsa_system_sgpr_workgroup_id_y 0
		.amdhsa_system_sgpr_workgroup_id_z 0
		.amdhsa_system_sgpr_workgroup_info 0
		.amdhsa_system_vgpr_workitem_id 0
		.amdhsa_next_free_vgpr 144
		.amdhsa_next_free_sgpr 55
		.amdhsa_reserve_vcc 1
		.amdhsa_float_round_mode_32 0
		.amdhsa_float_round_mode_16_64 0
		.amdhsa_float_denorm_mode_32 3
		.amdhsa_float_denorm_mode_16_64 3
		.amdhsa_fp16_overflow 0
		.amdhsa_workgroup_processor_mode 1
		.amdhsa_memory_ordered 1
		.amdhsa_forward_progress 1
		.amdhsa_inst_pref_size 255
		.amdhsa_round_robin_scheduling 0
		.amdhsa_exception_fp_ieee_invalid_op 0
		.amdhsa_exception_fp_denorm_src 0
		.amdhsa_exception_fp_ieee_div_zero 0
		.amdhsa_exception_fp_ieee_overflow 0
		.amdhsa_exception_fp_ieee_underflow 0
		.amdhsa_exception_fp_ieee_inexact 0
		.amdhsa_exception_int_div_zero 0
	.end_amdhsa_kernel
	.section	.text._ZN9rocsolver6v33100L18getri_kernel_smallILi37E19rocblas_complex_numIdEPS3_EEvT1_iilPiilS6_bb,"axG",@progbits,_ZN9rocsolver6v33100L18getri_kernel_smallILi37E19rocblas_complex_numIdEPS3_EEvT1_iilPiilS6_bb,comdat
.Lfunc_end36:
	.size	_ZN9rocsolver6v33100L18getri_kernel_smallILi37E19rocblas_complex_numIdEPS3_EEvT1_iilPiilS6_bb, .Lfunc_end36-_ZN9rocsolver6v33100L18getri_kernel_smallILi37E19rocblas_complex_numIdEPS3_EEvT1_iilPiilS6_bb
                                        ; -- End function
	.set _ZN9rocsolver6v33100L18getri_kernel_smallILi37E19rocblas_complex_numIdEPS3_EEvT1_iilPiilS6_bb.num_vgpr, 144
	.set _ZN9rocsolver6v33100L18getri_kernel_smallILi37E19rocblas_complex_numIdEPS3_EEvT1_iilPiilS6_bb.num_agpr, 0
	.set _ZN9rocsolver6v33100L18getri_kernel_smallILi37E19rocblas_complex_numIdEPS3_EEvT1_iilPiilS6_bb.numbered_sgpr, 55
	.set _ZN9rocsolver6v33100L18getri_kernel_smallILi37E19rocblas_complex_numIdEPS3_EEvT1_iilPiilS6_bb.num_named_barrier, 0
	.set _ZN9rocsolver6v33100L18getri_kernel_smallILi37E19rocblas_complex_numIdEPS3_EEvT1_iilPiilS6_bb.private_seg_size, 624
	.set _ZN9rocsolver6v33100L18getri_kernel_smallILi37E19rocblas_complex_numIdEPS3_EEvT1_iilPiilS6_bb.uses_vcc, 1
	.set _ZN9rocsolver6v33100L18getri_kernel_smallILi37E19rocblas_complex_numIdEPS3_EEvT1_iilPiilS6_bb.uses_flat_scratch, 1
	.set _ZN9rocsolver6v33100L18getri_kernel_smallILi37E19rocblas_complex_numIdEPS3_EEvT1_iilPiilS6_bb.has_dyn_sized_stack, 0
	.set _ZN9rocsolver6v33100L18getri_kernel_smallILi37E19rocblas_complex_numIdEPS3_EEvT1_iilPiilS6_bb.has_recursion, 0
	.set _ZN9rocsolver6v33100L18getri_kernel_smallILi37E19rocblas_complex_numIdEPS3_EEvT1_iilPiilS6_bb.has_indirect_call, 0
	.section	.AMDGPU.csdata,"",@progbits
; Kernel info:
; codeLenInByte = 62308
; TotalNumSgprs: 57
; NumVgprs: 144
; ScratchSize: 624
; MemoryBound: 0
; FloatMode: 240
; IeeeMode: 1
; LDSByteSize: 1192 bytes/workgroup (compile time only)
; SGPRBlocks: 0
; VGPRBlocks: 17
; NumSGPRsForWavesPerEU: 57
; NumVGPRsForWavesPerEU: 144
; Occupancy: 10
; WaveLimiterHint : 1
; COMPUTE_PGM_RSRC2:SCRATCH_EN: 1
; COMPUTE_PGM_RSRC2:USER_SGPR: 2
; COMPUTE_PGM_RSRC2:TRAP_HANDLER: 0
; COMPUTE_PGM_RSRC2:TGID_X_EN: 1
; COMPUTE_PGM_RSRC2:TGID_Y_EN: 0
; COMPUTE_PGM_RSRC2:TGID_Z_EN: 0
; COMPUTE_PGM_RSRC2:TIDIG_COMP_CNT: 0
	.section	.text._ZN9rocsolver6v33100L18getri_kernel_smallILi38E19rocblas_complex_numIdEPS3_EEvT1_iilPiilS6_bb,"axG",@progbits,_ZN9rocsolver6v33100L18getri_kernel_smallILi38E19rocblas_complex_numIdEPS3_EEvT1_iilPiilS6_bb,comdat
	.globl	_ZN9rocsolver6v33100L18getri_kernel_smallILi38E19rocblas_complex_numIdEPS3_EEvT1_iilPiilS6_bb ; -- Begin function _ZN9rocsolver6v33100L18getri_kernel_smallILi38E19rocblas_complex_numIdEPS3_EEvT1_iilPiilS6_bb
	.p2align	8
	.type	_ZN9rocsolver6v33100L18getri_kernel_smallILi38E19rocblas_complex_numIdEPS3_EEvT1_iilPiilS6_bb,@function
_ZN9rocsolver6v33100L18getri_kernel_smallILi38E19rocblas_complex_numIdEPS3_EEvT1_iilPiilS6_bb: ; @_ZN9rocsolver6v33100L18getri_kernel_smallILi38E19rocblas_complex_numIdEPS3_EEvT1_iilPiilS6_bb
; %bb.0:
	s_mov_b32 s2, exec_lo
	v_cmpx_gt_u32_e32 38, v0
	s_cbranch_execz .LBB37_166
; %bb.1:
	s_clause 0x2
	s_load_b32 s2, s[0:1], 0x38
	s_load_b128 s[12:15], s[0:1], 0x10
	s_load_b128 s[4:7], s[0:1], 0x28
	s_mov_b32 s16, ttmp9
	s_wait_kmcnt 0x0
	s_bitcmp1_b32 s2, 8
	s_cselect_b32 s18, -1, 0
	s_bfe_u32 s2, s2, 0x10008
	s_ashr_i32 s17, ttmp9, 31
	s_cmp_eq_u32 s2, 0
                                        ; implicit-def: $sgpr2_sgpr3
	s_cbranch_scc1 .LBB37_3
; %bb.2:
	s_load_b32 s2, s[0:1], 0x20
	s_mul_u64 s[4:5], s[4:5], s[16:17]
	s_delay_alu instid0(SALU_CYCLE_1) | instskip(NEXT) | instid1(SALU_CYCLE_1)
	s_lshl_b64 s[4:5], s[4:5], 2
	s_add_nc_u64 s[4:5], s[14:15], s[4:5]
	s_wait_kmcnt 0x0
	s_ashr_i32 s3, s2, 31
	s_delay_alu instid0(SALU_CYCLE_1) | instskip(NEXT) | instid1(SALU_CYCLE_1)
	s_lshl_b64 s[2:3], s[2:3], 2
	s_add_nc_u64 s[2:3], s[4:5], s[2:3]
.LBB37_3:
	s_clause 0x1
	s_load_b128 s[8:11], s[0:1], 0x0
	s_load_b32 s47, s[0:1], 0x38
	s_mul_u64 s[0:1], s[12:13], s[16:17]
	v_lshlrev_b32_e32 v21, 4, v0
	s_lshl_b64 s[0:1], s[0:1], 4
	s_movk_i32 s15, 0x100
	s_movk_i32 s19, 0x110
	;; [unrolled: 1-line block ×6, first 2 shown]
	s_add_co_i32 s21, s15, 16
	s_add_co_i32 s15, s19, 16
	;; [unrolled: 1-line block ×3, first 2 shown]
	s_movk_i32 s12, 0xd0
	s_movk_i32 s13, 0xe0
	;; [unrolled: 1-line block ×6, first 2 shown]
	s_wait_kmcnt 0x0
	s_ashr_i32 s5, s10, 31
	s_mov_b32 s4, s10
	s_add_nc_u64 s[0:1], s[8:9], s[0:1]
	s_lshl_b64 s[4:5], s[4:5], 4
	v_add3_u32 v5, s11, s11, v0
	s_add_nc_u64 s[0:1], s[0:1], s[4:5]
	s_ashr_i32 s5, s11, 31
	global_load_b128 v[1:4], v21, s[0:1]
	v_add_co_u32 v38, s8, s0, v21
	v_add_nc_u32_e32 v7, s11, v5
	v_ashrrev_i32_e32 v6, 31, v5
	s_mov_b32 s4, s11
	v_add_co_ci_u32_e64 v39, null, s1, 0, s8
	s_delay_alu instid0(VALU_DEP_3) | instskip(NEXT) | instid1(VALU_DEP_3)
	v_add_nc_u32_e32 v9, s11, v7
	v_lshlrev_b64_e32 v[5:6], 4, v[5:6]
	s_lshl_b64 s[4:5], s[4:5], 4
	v_ashrrev_i32_e32 v8, 31, v7
	v_add_co_u32 v40, vcc_lo, v38, s4
	v_add_nc_u32_e32 v15, s11, v9
	v_add_co_ci_u32_e64 v41, null, s5, v39, vcc_lo
	v_add_co_u32 v42, vcc_lo, s0, v5
	s_delay_alu instid0(VALU_DEP_3)
	v_add_nc_u32_e32 v19, s11, v15
	v_ashrrev_i32_e32 v10, 31, v9
	s_wait_alu 0xfffd
	v_add_co_ci_u32_e64 v43, null, s1, v6, vcc_lo
	v_ashrrev_i32_e32 v16, 31, v15
	v_add_nc_u32_e32 v24, s11, v19
	v_lshlrev_b64_e32 v[13:14], 4, v[7:8]
	v_lshlrev_b64_e32 v[17:18], 4, v[9:10]
	s_clause 0x1
	global_load_b128 v[9:12], v[40:41], off
	global_load_b128 v[5:8], v[42:43], off
	v_lshlrev_b64_e32 v[22:23], 4, v[15:16]
	v_add_nc_u32_e32 v28, s11, v24
	v_ashrrev_i32_e32 v20, 31, v19
	v_add_co_u32 v44, vcc_lo, s0, v13
	v_ashrrev_i32_e32 v25, 31, v24
	s_delay_alu instid0(VALU_DEP_4) | instskip(SKIP_3) | instid1(VALU_DEP_3)
	v_add_nc_u32_e32 v30, s11, v28
	s_wait_alu 0xfffd
	v_add_co_ci_u32_e64 v45, null, s1, v14, vcc_lo
	v_add_co_u32 v46, vcc_lo, s0, v17
	v_add_nc_u32_e32 v34, s11, v30
	v_ashrrev_i32_e32 v29, 31, v28
	s_wait_alu 0xfffd
	v_add_co_ci_u32_e64 v47, null, s1, v18, vcc_lo
	v_lshlrev_b64_e32 v[26:27], 4, v[19:20]
	v_add_nc_u32_e32 v58, s11, v34
	v_add_co_u32 v48, vcc_lo, s0, v22
	v_ashrrev_i32_e32 v31, 31, v30
	s_wait_alu 0xfffd
	v_add_co_ci_u32_e64 v49, null, s1, v23, vcc_lo
	v_lshlrev_b64_e32 v[22:23], 4, v[24:25]
	v_ashrrev_i32_e32 v35, 31, v34
	v_add_nc_u32_e32 v62, s11, v58
	v_lshlrev_b64_e32 v[32:33], 4, v[28:29]
	v_ashrrev_i32_e32 v59, 31, v58
	v_add_co_u32 v50, vcc_lo, s0, v26
	v_lshlrev_b64_e32 v[30:31], 4, v[30:31]
	s_wait_alu 0xfffd
	v_add_co_ci_u32_e64 v51, null, s1, v27, vcc_lo
	v_add_co_u32 v52, vcc_lo, s0, v22
	v_lshlrev_b64_e32 v[60:61], 4, v[34:35]
	v_add_nc_u32_e32 v66, s11, v62
	s_wait_alu 0xfffd
	v_add_co_ci_u32_e64 v53, null, s1, v23, vcc_lo
	v_add_co_u32 v54, vcc_lo, s0, v32
	v_lshlrev_b64_e32 v[64:65], 4, v[58:59]
	s_clause 0x1
	global_load_b128 v[13:16], v[44:45], off
	global_load_b128 v[17:20], v[46:47], off
	s_wait_alu 0xfffd
	v_add_co_ci_u32_e64 v55, null, s1, v33, vcc_lo
	v_add_co_u32 v56, vcc_lo, s0, v30
	s_clause 0x1
	global_load_b128 v[22:25], v[48:49], off
	global_load_b128 v[26:29], v[50:51], off
	v_ashrrev_i32_e32 v67, 31, v66
	v_add_nc_u32_e32 v68, s11, v66
	s_wait_alu 0xfffd
	v_add_co_ci_u32_e64 v57, null, s1, v31, vcc_lo
	v_add_co_u32 v58, vcc_lo, s0, v60
	s_wait_alu 0xfffd
	v_add_co_ci_u32_e64 v59, null, s1, v61, vcc_lo
	v_add_co_u32 v60, vcc_lo, s0, v64
	s_wait_alu 0xfffd
	v_add_co_ci_u32_e64 v61, null, s1, v65, vcc_lo
	v_lshlrev_b64_e32 v[64:65], 4, v[66:67]
	v_add_nc_u32_e32 v66, s11, v68
	v_ashrrev_i32_e32 v63, 31, v62
	s_clause 0x1
	global_load_b128 v[30:33], v[52:53], off
	global_load_b128 v[34:37], v[54:55], off
	v_ashrrev_i32_e32 v69, 31, v68
	s_clause 0x1
	global_load_b128 v[98:101], v[56:57], off
	global_load_b128 v[102:105], v[58:59], off
	v_add_nc_u32_e32 v70, s11, v66
	v_lshlrev_b64_e32 v[62:63], 4, v[62:63]
	v_ashrrev_i32_e32 v67, 31, v66
	v_lshlrev_b64_e32 v[68:69], 4, v[68:69]
	s_movk_i32 s10, 0xb0
	v_add_nc_u32_e32 v74, s11, v70
	v_ashrrev_i32_e32 v71, 31, v70
	v_add_co_u32 v62, vcc_lo, s0, v62
	s_wait_alu 0xfffd
	v_add_co_ci_u32_e64 v63, null, s1, v63, vcc_lo
	v_add_nc_u32_e32 v76, s11, v74
	v_lshlrev_b64_e32 v[72:73], 4, v[66:67]
	v_add_co_u32 v64, vcc_lo, s0, v64
	s_wait_alu 0xfffd
	v_add_co_ci_u32_e64 v65, null, s1, v65, vcc_lo
	v_add_co_u32 v66, vcc_lo, s0, v68
	v_ashrrev_i32_e32 v75, 31, v74
	v_ashrrev_i32_e32 v77, 31, v76
	v_add_nc_u32_e32 v78, s11, v76
	s_clause 0x1
	global_load_b128 v[106:109], v[60:61], off
	global_load_b128 v[110:113], v[62:63], off
	s_wait_alu 0xfffd
	v_add_co_ci_u32_e64 v67, null, s1, v69, vcc_lo
	v_add_co_u32 v68, vcc_lo, s0, v72
	s_wait_alu 0xfffd
	v_add_co_ci_u32_e64 v69, null, s1, v73, vcc_lo
	v_lshlrev_b64_e32 v[72:73], 4, v[74:75]
	v_lshlrev_b64_e32 v[74:75], 4, v[76:77]
	v_add_nc_u32_e32 v76, s11, v78
	v_lshlrev_b64_e32 v[70:71], 4, v[70:71]
	s_clause 0x1
	global_load_b128 v[114:117], v[64:65], off
	global_load_b128 v[118:121], v[66:67], off
	v_ashrrev_i32_e32 v79, 31, v78
	s_movk_i32 s4, 0x70
	v_add_nc_u32_e32 v80, s11, v76
	v_ashrrev_i32_e32 v77, 31, v76
	v_add_co_u32 v70, vcc_lo, s0, v70
	s_wait_alu 0xfffd
	v_add_co_ci_u32_e64 v71, null, s1, v71, vcc_lo
	v_add_co_u32 v72, vcc_lo, s0, v72
	v_lshlrev_b64_e32 v[78:79], 4, v[78:79]
	v_add_nc_u32_e32 v84, s11, v80
	s_wait_alu 0xfffd
	v_add_co_ci_u32_e64 v73, null, s1, v73, vcc_lo
	v_add_co_u32 v74, vcc_lo, s0, v74
	v_lshlrev_b64_e32 v[82:83], 4, v[76:77]
	s_wait_alu 0xfffd
	v_add_co_ci_u32_e64 v75, null, s1, v75, vcc_lo
	v_ashrrev_i32_e32 v81, 31, v80
	v_ashrrev_i32_e32 v85, 31, v84
	v_add_co_u32 v76, vcc_lo, s0, v78
	s_clause 0x3
	global_load_b128 v[122:125], v[68:69], off
	global_load_b128 v[126:129], v[70:71], off
	;; [unrolled: 1-line block ×4, first 2 shown]
	s_wait_alu 0xfffd
	v_add_co_ci_u32_e64 v77, null, s1, v79, vcc_lo
	v_add_co_u32 v78, vcc_lo, s0, v82
	v_lshlrev_b64_e32 v[80:81], 4, v[80:81]
	s_wait_alu 0xfffd
	v_add_co_ci_u32_e64 v79, null, s1, v83, vcc_lo
	v_lshlrev_b64_e32 v[82:83], 4, v[84:85]
	v_add_nc_u32_e32 v84, s11, v84
	s_clause 0x1
	global_load_b128 v[138:141], v[76:77], off
	global_load_b128 v[142:145], v[78:79], off
	v_add_co_u32 v80, vcc_lo, s0, v80
	s_wait_alu 0xfffd
	v_add_co_ci_u32_e64 v81, null, s1, v81, vcc_lo
	v_add_co_u32 v82, vcc_lo, s0, v82
	s_wait_alu 0xfffd
	v_add_co_ci_u32_e64 v83, null, s1, v83, vcc_lo
	global_load_b128 v[146:149], v[80:81], off
	v_ashrrev_i32_e32 v85, 31, v84
	v_add_nc_u32_e32 v86, s11, v84
	s_movk_i32 s5, 0x80
	s_movk_i32 s8, 0x90
	;; [unrolled: 1-line block ×4, first 2 shown]
	v_ashrrev_i32_e32 v87, 31, v86
	s_movk_i32 s30, 0x1a0
	s_movk_i32 s31, 0x1b0
	;; [unrolled: 1-line block ×7, first 2 shown]
	s_wait_alu 0xfffe
	s_add_co_i32 s40, s10, 16
	s_add_co_i32 s20, s14, 16
	;; [unrolled: 1-line block ×20, first 2 shown]
	s_mov_b32 s37, 32
	s_mov_b32 s36, 48
	;; [unrolled: 1-line block ×3, first 2 shown]
	s_movk_i32 s34, 0x50
	s_wait_loadcnt 0x15
	scratch_store_b128 off, v[1:4], off offset:16
	global_load_b128 v[1:4], v[82:83], off
	s_wait_loadcnt 0x15
	scratch_store_b128 off, v[9:12], off offset:32
	v_lshlrev_b64_e32 v[11:12], 4, v[84:85]
	v_add_nc_u32_e32 v9, s11, v86
	v_lshlrev_b64_e32 v[86:87], 4, v[86:87]
	s_wait_loadcnt 0x14
	scratch_store_b128 off, v[5:8], off offset:48
	s_wait_loadcnt 0x13
	scratch_store_b128 off, v[13:16], off offset:64
	;; [unrolled: 2-line block ×3, first 2 shown]
	v_add_co_u32 v84, vcc_lo, s0, v11
	v_add_nc_u32_e32 v11, s11, v9
	v_ashrrev_i32_e32 v10, 31, v9
	s_wait_alu 0xfffd
	v_add_co_ci_u32_e64 v85, null, s1, v12, vcc_lo
	v_add_co_u32 v86, vcc_lo, s0, v86
	v_add_nc_u32_e32 v90, s11, v11
	v_lshlrev_b64_e32 v[9:10], 4, v[9:10]
	v_ashrrev_i32_e32 v12, 31, v11
	s_wait_alu 0xfffd
	v_add_co_ci_u32_e64 v87, null, s1, v87, vcc_lo
	v_add_nc_u32_e32 v94, s11, v90
	v_ashrrev_i32_e32 v91, 31, v90
	v_add_co_u32 v88, vcc_lo, s0, v9
	v_lshlrev_b64_e32 v[92:93], 4, v[11:12]
	s_wait_alu 0xfffd
	v_add_co_ci_u32_e64 v89, null, s1, v10, vcc_lo
	s_clause 0x1
	global_load_b128 v[5:8], v[84:85], off
	global_load_b128 v[9:12], v[86:87], off
	s_wait_loadcnt 0x13
	scratch_store_b128 off, v[22:25], off offset:96
	v_add_nc_u32_e32 v22, s11, v94
	v_lshlrev_b64_e32 v[13:14], 4, v[90:91]
	v_ashrrev_i32_e32 v95, 31, v94
	v_add_co_u32 v90, vcc_lo, s0, v92
	s_delay_alu instid0(VALU_DEP_4)
	v_add_nc_u32_e32 v96, s11, v22
	s_wait_loadcnt 0x12
	scratch_store_b128 off, v[26:29], off offset:112
	s_wait_loadcnt 0x11
	scratch_store_b128 off, v[30:33], off offset:128
	s_wait_alu 0xfffd
	v_add_co_ci_u32_e64 v91, null, s1, v93, vcc_lo
	v_ashrrev_i32_e32 v23, 31, v22
	v_add_nc_u32_e32 v30, s11, v96
	v_add_co_u32 v92, vcc_lo, s0, v13
	v_lshlrev_b64_e32 v[24:25], 4, v[94:95]
	s_wait_alu 0xfffd
	v_add_co_ci_u32_e64 v93, null, s1, v14, vcc_lo
	s_clause 0x1
	global_load_b128 v[13:16], v[88:89], off
	global_load_b128 v[17:20], v[90:91], off
	s_wait_loadcnt 0x12
	scratch_store_b128 off, v[34:37], off offset:144
	v_add_nc_u32_e32 v34, s11, v30
	v_lshlrev_b64_e32 v[22:23], 4, v[22:23]
	v_ashrrev_i32_e32 v97, 31, v96
	v_add_co_u32 v94, vcc_lo, s0, v24
	s_wait_loadcnt 0x11
	scratch_store_b128 off, v[98:101], off offset:160
	s_wait_loadcnt 0x10
	scratch_store_b128 off, v[102:105], off offset:176
	v_add_nc_u32_e32 v102, s11, v34
	v_ashrrev_i32_e32 v31, 31, v30
	s_wait_alu 0xfffd
	v_add_co_ci_u32_e64 v95, null, s1, v25, vcc_lo
	v_ashrrev_i32_e32 v35, 31, v34
	v_lshlrev_b64_e32 v[32:33], 4, v[96:97]
	v_add_co_u32 v96, vcc_lo, s0, v22
	v_ashrrev_i32_e32 v103, 31, v102
	s_wait_alu 0xfffd
	v_add_co_ci_u32_e64 v97, null, s1, v23, vcc_lo
	s_clause 0x1
	global_load_b128 v[22:25], v[92:93], off
	global_load_b128 v[26:29], v[94:95], off
	v_lshlrev_b64_e32 v[30:31], 4, v[30:31]
	s_wait_loadcnt 0x11
	scratch_store_b128 off, v[106:109], off offset:192
	v_add_nc_u32_e32 v106, s11, v102
	v_lshlrev_b64_e32 v[104:105], 4, v[34:35]
	v_add_co_u32 v98, vcc_lo, s0, v32
	v_lshlrev_b64_e32 v[108:109], 4, v[102:103]
	s_wait_loadcnt 0x10
	scratch_store_b128 off, v[110:113], off offset:208
	s_wait_loadcnt 0xf
	scratch_store_b128 off, v[114:117], off offset:224
	v_add_nc_u32_e32 v110, s11, v106
	s_wait_alu 0xfffd
	v_add_co_ci_u32_e64 v99, null, s1, v33, vcc_lo
	v_add_co_u32 v100, vcc_lo, s0, v30
	s_wait_alu 0xfffd
	v_add_co_ci_u32_e64 v101, null, s1, v31, vcc_lo
	v_add_co_u32 v102, vcc_lo, s0, v104
	;; [unrolled: 3-line block ×3, first 2 shown]
	v_add_nc_u32_e32 v108, s11, v110
	v_ashrrev_i32_e32 v107, 31, v106
	v_ashrrev_i32_e32 v111, 31, v110
	s_wait_alu 0xfffd
	v_add_co_ci_u32_e64 v105, null, s1, v109, vcc_lo
	v_add_nc_u32_e32 v112, s11, v108
	v_ashrrev_i32_e32 v109, 31, v108
	v_lshlrev_b64_e32 v[106:107], 4, v[106:107]
	v_lshlrev_b64_e32 v[110:111], 4, v[110:111]
	s_clause 0x1
	global_load_b128 v[30:33], v[96:97], off
	global_load_b128 v[34:37], v[98:99], off
	v_ashrrev_i32_e32 v113, 31, v112
	s_wait_loadcnt 0x10
	scratch_store_b128 off, v[118:121], off offset:240
	s_wait_loadcnt 0xf
	scratch_store_b128 off, v[122:125], off offset:256
	;; [unrolled: 2-line block ×3, first 2 shown]
	s_clause 0x1
	global_load_b128 v[114:117], v[100:101], off
	global_load_b128 v[118:121], v[102:103], off
	s_wait_loadcnt 0xf
	scratch_store_b128 off, v[130:133], off offset:288
	s_wait_loadcnt 0xe
	scratch_store_b128 off, v[134:137], off offset:304
	v_lshlrev_b64_e32 v[134:135], 4, v[108:109]
	v_add_co_u32 v106, vcc_lo, s0, v106
	v_lshlrev_b64_e32 v[112:113], 4, v[112:113]
	s_wait_alu 0xfffd
	v_add_co_ci_u32_e64 v107, null, s1, v107, vcc_lo
	v_add_co_u32 v108, vcc_lo, s0, v110
	s_wait_alu 0xfffd
	v_add_co_ci_u32_e64 v109, null, s1, v111, vcc_lo
	v_add_co_u32 v110, vcc_lo, s0, v134
	s_wait_alu 0xfffd
	v_add_co_ci_u32_e64 v111, null, s1, v135, vcc_lo
	v_add_co_u32 v112, vcc_lo, s0, v112
	s_wait_alu 0xfffd
	v_add_co_ci_u32_e64 v113, null, s1, v113, vcc_lo
	s_clause 0x3
	global_load_b128 v[122:125], v[104:105], off
	global_load_b128 v[126:129], v[106:107], off
	;; [unrolled: 1-line block ×4, first 2 shown]
	s_wait_loadcnt 0xf
	scratch_store_b128 off, v[146:149], off offset:352
	s_movk_i32 s0, 0x50
	s_movk_i32 s1, 0x60
	s_wait_alu 0xfffe
	s_add_co_i32 s46, s0, 16
	s_movk_i32 s0, 0x210
	s_add_co_i32 s45, s1, 16
	s_wait_alu 0xfffe
	s_add_co_i32 s22, s0, 16
	s_movk_i32 s0, 0x220
	s_movk_i32 s1, 0x230
	;; [unrolled: 1-line block ×3, first 2 shown]
	s_wait_alu 0xfffe
	s_add_co_i32 s28, s0, 16
	s_add_co_i32 s24, s1, 16
	s_movk_i32 s0, 0x240
	s_movk_i32 s1, 0x250
	s_add_co_i32 s39, s11, 16
	s_add_co_i32 s11, s25, 16
	;; [unrolled: 1-line block ×3, first 2 shown]
	s_wait_alu 0xfffe
	s_add_co_i32 s30, s0, 16
	s_add_co_i32 s31, s1, 16
	s_mov_b32 s1, -1
	s_bitcmp0_b32 s47, 0
	s_clause 0x1
	scratch_store_b128 off, v[138:141], off offset:320
	scratch_store_b128 off, v[142:145], off offset:336
	s_wait_loadcnt 0xe
	scratch_store_b128 off, v[1:4], off offset:368
	global_load_b128 v[1:4], v[112:113], off
	s_wait_loadcnt 0xe
	scratch_store_b128 off, v[5:8], off offset:384
	s_wait_loadcnt 0xd
	scratch_store_b128 off, v[9:12], off offset:400
	;; [unrolled: 2-line block ×15, first 2 shown]
	s_cbranch_scc1 .LBB37_164
; %bb.4:
	v_cmp_eq_u32_e64 s0, 0, v0
	s_and_saveexec_b32 s1, s0
; %bb.5:
	v_mov_b32_e32 v1, 0
	ds_store_b32 v1, v1 offset:1216
; %bb.6:
	s_wait_alu 0xfffe
	s_or_b32 exec_lo, exec_lo, s1
	s_wait_storecnt_dscnt 0x0
	s_barrier_signal -1
	s_barrier_wait -1
	global_inv scope:SCOPE_SE
	scratch_load_b128 v[1:4], v21, off offset:16
	s_wait_loadcnt 0x0
	v_cmp_eq_f64_e32 vcc_lo, 0, v[1:2]
	v_cmp_eq_f64_e64 s1, 0, v[3:4]
	s_and_b32 s1, vcc_lo, s1
	s_wait_alu 0xfffe
	s_and_saveexec_b32 s47, s1
	s_cbranch_execz .LBB37_10
; %bb.7:
	v_mov_b32_e32 v1, 0
	s_mov_b32 s48, 0
	ds_load_b32 v2, v1 offset:1216
	s_wait_dscnt 0x0
	v_readfirstlane_b32 s1, v2
	v_add_nc_u32_e32 v2, 1, v0
	s_cmp_eq_u32 s1, 0
	s_delay_alu instid0(VALU_DEP_1) | instskip(SKIP_1) | instid1(SALU_CYCLE_1)
	v_cmp_gt_i32_e32 vcc_lo, s1, v2
	s_cselect_b32 s49, -1, 0
	s_or_b32 s49, s49, vcc_lo
	s_delay_alu instid0(SALU_CYCLE_1)
	s_and_b32 exec_lo, exec_lo, s49
	s_cbranch_execz .LBB37_10
; %bb.8:
	v_mov_b32_e32 v3, s1
.LBB37_9:                               ; =>This Inner Loop Header: Depth=1
	ds_cmpstore_rtn_b32 v3, v1, v2, v3 offset:1216
	s_wait_dscnt 0x0
	v_cmp_ne_u32_e32 vcc_lo, 0, v3
	v_cmp_le_i32_e64 s1, v3, v2
	s_and_b32 s1, vcc_lo, s1
	s_wait_alu 0xfffe
	s_and_b32 s1, exec_lo, s1
	s_wait_alu 0xfffe
	s_or_b32 s48, s1, s48
	s_delay_alu instid0(SALU_CYCLE_1)
	s_and_not1_b32 exec_lo, exec_lo, s48
	s_cbranch_execnz .LBB37_9
.LBB37_10:
	s_or_b32 exec_lo, exec_lo, s47
	v_mov_b32_e32 v1, 0
	s_barrier_signal -1
	s_barrier_wait -1
	global_inv scope:SCOPE_SE
	ds_load_b32 v2, v1 offset:1216
	s_and_saveexec_b32 s1, s0
	s_cbranch_execz .LBB37_12
; %bb.11:
	s_lshl_b64 s[48:49], s[16:17], 2
	s_delay_alu instid0(SALU_CYCLE_1)
	s_add_nc_u64 s[48:49], s[6:7], s[48:49]
	s_wait_dscnt 0x0
	global_store_b32 v1, v2, s[48:49]
.LBB37_12:
	s_wait_alu 0xfffe
	s_or_b32 exec_lo, exec_lo, s1
	s_wait_dscnt 0x0
	v_cmp_ne_u32_e32 vcc_lo, 0, v2
	s_mov_b32 s1, 0
	s_cbranch_vccnz .LBB37_164
; %bb.13:
	v_add_nc_u32_e32 v13, 16, v21
                                        ; implicit-def: $vgpr1_vgpr2
                                        ; implicit-def: $vgpr9_vgpr10
	scratch_load_b128 v[5:8], v13, off
	s_wait_loadcnt 0x0
	v_cmp_ngt_f64_e64 s1, |v[5:6]|, |v[7:8]|
	s_wait_alu 0xfffe
	s_and_saveexec_b32 s47, s1
	s_delay_alu instid0(SALU_CYCLE_1)
	s_xor_b32 s1, exec_lo, s47
	s_cbranch_execz .LBB37_15
; %bb.14:
	v_div_scale_f64 v[1:2], null, v[7:8], v[7:8], v[5:6]
	v_div_scale_f64 v[11:12], vcc_lo, v[5:6], v[7:8], v[5:6]
	s_delay_alu instid0(VALU_DEP_2) | instskip(NEXT) | instid1(TRANS32_DEP_1)
	v_rcp_f64_e32 v[3:4], v[1:2]
	v_fma_f64 v[9:10], -v[1:2], v[3:4], 1.0
	s_delay_alu instid0(VALU_DEP_1) | instskip(NEXT) | instid1(VALU_DEP_1)
	v_fma_f64 v[3:4], v[3:4], v[9:10], v[3:4]
	v_fma_f64 v[9:10], -v[1:2], v[3:4], 1.0
	s_delay_alu instid0(VALU_DEP_1) | instskip(NEXT) | instid1(VALU_DEP_1)
	v_fma_f64 v[3:4], v[3:4], v[9:10], v[3:4]
	v_mul_f64_e32 v[9:10], v[11:12], v[3:4]
	s_delay_alu instid0(VALU_DEP_1) | instskip(SKIP_1) | instid1(VALU_DEP_1)
	v_fma_f64 v[1:2], -v[1:2], v[9:10], v[11:12]
	s_wait_alu 0xfffd
	v_div_fmas_f64 v[1:2], v[1:2], v[3:4], v[9:10]
	s_delay_alu instid0(VALU_DEP_1) | instskip(NEXT) | instid1(VALU_DEP_1)
	v_div_fixup_f64 v[1:2], v[1:2], v[7:8], v[5:6]
	v_fma_f64 v[3:4], v[5:6], v[1:2], v[7:8]
	s_delay_alu instid0(VALU_DEP_1) | instskip(SKIP_1) | instid1(VALU_DEP_2)
	v_div_scale_f64 v[5:6], null, v[3:4], v[3:4], 1.0
	v_div_scale_f64 v[11:12], vcc_lo, 1.0, v[3:4], 1.0
	v_rcp_f64_e32 v[7:8], v[5:6]
	s_delay_alu instid0(TRANS32_DEP_1) | instskip(NEXT) | instid1(VALU_DEP_1)
	v_fma_f64 v[9:10], -v[5:6], v[7:8], 1.0
	v_fma_f64 v[7:8], v[7:8], v[9:10], v[7:8]
	s_delay_alu instid0(VALU_DEP_1) | instskip(NEXT) | instid1(VALU_DEP_1)
	v_fma_f64 v[9:10], -v[5:6], v[7:8], 1.0
	v_fma_f64 v[7:8], v[7:8], v[9:10], v[7:8]
	s_delay_alu instid0(VALU_DEP_1) | instskip(NEXT) | instid1(VALU_DEP_1)
	v_mul_f64_e32 v[9:10], v[11:12], v[7:8]
	v_fma_f64 v[5:6], -v[5:6], v[9:10], v[11:12]
	s_wait_alu 0xfffd
	s_delay_alu instid0(VALU_DEP_1) | instskip(NEXT) | instid1(VALU_DEP_1)
	v_div_fmas_f64 v[5:6], v[5:6], v[7:8], v[9:10]
	v_div_fixup_f64 v[3:4], v[5:6], v[3:4], 1.0
                                        ; implicit-def: $vgpr5_vgpr6
	s_delay_alu instid0(VALU_DEP_1) | instskip(SKIP_1) | instid1(VALU_DEP_2)
	v_mul_f64_e32 v[1:2], v[1:2], v[3:4]
	v_xor_b32_e32 v4, 0x80000000, v4
	v_xor_b32_e32 v10, 0x80000000, v2
	s_delay_alu instid0(VALU_DEP_3)
	v_mov_b32_e32 v9, v1
.LBB37_15:
	s_wait_alu 0xfffe
	s_and_not1_saveexec_b32 s1, s1
	s_cbranch_execz .LBB37_17
; %bb.16:
	v_div_scale_f64 v[1:2], null, v[5:6], v[5:6], v[7:8]
	v_div_scale_f64 v[11:12], vcc_lo, v[7:8], v[5:6], v[7:8]
	s_delay_alu instid0(VALU_DEP_2) | instskip(NEXT) | instid1(TRANS32_DEP_1)
	v_rcp_f64_e32 v[3:4], v[1:2]
	v_fma_f64 v[9:10], -v[1:2], v[3:4], 1.0
	s_delay_alu instid0(VALU_DEP_1) | instskip(NEXT) | instid1(VALU_DEP_1)
	v_fma_f64 v[3:4], v[3:4], v[9:10], v[3:4]
	v_fma_f64 v[9:10], -v[1:2], v[3:4], 1.0
	s_delay_alu instid0(VALU_DEP_1) | instskip(NEXT) | instid1(VALU_DEP_1)
	v_fma_f64 v[3:4], v[3:4], v[9:10], v[3:4]
	v_mul_f64_e32 v[9:10], v[11:12], v[3:4]
	s_delay_alu instid0(VALU_DEP_1) | instskip(SKIP_1) | instid1(VALU_DEP_1)
	v_fma_f64 v[1:2], -v[1:2], v[9:10], v[11:12]
	s_wait_alu 0xfffd
	v_div_fmas_f64 v[1:2], v[1:2], v[3:4], v[9:10]
	s_delay_alu instid0(VALU_DEP_1) | instskip(NEXT) | instid1(VALU_DEP_1)
	v_div_fixup_f64 v[3:4], v[1:2], v[5:6], v[7:8]
	v_fma_f64 v[1:2], v[7:8], v[3:4], v[5:6]
	s_delay_alu instid0(VALU_DEP_1) | instskip(NEXT) | instid1(VALU_DEP_1)
	v_div_scale_f64 v[5:6], null, v[1:2], v[1:2], 1.0
	v_rcp_f64_e32 v[7:8], v[5:6]
	s_delay_alu instid0(TRANS32_DEP_1) | instskip(NEXT) | instid1(VALU_DEP_1)
	v_fma_f64 v[9:10], -v[5:6], v[7:8], 1.0
	v_fma_f64 v[7:8], v[7:8], v[9:10], v[7:8]
	s_delay_alu instid0(VALU_DEP_1) | instskip(NEXT) | instid1(VALU_DEP_1)
	v_fma_f64 v[9:10], -v[5:6], v[7:8], 1.0
	v_fma_f64 v[7:8], v[7:8], v[9:10], v[7:8]
	v_div_scale_f64 v[9:10], vcc_lo, 1.0, v[1:2], 1.0
	s_delay_alu instid0(VALU_DEP_1) | instskip(NEXT) | instid1(VALU_DEP_1)
	v_mul_f64_e32 v[11:12], v[9:10], v[7:8]
	v_fma_f64 v[5:6], -v[5:6], v[11:12], v[9:10]
	s_wait_alu 0xfffd
	s_delay_alu instid0(VALU_DEP_1) | instskip(NEXT) | instid1(VALU_DEP_1)
	v_div_fmas_f64 v[5:6], v[5:6], v[7:8], v[11:12]
	v_div_fixup_f64 v[1:2], v[5:6], v[1:2], 1.0
	s_delay_alu instid0(VALU_DEP_1)
	v_mul_f64_e64 v[3:4], v[3:4], -v[1:2]
	v_xor_b32_e32 v10, 0x80000000, v2
	v_mov_b32_e32 v9, v1
.LBB37_17:
	s_wait_alu 0xfffe
	s_or_b32 exec_lo, exec_lo, s1
	scratch_store_b128 v13, v[1:4], off
	scratch_load_b128 v[14:17], off, s37
	v_xor_b32_e32 v12, 0x80000000, v4
	v_mov_b32_e32 v11, v3
	v_add_nc_u32_e32 v5, 0x260, v21
	ds_store_b128 v21, v[9:12]
	s_wait_loadcnt 0x0
	ds_store_b128 v21, v[14:17] offset:608
	s_wait_storecnt_dscnt 0x0
	s_barrier_signal -1
	s_barrier_wait -1
	global_inv scope:SCOPE_SE
	s_and_saveexec_b32 s1, s0
	s_cbranch_execz .LBB37_19
; %bb.18:
	scratch_load_b128 v[1:4], v13, off
	ds_load_b128 v[6:9], v5
	v_mov_b32_e32 v10, 0
	ds_load_b128 v[14:17], v10 offset:16
	s_wait_loadcnt_dscnt 0x1
	v_mul_f64_e32 v[10:11], v[6:7], v[3:4]
	v_mul_f64_e32 v[3:4], v[8:9], v[3:4]
	s_delay_alu instid0(VALU_DEP_2) | instskip(NEXT) | instid1(VALU_DEP_2)
	v_fma_f64 v[8:9], v[8:9], v[1:2], v[10:11]
	v_fma_f64 v[1:2], v[6:7], v[1:2], -v[3:4]
	s_delay_alu instid0(VALU_DEP_2) | instskip(NEXT) | instid1(VALU_DEP_2)
	v_add_f64_e32 v[3:4], 0, v[8:9]
	v_add_f64_e32 v[1:2], 0, v[1:2]
	s_wait_dscnt 0x0
	s_delay_alu instid0(VALU_DEP_2) | instskip(NEXT) | instid1(VALU_DEP_2)
	v_mul_f64_e32 v[6:7], v[3:4], v[16:17]
	v_mul_f64_e32 v[8:9], v[1:2], v[16:17]
	s_delay_alu instid0(VALU_DEP_2) | instskip(NEXT) | instid1(VALU_DEP_2)
	v_fma_f64 v[1:2], v[1:2], v[14:15], -v[6:7]
	v_fma_f64 v[3:4], v[3:4], v[14:15], v[8:9]
	scratch_store_b128 off, v[1:4], off offset:32
.LBB37_19:
	s_wait_alu 0xfffe
	s_or_b32 exec_lo, exec_lo, s1
	s_wait_loadcnt 0x0
	s_wait_storecnt 0x0
	s_barrier_signal -1
	s_barrier_wait -1
	global_inv scope:SCOPE_SE
	scratch_load_b128 v[1:4], off, s36
	s_mov_b32 s1, exec_lo
	s_wait_loadcnt 0x0
	ds_store_b128 v5, v[1:4]
	s_wait_dscnt 0x0
	s_barrier_signal -1
	s_barrier_wait -1
	global_inv scope:SCOPE_SE
	v_cmpx_gt_u32_e32 2, v0
	s_cbranch_execz .LBB37_23
; %bb.20:
	scratch_load_b128 v[1:4], v13, off
	ds_load_b128 v[6:9], v5
	s_wait_loadcnt_dscnt 0x0
	v_mul_f64_e32 v[10:11], v[8:9], v[3:4]
	v_mul_f64_e32 v[3:4], v[6:7], v[3:4]
	s_delay_alu instid0(VALU_DEP_2) | instskip(NEXT) | instid1(VALU_DEP_2)
	v_fma_f64 v[6:7], v[6:7], v[1:2], -v[10:11]
	v_fma_f64 v[3:4], v[8:9], v[1:2], v[3:4]
	s_delay_alu instid0(VALU_DEP_2) | instskip(NEXT) | instid1(VALU_DEP_2)
	v_add_f64_e32 v[1:2], 0, v[6:7]
	v_add_f64_e32 v[3:4], 0, v[3:4]
	s_and_saveexec_b32 s47, s0
	s_cbranch_execz .LBB37_22
; %bb.21:
	scratch_load_b128 v[6:9], off, off offset:32
	v_mov_b32_e32 v10, 0
	ds_load_b128 v[14:17], v10 offset:624
	s_wait_loadcnt_dscnt 0x0
	v_mul_f64_e32 v[10:11], v[14:15], v[8:9]
	v_mul_f64_e32 v[8:9], v[16:17], v[8:9]
	s_delay_alu instid0(VALU_DEP_2) | instskip(NEXT) | instid1(VALU_DEP_2)
	v_fma_f64 v[10:11], v[16:17], v[6:7], v[10:11]
	v_fma_f64 v[6:7], v[14:15], v[6:7], -v[8:9]
	s_delay_alu instid0(VALU_DEP_2) | instskip(NEXT) | instid1(VALU_DEP_2)
	v_add_f64_e32 v[3:4], v[3:4], v[10:11]
	v_add_f64_e32 v[1:2], v[1:2], v[6:7]
.LBB37_22:
	s_or_b32 exec_lo, exec_lo, s47
	v_mov_b32_e32 v6, 0
	ds_load_b128 v[6:9], v6 offset:32
	s_wait_dscnt 0x0
	v_mul_f64_e32 v[10:11], v[3:4], v[8:9]
	v_mul_f64_e32 v[8:9], v[1:2], v[8:9]
	s_delay_alu instid0(VALU_DEP_2) | instskip(NEXT) | instid1(VALU_DEP_2)
	v_fma_f64 v[1:2], v[1:2], v[6:7], -v[10:11]
	v_fma_f64 v[3:4], v[3:4], v[6:7], v[8:9]
	scratch_store_b128 off, v[1:4], off offset:48
.LBB37_23:
	s_wait_alu 0xfffe
	s_or_b32 exec_lo, exec_lo, s1
	s_wait_loadcnt 0x0
	s_wait_storecnt 0x0
	s_barrier_signal -1
	s_barrier_wait -1
	global_inv scope:SCOPE_SE
	scratch_load_b128 v[1:4], off, s35
	v_add_nc_u32_e32 v6, -1, v0
	s_mov_b32 s0, exec_lo
	s_wait_loadcnt 0x0
	ds_store_b128 v5, v[1:4]
	s_wait_dscnt 0x0
	s_barrier_signal -1
	s_barrier_wait -1
	global_inv scope:SCOPE_SE
	v_cmpx_gt_u32_e32 3, v0
	s_cbranch_execz .LBB37_27
; %bb.24:
	v_dual_mov_b32 v1, 0 :: v_dual_add_nc_u32 v8, 0x260, v21
	v_mov_b32_e32 v3, 0
	v_dual_mov_b32 v2, 0 :: v_dual_add_nc_u32 v7, -1, v0
	v_mov_b32_e32 v4, 0
	v_or_b32_e32 v9, 8, v13
	s_mov_b32 s1, 0
.LBB37_25:                              ; =>This Inner Loop Header: Depth=1
	scratch_load_b128 v[14:17], v9, off offset:-8
	ds_load_b128 v[22:25], v8
	v_add_nc_u32_e32 v7, 1, v7
	v_add_nc_u32_e32 v8, 16, v8
	v_add_nc_u32_e32 v9, 16, v9
	s_delay_alu instid0(VALU_DEP_3)
	v_cmp_lt_u32_e32 vcc_lo, 1, v7
	s_wait_alu 0xfffe
	s_or_b32 s1, vcc_lo, s1
	s_wait_loadcnt_dscnt 0x0
	v_mul_f64_e32 v[10:11], v[24:25], v[16:17]
	v_mul_f64_e32 v[16:17], v[22:23], v[16:17]
	s_delay_alu instid0(VALU_DEP_2) | instskip(NEXT) | instid1(VALU_DEP_2)
	v_fma_f64 v[10:11], v[22:23], v[14:15], -v[10:11]
	v_fma_f64 v[14:15], v[24:25], v[14:15], v[16:17]
	s_delay_alu instid0(VALU_DEP_2) | instskip(NEXT) | instid1(VALU_DEP_2)
	v_add_f64_e32 v[3:4], v[3:4], v[10:11]
	v_add_f64_e32 v[1:2], v[1:2], v[14:15]
	s_wait_alu 0xfffe
	s_and_not1_b32 exec_lo, exec_lo, s1
	s_cbranch_execnz .LBB37_25
; %bb.26:
	s_or_b32 exec_lo, exec_lo, s1
	v_mov_b32_e32 v7, 0
	ds_load_b128 v[7:10], v7 offset:48
	s_wait_dscnt 0x0
	v_mul_f64_e32 v[11:12], v[1:2], v[9:10]
	v_mul_f64_e32 v[14:15], v[3:4], v[9:10]
	s_delay_alu instid0(VALU_DEP_2) | instskip(NEXT) | instid1(VALU_DEP_2)
	v_fma_f64 v[9:10], v[3:4], v[7:8], -v[11:12]
	v_fma_f64 v[11:12], v[1:2], v[7:8], v[14:15]
	scratch_store_b128 off, v[9:12], off offset:64
.LBB37_27:
	s_wait_alu 0xfffe
	s_or_b32 exec_lo, exec_lo, s0
	s_wait_loadcnt 0x0
	s_wait_storecnt 0x0
	s_barrier_signal -1
	s_barrier_wait -1
	global_inv scope:SCOPE_SE
	scratch_load_b128 v[1:4], off, s34
	s_mov_b32 s0, exec_lo
	s_wait_loadcnt 0x0
	ds_store_b128 v5, v[1:4]
	s_wait_dscnt 0x0
	s_barrier_signal -1
	s_barrier_wait -1
	global_inv scope:SCOPE_SE
	v_cmpx_gt_u32_e32 4, v0
	s_cbranch_execz .LBB37_31
; %bb.28:
	v_dual_mov_b32 v1, 0 :: v_dual_add_nc_u32 v8, 0x260, v21
	v_mov_b32_e32 v3, 0
	v_dual_mov_b32 v2, 0 :: v_dual_add_nc_u32 v7, -1, v0
	v_mov_b32_e32 v4, 0
	v_or_b32_e32 v9, 8, v13
	s_mov_b32 s1, 0
.LBB37_29:                              ; =>This Inner Loop Header: Depth=1
	scratch_load_b128 v[14:17], v9, off offset:-8
	ds_load_b128 v[22:25], v8
	v_add_nc_u32_e32 v7, 1, v7
	v_add_nc_u32_e32 v8, 16, v8
	v_add_nc_u32_e32 v9, 16, v9
	s_delay_alu instid0(VALU_DEP_3)
	v_cmp_lt_u32_e32 vcc_lo, 2, v7
	s_wait_alu 0xfffe
	s_or_b32 s1, vcc_lo, s1
	s_wait_loadcnt_dscnt 0x0
	v_mul_f64_e32 v[10:11], v[24:25], v[16:17]
	v_mul_f64_e32 v[16:17], v[22:23], v[16:17]
	s_delay_alu instid0(VALU_DEP_2) | instskip(NEXT) | instid1(VALU_DEP_2)
	v_fma_f64 v[10:11], v[22:23], v[14:15], -v[10:11]
	v_fma_f64 v[14:15], v[24:25], v[14:15], v[16:17]
	s_delay_alu instid0(VALU_DEP_2) | instskip(NEXT) | instid1(VALU_DEP_2)
	v_add_f64_e32 v[3:4], v[3:4], v[10:11]
	v_add_f64_e32 v[1:2], v[1:2], v[14:15]
	s_wait_alu 0xfffe
	s_and_not1_b32 exec_lo, exec_lo, s1
	s_cbranch_execnz .LBB37_29
; %bb.30:
	s_or_b32 exec_lo, exec_lo, s1
	v_mov_b32_e32 v7, 0
	ds_load_b128 v[7:10], v7 offset:64
	s_wait_dscnt 0x0
	v_mul_f64_e32 v[11:12], v[1:2], v[9:10]
	v_mul_f64_e32 v[14:15], v[3:4], v[9:10]
	s_delay_alu instid0(VALU_DEP_2) | instskip(NEXT) | instid1(VALU_DEP_2)
	v_fma_f64 v[9:10], v[3:4], v[7:8], -v[11:12]
	v_fma_f64 v[11:12], v[1:2], v[7:8], v[14:15]
	scratch_store_b128 off, v[9:12], off offset:80
.LBB37_31:
	s_wait_alu 0xfffe
	s_or_b32 exec_lo, exec_lo, s0
	s_wait_loadcnt 0x0
	s_wait_storecnt 0x0
	s_barrier_signal -1
	s_barrier_wait -1
	global_inv scope:SCOPE_SE
	scratch_load_b128 v[1:4], off, s46
	;; [unrolled: 58-line block ×19, first 2 shown]
	s_mov_b32 s0, exec_lo
	s_wait_loadcnt 0x0
	ds_store_b128 v5, v[1:4]
	s_wait_dscnt 0x0
	s_barrier_signal -1
	s_barrier_wait -1
	global_inv scope:SCOPE_SE
	v_cmpx_gt_u32_e32 22, v0
	s_cbranch_execz .LBB37_103
; %bb.100:
	v_dual_mov_b32 v1, 0 :: v_dual_add_nc_u32 v8, 0x260, v21
	v_mov_b32_e32 v3, 0
	v_dual_mov_b32 v2, 0 :: v_dual_add_nc_u32 v7, -1, v0
	v_mov_b32_e32 v4, 0
	v_or_b32_e32 v9, 8, v13
	s_mov_b32 s1, 0
.LBB37_101:                             ; =>This Inner Loop Header: Depth=1
	scratch_load_b128 v[14:17], v9, off offset:-8
	ds_load_b128 v[22:25], v8
	v_add_nc_u32_e32 v7, 1, v7
	v_add_nc_u32_e32 v8, 16, v8
	v_add_nc_u32_e32 v9, 16, v9
	s_delay_alu instid0(VALU_DEP_3)
	v_cmp_lt_u32_e32 vcc_lo, 20, v7
	s_wait_alu 0xfffe
	s_or_b32 s1, vcc_lo, s1
	s_wait_loadcnt_dscnt 0x0
	v_mul_f64_e32 v[10:11], v[24:25], v[16:17]
	v_mul_f64_e32 v[16:17], v[22:23], v[16:17]
	s_delay_alu instid0(VALU_DEP_2) | instskip(NEXT) | instid1(VALU_DEP_2)
	v_fma_f64 v[10:11], v[22:23], v[14:15], -v[10:11]
	v_fma_f64 v[14:15], v[24:25], v[14:15], v[16:17]
	s_delay_alu instid0(VALU_DEP_2) | instskip(NEXT) | instid1(VALU_DEP_2)
	v_add_f64_e32 v[3:4], v[3:4], v[10:11]
	v_add_f64_e32 v[1:2], v[1:2], v[14:15]
	s_wait_alu 0xfffe
	s_and_not1_b32 exec_lo, exec_lo, s1
	s_cbranch_execnz .LBB37_101
; %bb.102:
	s_or_b32 exec_lo, exec_lo, s1
	v_mov_b32_e32 v7, 0
	ds_load_b128 v[7:10], v7 offset:352
	s_wait_dscnt 0x0
	v_mul_f64_e32 v[11:12], v[1:2], v[9:10]
	v_mul_f64_e32 v[14:15], v[3:4], v[9:10]
	s_delay_alu instid0(VALU_DEP_2) | instskip(NEXT) | instid1(VALU_DEP_2)
	v_fma_f64 v[9:10], v[3:4], v[7:8], -v[11:12]
	v_fma_f64 v[11:12], v[1:2], v[7:8], v[14:15]
	scratch_store_b128 off, v[9:12], off offset:368
.LBB37_103:
	s_wait_alu 0xfffe
	s_or_b32 exec_lo, exec_lo, s0
	s_wait_loadcnt 0x0
	s_wait_storecnt 0x0
	s_barrier_signal -1
	s_barrier_wait -1
	global_inv scope:SCOPE_SE
	scratch_load_b128 v[1:4], off, s9
	s_mov_b32 s0, exec_lo
	s_wait_loadcnt 0x0
	ds_store_b128 v5, v[1:4]
	s_wait_dscnt 0x0
	s_barrier_signal -1
	s_barrier_wait -1
	global_inv scope:SCOPE_SE
	v_cmpx_gt_u32_e32 23, v0
	s_cbranch_execz .LBB37_107
; %bb.104:
	v_dual_mov_b32 v1, 0 :: v_dual_add_nc_u32 v8, 0x260, v21
	v_mov_b32_e32 v3, 0
	v_dual_mov_b32 v2, 0 :: v_dual_add_nc_u32 v7, -1, v0
	v_mov_b32_e32 v4, 0
	v_or_b32_e32 v9, 8, v13
	s_mov_b32 s1, 0
.LBB37_105:                             ; =>This Inner Loop Header: Depth=1
	scratch_load_b128 v[14:17], v9, off offset:-8
	ds_load_b128 v[22:25], v8
	v_add_nc_u32_e32 v7, 1, v7
	v_add_nc_u32_e32 v8, 16, v8
	v_add_nc_u32_e32 v9, 16, v9
	s_delay_alu instid0(VALU_DEP_3)
	v_cmp_lt_u32_e32 vcc_lo, 21, v7
	s_wait_alu 0xfffe
	s_or_b32 s1, vcc_lo, s1
	s_wait_loadcnt_dscnt 0x0
	v_mul_f64_e32 v[10:11], v[24:25], v[16:17]
	v_mul_f64_e32 v[16:17], v[22:23], v[16:17]
	s_delay_alu instid0(VALU_DEP_2) | instskip(NEXT) | instid1(VALU_DEP_2)
	v_fma_f64 v[10:11], v[22:23], v[14:15], -v[10:11]
	v_fma_f64 v[14:15], v[24:25], v[14:15], v[16:17]
	s_delay_alu instid0(VALU_DEP_2) | instskip(NEXT) | instid1(VALU_DEP_2)
	v_add_f64_e32 v[3:4], v[3:4], v[10:11]
	v_add_f64_e32 v[1:2], v[1:2], v[14:15]
	s_wait_alu 0xfffe
	s_and_not1_b32 exec_lo, exec_lo, s1
	s_cbranch_execnz .LBB37_105
; %bb.106:
	s_or_b32 exec_lo, exec_lo, s1
	v_mov_b32_e32 v7, 0
	ds_load_b128 v[7:10], v7 offset:368
	s_wait_dscnt 0x0
	v_mul_f64_e32 v[11:12], v[1:2], v[9:10]
	v_mul_f64_e32 v[14:15], v[3:4], v[9:10]
	s_delay_alu instid0(VALU_DEP_2) | instskip(NEXT) | instid1(VALU_DEP_2)
	v_fma_f64 v[9:10], v[3:4], v[7:8], -v[11:12]
	v_fma_f64 v[11:12], v[1:2], v[7:8], v[14:15]
	scratch_store_b128 off, v[9:12], off offset:384
.LBB37_107:
	s_wait_alu 0xfffe
	s_or_b32 exec_lo, exec_lo, s0
	s_wait_loadcnt 0x0
	s_wait_storecnt 0x0
	s_barrier_signal -1
	s_barrier_wait -1
	global_inv scope:SCOPE_SE
	scratch_load_b128 v[1:4], off, s10
	;; [unrolled: 58-line block ×15, first 2 shown]
	s_mov_b32 s0, exec_lo
	s_wait_loadcnt 0x0
	ds_store_b128 v5, v[1:4]
	s_wait_dscnt 0x0
	s_barrier_signal -1
	s_barrier_wait -1
	global_inv scope:SCOPE_SE
	v_cmpx_ne_u32_e32 37, v0
	s_cbranch_execz .LBB37_163
; %bb.160:
	v_mov_b32_e32 v1, 0
	v_dual_mov_b32 v2, 0 :: v_dual_mov_b32 v3, 0
	v_mov_b32_e32 v4, 0
	v_or_b32_e32 v7, 8, v13
	s_mov_b32 s1, 0
.LBB37_161:                             ; =>This Inner Loop Header: Depth=1
	scratch_load_b128 v[8:11], v7, off offset:-8
	ds_load_b128 v[12:15], v5
	v_add_nc_u32_e32 v6, 1, v6
	v_add_nc_u32_e32 v5, 16, v5
	;; [unrolled: 1-line block ×3, first 2 shown]
	s_delay_alu instid0(VALU_DEP_3)
	v_cmp_lt_u32_e32 vcc_lo, 35, v6
	s_wait_alu 0xfffe
	s_or_b32 s1, vcc_lo, s1
	s_wait_loadcnt_dscnt 0x0
	v_mul_f64_e32 v[16:17], v[14:15], v[10:11]
	v_mul_f64_e32 v[10:11], v[12:13], v[10:11]
	s_delay_alu instid0(VALU_DEP_2) | instskip(NEXT) | instid1(VALU_DEP_2)
	v_fma_f64 v[12:13], v[12:13], v[8:9], -v[16:17]
	v_fma_f64 v[8:9], v[14:15], v[8:9], v[10:11]
	s_delay_alu instid0(VALU_DEP_2) | instskip(NEXT) | instid1(VALU_DEP_2)
	v_add_f64_e32 v[3:4], v[3:4], v[12:13]
	v_add_f64_e32 v[1:2], v[1:2], v[8:9]
	s_wait_alu 0xfffe
	s_and_not1_b32 exec_lo, exec_lo, s1
	s_cbranch_execnz .LBB37_161
; %bb.162:
	s_or_b32 exec_lo, exec_lo, s1
	v_mov_b32_e32 v5, 0
	ds_load_b128 v[5:8], v5 offset:592
	s_wait_dscnt 0x0
	v_mul_f64_e32 v[9:10], v[1:2], v[7:8]
	v_mul_f64_e32 v[7:8], v[3:4], v[7:8]
	s_delay_alu instid0(VALU_DEP_2) | instskip(NEXT) | instid1(VALU_DEP_2)
	v_fma_f64 v[3:4], v[3:4], v[5:6], -v[9:10]
	v_fma_f64 v[5:6], v[1:2], v[5:6], v[7:8]
	scratch_store_b128 off, v[3:6], off offset:608
.LBB37_163:
	s_wait_alu 0xfffe
	s_or_b32 exec_lo, exec_lo, s0
	s_mov_b32 s1, -1
	s_wait_loadcnt 0x0
	s_wait_storecnt 0x0
	s_barrier_signal -1
	s_barrier_wait -1
	global_inv scope:SCOPE_SE
.LBB37_164:
	s_wait_alu 0xfffe
	s_and_b32 vcc_lo, exec_lo, s1
	s_wait_alu 0xfffe
	s_cbranch_vccz .LBB37_166
; %bb.165:
	v_mov_b32_e32 v1, 0
	s_lshl_b64 s[0:1], s[16:17], 2
	s_wait_alu 0xfffe
	s_add_nc_u64 s[0:1], s[6:7], s[0:1]
	global_load_b32 v1, v1, s[0:1]
	s_wait_loadcnt 0x0
	v_cmp_ne_u32_e32 vcc_lo, 0, v1
	s_cbranch_vccz .LBB37_167
.LBB37_166:
	s_nop 0
	s_sendmsg sendmsg(MSG_DEALLOC_VGPRS)
	s_endpgm
.LBB37_167:
	v_lshl_add_u32 v114, v0, 4, 0x260
	s_mov_b32 s0, exec_lo
	v_cmpx_eq_u32_e32 37, v0
	s_cbranch_execz .LBB37_169
; %bb.168:
	scratch_load_b128 v[1:4], off, s30
	v_mov_b32_e32 v5, 0
	s_delay_alu instid0(VALU_DEP_1)
	v_dual_mov_b32 v6, v5 :: v_dual_mov_b32 v7, v5
	v_mov_b32_e32 v8, v5
	scratch_store_b128 off, v[5:8], off offset:592
	s_wait_loadcnt 0x0
	ds_store_b128 v114, v[1:4]
.LBB37_169:
	s_wait_alu 0xfffe
	s_or_b32 exec_lo, exec_lo, s0
	s_wait_storecnt_dscnt 0x0
	s_barrier_signal -1
	s_barrier_wait -1
	global_inv scope:SCOPE_SE
	s_clause 0x1
	scratch_load_b128 v[2:5], off, off offset:608
	scratch_load_b128 v[6:9], off, off offset:592
	v_mov_b32_e32 v1, 0
	s_mov_b32 s0, exec_lo
	ds_load_b128 v[10:13], v1 offset:1200
	s_wait_loadcnt_dscnt 0x100
	v_mul_f64_e32 v[14:15], v[12:13], v[4:5]
	v_mul_f64_e32 v[4:5], v[10:11], v[4:5]
	s_delay_alu instid0(VALU_DEP_2) | instskip(NEXT) | instid1(VALU_DEP_2)
	v_fma_f64 v[10:11], v[10:11], v[2:3], -v[14:15]
	v_fma_f64 v[2:3], v[12:13], v[2:3], v[4:5]
	s_delay_alu instid0(VALU_DEP_2) | instskip(NEXT) | instid1(VALU_DEP_2)
	v_add_f64_e32 v[4:5], 0, v[10:11]
	v_add_f64_e32 v[10:11], 0, v[2:3]
	s_wait_loadcnt 0x0
	s_delay_alu instid0(VALU_DEP_2) | instskip(NEXT) | instid1(VALU_DEP_2)
	v_add_f64_e64 v[2:3], v[6:7], -v[4:5]
	v_add_f64_e64 v[4:5], v[8:9], -v[10:11]
	scratch_store_b128 off, v[2:5], off offset:592
	v_cmpx_lt_u32_e32 35, v0
	s_cbranch_execz .LBB37_171
; %bb.170:
	scratch_load_b128 v[5:8], off, s24
	v_dual_mov_b32 v2, v1 :: v_dual_mov_b32 v3, v1
	v_mov_b32_e32 v4, v1
	scratch_store_b128 off, v[1:4], off offset:576
	s_wait_loadcnt 0x0
	ds_store_b128 v114, v[5:8]
.LBB37_171:
	s_wait_alu 0xfffe
	s_or_b32 exec_lo, exec_lo, s0
	s_wait_storecnt_dscnt 0x0
	s_barrier_signal -1
	s_barrier_wait -1
	global_inv scope:SCOPE_SE
	s_clause 0x2
	scratch_load_b128 v[2:5], off, off offset:592
	scratch_load_b128 v[6:9], off, off offset:608
	;; [unrolled: 1-line block ×3, first 2 shown]
	ds_load_b128 v[14:17], v1 offset:1184
	ds_load_b128 v[18:21], v1 offset:1200
	s_mov_b32 s0, exec_lo
	s_wait_loadcnt_dscnt 0x201
	v_mul_f64_e32 v[22:23], v[16:17], v[4:5]
	v_mul_f64_e32 v[4:5], v[14:15], v[4:5]
	s_wait_loadcnt_dscnt 0x100
	v_mul_f64_e32 v[24:25], v[18:19], v[8:9]
	v_mul_f64_e32 v[8:9], v[20:21], v[8:9]
	s_delay_alu instid0(VALU_DEP_4) | instskip(NEXT) | instid1(VALU_DEP_4)
	v_fma_f64 v[14:15], v[14:15], v[2:3], -v[22:23]
	v_fma_f64 v[1:2], v[16:17], v[2:3], v[4:5]
	s_delay_alu instid0(VALU_DEP_4) | instskip(NEXT) | instid1(VALU_DEP_4)
	v_fma_f64 v[3:4], v[20:21], v[6:7], v[24:25]
	v_fma_f64 v[5:6], v[18:19], v[6:7], -v[8:9]
	s_delay_alu instid0(VALU_DEP_4) | instskip(NEXT) | instid1(VALU_DEP_4)
	v_add_f64_e32 v[7:8], 0, v[14:15]
	v_add_f64_e32 v[1:2], 0, v[1:2]
	s_delay_alu instid0(VALU_DEP_2) | instskip(NEXT) | instid1(VALU_DEP_2)
	v_add_f64_e32 v[5:6], v[7:8], v[5:6]
	v_add_f64_e32 v[3:4], v[1:2], v[3:4]
	s_wait_loadcnt 0x0
	s_delay_alu instid0(VALU_DEP_2) | instskip(NEXT) | instid1(VALU_DEP_2)
	v_add_f64_e64 v[1:2], v[10:11], -v[5:6]
	v_add_f64_e64 v[3:4], v[12:13], -v[3:4]
	scratch_store_b128 off, v[1:4], off offset:576
	v_cmpx_lt_u32_e32 34, v0
	s_cbranch_execz .LBB37_173
; %bb.172:
	scratch_load_b128 v[1:4], off, s28
	v_mov_b32_e32 v5, 0
	s_delay_alu instid0(VALU_DEP_1)
	v_dual_mov_b32 v6, v5 :: v_dual_mov_b32 v7, v5
	v_mov_b32_e32 v8, v5
	scratch_store_b128 off, v[5:8], off offset:560
	s_wait_loadcnt 0x0
	ds_store_b128 v114, v[1:4]
.LBB37_173:
	s_wait_alu 0xfffe
	s_or_b32 exec_lo, exec_lo, s0
	s_wait_storecnt_dscnt 0x0
	s_barrier_signal -1
	s_barrier_wait -1
	global_inv scope:SCOPE_SE
	s_clause 0x3
	scratch_load_b128 v[2:5], off, off offset:576
	scratch_load_b128 v[6:9], off, off offset:592
	;; [unrolled: 1-line block ×4, first 2 shown]
	v_mov_b32_e32 v1, 0
	ds_load_b128 v[18:21], v1 offset:1168
	ds_load_b128 v[22:25], v1 offset:1184
	s_mov_b32 s0, exec_lo
	s_wait_loadcnt_dscnt 0x301
	v_mul_f64_e32 v[26:27], v[20:21], v[4:5]
	v_mul_f64_e32 v[4:5], v[18:19], v[4:5]
	s_wait_loadcnt_dscnt 0x200
	v_mul_f64_e32 v[28:29], v[22:23], v[8:9]
	v_mul_f64_e32 v[8:9], v[24:25], v[8:9]
	s_delay_alu instid0(VALU_DEP_4) | instskip(NEXT) | instid1(VALU_DEP_4)
	v_fma_f64 v[18:19], v[18:19], v[2:3], -v[26:27]
	v_fma_f64 v[20:21], v[20:21], v[2:3], v[4:5]
	ds_load_b128 v[2:5], v1 offset:1200
	v_fma_f64 v[24:25], v[24:25], v[6:7], v[28:29]
	v_fma_f64 v[6:7], v[22:23], v[6:7], -v[8:9]
	s_wait_loadcnt_dscnt 0x100
	v_mul_f64_e32 v[26:27], v[2:3], v[12:13]
	v_mul_f64_e32 v[12:13], v[4:5], v[12:13]
	v_add_f64_e32 v[8:9], 0, v[18:19]
	v_add_f64_e32 v[18:19], 0, v[20:21]
	s_delay_alu instid0(VALU_DEP_4) | instskip(NEXT) | instid1(VALU_DEP_4)
	v_fma_f64 v[4:5], v[4:5], v[10:11], v[26:27]
	v_fma_f64 v[2:3], v[2:3], v[10:11], -v[12:13]
	s_delay_alu instid0(VALU_DEP_4) | instskip(NEXT) | instid1(VALU_DEP_4)
	v_add_f64_e32 v[6:7], v[8:9], v[6:7]
	v_add_f64_e32 v[8:9], v[18:19], v[24:25]
	s_delay_alu instid0(VALU_DEP_2) | instskip(NEXT) | instid1(VALU_DEP_2)
	v_add_f64_e32 v[2:3], v[6:7], v[2:3]
	v_add_f64_e32 v[4:5], v[8:9], v[4:5]
	s_wait_loadcnt 0x0
	s_delay_alu instid0(VALU_DEP_2) | instskip(NEXT) | instid1(VALU_DEP_2)
	v_add_f64_e64 v[2:3], v[14:15], -v[2:3]
	v_add_f64_e64 v[4:5], v[16:17], -v[4:5]
	scratch_store_b128 off, v[2:5], off offset:560
	v_cmpx_lt_u32_e32 33, v0
	s_cbranch_execz .LBB37_175
; %bb.174:
	scratch_load_b128 v[5:8], off, s22
	v_dual_mov_b32 v2, v1 :: v_dual_mov_b32 v3, v1
	v_mov_b32_e32 v4, v1
	scratch_store_b128 off, v[1:4], off offset:544
	s_wait_loadcnt 0x0
	ds_store_b128 v114, v[5:8]
.LBB37_175:
	s_wait_alu 0xfffe
	s_or_b32 exec_lo, exec_lo, s0
	s_wait_storecnt_dscnt 0x0
	s_barrier_signal -1
	s_barrier_wait -1
	global_inv scope:SCOPE_SE
	s_clause 0x4
	scratch_load_b128 v[2:5], off, off offset:560
	scratch_load_b128 v[6:9], off, off offset:576
	;; [unrolled: 1-line block ×5, first 2 shown]
	ds_load_b128 v[22:25], v1 offset:1152
	ds_load_b128 v[26:29], v1 offset:1168
	s_mov_b32 s0, exec_lo
	s_wait_loadcnt_dscnt 0x401
	v_mul_f64_e32 v[30:31], v[24:25], v[4:5]
	v_mul_f64_e32 v[4:5], v[22:23], v[4:5]
	s_wait_loadcnt_dscnt 0x300
	v_mul_f64_e32 v[32:33], v[26:27], v[8:9]
	v_mul_f64_e32 v[8:9], v[28:29], v[8:9]
	s_delay_alu instid0(VALU_DEP_4) | instskip(NEXT) | instid1(VALU_DEP_4)
	v_fma_f64 v[30:31], v[22:23], v[2:3], -v[30:31]
	v_fma_f64 v[34:35], v[24:25], v[2:3], v[4:5]
	ds_load_b128 v[2:5], v1 offset:1184
	ds_load_b128 v[22:25], v1 offset:1200
	v_fma_f64 v[28:29], v[28:29], v[6:7], v[32:33]
	v_fma_f64 v[6:7], v[26:27], v[6:7], -v[8:9]
	s_wait_loadcnt_dscnt 0x201
	v_mul_f64_e32 v[36:37], v[2:3], v[12:13]
	v_mul_f64_e32 v[12:13], v[4:5], v[12:13]
	v_add_f64_e32 v[8:9], 0, v[30:31]
	v_add_f64_e32 v[26:27], 0, v[34:35]
	s_wait_loadcnt_dscnt 0x100
	v_mul_f64_e32 v[30:31], v[22:23], v[16:17]
	v_mul_f64_e32 v[16:17], v[24:25], v[16:17]
	v_fma_f64 v[4:5], v[4:5], v[10:11], v[36:37]
	v_fma_f64 v[1:2], v[2:3], v[10:11], -v[12:13]
	v_add_f64_e32 v[6:7], v[8:9], v[6:7]
	v_add_f64_e32 v[8:9], v[26:27], v[28:29]
	v_fma_f64 v[10:11], v[24:25], v[14:15], v[30:31]
	v_fma_f64 v[12:13], v[22:23], v[14:15], -v[16:17]
	s_delay_alu instid0(VALU_DEP_4) | instskip(NEXT) | instid1(VALU_DEP_4)
	v_add_f64_e32 v[1:2], v[6:7], v[1:2]
	v_add_f64_e32 v[3:4], v[8:9], v[4:5]
	s_delay_alu instid0(VALU_DEP_2) | instskip(NEXT) | instid1(VALU_DEP_2)
	v_add_f64_e32 v[1:2], v[1:2], v[12:13]
	v_add_f64_e32 v[3:4], v[3:4], v[10:11]
	s_wait_loadcnt 0x0
	s_delay_alu instid0(VALU_DEP_2) | instskip(NEXT) | instid1(VALU_DEP_2)
	v_add_f64_e64 v[1:2], v[18:19], -v[1:2]
	v_add_f64_e64 v[3:4], v[20:21], -v[3:4]
	scratch_store_b128 off, v[1:4], off offset:544
	v_cmpx_lt_u32_e32 32, v0
	s_cbranch_execz .LBB37_177
; %bb.176:
	scratch_load_b128 v[1:4], off, s27
	v_mov_b32_e32 v5, 0
	s_delay_alu instid0(VALU_DEP_1)
	v_dual_mov_b32 v6, v5 :: v_dual_mov_b32 v7, v5
	v_mov_b32_e32 v8, v5
	scratch_store_b128 off, v[5:8], off offset:528
	s_wait_loadcnt 0x0
	ds_store_b128 v114, v[1:4]
.LBB37_177:
	s_wait_alu 0xfffe
	s_or_b32 exec_lo, exec_lo, s0
	s_wait_storecnt_dscnt 0x0
	s_barrier_signal -1
	s_barrier_wait -1
	global_inv scope:SCOPE_SE
	s_clause 0x5
	scratch_load_b128 v[2:5], off, off offset:544
	scratch_load_b128 v[6:9], off, off offset:560
	;; [unrolled: 1-line block ×6, first 2 shown]
	v_mov_b32_e32 v1, 0
	ds_load_b128 v[26:29], v1 offset:1136
	ds_load_b128 v[30:33], v1 offset:1152
	s_mov_b32 s0, exec_lo
	s_wait_loadcnt_dscnt 0x501
	v_mul_f64_e32 v[34:35], v[28:29], v[4:5]
	v_mul_f64_e32 v[4:5], v[26:27], v[4:5]
	s_wait_loadcnt_dscnt 0x400
	v_mul_f64_e32 v[36:37], v[30:31], v[8:9]
	v_mul_f64_e32 v[8:9], v[32:33], v[8:9]
	s_delay_alu instid0(VALU_DEP_4) | instskip(NEXT) | instid1(VALU_DEP_4)
	v_fma_f64 v[34:35], v[26:27], v[2:3], -v[34:35]
	v_fma_f64 v[115:116], v[28:29], v[2:3], v[4:5]
	ds_load_b128 v[2:5], v1 offset:1168
	ds_load_b128 v[26:29], v1 offset:1184
	v_fma_f64 v[32:33], v[32:33], v[6:7], v[36:37]
	v_fma_f64 v[6:7], v[30:31], v[6:7], -v[8:9]
	s_wait_loadcnt_dscnt 0x301
	v_mul_f64_e32 v[117:118], v[2:3], v[12:13]
	v_mul_f64_e32 v[12:13], v[4:5], v[12:13]
	v_add_f64_e32 v[8:9], 0, v[34:35]
	v_add_f64_e32 v[30:31], 0, v[115:116]
	s_wait_loadcnt_dscnt 0x200
	v_mul_f64_e32 v[34:35], v[26:27], v[16:17]
	v_mul_f64_e32 v[16:17], v[28:29], v[16:17]
	v_fma_f64 v[36:37], v[4:5], v[10:11], v[117:118]
	v_fma_f64 v[10:11], v[2:3], v[10:11], -v[12:13]
	ds_load_b128 v[2:5], v1 offset:1200
	v_add_f64_e32 v[6:7], v[8:9], v[6:7]
	v_add_f64_e32 v[8:9], v[30:31], v[32:33]
	v_fma_f64 v[28:29], v[28:29], v[14:15], v[34:35]
	v_fma_f64 v[14:15], v[26:27], v[14:15], -v[16:17]
	s_wait_loadcnt_dscnt 0x100
	v_mul_f64_e32 v[12:13], v[2:3], v[20:21]
	v_mul_f64_e32 v[20:21], v[4:5], v[20:21]
	v_add_f64_e32 v[6:7], v[6:7], v[10:11]
	v_add_f64_e32 v[8:9], v[8:9], v[36:37]
	s_delay_alu instid0(VALU_DEP_4) | instskip(NEXT) | instid1(VALU_DEP_4)
	v_fma_f64 v[4:5], v[4:5], v[18:19], v[12:13]
	v_fma_f64 v[2:3], v[2:3], v[18:19], -v[20:21]
	s_delay_alu instid0(VALU_DEP_4) | instskip(NEXT) | instid1(VALU_DEP_4)
	v_add_f64_e32 v[6:7], v[6:7], v[14:15]
	v_add_f64_e32 v[8:9], v[8:9], v[28:29]
	s_delay_alu instid0(VALU_DEP_2) | instskip(NEXT) | instid1(VALU_DEP_2)
	v_add_f64_e32 v[2:3], v[6:7], v[2:3]
	v_add_f64_e32 v[4:5], v[8:9], v[4:5]
	s_wait_loadcnt 0x0
	s_delay_alu instid0(VALU_DEP_2) | instskip(NEXT) | instid1(VALU_DEP_2)
	v_add_f64_e64 v[2:3], v[22:23], -v[2:3]
	v_add_f64_e64 v[4:5], v[24:25], -v[4:5]
	scratch_store_b128 off, v[2:5], off offset:528
	v_cmpx_lt_u32_e32 31, v0
	s_cbranch_execz .LBB37_179
; %bb.178:
	scratch_load_b128 v[5:8], off, s23
	v_dual_mov_b32 v2, v1 :: v_dual_mov_b32 v3, v1
	v_mov_b32_e32 v4, v1
	scratch_store_b128 off, v[1:4], off offset:512
	s_wait_loadcnt 0x0
	ds_store_b128 v114, v[5:8]
.LBB37_179:
	s_wait_alu 0xfffe
	s_or_b32 exec_lo, exec_lo, s0
	s_wait_storecnt_dscnt 0x0
	s_barrier_signal -1
	s_barrier_wait -1
	global_inv scope:SCOPE_SE
	s_clause 0x5
	scratch_load_b128 v[2:5], off, off offset:528
	scratch_load_b128 v[6:9], off, off offset:544
	;; [unrolled: 1-line block ×6, first 2 shown]
	ds_load_b128 v[26:29], v1 offset:1120
	ds_load_b128 v[34:37], v1 offset:1136
	scratch_load_b128 v[30:33], off, off offset:512
	s_mov_b32 s0, exec_lo
	s_wait_loadcnt_dscnt 0x601
	v_mul_f64_e32 v[115:116], v[28:29], v[4:5]
	v_mul_f64_e32 v[4:5], v[26:27], v[4:5]
	s_wait_loadcnt_dscnt 0x500
	v_mul_f64_e32 v[117:118], v[34:35], v[8:9]
	v_mul_f64_e32 v[8:9], v[36:37], v[8:9]
	s_delay_alu instid0(VALU_DEP_4) | instskip(NEXT) | instid1(VALU_DEP_4)
	v_fma_f64 v[115:116], v[26:27], v[2:3], -v[115:116]
	v_fma_f64 v[119:120], v[28:29], v[2:3], v[4:5]
	ds_load_b128 v[2:5], v1 offset:1152
	ds_load_b128 v[26:29], v1 offset:1168
	v_fma_f64 v[36:37], v[36:37], v[6:7], v[117:118]
	v_fma_f64 v[6:7], v[34:35], v[6:7], -v[8:9]
	s_wait_loadcnt_dscnt 0x401
	v_mul_f64_e32 v[121:122], v[2:3], v[12:13]
	v_mul_f64_e32 v[12:13], v[4:5], v[12:13]
	v_add_f64_e32 v[8:9], 0, v[115:116]
	v_add_f64_e32 v[34:35], 0, v[119:120]
	s_wait_loadcnt_dscnt 0x300
	v_mul_f64_e32 v[115:116], v[26:27], v[16:17]
	v_mul_f64_e32 v[16:17], v[28:29], v[16:17]
	v_fma_f64 v[117:118], v[4:5], v[10:11], v[121:122]
	v_fma_f64 v[10:11], v[2:3], v[10:11], -v[12:13]
	v_add_f64_e32 v[12:13], v[8:9], v[6:7]
	v_add_f64_e32 v[34:35], v[34:35], v[36:37]
	ds_load_b128 v[2:5], v1 offset:1184
	ds_load_b128 v[6:9], v1 offset:1200
	v_fma_f64 v[28:29], v[28:29], v[14:15], v[115:116]
	v_fma_f64 v[14:15], v[26:27], v[14:15], -v[16:17]
	s_wait_loadcnt_dscnt 0x201
	v_mul_f64_e32 v[36:37], v[2:3], v[20:21]
	v_mul_f64_e32 v[20:21], v[4:5], v[20:21]
	s_wait_loadcnt_dscnt 0x100
	v_mul_f64_e32 v[16:17], v[6:7], v[24:25]
	v_mul_f64_e32 v[24:25], v[8:9], v[24:25]
	v_add_f64_e32 v[10:11], v[12:13], v[10:11]
	v_add_f64_e32 v[12:13], v[34:35], v[117:118]
	v_fma_f64 v[4:5], v[4:5], v[18:19], v[36:37]
	v_fma_f64 v[1:2], v[2:3], v[18:19], -v[20:21]
	v_fma_f64 v[8:9], v[8:9], v[22:23], v[16:17]
	v_fma_f64 v[6:7], v[6:7], v[22:23], -v[24:25]
	v_add_f64_e32 v[10:11], v[10:11], v[14:15]
	v_add_f64_e32 v[12:13], v[12:13], v[28:29]
	s_delay_alu instid0(VALU_DEP_2) | instskip(NEXT) | instid1(VALU_DEP_2)
	v_add_f64_e32 v[1:2], v[10:11], v[1:2]
	v_add_f64_e32 v[3:4], v[12:13], v[4:5]
	s_delay_alu instid0(VALU_DEP_2) | instskip(NEXT) | instid1(VALU_DEP_2)
	v_add_f64_e32 v[1:2], v[1:2], v[6:7]
	v_add_f64_e32 v[3:4], v[3:4], v[8:9]
	s_wait_loadcnt 0x0
	s_delay_alu instid0(VALU_DEP_2) | instskip(NEXT) | instid1(VALU_DEP_2)
	v_add_f64_e64 v[1:2], v[30:31], -v[1:2]
	v_add_f64_e64 v[3:4], v[32:33], -v[3:4]
	scratch_store_b128 off, v[1:4], off offset:512
	v_cmpx_lt_u32_e32 30, v0
	s_cbranch_execz .LBB37_181
; %bb.180:
	scratch_load_b128 v[1:4], off, s26
	v_mov_b32_e32 v5, 0
	s_delay_alu instid0(VALU_DEP_1)
	v_dual_mov_b32 v6, v5 :: v_dual_mov_b32 v7, v5
	v_mov_b32_e32 v8, v5
	scratch_store_b128 off, v[5:8], off offset:496
	s_wait_loadcnt 0x0
	ds_store_b128 v114, v[1:4]
.LBB37_181:
	s_wait_alu 0xfffe
	s_or_b32 exec_lo, exec_lo, s0
	s_wait_storecnt_dscnt 0x0
	s_barrier_signal -1
	s_barrier_wait -1
	global_inv scope:SCOPE_SE
	s_clause 0x6
	scratch_load_b128 v[2:5], off, off offset:512
	scratch_load_b128 v[6:9], off, off offset:528
	;; [unrolled: 1-line block ×7, first 2 shown]
	v_mov_b32_e32 v1, 0
	scratch_load_b128 v[34:37], off, off offset:496
	s_mov_b32 s0, exec_lo
	ds_load_b128 v[30:33], v1 offset:1104
	ds_load_b128 v[115:118], v1 offset:1120
	s_wait_loadcnt_dscnt 0x701
	v_mul_f64_e32 v[119:120], v[32:33], v[4:5]
	v_mul_f64_e32 v[4:5], v[30:31], v[4:5]
	s_wait_loadcnt_dscnt 0x600
	v_mul_f64_e32 v[121:122], v[115:116], v[8:9]
	v_mul_f64_e32 v[8:9], v[117:118], v[8:9]
	s_delay_alu instid0(VALU_DEP_4) | instskip(NEXT) | instid1(VALU_DEP_4)
	v_fma_f64 v[119:120], v[30:31], v[2:3], -v[119:120]
	v_fma_f64 v[123:124], v[32:33], v[2:3], v[4:5]
	ds_load_b128 v[2:5], v1 offset:1136
	ds_load_b128 v[30:33], v1 offset:1152
	v_fma_f64 v[117:118], v[117:118], v[6:7], v[121:122]
	v_fma_f64 v[6:7], v[115:116], v[6:7], -v[8:9]
	s_wait_loadcnt_dscnt 0x501
	v_mul_f64_e32 v[125:126], v[2:3], v[12:13]
	v_mul_f64_e32 v[12:13], v[4:5], v[12:13]
	v_add_f64_e32 v[8:9], 0, v[119:120]
	v_add_f64_e32 v[115:116], 0, v[123:124]
	s_wait_loadcnt_dscnt 0x400
	v_mul_f64_e32 v[119:120], v[30:31], v[16:17]
	v_mul_f64_e32 v[16:17], v[32:33], v[16:17]
	v_fma_f64 v[121:122], v[4:5], v[10:11], v[125:126]
	v_fma_f64 v[10:11], v[2:3], v[10:11], -v[12:13]
	v_add_f64_e32 v[12:13], v[8:9], v[6:7]
	v_add_f64_e32 v[115:116], v[115:116], v[117:118]
	ds_load_b128 v[2:5], v1 offset:1168
	ds_load_b128 v[6:9], v1 offset:1184
	v_fma_f64 v[32:33], v[32:33], v[14:15], v[119:120]
	v_fma_f64 v[14:15], v[30:31], v[14:15], -v[16:17]
	s_wait_loadcnt_dscnt 0x301
	v_mul_f64_e32 v[117:118], v[2:3], v[20:21]
	v_mul_f64_e32 v[20:21], v[4:5], v[20:21]
	s_wait_loadcnt_dscnt 0x200
	v_mul_f64_e32 v[16:17], v[6:7], v[24:25]
	v_mul_f64_e32 v[24:25], v[8:9], v[24:25]
	v_add_f64_e32 v[10:11], v[12:13], v[10:11]
	v_add_f64_e32 v[12:13], v[115:116], v[121:122]
	v_fma_f64 v[30:31], v[4:5], v[18:19], v[117:118]
	v_fma_f64 v[18:19], v[2:3], v[18:19], -v[20:21]
	ds_load_b128 v[2:5], v1 offset:1200
	v_fma_f64 v[8:9], v[8:9], v[22:23], v[16:17]
	v_fma_f64 v[6:7], v[6:7], v[22:23], -v[24:25]
	v_add_f64_e32 v[10:11], v[10:11], v[14:15]
	v_add_f64_e32 v[12:13], v[12:13], v[32:33]
	s_wait_loadcnt_dscnt 0x100
	v_mul_f64_e32 v[14:15], v[2:3], v[28:29]
	v_mul_f64_e32 v[20:21], v[4:5], v[28:29]
	s_delay_alu instid0(VALU_DEP_4) | instskip(NEXT) | instid1(VALU_DEP_4)
	v_add_f64_e32 v[10:11], v[10:11], v[18:19]
	v_add_f64_e32 v[12:13], v[12:13], v[30:31]
	s_delay_alu instid0(VALU_DEP_4) | instskip(NEXT) | instid1(VALU_DEP_4)
	v_fma_f64 v[4:5], v[4:5], v[26:27], v[14:15]
	v_fma_f64 v[2:3], v[2:3], v[26:27], -v[20:21]
	s_delay_alu instid0(VALU_DEP_4) | instskip(NEXT) | instid1(VALU_DEP_4)
	v_add_f64_e32 v[6:7], v[10:11], v[6:7]
	v_add_f64_e32 v[8:9], v[12:13], v[8:9]
	s_delay_alu instid0(VALU_DEP_2) | instskip(NEXT) | instid1(VALU_DEP_2)
	v_add_f64_e32 v[2:3], v[6:7], v[2:3]
	v_add_f64_e32 v[4:5], v[8:9], v[4:5]
	s_wait_loadcnt 0x0
	s_delay_alu instid0(VALU_DEP_2) | instskip(NEXT) | instid1(VALU_DEP_2)
	v_add_f64_e64 v[2:3], v[34:35], -v[2:3]
	v_add_f64_e64 v[4:5], v[36:37], -v[4:5]
	scratch_store_b128 off, v[2:5], off offset:496
	v_cmpx_lt_u32_e32 29, v0
	s_cbranch_execz .LBB37_183
; %bb.182:
	scratch_load_b128 v[5:8], off, s25
	v_dual_mov_b32 v2, v1 :: v_dual_mov_b32 v3, v1
	v_mov_b32_e32 v4, v1
	scratch_store_b128 off, v[1:4], off offset:480
	s_wait_loadcnt 0x0
	ds_store_b128 v114, v[5:8]
.LBB37_183:
	s_wait_alu 0xfffe
	s_or_b32 exec_lo, exec_lo, s0
	s_wait_storecnt_dscnt 0x0
	s_barrier_signal -1
	s_barrier_wait -1
	global_inv scope:SCOPE_SE
	s_clause 0x7
	scratch_load_b128 v[2:5], off, off offset:496
	scratch_load_b128 v[6:9], off, off offset:512
	;; [unrolled: 1-line block ×8, first 2 shown]
	ds_load_b128 v[34:37], v1 offset:1088
	ds_load_b128 v[115:118], v1 offset:1104
	scratch_load_b128 v[119:122], off, off offset:480
	s_mov_b32 s0, exec_lo
	s_wait_loadcnt_dscnt 0x801
	v_mul_f64_e32 v[123:124], v[36:37], v[4:5]
	v_mul_f64_e32 v[4:5], v[34:35], v[4:5]
	s_wait_loadcnt_dscnt 0x700
	v_mul_f64_e32 v[125:126], v[115:116], v[8:9]
	v_mul_f64_e32 v[8:9], v[117:118], v[8:9]
	s_delay_alu instid0(VALU_DEP_4) | instskip(NEXT) | instid1(VALU_DEP_4)
	v_fma_f64 v[123:124], v[34:35], v[2:3], -v[123:124]
	v_fma_f64 v[127:128], v[36:37], v[2:3], v[4:5]
	ds_load_b128 v[2:5], v1 offset:1120
	ds_load_b128 v[34:37], v1 offset:1136
	v_fma_f64 v[117:118], v[117:118], v[6:7], v[125:126]
	v_fma_f64 v[6:7], v[115:116], v[6:7], -v[8:9]
	s_wait_loadcnt_dscnt 0x601
	v_mul_f64_e32 v[129:130], v[2:3], v[12:13]
	v_mul_f64_e32 v[12:13], v[4:5], v[12:13]
	v_add_f64_e32 v[8:9], 0, v[123:124]
	v_add_f64_e32 v[115:116], 0, v[127:128]
	s_wait_loadcnt_dscnt 0x500
	v_mul_f64_e32 v[123:124], v[34:35], v[16:17]
	v_mul_f64_e32 v[16:17], v[36:37], v[16:17]
	v_fma_f64 v[125:126], v[4:5], v[10:11], v[129:130]
	v_fma_f64 v[10:11], v[2:3], v[10:11], -v[12:13]
	v_add_f64_e32 v[12:13], v[8:9], v[6:7]
	v_add_f64_e32 v[115:116], v[115:116], v[117:118]
	ds_load_b128 v[2:5], v1 offset:1152
	ds_load_b128 v[6:9], v1 offset:1168
	v_fma_f64 v[36:37], v[36:37], v[14:15], v[123:124]
	v_fma_f64 v[14:15], v[34:35], v[14:15], -v[16:17]
	s_wait_loadcnt_dscnt 0x401
	v_mul_f64_e32 v[117:118], v[2:3], v[20:21]
	v_mul_f64_e32 v[20:21], v[4:5], v[20:21]
	s_wait_loadcnt_dscnt 0x300
	v_mul_f64_e32 v[16:17], v[6:7], v[24:25]
	v_mul_f64_e32 v[24:25], v[8:9], v[24:25]
	v_add_f64_e32 v[10:11], v[12:13], v[10:11]
	v_add_f64_e32 v[12:13], v[115:116], v[125:126]
	v_fma_f64 v[34:35], v[4:5], v[18:19], v[117:118]
	v_fma_f64 v[18:19], v[2:3], v[18:19], -v[20:21]
	v_fma_f64 v[8:9], v[8:9], v[22:23], v[16:17]
	v_fma_f64 v[6:7], v[6:7], v[22:23], -v[24:25]
	v_add_f64_e32 v[14:15], v[10:11], v[14:15]
	v_add_f64_e32 v[20:21], v[12:13], v[36:37]
	ds_load_b128 v[2:5], v1 offset:1184
	ds_load_b128 v[10:13], v1 offset:1200
	s_wait_loadcnt_dscnt 0x201
	v_mul_f64_e32 v[36:37], v[2:3], v[28:29]
	v_mul_f64_e32 v[28:29], v[4:5], v[28:29]
	v_add_f64_e32 v[14:15], v[14:15], v[18:19]
	v_add_f64_e32 v[16:17], v[20:21], v[34:35]
	s_wait_loadcnt_dscnt 0x100
	v_mul_f64_e32 v[18:19], v[10:11], v[32:33]
	v_mul_f64_e32 v[20:21], v[12:13], v[32:33]
	v_fma_f64 v[4:5], v[4:5], v[26:27], v[36:37]
	v_fma_f64 v[1:2], v[2:3], v[26:27], -v[28:29]
	v_add_f64_e32 v[6:7], v[14:15], v[6:7]
	v_add_f64_e32 v[8:9], v[16:17], v[8:9]
	v_fma_f64 v[12:13], v[12:13], v[30:31], v[18:19]
	v_fma_f64 v[10:11], v[10:11], v[30:31], -v[20:21]
	s_delay_alu instid0(VALU_DEP_4) | instskip(NEXT) | instid1(VALU_DEP_4)
	v_add_f64_e32 v[1:2], v[6:7], v[1:2]
	v_add_f64_e32 v[3:4], v[8:9], v[4:5]
	s_delay_alu instid0(VALU_DEP_2) | instskip(NEXT) | instid1(VALU_DEP_2)
	v_add_f64_e32 v[1:2], v[1:2], v[10:11]
	v_add_f64_e32 v[3:4], v[3:4], v[12:13]
	s_wait_loadcnt 0x0
	s_delay_alu instid0(VALU_DEP_2) | instskip(NEXT) | instid1(VALU_DEP_2)
	v_add_f64_e64 v[1:2], v[119:120], -v[1:2]
	v_add_f64_e64 v[3:4], v[121:122], -v[3:4]
	scratch_store_b128 off, v[1:4], off offset:480
	v_cmpx_lt_u32_e32 28, v0
	s_cbranch_execz .LBB37_185
; %bb.184:
	scratch_load_b128 v[1:4], off, s29
	v_mov_b32_e32 v5, 0
	s_delay_alu instid0(VALU_DEP_1)
	v_dual_mov_b32 v6, v5 :: v_dual_mov_b32 v7, v5
	v_mov_b32_e32 v8, v5
	scratch_store_b128 off, v[5:8], off offset:464
	s_wait_loadcnt 0x0
	ds_store_b128 v114, v[1:4]
.LBB37_185:
	s_wait_alu 0xfffe
	s_or_b32 exec_lo, exec_lo, s0
	s_wait_storecnt_dscnt 0x0
	s_barrier_signal -1
	s_barrier_wait -1
	global_inv scope:SCOPE_SE
	s_clause 0x7
	scratch_load_b128 v[2:5], off, off offset:480
	scratch_load_b128 v[6:9], off, off offset:496
	;; [unrolled: 1-line block ×8, first 2 shown]
	v_mov_b32_e32 v1, 0
	s_mov_b32 s0, exec_lo
	ds_load_b128 v[34:37], v1 offset:1072
	s_clause 0x1
	scratch_load_b128 v[115:118], off, off offset:608
	scratch_load_b128 v[119:122], off, off offset:464
	ds_load_b128 v[123:126], v1 offset:1088
	s_wait_loadcnt_dscnt 0x901
	v_mul_f64_e32 v[127:128], v[36:37], v[4:5]
	v_mul_f64_e32 v[4:5], v[34:35], v[4:5]
	s_wait_loadcnt_dscnt 0x800
	v_mul_f64_e32 v[129:130], v[123:124], v[8:9]
	v_mul_f64_e32 v[8:9], v[125:126], v[8:9]
	s_delay_alu instid0(VALU_DEP_4) | instskip(NEXT) | instid1(VALU_DEP_4)
	v_fma_f64 v[127:128], v[34:35], v[2:3], -v[127:128]
	v_fma_f64 v[131:132], v[36:37], v[2:3], v[4:5]
	ds_load_b128 v[2:5], v1 offset:1104
	ds_load_b128 v[34:37], v1 offset:1120
	v_fma_f64 v[125:126], v[125:126], v[6:7], v[129:130]
	v_fma_f64 v[6:7], v[123:124], v[6:7], -v[8:9]
	s_wait_loadcnt_dscnt 0x701
	v_mul_f64_e32 v[133:134], v[2:3], v[12:13]
	v_mul_f64_e32 v[12:13], v[4:5], v[12:13]
	v_add_f64_e32 v[8:9], 0, v[127:128]
	v_add_f64_e32 v[123:124], 0, v[131:132]
	s_wait_loadcnt_dscnt 0x600
	v_mul_f64_e32 v[127:128], v[34:35], v[16:17]
	v_mul_f64_e32 v[16:17], v[36:37], v[16:17]
	v_fma_f64 v[129:130], v[4:5], v[10:11], v[133:134]
	v_fma_f64 v[10:11], v[2:3], v[10:11], -v[12:13]
	v_add_f64_e32 v[12:13], v[8:9], v[6:7]
	v_add_f64_e32 v[123:124], v[123:124], v[125:126]
	ds_load_b128 v[2:5], v1 offset:1136
	ds_load_b128 v[6:9], v1 offset:1152
	v_fma_f64 v[36:37], v[36:37], v[14:15], v[127:128]
	v_fma_f64 v[14:15], v[34:35], v[14:15], -v[16:17]
	s_wait_loadcnt_dscnt 0x501
	v_mul_f64_e32 v[125:126], v[2:3], v[20:21]
	v_mul_f64_e32 v[20:21], v[4:5], v[20:21]
	s_wait_loadcnt_dscnt 0x400
	v_mul_f64_e32 v[16:17], v[6:7], v[24:25]
	v_mul_f64_e32 v[24:25], v[8:9], v[24:25]
	v_add_f64_e32 v[10:11], v[12:13], v[10:11]
	v_add_f64_e32 v[12:13], v[123:124], v[129:130]
	v_fma_f64 v[34:35], v[4:5], v[18:19], v[125:126]
	v_fma_f64 v[18:19], v[2:3], v[18:19], -v[20:21]
	v_fma_f64 v[8:9], v[8:9], v[22:23], v[16:17]
	v_fma_f64 v[6:7], v[6:7], v[22:23], -v[24:25]
	v_add_f64_e32 v[14:15], v[10:11], v[14:15]
	v_add_f64_e32 v[20:21], v[12:13], v[36:37]
	ds_load_b128 v[2:5], v1 offset:1168
	ds_load_b128 v[10:13], v1 offset:1184
	s_wait_loadcnt_dscnt 0x301
	v_mul_f64_e32 v[36:37], v[2:3], v[28:29]
	v_mul_f64_e32 v[28:29], v[4:5], v[28:29]
	v_add_f64_e32 v[14:15], v[14:15], v[18:19]
	v_add_f64_e32 v[16:17], v[20:21], v[34:35]
	s_wait_loadcnt_dscnt 0x200
	v_mul_f64_e32 v[18:19], v[10:11], v[32:33]
	v_mul_f64_e32 v[20:21], v[12:13], v[32:33]
	v_fma_f64 v[22:23], v[4:5], v[26:27], v[36:37]
	v_fma_f64 v[24:25], v[2:3], v[26:27], -v[28:29]
	ds_load_b128 v[2:5], v1 offset:1200
	v_add_f64_e32 v[6:7], v[14:15], v[6:7]
	v_add_f64_e32 v[8:9], v[16:17], v[8:9]
	v_fma_f64 v[12:13], v[12:13], v[30:31], v[18:19]
	v_fma_f64 v[10:11], v[10:11], v[30:31], -v[20:21]
	s_wait_loadcnt_dscnt 0x100
	v_mul_f64_e32 v[14:15], v[2:3], v[117:118]
	v_mul_f64_e32 v[16:17], v[4:5], v[117:118]
	v_add_f64_e32 v[6:7], v[6:7], v[24:25]
	v_add_f64_e32 v[8:9], v[8:9], v[22:23]
	s_delay_alu instid0(VALU_DEP_4) | instskip(NEXT) | instid1(VALU_DEP_4)
	v_fma_f64 v[4:5], v[4:5], v[115:116], v[14:15]
	v_fma_f64 v[2:3], v[2:3], v[115:116], -v[16:17]
	s_delay_alu instid0(VALU_DEP_4) | instskip(NEXT) | instid1(VALU_DEP_4)
	v_add_f64_e32 v[6:7], v[6:7], v[10:11]
	v_add_f64_e32 v[8:9], v[8:9], v[12:13]
	s_delay_alu instid0(VALU_DEP_2) | instskip(NEXT) | instid1(VALU_DEP_2)
	v_add_f64_e32 v[2:3], v[6:7], v[2:3]
	v_add_f64_e32 v[4:5], v[8:9], v[4:5]
	s_wait_loadcnt 0x0
	s_delay_alu instid0(VALU_DEP_2) | instskip(NEXT) | instid1(VALU_DEP_2)
	v_add_f64_e64 v[2:3], v[119:120], -v[2:3]
	v_add_f64_e64 v[4:5], v[121:122], -v[4:5]
	scratch_store_b128 off, v[2:5], off offset:464
	v_cmpx_lt_u32_e32 27, v0
	s_cbranch_execz .LBB37_187
; %bb.186:
	scratch_load_b128 v[5:8], off, s4
	v_dual_mov_b32 v2, v1 :: v_dual_mov_b32 v3, v1
	v_mov_b32_e32 v4, v1
	scratch_store_b128 off, v[1:4], off offset:448
	s_wait_loadcnt 0x0
	ds_store_b128 v114, v[5:8]
.LBB37_187:
	s_wait_alu 0xfffe
	s_or_b32 exec_lo, exec_lo, s0
	s_wait_storecnt_dscnt 0x0
	s_barrier_signal -1
	s_barrier_wait -1
	global_inv scope:SCOPE_SE
	s_clause 0x8
	scratch_load_b128 v[2:5], off, off offset:464
	scratch_load_b128 v[6:9], off, off offset:480
	;; [unrolled: 1-line block ×9, first 2 shown]
	ds_load_b128 v[115:118], v1 offset:1056
	ds_load_b128 v[119:122], v1 offset:1072
	s_clause 0x1
	scratch_load_b128 v[123:126], off, off offset:448
	scratch_load_b128 v[127:130], off, off offset:608
	s_mov_b32 s0, exec_lo
	s_wait_loadcnt_dscnt 0xa01
	v_mul_f64_e32 v[131:132], v[117:118], v[4:5]
	v_mul_f64_e32 v[4:5], v[115:116], v[4:5]
	s_wait_loadcnt_dscnt 0x900
	v_mul_f64_e32 v[133:134], v[119:120], v[8:9]
	v_mul_f64_e32 v[8:9], v[121:122], v[8:9]
	s_delay_alu instid0(VALU_DEP_4) | instskip(NEXT) | instid1(VALU_DEP_4)
	v_fma_f64 v[131:132], v[115:116], v[2:3], -v[131:132]
	v_fma_f64 v[135:136], v[117:118], v[2:3], v[4:5]
	ds_load_b128 v[2:5], v1 offset:1088
	ds_load_b128 v[115:118], v1 offset:1104
	v_fma_f64 v[121:122], v[121:122], v[6:7], v[133:134]
	v_fma_f64 v[6:7], v[119:120], v[6:7], -v[8:9]
	s_wait_loadcnt_dscnt 0x801
	v_mul_f64_e32 v[137:138], v[2:3], v[12:13]
	v_mul_f64_e32 v[12:13], v[4:5], v[12:13]
	v_add_f64_e32 v[8:9], 0, v[131:132]
	v_add_f64_e32 v[119:120], 0, v[135:136]
	s_wait_loadcnt_dscnt 0x700
	v_mul_f64_e32 v[131:132], v[115:116], v[16:17]
	v_mul_f64_e32 v[16:17], v[117:118], v[16:17]
	v_fma_f64 v[133:134], v[4:5], v[10:11], v[137:138]
	v_fma_f64 v[10:11], v[2:3], v[10:11], -v[12:13]
	v_add_f64_e32 v[12:13], v[8:9], v[6:7]
	v_add_f64_e32 v[119:120], v[119:120], v[121:122]
	ds_load_b128 v[2:5], v1 offset:1120
	ds_load_b128 v[6:9], v1 offset:1136
	v_fma_f64 v[117:118], v[117:118], v[14:15], v[131:132]
	v_fma_f64 v[14:15], v[115:116], v[14:15], -v[16:17]
	s_wait_loadcnt_dscnt 0x601
	v_mul_f64_e32 v[121:122], v[2:3], v[20:21]
	v_mul_f64_e32 v[20:21], v[4:5], v[20:21]
	s_wait_loadcnt_dscnt 0x500
	v_mul_f64_e32 v[16:17], v[6:7], v[24:25]
	v_mul_f64_e32 v[24:25], v[8:9], v[24:25]
	v_add_f64_e32 v[10:11], v[12:13], v[10:11]
	v_add_f64_e32 v[12:13], v[119:120], v[133:134]
	v_fma_f64 v[115:116], v[4:5], v[18:19], v[121:122]
	v_fma_f64 v[18:19], v[2:3], v[18:19], -v[20:21]
	v_fma_f64 v[8:9], v[8:9], v[22:23], v[16:17]
	v_fma_f64 v[6:7], v[6:7], v[22:23], -v[24:25]
	v_add_f64_e32 v[14:15], v[10:11], v[14:15]
	v_add_f64_e32 v[20:21], v[12:13], v[117:118]
	ds_load_b128 v[2:5], v1 offset:1152
	ds_load_b128 v[10:13], v1 offset:1168
	s_wait_loadcnt_dscnt 0x401
	v_mul_f64_e32 v[117:118], v[2:3], v[28:29]
	v_mul_f64_e32 v[28:29], v[4:5], v[28:29]
	v_add_f64_e32 v[14:15], v[14:15], v[18:19]
	v_add_f64_e32 v[16:17], v[20:21], v[115:116]
	s_wait_loadcnt_dscnt 0x300
	v_mul_f64_e32 v[18:19], v[10:11], v[32:33]
	v_mul_f64_e32 v[20:21], v[12:13], v[32:33]
	v_fma_f64 v[22:23], v[4:5], v[26:27], v[117:118]
	v_fma_f64 v[24:25], v[2:3], v[26:27], -v[28:29]
	v_add_f64_e32 v[14:15], v[14:15], v[6:7]
	v_add_f64_e32 v[16:17], v[16:17], v[8:9]
	ds_load_b128 v[2:5], v1 offset:1184
	ds_load_b128 v[6:9], v1 offset:1200
	v_fma_f64 v[12:13], v[12:13], v[30:31], v[18:19]
	v_fma_f64 v[10:11], v[10:11], v[30:31], -v[20:21]
	s_wait_loadcnt_dscnt 0x201
	v_mul_f64_e32 v[26:27], v[2:3], v[36:37]
	v_mul_f64_e32 v[28:29], v[4:5], v[36:37]
	s_wait_loadcnt_dscnt 0x0
	v_mul_f64_e32 v[18:19], v[6:7], v[129:130]
	v_mul_f64_e32 v[20:21], v[8:9], v[129:130]
	v_add_f64_e32 v[14:15], v[14:15], v[24:25]
	v_add_f64_e32 v[16:17], v[16:17], v[22:23]
	v_fma_f64 v[4:5], v[4:5], v[34:35], v[26:27]
	v_fma_f64 v[1:2], v[2:3], v[34:35], -v[28:29]
	v_fma_f64 v[8:9], v[8:9], v[127:128], v[18:19]
	v_fma_f64 v[6:7], v[6:7], v[127:128], -v[20:21]
	v_add_f64_e32 v[10:11], v[14:15], v[10:11]
	v_add_f64_e32 v[12:13], v[16:17], v[12:13]
	s_delay_alu instid0(VALU_DEP_2) | instskip(NEXT) | instid1(VALU_DEP_2)
	v_add_f64_e32 v[1:2], v[10:11], v[1:2]
	v_add_f64_e32 v[3:4], v[12:13], v[4:5]
	s_delay_alu instid0(VALU_DEP_2) | instskip(NEXT) | instid1(VALU_DEP_2)
	;; [unrolled: 3-line block ×3, first 2 shown]
	v_add_f64_e64 v[1:2], v[123:124], -v[1:2]
	v_add_f64_e64 v[3:4], v[125:126], -v[3:4]
	scratch_store_b128 off, v[1:4], off offset:448
	v_cmpx_lt_u32_e32 26, v0
	s_cbranch_execz .LBB37_189
; %bb.188:
	scratch_load_b128 v[1:4], off, s8
	v_mov_b32_e32 v5, 0
	s_delay_alu instid0(VALU_DEP_1)
	v_dual_mov_b32 v6, v5 :: v_dual_mov_b32 v7, v5
	v_mov_b32_e32 v8, v5
	scratch_store_b128 off, v[5:8], off offset:432
	s_wait_loadcnt 0x0
	ds_store_b128 v114, v[1:4]
.LBB37_189:
	s_wait_alu 0xfffe
	s_or_b32 exec_lo, exec_lo, s0
	s_wait_storecnt_dscnt 0x0
	s_barrier_signal -1
	s_barrier_wait -1
	global_inv scope:SCOPE_SE
	s_clause 0x7
	scratch_load_b128 v[2:5], off, off offset:448
	scratch_load_b128 v[6:9], off, off offset:464
	scratch_load_b128 v[10:13], off, off offset:480
	scratch_load_b128 v[14:17], off, off offset:496
	scratch_load_b128 v[18:21], off, off offset:512
	scratch_load_b128 v[22:25], off, off offset:528
	scratch_load_b128 v[26:29], off, off offset:544
	scratch_load_b128 v[30:33], off, off offset:560
	v_mov_b32_e32 v1, 0
	s_clause 0x1
	scratch_load_b128 v[115:118], off, off offset:576
	scratch_load_b128 v[123:126], off, off offset:592
	s_mov_b32 s0, exec_lo
	ds_load_b128 v[34:37], v1 offset:1040
	ds_load_b128 v[119:122], v1 offset:1056
	s_wait_loadcnt_dscnt 0x901
	v_mul_f64_e32 v[127:128], v[36:37], v[4:5]
	v_mul_f64_e32 v[4:5], v[34:35], v[4:5]
	s_wait_loadcnt_dscnt 0x800
	v_mul_f64_e32 v[129:130], v[119:120], v[8:9]
	v_mul_f64_e32 v[8:9], v[121:122], v[8:9]
	s_delay_alu instid0(VALU_DEP_4) | instskip(NEXT) | instid1(VALU_DEP_4)
	v_fma_f64 v[127:128], v[34:35], v[2:3], -v[127:128]
	v_fma_f64 v[131:132], v[36:37], v[2:3], v[4:5]
	ds_load_b128 v[2:5], v1 offset:1072
	scratch_load_b128 v[34:37], off, off offset:608
	v_fma_f64 v[121:122], v[121:122], v[6:7], v[129:130]
	v_fma_f64 v[119:120], v[119:120], v[6:7], -v[8:9]
	ds_load_b128 v[6:9], v1 offset:1088
	s_wait_loadcnt_dscnt 0x801
	v_mul_f64_e32 v[133:134], v[2:3], v[12:13]
	v_mul_f64_e32 v[12:13], v[4:5], v[12:13]
	v_add_f64_e32 v[127:128], 0, v[127:128]
	v_add_f64_e32 v[129:130], 0, v[131:132]
	s_wait_loadcnt_dscnt 0x700
	v_mul_f64_e32 v[131:132], v[6:7], v[16:17]
	v_mul_f64_e32 v[16:17], v[8:9], v[16:17]
	v_fma_f64 v[133:134], v[4:5], v[10:11], v[133:134]
	v_fma_f64 v[10:11], v[2:3], v[10:11], -v[12:13]
	ds_load_b128 v[2:5], v1 offset:1104
	v_add_f64_e32 v[12:13], v[127:128], v[119:120]
	v_add_f64_e32 v[119:120], v[129:130], v[121:122]
	v_fma_f64 v[127:128], v[8:9], v[14:15], v[131:132]
	v_fma_f64 v[14:15], v[6:7], v[14:15], -v[16:17]
	ds_load_b128 v[6:9], v1 offset:1120
	s_wait_loadcnt_dscnt 0x601
	v_mul_f64_e32 v[121:122], v[2:3], v[20:21]
	v_mul_f64_e32 v[20:21], v[4:5], v[20:21]
	s_wait_loadcnt_dscnt 0x500
	v_mul_f64_e32 v[129:130], v[6:7], v[24:25]
	v_mul_f64_e32 v[24:25], v[8:9], v[24:25]
	v_add_f64_e32 v[16:17], v[12:13], v[10:11]
	v_add_f64_e32 v[119:120], v[119:120], v[133:134]
	scratch_load_b128 v[10:13], off, off offset:432
	v_fma_f64 v[121:122], v[4:5], v[18:19], v[121:122]
	v_fma_f64 v[18:19], v[2:3], v[18:19], -v[20:21]
	ds_load_b128 v[2:5], v1 offset:1136
	v_add_f64_e32 v[14:15], v[16:17], v[14:15]
	v_add_f64_e32 v[16:17], v[119:120], v[127:128]
	v_fma_f64 v[119:120], v[8:9], v[22:23], v[129:130]
	v_fma_f64 v[22:23], v[6:7], v[22:23], -v[24:25]
	ds_load_b128 v[6:9], v1 offset:1152
	s_wait_loadcnt_dscnt 0x501
	v_mul_f64_e32 v[20:21], v[2:3], v[28:29]
	v_mul_f64_e32 v[28:29], v[4:5], v[28:29]
	s_wait_loadcnt_dscnt 0x400
	v_mul_f64_e32 v[24:25], v[8:9], v[32:33]
	v_add_f64_e32 v[14:15], v[14:15], v[18:19]
	v_add_f64_e32 v[16:17], v[16:17], v[121:122]
	v_mul_f64_e32 v[18:19], v[6:7], v[32:33]
	v_fma_f64 v[20:21], v[4:5], v[26:27], v[20:21]
	v_fma_f64 v[26:27], v[2:3], v[26:27], -v[28:29]
	ds_load_b128 v[2:5], v1 offset:1168
	v_fma_f64 v[24:25], v[6:7], v[30:31], -v[24:25]
	v_add_f64_e32 v[14:15], v[14:15], v[22:23]
	v_add_f64_e32 v[16:17], v[16:17], v[119:120]
	v_fma_f64 v[18:19], v[8:9], v[30:31], v[18:19]
	ds_load_b128 v[6:9], v1 offset:1184
	s_wait_loadcnt_dscnt 0x301
	v_mul_f64_e32 v[22:23], v[2:3], v[117:118]
	v_mul_f64_e32 v[28:29], v[4:5], v[117:118]
	v_add_f64_e32 v[14:15], v[14:15], v[26:27]
	v_add_f64_e32 v[16:17], v[16:17], v[20:21]
	s_wait_loadcnt_dscnt 0x200
	v_mul_f64_e32 v[20:21], v[6:7], v[125:126]
	v_mul_f64_e32 v[26:27], v[8:9], v[125:126]
	v_fma_f64 v[22:23], v[4:5], v[115:116], v[22:23]
	v_fma_f64 v[28:29], v[2:3], v[115:116], -v[28:29]
	ds_load_b128 v[2:5], v1 offset:1200
	v_add_f64_e32 v[14:15], v[14:15], v[24:25]
	v_add_f64_e32 v[16:17], v[16:17], v[18:19]
	v_fma_f64 v[8:9], v[8:9], v[123:124], v[20:21]
	v_fma_f64 v[6:7], v[6:7], v[123:124], -v[26:27]
	s_wait_loadcnt_dscnt 0x100
	v_mul_f64_e32 v[18:19], v[2:3], v[36:37]
	v_mul_f64_e32 v[24:25], v[4:5], v[36:37]
	v_add_f64_e32 v[14:15], v[14:15], v[28:29]
	v_add_f64_e32 v[16:17], v[16:17], v[22:23]
	s_delay_alu instid0(VALU_DEP_4) | instskip(NEXT) | instid1(VALU_DEP_4)
	v_fma_f64 v[4:5], v[4:5], v[34:35], v[18:19]
	v_fma_f64 v[2:3], v[2:3], v[34:35], -v[24:25]
	s_delay_alu instid0(VALU_DEP_4) | instskip(NEXT) | instid1(VALU_DEP_4)
	v_add_f64_e32 v[6:7], v[14:15], v[6:7]
	v_add_f64_e32 v[8:9], v[16:17], v[8:9]
	s_delay_alu instid0(VALU_DEP_2) | instskip(NEXT) | instid1(VALU_DEP_2)
	v_add_f64_e32 v[2:3], v[6:7], v[2:3]
	v_add_f64_e32 v[4:5], v[8:9], v[4:5]
	s_wait_loadcnt 0x0
	s_delay_alu instid0(VALU_DEP_2) | instskip(NEXT) | instid1(VALU_DEP_2)
	v_add_f64_e64 v[2:3], v[10:11], -v[2:3]
	v_add_f64_e64 v[4:5], v[12:13], -v[4:5]
	scratch_store_b128 off, v[2:5], off offset:432
	v_cmpx_lt_u32_e32 25, v0
	s_cbranch_execz .LBB37_191
; %bb.190:
	scratch_load_b128 v[5:8], off, s5
	v_dual_mov_b32 v2, v1 :: v_dual_mov_b32 v3, v1
	v_mov_b32_e32 v4, v1
	scratch_store_b128 off, v[1:4], off offset:416
	s_wait_loadcnt 0x0
	ds_store_b128 v114, v[5:8]
.LBB37_191:
	s_wait_alu 0xfffe
	s_or_b32 exec_lo, exec_lo, s0
	s_wait_storecnt_dscnt 0x0
	s_barrier_signal -1
	s_barrier_wait -1
	global_inv scope:SCOPE_SE
	s_clause 0x7
	scratch_load_b128 v[2:5], off, off offset:432
	scratch_load_b128 v[6:9], off, off offset:448
	;; [unrolled: 1-line block ×8, first 2 shown]
	ds_load_b128 v[34:37], v1 offset:1024
	ds_load_b128 v[119:122], v1 offset:1040
	s_clause 0x1
	scratch_load_b128 v[115:118], off, off offset:560
	scratch_load_b128 v[123:126], off, off offset:576
	s_mov_b32 s0, exec_lo
	s_wait_loadcnt_dscnt 0x901
	v_mul_f64_e32 v[127:128], v[36:37], v[4:5]
	v_mul_f64_e32 v[4:5], v[34:35], v[4:5]
	s_wait_loadcnt_dscnt 0x800
	v_mul_f64_e32 v[129:130], v[119:120], v[8:9]
	v_mul_f64_e32 v[8:9], v[121:122], v[8:9]
	s_delay_alu instid0(VALU_DEP_4) | instskip(NEXT) | instid1(VALU_DEP_4)
	v_fma_f64 v[127:128], v[34:35], v[2:3], -v[127:128]
	v_fma_f64 v[131:132], v[36:37], v[2:3], v[4:5]
	ds_load_b128 v[2:5], v1 offset:1056
	scratch_load_b128 v[34:37], off, off offset:592
	v_fma_f64 v[129:130], v[121:122], v[6:7], v[129:130]
	v_fma_f64 v[135:136], v[119:120], v[6:7], -v[8:9]
	ds_load_b128 v[6:9], v1 offset:1072
	scratch_load_b128 v[119:122], off, off offset:608
	s_wait_loadcnt_dscnt 0x901
	v_mul_f64_e32 v[133:134], v[2:3], v[12:13]
	v_mul_f64_e32 v[12:13], v[4:5], v[12:13]
	s_wait_loadcnt_dscnt 0x800
	v_mul_f64_e32 v[137:138], v[6:7], v[16:17]
	v_mul_f64_e32 v[16:17], v[8:9], v[16:17]
	v_add_f64_e32 v[127:128], 0, v[127:128]
	v_add_f64_e32 v[131:132], 0, v[131:132]
	v_fma_f64 v[133:134], v[4:5], v[10:11], v[133:134]
	v_fma_f64 v[10:11], v[2:3], v[10:11], -v[12:13]
	ds_load_b128 v[2:5], v1 offset:1088
	v_add_f64_e32 v[12:13], v[127:128], v[135:136]
	v_add_f64_e32 v[127:128], v[131:132], v[129:130]
	v_fma_f64 v[131:132], v[8:9], v[14:15], v[137:138]
	v_fma_f64 v[14:15], v[6:7], v[14:15], -v[16:17]
	ds_load_b128 v[6:9], v1 offset:1104
	s_wait_loadcnt_dscnt 0x701
	v_mul_f64_e32 v[129:130], v[2:3], v[20:21]
	v_mul_f64_e32 v[20:21], v[4:5], v[20:21]
	s_wait_loadcnt_dscnt 0x600
	v_mul_f64_e32 v[16:17], v[6:7], v[24:25]
	v_mul_f64_e32 v[24:25], v[8:9], v[24:25]
	v_add_f64_e32 v[10:11], v[12:13], v[10:11]
	v_add_f64_e32 v[12:13], v[127:128], v[133:134]
	v_fma_f64 v[127:128], v[4:5], v[18:19], v[129:130]
	v_fma_f64 v[18:19], v[2:3], v[18:19], -v[20:21]
	ds_load_b128 v[2:5], v1 offset:1120
	v_fma_f64 v[16:17], v[8:9], v[22:23], v[16:17]
	v_fma_f64 v[22:23], v[6:7], v[22:23], -v[24:25]
	ds_load_b128 v[6:9], v1 offset:1136
	s_wait_loadcnt_dscnt 0x501
	v_mul_f64_e32 v[129:130], v[2:3], v[28:29]
	v_mul_f64_e32 v[28:29], v[4:5], v[28:29]
	v_add_f64_e32 v[14:15], v[10:11], v[14:15]
	v_add_f64_e32 v[20:21], v[12:13], v[131:132]
	scratch_load_b128 v[10:13], off, off offset:416
	s_wait_loadcnt_dscnt 0x500
	v_mul_f64_e32 v[24:25], v[8:9], v[32:33]
	v_add_f64_e32 v[14:15], v[14:15], v[18:19]
	v_add_f64_e32 v[18:19], v[20:21], v[127:128]
	v_mul_f64_e32 v[20:21], v[6:7], v[32:33]
	v_fma_f64 v[32:33], v[4:5], v[26:27], v[129:130]
	v_fma_f64 v[26:27], v[2:3], v[26:27], -v[28:29]
	ds_load_b128 v[2:5], v1 offset:1152
	v_fma_f64 v[24:25], v[6:7], v[30:31], -v[24:25]
	v_add_f64_e32 v[14:15], v[14:15], v[22:23]
	v_add_f64_e32 v[16:17], v[18:19], v[16:17]
	v_fma_f64 v[20:21], v[8:9], v[30:31], v[20:21]
	ds_load_b128 v[6:9], v1 offset:1168
	s_wait_loadcnt_dscnt 0x401
	v_mul_f64_e32 v[18:19], v[2:3], v[117:118]
	v_mul_f64_e32 v[22:23], v[4:5], v[117:118]
	s_wait_loadcnt_dscnt 0x300
	v_mul_f64_e32 v[28:29], v[8:9], v[125:126]
	v_add_f64_e32 v[14:15], v[14:15], v[26:27]
	v_add_f64_e32 v[16:17], v[16:17], v[32:33]
	v_mul_f64_e32 v[26:27], v[6:7], v[125:126]
	v_fma_f64 v[18:19], v[4:5], v[115:116], v[18:19]
	v_fma_f64 v[22:23], v[2:3], v[115:116], -v[22:23]
	ds_load_b128 v[2:5], v1 offset:1184
	v_fma_f64 v[28:29], v[6:7], v[123:124], -v[28:29]
	v_add_f64_e32 v[14:15], v[14:15], v[24:25]
	v_add_f64_e32 v[16:17], v[16:17], v[20:21]
	v_fma_f64 v[26:27], v[8:9], v[123:124], v[26:27]
	ds_load_b128 v[6:9], v1 offset:1200
	s_wait_loadcnt_dscnt 0x201
	v_mul_f64_e32 v[20:21], v[2:3], v[36:37]
	v_mul_f64_e32 v[24:25], v[4:5], v[36:37]
	v_add_f64_e32 v[14:15], v[14:15], v[22:23]
	v_add_f64_e32 v[16:17], v[16:17], v[18:19]
	s_wait_loadcnt_dscnt 0x100
	v_mul_f64_e32 v[18:19], v[6:7], v[121:122]
	v_mul_f64_e32 v[22:23], v[8:9], v[121:122]
	v_fma_f64 v[4:5], v[4:5], v[34:35], v[20:21]
	v_fma_f64 v[1:2], v[2:3], v[34:35], -v[24:25]
	v_add_f64_e32 v[14:15], v[14:15], v[28:29]
	v_add_f64_e32 v[16:17], v[16:17], v[26:27]
	v_fma_f64 v[8:9], v[8:9], v[119:120], v[18:19]
	v_fma_f64 v[6:7], v[6:7], v[119:120], -v[22:23]
	s_delay_alu instid0(VALU_DEP_4) | instskip(NEXT) | instid1(VALU_DEP_4)
	v_add_f64_e32 v[1:2], v[14:15], v[1:2]
	v_add_f64_e32 v[3:4], v[16:17], v[4:5]
	s_delay_alu instid0(VALU_DEP_2) | instskip(NEXT) | instid1(VALU_DEP_2)
	v_add_f64_e32 v[1:2], v[1:2], v[6:7]
	v_add_f64_e32 v[3:4], v[3:4], v[8:9]
	s_wait_loadcnt 0x0
	s_delay_alu instid0(VALU_DEP_2) | instskip(NEXT) | instid1(VALU_DEP_2)
	v_add_f64_e64 v[1:2], v[10:11], -v[1:2]
	v_add_f64_e64 v[3:4], v[12:13], -v[3:4]
	scratch_store_b128 off, v[1:4], off offset:416
	v_cmpx_lt_u32_e32 24, v0
	s_cbranch_execz .LBB37_193
; %bb.192:
	scratch_load_b128 v[1:4], off, s10
	v_mov_b32_e32 v5, 0
	s_delay_alu instid0(VALU_DEP_1)
	v_dual_mov_b32 v6, v5 :: v_dual_mov_b32 v7, v5
	v_mov_b32_e32 v8, v5
	scratch_store_b128 off, v[5:8], off offset:400
	s_wait_loadcnt 0x0
	ds_store_b128 v114, v[1:4]
.LBB37_193:
	s_wait_alu 0xfffe
	s_or_b32 exec_lo, exec_lo, s0
	s_wait_storecnt_dscnt 0x0
	s_barrier_signal -1
	s_barrier_wait -1
	global_inv scope:SCOPE_SE
	s_clause 0x7
	scratch_load_b128 v[2:5], off, off offset:416
	scratch_load_b128 v[6:9], off, off offset:432
	;; [unrolled: 1-line block ×8, first 2 shown]
	v_mov_b32_e32 v1, 0
	s_clause 0x1
	scratch_load_b128 v[115:118], off, off offset:544
	scratch_load_b128 v[123:126], off, off offset:560
	s_mov_b32 s0, exec_lo
	ds_load_b128 v[34:37], v1 offset:1008
	ds_load_b128 v[119:122], v1 offset:1024
	s_wait_loadcnt_dscnt 0x901
	v_mul_f64_e32 v[127:128], v[36:37], v[4:5]
	v_mul_f64_e32 v[4:5], v[34:35], v[4:5]
	s_wait_loadcnt_dscnt 0x800
	v_mul_f64_e32 v[129:130], v[119:120], v[8:9]
	v_mul_f64_e32 v[8:9], v[121:122], v[8:9]
	s_delay_alu instid0(VALU_DEP_4) | instskip(NEXT) | instid1(VALU_DEP_4)
	v_fma_f64 v[127:128], v[34:35], v[2:3], -v[127:128]
	v_fma_f64 v[131:132], v[36:37], v[2:3], v[4:5]
	ds_load_b128 v[2:5], v1 offset:1040
	scratch_load_b128 v[34:37], off, off offset:576
	v_fma_f64 v[129:130], v[121:122], v[6:7], v[129:130]
	v_fma_f64 v[135:136], v[119:120], v[6:7], -v[8:9]
	ds_load_b128 v[6:9], v1 offset:1056
	scratch_load_b128 v[119:122], off, off offset:592
	s_wait_loadcnt_dscnt 0x901
	v_mul_f64_e32 v[133:134], v[2:3], v[12:13]
	v_mul_f64_e32 v[12:13], v[4:5], v[12:13]
	s_wait_loadcnt_dscnt 0x800
	v_mul_f64_e32 v[137:138], v[6:7], v[16:17]
	v_mul_f64_e32 v[16:17], v[8:9], v[16:17]
	v_add_f64_e32 v[127:128], 0, v[127:128]
	v_add_f64_e32 v[131:132], 0, v[131:132]
	v_fma_f64 v[133:134], v[4:5], v[10:11], v[133:134]
	v_fma_f64 v[139:140], v[2:3], v[10:11], -v[12:13]
	ds_load_b128 v[2:5], v1 offset:1072
	scratch_load_b128 v[10:13], off, off offset:608
	v_add_f64_e32 v[127:128], v[127:128], v[135:136]
	v_add_f64_e32 v[129:130], v[131:132], v[129:130]
	v_fma_f64 v[135:136], v[8:9], v[14:15], v[137:138]
	v_fma_f64 v[14:15], v[6:7], v[14:15], -v[16:17]
	ds_load_b128 v[6:9], v1 offset:1088
	s_wait_loadcnt_dscnt 0x801
	v_mul_f64_e32 v[131:132], v[2:3], v[20:21]
	v_mul_f64_e32 v[20:21], v[4:5], v[20:21]
	v_add_f64_e32 v[16:17], v[127:128], v[139:140]
	v_add_f64_e32 v[127:128], v[129:130], v[133:134]
	s_wait_loadcnt_dscnt 0x700
	v_mul_f64_e32 v[129:130], v[6:7], v[24:25]
	v_mul_f64_e32 v[24:25], v[8:9], v[24:25]
	v_fma_f64 v[131:132], v[4:5], v[18:19], v[131:132]
	v_fma_f64 v[18:19], v[2:3], v[18:19], -v[20:21]
	ds_load_b128 v[2:5], v1 offset:1104
	v_add_f64_e32 v[14:15], v[16:17], v[14:15]
	v_add_f64_e32 v[16:17], v[127:128], v[135:136]
	v_fma_f64 v[127:128], v[8:9], v[22:23], v[129:130]
	v_fma_f64 v[22:23], v[6:7], v[22:23], -v[24:25]
	ds_load_b128 v[6:9], v1 offset:1120
	s_wait_loadcnt_dscnt 0x601
	v_mul_f64_e32 v[20:21], v[2:3], v[28:29]
	v_mul_f64_e32 v[28:29], v[4:5], v[28:29]
	s_wait_loadcnt_dscnt 0x500
	v_mul_f64_e32 v[129:130], v[6:7], v[32:33]
	v_mul_f64_e32 v[32:33], v[8:9], v[32:33]
	v_add_f64_e32 v[18:19], v[14:15], v[18:19]
	v_add_f64_e32 v[24:25], v[16:17], v[131:132]
	scratch_load_b128 v[14:17], off, off offset:400
	v_fma_f64 v[20:21], v[4:5], v[26:27], v[20:21]
	v_fma_f64 v[26:27], v[2:3], v[26:27], -v[28:29]
	ds_load_b128 v[2:5], v1 offset:1136
	s_wait_loadcnt_dscnt 0x500
	v_mul_f64_e32 v[28:29], v[4:5], v[117:118]
	v_add_f64_e32 v[18:19], v[18:19], v[22:23]
	v_add_f64_e32 v[22:23], v[24:25], v[127:128]
	v_mul_f64_e32 v[24:25], v[2:3], v[117:118]
	v_fma_f64 v[117:118], v[8:9], v[30:31], v[129:130]
	v_fma_f64 v[30:31], v[6:7], v[30:31], -v[32:33]
	ds_load_b128 v[6:9], v1 offset:1152
	v_fma_f64 v[28:29], v[2:3], v[115:116], -v[28:29]
	v_add_f64_e32 v[18:19], v[18:19], v[26:27]
	v_add_f64_e32 v[20:21], v[22:23], v[20:21]
	v_fma_f64 v[24:25], v[4:5], v[115:116], v[24:25]
	ds_load_b128 v[2:5], v1 offset:1168
	s_wait_loadcnt_dscnt 0x401
	v_mul_f64_e32 v[22:23], v[6:7], v[125:126]
	v_mul_f64_e32 v[26:27], v[8:9], v[125:126]
	v_add_f64_e32 v[18:19], v[18:19], v[30:31]
	v_add_f64_e32 v[20:21], v[20:21], v[117:118]
	s_delay_alu instid0(VALU_DEP_4) | instskip(NEXT) | instid1(VALU_DEP_4)
	v_fma_f64 v[22:23], v[8:9], v[123:124], v[22:23]
	v_fma_f64 v[26:27], v[6:7], v[123:124], -v[26:27]
	ds_load_b128 v[6:9], v1 offset:1184
	s_wait_loadcnt_dscnt 0x301
	v_mul_f64_e32 v[30:31], v[2:3], v[36:37]
	v_mul_f64_e32 v[32:33], v[4:5], v[36:37]
	v_add_f64_e32 v[18:19], v[18:19], v[28:29]
	v_add_f64_e32 v[20:21], v[20:21], v[24:25]
	s_delay_alu instid0(VALU_DEP_4) | instskip(NEXT) | instid1(VALU_DEP_4)
	v_fma_f64 v[30:31], v[4:5], v[34:35], v[30:31]
	v_fma_f64 v[32:33], v[2:3], v[34:35], -v[32:33]
	ds_load_b128 v[2:5], v1 offset:1200
	s_wait_loadcnt_dscnt 0x201
	v_mul_f64_e32 v[24:25], v[6:7], v[121:122]
	v_mul_f64_e32 v[28:29], v[8:9], v[121:122]
	v_add_f64_e32 v[18:19], v[18:19], v[26:27]
	v_add_f64_e32 v[20:21], v[20:21], v[22:23]
	s_wait_loadcnt_dscnt 0x100
	v_mul_f64_e32 v[22:23], v[2:3], v[12:13]
	v_mul_f64_e32 v[12:13], v[4:5], v[12:13]
	v_fma_f64 v[8:9], v[8:9], v[119:120], v[24:25]
	v_fma_f64 v[6:7], v[6:7], v[119:120], -v[28:29]
	v_add_f64_e32 v[18:19], v[18:19], v[32:33]
	v_add_f64_e32 v[20:21], v[20:21], v[30:31]
	v_fma_f64 v[4:5], v[4:5], v[10:11], v[22:23]
	v_fma_f64 v[2:3], v[2:3], v[10:11], -v[12:13]
	s_delay_alu instid0(VALU_DEP_4) | instskip(NEXT) | instid1(VALU_DEP_4)
	v_add_f64_e32 v[6:7], v[18:19], v[6:7]
	v_add_f64_e32 v[8:9], v[20:21], v[8:9]
	s_delay_alu instid0(VALU_DEP_2) | instskip(NEXT) | instid1(VALU_DEP_2)
	v_add_f64_e32 v[2:3], v[6:7], v[2:3]
	v_add_f64_e32 v[4:5], v[8:9], v[4:5]
	s_wait_loadcnt 0x0
	s_delay_alu instid0(VALU_DEP_2) | instskip(NEXT) | instid1(VALU_DEP_2)
	v_add_f64_e64 v[2:3], v[14:15], -v[2:3]
	v_add_f64_e64 v[4:5], v[16:17], -v[4:5]
	scratch_store_b128 off, v[2:5], off offset:400
	v_cmpx_lt_u32_e32 23, v0
	s_cbranch_execz .LBB37_195
; %bb.194:
	scratch_load_b128 v[5:8], off, s9
	v_dual_mov_b32 v2, v1 :: v_dual_mov_b32 v3, v1
	v_mov_b32_e32 v4, v1
	scratch_store_b128 off, v[1:4], off offset:384
	s_wait_loadcnt 0x0
	ds_store_b128 v114, v[5:8]
.LBB37_195:
	s_wait_alu 0xfffe
	s_or_b32 exec_lo, exec_lo, s0
	s_wait_storecnt_dscnt 0x0
	s_barrier_signal -1
	s_barrier_wait -1
	global_inv scope:SCOPE_SE
	s_clause 0x7
	scratch_load_b128 v[2:5], off, off offset:400
	scratch_load_b128 v[6:9], off, off offset:416
	;; [unrolled: 1-line block ×8, first 2 shown]
	ds_load_b128 v[34:37], v1 offset:992
	ds_load_b128 v[119:122], v1 offset:1008
	s_clause 0x1
	scratch_load_b128 v[115:118], off, off offset:528
	scratch_load_b128 v[123:126], off, off offset:544
	s_mov_b32 s0, exec_lo
	s_wait_loadcnt_dscnt 0x901
	v_mul_f64_e32 v[127:128], v[36:37], v[4:5]
	v_mul_f64_e32 v[4:5], v[34:35], v[4:5]
	s_wait_loadcnt_dscnt 0x800
	v_mul_f64_e32 v[129:130], v[119:120], v[8:9]
	v_mul_f64_e32 v[8:9], v[121:122], v[8:9]
	s_delay_alu instid0(VALU_DEP_4) | instskip(NEXT) | instid1(VALU_DEP_4)
	v_fma_f64 v[127:128], v[34:35], v[2:3], -v[127:128]
	v_fma_f64 v[131:132], v[36:37], v[2:3], v[4:5]
	ds_load_b128 v[2:5], v1 offset:1024
	scratch_load_b128 v[34:37], off, off offset:560
	v_fma_f64 v[129:130], v[121:122], v[6:7], v[129:130]
	v_fma_f64 v[135:136], v[119:120], v[6:7], -v[8:9]
	ds_load_b128 v[6:9], v1 offset:1040
	scratch_load_b128 v[119:122], off, off offset:576
	s_wait_loadcnt_dscnt 0x901
	v_mul_f64_e32 v[133:134], v[2:3], v[12:13]
	v_mul_f64_e32 v[12:13], v[4:5], v[12:13]
	s_wait_loadcnt_dscnt 0x800
	v_mul_f64_e32 v[137:138], v[6:7], v[16:17]
	v_mul_f64_e32 v[16:17], v[8:9], v[16:17]
	v_add_f64_e32 v[127:128], 0, v[127:128]
	v_add_f64_e32 v[131:132], 0, v[131:132]
	v_fma_f64 v[133:134], v[4:5], v[10:11], v[133:134]
	v_fma_f64 v[139:140], v[2:3], v[10:11], -v[12:13]
	ds_load_b128 v[2:5], v1 offset:1056
	scratch_load_b128 v[10:13], off, off offset:592
	v_add_f64_e32 v[127:128], v[127:128], v[135:136]
	v_add_f64_e32 v[129:130], v[131:132], v[129:130]
	v_fma_f64 v[135:136], v[8:9], v[14:15], v[137:138]
	v_fma_f64 v[137:138], v[6:7], v[14:15], -v[16:17]
	ds_load_b128 v[6:9], v1 offset:1072
	scratch_load_b128 v[14:17], off, off offset:608
	s_wait_loadcnt_dscnt 0x901
	v_mul_f64_e32 v[131:132], v[2:3], v[20:21]
	v_mul_f64_e32 v[20:21], v[4:5], v[20:21]
	v_add_f64_e32 v[127:128], v[127:128], v[139:140]
	v_add_f64_e32 v[129:130], v[129:130], v[133:134]
	s_wait_loadcnt_dscnt 0x800
	v_mul_f64_e32 v[133:134], v[6:7], v[24:25]
	v_mul_f64_e32 v[24:25], v[8:9], v[24:25]
	v_fma_f64 v[131:132], v[4:5], v[18:19], v[131:132]
	v_fma_f64 v[18:19], v[2:3], v[18:19], -v[20:21]
	ds_load_b128 v[2:5], v1 offset:1088
	v_add_f64_e32 v[20:21], v[127:128], v[137:138]
	v_add_f64_e32 v[127:128], v[129:130], v[135:136]
	v_fma_f64 v[133:134], v[8:9], v[22:23], v[133:134]
	v_fma_f64 v[22:23], v[6:7], v[22:23], -v[24:25]
	ds_load_b128 v[6:9], v1 offset:1104
	s_wait_loadcnt_dscnt 0x701
	v_mul_f64_e32 v[129:130], v[2:3], v[28:29]
	v_mul_f64_e32 v[28:29], v[4:5], v[28:29]
	s_wait_loadcnt_dscnt 0x600
	v_mul_f64_e32 v[24:25], v[6:7], v[32:33]
	v_mul_f64_e32 v[32:33], v[8:9], v[32:33]
	v_add_f64_e32 v[18:19], v[20:21], v[18:19]
	v_add_f64_e32 v[20:21], v[127:128], v[131:132]
	v_fma_f64 v[127:128], v[4:5], v[26:27], v[129:130]
	v_fma_f64 v[26:27], v[2:3], v[26:27], -v[28:29]
	ds_load_b128 v[2:5], v1 offset:1120
	v_fma_f64 v[24:25], v[8:9], v[30:31], v[24:25]
	v_fma_f64 v[30:31], v[6:7], v[30:31], -v[32:33]
	ds_load_b128 v[6:9], v1 offset:1136
	v_add_f64_e32 v[22:23], v[18:19], v[22:23]
	v_add_f64_e32 v[28:29], v[20:21], v[133:134]
	scratch_load_b128 v[18:21], off, off offset:384
	s_wait_loadcnt_dscnt 0x601
	v_mul_f64_e32 v[129:130], v[2:3], v[117:118]
	v_mul_f64_e32 v[117:118], v[4:5], v[117:118]
	s_wait_loadcnt_dscnt 0x500
	v_mul_f64_e32 v[32:33], v[8:9], v[125:126]
	v_add_f64_e32 v[22:23], v[22:23], v[26:27]
	v_add_f64_e32 v[26:27], v[28:29], v[127:128]
	v_mul_f64_e32 v[28:29], v[6:7], v[125:126]
	v_fma_f64 v[125:126], v[4:5], v[115:116], v[129:130]
	v_fma_f64 v[115:116], v[2:3], v[115:116], -v[117:118]
	ds_load_b128 v[2:5], v1 offset:1152
	v_fma_f64 v[32:33], v[6:7], v[123:124], -v[32:33]
	v_add_f64_e32 v[22:23], v[22:23], v[30:31]
	v_add_f64_e32 v[24:25], v[26:27], v[24:25]
	v_fma_f64 v[28:29], v[8:9], v[123:124], v[28:29]
	ds_load_b128 v[6:9], v1 offset:1168
	s_wait_loadcnt_dscnt 0x401
	v_mul_f64_e32 v[26:27], v[2:3], v[36:37]
	v_mul_f64_e32 v[30:31], v[4:5], v[36:37]
	s_wait_loadcnt_dscnt 0x300
	v_mul_f64_e32 v[36:37], v[6:7], v[121:122]
	v_add_f64_e32 v[22:23], v[22:23], v[115:116]
	v_add_f64_e32 v[24:25], v[24:25], v[125:126]
	v_mul_f64_e32 v[115:116], v[8:9], v[121:122]
	v_fma_f64 v[26:27], v[4:5], v[34:35], v[26:27]
	v_fma_f64 v[30:31], v[2:3], v[34:35], -v[30:31]
	ds_load_b128 v[2:5], v1 offset:1184
	v_add_f64_e32 v[22:23], v[22:23], v[32:33]
	v_add_f64_e32 v[24:25], v[24:25], v[28:29]
	v_fma_f64 v[32:33], v[8:9], v[119:120], v[36:37]
	v_fma_f64 v[34:35], v[6:7], v[119:120], -v[115:116]
	ds_load_b128 v[6:9], v1 offset:1200
	s_wait_loadcnt_dscnt 0x201
	v_mul_f64_e32 v[28:29], v[2:3], v[12:13]
	v_mul_f64_e32 v[12:13], v[4:5], v[12:13]
	v_add_f64_e32 v[22:23], v[22:23], v[30:31]
	v_add_f64_e32 v[24:25], v[24:25], v[26:27]
	s_wait_loadcnt_dscnt 0x100
	v_mul_f64_e32 v[26:27], v[6:7], v[16:17]
	v_mul_f64_e32 v[16:17], v[8:9], v[16:17]
	v_fma_f64 v[4:5], v[4:5], v[10:11], v[28:29]
	v_fma_f64 v[1:2], v[2:3], v[10:11], -v[12:13]
	v_add_f64_e32 v[10:11], v[22:23], v[34:35]
	v_add_f64_e32 v[12:13], v[24:25], v[32:33]
	v_fma_f64 v[8:9], v[8:9], v[14:15], v[26:27]
	v_fma_f64 v[6:7], v[6:7], v[14:15], -v[16:17]
	s_delay_alu instid0(VALU_DEP_4) | instskip(NEXT) | instid1(VALU_DEP_4)
	v_add_f64_e32 v[1:2], v[10:11], v[1:2]
	v_add_f64_e32 v[3:4], v[12:13], v[4:5]
	s_delay_alu instid0(VALU_DEP_2) | instskip(NEXT) | instid1(VALU_DEP_2)
	v_add_f64_e32 v[1:2], v[1:2], v[6:7]
	v_add_f64_e32 v[3:4], v[3:4], v[8:9]
	s_wait_loadcnt 0x0
	s_delay_alu instid0(VALU_DEP_2) | instskip(NEXT) | instid1(VALU_DEP_2)
	v_add_f64_e64 v[1:2], v[18:19], -v[1:2]
	v_add_f64_e64 v[3:4], v[20:21], -v[3:4]
	scratch_store_b128 off, v[1:4], off offset:384
	v_cmpx_lt_u32_e32 22, v0
	s_cbranch_execz .LBB37_197
; %bb.196:
	scratch_load_b128 v[1:4], off, s12
	v_mov_b32_e32 v5, 0
	s_delay_alu instid0(VALU_DEP_1)
	v_dual_mov_b32 v6, v5 :: v_dual_mov_b32 v7, v5
	v_mov_b32_e32 v8, v5
	scratch_store_b128 off, v[5:8], off offset:368
	s_wait_loadcnt 0x0
	ds_store_b128 v114, v[1:4]
.LBB37_197:
	s_wait_alu 0xfffe
	s_or_b32 exec_lo, exec_lo, s0
	s_wait_storecnt_dscnt 0x0
	s_barrier_signal -1
	s_barrier_wait -1
	global_inv scope:SCOPE_SE
	s_clause 0x7
	scratch_load_b128 v[2:5], off, off offset:384
	scratch_load_b128 v[6:9], off, off offset:400
	;; [unrolled: 1-line block ×8, first 2 shown]
	v_mov_b32_e32 v1, 0
	s_clause 0x1
	scratch_load_b128 v[115:118], off, off offset:512
	scratch_load_b128 v[123:126], off, off offset:528
	s_mov_b32 s0, exec_lo
	ds_load_b128 v[34:37], v1 offset:976
	ds_load_b128 v[119:122], v1 offset:992
	s_wait_loadcnt_dscnt 0x901
	v_mul_f64_e32 v[127:128], v[36:37], v[4:5]
	v_mul_f64_e32 v[4:5], v[34:35], v[4:5]
	s_wait_loadcnt_dscnt 0x800
	v_mul_f64_e32 v[129:130], v[119:120], v[8:9]
	v_mul_f64_e32 v[8:9], v[121:122], v[8:9]
	s_delay_alu instid0(VALU_DEP_4) | instskip(NEXT) | instid1(VALU_DEP_4)
	v_fma_f64 v[127:128], v[34:35], v[2:3], -v[127:128]
	v_fma_f64 v[131:132], v[36:37], v[2:3], v[4:5]
	ds_load_b128 v[2:5], v1 offset:1008
	scratch_load_b128 v[34:37], off, off offset:544
	v_fma_f64 v[129:130], v[121:122], v[6:7], v[129:130]
	v_fma_f64 v[135:136], v[119:120], v[6:7], -v[8:9]
	ds_load_b128 v[6:9], v1 offset:1024
	scratch_load_b128 v[119:122], off, off offset:560
	s_wait_loadcnt_dscnt 0x901
	v_mul_f64_e32 v[133:134], v[2:3], v[12:13]
	v_mul_f64_e32 v[12:13], v[4:5], v[12:13]
	s_wait_loadcnt_dscnt 0x800
	v_mul_f64_e32 v[137:138], v[6:7], v[16:17]
	v_mul_f64_e32 v[16:17], v[8:9], v[16:17]
	v_add_f64_e32 v[127:128], 0, v[127:128]
	v_add_f64_e32 v[131:132], 0, v[131:132]
	v_fma_f64 v[133:134], v[4:5], v[10:11], v[133:134]
	v_fma_f64 v[139:140], v[2:3], v[10:11], -v[12:13]
	ds_load_b128 v[2:5], v1 offset:1040
	scratch_load_b128 v[10:13], off, off offset:576
	v_add_f64_e32 v[127:128], v[127:128], v[135:136]
	v_add_f64_e32 v[129:130], v[131:132], v[129:130]
	v_fma_f64 v[135:136], v[8:9], v[14:15], v[137:138]
	v_fma_f64 v[137:138], v[6:7], v[14:15], -v[16:17]
	ds_load_b128 v[6:9], v1 offset:1056
	scratch_load_b128 v[14:17], off, off offset:592
	s_wait_loadcnt_dscnt 0x901
	v_mul_f64_e32 v[131:132], v[2:3], v[20:21]
	v_mul_f64_e32 v[20:21], v[4:5], v[20:21]
	v_add_f64_e32 v[127:128], v[127:128], v[139:140]
	v_add_f64_e32 v[129:130], v[129:130], v[133:134]
	s_wait_loadcnt_dscnt 0x800
	v_mul_f64_e32 v[133:134], v[6:7], v[24:25]
	v_mul_f64_e32 v[24:25], v[8:9], v[24:25]
	v_fma_f64 v[131:132], v[4:5], v[18:19], v[131:132]
	v_fma_f64 v[139:140], v[2:3], v[18:19], -v[20:21]
	ds_load_b128 v[2:5], v1 offset:1072
	scratch_load_b128 v[18:21], off, off offset:608
	v_add_f64_e32 v[127:128], v[127:128], v[137:138]
	v_add_f64_e32 v[129:130], v[129:130], v[135:136]
	v_fma_f64 v[133:134], v[8:9], v[22:23], v[133:134]
	v_fma_f64 v[22:23], v[6:7], v[22:23], -v[24:25]
	ds_load_b128 v[6:9], v1 offset:1088
	s_wait_loadcnt_dscnt 0x801
	v_mul_f64_e32 v[135:136], v[2:3], v[28:29]
	v_mul_f64_e32 v[28:29], v[4:5], v[28:29]
	v_add_f64_e32 v[24:25], v[127:128], v[139:140]
	v_add_f64_e32 v[127:128], v[129:130], v[131:132]
	s_wait_loadcnt_dscnt 0x700
	v_mul_f64_e32 v[129:130], v[6:7], v[32:33]
	v_mul_f64_e32 v[32:33], v[8:9], v[32:33]
	v_fma_f64 v[131:132], v[4:5], v[26:27], v[135:136]
	v_fma_f64 v[26:27], v[2:3], v[26:27], -v[28:29]
	ds_load_b128 v[2:5], v1 offset:1104
	v_add_f64_e32 v[22:23], v[24:25], v[22:23]
	v_add_f64_e32 v[24:25], v[127:128], v[133:134]
	v_fma_f64 v[127:128], v[8:9], v[30:31], v[129:130]
	v_fma_f64 v[30:31], v[6:7], v[30:31], -v[32:33]
	ds_load_b128 v[6:9], v1 offset:1120
	s_wait_loadcnt_dscnt 0x500
	v_mul_f64_e32 v[129:130], v[6:7], v[125:126]
	v_mul_f64_e32 v[125:126], v[8:9], v[125:126]
	v_add_f64_e32 v[26:27], v[22:23], v[26:27]
	v_add_f64_e32 v[32:33], v[24:25], v[131:132]
	scratch_load_b128 v[22:25], off, off offset:368
	v_mul_f64_e32 v[28:29], v[2:3], v[117:118]
	v_mul_f64_e32 v[117:118], v[4:5], v[117:118]
	v_add_f64_e32 v[26:27], v[26:27], v[30:31]
	v_add_f64_e32 v[30:31], v[32:33], v[127:128]
	s_delay_alu instid0(VALU_DEP_4) | instskip(NEXT) | instid1(VALU_DEP_4)
	v_fma_f64 v[28:29], v[4:5], v[115:116], v[28:29]
	v_fma_f64 v[115:116], v[2:3], v[115:116], -v[117:118]
	ds_load_b128 v[2:5], v1 offset:1136
	v_fma_f64 v[117:118], v[8:9], v[123:124], v[129:130]
	v_fma_f64 v[123:124], v[6:7], v[123:124], -v[125:126]
	ds_load_b128 v[6:9], v1 offset:1152
	s_wait_loadcnt_dscnt 0x501
	v_mul_f64_e32 v[32:33], v[2:3], v[36:37]
	v_mul_f64_e32 v[36:37], v[4:5], v[36:37]
	v_add_f64_e32 v[28:29], v[30:31], v[28:29]
	v_add_f64_e32 v[26:27], v[26:27], v[115:116]
	s_wait_loadcnt_dscnt 0x400
	v_mul_f64_e32 v[30:31], v[6:7], v[121:122]
	v_mul_f64_e32 v[115:116], v[8:9], v[121:122]
	v_fma_f64 v[32:33], v[4:5], v[34:35], v[32:33]
	v_fma_f64 v[34:35], v[2:3], v[34:35], -v[36:37]
	ds_load_b128 v[2:5], v1 offset:1168
	v_add_f64_e32 v[28:29], v[28:29], v[117:118]
	v_add_f64_e32 v[26:27], v[26:27], v[123:124]
	v_fma_f64 v[30:31], v[8:9], v[119:120], v[30:31]
	v_fma_f64 v[115:116], v[6:7], v[119:120], -v[115:116]
	ds_load_b128 v[6:9], v1 offset:1184
	s_wait_loadcnt_dscnt 0x301
	v_mul_f64_e32 v[36:37], v[2:3], v[12:13]
	v_mul_f64_e32 v[12:13], v[4:5], v[12:13]
	v_add_f64_e32 v[28:29], v[28:29], v[32:33]
	v_add_f64_e32 v[26:27], v[26:27], v[34:35]
	s_wait_loadcnt_dscnt 0x200
	v_mul_f64_e32 v[32:33], v[6:7], v[16:17]
	v_mul_f64_e32 v[16:17], v[8:9], v[16:17]
	v_fma_f64 v[34:35], v[4:5], v[10:11], v[36:37]
	v_fma_f64 v[10:11], v[2:3], v[10:11], -v[12:13]
	ds_load_b128 v[2:5], v1 offset:1200
	v_add_f64_e32 v[12:13], v[26:27], v[115:116]
	v_add_f64_e32 v[26:27], v[28:29], v[30:31]
	s_wait_loadcnt_dscnt 0x100
	v_mul_f64_e32 v[28:29], v[2:3], v[20:21]
	v_mul_f64_e32 v[20:21], v[4:5], v[20:21]
	v_fma_f64 v[8:9], v[8:9], v[14:15], v[32:33]
	v_fma_f64 v[6:7], v[6:7], v[14:15], -v[16:17]
	v_add_f64_e32 v[10:11], v[12:13], v[10:11]
	v_add_f64_e32 v[12:13], v[26:27], v[34:35]
	v_fma_f64 v[4:5], v[4:5], v[18:19], v[28:29]
	v_fma_f64 v[2:3], v[2:3], v[18:19], -v[20:21]
	s_delay_alu instid0(VALU_DEP_4) | instskip(NEXT) | instid1(VALU_DEP_4)
	v_add_f64_e32 v[6:7], v[10:11], v[6:7]
	v_add_f64_e32 v[8:9], v[12:13], v[8:9]
	s_delay_alu instid0(VALU_DEP_2) | instskip(NEXT) | instid1(VALU_DEP_2)
	v_add_f64_e32 v[2:3], v[6:7], v[2:3]
	v_add_f64_e32 v[4:5], v[8:9], v[4:5]
	s_wait_loadcnt 0x0
	s_delay_alu instid0(VALU_DEP_2) | instskip(NEXT) | instid1(VALU_DEP_2)
	v_add_f64_e64 v[2:3], v[22:23], -v[2:3]
	v_add_f64_e64 v[4:5], v[24:25], -v[4:5]
	scratch_store_b128 off, v[2:5], off offset:368
	v_cmpx_lt_u32_e32 21, v0
	s_cbranch_execz .LBB37_199
; %bb.198:
	scratch_load_b128 v[5:8], off, s11
	v_dual_mov_b32 v2, v1 :: v_dual_mov_b32 v3, v1
	v_mov_b32_e32 v4, v1
	scratch_store_b128 off, v[1:4], off offset:352
	s_wait_loadcnt 0x0
	ds_store_b128 v114, v[5:8]
.LBB37_199:
	s_wait_alu 0xfffe
	s_or_b32 exec_lo, exec_lo, s0
	s_wait_storecnt_dscnt 0x0
	s_barrier_signal -1
	s_barrier_wait -1
	global_inv scope:SCOPE_SE
	s_clause 0x7
	scratch_load_b128 v[2:5], off, off offset:368
	scratch_load_b128 v[6:9], off, off offset:384
	;; [unrolled: 1-line block ×8, first 2 shown]
	ds_load_b128 v[34:37], v1 offset:960
	ds_load_b128 v[119:122], v1 offset:976
	s_clause 0x1
	scratch_load_b128 v[115:118], off, off offset:496
	scratch_load_b128 v[123:126], off, off offset:512
	s_mov_b32 s0, exec_lo
	s_wait_loadcnt_dscnt 0x901
	v_mul_f64_e32 v[127:128], v[36:37], v[4:5]
	v_mul_f64_e32 v[4:5], v[34:35], v[4:5]
	s_wait_loadcnt_dscnt 0x800
	v_mul_f64_e32 v[129:130], v[119:120], v[8:9]
	v_mul_f64_e32 v[8:9], v[121:122], v[8:9]
	s_delay_alu instid0(VALU_DEP_4) | instskip(NEXT) | instid1(VALU_DEP_4)
	v_fma_f64 v[127:128], v[34:35], v[2:3], -v[127:128]
	v_fma_f64 v[131:132], v[36:37], v[2:3], v[4:5]
	ds_load_b128 v[2:5], v1 offset:992
	scratch_load_b128 v[34:37], off, off offset:528
	v_fma_f64 v[129:130], v[121:122], v[6:7], v[129:130]
	v_fma_f64 v[135:136], v[119:120], v[6:7], -v[8:9]
	ds_load_b128 v[6:9], v1 offset:1008
	scratch_load_b128 v[119:122], off, off offset:544
	s_wait_loadcnt_dscnt 0x901
	v_mul_f64_e32 v[133:134], v[2:3], v[12:13]
	v_mul_f64_e32 v[12:13], v[4:5], v[12:13]
	s_wait_loadcnt_dscnt 0x800
	v_mul_f64_e32 v[137:138], v[6:7], v[16:17]
	v_mul_f64_e32 v[16:17], v[8:9], v[16:17]
	v_add_f64_e32 v[127:128], 0, v[127:128]
	v_add_f64_e32 v[131:132], 0, v[131:132]
	v_fma_f64 v[133:134], v[4:5], v[10:11], v[133:134]
	v_fma_f64 v[139:140], v[2:3], v[10:11], -v[12:13]
	ds_load_b128 v[2:5], v1 offset:1024
	scratch_load_b128 v[10:13], off, off offset:560
	v_add_f64_e32 v[127:128], v[127:128], v[135:136]
	v_add_f64_e32 v[129:130], v[131:132], v[129:130]
	v_fma_f64 v[135:136], v[8:9], v[14:15], v[137:138]
	v_fma_f64 v[137:138], v[6:7], v[14:15], -v[16:17]
	ds_load_b128 v[6:9], v1 offset:1040
	scratch_load_b128 v[14:17], off, off offset:576
	s_wait_loadcnt_dscnt 0x901
	v_mul_f64_e32 v[131:132], v[2:3], v[20:21]
	v_mul_f64_e32 v[20:21], v[4:5], v[20:21]
	v_add_f64_e32 v[127:128], v[127:128], v[139:140]
	v_add_f64_e32 v[129:130], v[129:130], v[133:134]
	s_wait_loadcnt_dscnt 0x800
	v_mul_f64_e32 v[133:134], v[6:7], v[24:25]
	v_mul_f64_e32 v[24:25], v[8:9], v[24:25]
	v_fma_f64 v[131:132], v[4:5], v[18:19], v[131:132]
	v_fma_f64 v[139:140], v[2:3], v[18:19], -v[20:21]
	ds_load_b128 v[2:5], v1 offset:1056
	scratch_load_b128 v[18:21], off, off offset:592
	v_add_f64_e32 v[127:128], v[127:128], v[137:138]
	v_add_f64_e32 v[129:130], v[129:130], v[135:136]
	v_fma_f64 v[133:134], v[8:9], v[22:23], v[133:134]
	v_fma_f64 v[137:138], v[6:7], v[22:23], -v[24:25]
	ds_load_b128 v[6:9], v1 offset:1072
	s_wait_loadcnt_dscnt 0x801
	v_mul_f64_e32 v[135:136], v[2:3], v[28:29]
	v_mul_f64_e32 v[28:29], v[4:5], v[28:29]
	scratch_load_b128 v[22:25], off, off offset:608
	v_add_f64_e32 v[127:128], v[127:128], v[139:140]
	v_add_f64_e32 v[129:130], v[129:130], v[131:132]
	s_wait_loadcnt_dscnt 0x800
	v_mul_f64_e32 v[131:132], v[6:7], v[32:33]
	v_mul_f64_e32 v[32:33], v[8:9], v[32:33]
	v_fma_f64 v[135:136], v[4:5], v[26:27], v[135:136]
	v_fma_f64 v[26:27], v[2:3], v[26:27], -v[28:29]
	ds_load_b128 v[2:5], v1 offset:1088
	v_add_f64_e32 v[28:29], v[127:128], v[137:138]
	v_add_f64_e32 v[127:128], v[129:130], v[133:134]
	v_fma_f64 v[131:132], v[8:9], v[30:31], v[131:132]
	v_fma_f64 v[30:31], v[6:7], v[30:31], -v[32:33]
	ds_load_b128 v[6:9], v1 offset:1104
	s_wait_loadcnt_dscnt 0x701
	v_mul_f64_e32 v[129:130], v[2:3], v[117:118]
	v_mul_f64_e32 v[117:118], v[4:5], v[117:118]
	v_add_f64_e32 v[26:27], v[28:29], v[26:27]
	v_add_f64_e32 v[28:29], v[127:128], v[135:136]
	s_delay_alu instid0(VALU_DEP_4) | instskip(NEXT) | instid1(VALU_DEP_4)
	v_fma_f64 v[127:128], v[4:5], v[115:116], v[129:130]
	v_fma_f64 v[115:116], v[2:3], v[115:116], -v[117:118]
	ds_load_b128 v[2:5], v1 offset:1120
	v_add_f64_e32 v[30:31], v[26:27], v[30:31]
	v_add_f64_e32 v[117:118], v[28:29], v[131:132]
	scratch_load_b128 v[26:29], off, off offset:352
	s_wait_loadcnt_dscnt 0x701
	v_mul_f64_e32 v[32:33], v[6:7], v[125:126]
	v_mul_f64_e32 v[125:126], v[8:9], v[125:126]
	v_add_f64_e32 v[30:31], v[30:31], v[115:116]
	v_add_f64_e32 v[115:116], v[117:118], v[127:128]
	s_delay_alu instid0(VALU_DEP_4) | instskip(NEXT) | instid1(VALU_DEP_4)
	v_fma_f64 v[32:33], v[8:9], v[123:124], v[32:33]
	v_fma_f64 v[123:124], v[6:7], v[123:124], -v[125:126]
	ds_load_b128 v[6:9], v1 offset:1136
	s_wait_loadcnt_dscnt 0x601
	v_mul_f64_e32 v[129:130], v[2:3], v[36:37]
	v_mul_f64_e32 v[36:37], v[4:5], v[36:37]
	s_wait_loadcnt_dscnt 0x500
	v_mul_f64_e32 v[117:118], v[6:7], v[121:122]
	v_mul_f64_e32 v[121:122], v[8:9], v[121:122]
	v_add_f64_e32 v[32:33], v[115:116], v[32:33]
	v_add_f64_e32 v[30:31], v[30:31], v[123:124]
	v_fma_f64 v[125:126], v[4:5], v[34:35], v[129:130]
	v_fma_f64 v[34:35], v[2:3], v[34:35], -v[36:37]
	ds_load_b128 v[2:5], v1 offset:1152
	v_fma_f64 v[115:116], v[8:9], v[119:120], v[117:118]
	v_fma_f64 v[117:118], v[6:7], v[119:120], -v[121:122]
	ds_load_b128 v[6:9], v1 offset:1168
	s_wait_loadcnt_dscnt 0x401
	v_mul_f64_e32 v[36:37], v[2:3], v[12:13]
	v_mul_f64_e32 v[12:13], v[4:5], v[12:13]
	v_add_f64_e32 v[32:33], v[32:33], v[125:126]
	v_add_f64_e32 v[30:31], v[30:31], v[34:35]
	s_wait_loadcnt_dscnt 0x300
	v_mul_f64_e32 v[34:35], v[6:7], v[16:17]
	v_mul_f64_e32 v[16:17], v[8:9], v[16:17]
	v_fma_f64 v[36:37], v[4:5], v[10:11], v[36:37]
	v_fma_f64 v[10:11], v[2:3], v[10:11], -v[12:13]
	ds_load_b128 v[2:5], v1 offset:1184
	v_add_f64_e32 v[12:13], v[30:31], v[117:118]
	v_add_f64_e32 v[30:31], v[32:33], v[115:116]
	v_fma_f64 v[34:35], v[8:9], v[14:15], v[34:35]
	v_fma_f64 v[14:15], v[6:7], v[14:15], -v[16:17]
	ds_load_b128 v[6:9], v1 offset:1200
	s_wait_loadcnt_dscnt 0x201
	v_mul_f64_e32 v[32:33], v[2:3], v[20:21]
	v_mul_f64_e32 v[20:21], v[4:5], v[20:21]
	s_wait_loadcnt_dscnt 0x100
	v_mul_f64_e32 v[16:17], v[6:7], v[24:25]
	v_mul_f64_e32 v[24:25], v[8:9], v[24:25]
	v_add_f64_e32 v[10:11], v[12:13], v[10:11]
	v_add_f64_e32 v[12:13], v[30:31], v[36:37]
	v_fma_f64 v[4:5], v[4:5], v[18:19], v[32:33]
	v_fma_f64 v[1:2], v[2:3], v[18:19], -v[20:21]
	v_fma_f64 v[8:9], v[8:9], v[22:23], v[16:17]
	v_fma_f64 v[6:7], v[6:7], v[22:23], -v[24:25]
	v_add_f64_e32 v[10:11], v[10:11], v[14:15]
	v_add_f64_e32 v[12:13], v[12:13], v[34:35]
	s_delay_alu instid0(VALU_DEP_2) | instskip(NEXT) | instid1(VALU_DEP_2)
	v_add_f64_e32 v[1:2], v[10:11], v[1:2]
	v_add_f64_e32 v[3:4], v[12:13], v[4:5]
	s_delay_alu instid0(VALU_DEP_2) | instskip(NEXT) | instid1(VALU_DEP_2)
	v_add_f64_e32 v[1:2], v[1:2], v[6:7]
	v_add_f64_e32 v[3:4], v[3:4], v[8:9]
	s_wait_loadcnt 0x0
	s_delay_alu instid0(VALU_DEP_2) | instskip(NEXT) | instid1(VALU_DEP_2)
	v_add_f64_e64 v[1:2], v[26:27], -v[1:2]
	v_add_f64_e64 v[3:4], v[28:29], -v[3:4]
	scratch_store_b128 off, v[1:4], off offset:352
	v_cmpx_lt_u32_e32 20, v0
	s_cbranch_execz .LBB37_201
; %bb.200:
	scratch_load_b128 v[1:4], off, s14
	v_mov_b32_e32 v5, 0
	s_delay_alu instid0(VALU_DEP_1)
	v_dual_mov_b32 v6, v5 :: v_dual_mov_b32 v7, v5
	v_mov_b32_e32 v8, v5
	scratch_store_b128 off, v[5:8], off offset:336
	s_wait_loadcnt 0x0
	ds_store_b128 v114, v[1:4]
.LBB37_201:
	s_wait_alu 0xfffe
	s_or_b32 exec_lo, exec_lo, s0
	s_wait_storecnt_dscnt 0x0
	s_barrier_signal -1
	s_barrier_wait -1
	global_inv scope:SCOPE_SE
	s_clause 0x7
	scratch_load_b128 v[2:5], off, off offset:352
	scratch_load_b128 v[6:9], off, off offset:368
	;; [unrolled: 1-line block ×8, first 2 shown]
	v_mov_b32_e32 v1, 0
	s_clause 0x1
	scratch_load_b128 v[115:118], off, off offset:480
	scratch_load_b128 v[123:126], off, off offset:496
	s_mov_b32 s0, exec_lo
	ds_load_b128 v[34:37], v1 offset:944
	ds_load_b128 v[119:122], v1 offset:960
	s_wait_loadcnt_dscnt 0x901
	v_mul_f64_e32 v[127:128], v[36:37], v[4:5]
	v_mul_f64_e32 v[4:5], v[34:35], v[4:5]
	s_wait_loadcnt_dscnt 0x800
	v_mul_f64_e32 v[129:130], v[119:120], v[8:9]
	v_mul_f64_e32 v[8:9], v[121:122], v[8:9]
	s_delay_alu instid0(VALU_DEP_4) | instskip(NEXT) | instid1(VALU_DEP_4)
	v_fma_f64 v[127:128], v[34:35], v[2:3], -v[127:128]
	v_fma_f64 v[131:132], v[36:37], v[2:3], v[4:5]
	ds_load_b128 v[2:5], v1 offset:976
	scratch_load_b128 v[34:37], off, off offset:512
	v_fma_f64 v[129:130], v[121:122], v[6:7], v[129:130]
	v_fma_f64 v[135:136], v[119:120], v[6:7], -v[8:9]
	ds_load_b128 v[6:9], v1 offset:992
	scratch_load_b128 v[119:122], off, off offset:528
	s_wait_loadcnt_dscnt 0x901
	v_mul_f64_e32 v[133:134], v[2:3], v[12:13]
	v_mul_f64_e32 v[12:13], v[4:5], v[12:13]
	s_wait_loadcnt_dscnt 0x800
	v_mul_f64_e32 v[137:138], v[6:7], v[16:17]
	v_mul_f64_e32 v[16:17], v[8:9], v[16:17]
	v_add_f64_e32 v[127:128], 0, v[127:128]
	v_add_f64_e32 v[131:132], 0, v[131:132]
	v_fma_f64 v[133:134], v[4:5], v[10:11], v[133:134]
	v_fma_f64 v[139:140], v[2:3], v[10:11], -v[12:13]
	ds_load_b128 v[2:5], v1 offset:1008
	scratch_load_b128 v[10:13], off, off offset:544
	v_add_f64_e32 v[127:128], v[127:128], v[135:136]
	v_add_f64_e32 v[129:130], v[131:132], v[129:130]
	v_fma_f64 v[135:136], v[8:9], v[14:15], v[137:138]
	v_fma_f64 v[137:138], v[6:7], v[14:15], -v[16:17]
	ds_load_b128 v[6:9], v1 offset:1024
	scratch_load_b128 v[14:17], off, off offset:560
	s_wait_loadcnt_dscnt 0x901
	v_mul_f64_e32 v[131:132], v[2:3], v[20:21]
	v_mul_f64_e32 v[20:21], v[4:5], v[20:21]
	v_add_f64_e32 v[127:128], v[127:128], v[139:140]
	v_add_f64_e32 v[129:130], v[129:130], v[133:134]
	s_wait_loadcnt_dscnt 0x800
	v_mul_f64_e32 v[133:134], v[6:7], v[24:25]
	v_mul_f64_e32 v[24:25], v[8:9], v[24:25]
	v_fma_f64 v[131:132], v[4:5], v[18:19], v[131:132]
	v_fma_f64 v[139:140], v[2:3], v[18:19], -v[20:21]
	ds_load_b128 v[2:5], v1 offset:1040
	scratch_load_b128 v[18:21], off, off offset:576
	v_add_f64_e32 v[127:128], v[127:128], v[137:138]
	v_add_f64_e32 v[129:130], v[129:130], v[135:136]
	v_fma_f64 v[133:134], v[8:9], v[22:23], v[133:134]
	v_fma_f64 v[137:138], v[6:7], v[22:23], -v[24:25]
	ds_load_b128 v[6:9], v1 offset:1056
	s_wait_loadcnt_dscnt 0x801
	v_mul_f64_e32 v[135:136], v[2:3], v[28:29]
	v_mul_f64_e32 v[28:29], v[4:5], v[28:29]
	scratch_load_b128 v[22:25], off, off offset:592
	v_add_f64_e32 v[127:128], v[127:128], v[139:140]
	v_add_f64_e32 v[129:130], v[129:130], v[131:132]
	s_wait_loadcnt_dscnt 0x800
	v_mul_f64_e32 v[131:132], v[6:7], v[32:33]
	v_mul_f64_e32 v[32:33], v[8:9], v[32:33]
	v_fma_f64 v[135:136], v[4:5], v[26:27], v[135:136]
	v_fma_f64 v[139:140], v[2:3], v[26:27], -v[28:29]
	ds_load_b128 v[2:5], v1 offset:1072
	scratch_load_b128 v[26:29], off, off offset:608
	v_add_f64_e32 v[127:128], v[127:128], v[137:138]
	v_add_f64_e32 v[129:130], v[129:130], v[133:134]
	v_fma_f64 v[131:132], v[8:9], v[30:31], v[131:132]
	v_fma_f64 v[30:31], v[6:7], v[30:31], -v[32:33]
	ds_load_b128 v[6:9], v1 offset:1088
	s_wait_loadcnt_dscnt 0x801
	v_mul_f64_e32 v[133:134], v[2:3], v[117:118]
	v_mul_f64_e32 v[117:118], v[4:5], v[117:118]
	v_add_f64_e32 v[32:33], v[127:128], v[139:140]
	v_add_f64_e32 v[127:128], v[129:130], v[135:136]
	s_wait_loadcnt_dscnt 0x700
	v_mul_f64_e32 v[129:130], v[6:7], v[125:126]
	v_mul_f64_e32 v[125:126], v[8:9], v[125:126]
	v_fma_f64 v[133:134], v[4:5], v[115:116], v[133:134]
	v_fma_f64 v[115:116], v[2:3], v[115:116], -v[117:118]
	ds_load_b128 v[2:5], v1 offset:1104
	v_add_f64_e32 v[30:31], v[32:33], v[30:31]
	v_add_f64_e32 v[32:33], v[127:128], v[131:132]
	v_fma_f64 v[127:128], v[8:9], v[123:124], v[129:130]
	v_fma_f64 v[123:124], v[6:7], v[123:124], -v[125:126]
	ds_load_b128 v[6:9], v1 offset:1120
	s_wait_loadcnt_dscnt 0x500
	v_mul_f64_e32 v[129:130], v[6:7], v[121:122]
	v_mul_f64_e32 v[121:122], v[8:9], v[121:122]
	v_add_f64_e32 v[115:116], v[30:31], v[115:116]
	v_add_f64_e32 v[125:126], v[32:33], v[133:134]
	scratch_load_b128 v[30:33], off, off offset:336
	v_mul_f64_e32 v[117:118], v[2:3], v[36:37]
	v_mul_f64_e32 v[36:37], v[4:5], v[36:37]
	s_delay_alu instid0(VALU_DEP_2) | instskip(NEXT) | instid1(VALU_DEP_2)
	v_fma_f64 v[117:118], v[4:5], v[34:35], v[117:118]
	v_fma_f64 v[34:35], v[2:3], v[34:35], -v[36:37]
	v_add_f64_e32 v[36:37], v[115:116], v[123:124]
	v_add_f64_e32 v[115:116], v[125:126], v[127:128]
	ds_load_b128 v[2:5], v1 offset:1136
	v_fma_f64 v[125:126], v[8:9], v[119:120], v[129:130]
	v_fma_f64 v[119:120], v[6:7], v[119:120], -v[121:122]
	ds_load_b128 v[6:9], v1 offset:1152
	s_wait_loadcnt_dscnt 0x501
	v_mul_f64_e32 v[123:124], v[2:3], v[12:13]
	v_mul_f64_e32 v[12:13], v[4:5], v[12:13]
	v_add_f64_e32 v[34:35], v[36:37], v[34:35]
	v_add_f64_e32 v[36:37], v[115:116], v[117:118]
	s_wait_loadcnt_dscnt 0x400
	v_mul_f64_e32 v[115:116], v[6:7], v[16:17]
	v_mul_f64_e32 v[16:17], v[8:9], v[16:17]
	v_fma_f64 v[117:118], v[4:5], v[10:11], v[123:124]
	v_fma_f64 v[10:11], v[2:3], v[10:11], -v[12:13]
	ds_load_b128 v[2:5], v1 offset:1168
	v_add_f64_e32 v[12:13], v[34:35], v[119:120]
	v_add_f64_e32 v[34:35], v[36:37], v[125:126]
	v_fma_f64 v[115:116], v[8:9], v[14:15], v[115:116]
	v_fma_f64 v[14:15], v[6:7], v[14:15], -v[16:17]
	ds_load_b128 v[6:9], v1 offset:1184
	s_wait_loadcnt_dscnt 0x301
	v_mul_f64_e32 v[36:37], v[2:3], v[20:21]
	v_mul_f64_e32 v[20:21], v[4:5], v[20:21]
	s_wait_loadcnt_dscnt 0x200
	v_mul_f64_e32 v[16:17], v[6:7], v[24:25]
	v_mul_f64_e32 v[24:25], v[8:9], v[24:25]
	v_add_f64_e32 v[10:11], v[12:13], v[10:11]
	v_add_f64_e32 v[12:13], v[34:35], v[117:118]
	v_fma_f64 v[34:35], v[4:5], v[18:19], v[36:37]
	v_fma_f64 v[18:19], v[2:3], v[18:19], -v[20:21]
	ds_load_b128 v[2:5], v1 offset:1200
	v_fma_f64 v[8:9], v[8:9], v[22:23], v[16:17]
	v_fma_f64 v[6:7], v[6:7], v[22:23], -v[24:25]
	s_wait_loadcnt_dscnt 0x100
	v_mul_f64_e32 v[20:21], v[4:5], v[28:29]
	v_add_f64_e32 v[10:11], v[10:11], v[14:15]
	v_add_f64_e32 v[12:13], v[12:13], v[115:116]
	v_mul_f64_e32 v[14:15], v[2:3], v[28:29]
	s_delay_alu instid0(VALU_DEP_4) | instskip(NEXT) | instid1(VALU_DEP_4)
	v_fma_f64 v[2:3], v[2:3], v[26:27], -v[20:21]
	v_add_f64_e32 v[10:11], v[10:11], v[18:19]
	s_delay_alu instid0(VALU_DEP_4) | instskip(NEXT) | instid1(VALU_DEP_4)
	v_add_f64_e32 v[12:13], v[12:13], v[34:35]
	v_fma_f64 v[4:5], v[4:5], v[26:27], v[14:15]
	s_delay_alu instid0(VALU_DEP_3) | instskip(NEXT) | instid1(VALU_DEP_3)
	v_add_f64_e32 v[6:7], v[10:11], v[6:7]
	v_add_f64_e32 v[8:9], v[12:13], v[8:9]
	s_delay_alu instid0(VALU_DEP_2) | instskip(NEXT) | instid1(VALU_DEP_2)
	v_add_f64_e32 v[2:3], v[6:7], v[2:3]
	v_add_f64_e32 v[4:5], v[8:9], v[4:5]
	s_wait_loadcnt 0x0
	s_delay_alu instid0(VALU_DEP_2) | instskip(NEXT) | instid1(VALU_DEP_2)
	v_add_f64_e64 v[2:3], v[30:31], -v[2:3]
	v_add_f64_e64 v[4:5], v[32:33], -v[4:5]
	scratch_store_b128 off, v[2:5], off offset:336
	v_cmpx_lt_u32_e32 19, v0
	s_cbranch_execz .LBB37_203
; %bb.202:
	scratch_load_b128 v[5:8], off, s13
	v_dual_mov_b32 v2, v1 :: v_dual_mov_b32 v3, v1
	v_mov_b32_e32 v4, v1
	scratch_store_b128 off, v[1:4], off offset:320
	s_wait_loadcnt 0x0
	ds_store_b128 v114, v[5:8]
.LBB37_203:
	s_wait_alu 0xfffe
	s_or_b32 exec_lo, exec_lo, s0
	s_wait_storecnt_dscnt 0x0
	s_barrier_signal -1
	s_barrier_wait -1
	global_inv scope:SCOPE_SE
	s_clause 0x7
	scratch_load_b128 v[2:5], off, off offset:336
	scratch_load_b128 v[6:9], off, off offset:352
	;; [unrolled: 1-line block ×8, first 2 shown]
	ds_load_b128 v[34:37], v1 offset:928
	ds_load_b128 v[119:122], v1 offset:944
	s_clause 0x1
	scratch_load_b128 v[115:118], off, off offset:464
	scratch_load_b128 v[123:126], off, off offset:480
	s_mov_b32 s0, exec_lo
	s_wait_loadcnt_dscnt 0x901
	v_mul_f64_e32 v[127:128], v[36:37], v[4:5]
	v_mul_f64_e32 v[4:5], v[34:35], v[4:5]
	s_wait_loadcnt_dscnt 0x800
	v_mul_f64_e32 v[129:130], v[119:120], v[8:9]
	v_mul_f64_e32 v[8:9], v[121:122], v[8:9]
	s_delay_alu instid0(VALU_DEP_4) | instskip(NEXT) | instid1(VALU_DEP_4)
	v_fma_f64 v[127:128], v[34:35], v[2:3], -v[127:128]
	v_fma_f64 v[131:132], v[36:37], v[2:3], v[4:5]
	scratch_load_b128 v[34:37], off, off offset:496
	ds_load_b128 v[2:5], v1 offset:960
	v_fma_f64 v[129:130], v[121:122], v[6:7], v[129:130]
	v_fma_f64 v[135:136], v[119:120], v[6:7], -v[8:9]
	ds_load_b128 v[6:9], v1 offset:976
	scratch_load_b128 v[119:122], off, off offset:512
	s_wait_loadcnt_dscnt 0x901
	v_mul_f64_e32 v[133:134], v[2:3], v[12:13]
	v_mul_f64_e32 v[12:13], v[4:5], v[12:13]
	s_wait_loadcnt_dscnt 0x800
	v_mul_f64_e32 v[137:138], v[6:7], v[16:17]
	v_mul_f64_e32 v[16:17], v[8:9], v[16:17]
	v_add_f64_e32 v[127:128], 0, v[127:128]
	v_add_f64_e32 v[131:132], 0, v[131:132]
	v_fma_f64 v[133:134], v[4:5], v[10:11], v[133:134]
	v_fma_f64 v[139:140], v[2:3], v[10:11], -v[12:13]
	ds_load_b128 v[2:5], v1 offset:992
	scratch_load_b128 v[10:13], off, off offset:528
	v_add_f64_e32 v[127:128], v[127:128], v[135:136]
	v_add_f64_e32 v[129:130], v[131:132], v[129:130]
	v_fma_f64 v[135:136], v[8:9], v[14:15], v[137:138]
	v_fma_f64 v[137:138], v[6:7], v[14:15], -v[16:17]
	ds_load_b128 v[6:9], v1 offset:1008
	scratch_load_b128 v[14:17], off, off offset:544
	s_wait_loadcnt_dscnt 0x901
	v_mul_f64_e32 v[131:132], v[2:3], v[20:21]
	v_mul_f64_e32 v[20:21], v[4:5], v[20:21]
	v_add_f64_e32 v[127:128], v[127:128], v[139:140]
	v_add_f64_e32 v[129:130], v[129:130], v[133:134]
	s_wait_loadcnt_dscnt 0x800
	v_mul_f64_e32 v[133:134], v[6:7], v[24:25]
	v_mul_f64_e32 v[24:25], v[8:9], v[24:25]
	v_fma_f64 v[131:132], v[4:5], v[18:19], v[131:132]
	v_fma_f64 v[139:140], v[2:3], v[18:19], -v[20:21]
	ds_load_b128 v[2:5], v1 offset:1024
	scratch_load_b128 v[18:21], off, off offset:560
	v_add_f64_e32 v[127:128], v[127:128], v[137:138]
	v_add_f64_e32 v[129:130], v[129:130], v[135:136]
	v_fma_f64 v[133:134], v[8:9], v[22:23], v[133:134]
	v_fma_f64 v[137:138], v[6:7], v[22:23], -v[24:25]
	ds_load_b128 v[6:9], v1 offset:1040
	s_wait_loadcnt_dscnt 0x801
	v_mul_f64_e32 v[135:136], v[2:3], v[28:29]
	v_mul_f64_e32 v[28:29], v[4:5], v[28:29]
	scratch_load_b128 v[22:25], off, off offset:576
	v_add_f64_e32 v[127:128], v[127:128], v[139:140]
	v_add_f64_e32 v[129:130], v[129:130], v[131:132]
	s_wait_loadcnt_dscnt 0x800
	v_mul_f64_e32 v[131:132], v[6:7], v[32:33]
	v_mul_f64_e32 v[32:33], v[8:9], v[32:33]
	v_fma_f64 v[135:136], v[4:5], v[26:27], v[135:136]
	v_fma_f64 v[139:140], v[2:3], v[26:27], -v[28:29]
	ds_load_b128 v[2:5], v1 offset:1056
	scratch_load_b128 v[26:29], off, off offset:592
	v_add_f64_e32 v[127:128], v[127:128], v[137:138]
	v_add_f64_e32 v[129:130], v[129:130], v[133:134]
	v_fma_f64 v[131:132], v[8:9], v[30:31], v[131:132]
	v_fma_f64 v[137:138], v[6:7], v[30:31], -v[32:33]
	ds_load_b128 v[6:9], v1 offset:1072
	s_wait_loadcnt_dscnt 0x801
	v_mul_f64_e32 v[133:134], v[2:3], v[117:118]
	v_mul_f64_e32 v[117:118], v[4:5], v[117:118]
	scratch_load_b128 v[30:33], off, off offset:608
	v_add_f64_e32 v[127:128], v[127:128], v[139:140]
	v_add_f64_e32 v[129:130], v[129:130], v[135:136]
	v_fma_f64 v[133:134], v[4:5], v[115:116], v[133:134]
	v_fma_f64 v[115:116], v[2:3], v[115:116], -v[117:118]
	ds_load_b128 v[2:5], v1 offset:1088
	v_add_f64_e32 v[117:118], v[127:128], v[137:138]
	v_add_f64_e32 v[127:128], v[129:130], v[131:132]
	s_wait_loadcnt_dscnt 0x700
	v_mul_f64_e32 v[129:130], v[2:3], v[36:37]
	v_mul_f64_e32 v[36:37], v[4:5], v[36:37]
	s_delay_alu instid0(VALU_DEP_4) | instskip(NEXT) | instid1(VALU_DEP_4)
	v_add_f64_e32 v[115:116], v[117:118], v[115:116]
	v_add_f64_e32 v[117:118], v[127:128], v[133:134]
	s_delay_alu instid0(VALU_DEP_4) | instskip(NEXT) | instid1(VALU_DEP_4)
	v_fma_f64 v[127:128], v[4:5], v[34:35], v[129:130]
	v_fma_f64 v[129:130], v[2:3], v[34:35], -v[36:37]
	scratch_load_b128 v[34:37], off, off offset:320
	v_mul_f64_e32 v[135:136], v[6:7], v[125:126]
	v_mul_f64_e32 v[125:126], v[8:9], v[125:126]
	ds_load_b128 v[2:5], v1 offset:1120
	v_fma_f64 v[131:132], v[8:9], v[123:124], v[135:136]
	v_fma_f64 v[123:124], v[6:7], v[123:124], -v[125:126]
	ds_load_b128 v[6:9], v1 offset:1104
	s_wait_loadcnt_dscnt 0x700
	v_mul_f64_e32 v[125:126], v[6:7], v[121:122]
	v_mul_f64_e32 v[121:122], v[8:9], v[121:122]
	v_add_f64_e32 v[117:118], v[117:118], v[131:132]
	v_add_f64_e32 v[115:116], v[115:116], v[123:124]
	s_wait_loadcnt 0x6
	v_mul_f64_e32 v[123:124], v[2:3], v[12:13]
	v_mul_f64_e32 v[12:13], v[4:5], v[12:13]
	v_fma_f64 v[125:126], v[8:9], v[119:120], v[125:126]
	v_fma_f64 v[119:120], v[6:7], v[119:120], -v[121:122]
	ds_load_b128 v[6:9], v1 offset:1136
	v_add_f64_e32 v[117:118], v[117:118], v[127:128]
	v_add_f64_e32 v[115:116], v[115:116], v[129:130]
	v_fma_f64 v[123:124], v[4:5], v[10:11], v[123:124]
	v_fma_f64 v[10:11], v[2:3], v[10:11], -v[12:13]
	ds_load_b128 v[2:5], v1 offset:1152
	s_wait_loadcnt_dscnt 0x501
	v_mul_f64_e32 v[121:122], v[6:7], v[16:17]
	v_mul_f64_e32 v[16:17], v[8:9], v[16:17]
	v_add_f64_e32 v[12:13], v[115:116], v[119:120]
	v_add_f64_e32 v[115:116], v[117:118], v[125:126]
	s_wait_loadcnt_dscnt 0x400
	v_mul_f64_e32 v[117:118], v[2:3], v[20:21]
	v_mul_f64_e32 v[20:21], v[4:5], v[20:21]
	v_fma_f64 v[119:120], v[8:9], v[14:15], v[121:122]
	v_fma_f64 v[14:15], v[6:7], v[14:15], -v[16:17]
	ds_load_b128 v[6:9], v1 offset:1168
	v_add_f64_e32 v[10:11], v[12:13], v[10:11]
	v_add_f64_e32 v[12:13], v[115:116], v[123:124]
	v_fma_f64 v[115:116], v[4:5], v[18:19], v[117:118]
	v_fma_f64 v[18:19], v[2:3], v[18:19], -v[20:21]
	ds_load_b128 v[2:5], v1 offset:1184
	s_wait_loadcnt_dscnt 0x301
	v_mul_f64_e32 v[16:17], v[6:7], v[24:25]
	v_mul_f64_e32 v[24:25], v[8:9], v[24:25]
	s_wait_loadcnt_dscnt 0x200
	v_mul_f64_e32 v[20:21], v[4:5], v[28:29]
	v_add_f64_e32 v[10:11], v[10:11], v[14:15]
	v_add_f64_e32 v[12:13], v[12:13], v[119:120]
	v_mul_f64_e32 v[14:15], v[2:3], v[28:29]
	v_fma_f64 v[16:17], v[8:9], v[22:23], v[16:17]
	v_fma_f64 v[22:23], v[6:7], v[22:23], -v[24:25]
	ds_load_b128 v[6:9], v1 offset:1200
	v_fma_f64 v[1:2], v[2:3], v[26:27], -v[20:21]
	s_wait_loadcnt_dscnt 0x100
	v_mul_f64_e32 v[24:25], v[8:9], v[32:33]
	v_add_f64_e32 v[10:11], v[10:11], v[18:19]
	v_add_f64_e32 v[12:13], v[12:13], v[115:116]
	v_mul_f64_e32 v[18:19], v[6:7], v[32:33]
	v_fma_f64 v[4:5], v[4:5], v[26:27], v[14:15]
	v_fma_f64 v[6:7], v[6:7], v[30:31], -v[24:25]
	v_add_f64_e32 v[10:11], v[10:11], v[22:23]
	v_add_f64_e32 v[12:13], v[12:13], v[16:17]
	v_fma_f64 v[8:9], v[8:9], v[30:31], v[18:19]
	s_delay_alu instid0(VALU_DEP_3) | instskip(NEXT) | instid1(VALU_DEP_3)
	v_add_f64_e32 v[1:2], v[10:11], v[1:2]
	v_add_f64_e32 v[3:4], v[12:13], v[4:5]
	s_delay_alu instid0(VALU_DEP_2) | instskip(NEXT) | instid1(VALU_DEP_2)
	v_add_f64_e32 v[1:2], v[1:2], v[6:7]
	v_add_f64_e32 v[3:4], v[3:4], v[8:9]
	s_wait_loadcnt 0x0
	s_delay_alu instid0(VALU_DEP_2) | instskip(NEXT) | instid1(VALU_DEP_2)
	v_add_f64_e64 v[1:2], v[34:35], -v[1:2]
	v_add_f64_e64 v[3:4], v[36:37], -v[3:4]
	scratch_store_b128 off, v[1:4], off offset:320
	v_cmpx_lt_u32_e32 18, v0
	s_cbranch_execz .LBB37_205
; %bb.204:
	scratch_load_b128 v[1:4], off, s19
	v_mov_b32_e32 v5, 0
	s_delay_alu instid0(VALU_DEP_1)
	v_dual_mov_b32 v6, v5 :: v_dual_mov_b32 v7, v5
	v_mov_b32_e32 v8, v5
	scratch_store_b128 off, v[5:8], off offset:304
	s_wait_loadcnt 0x0
	ds_store_b128 v114, v[1:4]
.LBB37_205:
	s_wait_alu 0xfffe
	s_or_b32 exec_lo, exec_lo, s0
	s_wait_storecnt_dscnt 0x0
	s_barrier_signal -1
	s_barrier_wait -1
	global_inv scope:SCOPE_SE
	s_clause 0x7
	scratch_load_b128 v[2:5], off, off offset:320
	scratch_load_b128 v[6:9], off, off offset:336
	;; [unrolled: 1-line block ×8, first 2 shown]
	v_mov_b32_e32 v1, 0
	s_clause 0x1
	scratch_load_b128 v[115:118], off, off offset:448
	scratch_load_b128 v[123:126], off, off offset:464
	s_mov_b32 s0, exec_lo
	ds_load_b128 v[34:37], v1 offset:912
	ds_load_b128 v[119:122], v1 offset:928
	s_wait_loadcnt_dscnt 0x901
	v_mul_f64_e32 v[127:128], v[36:37], v[4:5]
	v_mul_f64_e32 v[4:5], v[34:35], v[4:5]
	s_wait_loadcnt_dscnt 0x800
	v_mul_f64_e32 v[129:130], v[119:120], v[8:9]
	v_mul_f64_e32 v[8:9], v[121:122], v[8:9]
	s_delay_alu instid0(VALU_DEP_4) | instskip(NEXT) | instid1(VALU_DEP_4)
	v_fma_f64 v[127:128], v[34:35], v[2:3], -v[127:128]
	v_fma_f64 v[131:132], v[36:37], v[2:3], v[4:5]
	ds_load_b128 v[2:5], v1 offset:944
	scratch_load_b128 v[34:37], off, off offset:480
	v_fma_f64 v[129:130], v[121:122], v[6:7], v[129:130]
	v_fma_f64 v[135:136], v[119:120], v[6:7], -v[8:9]
	ds_load_b128 v[6:9], v1 offset:960
	scratch_load_b128 v[119:122], off, off offset:496
	s_wait_loadcnt_dscnt 0x901
	v_mul_f64_e32 v[133:134], v[2:3], v[12:13]
	v_mul_f64_e32 v[12:13], v[4:5], v[12:13]
	s_wait_loadcnt_dscnt 0x800
	v_mul_f64_e32 v[137:138], v[6:7], v[16:17]
	v_mul_f64_e32 v[16:17], v[8:9], v[16:17]
	v_add_f64_e32 v[127:128], 0, v[127:128]
	v_add_f64_e32 v[131:132], 0, v[131:132]
	v_fma_f64 v[133:134], v[4:5], v[10:11], v[133:134]
	v_fma_f64 v[139:140], v[2:3], v[10:11], -v[12:13]
	ds_load_b128 v[2:5], v1 offset:976
	scratch_load_b128 v[10:13], off, off offset:512
	v_add_f64_e32 v[127:128], v[127:128], v[135:136]
	v_add_f64_e32 v[129:130], v[131:132], v[129:130]
	v_fma_f64 v[135:136], v[8:9], v[14:15], v[137:138]
	v_fma_f64 v[137:138], v[6:7], v[14:15], -v[16:17]
	ds_load_b128 v[6:9], v1 offset:992
	scratch_load_b128 v[14:17], off, off offset:528
	s_wait_loadcnt_dscnt 0x901
	v_mul_f64_e32 v[131:132], v[2:3], v[20:21]
	v_mul_f64_e32 v[20:21], v[4:5], v[20:21]
	v_add_f64_e32 v[127:128], v[127:128], v[139:140]
	v_add_f64_e32 v[129:130], v[129:130], v[133:134]
	s_wait_loadcnt_dscnt 0x800
	v_mul_f64_e32 v[133:134], v[6:7], v[24:25]
	v_mul_f64_e32 v[24:25], v[8:9], v[24:25]
	v_fma_f64 v[131:132], v[4:5], v[18:19], v[131:132]
	v_fma_f64 v[139:140], v[2:3], v[18:19], -v[20:21]
	ds_load_b128 v[2:5], v1 offset:1008
	scratch_load_b128 v[18:21], off, off offset:544
	v_add_f64_e32 v[127:128], v[127:128], v[137:138]
	v_add_f64_e32 v[129:130], v[129:130], v[135:136]
	v_fma_f64 v[133:134], v[8:9], v[22:23], v[133:134]
	v_fma_f64 v[137:138], v[6:7], v[22:23], -v[24:25]
	ds_load_b128 v[6:9], v1 offset:1024
	s_wait_loadcnt_dscnt 0x801
	v_mul_f64_e32 v[135:136], v[2:3], v[28:29]
	v_mul_f64_e32 v[28:29], v[4:5], v[28:29]
	scratch_load_b128 v[22:25], off, off offset:560
	v_add_f64_e32 v[127:128], v[127:128], v[139:140]
	v_add_f64_e32 v[129:130], v[129:130], v[131:132]
	s_wait_loadcnt_dscnt 0x800
	v_mul_f64_e32 v[131:132], v[6:7], v[32:33]
	v_mul_f64_e32 v[32:33], v[8:9], v[32:33]
	v_fma_f64 v[135:136], v[4:5], v[26:27], v[135:136]
	v_fma_f64 v[139:140], v[2:3], v[26:27], -v[28:29]
	ds_load_b128 v[2:5], v1 offset:1040
	scratch_load_b128 v[26:29], off, off offset:576
	v_add_f64_e32 v[127:128], v[127:128], v[137:138]
	v_add_f64_e32 v[129:130], v[129:130], v[133:134]
	v_fma_f64 v[131:132], v[8:9], v[30:31], v[131:132]
	v_fma_f64 v[137:138], v[6:7], v[30:31], -v[32:33]
	ds_load_b128 v[6:9], v1 offset:1056
	s_wait_loadcnt_dscnt 0x801
	v_mul_f64_e32 v[133:134], v[2:3], v[117:118]
	v_mul_f64_e32 v[117:118], v[4:5], v[117:118]
	scratch_load_b128 v[30:33], off, off offset:592
	v_add_f64_e32 v[127:128], v[127:128], v[139:140]
	v_add_f64_e32 v[129:130], v[129:130], v[135:136]
	s_wait_loadcnt_dscnt 0x800
	v_mul_f64_e32 v[135:136], v[6:7], v[125:126]
	v_mul_f64_e32 v[125:126], v[8:9], v[125:126]
	v_fma_f64 v[133:134], v[4:5], v[115:116], v[133:134]
	v_fma_f64 v[139:140], v[2:3], v[115:116], -v[117:118]
	ds_load_b128 v[2:5], v1 offset:1072
	scratch_load_b128 v[115:118], off, off offset:608
	v_add_f64_e32 v[127:128], v[127:128], v[137:138]
	v_add_f64_e32 v[129:130], v[129:130], v[131:132]
	v_fma_f64 v[135:136], v[8:9], v[123:124], v[135:136]
	v_fma_f64 v[123:124], v[6:7], v[123:124], -v[125:126]
	ds_load_b128 v[6:9], v1 offset:1088
	s_wait_loadcnt_dscnt 0x801
	v_mul_f64_e32 v[131:132], v[2:3], v[36:37]
	v_mul_f64_e32 v[36:37], v[4:5], v[36:37]
	v_add_f64_e32 v[125:126], v[127:128], v[139:140]
	v_add_f64_e32 v[127:128], v[129:130], v[133:134]
	s_wait_loadcnt_dscnt 0x700
	v_mul_f64_e32 v[129:130], v[6:7], v[121:122]
	v_mul_f64_e32 v[121:122], v[8:9], v[121:122]
	v_fma_f64 v[131:132], v[4:5], v[34:35], v[131:132]
	v_fma_f64 v[34:35], v[2:3], v[34:35], -v[36:37]
	ds_load_b128 v[2:5], v1 offset:1104
	v_add_f64_e32 v[36:37], v[125:126], v[123:124]
	v_add_f64_e32 v[123:124], v[127:128], v[135:136]
	v_fma_f64 v[127:128], v[8:9], v[119:120], v[129:130]
	v_fma_f64 v[119:120], v[6:7], v[119:120], -v[121:122]
	ds_load_b128 v[6:9], v1 offset:1120
	s_wait_loadcnt_dscnt 0x500
	v_mul_f64_e32 v[129:130], v[6:7], v[16:17]
	v_mul_f64_e32 v[16:17], v[8:9], v[16:17]
	v_add_f64_e32 v[121:122], v[36:37], v[34:35]
	v_add_f64_e32 v[123:124], v[123:124], v[131:132]
	scratch_load_b128 v[34:37], off, off offset:304
	v_mul_f64_e32 v[125:126], v[2:3], v[12:13]
	v_mul_f64_e32 v[12:13], v[4:5], v[12:13]
	s_delay_alu instid0(VALU_DEP_2) | instskip(NEXT) | instid1(VALU_DEP_2)
	v_fma_f64 v[125:126], v[4:5], v[10:11], v[125:126]
	v_fma_f64 v[10:11], v[2:3], v[10:11], -v[12:13]
	v_add_f64_e32 v[12:13], v[121:122], v[119:120]
	v_add_f64_e32 v[119:120], v[123:124], v[127:128]
	ds_load_b128 v[2:5], v1 offset:1136
	v_fma_f64 v[123:124], v[8:9], v[14:15], v[129:130]
	v_fma_f64 v[14:15], v[6:7], v[14:15], -v[16:17]
	ds_load_b128 v[6:9], v1 offset:1152
	s_wait_loadcnt_dscnt 0x501
	v_mul_f64_e32 v[121:122], v[2:3], v[20:21]
	v_mul_f64_e32 v[20:21], v[4:5], v[20:21]
	s_wait_loadcnt_dscnt 0x400
	v_mul_f64_e32 v[16:17], v[6:7], v[24:25]
	v_mul_f64_e32 v[24:25], v[8:9], v[24:25]
	v_add_f64_e32 v[10:11], v[12:13], v[10:11]
	v_add_f64_e32 v[12:13], v[119:120], v[125:126]
	v_fma_f64 v[119:120], v[4:5], v[18:19], v[121:122]
	v_fma_f64 v[18:19], v[2:3], v[18:19], -v[20:21]
	ds_load_b128 v[2:5], v1 offset:1168
	v_fma_f64 v[16:17], v[8:9], v[22:23], v[16:17]
	v_fma_f64 v[22:23], v[6:7], v[22:23], -v[24:25]
	ds_load_b128 v[6:9], v1 offset:1184
	v_add_f64_e32 v[10:11], v[10:11], v[14:15]
	v_add_f64_e32 v[12:13], v[12:13], v[123:124]
	s_wait_loadcnt_dscnt 0x301
	v_mul_f64_e32 v[14:15], v[2:3], v[28:29]
	v_mul_f64_e32 v[20:21], v[4:5], v[28:29]
	s_wait_loadcnt_dscnt 0x200
	v_mul_f64_e32 v[24:25], v[8:9], v[32:33]
	v_add_f64_e32 v[10:11], v[10:11], v[18:19]
	v_add_f64_e32 v[12:13], v[12:13], v[119:120]
	v_mul_f64_e32 v[18:19], v[6:7], v[32:33]
	v_fma_f64 v[14:15], v[4:5], v[26:27], v[14:15]
	v_fma_f64 v[20:21], v[2:3], v[26:27], -v[20:21]
	ds_load_b128 v[2:5], v1 offset:1200
	v_fma_f64 v[6:7], v[6:7], v[30:31], -v[24:25]
	v_add_f64_e32 v[10:11], v[10:11], v[22:23]
	v_add_f64_e32 v[12:13], v[12:13], v[16:17]
	s_wait_loadcnt_dscnt 0x100
	v_mul_f64_e32 v[16:17], v[2:3], v[117:118]
	v_mul_f64_e32 v[22:23], v[4:5], v[117:118]
	v_fma_f64 v[8:9], v[8:9], v[30:31], v[18:19]
	v_add_f64_e32 v[10:11], v[10:11], v[20:21]
	v_add_f64_e32 v[12:13], v[12:13], v[14:15]
	v_fma_f64 v[4:5], v[4:5], v[115:116], v[16:17]
	v_fma_f64 v[2:3], v[2:3], v[115:116], -v[22:23]
	s_delay_alu instid0(VALU_DEP_4) | instskip(NEXT) | instid1(VALU_DEP_4)
	v_add_f64_e32 v[6:7], v[10:11], v[6:7]
	v_add_f64_e32 v[8:9], v[12:13], v[8:9]
	s_delay_alu instid0(VALU_DEP_2) | instskip(NEXT) | instid1(VALU_DEP_2)
	v_add_f64_e32 v[2:3], v[6:7], v[2:3]
	v_add_f64_e32 v[4:5], v[8:9], v[4:5]
	s_wait_loadcnt 0x0
	s_delay_alu instid0(VALU_DEP_2) | instskip(NEXT) | instid1(VALU_DEP_2)
	v_add_f64_e64 v[2:3], v[34:35], -v[2:3]
	v_add_f64_e64 v[4:5], v[36:37], -v[4:5]
	scratch_store_b128 off, v[2:5], off offset:304
	v_cmpx_lt_u32_e32 17, v0
	s_cbranch_execz .LBB37_207
; %bb.206:
	scratch_load_b128 v[5:8], off, s15
	v_dual_mov_b32 v2, v1 :: v_dual_mov_b32 v3, v1
	v_mov_b32_e32 v4, v1
	scratch_store_b128 off, v[1:4], off offset:288
	s_wait_loadcnt 0x0
	ds_store_b128 v114, v[5:8]
.LBB37_207:
	s_wait_alu 0xfffe
	s_or_b32 exec_lo, exec_lo, s0
	s_wait_storecnt_dscnt 0x0
	s_barrier_signal -1
	s_barrier_wait -1
	global_inv scope:SCOPE_SE
	s_clause 0x7
	scratch_load_b128 v[2:5], off, off offset:304
	scratch_load_b128 v[6:9], off, off offset:320
	;; [unrolled: 1-line block ×8, first 2 shown]
	ds_load_b128 v[34:37], v1 offset:896
	ds_load_b128 v[119:122], v1 offset:912
	s_clause 0x1
	scratch_load_b128 v[115:118], off, off offset:432
	scratch_load_b128 v[123:126], off, off offset:448
	s_mov_b32 s0, exec_lo
	s_wait_loadcnt_dscnt 0x901
	v_mul_f64_e32 v[127:128], v[36:37], v[4:5]
	v_mul_f64_e32 v[4:5], v[34:35], v[4:5]
	s_wait_loadcnt_dscnt 0x800
	v_mul_f64_e32 v[129:130], v[119:120], v[8:9]
	v_mul_f64_e32 v[8:9], v[121:122], v[8:9]
	s_delay_alu instid0(VALU_DEP_4) | instskip(NEXT) | instid1(VALU_DEP_4)
	v_fma_f64 v[127:128], v[34:35], v[2:3], -v[127:128]
	v_fma_f64 v[131:132], v[36:37], v[2:3], v[4:5]
	ds_load_b128 v[2:5], v1 offset:928
	scratch_load_b128 v[34:37], off, off offset:464
	v_fma_f64 v[129:130], v[121:122], v[6:7], v[129:130]
	v_fma_f64 v[135:136], v[119:120], v[6:7], -v[8:9]
	ds_load_b128 v[6:9], v1 offset:944
	scratch_load_b128 v[119:122], off, off offset:480
	s_wait_loadcnt_dscnt 0x901
	v_mul_f64_e32 v[133:134], v[2:3], v[12:13]
	v_mul_f64_e32 v[12:13], v[4:5], v[12:13]
	s_wait_loadcnt_dscnt 0x800
	v_mul_f64_e32 v[137:138], v[6:7], v[16:17]
	v_mul_f64_e32 v[16:17], v[8:9], v[16:17]
	v_add_f64_e32 v[127:128], 0, v[127:128]
	v_add_f64_e32 v[131:132], 0, v[131:132]
	v_fma_f64 v[133:134], v[4:5], v[10:11], v[133:134]
	v_fma_f64 v[139:140], v[2:3], v[10:11], -v[12:13]
	scratch_load_b128 v[10:13], off, off offset:496
	ds_load_b128 v[2:5], v1 offset:960
	v_add_f64_e32 v[127:128], v[127:128], v[135:136]
	v_add_f64_e32 v[129:130], v[131:132], v[129:130]
	v_fma_f64 v[135:136], v[8:9], v[14:15], v[137:138]
	v_fma_f64 v[137:138], v[6:7], v[14:15], -v[16:17]
	ds_load_b128 v[6:9], v1 offset:976
	scratch_load_b128 v[14:17], off, off offset:512
	s_wait_loadcnt_dscnt 0x901
	v_mul_f64_e32 v[131:132], v[2:3], v[20:21]
	v_mul_f64_e32 v[20:21], v[4:5], v[20:21]
	v_add_f64_e32 v[127:128], v[127:128], v[139:140]
	v_add_f64_e32 v[129:130], v[129:130], v[133:134]
	s_wait_loadcnt_dscnt 0x800
	v_mul_f64_e32 v[133:134], v[6:7], v[24:25]
	v_mul_f64_e32 v[24:25], v[8:9], v[24:25]
	v_fma_f64 v[131:132], v[4:5], v[18:19], v[131:132]
	v_fma_f64 v[139:140], v[2:3], v[18:19], -v[20:21]
	ds_load_b128 v[2:5], v1 offset:992
	scratch_load_b128 v[18:21], off, off offset:528
	v_add_f64_e32 v[127:128], v[127:128], v[137:138]
	v_add_f64_e32 v[129:130], v[129:130], v[135:136]
	v_fma_f64 v[133:134], v[8:9], v[22:23], v[133:134]
	v_fma_f64 v[137:138], v[6:7], v[22:23], -v[24:25]
	ds_load_b128 v[6:9], v1 offset:1008
	s_wait_loadcnt_dscnt 0x801
	v_mul_f64_e32 v[135:136], v[2:3], v[28:29]
	v_mul_f64_e32 v[28:29], v[4:5], v[28:29]
	scratch_load_b128 v[22:25], off, off offset:544
	v_add_f64_e32 v[127:128], v[127:128], v[139:140]
	v_add_f64_e32 v[129:130], v[129:130], v[131:132]
	s_wait_loadcnt_dscnt 0x800
	v_mul_f64_e32 v[131:132], v[6:7], v[32:33]
	v_mul_f64_e32 v[32:33], v[8:9], v[32:33]
	v_fma_f64 v[135:136], v[4:5], v[26:27], v[135:136]
	v_fma_f64 v[139:140], v[2:3], v[26:27], -v[28:29]
	ds_load_b128 v[2:5], v1 offset:1024
	scratch_load_b128 v[26:29], off, off offset:560
	v_add_f64_e32 v[127:128], v[127:128], v[137:138]
	v_add_f64_e32 v[129:130], v[129:130], v[133:134]
	v_fma_f64 v[131:132], v[8:9], v[30:31], v[131:132]
	v_fma_f64 v[137:138], v[6:7], v[30:31], -v[32:33]
	ds_load_b128 v[6:9], v1 offset:1040
	s_wait_loadcnt_dscnt 0x801
	v_mul_f64_e32 v[133:134], v[2:3], v[117:118]
	v_mul_f64_e32 v[117:118], v[4:5], v[117:118]
	scratch_load_b128 v[30:33], off, off offset:576
	v_add_f64_e32 v[127:128], v[127:128], v[139:140]
	v_add_f64_e32 v[129:130], v[129:130], v[135:136]
	s_wait_loadcnt_dscnt 0x800
	v_mul_f64_e32 v[135:136], v[6:7], v[125:126]
	v_mul_f64_e32 v[125:126], v[8:9], v[125:126]
	v_fma_f64 v[133:134], v[4:5], v[115:116], v[133:134]
	v_fma_f64 v[139:140], v[2:3], v[115:116], -v[117:118]
	ds_load_b128 v[2:5], v1 offset:1056
	scratch_load_b128 v[115:118], off, off offset:592
	v_add_f64_e32 v[127:128], v[127:128], v[137:138]
	v_add_f64_e32 v[129:130], v[129:130], v[131:132]
	v_fma_f64 v[135:136], v[8:9], v[123:124], v[135:136]
	v_fma_f64 v[137:138], v[6:7], v[123:124], -v[125:126]
	ds_load_b128 v[6:9], v1 offset:1072
	scratch_load_b128 v[123:126], off, off offset:608
	s_wait_loadcnt_dscnt 0x901
	v_mul_f64_e32 v[131:132], v[2:3], v[36:37]
	v_mul_f64_e32 v[36:37], v[4:5], v[36:37]
	v_add_f64_e32 v[127:128], v[127:128], v[139:140]
	v_add_f64_e32 v[129:130], v[129:130], v[133:134]
	s_delay_alu instid0(VALU_DEP_4) | instskip(NEXT) | instid1(VALU_DEP_4)
	v_fma_f64 v[131:132], v[4:5], v[34:35], v[131:132]
	v_fma_f64 v[34:35], v[2:3], v[34:35], -v[36:37]
	ds_load_b128 v[2:5], v1 offset:1088
	v_add_f64_e32 v[36:37], v[127:128], v[137:138]
	v_add_f64_e32 v[127:128], v[129:130], v[135:136]
	s_wait_loadcnt_dscnt 0x700
	v_mul_f64_e32 v[129:130], v[2:3], v[12:13]
	v_mul_f64_e32 v[12:13], v[4:5], v[12:13]
	s_delay_alu instid0(VALU_DEP_4) | instskip(NEXT) | instid1(VALU_DEP_4)
	v_add_f64_e32 v[34:35], v[36:37], v[34:35]
	v_add_f64_e32 v[36:37], v[127:128], v[131:132]
	s_delay_alu instid0(VALU_DEP_4) | instskip(NEXT) | instid1(VALU_DEP_4)
	v_fma_f64 v[127:128], v[4:5], v[10:11], v[129:130]
	v_fma_f64 v[129:130], v[2:3], v[10:11], -v[12:13]
	scratch_load_b128 v[10:13], off, off offset:288
	v_mul_f64_e32 v[133:134], v[6:7], v[121:122]
	v_mul_f64_e32 v[121:122], v[8:9], v[121:122]
	ds_load_b128 v[2:5], v1 offset:1120
	v_fma_f64 v[133:134], v[8:9], v[119:120], v[133:134]
	v_fma_f64 v[119:120], v[6:7], v[119:120], -v[121:122]
	ds_load_b128 v[6:9], v1 offset:1104
	s_wait_loadcnt_dscnt 0x700
	v_mul_f64_e32 v[121:122], v[6:7], v[16:17]
	v_mul_f64_e32 v[16:17], v[8:9], v[16:17]
	v_add_f64_e32 v[36:37], v[36:37], v[133:134]
	v_add_f64_e32 v[34:35], v[34:35], v[119:120]
	s_wait_loadcnt 0x6
	v_mul_f64_e32 v[119:120], v[2:3], v[20:21]
	v_mul_f64_e32 v[20:21], v[4:5], v[20:21]
	v_fma_f64 v[121:122], v[8:9], v[14:15], v[121:122]
	v_fma_f64 v[14:15], v[6:7], v[14:15], -v[16:17]
	ds_load_b128 v[6:9], v1 offset:1136
	v_add_f64_e32 v[16:17], v[34:35], v[129:130]
	v_add_f64_e32 v[34:35], v[36:37], v[127:128]
	v_fma_f64 v[119:120], v[4:5], v[18:19], v[119:120]
	v_fma_f64 v[18:19], v[2:3], v[18:19], -v[20:21]
	ds_load_b128 v[2:5], v1 offset:1152
	s_wait_loadcnt_dscnt 0x501
	v_mul_f64_e32 v[36:37], v[6:7], v[24:25]
	v_mul_f64_e32 v[24:25], v[8:9], v[24:25]
	s_wait_loadcnt_dscnt 0x400
	v_mul_f64_e32 v[20:21], v[2:3], v[28:29]
	v_mul_f64_e32 v[28:29], v[4:5], v[28:29]
	v_add_f64_e32 v[14:15], v[16:17], v[14:15]
	v_add_f64_e32 v[16:17], v[34:35], v[121:122]
	v_fma_f64 v[34:35], v[8:9], v[22:23], v[36:37]
	v_fma_f64 v[22:23], v[6:7], v[22:23], -v[24:25]
	ds_load_b128 v[6:9], v1 offset:1168
	v_fma_f64 v[20:21], v[4:5], v[26:27], v[20:21]
	v_fma_f64 v[26:27], v[2:3], v[26:27], -v[28:29]
	ds_load_b128 v[2:5], v1 offset:1184
	s_wait_loadcnt_dscnt 0x301
	v_mul_f64_e32 v[24:25], v[8:9], v[32:33]
	v_add_f64_e32 v[14:15], v[14:15], v[18:19]
	v_add_f64_e32 v[16:17], v[16:17], v[119:120]
	v_mul_f64_e32 v[18:19], v[6:7], v[32:33]
	s_wait_loadcnt_dscnt 0x200
	v_mul_f64_e32 v[28:29], v[4:5], v[117:118]
	v_fma_f64 v[24:25], v[6:7], v[30:31], -v[24:25]
	v_add_f64_e32 v[14:15], v[14:15], v[22:23]
	v_add_f64_e32 v[16:17], v[16:17], v[34:35]
	v_mul_f64_e32 v[22:23], v[2:3], v[117:118]
	v_fma_f64 v[18:19], v[8:9], v[30:31], v[18:19]
	ds_load_b128 v[6:9], v1 offset:1200
	v_fma_f64 v[1:2], v[2:3], v[115:116], -v[28:29]
	v_add_f64_e32 v[14:15], v[14:15], v[26:27]
	v_add_f64_e32 v[16:17], v[16:17], v[20:21]
	s_wait_loadcnt_dscnt 0x100
	v_mul_f64_e32 v[20:21], v[6:7], v[125:126]
	v_mul_f64_e32 v[26:27], v[8:9], v[125:126]
	v_fma_f64 v[4:5], v[4:5], v[115:116], v[22:23]
	v_add_f64_e32 v[14:15], v[14:15], v[24:25]
	v_add_f64_e32 v[16:17], v[16:17], v[18:19]
	v_fma_f64 v[8:9], v[8:9], v[123:124], v[20:21]
	v_fma_f64 v[6:7], v[6:7], v[123:124], -v[26:27]
	s_delay_alu instid0(VALU_DEP_4) | instskip(NEXT) | instid1(VALU_DEP_4)
	v_add_f64_e32 v[1:2], v[14:15], v[1:2]
	v_add_f64_e32 v[3:4], v[16:17], v[4:5]
	s_delay_alu instid0(VALU_DEP_2) | instskip(NEXT) | instid1(VALU_DEP_2)
	v_add_f64_e32 v[1:2], v[1:2], v[6:7]
	v_add_f64_e32 v[3:4], v[3:4], v[8:9]
	s_wait_loadcnt 0x0
	s_delay_alu instid0(VALU_DEP_2) | instskip(NEXT) | instid1(VALU_DEP_2)
	v_add_f64_e64 v[1:2], v[10:11], -v[1:2]
	v_add_f64_e64 v[3:4], v[12:13], -v[3:4]
	scratch_store_b128 off, v[1:4], off offset:288
	v_cmpx_lt_u32_e32 16, v0
	s_cbranch_execz .LBB37_209
; %bb.208:
	scratch_load_b128 v[1:4], off, s21
	v_mov_b32_e32 v5, 0
	s_delay_alu instid0(VALU_DEP_1)
	v_dual_mov_b32 v6, v5 :: v_dual_mov_b32 v7, v5
	v_mov_b32_e32 v8, v5
	scratch_store_b128 off, v[5:8], off offset:272
	s_wait_loadcnt 0x0
	ds_store_b128 v114, v[1:4]
.LBB37_209:
	s_wait_alu 0xfffe
	s_or_b32 exec_lo, exec_lo, s0
	s_wait_storecnt_dscnt 0x0
	s_barrier_signal -1
	s_barrier_wait -1
	global_inv scope:SCOPE_SE
	s_clause 0x7
	scratch_load_b128 v[2:5], off, off offset:288
	scratch_load_b128 v[6:9], off, off offset:304
	scratch_load_b128 v[10:13], off, off offset:320
	scratch_load_b128 v[14:17], off, off offset:336
	scratch_load_b128 v[18:21], off, off offset:352
	scratch_load_b128 v[22:25], off, off offset:368
	scratch_load_b128 v[26:29], off, off offset:384
	scratch_load_b128 v[30:33], off, off offset:400
	v_mov_b32_e32 v1, 0
	s_clause 0x1
	scratch_load_b128 v[115:118], off, off offset:416
	scratch_load_b128 v[123:126], off, off offset:432
	s_mov_b32 s0, exec_lo
	ds_load_b128 v[34:37], v1 offset:880
	ds_load_b128 v[119:122], v1 offset:896
	s_wait_loadcnt_dscnt 0x901
	v_mul_f64_e32 v[127:128], v[36:37], v[4:5]
	v_mul_f64_e32 v[4:5], v[34:35], v[4:5]
	s_wait_loadcnt_dscnt 0x800
	v_mul_f64_e32 v[129:130], v[119:120], v[8:9]
	v_mul_f64_e32 v[8:9], v[121:122], v[8:9]
	s_delay_alu instid0(VALU_DEP_4) | instskip(NEXT) | instid1(VALU_DEP_4)
	v_fma_f64 v[127:128], v[34:35], v[2:3], -v[127:128]
	v_fma_f64 v[131:132], v[36:37], v[2:3], v[4:5]
	ds_load_b128 v[2:5], v1 offset:912
	scratch_load_b128 v[34:37], off, off offset:448
	v_fma_f64 v[129:130], v[121:122], v[6:7], v[129:130]
	v_fma_f64 v[135:136], v[119:120], v[6:7], -v[8:9]
	ds_load_b128 v[6:9], v1 offset:928
	scratch_load_b128 v[119:122], off, off offset:464
	s_wait_loadcnt_dscnt 0x901
	v_mul_f64_e32 v[133:134], v[2:3], v[12:13]
	v_mul_f64_e32 v[12:13], v[4:5], v[12:13]
	s_wait_loadcnt_dscnt 0x800
	v_mul_f64_e32 v[137:138], v[6:7], v[16:17]
	v_mul_f64_e32 v[16:17], v[8:9], v[16:17]
	v_add_f64_e32 v[127:128], 0, v[127:128]
	v_add_f64_e32 v[131:132], 0, v[131:132]
	v_fma_f64 v[133:134], v[4:5], v[10:11], v[133:134]
	v_fma_f64 v[139:140], v[2:3], v[10:11], -v[12:13]
	ds_load_b128 v[2:5], v1 offset:944
	scratch_load_b128 v[10:13], off, off offset:480
	v_add_f64_e32 v[127:128], v[127:128], v[135:136]
	v_add_f64_e32 v[129:130], v[131:132], v[129:130]
	v_fma_f64 v[135:136], v[8:9], v[14:15], v[137:138]
	v_fma_f64 v[137:138], v[6:7], v[14:15], -v[16:17]
	ds_load_b128 v[6:9], v1 offset:960
	scratch_load_b128 v[14:17], off, off offset:496
	s_wait_loadcnt_dscnt 0x901
	v_mul_f64_e32 v[131:132], v[2:3], v[20:21]
	v_mul_f64_e32 v[20:21], v[4:5], v[20:21]
	v_add_f64_e32 v[127:128], v[127:128], v[139:140]
	v_add_f64_e32 v[129:130], v[129:130], v[133:134]
	s_wait_loadcnt_dscnt 0x800
	v_mul_f64_e32 v[133:134], v[6:7], v[24:25]
	v_mul_f64_e32 v[24:25], v[8:9], v[24:25]
	v_fma_f64 v[131:132], v[4:5], v[18:19], v[131:132]
	v_fma_f64 v[139:140], v[2:3], v[18:19], -v[20:21]
	ds_load_b128 v[2:5], v1 offset:976
	scratch_load_b128 v[18:21], off, off offset:512
	v_add_f64_e32 v[127:128], v[127:128], v[137:138]
	v_add_f64_e32 v[129:130], v[129:130], v[135:136]
	v_fma_f64 v[133:134], v[8:9], v[22:23], v[133:134]
	v_fma_f64 v[137:138], v[6:7], v[22:23], -v[24:25]
	ds_load_b128 v[6:9], v1 offset:992
	s_wait_loadcnt_dscnt 0x801
	v_mul_f64_e32 v[135:136], v[2:3], v[28:29]
	v_mul_f64_e32 v[28:29], v[4:5], v[28:29]
	scratch_load_b128 v[22:25], off, off offset:528
	v_add_f64_e32 v[127:128], v[127:128], v[139:140]
	v_add_f64_e32 v[129:130], v[129:130], v[131:132]
	s_wait_loadcnt_dscnt 0x800
	v_mul_f64_e32 v[131:132], v[6:7], v[32:33]
	v_mul_f64_e32 v[32:33], v[8:9], v[32:33]
	v_fma_f64 v[135:136], v[4:5], v[26:27], v[135:136]
	v_fma_f64 v[139:140], v[2:3], v[26:27], -v[28:29]
	ds_load_b128 v[2:5], v1 offset:1008
	scratch_load_b128 v[26:29], off, off offset:544
	v_add_f64_e32 v[127:128], v[127:128], v[137:138]
	v_add_f64_e32 v[129:130], v[129:130], v[133:134]
	v_fma_f64 v[131:132], v[8:9], v[30:31], v[131:132]
	v_fma_f64 v[137:138], v[6:7], v[30:31], -v[32:33]
	ds_load_b128 v[6:9], v1 offset:1024
	s_wait_loadcnt_dscnt 0x801
	v_mul_f64_e32 v[133:134], v[2:3], v[117:118]
	v_mul_f64_e32 v[117:118], v[4:5], v[117:118]
	scratch_load_b128 v[30:33], off, off offset:560
	v_add_f64_e32 v[127:128], v[127:128], v[139:140]
	v_add_f64_e32 v[129:130], v[129:130], v[135:136]
	s_wait_loadcnt_dscnt 0x800
	v_mul_f64_e32 v[135:136], v[6:7], v[125:126]
	v_mul_f64_e32 v[125:126], v[8:9], v[125:126]
	v_fma_f64 v[133:134], v[4:5], v[115:116], v[133:134]
	v_fma_f64 v[139:140], v[2:3], v[115:116], -v[117:118]
	ds_load_b128 v[2:5], v1 offset:1040
	scratch_load_b128 v[115:118], off, off offset:576
	v_add_f64_e32 v[127:128], v[127:128], v[137:138]
	v_add_f64_e32 v[129:130], v[129:130], v[131:132]
	v_fma_f64 v[135:136], v[8:9], v[123:124], v[135:136]
	v_fma_f64 v[137:138], v[6:7], v[123:124], -v[125:126]
	ds_load_b128 v[6:9], v1 offset:1056
	scratch_load_b128 v[123:126], off, off offset:592
	s_wait_loadcnt_dscnt 0x901
	v_mul_f64_e32 v[131:132], v[2:3], v[36:37]
	v_mul_f64_e32 v[36:37], v[4:5], v[36:37]
	v_add_f64_e32 v[127:128], v[127:128], v[139:140]
	v_add_f64_e32 v[129:130], v[129:130], v[133:134]
	s_wait_loadcnt_dscnt 0x800
	v_mul_f64_e32 v[133:134], v[6:7], v[121:122]
	v_mul_f64_e32 v[121:122], v[8:9], v[121:122]
	v_fma_f64 v[131:132], v[4:5], v[34:35], v[131:132]
	v_fma_f64 v[139:140], v[2:3], v[34:35], -v[36:37]
	ds_load_b128 v[2:5], v1 offset:1072
	scratch_load_b128 v[34:37], off, off offset:608
	v_add_f64_e32 v[127:128], v[127:128], v[137:138]
	v_add_f64_e32 v[129:130], v[129:130], v[135:136]
	v_fma_f64 v[133:134], v[8:9], v[119:120], v[133:134]
	v_fma_f64 v[119:120], v[6:7], v[119:120], -v[121:122]
	ds_load_b128 v[6:9], v1 offset:1088
	s_wait_loadcnt_dscnt 0x801
	v_mul_f64_e32 v[135:136], v[2:3], v[12:13]
	v_mul_f64_e32 v[12:13], v[4:5], v[12:13]
	v_add_f64_e32 v[121:122], v[127:128], v[139:140]
	v_add_f64_e32 v[127:128], v[129:130], v[131:132]
	s_wait_loadcnt_dscnt 0x700
	v_mul_f64_e32 v[129:130], v[6:7], v[16:17]
	v_mul_f64_e32 v[16:17], v[8:9], v[16:17]
	v_fma_f64 v[131:132], v[4:5], v[10:11], v[135:136]
	v_fma_f64 v[10:11], v[2:3], v[10:11], -v[12:13]
	ds_load_b128 v[2:5], v1 offset:1104
	v_add_f64_e32 v[12:13], v[121:122], v[119:120]
	v_add_f64_e32 v[119:120], v[127:128], v[133:134]
	v_fma_f64 v[127:128], v[8:9], v[14:15], v[129:130]
	v_fma_f64 v[14:15], v[6:7], v[14:15], -v[16:17]
	ds_load_b128 v[6:9], v1 offset:1120
	s_wait_loadcnt_dscnt 0x500
	v_mul_f64_e32 v[129:130], v[6:7], v[24:25]
	v_mul_f64_e32 v[24:25], v[8:9], v[24:25]
	v_add_f64_e32 v[16:17], v[12:13], v[10:11]
	v_add_f64_e32 v[119:120], v[119:120], v[131:132]
	scratch_load_b128 v[10:13], off, off offset:272
	v_mul_f64_e32 v[121:122], v[2:3], v[20:21]
	v_mul_f64_e32 v[20:21], v[4:5], v[20:21]
	v_add_f64_e32 v[14:15], v[16:17], v[14:15]
	v_add_f64_e32 v[16:17], v[119:120], v[127:128]
	v_fma_f64 v[119:120], v[8:9], v[22:23], v[129:130]
	v_fma_f64 v[121:122], v[4:5], v[18:19], v[121:122]
	v_fma_f64 v[18:19], v[2:3], v[18:19], -v[20:21]
	ds_load_b128 v[2:5], v1 offset:1136
	v_fma_f64 v[22:23], v[6:7], v[22:23], -v[24:25]
	ds_load_b128 v[6:9], v1 offset:1152
	s_wait_loadcnt_dscnt 0x501
	v_mul_f64_e32 v[20:21], v[2:3], v[28:29]
	v_mul_f64_e32 v[28:29], v[4:5], v[28:29]
	s_wait_loadcnt_dscnt 0x400
	v_mul_f64_e32 v[24:25], v[8:9], v[32:33]
	v_add_f64_e32 v[16:17], v[16:17], v[121:122]
	v_add_f64_e32 v[14:15], v[14:15], v[18:19]
	v_mul_f64_e32 v[18:19], v[6:7], v[32:33]
	v_fma_f64 v[20:21], v[4:5], v[26:27], v[20:21]
	v_fma_f64 v[26:27], v[2:3], v[26:27], -v[28:29]
	ds_load_b128 v[2:5], v1 offset:1168
	v_fma_f64 v[24:25], v[6:7], v[30:31], -v[24:25]
	v_add_f64_e32 v[16:17], v[16:17], v[119:120]
	v_add_f64_e32 v[14:15], v[14:15], v[22:23]
	v_fma_f64 v[18:19], v[8:9], v[30:31], v[18:19]
	ds_load_b128 v[6:9], v1 offset:1184
	s_wait_loadcnt_dscnt 0x301
	v_mul_f64_e32 v[22:23], v[2:3], v[117:118]
	v_mul_f64_e32 v[28:29], v[4:5], v[117:118]
	v_add_f64_e32 v[16:17], v[16:17], v[20:21]
	v_add_f64_e32 v[14:15], v[14:15], v[26:27]
	s_wait_loadcnt_dscnt 0x200
	v_mul_f64_e32 v[20:21], v[6:7], v[125:126]
	v_mul_f64_e32 v[26:27], v[8:9], v[125:126]
	v_fma_f64 v[22:23], v[4:5], v[115:116], v[22:23]
	v_fma_f64 v[28:29], v[2:3], v[115:116], -v[28:29]
	ds_load_b128 v[2:5], v1 offset:1200
	v_add_f64_e32 v[16:17], v[16:17], v[18:19]
	v_add_f64_e32 v[14:15], v[14:15], v[24:25]
	s_wait_loadcnt_dscnt 0x100
	v_mul_f64_e32 v[18:19], v[2:3], v[36:37]
	v_mul_f64_e32 v[24:25], v[4:5], v[36:37]
	v_fma_f64 v[8:9], v[8:9], v[123:124], v[20:21]
	v_fma_f64 v[6:7], v[6:7], v[123:124], -v[26:27]
	v_add_f64_e32 v[16:17], v[16:17], v[22:23]
	v_add_f64_e32 v[14:15], v[14:15], v[28:29]
	v_fma_f64 v[4:5], v[4:5], v[34:35], v[18:19]
	v_fma_f64 v[2:3], v[2:3], v[34:35], -v[24:25]
	s_delay_alu instid0(VALU_DEP_4) | instskip(NEXT) | instid1(VALU_DEP_4)
	v_add_f64_e32 v[8:9], v[16:17], v[8:9]
	v_add_f64_e32 v[6:7], v[14:15], v[6:7]
	s_delay_alu instid0(VALU_DEP_2) | instskip(NEXT) | instid1(VALU_DEP_2)
	v_add_f64_e32 v[4:5], v[8:9], v[4:5]
	v_add_f64_e32 v[2:3], v[6:7], v[2:3]
	s_wait_loadcnt 0x0
	s_delay_alu instid0(VALU_DEP_2) | instskip(NEXT) | instid1(VALU_DEP_2)
	v_add_f64_e64 v[4:5], v[12:13], -v[4:5]
	v_add_f64_e64 v[2:3], v[10:11], -v[2:3]
	scratch_store_b128 off, v[2:5], off offset:272
	v_cmpx_lt_u32_e32 15, v0
	s_cbranch_execz .LBB37_211
; %bb.210:
	scratch_load_b128 v[5:8], off, s20
	v_dual_mov_b32 v2, v1 :: v_dual_mov_b32 v3, v1
	v_mov_b32_e32 v4, v1
	scratch_store_b128 off, v[1:4], off offset:256
	s_wait_loadcnt 0x0
	ds_store_b128 v114, v[5:8]
.LBB37_211:
	s_wait_alu 0xfffe
	s_or_b32 exec_lo, exec_lo, s0
	s_wait_storecnt_dscnt 0x0
	s_barrier_signal -1
	s_barrier_wait -1
	global_inv scope:SCOPE_SE
	s_clause 0x7
	scratch_load_b128 v[2:5], off, off offset:272
	scratch_load_b128 v[6:9], off, off offset:288
	scratch_load_b128 v[10:13], off, off offset:304
	scratch_load_b128 v[14:17], off, off offset:320
	scratch_load_b128 v[18:21], off, off offset:336
	scratch_load_b128 v[22:25], off, off offset:352
	scratch_load_b128 v[26:29], off, off offset:368
	scratch_load_b128 v[30:33], off, off offset:384
	ds_load_b128 v[34:37], v1 offset:864
	ds_load_b128 v[119:122], v1 offset:880
	s_clause 0x1
	scratch_load_b128 v[115:118], off, off offset:400
	scratch_load_b128 v[123:126], off, off offset:416
	s_mov_b32 s0, exec_lo
	s_wait_loadcnt_dscnt 0x901
	v_mul_f64_e32 v[127:128], v[36:37], v[4:5]
	v_mul_f64_e32 v[4:5], v[34:35], v[4:5]
	s_wait_loadcnt_dscnt 0x800
	v_mul_f64_e32 v[129:130], v[119:120], v[8:9]
	v_mul_f64_e32 v[8:9], v[121:122], v[8:9]
	s_delay_alu instid0(VALU_DEP_4) | instskip(NEXT) | instid1(VALU_DEP_4)
	v_fma_f64 v[127:128], v[34:35], v[2:3], -v[127:128]
	v_fma_f64 v[131:132], v[36:37], v[2:3], v[4:5]
	ds_load_b128 v[2:5], v1 offset:896
	scratch_load_b128 v[34:37], off, off offset:432
	v_fma_f64 v[129:130], v[121:122], v[6:7], v[129:130]
	v_fma_f64 v[135:136], v[119:120], v[6:7], -v[8:9]
	ds_load_b128 v[6:9], v1 offset:912
	scratch_load_b128 v[119:122], off, off offset:448
	s_wait_loadcnt_dscnt 0x901
	v_mul_f64_e32 v[133:134], v[2:3], v[12:13]
	v_mul_f64_e32 v[12:13], v[4:5], v[12:13]
	s_wait_loadcnt_dscnt 0x800
	v_mul_f64_e32 v[137:138], v[6:7], v[16:17]
	v_mul_f64_e32 v[16:17], v[8:9], v[16:17]
	v_add_f64_e32 v[127:128], 0, v[127:128]
	v_add_f64_e32 v[131:132], 0, v[131:132]
	v_fma_f64 v[133:134], v[4:5], v[10:11], v[133:134]
	v_fma_f64 v[139:140], v[2:3], v[10:11], -v[12:13]
	ds_load_b128 v[2:5], v1 offset:928
	scratch_load_b128 v[10:13], off, off offset:464
	v_add_f64_e32 v[127:128], v[127:128], v[135:136]
	v_add_f64_e32 v[129:130], v[131:132], v[129:130]
	v_fma_f64 v[135:136], v[8:9], v[14:15], v[137:138]
	v_fma_f64 v[137:138], v[6:7], v[14:15], -v[16:17]
	ds_load_b128 v[6:9], v1 offset:944
	scratch_load_b128 v[14:17], off, off offset:480
	s_wait_loadcnt_dscnt 0x901
	v_mul_f64_e32 v[131:132], v[2:3], v[20:21]
	v_mul_f64_e32 v[20:21], v[4:5], v[20:21]
	v_add_f64_e32 v[127:128], v[127:128], v[139:140]
	v_add_f64_e32 v[129:130], v[129:130], v[133:134]
	s_wait_loadcnt_dscnt 0x800
	v_mul_f64_e32 v[133:134], v[6:7], v[24:25]
	v_mul_f64_e32 v[24:25], v[8:9], v[24:25]
	v_fma_f64 v[131:132], v[4:5], v[18:19], v[131:132]
	v_fma_f64 v[139:140], v[2:3], v[18:19], -v[20:21]
	ds_load_b128 v[2:5], v1 offset:960
	scratch_load_b128 v[18:21], off, off offset:496
	v_add_f64_e32 v[127:128], v[127:128], v[137:138]
	v_add_f64_e32 v[129:130], v[129:130], v[135:136]
	v_fma_f64 v[133:134], v[8:9], v[22:23], v[133:134]
	v_fma_f64 v[137:138], v[6:7], v[22:23], -v[24:25]
	ds_load_b128 v[6:9], v1 offset:976
	s_wait_loadcnt_dscnt 0x801
	v_mul_f64_e32 v[135:136], v[2:3], v[28:29]
	v_mul_f64_e32 v[28:29], v[4:5], v[28:29]
	scratch_load_b128 v[22:25], off, off offset:512
	v_add_f64_e32 v[127:128], v[127:128], v[139:140]
	v_add_f64_e32 v[129:130], v[129:130], v[131:132]
	s_wait_loadcnt_dscnt 0x800
	v_mul_f64_e32 v[131:132], v[6:7], v[32:33]
	v_mul_f64_e32 v[32:33], v[8:9], v[32:33]
	v_fma_f64 v[135:136], v[4:5], v[26:27], v[135:136]
	v_fma_f64 v[139:140], v[2:3], v[26:27], -v[28:29]
	ds_load_b128 v[2:5], v1 offset:992
	scratch_load_b128 v[26:29], off, off offset:528
	v_add_f64_e32 v[127:128], v[127:128], v[137:138]
	v_add_f64_e32 v[129:130], v[129:130], v[133:134]
	v_fma_f64 v[131:132], v[8:9], v[30:31], v[131:132]
	v_fma_f64 v[137:138], v[6:7], v[30:31], -v[32:33]
	ds_load_b128 v[6:9], v1 offset:1008
	s_wait_loadcnt_dscnt 0x801
	v_mul_f64_e32 v[133:134], v[2:3], v[117:118]
	v_mul_f64_e32 v[117:118], v[4:5], v[117:118]
	scratch_load_b128 v[30:33], off, off offset:544
	v_add_f64_e32 v[127:128], v[127:128], v[139:140]
	v_add_f64_e32 v[129:130], v[129:130], v[135:136]
	s_wait_loadcnt_dscnt 0x800
	v_mul_f64_e32 v[135:136], v[6:7], v[125:126]
	v_mul_f64_e32 v[125:126], v[8:9], v[125:126]
	v_fma_f64 v[133:134], v[4:5], v[115:116], v[133:134]
	v_fma_f64 v[139:140], v[2:3], v[115:116], -v[117:118]
	ds_load_b128 v[2:5], v1 offset:1024
	scratch_load_b128 v[115:118], off, off offset:560
	v_add_f64_e32 v[127:128], v[127:128], v[137:138]
	v_add_f64_e32 v[129:130], v[129:130], v[131:132]
	v_fma_f64 v[135:136], v[8:9], v[123:124], v[135:136]
	v_fma_f64 v[137:138], v[6:7], v[123:124], -v[125:126]
	ds_load_b128 v[6:9], v1 offset:1040
	scratch_load_b128 v[123:126], off, off offset:576
	s_wait_loadcnt_dscnt 0x901
	v_mul_f64_e32 v[131:132], v[2:3], v[36:37]
	v_mul_f64_e32 v[36:37], v[4:5], v[36:37]
	v_add_f64_e32 v[127:128], v[127:128], v[139:140]
	v_add_f64_e32 v[129:130], v[129:130], v[133:134]
	s_wait_loadcnt_dscnt 0x800
	v_mul_f64_e32 v[133:134], v[6:7], v[121:122]
	v_mul_f64_e32 v[121:122], v[8:9], v[121:122]
	v_fma_f64 v[131:132], v[4:5], v[34:35], v[131:132]
	v_fma_f64 v[139:140], v[2:3], v[34:35], -v[36:37]
	ds_load_b128 v[2:5], v1 offset:1056
	scratch_load_b128 v[34:37], off, off offset:592
	v_add_f64_e32 v[127:128], v[127:128], v[137:138]
	v_add_f64_e32 v[129:130], v[129:130], v[135:136]
	v_fma_f64 v[133:134], v[8:9], v[119:120], v[133:134]
	v_fma_f64 v[137:138], v[6:7], v[119:120], -v[121:122]
	ds_load_b128 v[6:9], v1 offset:1072
	s_wait_loadcnt_dscnt 0x801
	v_mul_f64_e32 v[135:136], v[2:3], v[12:13]
	v_mul_f64_e32 v[12:13], v[4:5], v[12:13]
	scratch_load_b128 v[119:122], off, off offset:608
	v_add_f64_e32 v[127:128], v[127:128], v[139:140]
	v_add_f64_e32 v[129:130], v[129:130], v[131:132]
	s_wait_loadcnt_dscnt 0x800
	v_mul_f64_e32 v[131:132], v[6:7], v[16:17]
	v_mul_f64_e32 v[16:17], v[8:9], v[16:17]
	v_fma_f64 v[135:136], v[4:5], v[10:11], v[135:136]
	v_fma_f64 v[10:11], v[2:3], v[10:11], -v[12:13]
	ds_load_b128 v[2:5], v1 offset:1088
	v_add_f64_e32 v[12:13], v[127:128], v[137:138]
	v_add_f64_e32 v[127:128], v[129:130], v[133:134]
	v_fma_f64 v[131:132], v[8:9], v[14:15], v[131:132]
	v_fma_f64 v[14:15], v[6:7], v[14:15], -v[16:17]
	ds_load_b128 v[6:9], v1 offset:1104
	s_wait_loadcnt_dscnt 0x701
	v_mul_f64_e32 v[129:130], v[2:3], v[20:21]
	v_mul_f64_e32 v[20:21], v[4:5], v[20:21]
	v_add_f64_e32 v[10:11], v[12:13], v[10:11]
	v_add_f64_e32 v[12:13], v[127:128], v[135:136]
	s_delay_alu instid0(VALU_DEP_4) | instskip(NEXT) | instid1(VALU_DEP_4)
	v_fma_f64 v[127:128], v[4:5], v[18:19], v[129:130]
	v_fma_f64 v[18:19], v[2:3], v[18:19], -v[20:21]
	ds_load_b128 v[2:5], v1 offset:1120
	v_add_f64_e32 v[14:15], v[10:11], v[14:15]
	v_add_f64_e32 v[20:21], v[12:13], v[131:132]
	scratch_load_b128 v[10:13], off, off offset:256
	s_wait_loadcnt_dscnt 0x701
	v_mul_f64_e32 v[16:17], v[6:7], v[24:25]
	v_mul_f64_e32 v[24:25], v[8:9], v[24:25]
	v_add_f64_e32 v[14:15], v[14:15], v[18:19]
	v_add_f64_e32 v[18:19], v[20:21], v[127:128]
	s_delay_alu instid0(VALU_DEP_4) | instskip(NEXT) | instid1(VALU_DEP_4)
	v_fma_f64 v[16:17], v[8:9], v[22:23], v[16:17]
	v_fma_f64 v[22:23], v[6:7], v[22:23], -v[24:25]
	ds_load_b128 v[6:9], v1 offset:1136
	s_wait_loadcnt_dscnt 0x601
	v_mul_f64_e32 v[129:130], v[2:3], v[28:29]
	v_mul_f64_e32 v[28:29], v[4:5], v[28:29]
	s_wait_loadcnt_dscnt 0x500
	v_mul_f64_e32 v[20:21], v[6:7], v[32:33]
	v_mul_f64_e32 v[24:25], v[8:9], v[32:33]
	v_add_f64_e32 v[16:17], v[18:19], v[16:17]
	v_add_f64_e32 v[14:15], v[14:15], v[22:23]
	v_fma_f64 v[32:33], v[4:5], v[26:27], v[129:130]
	v_fma_f64 v[26:27], v[2:3], v[26:27], -v[28:29]
	ds_load_b128 v[2:5], v1 offset:1152
	v_fma_f64 v[20:21], v[8:9], v[30:31], v[20:21]
	v_fma_f64 v[24:25], v[6:7], v[30:31], -v[24:25]
	ds_load_b128 v[6:9], v1 offset:1168
	s_wait_loadcnt_dscnt 0x401
	v_mul_f64_e32 v[18:19], v[2:3], v[117:118]
	v_mul_f64_e32 v[22:23], v[4:5], v[117:118]
	v_add_f64_e32 v[16:17], v[16:17], v[32:33]
	v_add_f64_e32 v[14:15], v[14:15], v[26:27]
	s_wait_loadcnt_dscnt 0x300
	v_mul_f64_e32 v[26:27], v[6:7], v[125:126]
	v_mul_f64_e32 v[28:29], v[8:9], v[125:126]
	v_fma_f64 v[18:19], v[4:5], v[115:116], v[18:19]
	v_fma_f64 v[22:23], v[2:3], v[115:116], -v[22:23]
	ds_load_b128 v[2:5], v1 offset:1184
	v_add_f64_e32 v[16:17], v[16:17], v[20:21]
	v_add_f64_e32 v[14:15], v[14:15], v[24:25]
	v_fma_f64 v[26:27], v[8:9], v[123:124], v[26:27]
	v_fma_f64 v[28:29], v[6:7], v[123:124], -v[28:29]
	ds_load_b128 v[6:9], v1 offset:1200
	s_wait_loadcnt_dscnt 0x201
	v_mul_f64_e32 v[20:21], v[2:3], v[36:37]
	v_mul_f64_e32 v[24:25], v[4:5], v[36:37]
	v_add_f64_e32 v[16:17], v[16:17], v[18:19]
	v_add_f64_e32 v[14:15], v[14:15], v[22:23]
	s_wait_loadcnt_dscnt 0x100
	v_mul_f64_e32 v[18:19], v[6:7], v[121:122]
	v_mul_f64_e32 v[22:23], v[8:9], v[121:122]
	v_fma_f64 v[4:5], v[4:5], v[34:35], v[20:21]
	v_fma_f64 v[1:2], v[2:3], v[34:35], -v[24:25]
	v_add_f64_e32 v[16:17], v[16:17], v[26:27]
	v_add_f64_e32 v[14:15], v[14:15], v[28:29]
	v_fma_f64 v[8:9], v[8:9], v[119:120], v[18:19]
	v_fma_f64 v[6:7], v[6:7], v[119:120], -v[22:23]
	s_delay_alu instid0(VALU_DEP_4) | instskip(NEXT) | instid1(VALU_DEP_4)
	v_add_f64_e32 v[3:4], v[16:17], v[4:5]
	v_add_f64_e32 v[1:2], v[14:15], v[1:2]
	s_delay_alu instid0(VALU_DEP_2) | instskip(NEXT) | instid1(VALU_DEP_2)
	v_add_f64_e32 v[3:4], v[3:4], v[8:9]
	v_add_f64_e32 v[1:2], v[1:2], v[6:7]
	s_wait_loadcnt 0x0
	s_delay_alu instid0(VALU_DEP_2) | instskip(NEXT) | instid1(VALU_DEP_2)
	v_add_f64_e64 v[3:4], v[12:13], -v[3:4]
	v_add_f64_e64 v[1:2], v[10:11], -v[1:2]
	scratch_store_b128 off, v[1:4], off offset:256
	v_cmpx_lt_u32_e32 14, v0
	s_cbranch_execz .LBB37_213
; %bb.212:
	scratch_load_b128 v[1:4], off, s33
	v_mov_b32_e32 v5, 0
	s_delay_alu instid0(VALU_DEP_1)
	v_dual_mov_b32 v6, v5 :: v_dual_mov_b32 v7, v5
	v_mov_b32_e32 v8, v5
	scratch_store_b128 off, v[5:8], off offset:240
	s_wait_loadcnt 0x0
	ds_store_b128 v114, v[1:4]
.LBB37_213:
	s_wait_alu 0xfffe
	s_or_b32 exec_lo, exec_lo, s0
	s_wait_storecnt_dscnt 0x0
	s_barrier_signal -1
	s_barrier_wait -1
	global_inv scope:SCOPE_SE
	s_clause 0x7
	scratch_load_b128 v[2:5], off, off offset:256
	scratch_load_b128 v[6:9], off, off offset:272
	;; [unrolled: 1-line block ×8, first 2 shown]
	v_mov_b32_e32 v1, 0
	s_clause 0x1
	scratch_load_b128 v[115:118], off, off offset:384
	scratch_load_b128 v[123:126], off, off offset:400
	s_mov_b32 s0, exec_lo
	ds_load_b128 v[34:37], v1 offset:848
	ds_load_b128 v[119:122], v1 offset:864
	s_wait_loadcnt_dscnt 0x901
	v_mul_f64_e32 v[127:128], v[36:37], v[4:5]
	v_mul_f64_e32 v[4:5], v[34:35], v[4:5]
	s_wait_loadcnt_dscnt 0x800
	v_mul_f64_e32 v[129:130], v[119:120], v[8:9]
	v_mul_f64_e32 v[8:9], v[121:122], v[8:9]
	s_delay_alu instid0(VALU_DEP_4) | instskip(NEXT) | instid1(VALU_DEP_4)
	v_fma_f64 v[127:128], v[34:35], v[2:3], -v[127:128]
	v_fma_f64 v[131:132], v[36:37], v[2:3], v[4:5]
	ds_load_b128 v[2:5], v1 offset:880
	scratch_load_b128 v[34:37], off, off offset:416
	v_fma_f64 v[129:130], v[121:122], v[6:7], v[129:130]
	v_fma_f64 v[135:136], v[119:120], v[6:7], -v[8:9]
	ds_load_b128 v[6:9], v1 offset:896
	scratch_load_b128 v[119:122], off, off offset:432
	s_wait_loadcnt_dscnt 0x901
	v_mul_f64_e32 v[133:134], v[2:3], v[12:13]
	v_mul_f64_e32 v[12:13], v[4:5], v[12:13]
	s_wait_loadcnt_dscnt 0x800
	v_mul_f64_e32 v[137:138], v[6:7], v[16:17]
	v_mul_f64_e32 v[16:17], v[8:9], v[16:17]
	v_add_f64_e32 v[127:128], 0, v[127:128]
	v_add_f64_e32 v[131:132], 0, v[131:132]
	v_fma_f64 v[133:134], v[4:5], v[10:11], v[133:134]
	v_fma_f64 v[139:140], v[2:3], v[10:11], -v[12:13]
	ds_load_b128 v[2:5], v1 offset:912
	scratch_load_b128 v[10:13], off, off offset:448
	v_add_f64_e32 v[127:128], v[127:128], v[135:136]
	v_add_f64_e32 v[129:130], v[131:132], v[129:130]
	v_fma_f64 v[135:136], v[8:9], v[14:15], v[137:138]
	v_fma_f64 v[137:138], v[6:7], v[14:15], -v[16:17]
	ds_load_b128 v[6:9], v1 offset:928
	scratch_load_b128 v[14:17], off, off offset:464
	s_wait_loadcnt_dscnt 0x901
	v_mul_f64_e32 v[131:132], v[2:3], v[20:21]
	v_mul_f64_e32 v[20:21], v[4:5], v[20:21]
	v_add_f64_e32 v[127:128], v[127:128], v[139:140]
	v_add_f64_e32 v[129:130], v[129:130], v[133:134]
	s_wait_loadcnt_dscnt 0x800
	v_mul_f64_e32 v[133:134], v[6:7], v[24:25]
	v_mul_f64_e32 v[24:25], v[8:9], v[24:25]
	v_fma_f64 v[131:132], v[4:5], v[18:19], v[131:132]
	v_fma_f64 v[139:140], v[2:3], v[18:19], -v[20:21]
	ds_load_b128 v[2:5], v1 offset:944
	scratch_load_b128 v[18:21], off, off offset:480
	v_add_f64_e32 v[127:128], v[127:128], v[137:138]
	v_add_f64_e32 v[129:130], v[129:130], v[135:136]
	v_fma_f64 v[133:134], v[8:9], v[22:23], v[133:134]
	v_fma_f64 v[137:138], v[6:7], v[22:23], -v[24:25]
	ds_load_b128 v[6:9], v1 offset:960
	s_wait_loadcnt_dscnt 0x801
	v_mul_f64_e32 v[135:136], v[2:3], v[28:29]
	v_mul_f64_e32 v[28:29], v[4:5], v[28:29]
	scratch_load_b128 v[22:25], off, off offset:496
	v_add_f64_e32 v[127:128], v[127:128], v[139:140]
	v_add_f64_e32 v[129:130], v[129:130], v[131:132]
	s_wait_loadcnt_dscnt 0x800
	v_mul_f64_e32 v[131:132], v[6:7], v[32:33]
	v_mul_f64_e32 v[32:33], v[8:9], v[32:33]
	v_fma_f64 v[135:136], v[4:5], v[26:27], v[135:136]
	v_fma_f64 v[139:140], v[2:3], v[26:27], -v[28:29]
	ds_load_b128 v[2:5], v1 offset:976
	scratch_load_b128 v[26:29], off, off offset:512
	v_add_f64_e32 v[127:128], v[127:128], v[137:138]
	v_add_f64_e32 v[129:130], v[129:130], v[133:134]
	v_fma_f64 v[131:132], v[8:9], v[30:31], v[131:132]
	v_fma_f64 v[137:138], v[6:7], v[30:31], -v[32:33]
	ds_load_b128 v[6:9], v1 offset:992
	s_wait_loadcnt_dscnt 0x801
	v_mul_f64_e32 v[133:134], v[2:3], v[117:118]
	v_mul_f64_e32 v[117:118], v[4:5], v[117:118]
	scratch_load_b128 v[30:33], off, off offset:528
	v_add_f64_e32 v[127:128], v[127:128], v[139:140]
	v_add_f64_e32 v[129:130], v[129:130], v[135:136]
	s_wait_loadcnt_dscnt 0x800
	v_mul_f64_e32 v[135:136], v[6:7], v[125:126]
	v_mul_f64_e32 v[125:126], v[8:9], v[125:126]
	v_fma_f64 v[133:134], v[4:5], v[115:116], v[133:134]
	v_fma_f64 v[139:140], v[2:3], v[115:116], -v[117:118]
	ds_load_b128 v[2:5], v1 offset:1008
	scratch_load_b128 v[115:118], off, off offset:544
	v_add_f64_e32 v[127:128], v[127:128], v[137:138]
	v_add_f64_e32 v[129:130], v[129:130], v[131:132]
	v_fma_f64 v[135:136], v[8:9], v[123:124], v[135:136]
	v_fma_f64 v[137:138], v[6:7], v[123:124], -v[125:126]
	ds_load_b128 v[6:9], v1 offset:1024
	scratch_load_b128 v[123:126], off, off offset:560
	s_wait_loadcnt_dscnt 0x901
	v_mul_f64_e32 v[131:132], v[2:3], v[36:37]
	v_mul_f64_e32 v[36:37], v[4:5], v[36:37]
	v_add_f64_e32 v[127:128], v[127:128], v[139:140]
	v_add_f64_e32 v[129:130], v[129:130], v[133:134]
	s_wait_loadcnt_dscnt 0x800
	v_mul_f64_e32 v[133:134], v[6:7], v[121:122]
	v_mul_f64_e32 v[121:122], v[8:9], v[121:122]
	v_fma_f64 v[131:132], v[4:5], v[34:35], v[131:132]
	v_fma_f64 v[139:140], v[2:3], v[34:35], -v[36:37]
	ds_load_b128 v[2:5], v1 offset:1040
	scratch_load_b128 v[34:37], off, off offset:576
	v_add_f64_e32 v[127:128], v[127:128], v[137:138]
	v_add_f64_e32 v[129:130], v[129:130], v[135:136]
	v_fma_f64 v[133:134], v[8:9], v[119:120], v[133:134]
	v_fma_f64 v[137:138], v[6:7], v[119:120], -v[121:122]
	ds_load_b128 v[6:9], v1 offset:1056
	s_wait_loadcnt_dscnt 0x801
	v_mul_f64_e32 v[135:136], v[2:3], v[12:13]
	v_mul_f64_e32 v[12:13], v[4:5], v[12:13]
	scratch_load_b128 v[119:122], off, off offset:592
	v_add_f64_e32 v[127:128], v[127:128], v[139:140]
	v_add_f64_e32 v[129:130], v[129:130], v[131:132]
	s_wait_loadcnt_dscnt 0x800
	v_mul_f64_e32 v[131:132], v[6:7], v[16:17]
	v_mul_f64_e32 v[16:17], v[8:9], v[16:17]
	v_fma_f64 v[135:136], v[4:5], v[10:11], v[135:136]
	v_fma_f64 v[139:140], v[2:3], v[10:11], -v[12:13]
	ds_load_b128 v[2:5], v1 offset:1072
	scratch_load_b128 v[10:13], off, off offset:608
	v_add_f64_e32 v[127:128], v[127:128], v[137:138]
	v_add_f64_e32 v[129:130], v[129:130], v[133:134]
	v_fma_f64 v[131:132], v[8:9], v[14:15], v[131:132]
	v_fma_f64 v[14:15], v[6:7], v[14:15], -v[16:17]
	ds_load_b128 v[6:9], v1 offset:1088
	s_wait_loadcnt_dscnt 0x801
	v_mul_f64_e32 v[133:134], v[2:3], v[20:21]
	v_mul_f64_e32 v[20:21], v[4:5], v[20:21]
	v_add_f64_e32 v[16:17], v[127:128], v[139:140]
	v_add_f64_e32 v[127:128], v[129:130], v[135:136]
	s_wait_loadcnt_dscnt 0x700
	v_mul_f64_e32 v[129:130], v[6:7], v[24:25]
	v_mul_f64_e32 v[24:25], v[8:9], v[24:25]
	v_fma_f64 v[133:134], v[4:5], v[18:19], v[133:134]
	v_fma_f64 v[18:19], v[2:3], v[18:19], -v[20:21]
	ds_load_b128 v[2:5], v1 offset:1104
	v_add_f64_e32 v[14:15], v[16:17], v[14:15]
	v_add_f64_e32 v[16:17], v[127:128], v[131:132]
	v_fma_f64 v[127:128], v[8:9], v[22:23], v[129:130]
	v_fma_f64 v[22:23], v[6:7], v[22:23], -v[24:25]
	ds_load_b128 v[6:9], v1 offset:1120
	s_wait_loadcnt_dscnt 0x500
	v_mul_f64_e32 v[129:130], v[6:7], v[32:33]
	v_mul_f64_e32 v[32:33], v[8:9], v[32:33]
	v_add_f64_e32 v[18:19], v[14:15], v[18:19]
	v_add_f64_e32 v[24:25], v[16:17], v[133:134]
	scratch_load_b128 v[14:17], off, off offset:240
	v_mul_f64_e32 v[20:21], v[2:3], v[28:29]
	v_mul_f64_e32 v[28:29], v[4:5], v[28:29]
	v_add_f64_e32 v[18:19], v[18:19], v[22:23]
	v_add_f64_e32 v[22:23], v[24:25], v[127:128]
	s_delay_alu instid0(VALU_DEP_4) | instskip(NEXT) | instid1(VALU_DEP_4)
	v_fma_f64 v[20:21], v[4:5], v[26:27], v[20:21]
	v_fma_f64 v[26:27], v[2:3], v[26:27], -v[28:29]
	ds_load_b128 v[2:5], v1 offset:1136
	s_wait_loadcnt_dscnt 0x500
	v_mul_f64_e32 v[24:25], v[2:3], v[117:118]
	v_mul_f64_e32 v[28:29], v[4:5], v[117:118]
	v_fma_f64 v[117:118], v[8:9], v[30:31], v[129:130]
	v_fma_f64 v[30:31], v[6:7], v[30:31], -v[32:33]
	ds_load_b128 v[6:9], v1 offset:1152
	v_add_f64_e32 v[20:21], v[22:23], v[20:21]
	v_add_f64_e32 v[18:19], v[18:19], v[26:27]
	v_fma_f64 v[24:25], v[4:5], v[115:116], v[24:25]
	v_fma_f64 v[28:29], v[2:3], v[115:116], -v[28:29]
	ds_load_b128 v[2:5], v1 offset:1168
	s_wait_loadcnt_dscnt 0x401
	v_mul_f64_e32 v[22:23], v[6:7], v[125:126]
	v_mul_f64_e32 v[26:27], v[8:9], v[125:126]
	v_add_f64_e32 v[20:21], v[20:21], v[117:118]
	v_add_f64_e32 v[18:19], v[18:19], v[30:31]
	s_wait_loadcnt_dscnt 0x300
	v_mul_f64_e32 v[30:31], v[2:3], v[36:37]
	v_mul_f64_e32 v[32:33], v[4:5], v[36:37]
	v_fma_f64 v[22:23], v[8:9], v[123:124], v[22:23]
	v_fma_f64 v[26:27], v[6:7], v[123:124], -v[26:27]
	ds_load_b128 v[6:9], v1 offset:1184
	v_add_f64_e32 v[20:21], v[20:21], v[24:25]
	v_add_f64_e32 v[18:19], v[18:19], v[28:29]
	v_fma_f64 v[30:31], v[4:5], v[34:35], v[30:31]
	v_fma_f64 v[32:33], v[2:3], v[34:35], -v[32:33]
	ds_load_b128 v[2:5], v1 offset:1200
	s_wait_loadcnt_dscnt 0x201
	v_mul_f64_e32 v[24:25], v[6:7], v[121:122]
	v_mul_f64_e32 v[28:29], v[8:9], v[121:122]
	v_add_f64_e32 v[20:21], v[20:21], v[22:23]
	v_add_f64_e32 v[18:19], v[18:19], v[26:27]
	s_wait_loadcnt_dscnt 0x100
	v_mul_f64_e32 v[22:23], v[2:3], v[12:13]
	v_mul_f64_e32 v[12:13], v[4:5], v[12:13]
	v_fma_f64 v[8:9], v[8:9], v[119:120], v[24:25]
	v_fma_f64 v[6:7], v[6:7], v[119:120], -v[28:29]
	v_add_f64_e32 v[20:21], v[20:21], v[30:31]
	v_add_f64_e32 v[18:19], v[18:19], v[32:33]
	v_fma_f64 v[4:5], v[4:5], v[10:11], v[22:23]
	v_fma_f64 v[2:3], v[2:3], v[10:11], -v[12:13]
	s_delay_alu instid0(VALU_DEP_4) | instskip(NEXT) | instid1(VALU_DEP_4)
	v_add_f64_e32 v[8:9], v[20:21], v[8:9]
	v_add_f64_e32 v[6:7], v[18:19], v[6:7]
	s_delay_alu instid0(VALU_DEP_2) | instskip(NEXT) | instid1(VALU_DEP_2)
	v_add_f64_e32 v[4:5], v[8:9], v[4:5]
	v_add_f64_e32 v[2:3], v[6:7], v[2:3]
	s_wait_loadcnt 0x0
	s_delay_alu instid0(VALU_DEP_2) | instskip(NEXT) | instid1(VALU_DEP_2)
	v_add_f64_e64 v[4:5], v[16:17], -v[4:5]
	v_add_f64_e64 v[2:3], v[14:15], -v[2:3]
	scratch_store_b128 off, v[2:5], off offset:240
	v_cmpx_lt_u32_e32 13, v0
	s_cbranch_execz .LBB37_215
; %bb.214:
	scratch_load_b128 v[5:8], off, s38
	v_dual_mov_b32 v2, v1 :: v_dual_mov_b32 v3, v1
	v_mov_b32_e32 v4, v1
	scratch_store_b128 off, v[1:4], off offset:224
	s_wait_loadcnt 0x0
	ds_store_b128 v114, v[5:8]
.LBB37_215:
	s_wait_alu 0xfffe
	s_or_b32 exec_lo, exec_lo, s0
	s_wait_storecnt_dscnt 0x0
	s_barrier_signal -1
	s_barrier_wait -1
	global_inv scope:SCOPE_SE
	s_clause 0x7
	scratch_load_b128 v[2:5], off, off offset:240
	scratch_load_b128 v[6:9], off, off offset:256
	;; [unrolled: 1-line block ×8, first 2 shown]
	ds_load_b128 v[34:37], v1 offset:832
	ds_load_b128 v[119:122], v1 offset:848
	s_clause 0x1
	scratch_load_b128 v[115:118], off, off offset:368
	scratch_load_b128 v[123:126], off, off offset:384
	s_mov_b32 s0, exec_lo
	s_wait_loadcnt_dscnt 0x901
	v_mul_f64_e32 v[127:128], v[36:37], v[4:5]
	v_mul_f64_e32 v[4:5], v[34:35], v[4:5]
	s_wait_loadcnt_dscnt 0x800
	v_mul_f64_e32 v[129:130], v[119:120], v[8:9]
	v_mul_f64_e32 v[8:9], v[121:122], v[8:9]
	s_delay_alu instid0(VALU_DEP_4) | instskip(NEXT) | instid1(VALU_DEP_4)
	v_fma_f64 v[127:128], v[34:35], v[2:3], -v[127:128]
	v_fma_f64 v[131:132], v[36:37], v[2:3], v[4:5]
	ds_load_b128 v[2:5], v1 offset:864
	scratch_load_b128 v[34:37], off, off offset:400
	v_fma_f64 v[129:130], v[121:122], v[6:7], v[129:130]
	v_fma_f64 v[135:136], v[119:120], v[6:7], -v[8:9]
	ds_load_b128 v[6:9], v1 offset:880
	scratch_load_b128 v[119:122], off, off offset:416
	s_wait_loadcnt_dscnt 0x901
	v_mul_f64_e32 v[133:134], v[2:3], v[12:13]
	v_mul_f64_e32 v[12:13], v[4:5], v[12:13]
	s_wait_loadcnt_dscnt 0x800
	v_mul_f64_e32 v[137:138], v[6:7], v[16:17]
	v_mul_f64_e32 v[16:17], v[8:9], v[16:17]
	v_add_f64_e32 v[127:128], 0, v[127:128]
	v_add_f64_e32 v[131:132], 0, v[131:132]
	v_fma_f64 v[133:134], v[4:5], v[10:11], v[133:134]
	v_fma_f64 v[139:140], v[2:3], v[10:11], -v[12:13]
	ds_load_b128 v[2:5], v1 offset:896
	scratch_load_b128 v[10:13], off, off offset:432
	v_add_f64_e32 v[127:128], v[127:128], v[135:136]
	v_add_f64_e32 v[129:130], v[131:132], v[129:130]
	v_fma_f64 v[135:136], v[8:9], v[14:15], v[137:138]
	v_fma_f64 v[137:138], v[6:7], v[14:15], -v[16:17]
	ds_load_b128 v[6:9], v1 offset:912
	scratch_load_b128 v[14:17], off, off offset:448
	s_wait_loadcnt_dscnt 0x901
	v_mul_f64_e32 v[131:132], v[2:3], v[20:21]
	v_mul_f64_e32 v[20:21], v[4:5], v[20:21]
	v_add_f64_e32 v[127:128], v[127:128], v[139:140]
	v_add_f64_e32 v[129:130], v[129:130], v[133:134]
	s_wait_loadcnt_dscnt 0x800
	v_mul_f64_e32 v[133:134], v[6:7], v[24:25]
	v_mul_f64_e32 v[24:25], v[8:9], v[24:25]
	v_fma_f64 v[131:132], v[4:5], v[18:19], v[131:132]
	v_fma_f64 v[139:140], v[2:3], v[18:19], -v[20:21]
	ds_load_b128 v[2:5], v1 offset:928
	scratch_load_b128 v[18:21], off, off offset:464
	v_add_f64_e32 v[127:128], v[127:128], v[137:138]
	v_add_f64_e32 v[129:130], v[129:130], v[135:136]
	v_fma_f64 v[133:134], v[8:9], v[22:23], v[133:134]
	v_fma_f64 v[137:138], v[6:7], v[22:23], -v[24:25]
	ds_load_b128 v[6:9], v1 offset:944
	s_wait_loadcnt_dscnt 0x801
	v_mul_f64_e32 v[135:136], v[2:3], v[28:29]
	v_mul_f64_e32 v[28:29], v[4:5], v[28:29]
	scratch_load_b128 v[22:25], off, off offset:480
	v_add_f64_e32 v[127:128], v[127:128], v[139:140]
	v_add_f64_e32 v[129:130], v[129:130], v[131:132]
	s_wait_loadcnt_dscnt 0x800
	v_mul_f64_e32 v[131:132], v[6:7], v[32:33]
	v_mul_f64_e32 v[32:33], v[8:9], v[32:33]
	v_fma_f64 v[135:136], v[4:5], v[26:27], v[135:136]
	v_fma_f64 v[139:140], v[2:3], v[26:27], -v[28:29]
	ds_load_b128 v[2:5], v1 offset:960
	scratch_load_b128 v[26:29], off, off offset:496
	v_add_f64_e32 v[127:128], v[127:128], v[137:138]
	v_add_f64_e32 v[129:130], v[129:130], v[133:134]
	v_fma_f64 v[131:132], v[8:9], v[30:31], v[131:132]
	v_fma_f64 v[137:138], v[6:7], v[30:31], -v[32:33]
	ds_load_b128 v[6:9], v1 offset:976
	s_wait_loadcnt_dscnt 0x801
	v_mul_f64_e32 v[133:134], v[2:3], v[117:118]
	v_mul_f64_e32 v[117:118], v[4:5], v[117:118]
	scratch_load_b128 v[30:33], off, off offset:512
	v_add_f64_e32 v[127:128], v[127:128], v[139:140]
	v_add_f64_e32 v[129:130], v[129:130], v[135:136]
	s_wait_loadcnt_dscnt 0x800
	v_mul_f64_e32 v[135:136], v[6:7], v[125:126]
	v_mul_f64_e32 v[125:126], v[8:9], v[125:126]
	v_fma_f64 v[133:134], v[4:5], v[115:116], v[133:134]
	v_fma_f64 v[139:140], v[2:3], v[115:116], -v[117:118]
	ds_load_b128 v[2:5], v1 offset:992
	scratch_load_b128 v[115:118], off, off offset:528
	v_add_f64_e32 v[127:128], v[127:128], v[137:138]
	v_add_f64_e32 v[129:130], v[129:130], v[131:132]
	v_fma_f64 v[135:136], v[8:9], v[123:124], v[135:136]
	v_fma_f64 v[137:138], v[6:7], v[123:124], -v[125:126]
	ds_load_b128 v[6:9], v1 offset:1008
	scratch_load_b128 v[123:126], off, off offset:544
	s_wait_loadcnt_dscnt 0x901
	v_mul_f64_e32 v[131:132], v[2:3], v[36:37]
	v_mul_f64_e32 v[36:37], v[4:5], v[36:37]
	v_add_f64_e32 v[127:128], v[127:128], v[139:140]
	v_add_f64_e32 v[129:130], v[129:130], v[133:134]
	s_wait_loadcnt_dscnt 0x800
	v_mul_f64_e32 v[133:134], v[6:7], v[121:122]
	v_mul_f64_e32 v[121:122], v[8:9], v[121:122]
	v_fma_f64 v[131:132], v[4:5], v[34:35], v[131:132]
	v_fma_f64 v[139:140], v[2:3], v[34:35], -v[36:37]
	ds_load_b128 v[2:5], v1 offset:1024
	scratch_load_b128 v[34:37], off, off offset:560
	v_add_f64_e32 v[127:128], v[127:128], v[137:138]
	v_add_f64_e32 v[129:130], v[129:130], v[135:136]
	v_fma_f64 v[133:134], v[8:9], v[119:120], v[133:134]
	v_fma_f64 v[137:138], v[6:7], v[119:120], -v[121:122]
	ds_load_b128 v[6:9], v1 offset:1040
	s_wait_loadcnt_dscnt 0x801
	v_mul_f64_e32 v[135:136], v[2:3], v[12:13]
	v_mul_f64_e32 v[12:13], v[4:5], v[12:13]
	scratch_load_b128 v[119:122], off, off offset:576
	v_add_f64_e32 v[127:128], v[127:128], v[139:140]
	v_add_f64_e32 v[129:130], v[129:130], v[131:132]
	s_wait_loadcnt_dscnt 0x800
	v_mul_f64_e32 v[131:132], v[6:7], v[16:17]
	v_mul_f64_e32 v[16:17], v[8:9], v[16:17]
	v_fma_f64 v[135:136], v[4:5], v[10:11], v[135:136]
	v_fma_f64 v[139:140], v[2:3], v[10:11], -v[12:13]
	ds_load_b128 v[2:5], v1 offset:1056
	scratch_load_b128 v[10:13], off, off offset:592
	v_add_f64_e32 v[127:128], v[127:128], v[137:138]
	v_add_f64_e32 v[129:130], v[129:130], v[133:134]
	v_fma_f64 v[131:132], v[8:9], v[14:15], v[131:132]
	v_fma_f64 v[137:138], v[6:7], v[14:15], -v[16:17]
	ds_load_b128 v[6:9], v1 offset:1072
	s_wait_loadcnt_dscnt 0x801
	v_mul_f64_e32 v[133:134], v[2:3], v[20:21]
	v_mul_f64_e32 v[20:21], v[4:5], v[20:21]
	scratch_load_b128 v[14:17], off, off offset:608
	v_add_f64_e32 v[127:128], v[127:128], v[139:140]
	v_add_f64_e32 v[129:130], v[129:130], v[135:136]
	s_wait_loadcnt_dscnt 0x800
	v_mul_f64_e32 v[135:136], v[6:7], v[24:25]
	v_mul_f64_e32 v[24:25], v[8:9], v[24:25]
	v_fma_f64 v[133:134], v[4:5], v[18:19], v[133:134]
	v_fma_f64 v[18:19], v[2:3], v[18:19], -v[20:21]
	ds_load_b128 v[2:5], v1 offset:1088
	v_add_f64_e32 v[20:21], v[127:128], v[137:138]
	v_add_f64_e32 v[127:128], v[129:130], v[131:132]
	v_fma_f64 v[131:132], v[8:9], v[22:23], v[135:136]
	v_fma_f64 v[22:23], v[6:7], v[22:23], -v[24:25]
	ds_load_b128 v[6:9], v1 offset:1104
	s_wait_loadcnt_dscnt 0x701
	v_mul_f64_e32 v[129:130], v[2:3], v[28:29]
	v_mul_f64_e32 v[28:29], v[4:5], v[28:29]
	v_add_f64_e32 v[18:19], v[20:21], v[18:19]
	v_add_f64_e32 v[20:21], v[127:128], v[133:134]
	s_delay_alu instid0(VALU_DEP_4) | instskip(NEXT) | instid1(VALU_DEP_4)
	v_fma_f64 v[127:128], v[4:5], v[26:27], v[129:130]
	v_fma_f64 v[26:27], v[2:3], v[26:27], -v[28:29]
	ds_load_b128 v[2:5], v1 offset:1120
	v_add_f64_e32 v[22:23], v[18:19], v[22:23]
	v_add_f64_e32 v[28:29], v[20:21], v[131:132]
	scratch_load_b128 v[18:21], off, off offset:224
	s_wait_loadcnt_dscnt 0x701
	v_mul_f64_e32 v[24:25], v[6:7], v[32:33]
	v_mul_f64_e32 v[32:33], v[8:9], v[32:33]
	v_add_f64_e32 v[22:23], v[22:23], v[26:27]
	v_add_f64_e32 v[26:27], v[28:29], v[127:128]
	s_delay_alu instid0(VALU_DEP_4) | instskip(NEXT) | instid1(VALU_DEP_4)
	v_fma_f64 v[24:25], v[8:9], v[30:31], v[24:25]
	v_fma_f64 v[30:31], v[6:7], v[30:31], -v[32:33]
	ds_load_b128 v[6:9], v1 offset:1136
	s_wait_loadcnt_dscnt 0x601
	v_mul_f64_e32 v[129:130], v[2:3], v[117:118]
	v_mul_f64_e32 v[117:118], v[4:5], v[117:118]
	s_wait_loadcnt_dscnt 0x500
	v_mul_f64_e32 v[28:29], v[6:7], v[125:126]
	v_mul_f64_e32 v[32:33], v[8:9], v[125:126]
	v_add_f64_e32 v[24:25], v[26:27], v[24:25]
	v_add_f64_e32 v[22:23], v[22:23], v[30:31]
	v_fma_f64 v[125:126], v[4:5], v[115:116], v[129:130]
	v_fma_f64 v[115:116], v[2:3], v[115:116], -v[117:118]
	ds_load_b128 v[2:5], v1 offset:1152
	v_fma_f64 v[28:29], v[8:9], v[123:124], v[28:29]
	v_fma_f64 v[32:33], v[6:7], v[123:124], -v[32:33]
	ds_load_b128 v[6:9], v1 offset:1168
	s_wait_loadcnt_dscnt 0x401
	v_mul_f64_e32 v[26:27], v[2:3], v[36:37]
	v_mul_f64_e32 v[30:31], v[4:5], v[36:37]
	v_add_f64_e32 v[24:25], v[24:25], v[125:126]
	v_add_f64_e32 v[22:23], v[22:23], v[115:116]
	s_wait_loadcnt_dscnt 0x300
	v_mul_f64_e32 v[36:37], v[6:7], v[121:122]
	v_mul_f64_e32 v[115:116], v[8:9], v[121:122]
	v_fma_f64 v[26:27], v[4:5], v[34:35], v[26:27]
	v_fma_f64 v[30:31], v[2:3], v[34:35], -v[30:31]
	ds_load_b128 v[2:5], v1 offset:1184
	v_add_f64_e32 v[24:25], v[24:25], v[28:29]
	v_add_f64_e32 v[22:23], v[22:23], v[32:33]
	v_fma_f64 v[32:33], v[8:9], v[119:120], v[36:37]
	v_fma_f64 v[34:35], v[6:7], v[119:120], -v[115:116]
	ds_load_b128 v[6:9], v1 offset:1200
	s_wait_loadcnt_dscnt 0x201
	v_mul_f64_e32 v[28:29], v[2:3], v[12:13]
	v_mul_f64_e32 v[12:13], v[4:5], v[12:13]
	v_add_f64_e32 v[24:25], v[24:25], v[26:27]
	v_add_f64_e32 v[22:23], v[22:23], v[30:31]
	s_wait_loadcnt_dscnt 0x100
	v_mul_f64_e32 v[26:27], v[6:7], v[16:17]
	v_mul_f64_e32 v[16:17], v[8:9], v[16:17]
	v_fma_f64 v[4:5], v[4:5], v[10:11], v[28:29]
	v_fma_f64 v[1:2], v[2:3], v[10:11], -v[12:13]
	v_add_f64_e32 v[12:13], v[24:25], v[32:33]
	v_add_f64_e32 v[10:11], v[22:23], v[34:35]
	v_fma_f64 v[8:9], v[8:9], v[14:15], v[26:27]
	v_fma_f64 v[6:7], v[6:7], v[14:15], -v[16:17]
	s_delay_alu instid0(VALU_DEP_4) | instskip(NEXT) | instid1(VALU_DEP_4)
	v_add_f64_e32 v[3:4], v[12:13], v[4:5]
	v_add_f64_e32 v[1:2], v[10:11], v[1:2]
	s_delay_alu instid0(VALU_DEP_2) | instskip(NEXT) | instid1(VALU_DEP_2)
	v_add_f64_e32 v[3:4], v[3:4], v[8:9]
	v_add_f64_e32 v[1:2], v[1:2], v[6:7]
	s_wait_loadcnt 0x0
	s_delay_alu instid0(VALU_DEP_2) | instskip(NEXT) | instid1(VALU_DEP_2)
	v_add_f64_e64 v[3:4], v[20:21], -v[3:4]
	v_add_f64_e64 v[1:2], v[18:19], -v[1:2]
	scratch_store_b128 off, v[1:4], off offset:224
	v_cmpx_lt_u32_e32 12, v0
	s_cbranch_execz .LBB37_217
; %bb.216:
	scratch_load_b128 v[1:4], off, s39
	v_mov_b32_e32 v5, 0
	s_delay_alu instid0(VALU_DEP_1)
	v_dual_mov_b32 v6, v5 :: v_dual_mov_b32 v7, v5
	v_mov_b32_e32 v8, v5
	scratch_store_b128 off, v[5:8], off offset:208
	s_wait_loadcnt 0x0
	ds_store_b128 v114, v[1:4]
.LBB37_217:
	s_wait_alu 0xfffe
	s_or_b32 exec_lo, exec_lo, s0
	s_wait_storecnt_dscnt 0x0
	s_barrier_signal -1
	s_barrier_wait -1
	global_inv scope:SCOPE_SE
	s_clause 0x7
	scratch_load_b128 v[2:5], off, off offset:224
	scratch_load_b128 v[6:9], off, off offset:240
	;; [unrolled: 1-line block ×8, first 2 shown]
	v_mov_b32_e32 v1, 0
	s_clause 0x1
	scratch_load_b128 v[115:118], off, off offset:352
	scratch_load_b128 v[123:126], off, off offset:368
	s_mov_b32 s0, exec_lo
	ds_load_b128 v[34:37], v1 offset:816
	ds_load_b128 v[119:122], v1 offset:832
	s_wait_loadcnt_dscnt 0x901
	v_mul_f64_e32 v[127:128], v[36:37], v[4:5]
	v_mul_f64_e32 v[4:5], v[34:35], v[4:5]
	s_wait_loadcnt_dscnt 0x800
	v_mul_f64_e32 v[129:130], v[119:120], v[8:9]
	v_mul_f64_e32 v[8:9], v[121:122], v[8:9]
	s_delay_alu instid0(VALU_DEP_4) | instskip(NEXT) | instid1(VALU_DEP_4)
	v_fma_f64 v[127:128], v[34:35], v[2:3], -v[127:128]
	v_fma_f64 v[131:132], v[36:37], v[2:3], v[4:5]
	ds_load_b128 v[2:5], v1 offset:848
	scratch_load_b128 v[34:37], off, off offset:384
	v_fma_f64 v[129:130], v[121:122], v[6:7], v[129:130]
	v_fma_f64 v[135:136], v[119:120], v[6:7], -v[8:9]
	ds_load_b128 v[6:9], v1 offset:864
	scratch_load_b128 v[119:122], off, off offset:400
	s_wait_loadcnt_dscnt 0x901
	v_mul_f64_e32 v[133:134], v[2:3], v[12:13]
	v_mul_f64_e32 v[12:13], v[4:5], v[12:13]
	s_wait_loadcnt_dscnt 0x800
	v_mul_f64_e32 v[137:138], v[6:7], v[16:17]
	v_mul_f64_e32 v[16:17], v[8:9], v[16:17]
	v_add_f64_e32 v[127:128], 0, v[127:128]
	v_add_f64_e32 v[131:132], 0, v[131:132]
	v_fma_f64 v[133:134], v[4:5], v[10:11], v[133:134]
	v_fma_f64 v[139:140], v[2:3], v[10:11], -v[12:13]
	ds_load_b128 v[2:5], v1 offset:880
	scratch_load_b128 v[10:13], off, off offset:416
	v_add_f64_e32 v[127:128], v[127:128], v[135:136]
	v_add_f64_e32 v[129:130], v[131:132], v[129:130]
	v_fma_f64 v[135:136], v[8:9], v[14:15], v[137:138]
	v_fma_f64 v[137:138], v[6:7], v[14:15], -v[16:17]
	ds_load_b128 v[6:9], v1 offset:896
	scratch_load_b128 v[14:17], off, off offset:432
	s_wait_loadcnt_dscnt 0x901
	v_mul_f64_e32 v[131:132], v[2:3], v[20:21]
	v_mul_f64_e32 v[20:21], v[4:5], v[20:21]
	v_add_f64_e32 v[127:128], v[127:128], v[139:140]
	v_add_f64_e32 v[129:130], v[129:130], v[133:134]
	s_wait_loadcnt_dscnt 0x800
	v_mul_f64_e32 v[133:134], v[6:7], v[24:25]
	v_mul_f64_e32 v[24:25], v[8:9], v[24:25]
	v_fma_f64 v[131:132], v[4:5], v[18:19], v[131:132]
	v_fma_f64 v[139:140], v[2:3], v[18:19], -v[20:21]
	ds_load_b128 v[2:5], v1 offset:912
	scratch_load_b128 v[18:21], off, off offset:448
	v_add_f64_e32 v[127:128], v[127:128], v[137:138]
	v_add_f64_e32 v[129:130], v[129:130], v[135:136]
	v_fma_f64 v[133:134], v[8:9], v[22:23], v[133:134]
	v_fma_f64 v[137:138], v[6:7], v[22:23], -v[24:25]
	ds_load_b128 v[6:9], v1 offset:928
	s_wait_loadcnt_dscnt 0x801
	v_mul_f64_e32 v[135:136], v[2:3], v[28:29]
	v_mul_f64_e32 v[28:29], v[4:5], v[28:29]
	scratch_load_b128 v[22:25], off, off offset:464
	v_add_f64_e32 v[127:128], v[127:128], v[139:140]
	v_add_f64_e32 v[129:130], v[129:130], v[131:132]
	s_wait_loadcnt_dscnt 0x800
	v_mul_f64_e32 v[131:132], v[6:7], v[32:33]
	v_mul_f64_e32 v[32:33], v[8:9], v[32:33]
	v_fma_f64 v[135:136], v[4:5], v[26:27], v[135:136]
	v_fma_f64 v[139:140], v[2:3], v[26:27], -v[28:29]
	ds_load_b128 v[2:5], v1 offset:944
	scratch_load_b128 v[26:29], off, off offset:480
	v_add_f64_e32 v[127:128], v[127:128], v[137:138]
	v_add_f64_e32 v[129:130], v[129:130], v[133:134]
	v_fma_f64 v[131:132], v[8:9], v[30:31], v[131:132]
	v_fma_f64 v[137:138], v[6:7], v[30:31], -v[32:33]
	ds_load_b128 v[6:9], v1 offset:960
	s_wait_loadcnt_dscnt 0x801
	v_mul_f64_e32 v[133:134], v[2:3], v[117:118]
	v_mul_f64_e32 v[117:118], v[4:5], v[117:118]
	scratch_load_b128 v[30:33], off, off offset:496
	v_add_f64_e32 v[127:128], v[127:128], v[139:140]
	v_add_f64_e32 v[129:130], v[129:130], v[135:136]
	s_wait_loadcnt_dscnt 0x800
	v_mul_f64_e32 v[135:136], v[6:7], v[125:126]
	v_mul_f64_e32 v[125:126], v[8:9], v[125:126]
	v_fma_f64 v[133:134], v[4:5], v[115:116], v[133:134]
	v_fma_f64 v[139:140], v[2:3], v[115:116], -v[117:118]
	ds_load_b128 v[2:5], v1 offset:976
	scratch_load_b128 v[115:118], off, off offset:512
	v_add_f64_e32 v[127:128], v[127:128], v[137:138]
	v_add_f64_e32 v[129:130], v[129:130], v[131:132]
	v_fma_f64 v[135:136], v[8:9], v[123:124], v[135:136]
	v_fma_f64 v[137:138], v[6:7], v[123:124], -v[125:126]
	ds_load_b128 v[6:9], v1 offset:992
	scratch_load_b128 v[123:126], off, off offset:528
	s_wait_loadcnt_dscnt 0x901
	v_mul_f64_e32 v[131:132], v[2:3], v[36:37]
	v_mul_f64_e32 v[36:37], v[4:5], v[36:37]
	v_add_f64_e32 v[127:128], v[127:128], v[139:140]
	v_add_f64_e32 v[129:130], v[129:130], v[133:134]
	s_wait_loadcnt_dscnt 0x800
	v_mul_f64_e32 v[133:134], v[6:7], v[121:122]
	v_mul_f64_e32 v[121:122], v[8:9], v[121:122]
	v_fma_f64 v[131:132], v[4:5], v[34:35], v[131:132]
	v_fma_f64 v[139:140], v[2:3], v[34:35], -v[36:37]
	ds_load_b128 v[2:5], v1 offset:1008
	scratch_load_b128 v[34:37], off, off offset:544
	v_add_f64_e32 v[127:128], v[127:128], v[137:138]
	v_add_f64_e32 v[129:130], v[129:130], v[135:136]
	v_fma_f64 v[133:134], v[8:9], v[119:120], v[133:134]
	v_fma_f64 v[137:138], v[6:7], v[119:120], -v[121:122]
	ds_load_b128 v[6:9], v1 offset:1024
	s_wait_loadcnt_dscnt 0x801
	v_mul_f64_e32 v[135:136], v[2:3], v[12:13]
	v_mul_f64_e32 v[12:13], v[4:5], v[12:13]
	scratch_load_b128 v[119:122], off, off offset:560
	v_add_f64_e32 v[127:128], v[127:128], v[139:140]
	v_add_f64_e32 v[129:130], v[129:130], v[131:132]
	s_wait_loadcnt_dscnt 0x800
	v_mul_f64_e32 v[131:132], v[6:7], v[16:17]
	v_mul_f64_e32 v[16:17], v[8:9], v[16:17]
	v_fma_f64 v[135:136], v[4:5], v[10:11], v[135:136]
	v_fma_f64 v[139:140], v[2:3], v[10:11], -v[12:13]
	ds_load_b128 v[2:5], v1 offset:1040
	scratch_load_b128 v[10:13], off, off offset:576
	v_add_f64_e32 v[127:128], v[127:128], v[137:138]
	v_add_f64_e32 v[129:130], v[129:130], v[133:134]
	v_fma_f64 v[131:132], v[8:9], v[14:15], v[131:132]
	v_fma_f64 v[137:138], v[6:7], v[14:15], -v[16:17]
	ds_load_b128 v[6:9], v1 offset:1056
	s_wait_loadcnt_dscnt 0x801
	v_mul_f64_e32 v[133:134], v[2:3], v[20:21]
	v_mul_f64_e32 v[20:21], v[4:5], v[20:21]
	scratch_load_b128 v[14:17], off, off offset:592
	v_add_f64_e32 v[127:128], v[127:128], v[139:140]
	v_add_f64_e32 v[129:130], v[129:130], v[135:136]
	s_wait_loadcnt_dscnt 0x800
	v_mul_f64_e32 v[135:136], v[6:7], v[24:25]
	v_mul_f64_e32 v[24:25], v[8:9], v[24:25]
	v_fma_f64 v[133:134], v[4:5], v[18:19], v[133:134]
	v_fma_f64 v[139:140], v[2:3], v[18:19], -v[20:21]
	ds_load_b128 v[2:5], v1 offset:1072
	scratch_load_b128 v[18:21], off, off offset:608
	v_add_f64_e32 v[127:128], v[127:128], v[137:138]
	v_add_f64_e32 v[129:130], v[129:130], v[131:132]
	v_fma_f64 v[135:136], v[8:9], v[22:23], v[135:136]
	v_fma_f64 v[22:23], v[6:7], v[22:23], -v[24:25]
	ds_load_b128 v[6:9], v1 offset:1088
	s_wait_loadcnt_dscnt 0x801
	v_mul_f64_e32 v[131:132], v[2:3], v[28:29]
	v_mul_f64_e32 v[28:29], v[4:5], v[28:29]
	v_add_f64_e32 v[24:25], v[127:128], v[139:140]
	v_add_f64_e32 v[127:128], v[129:130], v[133:134]
	s_wait_loadcnt_dscnt 0x700
	v_mul_f64_e32 v[129:130], v[6:7], v[32:33]
	v_mul_f64_e32 v[32:33], v[8:9], v[32:33]
	v_fma_f64 v[131:132], v[4:5], v[26:27], v[131:132]
	v_fma_f64 v[26:27], v[2:3], v[26:27], -v[28:29]
	ds_load_b128 v[2:5], v1 offset:1104
	v_add_f64_e32 v[22:23], v[24:25], v[22:23]
	v_add_f64_e32 v[24:25], v[127:128], v[135:136]
	v_fma_f64 v[127:128], v[8:9], v[30:31], v[129:130]
	v_fma_f64 v[30:31], v[6:7], v[30:31], -v[32:33]
	ds_load_b128 v[6:9], v1 offset:1120
	s_wait_loadcnt_dscnt 0x500
	v_mul_f64_e32 v[129:130], v[6:7], v[125:126]
	v_mul_f64_e32 v[125:126], v[8:9], v[125:126]
	v_add_f64_e32 v[26:27], v[22:23], v[26:27]
	v_add_f64_e32 v[32:33], v[24:25], v[131:132]
	scratch_load_b128 v[22:25], off, off offset:208
	v_mul_f64_e32 v[28:29], v[2:3], v[117:118]
	v_mul_f64_e32 v[117:118], v[4:5], v[117:118]
	v_add_f64_e32 v[26:27], v[26:27], v[30:31]
	v_add_f64_e32 v[30:31], v[32:33], v[127:128]
	s_delay_alu instid0(VALU_DEP_4) | instskip(NEXT) | instid1(VALU_DEP_4)
	v_fma_f64 v[28:29], v[4:5], v[115:116], v[28:29]
	v_fma_f64 v[115:116], v[2:3], v[115:116], -v[117:118]
	ds_load_b128 v[2:5], v1 offset:1136
	v_fma_f64 v[117:118], v[8:9], v[123:124], v[129:130]
	v_fma_f64 v[123:124], v[6:7], v[123:124], -v[125:126]
	ds_load_b128 v[6:9], v1 offset:1152
	s_wait_loadcnt_dscnt 0x501
	v_mul_f64_e32 v[32:33], v[2:3], v[36:37]
	v_mul_f64_e32 v[36:37], v[4:5], v[36:37]
	v_add_f64_e32 v[28:29], v[30:31], v[28:29]
	v_add_f64_e32 v[26:27], v[26:27], v[115:116]
	s_wait_loadcnt_dscnt 0x400
	v_mul_f64_e32 v[30:31], v[6:7], v[121:122]
	v_mul_f64_e32 v[115:116], v[8:9], v[121:122]
	v_fma_f64 v[32:33], v[4:5], v[34:35], v[32:33]
	v_fma_f64 v[34:35], v[2:3], v[34:35], -v[36:37]
	ds_load_b128 v[2:5], v1 offset:1168
	v_add_f64_e32 v[28:29], v[28:29], v[117:118]
	v_add_f64_e32 v[26:27], v[26:27], v[123:124]
	v_fma_f64 v[30:31], v[8:9], v[119:120], v[30:31]
	v_fma_f64 v[115:116], v[6:7], v[119:120], -v[115:116]
	ds_load_b128 v[6:9], v1 offset:1184
	s_wait_loadcnt_dscnt 0x301
	v_mul_f64_e32 v[36:37], v[2:3], v[12:13]
	v_mul_f64_e32 v[12:13], v[4:5], v[12:13]
	v_add_f64_e32 v[28:29], v[28:29], v[32:33]
	v_add_f64_e32 v[26:27], v[26:27], v[34:35]
	s_wait_loadcnt_dscnt 0x200
	v_mul_f64_e32 v[32:33], v[6:7], v[16:17]
	v_mul_f64_e32 v[16:17], v[8:9], v[16:17]
	v_fma_f64 v[34:35], v[4:5], v[10:11], v[36:37]
	v_fma_f64 v[10:11], v[2:3], v[10:11], -v[12:13]
	ds_load_b128 v[2:5], v1 offset:1200
	v_add_f64_e32 v[12:13], v[26:27], v[115:116]
	v_add_f64_e32 v[26:27], v[28:29], v[30:31]
	s_wait_loadcnt_dscnt 0x100
	v_mul_f64_e32 v[28:29], v[2:3], v[20:21]
	v_mul_f64_e32 v[20:21], v[4:5], v[20:21]
	v_fma_f64 v[8:9], v[8:9], v[14:15], v[32:33]
	v_fma_f64 v[6:7], v[6:7], v[14:15], -v[16:17]
	v_add_f64_e32 v[10:11], v[12:13], v[10:11]
	v_add_f64_e32 v[12:13], v[26:27], v[34:35]
	v_fma_f64 v[4:5], v[4:5], v[18:19], v[28:29]
	v_fma_f64 v[2:3], v[2:3], v[18:19], -v[20:21]
	s_delay_alu instid0(VALU_DEP_4) | instskip(NEXT) | instid1(VALU_DEP_4)
	v_add_f64_e32 v[6:7], v[10:11], v[6:7]
	v_add_f64_e32 v[8:9], v[12:13], v[8:9]
	s_delay_alu instid0(VALU_DEP_2) | instskip(NEXT) | instid1(VALU_DEP_2)
	v_add_f64_e32 v[2:3], v[6:7], v[2:3]
	v_add_f64_e32 v[4:5], v[8:9], v[4:5]
	s_wait_loadcnt 0x0
	s_delay_alu instid0(VALU_DEP_2) | instskip(NEXT) | instid1(VALU_DEP_2)
	v_add_f64_e64 v[2:3], v[22:23], -v[2:3]
	v_add_f64_e64 v[4:5], v[24:25], -v[4:5]
	scratch_store_b128 off, v[2:5], off offset:208
	v_cmpx_lt_u32_e32 11, v0
	s_cbranch_execz .LBB37_219
; %bb.218:
	scratch_load_b128 v[5:8], off, s40
	v_dual_mov_b32 v2, v1 :: v_dual_mov_b32 v3, v1
	v_mov_b32_e32 v4, v1
	scratch_store_b128 off, v[1:4], off offset:192
	s_wait_loadcnt 0x0
	ds_store_b128 v114, v[5:8]
.LBB37_219:
	s_wait_alu 0xfffe
	s_or_b32 exec_lo, exec_lo, s0
	s_wait_storecnt_dscnt 0x0
	s_barrier_signal -1
	s_barrier_wait -1
	global_inv scope:SCOPE_SE
	s_clause 0x7
	scratch_load_b128 v[2:5], off, off offset:208
	scratch_load_b128 v[6:9], off, off offset:224
	;; [unrolled: 1-line block ×8, first 2 shown]
	ds_load_b128 v[34:37], v1 offset:800
	ds_load_b128 v[119:122], v1 offset:816
	s_clause 0x1
	scratch_load_b128 v[115:118], off, off offset:336
	scratch_load_b128 v[123:126], off, off offset:352
	s_mov_b32 s0, exec_lo
	s_wait_loadcnt_dscnt 0x901
	v_mul_f64_e32 v[127:128], v[36:37], v[4:5]
	v_mul_f64_e32 v[4:5], v[34:35], v[4:5]
	s_wait_loadcnt_dscnt 0x800
	v_mul_f64_e32 v[129:130], v[119:120], v[8:9]
	v_mul_f64_e32 v[8:9], v[121:122], v[8:9]
	s_delay_alu instid0(VALU_DEP_4) | instskip(NEXT) | instid1(VALU_DEP_4)
	v_fma_f64 v[127:128], v[34:35], v[2:3], -v[127:128]
	v_fma_f64 v[131:132], v[36:37], v[2:3], v[4:5]
	ds_load_b128 v[2:5], v1 offset:832
	scratch_load_b128 v[34:37], off, off offset:368
	v_fma_f64 v[129:130], v[121:122], v[6:7], v[129:130]
	v_fma_f64 v[135:136], v[119:120], v[6:7], -v[8:9]
	ds_load_b128 v[6:9], v1 offset:848
	scratch_load_b128 v[119:122], off, off offset:384
	s_wait_loadcnt_dscnt 0x901
	v_mul_f64_e32 v[133:134], v[2:3], v[12:13]
	v_mul_f64_e32 v[12:13], v[4:5], v[12:13]
	s_wait_loadcnt_dscnt 0x800
	v_mul_f64_e32 v[137:138], v[6:7], v[16:17]
	v_mul_f64_e32 v[16:17], v[8:9], v[16:17]
	v_add_f64_e32 v[127:128], 0, v[127:128]
	v_add_f64_e32 v[131:132], 0, v[131:132]
	v_fma_f64 v[133:134], v[4:5], v[10:11], v[133:134]
	v_fma_f64 v[139:140], v[2:3], v[10:11], -v[12:13]
	ds_load_b128 v[2:5], v1 offset:864
	scratch_load_b128 v[10:13], off, off offset:400
	v_add_f64_e32 v[127:128], v[127:128], v[135:136]
	v_add_f64_e32 v[129:130], v[131:132], v[129:130]
	v_fma_f64 v[135:136], v[8:9], v[14:15], v[137:138]
	v_fma_f64 v[137:138], v[6:7], v[14:15], -v[16:17]
	ds_load_b128 v[6:9], v1 offset:880
	scratch_load_b128 v[14:17], off, off offset:416
	s_wait_loadcnt_dscnt 0x901
	v_mul_f64_e32 v[131:132], v[2:3], v[20:21]
	v_mul_f64_e32 v[20:21], v[4:5], v[20:21]
	v_add_f64_e32 v[127:128], v[127:128], v[139:140]
	v_add_f64_e32 v[129:130], v[129:130], v[133:134]
	s_wait_loadcnt_dscnt 0x800
	v_mul_f64_e32 v[133:134], v[6:7], v[24:25]
	v_mul_f64_e32 v[24:25], v[8:9], v[24:25]
	v_fma_f64 v[131:132], v[4:5], v[18:19], v[131:132]
	v_fma_f64 v[139:140], v[2:3], v[18:19], -v[20:21]
	ds_load_b128 v[2:5], v1 offset:896
	scratch_load_b128 v[18:21], off, off offset:432
	v_add_f64_e32 v[127:128], v[127:128], v[137:138]
	v_add_f64_e32 v[129:130], v[129:130], v[135:136]
	v_fma_f64 v[133:134], v[8:9], v[22:23], v[133:134]
	v_fma_f64 v[137:138], v[6:7], v[22:23], -v[24:25]
	ds_load_b128 v[6:9], v1 offset:912
	s_wait_loadcnt_dscnt 0x801
	v_mul_f64_e32 v[135:136], v[2:3], v[28:29]
	v_mul_f64_e32 v[28:29], v[4:5], v[28:29]
	scratch_load_b128 v[22:25], off, off offset:448
	v_add_f64_e32 v[127:128], v[127:128], v[139:140]
	v_add_f64_e32 v[129:130], v[129:130], v[131:132]
	s_wait_loadcnt_dscnt 0x800
	v_mul_f64_e32 v[131:132], v[6:7], v[32:33]
	v_mul_f64_e32 v[32:33], v[8:9], v[32:33]
	v_fma_f64 v[135:136], v[4:5], v[26:27], v[135:136]
	v_fma_f64 v[139:140], v[2:3], v[26:27], -v[28:29]
	ds_load_b128 v[2:5], v1 offset:928
	scratch_load_b128 v[26:29], off, off offset:464
	v_add_f64_e32 v[127:128], v[127:128], v[137:138]
	v_add_f64_e32 v[129:130], v[129:130], v[133:134]
	v_fma_f64 v[131:132], v[8:9], v[30:31], v[131:132]
	v_fma_f64 v[137:138], v[6:7], v[30:31], -v[32:33]
	ds_load_b128 v[6:9], v1 offset:944
	s_wait_loadcnt_dscnt 0x801
	v_mul_f64_e32 v[133:134], v[2:3], v[117:118]
	v_mul_f64_e32 v[117:118], v[4:5], v[117:118]
	scratch_load_b128 v[30:33], off, off offset:480
	v_add_f64_e32 v[127:128], v[127:128], v[139:140]
	v_add_f64_e32 v[129:130], v[129:130], v[135:136]
	s_wait_loadcnt_dscnt 0x800
	v_mul_f64_e32 v[135:136], v[6:7], v[125:126]
	v_mul_f64_e32 v[125:126], v[8:9], v[125:126]
	v_fma_f64 v[133:134], v[4:5], v[115:116], v[133:134]
	v_fma_f64 v[139:140], v[2:3], v[115:116], -v[117:118]
	ds_load_b128 v[2:5], v1 offset:960
	scratch_load_b128 v[115:118], off, off offset:496
	v_add_f64_e32 v[127:128], v[127:128], v[137:138]
	v_add_f64_e32 v[129:130], v[129:130], v[131:132]
	v_fma_f64 v[135:136], v[8:9], v[123:124], v[135:136]
	v_fma_f64 v[137:138], v[6:7], v[123:124], -v[125:126]
	ds_load_b128 v[6:9], v1 offset:976
	scratch_load_b128 v[123:126], off, off offset:512
	s_wait_loadcnt_dscnt 0x901
	v_mul_f64_e32 v[131:132], v[2:3], v[36:37]
	v_mul_f64_e32 v[36:37], v[4:5], v[36:37]
	v_add_f64_e32 v[127:128], v[127:128], v[139:140]
	v_add_f64_e32 v[129:130], v[129:130], v[133:134]
	s_wait_loadcnt_dscnt 0x800
	v_mul_f64_e32 v[133:134], v[6:7], v[121:122]
	v_mul_f64_e32 v[121:122], v[8:9], v[121:122]
	v_fma_f64 v[131:132], v[4:5], v[34:35], v[131:132]
	v_fma_f64 v[139:140], v[2:3], v[34:35], -v[36:37]
	ds_load_b128 v[2:5], v1 offset:992
	scratch_load_b128 v[34:37], off, off offset:528
	v_add_f64_e32 v[127:128], v[127:128], v[137:138]
	v_add_f64_e32 v[129:130], v[129:130], v[135:136]
	v_fma_f64 v[133:134], v[8:9], v[119:120], v[133:134]
	v_fma_f64 v[137:138], v[6:7], v[119:120], -v[121:122]
	ds_load_b128 v[6:9], v1 offset:1008
	s_wait_loadcnt_dscnt 0x801
	v_mul_f64_e32 v[135:136], v[2:3], v[12:13]
	v_mul_f64_e32 v[12:13], v[4:5], v[12:13]
	scratch_load_b128 v[119:122], off, off offset:544
	v_add_f64_e32 v[127:128], v[127:128], v[139:140]
	v_add_f64_e32 v[129:130], v[129:130], v[131:132]
	s_wait_loadcnt_dscnt 0x800
	v_mul_f64_e32 v[131:132], v[6:7], v[16:17]
	v_mul_f64_e32 v[16:17], v[8:9], v[16:17]
	v_fma_f64 v[135:136], v[4:5], v[10:11], v[135:136]
	v_fma_f64 v[139:140], v[2:3], v[10:11], -v[12:13]
	ds_load_b128 v[2:5], v1 offset:1024
	scratch_load_b128 v[10:13], off, off offset:560
	v_add_f64_e32 v[127:128], v[127:128], v[137:138]
	v_add_f64_e32 v[129:130], v[129:130], v[133:134]
	v_fma_f64 v[131:132], v[8:9], v[14:15], v[131:132]
	v_fma_f64 v[137:138], v[6:7], v[14:15], -v[16:17]
	ds_load_b128 v[6:9], v1 offset:1040
	s_wait_loadcnt_dscnt 0x801
	v_mul_f64_e32 v[133:134], v[2:3], v[20:21]
	v_mul_f64_e32 v[20:21], v[4:5], v[20:21]
	scratch_load_b128 v[14:17], off, off offset:576
	;; [unrolled: 18-line block ×3, first 2 shown]
	v_add_f64_e32 v[127:128], v[127:128], v[139:140]
	v_add_f64_e32 v[129:130], v[129:130], v[133:134]
	s_wait_loadcnt_dscnt 0x800
	v_mul_f64_e32 v[133:134], v[6:7], v[32:33]
	v_mul_f64_e32 v[32:33], v[8:9], v[32:33]
	v_fma_f64 v[131:132], v[4:5], v[26:27], v[131:132]
	v_fma_f64 v[26:27], v[2:3], v[26:27], -v[28:29]
	ds_load_b128 v[2:5], v1 offset:1088
	v_add_f64_e32 v[28:29], v[127:128], v[137:138]
	v_add_f64_e32 v[127:128], v[129:130], v[135:136]
	v_fma_f64 v[133:134], v[8:9], v[30:31], v[133:134]
	v_fma_f64 v[30:31], v[6:7], v[30:31], -v[32:33]
	ds_load_b128 v[6:9], v1 offset:1104
	s_wait_loadcnt_dscnt 0x701
	v_mul_f64_e32 v[129:130], v[2:3], v[117:118]
	v_mul_f64_e32 v[117:118], v[4:5], v[117:118]
	v_add_f64_e32 v[26:27], v[28:29], v[26:27]
	v_add_f64_e32 v[28:29], v[127:128], v[131:132]
	s_delay_alu instid0(VALU_DEP_4) | instskip(NEXT) | instid1(VALU_DEP_4)
	v_fma_f64 v[127:128], v[4:5], v[115:116], v[129:130]
	v_fma_f64 v[115:116], v[2:3], v[115:116], -v[117:118]
	ds_load_b128 v[2:5], v1 offset:1120
	v_add_f64_e32 v[30:31], v[26:27], v[30:31]
	v_add_f64_e32 v[117:118], v[28:29], v[133:134]
	scratch_load_b128 v[26:29], off, off offset:192
	s_wait_loadcnt_dscnt 0x701
	v_mul_f64_e32 v[32:33], v[6:7], v[125:126]
	v_mul_f64_e32 v[125:126], v[8:9], v[125:126]
	v_add_f64_e32 v[30:31], v[30:31], v[115:116]
	v_add_f64_e32 v[115:116], v[117:118], v[127:128]
	s_delay_alu instid0(VALU_DEP_4) | instskip(NEXT) | instid1(VALU_DEP_4)
	v_fma_f64 v[32:33], v[8:9], v[123:124], v[32:33]
	v_fma_f64 v[123:124], v[6:7], v[123:124], -v[125:126]
	ds_load_b128 v[6:9], v1 offset:1136
	s_wait_loadcnt_dscnt 0x601
	v_mul_f64_e32 v[129:130], v[2:3], v[36:37]
	v_mul_f64_e32 v[36:37], v[4:5], v[36:37]
	s_wait_loadcnt_dscnt 0x500
	v_mul_f64_e32 v[117:118], v[6:7], v[121:122]
	v_mul_f64_e32 v[121:122], v[8:9], v[121:122]
	v_add_f64_e32 v[32:33], v[115:116], v[32:33]
	v_add_f64_e32 v[30:31], v[30:31], v[123:124]
	v_fma_f64 v[125:126], v[4:5], v[34:35], v[129:130]
	v_fma_f64 v[34:35], v[2:3], v[34:35], -v[36:37]
	ds_load_b128 v[2:5], v1 offset:1152
	v_fma_f64 v[115:116], v[8:9], v[119:120], v[117:118]
	v_fma_f64 v[117:118], v[6:7], v[119:120], -v[121:122]
	ds_load_b128 v[6:9], v1 offset:1168
	s_wait_loadcnt_dscnt 0x401
	v_mul_f64_e32 v[36:37], v[2:3], v[12:13]
	v_mul_f64_e32 v[12:13], v[4:5], v[12:13]
	v_add_f64_e32 v[32:33], v[32:33], v[125:126]
	v_add_f64_e32 v[30:31], v[30:31], v[34:35]
	s_wait_loadcnt_dscnt 0x300
	v_mul_f64_e32 v[34:35], v[6:7], v[16:17]
	v_mul_f64_e32 v[16:17], v[8:9], v[16:17]
	v_fma_f64 v[36:37], v[4:5], v[10:11], v[36:37]
	v_fma_f64 v[10:11], v[2:3], v[10:11], -v[12:13]
	ds_load_b128 v[2:5], v1 offset:1184
	v_add_f64_e32 v[12:13], v[30:31], v[117:118]
	v_add_f64_e32 v[30:31], v[32:33], v[115:116]
	v_fma_f64 v[34:35], v[8:9], v[14:15], v[34:35]
	v_fma_f64 v[14:15], v[6:7], v[14:15], -v[16:17]
	ds_load_b128 v[6:9], v1 offset:1200
	s_wait_loadcnt_dscnt 0x201
	v_mul_f64_e32 v[32:33], v[2:3], v[20:21]
	v_mul_f64_e32 v[20:21], v[4:5], v[20:21]
	s_wait_loadcnt_dscnt 0x100
	v_mul_f64_e32 v[16:17], v[6:7], v[24:25]
	v_mul_f64_e32 v[24:25], v[8:9], v[24:25]
	v_add_f64_e32 v[10:11], v[12:13], v[10:11]
	v_add_f64_e32 v[12:13], v[30:31], v[36:37]
	v_fma_f64 v[4:5], v[4:5], v[18:19], v[32:33]
	v_fma_f64 v[1:2], v[2:3], v[18:19], -v[20:21]
	v_fma_f64 v[8:9], v[8:9], v[22:23], v[16:17]
	v_fma_f64 v[6:7], v[6:7], v[22:23], -v[24:25]
	v_add_f64_e32 v[10:11], v[10:11], v[14:15]
	v_add_f64_e32 v[12:13], v[12:13], v[34:35]
	s_delay_alu instid0(VALU_DEP_2) | instskip(NEXT) | instid1(VALU_DEP_2)
	v_add_f64_e32 v[1:2], v[10:11], v[1:2]
	v_add_f64_e32 v[3:4], v[12:13], v[4:5]
	s_delay_alu instid0(VALU_DEP_2) | instskip(NEXT) | instid1(VALU_DEP_2)
	v_add_f64_e32 v[1:2], v[1:2], v[6:7]
	v_add_f64_e32 v[3:4], v[3:4], v[8:9]
	s_wait_loadcnt 0x0
	s_delay_alu instid0(VALU_DEP_2) | instskip(NEXT) | instid1(VALU_DEP_2)
	v_add_f64_e64 v[1:2], v[26:27], -v[1:2]
	v_add_f64_e64 v[3:4], v[28:29], -v[3:4]
	scratch_store_b128 off, v[1:4], off offset:192
	v_cmpx_lt_u32_e32 10, v0
	s_cbranch_execz .LBB37_221
; %bb.220:
	scratch_load_b128 v[1:4], off, s41
	v_mov_b32_e32 v5, 0
	s_delay_alu instid0(VALU_DEP_1)
	v_dual_mov_b32 v6, v5 :: v_dual_mov_b32 v7, v5
	v_mov_b32_e32 v8, v5
	scratch_store_b128 off, v[5:8], off offset:176
	s_wait_loadcnt 0x0
	ds_store_b128 v114, v[1:4]
.LBB37_221:
	s_wait_alu 0xfffe
	s_or_b32 exec_lo, exec_lo, s0
	s_wait_storecnt_dscnt 0x0
	s_barrier_signal -1
	s_barrier_wait -1
	global_inv scope:SCOPE_SE
	s_clause 0x7
	scratch_load_b128 v[2:5], off, off offset:192
	scratch_load_b128 v[6:9], off, off offset:208
	;; [unrolled: 1-line block ×8, first 2 shown]
	v_mov_b32_e32 v1, 0
	s_clause 0x1
	scratch_load_b128 v[115:118], off, off offset:320
	scratch_load_b128 v[123:126], off, off offset:336
	s_mov_b32 s0, exec_lo
	ds_load_b128 v[34:37], v1 offset:784
	ds_load_b128 v[119:122], v1 offset:800
	s_wait_loadcnt_dscnt 0x901
	v_mul_f64_e32 v[127:128], v[36:37], v[4:5]
	v_mul_f64_e32 v[4:5], v[34:35], v[4:5]
	s_wait_loadcnt_dscnt 0x800
	v_mul_f64_e32 v[129:130], v[119:120], v[8:9]
	v_mul_f64_e32 v[8:9], v[121:122], v[8:9]
	s_delay_alu instid0(VALU_DEP_4) | instskip(NEXT) | instid1(VALU_DEP_4)
	v_fma_f64 v[127:128], v[34:35], v[2:3], -v[127:128]
	v_fma_f64 v[131:132], v[36:37], v[2:3], v[4:5]
	ds_load_b128 v[2:5], v1 offset:816
	scratch_load_b128 v[34:37], off, off offset:352
	v_fma_f64 v[129:130], v[121:122], v[6:7], v[129:130]
	v_fma_f64 v[135:136], v[119:120], v[6:7], -v[8:9]
	ds_load_b128 v[6:9], v1 offset:832
	scratch_load_b128 v[119:122], off, off offset:368
	s_wait_loadcnt_dscnt 0x901
	v_mul_f64_e32 v[133:134], v[2:3], v[12:13]
	v_mul_f64_e32 v[12:13], v[4:5], v[12:13]
	s_wait_loadcnt_dscnt 0x800
	v_mul_f64_e32 v[137:138], v[6:7], v[16:17]
	v_mul_f64_e32 v[16:17], v[8:9], v[16:17]
	v_add_f64_e32 v[127:128], 0, v[127:128]
	v_add_f64_e32 v[131:132], 0, v[131:132]
	v_fma_f64 v[133:134], v[4:5], v[10:11], v[133:134]
	v_fma_f64 v[139:140], v[2:3], v[10:11], -v[12:13]
	ds_load_b128 v[2:5], v1 offset:848
	scratch_load_b128 v[10:13], off, off offset:384
	v_add_f64_e32 v[127:128], v[127:128], v[135:136]
	v_add_f64_e32 v[129:130], v[131:132], v[129:130]
	v_fma_f64 v[135:136], v[8:9], v[14:15], v[137:138]
	v_fma_f64 v[137:138], v[6:7], v[14:15], -v[16:17]
	ds_load_b128 v[6:9], v1 offset:864
	scratch_load_b128 v[14:17], off, off offset:400
	s_wait_loadcnt_dscnt 0x901
	v_mul_f64_e32 v[131:132], v[2:3], v[20:21]
	v_mul_f64_e32 v[20:21], v[4:5], v[20:21]
	v_add_f64_e32 v[127:128], v[127:128], v[139:140]
	v_add_f64_e32 v[129:130], v[129:130], v[133:134]
	s_wait_loadcnt_dscnt 0x800
	v_mul_f64_e32 v[133:134], v[6:7], v[24:25]
	v_mul_f64_e32 v[24:25], v[8:9], v[24:25]
	v_fma_f64 v[131:132], v[4:5], v[18:19], v[131:132]
	v_fma_f64 v[139:140], v[2:3], v[18:19], -v[20:21]
	ds_load_b128 v[2:5], v1 offset:880
	scratch_load_b128 v[18:21], off, off offset:416
	v_add_f64_e32 v[127:128], v[127:128], v[137:138]
	v_add_f64_e32 v[129:130], v[129:130], v[135:136]
	v_fma_f64 v[133:134], v[8:9], v[22:23], v[133:134]
	v_fma_f64 v[137:138], v[6:7], v[22:23], -v[24:25]
	ds_load_b128 v[6:9], v1 offset:896
	s_wait_loadcnt_dscnt 0x801
	v_mul_f64_e32 v[135:136], v[2:3], v[28:29]
	v_mul_f64_e32 v[28:29], v[4:5], v[28:29]
	scratch_load_b128 v[22:25], off, off offset:432
	v_add_f64_e32 v[127:128], v[127:128], v[139:140]
	v_add_f64_e32 v[129:130], v[129:130], v[131:132]
	s_wait_loadcnt_dscnt 0x800
	v_mul_f64_e32 v[131:132], v[6:7], v[32:33]
	v_mul_f64_e32 v[32:33], v[8:9], v[32:33]
	v_fma_f64 v[135:136], v[4:5], v[26:27], v[135:136]
	v_fma_f64 v[139:140], v[2:3], v[26:27], -v[28:29]
	ds_load_b128 v[2:5], v1 offset:912
	scratch_load_b128 v[26:29], off, off offset:448
	v_add_f64_e32 v[127:128], v[127:128], v[137:138]
	v_add_f64_e32 v[129:130], v[129:130], v[133:134]
	v_fma_f64 v[131:132], v[8:9], v[30:31], v[131:132]
	v_fma_f64 v[137:138], v[6:7], v[30:31], -v[32:33]
	ds_load_b128 v[6:9], v1 offset:928
	s_wait_loadcnt_dscnt 0x801
	v_mul_f64_e32 v[133:134], v[2:3], v[117:118]
	v_mul_f64_e32 v[117:118], v[4:5], v[117:118]
	scratch_load_b128 v[30:33], off, off offset:464
	v_add_f64_e32 v[127:128], v[127:128], v[139:140]
	v_add_f64_e32 v[129:130], v[129:130], v[135:136]
	s_wait_loadcnt_dscnt 0x800
	v_mul_f64_e32 v[135:136], v[6:7], v[125:126]
	v_mul_f64_e32 v[125:126], v[8:9], v[125:126]
	v_fma_f64 v[133:134], v[4:5], v[115:116], v[133:134]
	v_fma_f64 v[139:140], v[2:3], v[115:116], -v[117:118]
	ds_load_b128 v[2:5], v1 offset:944
	scratch_load_b128 v[115:118], off, off offset:480
	v_add_f64_e32 v[127:128], v[127:128], v[137:138]
	v_add_f64_e32 v[129:130], v[129:130], v[131:132]
	v_fma_f64 v[135:136], v[8:9], v[123:124], v[135:136]
	v_fma_f64 v[137:138], v[6:7], v[123:124], -v[125:126]
	ds_load_b128 v[6:9], v1 offset:960
	scratch_load_b128 v[123:126], off, off offset:496
	s_wait_loadcnt_dscnt 0x901
	v_mul_f64_e32 v[131:132], v[2:3], v[36:37]
	v_mul_f64_e32 v[36:37], v[4:5], v[36:37]
	v_add_f64_e32 v[127:128], v[127:128], v[139:140]
	v_add_f64_e32 v[129:130], v[129:130], v[133:134]
	s_wait_loadcnt_dscnt 0x800
	v_mul_f64_e32 v[133:134], v[6:7], v[121:122]
	v_mul_f64_e32 v[121:122], v[8:9], v[121:122]
	v_fma_f64 v[131:132], v[4:5], v[34:35], v[131:132]
	v_fma_f64 v[139:140], v[2:3], v[34:35], -v[36:37]
	ds_load_b128 v[2:5], v1 offset:976
	scratch_load_b128 v[34:37], off, off offset:512
	v_add_f64_e32 v[127:128], v[127:128], v[137:138]
	v_add_f64_e32 v[129:130], v[129:130], v[135:136]
	v_fma_f64 v[133:134], v[8:9], v[119:120], v[133:134]
	v_fma_f64 v[137:138], v[6:7], v[119:120], -v[121:122]
	ds_load_b128 v[6:9], v1 offset:992
	s_wait_loadcnt_dscnt 0x801
	v_mul_f64_e32 v[135:136], v[2:3], v[12:13]
	v_mul_f64_e32 v[12:13], v[4:5], v[12:13]
	scratch_load_b128 v[119:122], off, off offset:528
	v_add_f64_e32 v[127:128], v[127:128], v[139:140]
	v_add_f64_e32 v[129:130], v[129:130], v[131:132]
	s_wait_loadcnt_dscnt 0x800
	v_mul_f64_e32 v[131:132], v[6:7], v[16:17]
	v_mul_f64_e32 v[16:17], v[8:9], v[16:17]
	v_fma_f64 v[135:136], v[4:5], v[10:11], v[135:136]
	v_fma_f64 v[139:140], v[2:3], v[10:11], -v[12:13]
	ds_load_b128 v[2:5], v1 offset:1008
	scratch_load_b128 v[10:13], off, off offset:544
	v_add_f64_e32 v[127:128], v[127:128], v[137:138]
	v_add_f64_e32 v[129:130], v[129:130], v[133:134]
	v_fma_f64 v[131:132], v[8:9], v[14:15], v[131:132]
	v_fma_f64 v[137:138], v[6:7], v[14:15], -v[16:17]
	ds_load_b128 v[6:9], v1 offset:1024
	s_wait_loadcnt_dscnt 0x801
	v_mul_f64_e32 v[133:134], v[2:3], v[20:21]
	v_mul_f64_e32 v[20:21], v[4:5], v[20:21]
	scratch_load_b128 v[14:17], off, off offset:560
	;; [unrolled: 18-line block ×3, first 2 shown]
	v_add_f64_e32 v[127:128], v[127:128], v[139:140]
	v_add_f64_e32 v[129:130], v[129:130], v[133:134]
	s_wait_loadcnt_dscnt 0x800
	v_mul_f64_e32 v[133:134], v[6:7], v[32:33]
	v_mul_f64_e32 v[32:33], v[8:9], v[32:33]
	v_fma_f64 v[131:132], v[4:5], v[26:27], v[131:132]
	v_fma_f64 v[139:140], v[2:3], v[26:27], -v[28:29]
	ds_load_b128 v[2:5], v1 offset:1072
	scratch_load_b128 v[26:29], off, off offset:608
	v_add_f64_e32 v[127:128], v[127:128], v[137:138]
	v_add_f64_e32 v[129:130], v[129:130], v[135:136]
	v_fma_f64 v[133:134], v[8:9], v[30:31], v[133:134]
	v_fma_f64 v[30:31], v[6:7], v[30:31], -v[32:33]
	ds_load_b128 v[6:9], v1 offset:1088
	s_wait_loadcnt_dscnt 0x801
	v_mul_f64_e32 v[135:136], v[2:3], v[117:118]
	v_mul_f64_e32 v[117:118], v[4:5], v[117:118]
	v_add_f64_e32 v[32:33], v[127:128], v[139:140]
	v_add_f64_e32 v[127:128], v[129:130], v[131:132]
	s_wait_loadcnt_dscnt 0x700
	v_mul_f64_e32 v[129:130], v[6:7], v[125:126]
	v_mul_f64_e32 v[125:126], v[8:9], v[125:126]
	v_fma_f64 v[131:132], v[4:5], v[115:116], v[135:136]
	v_fma_f64 v[115:116], v[2:3], v[115:116], -v[117:118]
	ds_load_b128 v[2:5], v1 offset:1104
	v_add_f64_e32 v[30:31], v[32:33], v[30:31]
	v_add_f64_e32 v[32:33], v[127:128], v[133:134]
	v_fma_f64 v[127:128], v[8:9], v[123:124], v[129:130]
	v_fma_f64 v[123:124], v[6:7], v[123:124], -v[125:126]
	ds_load_b128 v[6:9], v1 offset:1120
	s_wait_loadcnt_dscnt 0x500
	v_mul_f64_e32 v[129:130], v[6:7], v[121:122]
	v_mul_f64_e32 v[121:122], v[8:9], v[121:122]
	v_add_f64_e32 v[115:116], v[30:31], v[115:116]
	v_add_f64_e32 v[125:126], v[32:33], v[131:132]
	scratch_load_b128 v[30:33], off, off offset:176
	v_mul_f64_e32 v[117:118], v[2:3], v[36:37]
	v_mul_f64_e32 v[36:37], v[4:5], v[36:37]
	s_delay_alu instid0(VALU_DEP_2) | instskip(NEXT) | instid1(VALU_DEP_2)
	v_fma_f64 v[117:118], v[4:5], v[34:35], v[117:118]
	v_fma_f64 v[34:35], v[2:3], v[34:35], -v[36:37]
	v_add_f64_e32 v[36:37], v[115:116], v[123:124]
	v_add_f64_e32 v[115:116], v[125:126], v[127:128]
	ds_load_b128 v[2:5], v1 offset:1136
	v_fma_f64 v[125:126], v[8:9], v[119:120], v[129:130]
	v_fma_f64 v[119:120], v[6:7], v[119:120], -v[121:122]
	ds_load_b128 v[6:9], v1 offset:1152
	s_wait_loadcnt_dscnt 0x501
	v_mul_f64_e32 v[123:124], v[2:3], v[12:13]
	v_mul_f64_e32 v[12:13], v[4:5], v[12:13]
	v_add_f64_e32 v[34:35], v[36:37], v[34:35]
	v_add_f64_e32 v[36:37], v[115:116], v[117:118]
	s_wait_loadcnt_dscnt 0x400
	v_mul_f64_e32 v[115:116], v[6:7], v[16:17]
	v_mul_f64_e32 v[16:17], v[8:9], v[16:17]
	v_fma_f64 v[117:118], v[4:5], v[10:11], v[123:124]
	v_fma_f64 v[10:11], v[2:3], v[10:11], -v[12:13]
	ds_load_b128 v[2:5], v1 offset:1168
	v_add_f64_e32 v[12:13], v[34:35], v[119:120]
	v_add_f64_e32 v[34:35], v[36:37], v[125:126]
	v_fma_f64 v[115:116], v[8:9], v[14:15], v[115:116]
	v_fma_f64 v[14:15], v[6:7], v[14:15], -v[16:17]
	ds_load_b128 v[6:9], v1 offset:1184
	s_wait_loadcnt_dscnt 0x301
	v_mul_f64_e32 v[36:37], v[2:3], v[20:21]
	v_mul_f64_e32 v[20:21], v[4:5], v[20:21]
	s_wait_loadcnt_dscnt 0x200
	v_mul_f64_e32 v[16:17], v[6:7], v[24:25]
	v_mul_f64_e32 v[24:25], v[8:9], v[24:25]
	v_add_f64_e32 v[10:11], v[12:13], v[10:11]
	v_add_f64_e32 v[12:13], v[34:35], v[117:118]
	v_fma_f64 v[34:35], v[4:5], v[18:19], v[36:37]
	v_fma_f64 v[18:19], v[2:3], v[18:19], -v[20:21]
	ds_load_b128 v[2:5], v1 offset:1200
	v_fma_f64 v[8:9], v[8:9], v[22:23], v[16:17]
	v_fma_f64 v[6:7], v[6:7], v[22:23], -v[24:25]
	s_wait_loadcnt_dscnt 0x100
	v_mul_f64_e32 v[20:21], v[4:5], v[28:29]
	v_add_f64_e32 v[10:11], v[10:11], v[14:15]
	v_add_f64_e32 v[12:13], v[12:13], v[115:116]
	v_mul_f64_e32 v[14:15], v[2:3], v[28:29]
	s_delay_alu instid0(VALU_DEP_4) | instskip(NEXT) | instid1(VALU_DEP_4)
	v_fma_f64 v[2:3], v[2:3], v[26:27], -v[20:21]
	v_add_f64_e32 v[10:11], v[10:11], v[18:19]
	s_delay_alu instid0(VALU_DEP_4) | instskip(NEXT) | instid1(VALU_DEP_4)
	v_add_f64_e32 v[12:13], v[12:13], v[34:35]
	v_fma_f64 v[4:5], v[4:5], v[26:27], v[14:15]
	s_delay_alu instid0(VALU_DEP_3) | instskip(NEXT) | instid1(VALU_DEP_3)
	v_add_f64_e32 v[6:7], v[10:11], v[6:7]
	v_add_f64_e32 v[8:9], v[12:13], v[8:9]
	s_delay_alu instid0(VALU_DEP_2) | instskip(NEXT) | instid1(VALU_DEP_2)
	v_add_f64_e32 v[2:3], v[6:7], v[2:3]
	v_add_f64_e32 v[4:5], v[8:9], v[4:5]
	s_wait_loadcnt 0x0
	s_delay_alu instid0(VALU_DEP_2) | instskip(NEXT) | instid1(VALU_DEP_2)
	v_add_f64_e64 v[2:3], v[30:31], -v[2:3]
	v_add_f64_e64 v[4:5], v[32:33], -v[4:5]
	scratch_store_b128 off, v[2:5], off offset:176
	v_cmpx_lt_u32_e32 9, v0
	s_cbranch_execz .LBB37_223
; %bb.222:
	scratch_load_b128 v[5:8], off, s42
	v_dual_mov_b32 v2, v1 :: v_dual_mov_b32 v3, v1
	v_mov_b32_e32 v4, v1
	scratch_store_b128 off, v[1:4], off offset:160
	s_wait_loadcnt 0x0
	ds_store_b128 v114, v[5:8]
.LBB37_223:
	s_wait_alu 0xfffe
	s_or_b32 exec_lo, exec_lo, s0
	s_wait_storecnt_dscnt 0x0
	s_barrier_signal -1
	s_barrier_wait -1
	global_inv scope:SCOPE_SE
	s_clause 0x7
	scratch_load_b128 v[2:5], off, off offset:176
	scratch_load_b128 v[6:9], off, off offset:192
	;; [unrolled: 1-line block ×8, first 2 shown]
	ds_load_b128 v[34:37], v1 offset:768
	ds_load_b128 v[119:122], v1 offset:784
	s_clause 0x1
	scratch_load_b128 v[115:118], off, off offset:304
	scratch_load_b128 v[123:126], off, off offset:320
	s_mov_b32 s0, exec_lo
	s_wait_loadcnt_dscnt 0x901
	v_mul_f64_e32 v[127:128], v[36:37], v[4:5]
	v_mul_f64_e32 v[4:5], v[34:35], v[4:5]
	s_wait_loadcnt_dscnt 0x800
	v_mul_f64_e32 v[129:130], v[119:120], v[8:9]
	v_mul_f64_e32 v[8:9], v[121:122], v[8:9]
	s_delay_alu instid0(VALU_DEP_4) | instskip(NEXT) | instid1(VALU_DEP_4)
	v_fma_f64 v[127:128], v[34:35], v[2:3], -v[127:128]
	v_fma_f64 v[131:132], v[36:37], v[2:3], v[4:5]
	scratch_load_b128 v[34:37], off, off offset:336
	ds_load_b128 v[2:5], v1 offset:800
	v_fma_f64 v[129:130], v[121:122], v[6:7], v[129:130]
	v_fma_f64 v[135:136], v[119:120], v[6:7], -v[8:9]
	ds_load_b128 v[6:9], v1 offset:816
	scratch_load_b128 v[119:122], off, off offset:352
	s_wait_loadcnt_dscnt 0x901
	v_mul_f64_e32 v[133:134], v[2:3], v[12:13]
	v_mul_f64_e32 v[12:13], v[4:5], v[12:13]
	s_wait_loadcnt_dscnt 0x800
	v_mul_f64_e32 v[137:138], v[6:7], v[16:17]
	v_mul_f64_e32 v[16:17], v[8:9], v[16:17]
	v_add_f64_e32 v[127:128], 0, v[127:128]
	v_add_f64_e32 v[131:132], 0, v[131:132]
	v_fma_f64 v[133:134], v[4:5], v[10:11], v[133:134]
	v_fma_f64 v[139:140], v[2:3], v[10:11], -v[12:13]
	ds_load_b128 v[2:5], v1 offset:832
	scratch_load_b128 v[10:13], off, off offset:368
	v_add_f64_e32 v[127:128], v[127:128], v[135:136]
	v_add_f64_e32 v[129:130], v[131:132], v[129:130]
	v_fma_f64 v[135:136], v[8:9], v[14:15], v[137:138]
	v_fma_f64 v[137:138], v[6:7], v[14:15], -v[16:17]
	ds_load_b128 v[6:9], v1 offset:848
	scratch_load_b128 v[14:17], off, off offset:384
	s_wait_loadcnt_dscnt 0x901
	v_mul_f64_e32 v[131:132], v[2:3], v[20:21]
	v_mul_f64_e32 v[20:21], v[4:5], v[20:21]
	v_add_f64_e32 v[127:128], v[127:128], v[139:140]
	v_add_f64_e32 v[129:130], v[129:130], v[133:134]
	s_wait_loadcnt_dscnt 0x800
	v_mul_f64_e32 v[133:134], v[6:7], v[24:25]
	v_mul_f64_e32 v[24:25], v[8:9], v[24:25]
	v_fma_f64 v[131:132], v[4:5], v[18:19], v[131:132]
	v_fma_f64 v[139:140], v[2:3], v[18:19], -v[20:21]
	ds_load_b128 v[2:5], v1 offset:864
	scratch_load_b128 v[18:21], off, off offset:400
	v_add_f64_e32 v[127:128], v[127:128], v[137:138]
	v_add_f64_e32 v[129:130], v[129:130], v[135:136]
	v_fma_f64 v[133:134], v[8:9], v[22:23], v[133:134]
	v_fma_f64 v[137:138], v[6:7], v[22:23], -v[24:25]
	ds_load_b128 v[6:9], v1 offset:880
	s_wait_loadcnt_dscnt 0x801
	v_mul_f64_e32 v[135:136], v[2:3], v[28:29]
	v_mul_f64_e32 v[28:29], v[4:5], v[28:29]
	scratch_load_b128 v[22:25], off, off offset:416
	v_add_f64_e32 v[127:128], v[127:128], v[139:140]
	v_add_f64_e32 v[129:130], v[129:130], v[131:132]
	s_wait_loadcnt_dscnt 0x800
	v_mul_f64_e32 v[131:132], v[6:7], v[32:33]
	v_mul_f64_e32 v[32:33], v[8:9], v[32:33]
	v_fma_f64 v[135:136], v[4:5], v[26:27], v[135:136]
	v_fma_f64 v[139:140], v[2:3], v[26:27], -v[28:29]
	ds_load_b128 v[2:5], v1 offset:896
	scratch_load_b128 v[26:29], off, off offset:432
	v_add_f64_e32 v[127:128], v[127:128], v[137:138]
	v_add_f64_e32 v[129:130], v[129:130], v[133:134]
	v_fma_f64 v[131:132], v[8:9], v[30:31], v[131:132]
	v_fma_f64 v[137:138], v[6:7], v[30:31], -v[32:33]
	ds_load_b128 v[6:9], v1 offset:912
	s_wait_loadcnt_dscnt 0x801
	v_mul_f64_e32 v[133:134], v[2:3], v[117:118]
	v_mul_f64_e32 v[117:118], v[4:5], v[117:118]
	scratch_load_b128 v[30:33], off, off offset:448
	v_add_f64_e32 v[127:128], v[127:128], v[139:140]
	v_add_f64_e32 v[129:130], v[129:130], v[135:136]
	s_wait_loadcnt_dscnt 0x800
	v_mul_f64_e32 v[135:136], v[6:7], v[125:126]
	v_mul_f64_e32 v[125:126], v[8:9], v[125:126]
	v_fma_f64 v[133:134], v[4:5], v[115:116], v[133:134]
	v_fma_f64 v[139:140], v[2:3], v[115:116], -v[117:118]
	ds_load_b128 v[2:5], v1 offset:928
	scratch_load_b128 v[115:118], off, off offset:464
	v_add_f64_e32 v[127:128], v[127:128], v[137:138]
	v_add_f64_e32 v[129:130], v[129:130], v[131:132]
	v_fma_f64 v[135:136], v[8:9], v[123:124], v[135:136]
	v_fma_f64 v[137:138], v[6:7], v[123:124], -v[125:126]
	ds_load_b128 v[6:9], v1 offset:944
	scratch_load_b128 v[123:126], off, off offset:480
	s_wait_loadcnt_dscnt 0x901
	v_mul_f64_e32 v[131:132], v[2:3], v[36:37]
	v_mul_f64_e32 v[36:37], v[4:5], v[36:37]
	v_add_f64_e32 v[127:128], v[127:128], v[139:140]
	v_add_f64_e32 v[129:130], v[129:130], v[133:134]
	s_wait_loadcnt_dscnt 0x800
	v_mul_f64_e32 v[133:134], v[6:7], v[121:122]
	v_mul_f64_e32 v[121:122], v[8:9], v[121:122]
	v_fma_f64 v[131:132], v[4:5], v[34:35], v[131:132]
	v_fma_f64 v[139:140], v[2:3], v[34:35], -v[36:37]
	scratch_load_b128 v[34:37], off, off offset:496
	ds_load_b128 v[2:5], v1 offset:960
	v_add_f64_e32 v[127:128], v[127:128], v[137:138]
	v_add_f64_e32 v[129:130], v[129:130], v[135:136]
	v_fma_f64 v[133:134], v[8:9], v[119:120], v[133:134]
	v_fma_f64 v[137:138], v[6:7], v[119:120], -v[121:122]
	ds_load_b128 v[6:9], v1 offset:976
	s_wait_loadcnt_dscnt 0x801
	v_mul_f64_e32 v[135:136], v[2:3], v[12:13]
	v_mul_f64_e32 v[12:13], v[4:5], v[12:13]
	scratch_load_b128 v[119:122], off, off offset:512
	v_add_f64_e32 v[127:128], v[127:128], v[139:140]
	v_add_f64_e32 v[129:130], v[129:130], v[131:132]
	s_wait_loadcnt_dscnt 0x800
	v_mul_f64_e32 v[131:132], v[6:7], v[16:17]
	v_mul_f64_e32 v[16:17], v[8:9], v[16:17]
	v_fma_f64 v[135:136], v[4:5], v[10:11], v[135:136]
	v_fma_f64 v[139:140], v[2:3], v[10:11], -v[12:13]
	ds_load_b128 v[2:5], v1 offset:992
	scratch_load_b128 v[10:13], off, off offset:528
	v_add_f64_e32 v[127:128], v[127:128], v[137:138]
	v_add_f64_e32 v[129:130], v[129:130], v[133:134]
	v_fma_f64 v[131:132], v[8:9], v[14:15], v[131:132]
	v_fma_f64 v[137:138], v[6:7], v[14:15], -v[16:17]
	ds_load_b128 v[6:9], v1 offset:1008
	s_wait_loadcnt_dscnt 0x801
	v_mul_f64_e32 v[133:134], v[2:3], v[20:21]
	v_mul_f64_e32 v[20:21], v[4:5], v[20:21]
	scratch_load_b128 v[14:17], off, off offset:544
	v_add_f64_e32 v[127:128], v[127:128], v[139:140]
	v_add_f64_e32 v[129:130], v[129:130], v[135:136]
	s_wait_loadcnt_dscnt 0x800
	v_mul_f64_e32 v[135:136], v[6:7], v[24:25]
	v_mul_f64_e32 v[24:25], v[8:9], v[24:25]
	v_fma_f64 v[133:134], v[4:5], v[18:19], v[133:134]
	v_fma_f64 v[139:140], v[2:3], v[18:19], -v[20:21]
	ds_load_b128 v[2:5], v1 offset:1024
	scratch_load_b128 v[18:21], off, off offset:560
	;; [unrolled: 18-line block ×3, first 2 shown]
	v_add_f64_e32 v[127:128], v[127:128], v[137:138]
	v_add_f64_e32 v[129:130], v[129:130], v[135:136]
	v_fma_f64 v[133:134], v[8:9], v[30:31], v[133:134]
	v_fma_f64 v[137:138], v[6:7], v[30:31], -v[32:33]
	ds_load_b128 v[6:9], v1 offset:1072
	s_wait_loadcnt_dscnt 0x801
	v_mul_f64_e32 v[135:136], v[2:3], v[117:118]
	v_mul_f64_e32 v[117:118], v[4:5], v[117:118]
	scratch_load_b128 v[30:33], off, off offset:608
	v_add_f64_e32 v[127:128], v[127:128], v[139:140]
	v_add_f64_e32 v[129:130], v[129:130], v[131:132]
	v_fma_f64 v[135:136], v[4:5], v[115:116], v[135:136]
	v_fma_f64 v[115:116], v[2:3], v[115:116], -v[117:118]
	ds_load_b128 v[2:5], v1 offset:1088
	v_add_f64_e32 v[117:118], v[127:128], v[137:138]
	v_add_f64_e32 v[127:128], v[129:130], v[133:134]
	s_wait_loadcnt_dscnt 0x700
	v_mul_f64_e32 v[129:130], v[2:3], v[36:37]
	v_mul_f64_e32 v[36:37], v[4:5], v[36:37]
	s_delay_alu instid0(VALU_DEP_4) | instskip(NEXT) | instid1(VALU_DEP_4)
	v_add_f64_e32 v[115:116], v[117:118], v[115:116]
	v_add_f64_e32 v[117:118], v[127:128], v[135:136]
	s_delay_alu instid0(VALU_DEP_4) | instskip(NEXT) | instid1(VALU_DEP_4)
	v_fma_f64 v[127:128], v[4:5], v[34:35], v[129:130]
	v_fma_f64 v[129:130], v[2:3], v[34:35], -v[36:37]
	scratch_load_b128 v[34:37], off, off offset:160
	v_mul_f64_e32 v[131:132], v[6:7], v[125:126]
	v_mul_f64_e32 v[125:126], v[8:9], v[125:126]
	ds_load_b128 v[2:5], v1 offset:1120
	v_fma_f64 v[131:132], v[8:9], v[123:124], v[131:132]
	v_fma_f64 v[123:124], v[6:7], v[123:124], -v[125:126]
	ds_load_b128 v[6:9], v1 offset:1104
	s_wait_loadcnt_dscnt 0x700
	v_mul_f64_e32 v[125:126], v[6:7], v[121:122]
	v_mul_f64_e32 v[121:122], v[8:9], v[121:122]
	v_add_f64_e32 v[117:118], v[117:118], v[131:132]
	v_add_f64_e32 v[115:116], v[115:116], v[123:124]
	s_wait_loadcnt 0x6
	v_mul_f64_e32 v[123:124], v[2:3], v[12:13]
	v_mul_f64_e32 v[12:13], v[4:5], v[12:13]
	v_fma_f64 v[125:126], v[8:9], v[119:120], v[125:126]
	v_fma_f64 v[119:120], v[6:7], v[119:120], -v[121:122]
	ds_load_b128 v[6:9], v1 offset:1136
	v_add_f64_e32 v[117:118], v[117:118], v[127:128]
	v_add_f64_e32 v[115:116], v[115:116], v[129:130]
	v_fma_f64 v[123:124], v[4:5], v[10:11], v[123:124]
	v_fma_f64 v[10:11], v[2:3], v[10:11], -v[12:13]
	ds_load_b128 v[2:5], v1 offset:1152
	s_wait_loadcnt_dscnt 0x501
	v_mul_f64_e32 v[121:122], v[6:7], v[16:17]
	v_mul_f64_e32 v[16:17], v[8:9], v[16:17]
	v_add_f64_e32 v[12:13], v[115:116], v[119:120]
	v_add_f64_e32 v[115:116], v[117:118], v[125:126]
	s_wait_loadcnt_dscnt 0x400
	v_mul_f64_e32 v[117:118], v[2:3], v[20:21]
	v_mul_f64_e32 v[20:21], v[4:5], v[20:21]
	v_fma_f64 v[119:120], v[8:9], v[14:15], v[121:122]
	v_fma_f64 v[14:15], v[6:7], v[14:15], -v[16:17]
	ds_load_b128 v[6:9], v1 offset:1168
	v_add_f64_e32 v[10:11], v[12:13], v[10:11]
	v_add_f64_e32 v[12:13], v[115:116], v[123:124]
	v_fma_f64 v[115:116], v[4:5], v[18:19], v[117:118]
	v_fma_f64 v[18:19], v[2:3], v[18:19], -v[20:21]
	ds_load_b128 v[2:5], v1 offset:1184
	s_wait_loadcnt_dscnt 0x301
	v_mul_f64_e32 v[16:17], v[6:7], v[24:25]
	v_mul_f64_e32 v[24:25], v[8:9], v[24:25]
	s_wait_loadcnt_dscnt 0x200
	v_mul_f64_e32 v[20:21], v[4:5], v[28:29]
	v_add_f64_e32 v[10:11], v[10:11], v[14:15]
	v_add_f64_e32 v[12:13], v[12:13], v[119:120]
	v_mul_f64_e32 v[14:15], v[2:3], v[28:29]
	v_fma_f64 v[16:17], v[8:9], v[22:23], v[16:17]
	v_fma_f64 v[22:23], v[6:7], v[22:23], -v[24:25]
	ds_load_b128 v[6:9], v1 offset:1200
	v_fma_f64 v[1:2], v[2:3], v[26:27], -v[20:21]
	s_wait_loadcnt_dscnt 0x100
	v_mul_f64_e32 v[24:25], v[8:9], v[32:33]
	v_add_f64_e32 v[10:11], v[10:11], v[18:19]
	v_add_f64_e32 v[12:13], v[12:13], v[115:116]
	v_mul_f64_e32 v[18:19], v[6:7], v[32:33]
	v_fma_f64 v[4:5], v[4:5], v[26:27], v[14:15]
	v_fma_f64 v[6:7], v[6:7], v[30:31], -v[24:25]
	v_add_f64_e32 v[10:11], v[10:11], v[22:23]
	v_add_f64_e32 v[12:13], v[12:13], v[16:17]
	v_fma_f64 v[8:9], v[8:9], v[30:31], v[18:19]
	s_delay_alu instid0(VALU_DEP_3) | instskip(NEXT) | instid1(VALU_DEP_3)
	v_add_f64_e32 v[1:2], v[10:11], v[1:2]
	v_add_f64_e32 v[3:4], v[12:13], v[4:5]
	s_delay_alu instid0(VALU_DEP_2) | instskip(NEXT) | instid1(VALU_DEP_2)
	v_add_f64_e32 v[1:2], v[1:2], v[6:7]
	v_add_f64_e32 v[3:4], v[3:4], v[8:9]
	s_wait_loadcnt 0x0
	s_delay_alu instid0(VALU_DEP_2) | instskip(NEXT) | instid1(VALU_DEP_2)
	v_add_f64_e64 v[1:2], v[34:35], -v[1:2]
	v_add_f64_e64 v[3:4], v[36:37], -v[3:4]
	scratch_store_b128 off, v[1:4], off offset:160
	v_cmpx_lt_u32_e32 8, v0
	s_cbranch_execz .LBB37_225
; %bb.224:
	scratch_load_b128 v[1:4], off, s43
	v_mov_b32_e32 v5, 0
	s_delay_alu instid0(VALU_DEP_1)
	v_dual_mov_b32 v6, v5 :: v_dual_mov_b32 v7, v5
	v_mov_b32_e32 v8, v5
	scratch_store_b128 off, v[5:8], off offset:144
	s_wait_loadcnt 0x0
	ds_store_b128 v114, v[1:4]
.LBB37_225:
	s_wait_alu 0xfffe
	s_or_b32 exec_lo, exec_lo, s0
	s_wait_storecnt_dscnt 0x0
	s_barrier_signal -1
	s_barrier_wait -1
	global_inv scope:SCOPE_SE
	s_clause 0x7
	scratch_load_b128 v[2:5], off, off offset:160
	scratch_load_b128 v[6:9], off, off offset:176
	;; [unrolled: 1-line block ×8, first 2 shown]
	v_mov_b32_e32 v1, 0
	s_clause 0x1
	scratch_load_b128 v[115:118], off, off offset:288
	scratch_load_b128 v[123:126], off, off offset:304
	s_mov_b32 s0, exec_lo
	ds_load_b128 v[34:37], v1 offset:752
	ds_load_b128 v[119:122], v1 offset:768
	s_wait_loadcnt_dscnt 0x901
	v_mul_f64_e32 v[127:128], v[36:37], v[4:5]
	v_mul_f64_e32 v[4:5], v[34:35], v[4:5]
	s_wait_loadcnt_dscnt 0x800
	v_mul_f64_e32 v[129:130], v[119:120], v[8:9]
	v_mul_f64_e32 v[8:9], v[121:122], v[8:9]
	s_delay_alu instid0(VALU_DEP_4) | instskip(NEXT) | instid1(VALU_DEP_4)
	v_fma_f64 v[127:128], v[34:35], v[2:3], -v[127:128]
	v_fma_f64 v[131:132], v[36:37], v[2:3], v[4:5]
	ds_load_b128 v[2:5], v1 offset:784
	scratch_load_b128 v[34:37], off, off offset:320
	v_fma_f64 v[129:130], v[121:122], v[6:7], v[129:130]
	v_fma_f64 v[135:136], v[119:120], v[6:7], -v[8:9]
	ds_load_b128 v[6:9], v1 offset:800
	scratch_load_b128 v[119:122], off, off offset:336
	s_wait_loadcnt_dscnt 0x901
	v_mul_f64_e32 v[133:134], v[2:3], v[12:13]
	v_mul_f64_e32 v[12:13], v[4:5], v[12:13]
	s_wait_loadcnt_dscnt 0x800
	v_mul_f64_e32 v[137:138], v[6:7], v[16:17]
	v_mul_f64_e32 v[16:17], v[8:9], v[16:17]
	v_add_f64_e32 v[127:128], 0, v[127:128]
	v_add_f64_e32 v[131:132], 0, v[131:132]
	v_fma_f64 v[133:134], v[4:5], v[10:11], v[133:134]
	v_fma_f64 v[139:140], v[2:3], v[10:11], -v[12:13]
	ds_load_b128 v[2:5], v1 offset:816
	scratch_load_b128 v[10:13], off, off offset:352
	v_add_f64_e32 v[127:128], v[127:128], v[135:136]
	v_add_f64_e32 v[129:130], v[131:132], v[129:130]
	v_fma_f64 v[135:136], v[8:9], v[14:15], v[137:138]
	v_fma_f64 v[137:138], v[6:7], v[14:15], -v[16:17]
	ds_load_b128 v[6:9], v1 offset:832
	scratch_load_b128 v[14:17], off, off offset:368
	s_wait_loadcnt_dscnt 0x901
	v_mul_f64_e32 v[131:132], v[2:3], v[20:21]
	v_mul_f64_e32 v[20:21], v[4:5], v[20:21]
	v_add_f64_e32 v[127:128], v[127:128], v[139:140]
	v_add_f64_e32 v[129:130], v[129:130], v[133:134]
	s_wait_loadcnt_dscnt 0x800
	v_mul_f64_e32 v[133:134], v[6:7], v[24:25]
	v_mul_f64_e32 v[24:25], v[8:9], v[24:25]
	v_fma_f64 v[131:132], v[4:5], v[18:19], v[131:132]
	v_fma_f64 v[139:140], v[2:3], v[18:19], -v[20:21]
	ds_load_b128 v[2:5], v1 offset:848
	scratch_load_b128 v[18:21], off, off offset:384
	v_add_f64_e32 v[127:128], v[127:128], v[137:138]
	v_add_f64_e32 v[129:130], v[129:130], v[135:136]
	v_fma_f64 v[133:134], v[8:9], v[22:23], v[133:134]
	v_fma_f64 v[137:138], v[6:7], v[22:23], -v[24:25]
	ds_load_b128 v[6:9], v1 offset:864
	s_wait_loadcnt_dscnt 0x801
	v_mul_f64_e32 v[135:136], v[2:3], v[28:29]
	v_mul_f64_e32 v[28:29], v[4:5], v[28:29]
	scratch_load_b128 v[22:25], off, off offset:400
	v_add_f64_e32 v[127:128], v[127:128], v[139:140]
	v_add_f64_e32 v[129:130], v[129:130], v[131:132]
	s_wait_loadcnt_dscnt 0x800
	v_mul_f64_e32 v[131:132], v[6:7], v[32:33]
	v_mul_f64_e32 v[32:33], v[8:9], v[32:33]
	v_fma_f64 v[135:136], v[4:5], v[26:27], v[135:136]
	v_fma_f64 v[139:140], v[2:3], v[26:27], -v[28:29]
	ds_load_b128 v[2:5], v1 offset:880
	scratch_load_b128 v[26:29], off, off offset:416
	v_add_f64_e32 v[127:128], v[127:128], v[137:138]
	v_add_f64_e32 v[129:130], v[129:130], v[133:134]
	v_fma_f64 v[131:132], v[8:9], v[30:31], v[131:132]
	v_fma_f64 v[137:138], v[6:7], v[30:31], -v[32:33]
	ds_load_b128 v[6:9], v1 offset:896
	s_wait_loadcnt_dscnt 0x801
	v_mul_f64_e32 v[133:134], v[2:3], v[117:118]
	v_mul_f64_e32 v[117:118], v[4:5], v[117:118]
	scratch_load_b128 v[30:33], off, off offset:432
	v_add_f64_e32 v[127:128], v[127:128], v[139:140]
	v_add_f64_e32 v[129:130], v[129:130], v[135:136]
	s_wait_loadcnt_dscnt 0x800
	v_mul_f64_e32 v[135:136], v[6:7], v[125:126]
	v_mul_f64_e32 v[125:126], v[8:9], v[125:126]
	v_fma_f64 v[133:134], v[4:5], v[115:116], v[133:134]
	v_fma_f64 v[139:140], v[2:3], v[115:116], -v[117:118]
	ds_load_b128 v[2:5], v1 offset:912
	scratch_load_b128 v[115:118], off, off offset:448
	v_add_f64_e32 v[127:128], v[127:128], v[137:138]
	v_add_f64_e32 v[129:130], v[129:130], v[131:132]
	v_fma_f64 v[135:136], v[8:9], v[123:124], v[135:136]
	v_fma_f64 v[137:138], v[6:7], v[123:124], -v[125:126]
	ds_load_b128 v[6:9], v1 offset:928
	scratch_load_b128 v[123:126], off, off offset:464
	s_wait_loadcnt_dscnt 0x901
	v_mul_f64_e32 v[131:132], v[2:3], v[36:37]
	v_mul_f64_e32 v[36:37], v[4:5], v[36:37]
	v_add_f64_e32 v[127:128], v[127:128], v[139:140]
	v_add_f64_e32 v[129:130], v[129:130], v[133:134]
	s_wait_loadcnt_dscnt 0x800
	v_mul_f64_e32 v[133:134], v[6:7], v[121:122]
	v_mul_f64_e32 v[121:122], v[8:9], v[121:122]
	v_fma_f64 v[131:132], v[4:5], v[34:35], v[131:132]
	v_fma_f64 v[139:140], v[2:3], v[34:35], -v[36:37]
	ds_load_b128 v[2:5], v1 offset:944
	scratch_load_b128 v[34:37], off, off offset:480
	v_add_f64_e32 v[127:128], v[127:128], v[137:138]
	v_add_f64_e32 v[129:130], v[129:130], v[135:136]
	v_fma_f64 v[133:134], v[8:9], v[119:120], v[133:134]
	v_fma_f64 v[137:138], v[6:7], v[119:120], -v[121:122]
	ds_load_b128 v[6:9], v1 offset:960
	s_wait_loadcnt_dscnt 0x801
	v_mul_f64_e32 v[135:136], v[2:3], v[12:13]
	v_mul_f64_e32 v[12:13], v[4:5], v[12:13]
	scratch_load_b128 v[119:122], off, off offset:496
	v_add_f64_e32 v[127:128], v[127:128], v[139:140]
	v_add_f64_e32 v[129:130], v[129:130], v[131:132]
	s_wait_loadcnt_dscnt 0x800
	v_mul_f64_e32 v[131:132], v[6:7], v[16:17]
	v_mul_f64_e32 v[16:17], v[8:9], v[16:17]
	v_fma_f64 v[135:136], v[4:5], v[10:11], v[135:136]
	v_fma_f64 v[139:140], v[2:3], v[10:11], -v[12:13]
	ds_load_b128 v[2:5], v1 offset:976
	scratch_load_b128 v[10:13], off, off offset:512
	v_add_f64_e32 v[127:128], v[127:128], v[137:138]
	v_add_f64_e32 v[129:130], v[129:130], v[133:134]
	v_fma_f64 v[131:132], v[8:9], v[14:15], v[131:132]
	v_fma_f64 v[137:138], v[6:7], v[14:15], -v[16:17]
	ds_load_b128 v[6:9], v1 offset:992
	s_wait_loadcnt_dscnt 0x801
	v_mul_f64_e32 v[133:134], v[2:3], v[20:21]
	v_mul_f64_e32 v[20:21], v[4:5], v[20:21]
	scratch_load_b128 v[14:17], off, off offset:528
	;; [unrolled: 18-line block ×4, first 2 shown]
	v_add_f64_e32 v[127:128], v[127:128], v[139:140]
	v_add_f64_e32 v[129:130], v[129:130], v[131:132]
	s_wait_loadcnt_dscnt 0x800
	v_mul_f64_e32 v[131:132], v[6:7], v[125:126]
	v_mul_f64_e32 v[125:126], v[8:9], v[125:126]
	v_fma_f64 v[135:136], v[4:5], v[115:116], v[135:136]
	v_fma_f64 v[139:140], v[2:3], v[115:116], -v[117:118]
	ds_load_b128 v[2:5], v1 offset:1072
	scratch_load_b128 v[115:118], off, off offset:608
	v_add_f64_e32 v[127:128], v[127:128], v[137:138]
	v_add_f64_e32 v[129:130], v[129:130], v[133:134]
	v_fma_f64 v[131:132], v[8:9], v[123:124], v[131:132]
	v_fma_f64 v[123:124], v[6:7], v[123:124], -v[125:126]
	ds_load_b128 v[6:9], v1 offset:1088
	s_wait_loadcnt_dscnt 0x801
	v_mul_f64_e32 v[133:134], v[2:3], v[36:37]
	v_mul_f64_e32 v[36:37], v[4:5], v[36:37]
	v_add_f64_e32 v[125:126], v[127:128], v[139:140]
	v_add_f64_e32 v[127:128], v[129:130], v[135:136]
	s_wait_loadcnt_dscnt 0x700
	v_mul_f64_e32 v[129:130], v[6:7], v[121:122]
	v_mul_f64_e32 v[121:122], v[8:9], v[121:122]
	v_fma_f64 v[133:134], v[4:5], v[34:35], v[133:134]
	v_fma_f64 v[34:35], v[2:3], v[34:35], -v[36:37]
	ds_load_b128 v[2:5], v1 offset:1104
	v_add_f64_e32 v[36:37], v[125:126], v[123:124]
	v_add_f64_e32 v[123:124], v[127:128], v[131:132]
	v_fma_f64 v[127:128], v[8:9], v[119:120], v[129:130]
	v_fma_f64 v[119:120], v[6:7], v[119:120], -v[121:122]
	ds_load_b128 v[6:9], v1 offset:1120
	s_wait_loadcnt_dscnt 0x500
	v_mul_f64_e32 v[129:130], v[6:7], v[16:17]
	v_mul_f64_e32 v[16:17], v[8:9], v[16:17]
	v_add_f64_e32 v[121:122], v[36:37], v[34:35]
	v_add_f64_e32 v[123:124], v[123:124], v[133:134]
	scratch_load_b128 v[34:37], off, off offset:144
	v_mul_f64_e32 v[125:126], v[2:3], v[12:13]
	v_mul_f64_e32 v[12:13], v[4:5], v[12:13]
	s_delay_alu instid0(VALU_DEP_2) | instskip(NEXT) | instid1(VALU_DEP_2)
	v_fma_f64 v[125:126], v[4:5], v[10:11], v[125:126]
	v_fma_f64 v[10:11], v[2:3], v[10:11], -v[12:13]
	v_add_f64_e32 v[12:13], v[121:122], v[119:120]
	v_add_f64_e32 v[119:120], v[123:124], v[127:128]
	ds_load_b128 v[2:5], v1 offset:1136
	v_fma_f64 v[123:124], v[8:9], v[14:15], v[129:130]
	v_fma_f64 v[14:15], v[6:7], v[14:15], -v[16:17]
	ds_load_b128 v[6:9], v1 offset:1152
	s_wait_loadcnt_dscnt 0x501
	v_mul_f64_e32 v[121:122], v[2:3], v[20:21]
	v_mul_f64_e32 v[20:21], v[4:5], v[20:21]
	s_wait_loadcnt_dscnt 0x400
	v_mul_f64_e32 v[16:17], v[6:7], v[24:25]
	v_mul_f64_e32 v[24:25], v[8:9], v[24:25]
	v_add_f64_e32 v[10:11], v[12:13], v[10:11]
	v_add_f64_e32 v[12:13], v[119:120], v[125:126]
	v_fma_f64 v[119:120], v[4:5], v[18:19], v[121:122]
	v_fma_f64 v[18:19], v[2:3], v[18:19], -v[20:21]
	ds_load_b128 v[2:5], v1 offset:1168
	v_fma_f64 v[16:17], v[8:9], v[22:23], v[16:17]
	v_fma_f64 v[22:23], v[6:7], v[22:23], -v[24:25]
	ds_load_b128 v[6:9], v1 offset:1184
	v_add_f64_e32 v[10:11], v[10:11], v[14:15]
	v_add_f64_e32 v[12:13], v[12:13], v[123:124]
	s_wait_loadcnt_dscnt 0x301
	v_mul_f64_e32 v[14:15], v[2:3], v[28:29]
	v_mul_f64_e32 v[20:21], v[4:5], v[28:29]
	s_wait_loadcnt_dscnt 0x200
	v_mul_f64_e32 v[24:25], v[8:9], v[32:33]
	v_add_f64_e32 v[10:11], v[10:11], v[18:19]
	v_add_f64_e32 v[12:13], v[12:13], v[119:120]
	v_mul_f64_e32 v[18:19], v[6:7], v[32:33]
	v_fma_f64 v[14:15], v[4:5], v[26:27], v[14:15]
	v_fma_f64 v[20:21], v[2:3], v[26:27], -v[20:21]
	ds_load_b128 v[2:5], v1 offset:1200
	v_fma_f64 v[6:7], v[6:7], v[30:31], -v[24:25]
	v_add_f64_e32 v[10:11], v[10:11], v[22:23]
	v_add_f64_e32 v[12:13], v[12:13], v[16:17]
	s_wait_loadcnt_dscnt 0x100
	v_mul_f64_e32 v[16:17], v[2:3], v[117:118]
	v_mul_f64_e32 v[22:23], v[4:5], v[117:118]
	v_fma_f64 v[8:9], v[8:9], v[30:31], v[18:19]
	v_add_f64_e32 v[10:11], v[10:11], v[20:21]
	v_add_f64_e32 v[12:13], v[12:13], v[14:15]
	v_fma_f64 v[4:5], v[4:5], v[115:116], v[16:17]
	v_fma_f64 v[2:3], v[2:3], v[115:116], -v[22:23]
	s_delay_alu instid0(VALU_DEP_4) | instskip(NEXT) | instid1(VALU_DEP_4)
	v_add_f64_e32 v[6:7], v[10:11], v[6:7]
	v_add_f64_e32 v[8:9], v[12:13], v[8:9]
	s_delay_alu instid0(VALU_DEP_2) | instskip(NEXT) | instid1(VALU_DEP_2)
	v_add_f64_e32 v[2:3], v[6:7], v[2:3]
	v_add_f64_e32 v[4:5], v[8:9], v[4:5]
	s_wait_loadcnt 0x0
	s_delay_alu instid0(VALU_DEP_2) | instskip(NEXT) | instid1(VALU_DEP_2)
	v_add_f64_e64 v[2:3], v[34:35], -v[2:3]
	v_add_f64_e64 v[4:5], v[36:37], -v[4:5]
	scratch_store_b128 off, v[2:5], off offset:144
	v_cmpx_lt_u32_e32 7, v0
	s_cbranch_execz .LBB37_227
; %bb.226:
	scratch_load_b128 v[5:8], off, s44
	v_dual_mov_b32 v2, v1 :: v_dual_mov_b32 v3, v1
	v_mov_b32_e32 v4, v1
	scratch_store_b128 off, v[1:4], off offset:128
	s_wait_loadcnt 0x0
	ds_store_b128 v114, v[5:8]
.LBB37_227:
	s_wait_alu 0xfffe
	s_or_b32 exec_lo, exec_lo, s0
	s_wait_storecnt_dscnt 0x0
	s_barrier_signal -1
	s_barrier_wait -1
	global_inv scope:SCOPE_SE
	s_clause 0x7
	scratch_load_b128 v[2:5], off, off offset:144
	scratch_load_b128 v[6:9], off, off offset:160
	;; [unrolled: 1-line block ×8, first 2 shown]
	ds_load_b128 v[34:37], v1 offset:736
	ds_load_b128 v[119:122], v1 offset:752
	s_clause 0x1
	scratch_load_b128 v[115:118], off, off offset:272
	scratch_load_b128 v[123:126], off, off offset:288
	s_mov_b32 s0, exec_lo
	s_wait_loadcnt_dscnt 0x901
	v_mul_f64_e32 v[127:128], v[36:37], v[4:5]
	v_mul_f64_e32 v[4:5], v[34:35], v[4:5]
	s_wait_loadcnt_dscnt 0x800
	v_mul_f64_e32 v[129:130], v[119:120], v[8:9]
	v_mul_f64_e32 v[8:9], v[121:122], v[8:9]
	s_delay_alu instid0(VALU_DEP_4) | instskip(NEXT) | instid1(VALU_DEP_4)
	v_fma_f64 v[127:128], v[34:35], v[2:3], -v[127:128]
	v_fma_f64 v[131:132], v[36:37], v[2:3], v[4:5]
	ds_load_b128 v[2:5], v1 offset:768
	scratch_load_b128 v[34:37], off, off offset:304
	v_fma_f64 v[129:130], v[121:122], v[6:7], v[129:130]
	v_fma_f64 v[135:136], v[119:120], v[6:7], -v[8:9]
	ds_load_b128 v[6:9], v1 offset:784
	scratch_load_b128 v[119:122], off, off offset:320
	s_wait_loadcnt_dscnt 0x901
	v_mul_f64_e32 v[133:134], v[2:3], v[12:13]
	v_mul_f64_e32 v[12:13], v[4:5], v[12:13]
	s_wait_loadcnt_dscnt 0x800
	v_mul_f64_e32 v[137:138], v[6:7], v[16:17]
	v_mul_f64_e32 v[16:17], v[8:9], v[16:17]
	v_add_f64_e32 v[127:128], 0, v[127:128]
	v_add_f64_e32 v[131:132], 0, v[131:132]
	v_fma_f64 v[133:134], v[4:5], v[10:11], v[133:134]
	v_fma_f64 v[139:140], v[2:3], v[10:11], -v[12:13]
	scratch_load_b128 v[10:13], off, off offset:336
	ds_load_b128 v[2:5], v1 offset:800
	v_add_f64_e32 v[127:128], v[127:128], v[135:136]
	v_add_f64_e32 v[129:130], v[131:132], v[129:130]
	v_fma_f64 v[135:136], v[8:9], v[14:15], v[137:138]
	v_fma_f64 v[137:138], v[6:7], v[14:15], -v[16:17]
	ds_load_b128 v[6:9], v1 offset:816
	scratch_load_b128 v[14:17], off, off offset:352
	s_wait_loadcnt_dscnt 0x901
	v_mul_f64_e32 v[131:132], v[2:3], v[20:21]
	v_mul_f64_e32 v[20:21], v[4:5], v[20:21]
	v_add_f64_e32 v[127:128], v[127:128], v[139:140]
	v_add_f64_e32 v[129:130], v[129:130], v[133:134]
	s_wait_loadcnt_dscnt 0x800
	v_mul_f64_e32 v[133:134], v[6:7], v[24:25]
	v_mul_f64_e32 v[24:25], v[8:9], v[24:25]
	v_fma_f64 v[131:132], v[4:5], v[18:19], v[131:132]
	v_fma_f64 v[139:140], v[2:3], v[18:19], -v[20:21]
	ds_load_b128 v[2:5], v1 offset:832
	scratch_load_b128 v[18:21], off, off offset:368
	v_add_f64_e32 v[127:128], v[127:128], v[137:138]
	v_add_f64_e32 v[129:130], v[129:130], v[135:136]
	v_fma_f64 v[133:134], v[8:9], v[22:23], v[133:134]
	v_fma_f64 v[137:138], v[6:7], v[22:23], -v[24:25]
	ds_load_b128 v[6:9], v1 offset:848
	s_wait_loadcnt_dscnt 0x801
	v_mul_f64_e32 v[135:136], v[2:3], v[28:29]
	v_mul_f64_e32 v[28:29], v[4:5], v[28:29]
	scratch_load_b128 v[22:25], off, off offset:384
	v_add_f64_e32 v[127:128], v[127:128], v[139:140]
	v_add_f64_e32 v[129:130], v[129:130], v[131:132]
	s_wait_loadcnt_dscnt 0x800
	v_mul_f64_e32 v[131:132], v[6:7], v[32:33]
	v_mul_f64_e32 v[32:33], v[8:9], v[32:33]
	v_fma_f64 v[135:136], v[4:5], v[26:27], v[135:136]
	v_fma_f64 v[139:140], v[2:3], v[26:27], -v[28:29]
	ds_load_b128 v[2:5], v1 offset:864
	scratch_load_b128 v[26:29], off, off offset:400
	v_add_f64_e32 v[127:128], v[127:128], v[137:138]
	v_add_f64_e32 v[129:130], v[129:130], v[133:134]
	v_fma_f64 v[131:132], v[8:9], v[30:31], v[131:132]
	v_fma_f64 v[137:138], v[6:7], v[30:31], -v[32:33]
	ds_load_b128 v[6:9], v1 offset:880
	s_wait_loadcnt_dscnt 0x801
	v_mul_f64_e32 v[133:134], v[2:3], v[117:118]
	v_mul_f64_e32 v[117:118], v[4:5], v[117:118]
	scratch_load_b128 v[30:33], off, off offset:416
	v_add_f64_e32 v[127:128], v[127:128], v[139:140]
	v_add_f64_e32 v[129:130], v[129:130], v[135:136]
	s_wait_loadcnt_dscnt 0x800
	v_mul_f64_e32 v[135:136], v[6:7], v[125:126]
	v_mul_f64_e32 v[125:126], v[8:9], v[125:126]
	v_fma_f64 v[133:134], v[4:5], v[115:116], v[133:134]
	v_fma_f64 v[139:140], v[2:3], v[115:116], -v[117:118]
	ds_load_b128 v[2:5], v1 offset:896
	scratch_load_b128 v[115:118], off, off offset:432
	v_add_f64_e32 v[127:128], v[127:128], v[137:138]
	v_add_f64_e32 v[129:130], v[129:130], v[131:132]
	v_fma_f64 v[135:136], v[8:9], v[123:124], v[135:136]
	v_fma_f64 v[137:138], v[6:7], v[123:124], -v[125:126]
	ds_load_b128 v[6:9], v1 offset:912
	scratch_load_b128 v[123:126], off, off offset:448
	s_wait_loadcnt_dscnt 0x901
	v_mul_f64_e32 v[131:132], v[2:3], v[36:37]
	v_mul_f64_e32 v[36:37], v[4:5], v[36:37]
	v_add_f64_e32 v[127:128], v[127:128], v[139:140]
	v_add_f64_e32 v[129:130], v[129:130], v[133:134]
	s_wait_loadcnt_dscnt 0x800
	v_mul_f64_e32 v[133:134], v[6:7], v[121:122]
	v_mul_f64_e32 v[121:122], v[8:9], v[121:122]
	v_fma_f64 v[131:132], v[4:5], v[34:35], v[131:132]
	v_fma_f64 v[139:140], v[2:3], v[34:35], -v[36:37]
	ds_load_b128 v[2:5], v1 offset:928
	scratch_load_b128 v[34:37], off, off offset:464
	v_add_f64_e32 v[127:128], v[127:128], v[137:138]
	v_add_f64_e32 v[129:130], v[129:130], v[135:136]
	v_fma_f64 v[133:134], v[8:9], v[119:120], v[133:134]
	v_fma_f64 v[137:138], v[6:7], v[119:120], -v[121:122]
	ds_load_b128 v[6:9], v1 offset:944
	s_wait_loadcnt_dscnt 0x801
	v_mul_f64_e32 v[135:136], v[2:3], v[12:13]
	v_mul_f64_e32 v[12:13], v[4:5], v[12:13]
	scratch_load_b128 v[119:122], off, off offset:480
	v_add_f64_e32 v[127:128], v[127:128], v[139:140]
	v_add_f64_e32 v[129:130], v[129:130], v[131:132]
	s_wait_loadcnt_dscnt 0x800
	v_mul_f64_e32 v[131:132], v[6:7], v[16:17]
	v_mul_f64_e32 v[16:17], v[8:9], v[16:17]
	v_fma_f64 v[135:136], v[4:5], v[10:11], v[135:136]
	v_fma_f64 v[139:140], v[2:3], v[10:11], -v[12:13]
	scratch_load_b128 v[10:13], off, off offset:496
	ds_load_b128 v[2:5], v1 offset:960
	v_add_f64_e32 v[127:128], v[127:128], v[137:138]
	v_add_f64_e32 v[129:130], v[129:130], v[133:134]
	v_fma_f64 v[131:132], v[8:9], v[14:15], v[131:132]
	v_fma_f64 v[137:138], v[6:7], v[14:15], -v[16:17]
	ds_load_b128 v[6:9], v1 offset:976
	s_wait_loadcnt_dscnt 0x801
	v_mul_f64_e32 v[133:134], v[2:3], v[20:21]
	v_mul_f64_e32 v[20:21], v[4:5], v[20:21]
	scratch_load_b128 v[14:17], off, off offset:512
	v_add_f64_e32 v[127:128], v[127:128], v[139:140]
	v_add_f64_e32 v[129:130], v[129:130], v[135:136]
	s_wait_loadcnt_dscnt 0x800
	v_mul_f64_e32 v[135:136], v[6:7], v[24:25]
	v_mul_f64_e32 v[24:25], v[8:9], v[24:25]
	v_fma_f64 v[133:134], v[4:5], v[18:19], v[133:134]
	v_fma_f64 v[139:140], v[2:3], v[18:19], -v[20:21]
	ds_load_b128 v[2:5], v1 offset:992
	scratch_load_b128 v[18:21], off, off offset:528
	v_add_f64_e32 v[127:128], v[127:128], v[137:138]
	v_add_f64_e32 v[129:130], v[129:130], v[131:132]
	v_fma_f64 v[135:136], v[8:9], v[22:23], v[135:136]
	v_fma_f64 v[137:138], v[6:7], v[22:23], -v[24:25]
	ds_load_b128 v[6:9], v1 offset:1008
	s_wait_loadcnt_dscnt 0x801
	v_mul_f64_e32 v[131:132], v[2:3], v[28:29]
	v_mul_f64_e32 v[28:29], v[4:5], v[28:29]
	scratch_load_b128 v[22:25], off, off offset:544
	v_add_f64_e32 v[127:128], v[127:128], v[139:140]
	v_add_f64_e32 v[129:130], v[129:130], v[133:134]
	s_wait_loadcnt_dscnt 0x800
	v_mul_f64_e32 v[133:134], v[6:7], v[32:33]
	v_mul_f64_e32 v[32:33], v[8:9], v[32:33]
	v_fma_f64 v[131:132], v[4:5], v[26:27], v[131:132]
	v_fma_f64 v[139:140], v[2:3], v[26:27], -v[28:29]
	ds_load_b128 v[2:5], v1 offset:1024
	scratch_load_b128 v[26:29], off, off offset:560
	;; [unrolled: 18-line block ×3, first 2 shown]
	v_add_f64_e32 v[127:128], v[127:128], v[137:138]
	v_add_f64_e32 v[129:130], v[129:130], v[133:134]
	v_fma_f64 v[131:132], v[8:9], v[123:124], v[131:132]
	v_fma_f64 v[137:138], v[6:7], v[123:124], -v[125:126]
	ds_load_b128 v[6:9], v1 offset:1072
	s_wait_loadcnt_dscnt 0x801
	v_mul_f64_e32 v[133:134], v[2:3], v[36:37]
	v_mul_f64_e32 v[36:37], v[4:5], v[36:37]
	scratch_load_b128 v[123:126], off, off offset:608
	v_add_f64_e32 v[127:128], v[127:128], v[139:140]
	v_add_f64_e32 v[129:130], v[129:130], v[135:136]
	v_fma_f64 v[133:134], v[4:5], v[34:35], v[133:134]
	v_fma_f64 v[34:35], v[2:3], v[34:35], -v[36:37]
	ds_load_b128 v[2:5], v1 offset:1088
	v_add_f64_e32 v[36:37], v[127:128], v[137:138]
	v_add_f64_e32 v[127:128], v[129:130], v[131:132]
	s_wait_loadcnt_dscnt 0x700
	v_mul_f64_e32 v[129:130], v[2:3], v[12:13]
	v_mul_f64_e32 v[12:13], v[4:5], v[12:13]
	s_delay_alu instid0(VALU_DEP_4) | instskip(NEXT) | instid1(VALU_DEP_4)
	v_add_f64_e32 v[34:35], v[36:37], v[34:35]
	v_add_f64_e32 v[36:37], v[127:128], v[133:134]
	s_delay_alu instid0(VALU_DEP_4) | instskip(NEXT) | instid1(VALU_DEP_4)
	v_fma_f64 v[127:128], v[4:5], v[10:11], v[129:130]
	v_fma_f64 v[129:130], v[2:3], v[10:11], -v[12:13]
	scratch_load_b128 v[10:13], off, off offset:128
	v_mul_f64_e32 v[135:136], v[6:7], v[121:122]
	v_mul_f64_e32 v[121:122], v[8:9], v[121:122]
	ds_load_b128 v[2:5], v1 offset:1120
	v_fma_f64 v[131:132], v[8:9], v[119:120], v[135:136]
	v_fma_f64 v[119:120], v[6:7], v[119:120], -v[121:122]
	ds_load_b128 v[6:9], v1 offset:1104
	s_wait_loadcnt_dscnt 0x700
	v_mul_f64_e32 v[121:122], v[6:7], v[16:17]
	v_mul_f64_e32 v[16:17], v[8:9], v[16:17]
	v_add_f64_e32 v[36:37], v[36:37], v[131:132]
	v_add_f64_e32 v[34:35], v[34:35], v[119:120]
	s_wait_loadcnt 0x6
	v_mul_f64_e32 v[119:120], v[2:3], v[20:21]
	v_mul_f64_e32 v[20:21], v[4:5], v[20:21]
	v_fma_f64 v[121:122], v[8:9], v[14:15], v[121:122]
	v_fma_f64 v[14:15], v[6:7], v[14:15], -v[16:17]
	ds_load_b128 v[6:9], v1 offset:1136
	v_add_f64_e32 v[16:17], v[34:35], v[129:130]
	v_add_f64_e32 v[34:35], v[36:37], v[127:128]
	v_fma_f64 v[119:120], v[4:5], v[18:19], v[119:120]
	v_fma_f64 v[18:19], v[2:3], v[18:19], -v[20:21]
	ds_load_b128 v[2:5], v1 offset:1152
	s_wait_loadcnt_dscnt 0x501
	v_mul_f64_e32 v[36:37], v[6:7], v[24:25]
	v_mul_f64_e32 v[24:25], v[8:9], v[24:25]
	s_wait_loadcnt_dscnt 0x400
	v_mul_f64_e32 v[20:21], v[2:3], v[28:29]
	v_mul_f64_e32 v[28:29], v[4:5], v[28:29]
	v_add_f64_e32 v[14:15], v[16:17], v[14:15]
	v_add_f64_e32 v[16:17], v[34:35], v[121:122]
	v_fma_f64 v[34:35], v[8:9], v[22:23], v[36:37]
	v_fma_f64 v[22:23], v[6:7], v[22:23], -v[24:25]
	ds_load_b128 v[6:9], v1 offset:1168
	v_fma_f64 v[20:21], v[4:5], v[26:27], v[20:21]
	v_fma_f64 v[26:27], v[2:3], v[26:27], -v[28:29]
	ds_load_b128 v[2:5], v1 offset:1184
	s_wait_loadcnt_dscnt 0x301
	v_mul_f64_e32 v[24:25], v[8:9], v[32:33]
	v_add_f64_e32 v[14:15], v[14:15], v[18:19]
	v_add_f64_e32 v[16:17], v[16:17], v[119:120]
	v_mul_f64_e32 v[18:19], v[6:7], v[32:33]
	s_wait_loadcnt_dscnt 0x200
	v_mul_f64_e32 v[28:29], v[4:5], v[117:118]
	v_fma_f64 v[24:25], v[6:7], v[30:31], -v[24:25]
	v_add_f64_e32 v[14:15], v[14:15], v[22:23]
	v_add_f64_e32 v[16:17], v[16:17], v[34:35]
	v_mul_f64_e32 v[22:23], v[2:3], v[117:118]
	v_fma_f64 v[18:19], v[8:9], v[30:31], v[18:19]
	ds_load_b128 v[6:9], v1 offset:1200
	v_fma_f64 v[1:2], v[2:3], v[115:116], -v[28:29]
	v_add_f64_e32 v[14:15], v[14:15], v[26:27]
	v_add_f64_e32 v[16:17], v[16:17], v[20:21]
	s_wait_loadcnt_dscnt 0x100
	v_mul_f64_e32 v[20:21], v[6:7], v[125:126]
	v_mul_f64_e32 v[26:27], v[8:9], v[125:126]
	v_fma_f64 v[4:5], v[4:5], v[115:116], v[22:23]
	v_add_f64_e32 v[14:15], v[14:15], v[24:25]
	v_add_f64_e32 v[16:17], v[16:17], v[18:19]
	v_fma_f64 v[8:9], v[8:9], v[123:124], v[20:21]
	v_fma_f64 v[6:7], v[6:7], v[123:124], -v[26:27]
	s_delay_alu instid0(VALU_DEP_4) | instskip(NEXT) | instid1(VALU_DEP_4)
	v_add_f64_e32 v[1:2], v[14:15], v[1:2]
	v_add_f64_e32 v[3:4], v[16:17], v[4:5]
	s_delay_alu instid0(VALU_DEP_2) | instskip(NEXT) | instid1(VALU_DEP_2)
	v_add_f64_e32 v[1:2], v[1:2], v[6:7]
	v_add_f64_e32 v[3:4], v[3:4], v[8:9]
	s_wait_loadcnt 0x0
	s_delay_alu instid0(VALU_DEP_2) | instskip(NEXT) | instid1(VALU_DEP_2)
	v_add_f64_e64 v[1:2], v[10:11], -v[1:2]
	v_add_f64_e64 v[3:4], v[12:13], -v[3:4]
	scratch_store_b128 off, v[1:4], off offset:128
	v_cmpx_lt_u32_e32 6, v0
	s_cbranch_execz .LBB37_229
; %bb.228:
	scratch_load_b128 v[1:4], off, s45
	v_mov_b32_e32 v5, 0
	s_delay_alu instid0(VALU_DEP_1)
	v_dual_mov_b32 v6, v5 :: v_dual_mov_b32 v7, v5
	v_mov_b32_e32 v8, v5
	scratch_store_b128 off, v[5:8], off offset:112
	s_wait_loadcnt 0x0
	ds_store_b128 v114, v[1:4]
.LBB37_229:
	s_wait_alu 0xfffe
	s_or_b32 exec_lo, exec_lo, s0
	s_wait_storecnt_dscnt 0x0
	s_barrier_signal -1
	s_barrier_wait -1
	global_inv scope:SCOPE_SE
	s_clause 0x7
	scratch_load_b128 v[2:5], off, off offset:128
	scratch_load_b128 v[6:9], off, off offset:144
	scratch_load_b128 v[10:13], off, off offset:160
	scratch_load_b128 v[14:17], off, off offset:176
	scratch_load_b128 v[18:21], off, off offset:192
	scratch_load_b128 v[22:25], off, off offset:208
	scratch_load_b128 v[26:29], off, off offset:224
	scratch_load_b128 v[30:33], off, off offset:240
	v_mov_b32_e32 v1, 0
	s_clause 0x1
	scratch_load_b128 v[115:118], off, off offset:256
	scratch_load_b128 v[123:126], off, off offset:272
	s_mov_b32 s0, exec_lo
	ds_load_b128 v[34:37], v1 offset:720
	ds_load_b128 v[119:122], v1 offset:736
	s_wait_loadcnt_dscnt 0x901
	v_mul_f64_e32 v[127:128], v[36:37], v[4:5]
	v_mul_f64_e32 v[4:5], v[34:35], v[4:5]
	s_wait_loadcnt_dscnt 0x800
	v_mul_f64_e32 v[129:130], v[119:120], v[8:9]
	v_mul_f64_e32 v[8:9], v[121:122], v[8:9]
	s_delay_alu instid0(VALU_DEP_4) | instskip(NEXT) | instid1(VALU_DEP_4)
	v_fma_f64 v[127:128], v[34:35], v[2:3], -v[127:128]
	v_fma_f64 v[131:132], v[36:37], v[2:3], v[4:5]
	ds_load_b128 v[2:5], v1 offset:752
	scratch_load_b128 v[34:37], off, off offset:288
	v_fma_f64 v[129:130], v[121:122], v[6:7], v[129:130]
	v_fma_f64 v[135:136], v[119:120], v[6:7], -v[8:9]
	ds_load_b128 v[6:9], v1 offset:768
	scratch_load_b128 v[119:122], off, off offset:304
	s_wait_loadcnt_dscnt 0x901
	v_mul_f64_e32 v[133:134], v[2:3], v[12:13]
	v_mul_f64_e32 v[12:13], v[4:5], v[12:13]
	s_wait_loadcnt_dscnt 0x800
	v_mul_f64_e32 v[137:138], v[6:7], v[16:17]
	v_mul_f64_e32 v[16:17], v[8:9], v[16:17]
	v_add_f64_e32 v[127:128], 0, v[127:128]
	v_add_f64_e32 v[131:132], 0, v[131:132]
	v_fma_f64 v[133:134], v[4:5], v[10:11], v[133:134]
	v_fma_f64 v[139:140], v[2:3], v[10:11], -v[12:13]
	ds_load_b128 v[2:5], v1 offset:784
	scratch_load_b128 v[10:13], off, off offset:320
	v_add_f64_e32 v[127:128], v[127:128], v[135:136]
	v_add_f64_e32 v[129:130], v[131:132], v[129:130]
	v_fma_f64 v[135:136], v[8:9], v[14:15], v[137:138]
	v_fma_f64 v[137:138], v[6:7], v[14:15], -v[16:17]
	ds_load_b128 v[6:9], v1 offset:800
	scratch_load_b128 v[14:17], off, off offset:336
	s_wait_loadcnt_dscnt 0x901
	v_mul_f64_e32 v[131:132], v[2:3], v[20:21]
	v_mul_f64_e32 v[20:21], v[4:5], v[20:21]
	v_add_f64_e32 v[127:128], v[127:128], v[139:140]
	v_add_f64_e32 v[129:130], v[129:130], v[133:134]
	s_wait_loadcnt_dscnt 0x800
	v_mul_f64_e32 v[133:134], v[6:7], v[24:25]
	v_mul_f64_e32 v[24:25], v[8:9], v[24:25]
	v_fma_f64 v[131:132], v[4:5], v[18:19], v[131:132]
	v_fma_f64 v[139:140], v[2:3], v[18:19], -v[20:21]
	ds_load_b128 v[2:5], v1 offset:816
	scratch_load_b128 v[18:21], off, off offset:352
	v_add_f64_e32 v[127:128], v[127:128], v[137:138]
	v_add_f64_e32 v[129:130], v[129:130], v[135:136]
	v_fma_f64 v[133:134], v[8:9], v[22:23], v[133:134]
	v_fma_f64 v[137:138], v[6:7], v[22:23], -v[24:25]
	ds_load_b128 v[6:9], v1 offset:832
	s_wait_loadcnt_dscnt 0x801
	v_mul_f64_e32 v[135:136], v[2:3], v[28:29]
	v_mul_f64_e32 v[28:29], v[4:5], v[28:29]
	scratch_load_b128 v[22:25], off, off offset:368
	v_add_f64_e32 v[127:128], v[127:128], v[139:140]
	v_add_f64_e32 v[129:130], v[129:130], v[131:132]
	s_wait_loadcnt_dscnt 0x800
	v_mul_f64_e32 v[131:132], v[6:7], v[32:33]
	v_mul_f64_e32 v[32:33], v[8:9], v[32:33]
	v_fma_f64 v[135:136], v[4:5], v[26:27], v[135:136]
	v_fma_f64 v[139:140], v[2:3], v[26:27], -v[28:29]
	ds_load_b128 v[2:5], v1 offset:848
	scratch_load_b128 v[26:29], off, off offset:384
	v_add_f64_e32 v[127:128], v[127:128], v[137:138]
	v_add_f64_e32 v[129:130], v[129:130], v[133:134]
	v_fma_f64 v[131:132], v[8:9], v[30:31], v[131:132]
	v_fma_f64 v[137:138], v[6:7], v[30:31], -v[32:33]
	ds_load_b128 v[6:9], v1 offset:864
	s_wait_loadcnt_dscnt 0x801
	v_mul_f64_e32 v[133:134], v[2:3], v[117:118]
	v_mul_f64_e32 v[117:118], v[4:5], v[117:118]
	scratch_load_b128 v[30:33], off, off offset:400
	v_add_f64_e32 v[127:128], v[127:128], v[139:140]
	v_add_f64_e32 v[129:130], v[129:130], v[135:136]
	s_wait_loadcnt_dscnt 0x800
	v_mul_f64_e32 v[135:136], v[6:7], v[125:126]
	v_mul_f64_e32 v[125:126], v[8:9], v[125:126]
	v_fma_f64 v[133:134], v[4:5], v[115:116], v[133:134]
	v_fma_f64 v[139:140], v[2:3], v[115:116], -v[117:118]
	ds_load_b128 v[2:5], v1 offset:880
	scratch_load_b128 v[115:118], off, off offset:416
	v_add_f64_e32 v[127:128], v[127:128], v[137:138]
	v_add_f64_e32 v[129:130], v[129:130], v[131:132]
	v_fma_f64 v[135:136], v[8:9], v[123:124], v[135:136]
	v_fma_f64 v[137:138], v[6:7], v[123:124], -v[125:126]
	ds_load_b128 v[6:9], v1 offset:896
	scratch_load_b128 v[123:126], off, off offset:432
	s_wait_loadcnt_dscnt 0x901
	v_mul_f64_e32 v[131:132], v[2:3], v[36:37]
	v_mul_f64_e32 v[36:37], v[4:5], v[36:37]
	v_add_f64_e32 v[127:128], v[127:128], v[139:140]
	v_add_f64_e32 v[129:130], v[129:130], v[133:134]
	s_wait_loadcnt_dscnt 0x800
	v_mul_f64_e32 v[133:134], v[6:7], v[121:122]
	v_mul_f64_e32 v[121:122], v[8:9], v[121:122]
	v_fma_f64 v[131:132], v[4:5], v[34:35], v[131:132]
	v_fma_f64 v[139:140], v[2:3], v[34:35], -v[36:37]
	ds_load_b128 v[2:5], v1 offset:912
	scratch_load_b128 v[34:37], off, off offset:448
	v_add_f64_e32 v[127:128], v[127:128], v[137:138]
	v_add_f64_e32 v[129:130], v[129:130], v[135:136]
	v_fma_f64 v[133:134], v[8:9], v[119:120], v[133:134]
	v_fma_f64 v[137:138], v[6:7], v[119:120], -v[121:122]
	ds_load_b128 v[6:9], v1 offset:928
	s_wait_loadcnt_dscnt 0x801
	v_mul_f64_e32 v[135:136], v[2:3], v[12:13]
	v_mul_f64_e32 v[12:13], v[4:5], v[12:13]
	scratch_load_b128 v[119:122], off, off offset:464
	v_add_f64_e32 v[127:128], v[127:128], v[139:140]
	v_add_f64_e32 v[129:130], v[129:130], v[131:132]
	s_wait_loadcnt_dscnt 0x800
	v_mul_f64_e32 v[131:132], v[6:7], v[16:17]
	v_mul_f64_e32 v[16:17], v[8:9], v[16:17]
	v_fma_f64 v[135:136], v[4:5], v[10:11], v[135:136]
	v_fma_f64 v[139:140], v[2:3], v[10:11], -v[12:13]
	ds_load_b128 v[2:5], v1 offset:944
	scratch_load_b128 v[10:13], off, off offset:480
	v_add_f64_e32 v[127:128], v[127:128], v[137:138]
	v_add_f64_e32 v[129:130], v[129:130], v[133:134]
	v_fma_f64 v[131:132], v[8:9], v[14:15], v[131:132]
	v_fma_f64 v[137:138], v[6:7], v[14:15], -v[16:17]
	ds_load_b128 v[6:9], v1 offset:960
	s_wait_loadcnt_dscnt 0x801
	v_mul_f64_e32 v[133:134], v[2:3], v[20:21]
	v_mul_f64_e32 v[20:21], v[4:5], v[20:21]
	scratch_load_b128 v[14:17], off, off offset:496
	;; [unrolled: 18-line block ×5, first 2 shown]
	v_add_f64_e32 v[127:128], v[127:128], v[139:140]
	v_add_f64_e32 v[129:130], v[129:130], v[135:136]
	s_wait_loadcnt_dscnt 0x800
	v_mul_f64_e32 v[135:136], v[6:7], v[121:122]
	v_mul_f64_e32 v[121:122], v[8:9], v[121:122]
	v_fma_f64 v[133:134], v[4:5], v[34:35], v[133:134]
	v_fma_f64 v[139:140], v[2:3], v[34:35], -v[36:37]
	ds_load_b128 v[2:5], v1 offset:1072
	scratch_load_b128 v[34:37], off, off offset:608
	v_add_f64_e32 v[127:128], v[127:128], v[137:138]
	v_add_f64_e32 v[129:130], v[129:130], v[131:132]
	v_fma_f64 v[135:136], v[8:9], v[119:120], v[135:136]
	v_fma_f64 v[119:120], v[6:7], v[119:120], -v[121:122]
	ds_load_b128 v[6:9], v1 offset:1088
	s_wait_loadcnt_dscnt 0x801
	v_mul_f64_e32 v[131:132], v[2:3], v[12:13]
	v_mul_f64_e32 v[12:13], v[4:5], v[12:13]
	v_add_f64_e32 v[121:122], v[127:128], v[139:140]
	v_add_f64_e32 v[127:128], v[129:130], v[133:134]
	s_wait_loadcnt_dscnt 0x700
	v_mul_f64_e32 v[129:130], v[6:7], v[16:17]
	v_mul_f64_e32 v[16:17], v[8:9], v[16:17]
	v_fma_f64 v[131:132], v[4:5], v[10:11], v[131:132]
	v_fma_f64 v[10:11], v[2:3], v[10:11], -v[12:13]
	ds_load_b128 v[2:5], v1 offset:1104
	v_add_f64_e32 v[12:13], v[121:122], v[119:120]
	v_add_f64_e32 v[119:120], v[127:128], v[135:136]
	v_fma_f64 v[127:128], v[8:9], v[14:15], v[129:130]
	v_fma_f64 v[14:15], v[6:7], v[14:15], -v[16:17]
	ds_load_b128 v[6:9], v1 offset:1120
	s_wait_loadcnt_dscnt 0x500
	v_mul_f64_e32 v[129:130], v[6:7], v[24:25]
	v_mul_f64_e32 v[24:25], v[8:9], v[24:25]
	v_add_f64_e32 v[16:17], v[12:13], v[10:11]
	v_add_f64_e32 v[119:120], v[119:120], v[131:132]
	scratch_load_b128 v[10:13], off, off offset:112
	v_mul_f64_e32 v[121:122], v[2:3], v[20:21]
	v_mul_f64_e32 v[20:21], v[4:5], v[20:21]
	v_add_f64_e32 v[14:15], v[16:17], v[14:15]
	v_add_f64_e32 v[16:17], v[119:120], v[127:128]
	v_fma_f64 v[119:120], v[8:9], v[22:23], v[129:130]
	v_fma_f64 v[121:122], v[4:5], v[18:19], v[121:122]
	v_fma_f64 v[18:19], v[2:3], v[18:19], -v[20:21]
	ds_load_b128 v[2:5], v1 offset:1136
	v_fma_f64 v[22:23], v[6:7], v[22:23], -v[24:25]
	ds_load_b128 v[6:9], v1 offset:1152
	s_wait_loadcnt_dscnt 0x501
	v_mul_f64_e32 v[20:21], v[2:3], v[28:29]
	v_mul_f64_e32 v[28:29], v[4:5], v[28:29]
	s_wait_loadcnt_dscnt 0x400
	v_mul_f64_e32 v[24:25], v[8:9], v[32:33]
	v_add_f64_e32 v[16:17], v[16:17], v[121:122]
	v_add_f64_e32 v[14:15], v[14:15], v[18:19]
	v_mul_f64_e32 v[18:19], v[6:7], v[32:33]
	v_fma_f64 v[20:21], v[4:5], v[26:27], v[20:21]
	v_fma_f64 v[26:27], v[2:3], v[26:27], -v[28:29]
	ds_load_b128 v[2:5], v1 offset:1168
	v_fma_f64 v[24:25], v[6:7], v[30:31], -v[24:25]
	v_add_f64_e32 v[16:17], v[16:17], v[119:120]
	v_add_f64_e32 v[14:15], v[14:15], v[22:23]
	v_fma_f64 v[18:19], v[8:9], v[30:31], v[18:19]
	ds_load_b128 v[6:9], v1 offset:1184
	s_wait_loadcnt_dscnt 0x301
	v_mul_f64_e32 v[22:23], v[2:3], v[117:118]
	v_mul_f64_e32 v[28:29], v[4:5], v[117:118]
	v_add_f64_e32 v[16:17], v[16:17], v[20:21]
	v_add_f64_e32 v[14:15], v[14:15], v[26:27]
	s_wait_loadcnt_dscnt 0x200
	v_mul_f64_e32 v[20:21], v[6:7], v[125:126]
	v_mul_f64_e32 v[26:27], v[8:9], v[125:126]
	v_fma_f64 v[22:23], v[4:5], v[115:116], v[22:23]
	v_fma_f64 v[28:29], v[2:3], v[115:116], -v[28:29]
	ds_load_b128 v[2:5], v1 offset:1200
	v_add_f64_e32 v[16:17], v[16:17], v[18:19]
	v_add_f64_e32 v[14:15], v[14:15], v[24:25]
	s_wait_loadcnt_dscnt 0x100
	v_mul_f64_e32 v[18:19], v[2:3], v[36:37]
	v_mul_f64_e32 v[24:25], v[4:5], v[36:37]
	v_fma_f64 v[8:9], v[8:9], v[123:124], v[20:21]
	v_fma_f64 v[6:7], v[6:7], v[123:124], -v[26:27]
	v_add_f64_e32 v[16:17], v[16:17], v[22:23]
	v_add_f64_e32 v[14:15], v[14:15], v[28:29]
	v_fma_f64 v[4:5], v[4:5], v[34:35], v[18:19]
	v_fma_f64 v[2:3], v[2:3], v[34:35], -v[24:25]
	s_delay_alu instid0(VALU_DEP_4) | instskip(NEXT) | instid1(VALU_DEP_4)
	v_add_f64_e32 v[8:9], v[16:17], v[8:9]
	v_add_f64_e32 v[6:7], v[14:15], v[6:7]
	s_delay_alu instid0(VALU_DEP_2) | instskip(NEXT) | instid1(VALU_DEP_2)
	v_add_f64_e32 v[4:5], v[8:9], v[4:5]
	v_add_f64_e32 v[2:3], v[6:7], v[2:3]
	s_wait_loadcnt 0x0
	s_delay_alu instid0(VALU_DEP_2) | instskip(NEXT) | instid1(VALU_DEP_2)
	v_add_f64_e64 v[4:5], v[12:13], -v[4:5]
	v_add_f64_e64 v[2:3], v[10:11], -v[2:3]
	scratch_store_b128 off, v[2:5], off offset:112
	v_cmpx_lt_u32_e32 5, v0
	s_cbranch_execz .LBB37_231
; %bb.230:
	scratch_load_b128 v[5:8], off, s46
	v_dual_mov_b32 v2, v1 :: v_dual_mov_b32 v3, v1
	v_mov_b32_e32 v4, v1
	scratch_store_b128 off, v[1:4], off offset:96
	s_wait_loadcnt 0x0
	ds_store_b128 v114, v[5:8]
.LBB37_231:
	s_wait_alu 0xfffe
	s_or_b32 exec_lo, exec_lo, s0
	s_wait_storecnt_dscnt 0x0
	s_barrier_signal -1
	s_barrier_wait -1
	global_inv scope:SCOPE_SE
	s_clause 0x7
	scratch_load_b128 v[2:5], off, off offset:112
	scratch_load_b128 v[6:9], off, off offset:128
	;; [unrolled: 1-line block ×8, first 2 shown]
	ds_load_b128 v[34:37], v1 offset:704
	ds_load_b128 v[119:122], v1 offset:720
	s_clause 0x1
	scratch_load_b128 v[115:118], off, off offset:240
	scratch_load_b128 v[123:126], off, off offset:256
	s_mov_b32 s0, exec_lo
	s_wait_loadcnt_dscnt 0x901
	v_mul_f64_e32 v[127:128], v[36:37], v[4:5]
	v_mul_f64_e32 v[4:5], v[34:35], v[4:5]
	s_wait_loadcnt_dscnt 0x800
	v_mul_f64_e32 v[129:130], v[119:120], v[8:9]
	v_mul_f64_e32 v[8:9], v[121:122], v[8:9]
	s_delay_alu instid0(VALU_DEP_4) | instskip(NEXT) | instid1(VALU_DEP_4)
	v_fma_f64 v[127:128], v[34:35], v[2:3], -v[127:128]
	v_fma_f64 v[131:132], v[36:37], v[2:3], v[4:5]
	ds_load_b128 v[2:5], v1 offset:736
	scratch_load_b128 v[34:37], off, off offset:272
	v_fma_f64 v[129:130], v[121:122], v[6:7], v[129:130]
	v_fma_f64 v[135:136], v[119:120], v[6:7], -v[8:9]
	ds_load_b128 v[6:9], v1 offset:752
	scratch_load_b128 v[119:122], off, off offset:288
	s_wait_loadcnt_dscnt 0x901
	v_mul_f64_e32 v[133:134], v[2:3], v[12:13]
	v_mul_f64_e32 v[12:13], v[4:5], v[12:13]
	s_wait_loadcnt_dscnt 0x800
	v_mul_f64_e32 v[137:138], v[6:7], v[16:17]
	v_mul_f64_e32 v[16:17], v[8:9], v[16:17]
	v_add_f64_e32 v[127:128], 0, v[127:128]
	v_add_f64_e32 v[131:132], 0, v[131:132]
	v_fma_f64 v[133:134], v[4:5], v[10:11], v[133:134]
	v_fma_f64 v[139:140], v[2:3], v[10:11], -v[12:13]
	ds_load_b128 v[2:5], v1 offset:768
	scratch_load_b128 v[10:13], off, off offset:304
	v_add_f64_e32 v[127:128], v[127:128], v[135:136]
	v_add_f64_e32 v[129:130], v[131:132], v[129:130]
	v_fma_f64 v[135:136], v[8:9], v[14:15], v[137:138]
	v_fma_f64 v[137:138], v[6:7], v[14:15], -v[16:17]
	ds_load_b128 v[6:9], v1 offset:784
	scratch_load_b128 v[14:17], off, off offset:320
	s_wait_loadcnt_dscnt 0x901
	v_mul_f64_e32 v[131:132], v[2:3], v[20:21]
	v_mul_f64_e32 v[20:21], v[4:5], v[20:21]
	v_add_f64_e32 v[127:128], v[127:128], v[139:140]
	v_add_f64_e32 v[129:130], v[129:130], v[133:134]
	s_wait_loadcnt_dscnt 0x800
	v_mul_f64_e32 v[133:134], v[6:7], v[24:25]
	v_mul_f64_e32 v[24:25], v[8:9], v[24:25]
	v_fma_f64 v[131:132], v[4:5], v[18:19], v[131:132]
	v_fma_f64 v[139:140], v[2:3], v[18:19], -v[20:21]
	ds_load_b128 v[2:5], v1 offset:800
	scratch_load_b128 v[18:21], off, off offset:336
	v_add_f64_e32 v[127:128], v[127:128], v[137:138]
	v_add_f64_e32 v[129:130], v[129:130], v[135:136]
	v_fma_f64 v[133:134], v[8:9], v[22:23], v[133:134]
	v_fma_f64 v[137:138], v[6:7], v[22:23], -v[24:25]
	ds_load_b128 v[6:9], v1 offset:816
	s_wait_loadcnt_dscnt 0x801
	v_mul_f64_e32 v[135:136], v[2:3], v[28:29]
	v_mul_f64_e32 v[28:29], v[4:5], v[28:29]
	scratch_load_b128 v[22:25], off, off offset:352
	v_add_f64_e32 v[127:128], v[127:128], v[139:140]
	v_add_f64_e32 v[129:130], v[129:130], v[131:132]
	s_wait_loadcnt_dscnt 0x800
	v_mul_f64_e32 v[131:132], v[6:7], v[32:33]
	v_mul_f64_e32 v[32:33], v[8:9], v[32:33]
	v_fma_f64 v[135:136], v[4:5], v[26:27], v[135:136]
	v_fma_f64 v[139:140], v[2:3], v[26:27], -v[28:29]
	ds_load_b128 v[2:5], v1 offset:832
	scratch_load_b128 v[26:29], off, off offset:368
	v_add_f64_e32 v[127:128], v[127:128], v[137:138]
	v_add_f64_e32 v[129:130], v[129:130], v[133:134]
	v_fma_f64 v[131:132], v[8:9], v[30:31], v[131:132]
	v_fma_f64 v[137:138], v[6:7], v[30:31], -v[32:33]
	ds_load_b128 v[6:9], v1 offset:848
	s_wait_loadcnt_dscnt 0x801
	v_mul_f64_e32 v[133:134], v[2:3], v[117:118]
	v_mul_f64_e32 v[117:118], v[4:5], v[117:118]
	scratch_load_b128 v[30:33], off, off offset:384
	v_add_f64_e32 v[127:128], v[127:128], v[139:140]
	v_add_f64_e32 v[129:130], v[129:130], v[135:136]
	s_wait_loadcnt_dscnt 0x800
	v_mul_f64_e32 v[135:136], v[6:7], v[125:126]
	v_mul_f64_e32 v[125:126], v[8:9], v[125:126]
	v_fma_f64 v[133:134], v[4:5], v[115:116], v[133:134]
	v_fma_f64 v[139:140], v[2:3], v[115:116], -v[117:118]
	ds_load_b128 v[2:5], v1 offset:864
	scratch_load_b128 v[115:118], off, off offset:400
	v_add_f64_e32 v[127:128], v[127:128], v[137:138]
	v_add_f64_e32 v[129:130], v[129:130], v[131:132]
	v_fma_f64 v[135:136], v[8:9], v[123:124], v[135:136]
	v_fma_f64 v[137:138], v[6:7], v[123:124], -v[125:126]
	ds_load_b128 v[6:9], v1 offset:880
	scratch_load_b128 v[123:126], off, off offset:416
	s_wait_loadcnt_dscnt 0x901
	v_mul_f64_e32 v[131:132], v[2:3], v[36:37]
	v_mul_f64_e32 v[36:37], v[4:5], v[36:37]
	v_add_f64_e32 v[127:128], v[127:128], v[139:140]
	v_add_f64_e32 v[129:130], v[129:130], v[133:134]
	s_wait_loadcnt_dscnt 0x800
	v_mul_f64_e32 v[133:134], v[6:7], v[121:122]
	v_mul_f64_e32 v[121:122], v[8:9], v[121:122]
	v_fma_f64 v[131:132], v[4:5], v[34:35], v[131:132]
	v_fma_f64 v[139:140], v[2:3], v[34:35], -v[36:37]
	ds_load_b128 v[2:5], v1 offset:896
	scratch_load_b128 v[34:37], off, off offset:432
	v_add_f64_e32 v[127:128], v[127:128], v[137:138]
	v_add_f64_e32 v[129:130], v[129:130], v[135:136]
	v_fma_f64 v[133:134], v[8:9], v[119:120], v[133:134]
	v_fma_f64 v[137:138], v[6:7], v[119:120], -v[121:122]
	ds_load_b128 v[6:9], v1 offset:912
	s_wait_loadcnt_dscnt 0x801
	v_mul_f64_e32 v[135:136], v[2:3], v[12:13]
	v_mul_f64_e32 v[12:13], v[4:5], v[12:13]
	scratch_load_b128 v[119:122], off, off offset:448
	v_add_f64_e32 v[127:128], v[127:128], v[139:140]
	v_add_f64_e32 v[129:130], v[129:130], v[131:132]
	s_wait_loadcnt_dscnt 0x800
	v_mul_f64_e32 v[131:132], v[6:7], v[16:17]
	v_mul_f64_e32 v[16:17], v[8:9], v[16:17]
	v_fma_f64 v[135:136], v[4:5], v[10:11], v[135:136]
	v_fma_f64 v[139:140], v[2:3], v[10:11], -v[12:13]
	ds_load_b128 v[2:5], v1 offset:928
	scratch_load_b128 v[10:13], off, off offset:464
	v_add_f64_e32 v[127:128], v[127:128], v[137:138]
	v_add_f64_e32 v[129:130], v[129:130], v[133:134]
	v_fma_f64 v[131:132], v[8:9], v[14:15], v[131:132]
	v_fma_f64 v[137:138], v[6:7], v[14:15], -v[16:17]
	ds_load_b128 v[6:9], v1 offset:944
	s_wait_loadcnt_dscnt 0x801
	v_mul_f64_e32 v[133:134], v[2:3], v[20:21]
	v_mul_f64_e32 v[20:21], v[4:5], v[20:21]
	scratch_load_b128 v[14:17], off, off offset:480
	v_add_f64_e32 v[127:128], v[127:128], v[139:140]
	v_add_f64_e32 v[129:130], v[129:130], v[135:136]
	s_wait_loadcnt_dscnt 0x800
	v_mul_f64_e32 v[135:136], v[6:7], v[24:25]
	v_mul_f64_e32 v[24:25], v[8:9], v[24:25]
	v_fma_f64 v[133:134], v[4:5], v[18:19], v[133:134]
	v_fma_f64 v[139:140], v[2:3], v[18:19], -v[20:21]
	ds_load_b128 v[2:5], v1 offset:960
	scratch_load_b128 v[18:21], off, off offset:496
	v_add_f64_e32 v[127:128], v[127:128], v[137:138]
	v_add_f64_e32 v[129:130], v[129:130], v[131:132]
	v_fma_f64 v[135:136], v[8:9], v[22:23], v[135:136]
	v_fma_f64 v[137:138], v[6:7], v[22:23], -v[24:25]
	ds_load_b128 v[6:9], v1 offset:976
	s_wait_loadcnt_dscnt 0x801
	v_mul_f64_e32 v[131:132], v[2:3], v[28:29]
	v_mul_f64_e32 v[28:29], v[4:5], v[28:29]
	scratch_load_b128 v[22:25], off, off offset:512
	v_add_f64_e32 v[127:128], v[127:128], v[139:140]
	v_add_f64_e32 v[129:130], v[129:130], v[133:134]
	s_wait_loadcnt_dscnt 0x800
	v_mul_f64_e32 v[133:134], v[6:7], v[32:33]
	v_mul_f64_e32 v[32:33], v[8:9], v[32:33]
	v_fma_f64 v[131:132], v[4:5], v[26:27], v[131:132]
	v_fma_f64 v[139:140], v[2:3], v[26:27], -v[28:29]
	ds_load_b128 v[2:5], v1 offset:992
	scratch_load_b128 v[26:29], off, off offset:528
	v_add_f64_e32 v[127:128], v[127:128], v[137:138]
	v_add_f64_e32 v[129:130], v[129:130], v[135:136]
	v_fma_f64 v[133:134], v[8:9], v[30:31], v[133:134]
	v_fma_f64 v[137:138], v[6:7], v[30:31], -v[32:33]
	ds_load_b128 v[6:9], v1 offset:1008
	s_wait_loadcnt_dscnt 0x801
	v_mul_f64_e32 v[135:136], v[2:3], v[117:118]
	v_mul_f64_e32 v[117:118], v[4:5], v[117:118]
	scratch_load_b128 v[30:33], off, off offset:544
	v_add_f64_e32 v[127:128], v[127:128], v[139:140]
	v_add_f64_e32 v[129:130], v[129:130], v[131:132]
	s_wait_loadcnt_dscnt 0x800
	v_mul_f64_e32 v[131:132], v[6:7], v[125:126]
	v_mul_f64_e32 v[125:126], v[8:9], v[125:126]
	v_fma_f64 v[135:136], v[4:5], v[115:116], v[135:136]
	v_fma_f64 v[139:140], v[2:3], v[115:116], -v[117:118]
	ds_load_b128 v[2:5], v1 offset:1024
	scratch_load_b128 v[115:118], off, off offset:560
	v_add_f64_e32 v[127:128], v[127:128], v[137:138]
	v_add_f64_e32 v[129:130], v[129:130], v[133:134]
	v_fma_f64 v[131:132], v[8:9], v[123:124], v[131:132]
	v_fma_f64 v[137:138], v[6:7], v[123:124], -v[125:126]
	ds_load_b128 v[6:9], v1 offset:1040
	s_wait_loadcnt_dscnt 0x801
	v_mul_f64_e32 v[133:134], v[2:3], v[36:37]
	v_mul_f64_e32 v[36:37], v[4:5], v[36:37]
	scratch_load_b128 v[123:126], off, off offset:576
	v_add_f64_e32 v[127:128], v[127:128], v[139:140]
	v_add_f64_e32 v[129:130], v[129:130], v[135:136]
	s_wait_loadcnt_dscnt 0x800
	v_mul_f64_e32 v[135:136], v[6:7], v[121:122]
	v_mul_f64_e32 v[121:122], v[8:9], v[121:122]
	v_fma_f64 v[133:134], v[4:5], v[34:35], v[133:134]
	v_fma_f64 v[139:140], v[2:3], v[34:35], -v[36:37]
	ds_load_b128 v[2:5], v1 offset:1056
	scratch_load_b128 v[34:37], off, off offset:592
	v_add_f64_e32 v[127:128], v[127:128], v[137:138]
	v_add_f64_e32 v[129:130], v[129:130], v[131:132]
	v_fma_f64 v[135:136], v[8:9], v[119:120], v[135:136]
	v_fma_f64 v[137:138], v[6:7], v[119:120], -v[121:122]
	ds_load_b128 v[6:9], v1 offset:1072
	s_wait_loadcnt_dscnt 0x801
	v_mul_f64_e32 v[131:132], v[2:3], v[12:13]
	v_mul_f64_e32 v[12:13], v[4:5], v[12:13]
	scratch_load_b128 v[119:122], off, off offset:608
	v_add_f64_e32 v[127:128], v[127:128], v[139:140]
	v_add_f64_e32 v[129:130], v[129:130], v[133:134]
	s_wait_loadcnt_dscnt 0x800
	v_mul_f64_e32 v[133:134], v[6:7], v[16:17]
	v_mul_f64_e32 v[16:17], v[8:9], v[16:17]
	v_fma_f64 v[131:132], v[4:5], v[10:11], v[131:132]
	v_fma_f64 v[10:11], v[2:3], v[10:11], -v[12:13]
	ds_load_b128 v[2:5], v1 offset:1088
	v_add_f64_e32 v[12:13], v[127:128], v[137:138]
	v_add_f64_e32 v[127:128], v[129:130], v[135:136]
	v_fma_f64 v[133:134], v[8:9], v[14:15], v[133:134]
	v_fma_f64 v[14:15], v[6:7], v[14:15], -v[16:17]
	ds_load_b128 v[6:9], v1 offset:1104
	s_wait_loadcnt_dscnt 0x701
	v_mul_f64_e32 v[129:130], v[2:3], v[20:21]
	v_mul_f64_e32 v[20:21], v[4:5], v[20:21]
	v_add_f64_e32 v[10:11], v[12:13], v[10:11]
	v_add_f64_e32 v[12:13], v[127:128], v[131:132]
	s_delay_alu instid0(VALU_DEP_4) | instskip(NEXT) | instid1(VALU_DEP_4)
	v_fma_f64 v[127:128], v[4:5], v[18:19], v[129:130]
	v_fma_f64 v[18:19], v[2:3], v[18:19], -v[20:21]
	ds_load_b128 v[2:5], v1 offset:1120
	v_add_f64_e32 v[14:15], v[10:11], v[14:15]
	v_add_f64_e32 v[20:21], v[12:13], v[133:134]
	scratch_load_b128 v[10:13], off, off offset:96
	s_wait_loadcnt_dscnt 0x701
	v_mul_f64_e32 v[16:17], v[6:7], v[24:25]
	v_mul_f64_e32 v[24:25], v[8:9], v[24:25]
	v_add_f64_e32 v[14:15], v[14:15], v[18:19]
	v_add_f64_e32 v[18:19], v[20:21], v[127:128]
	s_delay_alu instid0(VALU_DEP_4) | instskip(NEXT) | instid1(VALU_DEP_4)
	v_fma_f64 v[16:17], v[8:9], v[22:23], v[16:17]
	v_fma_f64 v[22:23], v[6:7], v[22:23], -v[24:25]
	ds_load_b128 v[6:9], v1 offset:1136
	s_wait_loadcnt_dscnt 0x601
	v_mul_f64_e32 v[129:130], v[2:3], v[28:29]
	v_mul_f64_e32 v[28:29], v[4:5], v[28:29]
	s_wait_loadcnt_dscnt 0x500
	v_mul_f64_e32 v[20:21], v[6:7], v[32:33]
	v_mul_f64_e32 v[24:25], v[8:9], v[32:33]
	v_add_f64_e32 v[16:17], v[18:19], v[16:17]
	v_add_f64_e32 v[14:15], v[14:15], v[22:23]
	v_fma_f64 v[32:33], v[4:5], v[26:27], v[129:130]
	v_fma_f64 v[26:27], v[2:3], v[26:27], -v[28:29]
	ds_load_b128 v[2:5], v1 offset:1152
	v_fma_f64 v[20:21], v[8:9], v[30:31], v[20:21]
	v_fma_f64 v[24:25], v[6:7], v[30:31], -v[24:25]
	ds_load_b128 v[6:9], v1 offset:1168
	s_wait_loadcnt_dscnt 0x401
	v_mul_f64_e32 v[18:19], v[2:3], v[117:118]
	v_mul_f64_e32 v[22:23], v[4:5], v[117:118]
	v_add_f64_e32 v[16:17], v[16:17], v[32:33]
	v_add_f64_e32 v[14:15], v[14:15], v[26:27]
	s_wait_loadcnt_dscnt 0x300
	v_mul_f64_e32 v[26:27], v[6:7], v[125:126]
	v_mul_f64_e32 v[28:29], v[8:9], v[125:126]
	v_fma_f64 v[18:19], v[4:5], v[115:116], v[18:19]
	v_fma_f64 v[22:23], v[2:3], v[115:116], -v[22:23]
	ds_load_b128 v[2:5], v1 offset:1184
	v_add_f64_e32 v[16:17], v[16:17], v[20:21]
	v_add_f64_e32 v[14:15], v[14:15], v[24:25]
	v_fma_f64 v[26:27], v[8:9], v[123:124], v[26:27]
	v_fma_f64 v[28:29], v[6:7], v[123:124], -v[28:29]
	ds_load_b128 v[6:9], v1 offset:1200
	s_wait_loadcnt_dscnt 0x201
	v_mul_f64_e32 v[20:21], v[2:3], v[36:37]
	v_mul_f64_e32 v[24:25], v[4:5], v[36:37]
	v_add_f64_e32 v[16:17], v[16:17], v[18:19]
	v_add_f64_e32 v[14:15], v[14:15], v[22:23]
	s_wait_loadcnt_dscnt 0x100
	v_mul_f64_e32 v[18:19], v[6:7], v[121:122]
	v_mul_f64_e32 v[22:23], v[8:9], v[121:122]
	v_fma_f64 v[4:5], v[4:5], v[34:35], v[20:21]
	v_fma_f64 v[1:2], v[2:3], v[34:35], -v[24:25]
	v_add_f64_e32 v[16:17], v[16:17], v[26:27]
	v_add_f64_e32 v[14:15], v[14:15], v[28:29]
	v_fma_f64 v[8:9], v[8:9], v[119:120], v[18:19]
	v_fma_f64 v[6:7], v[6:7], v[119:120], -v[22:23]
	s_delay_alu instid0(VALU_DEP_4) | instskip(NEXT) | instid1(VALU_DEP_4)
	v_add_f64_e32 v[3:4], v[16:17], v[4:5]
	v_add_f64_e32 v[1:2], v[14:15], v[1:2]
	s_delay_alu instid0(VALU_DEP_2) | instskip(NEXT) | instid1(VALU_DEP_2)
	v_add_f64_e32 v[3:4], v[3:4], v[8:9]
	v_add_f64_e32 v[1:2], v[1:2], v[6:7]
	s_wait_loadcnt 0x0
	s_delay_alu instid0(VALU_DEP_2) | instskip(NEXT) | instid1(VALU_DEP_2)
	v_add_f64_e64 v[3:4], v[12:13], -v[3:4]
	v_add_f64_e64 v[1:2], v[10:11], -v[1:2]
	scratch_store_b128 off, v[1:4], off offset:96
	v_cmpx_lt_u32_e32 4, v0
	s_cbranch_execz .LBB37_233
; %bb.232:
	scratch_load_b128 v[1:4], off, s34
	v_mov_b32_e32 v5, 0
	s_delay_alu instid0(VALU_DEP_1)
	v_dual_mov_b32 v6, v5 :: v_dual_mov_b32 v7, v5
	v_mov_b32_e32 v8, v5
	scratch_store_b128 off, v[5:8], off offset:80
	s_wait_loadcnt 0x0
	ds_store_b128 v114, v[1:4]
.LBB37_233:
	s_wait_alu 0xfffe
	s_or_b32 exec_lo, exec_lo, s0
	s_wait_storecnt_dscnt 0x0
	s_barrier_signal -1
	s_barrier_wait -1
	global_inv scope:SCOPE_SE
	s_clause 0x7
	scratch_load_b128 v[2:5], off, off offset:96
	scratch_load_b128 v[6:9], off, off offset:112
	scratch_load_b128 v[10:13], off, off offset:128
	scratch_load_b128 v[14:17], off, off offset:144
	scratch_load_b128 v[18:21], off, off offset:160
	scratch_load_b128 v[22:25], off, off offset:176
	scratch_load_b128 v[26:29], off, off offset:192
	scratch_load_b128 v[30:33], off, off offset:208
	v_mov_b32_e32 v1, 0
	s_clause 0x1
	scratch_load_b128 v[115:118], off, off offset:224
	scratch_load_b128 v[123:126], off, off offset:240
	s_mov_b32 s0, exec_lo
	ds_load_b128 v[34:37], v1 offset:688
	ds_load_b128 v[119:122], v1 offset:704
	s_wait_loadcnt_dscnt 0x901
	v_mul_f64_e32 v[127:128], v[36:37], v[4:5]
	v_mul_f64_e32 v[4:5], v[34:35], v[4:5]
	s_wait_loadcnt_dscnt 0x800
	v_mul_f64_e32 v[129:130], v[119:120], v[8:9]
	v_mul_f64_e32 v[8:9], v[121:122], v[8:9]
	s_delay_alu instid0(VALU_DEP_4) | instskip(NEXT) | instid1(VALU_DEP_4)
	v_fma_f64 v[127:128], v[34:35], v[2:3], -v[127:128]
	v_fma_f64 v[131:132], v[36:37], v[2:3], v[4:5]
	ds_load_b128 v[2:5], v1 offset:720
	scratch_load_b128 v[34:37], off, off offset:256
	v_fma_f64 v[129:130], v[121:122], v[6:7], v[129:130]
	v_fma_f64 v[135:136], v[119:120], v[6:7], -v[8:9]
	ds_load_b128 v[6:9], v1 offset:736
	scratch_load_b128 v[119:122], off, off offset:272
	s_wait_loadcnt_dscnt 0x901
	v_mul_f64_e32 v[133:134], v[2:3], v[12:13]
	v_mul_f64_e32 v[12:13], v[4:5], v[12:13]
	s_wait_loadcnt_dscnt 0x800
	v_mul_f64_e32 v[137:138], v[6:7], v[16:17]
	v_mul_f64_e32 v[16:17], v[8:9], v[16:17]
	v_add_f64_e32 v[127:128], 0, v[127:128]
	v_add_f64_e32 v[131:132], 0, v[131:132]
	v_fma_f64 v[133:134], v[4:5], v[10:11], v[133:134]
	v_fma_f64 v[139:140], v[2:3], v[10:11], -v[12:13]
	ds_load_b128 v[2:5], v1 offset:752
	scratch_load_b128 v[10:13], off, off offset:288
	v_add_f64_e32 v[127:128], v[127:128], v[135:136]
	v_add_f64_e32 v[129:130], v[131:132], v[129:130]
	v_fma_f64 v[135:136], v[8:9], v[14:15], v[137:138]
	v_fma_f64 v[137:138], v[6:7], v[14:15], -v[16:17]
	ds_load_b128 v[6:9], v1 offset:768
	scratch_load_b128 v[14:17], off, off offset:304
	s_wait_loadcnt_dscnt 0x901
	v_mul_f64_e32 v[131:132], v[2:3], v[20:21]
	v_mul_f64_e32 v[20:21], v[4:5], v[20:21]
	v_add_f64_e32 v[127:128], v[127:128], v[139:140]
	v_add_f64_e32 v[129:130], v[129:130], v[133:134]
	s_wait_loadcnt_dscnt 0x800
	v_mul_f64_e32 v[133:134], v[6:7], v[24:25]
	v_mul_f64_e32 v[24:25], v[8:9], v[24:25]
	v_fma_f64 v[131:132], v[4:5], v[18:19], v[131:132]
	v_fma_f64 v[139:140], v[2:3], v[18:19], -v[20:21]
	ds_load_b128 v[2:5], v1 offset:784
	scratch_load_b128 v[18:21], off, off offset:320
	v_add_f64_e32 v[127:128], v[127:128], v[137:138]
	v_add_f64_e32 v[129:130], v[129:130], v[135:136]
	v_fma_f64 v[133:134], v[8:9], v[22:23], v[133:134]
	v_fma_f64 v[137:138], v[6:7], v[22:23], -v[24:25]
	ds_load_b128 v[6:9], v1 offset:800
	s_wait_loadcnt_dscnt 0x801
	v_mul_f64_e32 v[135:136], v[2:3], v[28:29]
	v_mul_f64_e32 v[28:29], v[4:5], v[28:29]
	scratch_load_b128 v[22:25], off, off offset:336
	v_add_f64_e32 v[127:128], v[127:128], v[139:140]
	v_add_f64_e32 v[129:130], v[129:130], v[131:132]
	s_wait_loadcnt_dscnt 0x800
	v_mul_f64_e32 v[131:132], v[6:7], v[32:33]
	v_mul_f64_e32 v[32:33], v[8:9], v[32:33]
	v_fma_f64 v[135:136], v[4:5], v[26:27], v[135:136]
	v_fma_f64 v[139:140], v[2:3], v[26:27], -v[28:29]
	ds_load_b128 v[2:5], v1 offset:816
	scratch_load_b128 v[26:29], off, off offset:352
	v_add_f64_e32 v[127:128], v[127:128], v[137:138]
	v_add_f64_e32 v[129:130], v[129:130], v[133:134]
	v_fma_f64 v[131:132], v[8:9], v[30:31], v[131:132]
	v_fma_f64 v[137:138], v[6:7], v[30:31], -v[32:33]
	ds_load_b128 v[6:9], v1 offset:832
	s_wait_loadcnt_dscnt 0x801
	v_mul_f64_e32 v[133:134], v[2:3], v[117:118]
	v_mul_f64_e32 v[117:118], v[4:5], v[117:118]
	scratch_load_b128 v[30:33], off, off offset:368
	v_add_f64_e32 v[127:128], v[127:128], v[139:140]
	v_add_f64_e32 v[129:130], v[129:130], v[135:136]
	s_wait_loadcnt_dscnt 0x800
	v_mul_f64_e32 v[135:136], v[6:7], v[125:126]
	v_mul_f64_e32 v[125:126], v[8:9], v[125:126]
	v_fma_f64 v[133:134], v[4:5], v[115:116], v[133:134]
	v_fma_f64 v[139:140], v[2:3], v[115:116], -v[117:118]
	ds_load_b128 v[2:5], v1 offset:848
	scratch_load_b128 v[115:118], off, off offset:384
	v_add_f64_e32 v[127:128], v[127:128], v[137:138]
	v_add_f64_e32 v[129:130], v[129:130], v[131:132]
	v_fma_f64 v[135:136], v[8:9], v[123:124], v[135:136]
	v_fma_f64 v[137:138], v[6:7], v[123:124], -v[125:126]
	ds_load_b128 v[6:9], v1 offset:864
	scratch_load_b128 v[123:126], off, off offset:400
	s_wait_loadcnt_dscnt 0x901
	v_mul_f64_e32 v[131:132], v[2:3], v[36:37]
	v_mul_f64_e32 v[36:37], v[4:5], v[36:37]
	v_add_f64_e32 v[127:128], v[127:128], v[139:140]
	v_add_f64_e32 v[129:130], v[129:130], v[133:134]
	s_wait_loadcnt_dscnt 0x800
	v_mul_f64_e32 v[133:134], v[6:7], v[121:122]
	v_mul_f64_e32 v[121:122], v[8:9], v[121:122]
	v_fma_f64 v[131:132], v[4:5], v[34:35], v[131:132]
	v_fma_f64 v[139:140], v[2:3], v[34:35], -v[36:37]
	ds_load_b128 v[2:5], v1 offset:880
	scratch_load_b128 v[34:37], off, off offset:416
	v_add_f64_e32 v[127:128], v[127:128], v[137:138]
	v_add_f64_e32 v[129:130], v[129:130], v[135:136]
	v_fma_f64 v[133:134], v[8:9], v[119:120], v[133:134]
	v_fma_f64 v[137:138], v[6:7], v[119:120], -v[121:122]
	ds_load_b128 v[6:9], v1 offset:896
	s_wait_loadcnt_dscnt 0x801
	v_mul_f64_e32 v[135:136], v[2:3], v[12:13]
	v_mul_f64_e32 v[12:13], v[4:5], v[12:13]
	scratch_load_b128 v[119:122], off, off offset:432
	v_add_f64_e32 v[127:128], v[127:128], v[139:140]
	v_add_f64_e32 v[129:130], v[129:130], v[131:132]
	s_wait_loadcnt_dscnt 0x800
	v_mul_f64_e32 v[131:132], v[6:7], v[16:17]
	v_mul_f64_e32 v[16:17], v[8:9], v[16:17]
	v_fma_f64 v[135:136], v[4:5], v[10:11], v[135:136]
	v_fma_f64 v[139:140], v[2:3], v[10:11], -v[12:13]
	ds_load_b128 v[2:5], v1 offset:912
	scratch_load_b128 v[10:13], off, off offset:448
	v_add_f64_e32 v[127:128], v[127:128], v[137:138]
	v_add_f64_e32 v[129:130], v[129:130], v[133:134]
	v_fma_f64 v[131:132], v[8:9], v[14:15], v[131:132]
	v_fma_f64 v[137:138], v[6:7], v[14:15], -v[16:17]
	ds_load_b128 v[6:9], v1 offset:928
	s_wait_loadcnt_dscnt 0x801
	v_mul_f64_e32 v[133:134], v[2:3], v[20:21]
	v_mul_f64_e32 v[20:21], v[4:5], v[20:21]
	scratch_load_b128 v[14:17], off, off offset:464
	;; [unrolled: 18-line block ×6, first 2 shown]
	v_add_f64_e32 v[127:128], v[127:128], v[139:140]
	v_add_f64_e32 v[129:130], v[129:130], v[133:134]
	s_wait_loadcnt_dscnt 0x800
	v_mul_f64_e32 v[133:134], v[6:7], v[16:17]
	v_mul_f64_e32 v[16:17], v[8:9], v[16:17]
	v_fma_f64 v[131:132], v[4:5], v[10:11], v[131:132]
	v_fma_f64 v[139:140], v[2:3], v[10:11], -v[12:13]
	ds_load_b128 v[2:5], v1 offset:1072
	scratch_load_b128 v[10:13], off, off offset:608
	v_add_f64_e32 v[127:128], v[127:128], v[137:138]
	v_add_f64_e32 v[129:130], v[129:130], v[135:136]
	v_fma_f64 v[133:134], v[8:9], v[14:15], v[133:134]
	v_fma_f64 v[14:15], v[6:7], v[14:15], -v[16:17]
	ds_load_b128 v[6:9], v1 offset:1088
	s_wait_loadcnt_dscnt 0x801
	v_mul_f64_e32 v[135:136], v[2:3], v[20:21]
	v_mul_f64_e32 v[20:21], v[4:5], v[20:21]
	v_add_f64_e32 v[16:17], v[127:128], v[139:140]
	v_add_f64_e32 v[127:128], v[129:130], v[131:132]
	s_wait_loadcnt_dscnt 0x700
	v_mul_f64_e32 v[129:130], v[6:7], v[24:25]
	v_mul_f64_e32 v[24:25], v[8:9], v[24:25]
	v_fma_f64 v[131:132], v[4:5], v[18:19], v[135:136]
	v_fma_f64 v[18:19], v[2:3], v[18:19], -v[20:21]
	ds_load_b128 v[2:5], v1 offset:1104
	v_add_f64_e32 v[14:15], v[16:17], v[14:15]
	v_add_f64_e32 v[16:17], v[127:128], v[133:134]
	v_fma_f64 v[127:128], v[8:9], v[22:23], v[129:130]
	v_fma_f64 v[22:23], v[6:7], v[22:23], -v[24:25]
	ds_load_b128 v[6:9], v1 offset:1120
	s_wait_loadcnt_dscnt 0x500
	v_mul_f64_e32 v[129:130], v[6:7], v[32:33]
	v_mul_f64_e32 v[32:33], v[8:9], v[32:33]
	v_add_f64_e32 v[18:19], v[14:15], v[18:19]
	v_add_f64_e32 v[24:25], v[16:17], v[131:132]
	scratch_load_b128 v[14:17], off, off offset:80
	v_mul_f64_e32 v[20:21], v[2:3], v[28:29]
	v_mul_f64_e32 v[28:29], v[4:5], v[28:29]
	v_add_f64_e32 v[18:19], v[18:19], v[22:23]
	v_add_f64_e32 v[22:23], v[24:25], v[127:128]
	s_delay_alu instid0(VALU_DEP_4) | instskip(NEXT) | instid1(VALU_DEP_4)
	v_fma_f64 v[20:21], v[4:5], v[26:27], v[20:21]
	v_fma_f64 v[26:27], v[2:3], v[26:27], -v[28:29]
	ds_load_b128 v[2:5], v1 offset:1136
	s_wait_loadcnt_dscnt 0x500
	v_mul_f64_e32 v[24:25], v[2:3], v[117:118]
	v_mul_f64_e32 v[28:29], v[4:5], v[117:118]
	v_fma_f64 v[117:118], v[8:9], v[30:31], v[129:130]
	v_fma_f64 v[30:31], v[6:7], v[30:31], -v[32:33]
	ds_load_b128 v[6:9], v1 offset:1152
	v_add_f64_e32 v[20:21], v[22:23], v[20:21]
	v_add_f64_e32 v[18:19], v[18:19], v[26:27]
	v_fma_f64 v[24:25], v[4:5], v[115:116], v[24:25]
	v_fma_f64 v[28:29], v[2:3], v[115:116], -v[28:29]
	ds_load_b128 v[2:5], v1 offset:1168
	s_wait_loadcnt_dscnt 0x401
	v_mul_f64_e32 v[22:23], v[6:7], v[125:126]
	v_mul_f64_e32 v[26:27], v[8:9], v[125:126]
	v_add_f64_e32 v[20:21], v[20:21], v[117:118]
	v_add_f64_e32 v[18:19], v[18:19], v[30:31]
	s_wait_loadcnt_dscnt 0x300
	v_mul_f64_e32 v[30:31], v[2:3], v[36:37]
	v_mul_f64_e32 v[32:33], v[4:5], v[36:37]
	v_fma_f64 v[22:23], v[8:9], v[123:124], v[22:23]
	v_fma_f64 v[26:27], v[6:7], v[123:124], -v[26:27]
	ds_load_b128 v[6:9], v1 offset:1184
	v_add_f64_e32 v[20:21], v[20:21], v[24:25]
	v_add_f64_e32 v[18:19], v[18:19], v[28:29]
	v_fma_f64 v[30:31], v[4:5], v[34:35], v[30:31]
	v_fma_f64 v[32:33], v[2:3], v[34:35], -v[32:33]
	ds_load_b128 v[2:5], v1 offset:1200
	s_wait_loadcnt_dscnt 0x201
	v_mul_f64_e32 v[24:25], v[6:7], v[121:122]
	v_mul_f64_e32 v[28:29], v[8:9], v[121:122]
	v_add_f64_e32 v[20:21], v[20:21], v[22:23]
	v_add_f64_e32 v[18:19], v[18:19], v[26:27]
	s_wait_loadcnt_dscnt 0x100
	v_mul_f64_e32 v[22:23], v[2:3], v[12:13]
	v_mul_f64_e32 v[12:13], v[4:5], v[12:13]
	v_fma_f64 v[8:9], v[8:9], v[119:120], v[24:25]
	v_fma_f64 v[6:7], v[6:7], v[119:120], -v[28:29]
	v_add_f64_e32 v[20:21], v[20:21], v[30:31]
	v_add_f64_e32 v[18:19], v[18:19], v[32:33]
	v_fma_f64 v[4:5], v[4:5], v[10:11], v[22:23]
	v_fma_f64 v[2:3], v[2:3], v[10:11], -v[12:13]
	s_delay_alu instid0(VALU_DEP_4) | instskip(NEXT) | instid1(VALU_DEP_4)
	v_add_f64_e32 v[8:9], v[20:21], v[8:9]
	v_add_f64_e32 v[6:7], v[18:19], v[6:7]
	s_delay_alu instid0(VALU_DEP_2) | instskip(NEXT) | instid1(VALU_DEP_2)
	v_add_f64_e32 v[4:5], v[8:9], v[4:5]
	v_add_f64_e32 v[2:3], v[6:7], v[2:3]
	s_wait_loadcnt 0x0
	s_delay_alu instid0(VALU_DEP_2) | instskip(NEXT) | instid1(VALU_DEP_2)
	v_add_f64_e64 v[4:5], v[16:17], -v[4:5]
	v_add_f64_e64 v[2:3], v[14:15], -v[2:3]
	scratch_store_b128 off, v[2:5], off offset:80
	v_cmpx_lt_u32_e32 3, v0
	s_cbranch_execz .LBB37_235
; %bb.234:
	scratch_load_b128 v[5:8], off, s35
	v_dual_mov_b32 v2, v1 :: v_dual_mov_b32 v3, v1
	v_mov_b32_e32 v4, v1
	scratch_store_b128 off, v[1:4], off offset:64
	s_wait_loadcnt 0x0
	ds_store_b128 v114, v[5:8]
.LBB37_235:
	s_wait_alu 0xfffe
	s_or_b32 exec_lo, exec_lo, s0
	s_wait_storecnt_dscnt 0x0
	s_barrier_signal -1
	s_barrier_wait -1
	global_inv scope:SCOPE_SE
	s_clause 0x7
	scratch_load_b128 v[2:5], off, off offset:80
	scratch_load_b128 v[6:9], off, off offset:96
	;; [unrolled: 1-line block ×8, first 2 shown]
	ds_load_b128 v[115:118], v1 offset:672
	ds_load_b128 v[119:122], v1 offset:688
	s_clause 0x1
	scratch_load_b128 v[34:37], off, off offset:208
	scratch_load_b128 v[123:126], off, off offset:224
	s_mov_b32 s0, exec_lo
	s_wait_loadcnt_dscnt 0x901
	v_mul_f64_e32 v[127:128], v[117:118], v[4:5]
	v_mul_f64_e32 v[4:5], v[115:116], v[4:5]
	s_wait_loadcnt_dscnt 0x800
	v_mul_f64_e32 v[129:130], v[119:120], v[8:9]
	v_mul_f64_e32 v[8:9], v[121:122], v[8:9]
	s_delay_alu instid0(VALU_DEP_4) | instskip(NEXT) | instid1(VALU_DEP_4)
	v_fma_f64 v[127:128], v[115:116], v[2:3], -v[127:128]
	v_fma_f64 v[131:132], v[117:118], v[2:3], v[4:5]
	ds_load_b128 v[2:5], v1 offset:704
	scratch_load_b128 v[115:118], off, off offset:240
	v_fma_f64 v[129:130], v[121:122], v[6:7], v[129:130]
	v_fma_f64 v[135:136], v[119:120], v[6:7], -v[8:9]
	ds_load_b128 v[6:9], v1 offset:720
	scratch_load_b128 v[119:122], off, off offset:256
	s_wait_loadcnt_dscnt 0x901
	v_mul_f64_e32 v[133:134], v[2:3], v[12:13]
	v_mul_f64_e32 v[12:13], v[4:5], v[12:13]
	s_wait_loadcnt_dscnt 0x800
	v_mul_f64_e32 v[137:138], v[6:7], v[16:17]
	v_mul_f64_e32 v[16:17], v[8:9], v[16:17]
	v_add_f64_e32 v[127:128], 0, v[127:128]
	v_add_f64_e32 v[131:132], 0, v[131:132]
	v_fma_f64 v[133:134], v[4:5], v[10:11], v[133:134]
	v_fma_f64 v[139:140], v[2:3], v[10:11], -v[12:13]
	ds_load_b128 v[2:5], v1 offset:736
	scratch_load_b128 v[10:13], off, off offset:272
	v_add_f64_e32 v[127:128], v[127:128], v[135:136]
	v_add_f64_e32 v[129:130], v[131:132], v[129:130]
	v_fma_f64 v[135:136], v[8:9], v[14:15], v[137:138]
	v_fma_f64 v[137:138], v[6:7], v[14:15], -v[16:17]
	ds_load_b128 v[6:9], v1 offset:752
	scratch_load_b128 v[14:17], off, off offset:288
	s_wait_loadcnt_dscnt 0x901
	v_mul_f64_e32 v[131:132], v[2:3], v[20:21]
	v_mul_f64_e32 v[20:21], v[4:5], v[20:21]
	v_add_f64_e32 v[127:128], v[127:128], v[139:140]
	v_add_f64_e32 v[129:130], v[129:130], v[133:134]
	s_wait_loadcnt_dscnt 0x800
	v_mul_f64_e32 v[133:134], v[6:7], v[24:25]
	v_mul_f64_e32 v[24:25], v[8:9], v[24:25]
	v_fma_f64 v[131:132], v[4:5], v[18:19], v[131:132]
	v_fma_f64 v[139:140], v[2:3], v[18:19], -v[20:21]
	ds_load_b128 v[2:5], v1 offset:768
	scratch_load_b128 v[18:21], off, off offset:304
	v_add_f64_e32 v[127:128], v[127:128], v[137:138]
	v_add_f64_e32 v[129:130], v[129:130], v[135:136]
	v_fma_f64 v[133:134], v[8:9], v[22:23], v[133:134]
	v_fma_f64 v[137:138], v[6:7], v[22:23], -v[24:25]
	ds_load_b128 v[6:9], v1 offset:784
	s_wait_loadcnt_dscnt 0x801
	v_mul_f64_e32 v[135:136], v[2:3], v[28:29]
	v_mul_f64_e32 v[28:29], v[4:5], v[28:29]
	scratch_load_b128 v[22:25], off, off offset:320
	v_add_f64_e32 v[127:128], v[127:128], v[139:140]
	v_add_f64_e32 v[129:130], v[129:130], v[131:132]
	s_wait_loadcnt_dscnt 0x800
	v_mul_f64_e32 v[131:132], v[6:7], v[32:33]
	v_mul_f64_e32 v[32:33], v[8:9], v[32:33]
	v_fma_f64 v[135:136], v[4:5], v[26:27], v[135:136]
	v_fma_f64 v[139:140], v[2:3], v[26:27], -v[28:29]
	ds_load_b128 v[2:5], v1 offset:800
	scratch_load_b128 v[26:29], off, off offset:336
	v_add_f64_e32 v[127:128], v[127:128], v[137:138]
	v_add_f64_e32 v[129:130], v[129:130], v[133:134]
	v_fma_f64 v[131:132], v[8:9], v[30:31], v[131:132]
	v_fma_f64 v[137:138], v[6:7], v[30:31], -v[32:33]
	ds_load_b128 v[6:9], v1 offset:816
	s_wait_loadcnt_dscnt 0x801
	v_mul_f64_e32 v[133:134], v[2:3], v[36:37]
	v_mul_f64_e32 v[36:37], v[4:5], v[36:37]
	scratch_load_b128 v[30:33], off, off offset:352
	v_add_f64_e32 v[127:128], v[127:128], v[139:140]
	v_add_f64_e32 v[129:130], v[129:130], v[135:136]
	s_wait_loadcnt_dscnt 0x800
	v_mul_f64_e32 v[135:136], v[6:7], v[125:126]
	v_mul_f64_e32 v[125:126], v[8:9], v[125:126]
	v_fma_f64 v[133:134], v[4:5], v[34:35], v[133:134]
	v_fma_f64 v[139:140], v[2:3], v[34:35], -v[36:37]
	ds_load_b128 v[2:5], v1 offset:832
	scratch_load_b128 v[34:37], off, off offset:368
	v_add_f64_e32 v[127:128], v[127:128], v[137:138]
	v_add_f64_e32 v[129:130], v[129:130], v[131:132]
	v_fma_f64 v[135:136], v[8:9], v[123:124], v[135:136]
	v_fma_f64 v[137:138], v[6:7], v[123:124], -v[125:126]
	ds_load_b128 v[6:9], v1 offset:848
	scratch_load_b128 v[123:126], off, off offset:384
	s_wait_loadcnt_dscnt 0x901
	v_mul_f64_e32 v[131:132], v[2:3], v[117:118]
	v_mul_f64_e32 v[117:118], v[4:5], v[117:118]
	v_add_f64_e32 v[127:128], v[127:128], v[139:140]
	v_add_f64_e32 v[129:130], v[129:130], v[133:134]
	s_wait_loadcnt_dscnt 0x800
	v_mul_f64_e32 v[133:134], v[6:7], v[121:122]
	v_mul_f64_e32 v[121:122], v[8:9], v[121:122]
	v_fma_f64 v[131:132], v[4:5], v[115:116], v[131:132]
	v_fma_f64 v[139:140], v[2:3], v[115:116], -v[117:118]
	ds_load_b128 v[2:5], v1 offset:864
	scratch_load_b128 v[115:118], off, off offset:400
	v_add_f64_e32 v[127:128], v[127:128], v[137:138]
	v_add_f64_e32 v[129:130], v[129:130], v[135:136]
	v_fma_f64 v[133:134], v[8:9], v[119:120], v[133:134]
	v_fma_f64 v[137:138], v[6:7], v[119:120], -v[121:122]
	ds_load_b128 v[6:9], v1 offset:880
	s_wait_loadcnt_dscnt 0x801
	v_mul_f64_e32 v[135:136], v[2:3], v[12:13]
	v_mul_f64_e32 v[12:13], v[4:5], v[12:13]
	scratch_load_b128 v[119:122], off, off offset:416
	v_add_f64_e32 v[127:128], v[127:128], v[139:140]
	v_add_f64_e32 v[129:130], v[129:130], v[131:132]
	s_wait_loadcnt_dscnt 0x800
	v_mul_f64_e32 v[131:132], v[6:7], v[16:17]
	v_mul_f64_e32 v[16:17], v[8:9], v[16:17]
	v_fma_f64 v[135:136], v[4:5], v[10:11], v[135:136]
	v_fma_f64 v[139:140], v[2:3], v[10:11], -v[12:13]
	ds_load_b128 v[2:5], v1 offset:896
	scratch_load_b128 v[10:13], off, off offset:432
	v_add_f64_e32 v[127:128], v[127:128], v[137:138]
	v_add_f64_e32 v[129:130], v[129:130], v[133:134]
	v_fma_f64 v[131:132], v[8:9], v[14:15], v[131:132]
	v_fma_f64 v[137:138], v[6:7], v[14:15], -v[16:17]
	ds_load_b128 v[6:9], v1 offset:912
	s_wait_loadcnt_dscnt 0x801
	v_mul_f64_e32 v[133:134], v[2:3], v[20:21]
	v_mul_f64_e32 v[20:21], v[4:5], v[20:21]
	scratch_load_b128 v[14:17], off, off offset:448
	;; [unrolled: 18-line block ×7, first 2 shown]
	v_add_f64_e32 v[127:128], v[127:128], v[139:140]
	v_add_f64_e32 v[129:130], v[129:130], v[131:132]
	s_wait_loadcnt_dscnt 0x800
	v_mul_f64_e32 v[131:132], v[6:7], v[24:25]
	v_mul_f64_e32 v[24:25], v[8:9], v[24:25]
	v_fma_f64 v[135:136], v[4:5], v[18:19], v[135:136]
	v_fma_f64 v[18:19], v[2:3], v[18:19], -v[20:21]
	ds_load_b128 v[2:5], v1 offset:1088
	v_add_f64_e32 v[20:21], v[127:128], v[137:138]
	v_add_f64_e32 v[127:128], v[129:130], v[133:134]
	v_fma_f64 v[131:132], v[8:9], v[22:23], v[131:132]
	v_fma_f64 v[22:23], v[6:7], v[22:23], -v[24:25]
	ds_load_b128 v[6:9], v1 offset:1104
	s_wait_loadcnt_dscnt 0x701
	v_mul_f64_e32 v[129:130], v[2:3], v[28:29]
	v_mul_f64_e32 v[28:29], v[4:5], v[28:29]
	v_add_f64_e32 v[18:19], v[20:21], v[18:19]
	v_add_f64_e32 v[20:21], v[127:128], v[135:136]
	s_delay_alu instid0(VALU_DEP_4) | instskip(NEXT) | instid1(VALU_DEP_4)
	v_fma_f64 v[127:128], v[4:5], v[26:27], v[129:130]
	v_fma_f64 v[26:27], v[2:3], v[26:27], -v[28:29]
	ds_load_b128 v[2:5], v1 offset:1120
	v_add_f64_e32 v[22:23], v[18:19], v[22:23]
	v_add_f64_e32 v[28:29], v[20:21], v[131:132]
	scratch_load_b128 v[18:21], off, off offset:64
	s_wait_loadcnt_dscnt 0x701
	v_mul_f64_e32 v[24:25], v[6:7], v[32:33]
	v_mul_f64_e32 v[32:33], v[8:9], v[32:33]
	v_add_f64_e32 v[22:23], v[22:23], v[26:27]
	v_add_f64_e32 v[26:27], v[28:29], v[127:128]
	s_delay_alu instid0(VALU_DEP_4) | instskip(NEXT) | instid1(VALU_DEP_4)
	v_fma_f64 v[24:25], v[8:9], v[30:31], v[24:25]
	v_fma_f64 v[30:31], v[6:7], v[30:31], -v[32:33]
	ds_load_b128 v[6:9], v1 offset:1136
	s_wait_loadcnt_dscnt 0x601
	v_mul_f64_e32 v[129:130], v[2:3], v[36:37]
	v_mul_f64_e32 v[36:37], v[4:5], v[36:37]
	s_wait_loadcnt_dscnt 0x500
	v_mul_f64_e32 v[28:29], v[6:7], v[125:126]
	v_mul_f64_e32 v[32:33], v[8:9], v[125:126]
	v_add_f64_e32 v[24:25], v[26:27], v[24:25]
	v_add_f64_e32 v[22:23], v[22:23], v[30:31]
	v_fma_f64 v[125:126], v[4:5], v[34:35], v[129:130]
	v_fma_f64 v[34:35], v[2:3], v[34:35], -v[36:37]
	ds_load_b128 v[2:5], v1 offset:1152
	v_fma_f64 v[28:29], v[8:9], v[123:124], v[28:29]
	v_fma_f64 v[32:33], v[6:7], v[123:124], -v[32:33]
	ds_load_b128 v[6:9], v1 offset:1168
	s_wait_loadcnt_dscnt 0x401
	v_mul_f64_e32 v[26:27], v[2:3], v[117:118]
	v_mul_f64_e32 v[30:31], v[4:5], v[117:118]
	v_add_f64_e32 v[24:25], v[24:25], v[125:126]
	v_add_f64_e32 v[22:23], v[22:23], v[34:35]
	s_wait_loadcnt_dscnt 0x300
	v_mul_f64_e32 v[34:35], v[6:7], v[121:122]
	v_mul_f64_e32 v[36:37], v[8:9], v[121:122]
	v_fma_f64 v[26:27], v[4:5], v[115:116], v[26:27]
	v_fma_f64 v[30:31], v[2:3], v[115:116], -v[30:31]
	ds_load_b128 v[2:5], v1 offset:1184
	v_add_f64_e32 v[24:25], v[24:25], v[28:29]
	v_add_f64_e32 v[22:23], v[22:23], v[32:33]
	v_fma_f64 v[32:33], v[8:9], v[119:120], v[34:35]
	v_fma_f64 v[34:35], v[6:7], v[119:120], -v[36:37]
	ds_load_b128 v[6:9], v1 offset:1200
	s_wait_loadcnt_dscnt 0x201
	v_mul_f64_e32 v[28:29], v[2:3], v[12:13]
	v_mul_f64_e32 v[12:13], v[4:5], v[12:13]
	v_add_f64_e32 v[24:25], v[24:25], v[26:27]
	v_add_f64_e32 v[22:23], v[22:23], v[30:31]
	s_wait_loadcnt_dscnt 0x100
	v_mul_f64_e32 v[26:27], v[6:7], v[16:17]
	v_mul_f64_e32 v[16:17], v[8:9], v[16:17]
	v_fma_f64 v[4:5], v[4:5], v[10:11], v[28:29]
	v_fma_f64 v[1:2], v[2:3], v[10:11], -v[12:13]
	v_add_f64_e32 v[12:13], v[24:25], v[32:33]
	v_add_f64_e32 v[10:11], v[22:23], v[34:35]
	v_fma_f64 v[8:9], v[8:9], v[14:15], v[26:27]
	v_fma_f64 v[6:7], v[6:7], v[14:15], -v[16:17]
	s_delay_alu instid0(VALU_DEP_4) | instskip(NEXT) | instid1(VALU_DEP_4)
	v_add_f64_e32 v[3:4], v[12:13], v[4:5]
	v_add_f64_e32 v[1:2], v[10:11], v[1:2]
	s_delay_alu instid0(VALU_DEP_2) | instskip(NEXT) | instid1(VALU_DEP_2)
	v_add_f64_e32 v[3:4], v[3:4], v[8:9]
	v_add_f64_e32 v[1:2], v[1:2], v[6:7]
	s_wait_loadcnt 0x0
	s_delay_alu instid0(VALU_DEP_2) | instskip(NEXT) | instid1(VALU_DEP_2)
	v_add_f64_e64 v[3:4], v[20:21], -v[3:4]
	v_add_f64_e64 v[1:2], v[18:19], -v[1:2]
	scratch_store_b128 off, v[1:4], off offset:64
	v_cmpx_lt_u32_e32 2, v0
	s_cbranch_execz .LBB37_237
; %bb.236:
	scratch_load_b128 v[1:4], off, s36
	v_mov_b32_e32 v5, 0
	s_delay_alu instid0(VALU_DEP_1)
	v_dual_mov_b32 v6, v5 :: v_dual_mov_b32 v7, v5
	v_mov_b32_e32 v8, v5
	scratch_store_b128 off, v[5:8], off offset:48
	s_wait_loadcnt 0x0
	ds_store_b128 v114, v[1:4]
.LBB37_237:
	s_wait_alu 0xfffe
	s_or_b32 exec_lo, exec_lo, s0
	s_wait_storecnt_dscnt 0x0
	s_barrier_signal -1
	s_barrier_wait -1
	global_inv scope:SCOPE_SE
	s_clause 0x7
	scratch_load_b128 v[2:5], off, off offset:64
	scratch_load_b128 v[6:9], off, off offset:80
	;; [unrolled: 1-line block ×8, first 2 shown]
	v_mov_b32_e32 v1, 0
	s_clause 0x1
	scratch_load_b128 v[34:37], off, off offset:192
	scratch_load_b128 v[123:126], off, off offset:208
	s_mov_b32 s0, exec_lo
	ds_load_b128 v[115:118], v1 offset:656
	ds_load_b128 v[119:122], v1 offset:672
	s_wait_loadcnt_dscnt 0x901
	v_mul_f64_e32 v[127:128], v[117:118], v[4:5]
	v_mul_f64_e32 v[4:5], v[115:116], v[4:5]
	s_wait_loadcnt_dscnt 0x800
	v_mul_f64_e32 v[129:130], v[119:120], v[8:9]
	v_mul_f64_e32 v[8:9], v[121:122], v[8:9]
	s_delay_alu instid0(VALU_DEP_4) | instskip(NEXT) | instid1(VALU_DEP_4)
	v_fma_f64 v[127:128], v[115:116], v[2:3], -v[127:128]
	v_fma_f64 v[131:132], v[117:118], v[2:3], v[4:5]
	ds_load_b128 v[2:5], v1 offset:688
	scratch_load_b128 v[115:118], off, off offset:224
	v_fma_f64 v[129:130], v[121:122], v[6:7], v[129:130]
	v_fma_f64 v[135:136], v[119:120], v[6:7], -v[8:9]
	ds_load_b128 v[6:9], v1 offset:704
	scratch_load_b128 v[119:122], off, off offset:240
	s_wait_loadcnt_dscnt 0x901
	v_mul_f64_e32 v[133:134], v[2:3], v[12:13]
	v_mul_f64_e32 v[12:13], v[4:5], v[12:13]
	s_wait_loadcnt_dscnt 0x800
	v_mul_f64_e32 v[137:138], v[6:7], v[16:17]
	v_mul_f64_e32 v[16:17], v[8:9], v[16:17]
	v_add_f64_e32 v[127:128], 0, v[127:128]
	v_add_f64_e32 v[131:132], 0, v[131:132]
	v_fma_f64 v[133:134], v[4:5], v[10:11], v[133:134]
	v_fma_f64 v[139:140], v[2:3], v[10:11], -v[12:13]
	ds_load_b128 v[2:5], v1 offset:720
	scratch_load_b128 v[10:13], off, off offset:256
	v_add_f64_e32 v[127:128], v[127:128], v[135:136]
	v_add_f64_e32 v[129:130], v[131:132], v[129:130]
	v_fma_f64 v[135:136], v[8:9], v[14:15], v[137:138]
	v_fma_f64 v[137:138], v[6:7], v[14:15], -v[16:17]
	ds_load_b128 v[6:9], v1 offset:736
	scratch_load_b128 v[14:17], off, off offset:272
	s_wait_loadcnt_dscnt 0x901
	v_mul_f64_e32 v[131:132], v[2:3], v[20:21]
	v_mul_f64_e32 v[20:21], v[4:5], v[20:21]
	v_add_f64_e32 v[127:128], v[127:128], v[139:140]
	v_add_f64_e32 v[129:130], v[129:130], v[133:134]
	s_wait_loadcnt_dscnt 0x800
	v_mul_f64_e32 v[133:134], v[6:7], v[24:25]
	v_mul_f64_e32 v[24:25], v[8:9], v[24:25]
	v_fma_f64 v[131:132], v[4:5], v[18:19], v[131:132]
	v_fma_f64 v[139:140], v[2:3], v[18:19], -v[20:21]
	ds_load_b128 v[2:5], v1 offset:752
	scratch_load_b128 v[18:21], off, off offset:288
	v_add_f64_e32 v[127:128], v[127:128], v[137:138]
	v_add_f64_e32 v[129:130], v[129:130], v[135:136]
	v_fma_f64 v[133:134], v[8:9], v[22:23], v[133:134]
	v_fma_f64 v[137:138], v[6:7], v[22:23], -v[24:25]
	ds_load_b128 v[6:9], v1 offset:768
	s_wait_loadcnt_dscnt 0x801
	v_mul_f64_e32 v[135:136], v[2:3], v[28:29]
	v_mul_f64_e32 v[28:29], v[4:5], v[28:29]
	scratch_load_b128 v[22:25], off, off offset:304
	v_add_f64_e32 v[127:128], v[127:128], v[139:140]
	v_add_f64_e32 v[129:130], v[129:130], v[131:132]
	s_wait_loadcnt_dscnt 0x800
	v_mul_f64_e32 v[131:132], v[6:7], v[32:33]
	v_mul_f64_e32 v[32:33], v[8:9], v[32:33]
	v_fma_f64 v[135:136], v[4:5], v[26:27], v[135:136]
	v_fma_f64 v[139:140], v[2:3], v[26:27], -v[28:29]
	ds_load_b128 v[2:5], v1 offset:784
	scratch_load_b128 v[26:29], off, off offset:320
	v_add_f64_e32 v[127:128], v[127:128], v[137:138]
	v_add_f64_e32 v[129:130], v[129:130], v[133:134]
	v_fma_f64 v[131:132], v[8:9], v[30:31], v[131:132]
	v_fma_f64 v[137:138], v[6:7], v[30:31], -v[32:33]
	ds_load_b128 v[6:9], v1 offset:800
	s_wait_loadcnt_dscnt 0x801
	v_mul_f64_e32 v[133:134], v[2:3], v[36:37]
	v_mul_f64_e32 v[36:37], v[4:5], v[36:37]
	scratch_load_b128 v[30:33], off, off offset:336
	v_add_f64_e32 v[127:128], v[127:128], v[139:140]
	v_add_f64_e32 v[129:130], v[129:130], v[135:136]
	s_wait_loadcnt_dscnt 0x800
	v_mul_f64_e32 v[135:136], v[6:7], v[125:126]
	v_mul_f64_e32 v[125:126], v[8:9], v[125:126]
	v_fma_f64 v[133:134], v[4:5], v[34:35], v[133:134]
	v_fma_f64 v[139:140], v[2:3], v[34:35], -v[36:37]
	ds_load_b128 v[2:5], v1 offset:816
	scratch_load_b128 v[34:37], off, off offset:352
	v_add_f64_e32 v[127:128], v[127:128], v[137:138]
	v_add_f64_e32 v[129:130], v[129:130], v[131:132]
	v_fma_f64 v[135:136], v[8:9], v[123:124], v[135:136]
	v_fma_f64 v[137:138], v[6:7], v[123:124], -v[125:126]
	ds_load_b128 v[6:9], v1 offset:832
	scratch_load_b128 v[123:126], off, off offset:368
	s_wait_loadcnt_dscnt 0x901
	v_mul_f64_e32 v[131:132], v[2:3], v[117:118]
	v_mul_f64_e32 v[117:118], v[4:5], v[117:118]
	v_add_f64_e32 v[127:128], v[127:128], v[139:140]
	v_add_f64_e32 v[129:130], v[129:130], v[133:134]
	s_wait_loadcnt_dscnt 0x800
	v_mul_f64_e32 v[133:134], v[6:7], v[121:122]
	v_mul_f64_e32 v[121:122], v[8:9], v[121:122]
	v_fma_f64 v[131:132], v[4:5], v[115:116], v[131:132]
	v_fma_f64 v[139:140], v[2:3], v[115:116], -v[117:118]
	ds_load_b128 v[2:5], v1 offset:848
	scratch_load_b128 v[115:118], off, off offset:384
	v_add_f64_e32 v[127:128], v[127:128], v[137:138]
	v_add_f64_e32 v[129:130], v[129:130], v[135:136]
	v_fma_f64 v[133:134], v[8:9], v[119:120], v[133:134]
	v_fma_f64 v[137:138], v[6:7], v[119:120], -v[121:122]
	ds_load_b128 v[6:9], v1 offset:864
	s_wait_loadcnt_dscnt 0x801
	v_mul_f64_e32 v[135:136], v[2:3], v[12:13]
	v_mul_f64_e32 v[12:13], v[4:5], v[12:13]
	scratch_load_b128 v[119:122], off, off offset:400
	v_add_f64_e32 v[127:128], v[127:128], v[139:140]
	v_add_f64_e32 v[129:130], v[129:130], v[131:132]
	s_wait_loadcnt_dscnt 0x800
	v_mul_f64_e32 v[131:132], v[6:7], v[16:17]
	v_mul_f64_e32 v[16:17], v[8:9], v[16:17]
	v_fma_f64 v[135:136], v[4:5], v[10:11], v[135:136]
	v_fma_f64 v[139:140], v[2:3], v[10:11], -v[12:13]
	ds_load_b128 v[2:5], v1 offset:880
	scratch_load_b128 v[10:13], off, off offset:416
	v_add_f64_e32 v[127:128], v[127:128], v[137:138]
	v_add_f64_e32 v[129:130], v[129:130], v[133:134]
	v_fma_f64 v[131:132], v[8:9], v[14:15], v[131:132]
	v_fma_f64 v[137:138], v[6:7], v[14:15], -v[16:17]
	ds_load_b128 v[6:9], v1 offset:896
	s_wait_loadcnt_dscnt 0x801
	v_mul_f64_e32 v[133:134], v[2:3], v[20:21]
	v_mul_f64_e32 v[20:21], v[4:5], v[20:21]
	scratch_load_b128 v[14:17], off, off offset:432
	;; [unrolled: 18-line block ×7, first 2 shown]
	v_add_f64_e32 v[127:128], v[127:128], v[139:140]
	v_add_f64_e32 v[129:130], v[129:130], v[131:132]
	s_wait_loadcnt_dscnt 0x800
	v_mul_f64_e32 v[131:132], v[6:7], v[24:25]
	v_mul_f64_e32 v[24:25], v[8:9], v[24:25]
	v_fma_f64 v[135:136], v[4:5], v[18:19], v[135:136]
	v_fma_f64 v[139:140], v[2:3], v[18:19], -v[20:21]
	ds_load_b128 v[2:5], v1 offset:1072
	scratch_load_b128 v[18:21], off, off offset:608
	v_add_f64_e32 v[127:128], v[127:128], v[137:138]
	v_add_f64_e32 v[129:130], v[129:130], v[133:134]
	v_fma_f64 v[131:132], v[8:9], v[22:23], v[131:132]
	v_fma_f64 v[22:23], v[6:7], v[22:23], -v[24:25]
	ds_load_b128 v[6:9], v1 offset:1088
	s_wait_loadcnt_dscnt 0x801
	v_mul_f64_e32 v[133:134], v[2:3], v[28:29]
	v_mul_f64_e32 v[28:29], v[4:5], v[28:29]
	v_add_f64_e32 v[24:25], v[127:128], v[139:140]
	v_add_f64_e32 v[127:128], v[129:130], v[135:136]
	s_wait_loadcnt_dscnt 0x700
	v_mul_f64_e32 v[129:130], v[6:7], v[32:33]
	v_mul_f64_e32 v[32:33], v[8:9], v[32:33]
	v_fma_f64 v[133:134], v[4:5], v[26:27], v[133:134]
	v_fma_f64 v[26:27], v[2:3], v[26:27], -v[28:29]
	ds_load_b128 v[2:5], v1 offset:1104
	v_add_f64_e32 v[22:23], v[24:25], v[22:23]
	v_add_f64_e32 v[24:25], v[127:128], v[131:132]
	v_fma_f64 v[127:128], v[8:9], v[30:31], v[129:130]
	v_fma_f64 v[30:31], v[6:7], v[30:31], -v[32:33]
	ds_load_b128 v[6:9], v1 offset:1120
	s_wait_loadcnt_dscnt 0x500
	v_mul_f64_e32 v[129:130], v[6:7], v[125:126]
	v_mul_f64_e32 v[125:126], v[8:9], v[125:126]
	v_add_f64_e32 v[26:27], v[22:23], v[26:27]
	v_add_f64_e32 v[32:33], v[24:25], v[133:134]
	scratch_load_b128 v[22:25], off, off offset:48
	v_mul_f64_e32 v[28:29], v[2:3], v[36:37]
	v_mul_f64_e32 v[36:37], v[4:5], v[36:37]
	v_add_f64_e32 v[26:27], v[26:27], v[30:31]
	v_add_f64_e32 v[30:31], v[32:33], v[127:128]
	s_delay_alu instid0(VALU_DEP_4) | instskip(NEXT) | instid1(VALU_DEP_4)
	v_fma_f64 v[28:29], v[4:5], v[34:35], v[28:29]
	v_fma_f64 v[34:35], v[2:3], v[34:35], -v[36:37]
	ds_load_b128 v[2:5], v1 offset:1136
	s_wait_loadcnt_dscnt 0x500
	v_mul_f64_e32 v[32:33], v[2:3], v[117:118]
	v_mul_f64_e32 v[36:37], v[4:5], v[117:118]
	v_fma_f64 v[117:118], v[8:9], v[123:124], v[129:130]
	v_fma_f64 v[123:124], v[6:7], v[123:124], -v[125:126]
	ds_load_b128 v[6:9], v1 offset:1152
	v_add_f64_e32 v[28:29], v[30:31], v[28:29]
	v_add_f64_e32 v[26:27], v[26:27], v[34:35]
	v_fma_f64 v[32:33], v[4:5], v[115:116], v[32:33]
	v_fma_f64 v[36:37], v[2:3], v[115:116], -v[36:37]
	ds_load_b128 v[2:5], v1 offset:1168
	s_wait_loadcnt_dscnt 0x401
	v_mul_f64_e32 v[30:31], v[6:7], v[121:122]
	v_mul_f64_e32 v[34:35], v[8:9], v[121:122]
	v_add_f64_e32 v[28:29], v[28:29], v[117:118]
	v_add_f64_e32 v[26:27], v[26:27], v[123:124]
	s_wait_loadcnt_dscnt 0x300
	v_mul_f64_e32 v[115:116], v[2:3], v[12:13]
	v_mul_f64_e32 v[12:13], v[4:5], v[12:13]
	v_fma_f64 v[30:31], v[8:9], v[119:120], v[30:31]
	v_fma_f64 v[34:35], v[6:7], v[119:120], -v[34:35]
	ds_load_b128 v[6:9], v1 offset:1184
	v_add_f64_e32 v[28:29], v[28:29], v[32:33]
	v_add_f64_e32 v[26:27], v[26:27], v[36:37]
	v_fma_f64 v[36:37], v[4:5], v[10:11], v[115:116]
	v_fma_f64 v[10:11], v[2:3], v[10:11], -v[12:13]
	ds_load_b128 v[2:5], v1 offset:1200
	s_wait_loadcnt_dscnt 0x201
	v_mul_f64_e32 v[32:33], v[6:7], v[16:17]
	v_mul_f64_e32 v[16:17], v[8:9], v[16:17]
	v_add_f64_e32 v[12:13], v[26:27], v[34:35]
	v_add_f64_e32 v[26:27], v[28:29], v[30:31]
	s_wait_loadcnt_dscnt 0x100
	v_mul_f64_e32 v[28:29], v[2:3], v[20:21]
	v_mul_f64_e32 v[20:21], v[4:5], v[20:21]
	v_fma_f64 v[8:9], v[8:9], v[14:15], v[32:33]
	v_fma_f64 v[6:7], v[6:7], v[14:15], -v[16:17]
	v_add_f64_e32 v[10:11], v[12:13], v[10:11]
	v_add_f64_e32 v[12:13], v[26:27], v[36:37]
	v_fma_f64 v[4:5], v[4:5], v[18:19], v[28:29]
	v_fma_f64 v[2:3], v[2:3], v[18:19], -v[20:21]
	s_delay_alu instid0(VALU_DEP_4) | instskip(NEXT) | instid1(VALU_DEP_4)
	v_add_f64_e32 v[6:7], v[10:11], v[6:7]
	v_add_f64_e32 v[8:9], v[12:13], v[8:9]
	s_delay_alu instid0(VALU_DEP_2) | instskip(NEXT) | instid1(VALU_DEP_2)
	v_add_f64_e32 v[2:3], v[6:7], v[2:3]
	v_add_f64_e32 v[4:5], v[8:9], v[4:5]
	s_wait_loadcnt 0x0
	s_delay_alu instid0(VALU_DEP_2) | instskip(NEXT) | instid1(VALU_DEP_2)
	v_add_f64_e64 v[2:3], v[22:23], -v[2:3]
	v_add_f64_e64 v[4:5], v[24:25], -v[4:5]
	scratch_store_b128 off, v[2:5], off offset:48
	v_cmpx_lt_u32_e32 1, v0
	s_cbranch_execz .LBB37_239
; %bb.238:
	scratch_load_b128 v[5:8], off, s37
	v_dual_mov_b32 v2, v1 :: v_dual_mov_b32 v3, v1
	v_mov_b32_e32 v4, v1
	scratch_store_b128 off, v[1:4], off offset:32
	s_wait_loadcnt 0x0
	ds_store_b128 v114, v[5:8]
.LBB37_239:
	s_wait_alu 0xfffe
	s_or_b32 exec_lo, exec_lo, s0
	s_wait_storecnt_dscnt 0x0
	s_barrier_signal -1
	s_barrier_wait -1
	global_inv scope:SCOPE_SE
	s_clause 0x7
	scratch_load_b128 v[2:5], off, off offset:48
	scratch_load_b128 v[6:9], off, off offset:64
	;; [unrolled: 1-line block ×8, first 2 shown]
	ds_load_b128 v[115:118], v1 offset:640
	ds_load_b128 v[119:122], v1 offset:656
	s_clause 0x1
	scratch_load_b128 v[34:37], off, off offset:176
	scratch_load_b128 v[123:126], off, off offset:192
	s_mov_b32 s0, exec_lo
	s_wait_loadcnt_dscnt 0x901
	v_mul_f64_e32 v[127:128], v[117:118], v[4:5]
	v_mul_f64_e32 v[4:5], v[115:116], v[4:5]
	s_wait_loadcnt_dscnt 0x800
	v_mul_f64_e32 v[129:130], v[119:120], v[8:9]
	v_mul_f64_e32 v[8:9], v[121:122], v[8:9]
	s_delay_alu instid0(VALU_DEP_4) | instskip(NEXT) | instid1(VALU_DEP_4)
	v_fma_f64 v[127:128], v[115:116], v[2:3], -v[127:128]
	v_fma_f64 v[131:132], v[117:118], v[2:3], v[4:5]
	ds_load_b128 v[2:5], v1 offset:672
	scratch_load_b128 v[115:118], off, off offset:208
	v_fma_f64 v[129:130], v[121:122], v[6:7], v[129:130]
	v_fma_f64 v[135:136], v[119:120], v[6:7], -v[8:9]
	ds_load_b128 v[6:9], v1 offset:688
	scratch_load_b128 v[119:122], off, off offset:224
	s_wait_loadcnt_dscnt 0x901
	v_mul_f64_e32 v[133:134], v[2:3], v[12:13]
	v_mul_f64_e32 v[12:13], v[4:5], v[12:13]
	s_wait_loadcnt_dscnt 0x800
	v_mul_f64_e32 v[137:138], v[6:7], v[16:17]
	v_mul_f64_e32 v[16:17], v[8:9], v[16:17]
	v_add_f64_e32 v[127:128], 0, v[127:128]
	v_add_f64_e32 v[131:132], 0, v[131:132]
	v_fma_f64 v[133:134], v[4:5], v[10:11], v[133:134]
	v_fma_f64 v[139:140], v[2:3], v[10:11], -v[12:13]
	ds_load_b128 v[2:5], v1 offset:704
	scratch_load_b128 v[10:13], off, off offset:240
	v_add_f64_e32 v[127:128], v[127:128], v[135:136]
	v_add_f64_e32 v[129:130], v[131:132], v[129:130]
	v_fma_f64 v[135:136], v[8:9], v[14:15], v[137:138]
	v_fma_f64 v[137:138], v[6:7], v[14:15], -v[16:17]
	ds_load_b128 v[6:9], v1 offset:720
	scratch_load_b128 v[14:17], off, off offset:256
	s_wait_loadcnt_dscnt 0x901
	v_mul_f64_e32 v[131:132], v[2:3], v[20:21]
	v_mul_f64_e32 v[20:21], v[4:5], v[20:21]
	v_add_f64_e32 v[127:128], v[127:128], v[139:140]
	v_add_f64_e32 v[129:130], v[129:130], v[133:134]
	s_wait_loadcnt_dscnt 0x800
	v_mul_f64_e32 v[133:134], v[6:7], v[24:25]
	v_mul_f64_e32 v[24:25], v[8:9], v[24:25]
	v_fma_f64 v[131:132], v[4:5], v[18:19], v[131:132]
	v_fma_f64 v[139:140], v[2:3], v[18:19], -v[20:21]
	ds_load_b128 v[2:5], v1 offset:736
	scratch_load_b128 v[18:21], off, off offset:272
	v_add_f64_e32 v[127:128], v[127:128], v[137:138]
	v_add_f64_e32 v[129:130], v[129:130], v[135:136]
	v_fma_f64 v[133:134], v[8:9], v[22:23], v[133:134]
	v_fma_f64 v[137:138], v[6:7], v[22:23], -v[24:25]
	ds_load_b128 v[6:9], v1 offset:752
	s_wait_loadcnt_dscnt 0x801
	v_mul_f64_e32 v[135:136], v[2:3], v[28:29]
	v_mul_f64_e32 v[28:29], v[4:5], v[28:29]
	scratch_load_b128 v[22:25], off, off offset:288
	v_add_f64_e32 v[127:128], v[127:128], v[139:140]
	v_add_f64_e32 v[129:130], v[129:130], v[131:132]
	s_wait_loadcnt_dscnt 0x800
	v_mul_f64_e32 v[131:132], v[6:7], v[32:33]
	v_mul_f64_e32 v[32:33], v[8:9], v[32:33]
	v_fma_f64 v[135:136], v[4:5], v[26:27], v[135:136]
	v_fma_f64 v[139:140], v[2:3], v[26:27], -v[28:29]
	ds_load_b128 v[2:5], v1 offset:768
	scratch_load_b128 v[26:29], off, off offset:304
	v_add_f64_e32 v[127:128], v[127:128], v[137:138]
	v_add_f64_e32 v[129:130], v[129:130], v[133:134]
	v_fma_f64 v[131:132], v[8:9], v[30:31], v[131:132]
	v_fma_f64 v[137:138], v[6:7], v[30:31], -v[32:33]
	ds_load_b128 v[6:9], v1 offset:784
	s_wait_loadcnt_dscnt 0x801
	v_mul_f64_e32 v[133:134], v[2:3], v[36:37]
	v_mul_f64_e32 v[36:37], v[4:5], v[36:37]
	scratch_load_b128 v[30:33], off, off offset:320
	v_add_f64_e32 v[127:128], v[127:128], v[139:140]
	v_add_f64_e32 v[129:130], v[129:130], v[135:136]
	s_wait_loadcnt_dscnt 0x800
	v_mul_f64_e32 v[135:136], v[6:7], v[125:126]
	v_mul_f64_e32 v[125:126], v[8:9], v[125:126]
	v_fma_f64 v[133:134], v[4:5], v[34:35], v[133:134]
	v_fma_f64 v[139:140], v[2:3], v[34:35], -v[36:37]
	ds_load_b128 v[2:5], v1 offset:800
	scratch_load_b128 v[34:37], off, off offset:336
	v_add_f64_e32 v[127:128], v[127:128], v[137:138]
	v_add_f64_e32 v[129:130], v[129:130], v[131:132]
	v_fma_f64 v[135:136], v[8:9], v[123:124], v[135:136]
	v_fma_f64 v[137:138], v[6:7], v[123:124], -v[125:126]
	ds_load_b128 v[6:9], v1 offset:816
	scratch_load_b128 v[123:126], off, off offset:352
	s_wait_loadcnt_dscnt 0x901
	v_mul_f64_e32 v[131:132], v[2:3], v[117:118]
	v_mul_f64_e32 v[117:118], v[4:5], v[117:118]
	v_add_f64_e32 v[127:128], v[127:128], v[139:140]
	v_add_f64_e32 v[129:130], v[129:130], v[133:134]
	s_wait_loadcnt_dscnt 0x800
	v_mul_f64_e32 v[133:134], v[6:7], v[121:122]
	v_mul_f64_e32 v[121:122], v[8:9], v[121:122]
	v_fma_f64 v[131:132], v[4:5], v[115:116], v[131:132]
	v_fma_f64 v[139:140], v[2:3], v[115:116], -v[117:118]
	ds_load_b128 v[2:5], v1 offset:832
	scratch_load_b128 v[115:118], off, off offset:368
	v_add_f64_e32 v[127:128], v[127:128], v[137:138]
	v_add_f64_e32 v[129:130], v[129:130], v[135:136]
	v_fma_f64 v[133:134], v[8:9], v[119:120], v[133:134]
	v_fma_f64 v[137:138], v[6:7], v[119:120], -v[121:122]
	ds_load_b128 v[6:9], v1 offset:848
	s_wait_loadcnt_dscnt 0x801
	v_mul_f64_e32 v[135:136], v[2:3], v[12:13]
	v_mul_f64_e32 v[12:13], v[4:5], v[12:13]
	scratch_load_b128 v[119:122], off, off offset:384
	v_add_f64_e32 v[127:128], v[127:128], v[139:140]
	v_add_f64_e32 v[129:130], v[129:130], v[131:132]
	s_wait_loadcnt_dscnt 0x800
	v_mul_f64_e32 v[131:132], v[6:7], v[16:17]
	v_mul_f64_e32 v[16:17], v[8:9], v[16:17]
	v_fma_f64 v[135:136], v[4:5], v[10:11], v[135:136]
	v_fma_f64 v[139:140], v[2:3], v[10:11], -v[12:13]
	ds_load_b128 v[2:5], v1 offset:864
	scratch_load_b128 v[10:13], off, off offset:400
	v_add_f64_e32 v[127:128], v[127:128], v[137:138]
	v_add_f64_e32 v[129:130], v[129:130], v[133:134]
	v_fma_f64 v[131:132], v[8:9], v[14:15], v[131:132]
	v_fma_f64 v[137:138], v[6:7], v[14:15], -v[16:17]
	ds_load_b128 v[6:9], v1 offset:880
	s_wait_loadcnt_dscnt 0x801
	v_mul_f64_e32 v[133:134], v[2:3], v[20:21]
	v_mul_f64_e32 v[20:21], v[4:5], v[20:21]
	scratch_load_b128 v[14:17], off, off offset:416
	;; [unrolled: 18-line block ×8, first 2 shown]
	v_add_f64_e32 v[127:128], v[127:128], v[139:140]
	v_add_f64_e32 v[129:130], v[129:130], v[135:136]
	s_wait_loadcnt_dscnt 0x800
	v_mul_f64_e32 v[135:136], v[6:7], v[32:33]
	v_mul_f64_e32 v[32:33], v[8:9], v[32:33]
	v_fma_f64 v[133:134], v[4:5], v[26:27], v[133:134]
	v_fma_f64 v[26:27], v[2:3], v[26:27], -v[28:29]
	ds_load_b128 v[2:5], v1 offset:1088
	v_add_f64_e32 v[28:29], v[127:128], v[137:138]
	v_add_f64_e32 v[127:128], v[129:130], v[131:132]
	v_fma_f64 v[131:132], v[8:9], v[30:31], v[135:136]
	v_fma_f64 v[30:31], v[6:7], v[30:31], -v[32:33]
	ds_load_b128 v[6:9], v1 offset:1104
	s_wait_loadcnt_dscnt 0x701
	v_mul_f64_e32 v[129:130], v[2:3], v[36:37]
	v_mul_f64_e32 v[36:37], v[4:5], v[36:37]
	v_add_f64_e32 v[26:27], v[28:29], v[26:27]
	v_add_f64_e32 v[28:29], v[127:128], v[133:134]
	s_delay_alu instid0(VALU_DEP_4) | instskip(NEXT) | instid1(VALU_DEP_4)
	v_fma_f64 v[127:128], v[4:5], v[34:35], v[129:130]
	v_fma_f64 v[34:35], v[2:3], v[34:35], -v[36:37]
	ds_load_b128 v[2:5], v1 offset:1120
	v_add_f64_e32 v[30:31], v[26:27], v[30:31]
	v_add_f64_e32 v[36:37], v[28:29], v[131:132]
	scratch_load_b128 v[26:29], off, off offset:32
	s_wait_loadcnt_dscnt 0x701
	v_mul_f64_e32 v[32:33], v[6:7], v[125:126]
	v_mul_f64_e32 v[125:126], v[8:9], v[125:126]
	v_add_f64_e32 v[30:31], v[30:31], v[34:35]
	v_add_f64_e32 v[34:35], v[36:37], v[127:128]
	s_delay_alu instid0(VALU_DEP_4) | instskip(NEXT) | instid1(VALU_DEP_4)
	v_fma_f64 v[32:33], v[8:9], v[123:124], v[32:33]
	v_fma_f64 v[123:124], v[6:7], v[123:124], -v[125:126]
	ds_load_b128 v[6:9], v1 offset:1136
	s_wait_loadcnt_dscnt 0x601
	v_mul_f64_e32 v[129:130], v[2:3], v[117:118]
	v_mul_f64_e32 v[117:118], v[4:5], v[117:118]
	s_wait_loadcnt_dscnt 0x500
	v_mul_f64_e32 v[36:37], v[6:7], v[121:122]
	v_mul_f64_e32 v[121:122], v[8:9], v[121:122]
	v_add_f64_e32 v[32:33], v[34:35], v[32:33]
	v_add_f64_e32 v[30:31], v[30:31], v[123:124]
	v_fma_f64 v[125:126], v[4:5], v[115:116], v[129:130]
	v_fma_f64 v[115:116], v[2:3], v[115:116], -v[117:118]
	ds_load_b128 v[2:5], v1 offset:1152
	v_fma_f64 v[36:37], v[8:9], v[119:120], v[36:37]
	v_fma_f64 v[117:118], v[6:7], v[119:120], -v[121:122]
	ds_load_b128 v[6:9], v1 offset:1168
	s_wait_loadcnt_dscnt 0x401
	v_mul_f64_e32 v[34:35], v[2:3], v[12:13]
	v_mul_f64_e32 v[12:13], v[4:5], v[12:13]
	v_add_f64_e32 v[32:33], v[32:33], v[125:126]
	v_add_f64_e32 v[30:31], v[30:31], v[115:116]
	s_wait_loadcnt_dscnt 0x300
	v_mul_f64_e32 v[115:116], v[6:7], v[16:17]
	v_mul_f64_e32 v[16:17], v[8:9], v[16:17]
	v_fma_f64 v[34:35], v[4:5], v[10:11], v[34:35]
	v_fma_f64 v[10:11], v[2:3], v[10:11], -v[12:13]
	ds_load_b128 v[2:5], v1 offset:1184
	v_add_f64_e32 v[12:13], v[30:31], v[117:118]
	v_add_f64_e32 v[30:31], v[32:33], v[36:37]
	v_fma_f64 v[36:37], v[8:9], v[14:15], v[115:116]
	v_fma_f64 v[14:15], v[6:7], v[14:15], -v[16:17]
	ds_load_b128 v[6:9], v1 offset:1200
	s_wait_loadcnt_dscnt 0x201
	v_mul_f64_e32 v[32:33], v[2:3], v[20:21]
	v_mul_f64_e32 v[20:21], v[4:5], v[20:21]
	s_wait_loadcnt_dscnt 0x100
	v_mul_f64_e32 v[16:17], v[6:7], v[24:25]
	v_mul_f64_e32 v[24:25], v[8:9], v[24:25]
	v_add_f64_e32 v[10:11], v[12:13], v[10:11]
	v_add_f64_e32 v[12:13], v[30:31], v[34:35]
	v_fma_f64 v[4:5], v[4:5], v[18:19], v[32:33]
	v_fma_f64 v[1:2], v[2:3], v[18:19], -v[20:21]
	v_fma_f64 v[8:9], v[8:9], v[22:23], v[16:17]
	v_fma_f64 v[6:7], v[6:7], v[22:23], -v[24:25]
	v_add_f64_e32 v[10:11], v[10:11], v[14:15]
	v_add_f64_e32 v[12:13], v[12:13], v[36:37]
	s_delay_alu instid0(VALU_DEP_2) | instskip(NEXT) | instid1(VALU_DEP_2)
	v_add_f64_e32 v[1:2], v[10:11], v[1:2]
	v_add_f64_e32 v[3:4], v[12:13], v[4:5]
	s_delay_alu instid0(VALU_DEP_2) | instskip(NEXT) | instid1(VALU_DEP_2)
	v_add_f64_e32 v[1:2], v[1:2], v[6:7]
	v_add_f64_e32 v[3:4], v[3:4], v[8:9]
	s_wait_loadcnt 0x0
	s_delay_alu instid0(VALU_DEP_2) | instskip(NEXT) | instid1(VALU_DEP_2)
	v_add_f64_e64 v[1:2], v[26:27], -v[1:2]
	v_add_f64_e64 v[3:4], v[28:29], -v[3:4]
	scratch_store_b128 off, v[1:4], off offset:32
	v_cmpx_ne_u32_e32 0, v0
	s_cbranch_execz .LBB37_241
; %bb.240:
	scratch_load_b128 v[0:3], off, off offset:16
	v_mov_b32_e32 v4, 0
	s_delay_alu instid0(VALU_DEP_1)
	v_dual_mov_b32 v5, v4 :: v_dual_mov_b32 v6, v4
	v_mov_b32_e32 v7, v4
	scratch_store_b128 off, v[4:7], off offset:16
	s_wait_loadcnt 0x0
	ds_store_b128 v114, v[0:3]
.LBB37_241:
	s_wait_alu 0xfffe
	s_or_b32 exec_lo, exec_lo, s0
	s_wait_storecnt_dscnt 0x0
	s_barrier_signal -1
	s_barrier_wait -1
	global_inv scope:SCOPE_SE
	s_clause 0x7
	scratch_load_b128 v[0:3], off, off offset:32
	scratch_load_b128 v[4:7], off, off offset:48
	scratch_load_b128 v[8:11], off, off offset:64
	scratch_load_b128 v[12:15], off, off offset:80
	scratch_load_b128 v[16:19], off, off offset:96
	scratch_load_b128 v[20:23], off, off offset:112
	scratch_load_b128 v[24:27], off, off offset:128
	scratch_load_b128 v[28:31], off, off offset:144
	v_mov_b32_e32 v36, 0
	s_clause 0x1
	scratch_load_b128 v[32:35], off, off offset:160
	scratch_load_b128 v[122:125], off, off offset:176
	s_and_b32 vcc_lo, exec_lo, s18
	ds_load_b128 v[114:117], v36 offset:624
	ds_load_b128 v[118:121], v36 offset:640
	s_wait_loadcnt_dscnt 0x901
	v_mul_f64_e32 v[126:127], v[116:117], v[2:3]
	v_mul_f64_e32 v[2:3], v[114:115], v[2:3]
	s_wait_loadcnt_dscnt 0x800
	v_mul_f64_e32 v[128:129], v[118:119], v[6:7]
	v_mul_f64_e32 v[6:7], v[120:121], v[6:7]
	s_delay_alu instid0(VALU_DEP_4) | instskip(NEXT) | instid1(VALU_DEP_4)
	v_fma_f64 v[126:127], v[114:115], v[0:1], -v[126:127]
	v_fma_f64 v[130:131], v[116:117], v[0:1], v[2:3]
	ds_load_b128 v[0:3], v36 offset:656
	scratch_load_b128 v[114:117], off, off offset:192
	v_fma_f64 v[128:129], v[120:121], v[4:5], v[128:129]
	v_fma_f64 v[134:135], v[118:119], v[4:5], -v[6:7]
	ds_load_b128 v[4:7], v36 offset:672
	scratch_load_b128 v[118:121], off, off offset:208
	s_wait_loadcnt_dscnt 0x901
	v_mul_f64_e32 v[132:133], v[0:1], v[10:11]
	v_mul_f64_e32 v[10:11], v[2:3], v[10:11]
	s_wait_loadcnt_dscnt 0x800
	v_mul_f64_e32 v[136:137], v[4:5], v[14:15]
	v_mul_f64_e32 v[14:15], v[6:7], v[14:15]
	v_add_f64_e32 v[126:127], 0, v[126:127]
	v_add_f64_e32 v[130:131], 0, v[130:131]
	v_fma_f64 v[132:133], v[2:3], v[8:9], v[132:133]
	v_fma_f64 v[138:139], v[0:1], v[8:9], -v[10:11]
	ds_load_b128 v[0:3], v36 offset:688
	scratch_load_b128 v[8:11], off, off offset:224
	v_add_f64_e32 v[126:127], v[126:127], v[134:135]
	v_add_f64_e32 v[128:129], v[130:131], v[128:129]
	v_fma_f64 v[134:135], v[6:7], v[12:13], v[136:137]
	v_fma_f64 v[136:137], v[4:5], v[12:13], -v[14:15]
	ds_load_b128 v[4:7], v36 offset:704
	scratch_load_b128 v[12:15], off, off offset:240
	s_wait_loadcnt_dscnt 0x901
	v_mul_f64_e32 v[130:131], v[0:1], v[18:19]
	v_mul_f64_e32 v[18:19], v[2:3], v[18:19]
	v_add_f64_e32 v[126:127], v[126:127], v[138:139]
	v_add_f64_e32 v[128:129], v[128:129], v[132:133]
	s_wait_loadcnt_dscnt 0x800
	v_mul_f64_e32 v[132:133], v[4:5], v[22:23]
	v_mul_f64_e32 v[22:23], v[6:7], v[22:23]
	v_fma_f64 v[130:131], v[2:3], v[16:17], v[130:131]
	v_fma_f64 v[138:139], v[0:1], v[16:17], -v[18:19]
	ds_load_b128 v[0:3], v36 offset:720
	scratch_load_b128 v[16:19], off, off offset:256
	v_add_f64_e32 v[126:127], v[126:127], v[136:137]
	v_add_f64_e32 v[128:129], v[128:129], v[134:135]
	v_fma_f64 v[132:133], v[6:7], v[20:21], v[132:133]
	v_fma_f64 v[136:137], v[4:5], v[20:21], -v[22:23]
	ds_load_b128 v[4:7], v36 offset:736
	s_wait_loadcnt_dscnt 0x801
	v_mul_f64_e32 v[134:135], v[0:1], v[26:27]
	v_mul_f64_e32 v[26:27], v[2:3], v[26:27]
	scratch_load_b128 v[20:23], off, off offset:272
	v_add_f64_e32 v[126:127], v[126:127], v[138:139]
	v_add_f64_e32 v[128:129], v[128:129], v[130:131]
	s_wait_loadcnt_dscnt 0x800
	v_mul_f64_e32 v[130:131], v[4:5], v[30:31]
	v_mul_f64_e32 v[30:31], v[6:7], v[30:31]
	v_fma_f64 v[134:135], v[2:3], v[24:25], v[134:135]
	v_fma_f64 v[138:139], v[0:1], v[24:25], -v[26:27]
	ds_load_b128 v[0:3], v36 offset:752
	scratch_load_b128 v[24:27], off, off offset:288
	v_add_f64_e32 v[126:127], v[126:127], v[136:137]
	v_add_f64_e32 v[128:129], v[128:129], v[132:133]
	v_fma_f64 v[130:131], v[6:7], v[28:29], v[130:131]
	v_fma_f64 v[136:137], v[4:5], v[28:29], -v[30:31]
	ds_load_b128 v[4:7], v36 offset:768
	s_wait_loadcnt_dscnt 0x801
	v_mul_f64_e32 v[132:133], v[0:1], v[34:35]
	v_mul_f64_e32 v[34:35], v[2:3], v[34:35]
	scratch_load_b128 v[28:31], off, off offset:304
	v_add_f64_e32 v[126:127], v[126:127], v[138:139]
	v_add_f64_e32 v[128:129], v[128:129], v[134:135]
	s_wait_loadcnt_dscnt 0x800
	v_mul_f64_e32 v[134:135], v[4:5], v[124:125]
	v_mul_f64_e32 v[124:125], v[6:7], v[124:125]
	v_fma_f64 v[132:133], v[2:3], v[32:33], v[132:133]
	v_fma_f64 v[138:139], v[0:1], v[32:33], -v[34:35]
	ds_load_b128 v[0:3], v36 offset:784
	scratch_load_b128 v[32:35], off, off offset:320
	v_add_f64_e32 v[126:127], v[126:127], v[136:137]
	v_add_f64_e32 v[128:129], v[128:129], v[130:131]
	v_fma_f64 v[134:135], v[6:7], v[122:123], v[134:135]
	v_fma_f64 v[136:137], v[4:5], v[122:123], -v[124:125]
	ds_load_b128 v[4:7], v36 offset:800
	scratch_load_b128 v[122:125], off, off offset:336
	s_wait_loadcnt_dscnt 0x901
	v_mul_f64_e32 v[130:131], v[0:1], v[116:117]
	v_mul_f64_e32 v[116:117], v[2:3], v[116:117]
	v_add_f64_e32 v[126:127], v[126:127], v[138:139]
	v_add_f64_e32 v[128:129], v[128:129], v[132:133]
	s_wait_loadcnt_dscnt 0x800
	v_mul_f64_e32 v[132:133], v[4:5], v[120:121]
	v_mul_f64_e32 v[120:121], v[6:7], v[120:121]
	v_fma_f64 v[130:131], v[2:3], v[114:115], v[130:131]
	v_fma_f64 v[138:139], v[0:1], v[114:115], -v[116:117]
	ds_load_b128 v[0:3], v36 offset:816
	scratch_load_b128 v[114:117], off, off offset:352
	v_add_f64_e32 v[126:127], v[126:127], v[136:137]
	v_add_f64_e32 v[128:129], v[128:129], v[134:135]
	v_fma_f64 v[132:133], v[6:7], v[118:119], v[132:133]
	v_fma_f64 v[136:137], v[4:5], v[118:119], -v[120:121]
	ds_load_b128 v[4:7], v36 offset:832
	s_wait_loadcnt_dscnt 0x801
	v_mul_f64_e32 v[134:135], v[0:1], v[10:11]
	v_mul_f64_e32 v[10:11], v[2:3], v[10:11]
	scratch_load_b128 v[118:121], off, off offset:368
	v_add_f64_e32 v[126:127], v[126:127], v[138:139]
	v_add_f64_e32 v[128:129], v[128:129], v[130:131]
	s_wait_loadcnt_dscnt 0x800
	v_mul_f64_e32 v[130:131], v[4:5], v[14:15]
	v_mul_f64_e32 v[14:15], v[6:7], v[14:15]
	v_fma_f64 v[134:135], v[2:3], v[8:9], v[134:135]
	v_fma_f64 v[138:139], v[0:1], v[8:9], -v[10:11]
	ds_load_b128 v[0:3], v36 offset:848
	scratch_load_b128 v[8:11], off, off offset:384
	v_add_f64_e32 v[126:127], v[126:127], v[136:137]
	v_add_f64_e32 v[128:129], v[128:129], v[132:133]
	v_fma_f64 v[130:131], v[6:7], v[12:13], v[130:131]
	v_fma_f64 v[136:137], v[4:5], v[12:13], -v[14:15]
	ds_load_b128 v[4:7], v36 offset:864
	s_wait_loadcnt_dscnt 0x801
	v_mul_f64_e32 v[132:133], v[0:1], v[18:19]
	v_mul_f64_e32 v[18:19], v[2:3], v[18:19]
	scratch_load_b128 v[12:15], off, off offset:400
	;; [unrolled: 18-line block ×8, first 2 shown]
	v_add_f64_e32 v[126:127], v[126:127], v[138:139]
	v_add_f64_e32 v[128:129], v[128:129], v[134:135]
	s_wait_loadcnt_dscnt 0x800
	v_mul_f64_e32 v[134:135], v[4:5], v[30:31]
	v_mul_f64_e32 v[30:31], v[6:7], v[30:31]
	v_fma_f64 v[132:133], v[2:3], v[24:25], v[132:133]
	v_fma_f64 v[138:139], v[0:1], v[24:25], -v[26:27]
	ds_load_b128 v[0:3], v36 offset:1072
	scratch_load_b128 v[24:27], off, off offset:608
	v_add_f64_e32 v[126:127], v[126:127], v[136:137]
	v_add_f64_e32 v[128:129], v[128:129], v[130:131]
	v_fma_f64 v[134:135], v[6:7], v[28:29], v[134:135]
	v_fma_f64 v[28:29], v[4:5], v[28:29], -v[30:31]
	ds_load_b128 v[4:7], v36 offset:1088
	s_wait_loadcnt_dscnt 0x801
	v_mul_f64_e32 v[130:131], v[0:1], v[34:35]
	v_mul_f64_e32 v[34:35], v[2:3], v[34:35]
	v_add_f64_e32 v[30:31], v[126:127], v[138:139]
	v_add_f64_e32 v[126:127], v[128:129], v[132:133]
	s_wait_loadcnt_dscnt 0x700
	v_mul_f64_e32 v[128:129], v[4:5], v[124:125]
	v_mul_f64_e32 v[124:125], v[6:7], v[124:125]
	v_fma_f64 v[130:131], v[2:3], v[32:33], v[130:131]
	v_fma_f64 v[32:33], v[0:1], v[32:33], -v[34:35]
	ds_load_b128 v[0:3], v36 offset:1104
	v_add_f64_e32 v[28:29], v[30:31], v[28:29]
	v_add_f64_e32 v[30:31], v[126:127], v[134:135]
	v_fma_f64 v[126:127], v[6:7], v[122:123], v[128:129]
	v_fma_f64 v[122:123], v[4:5], v[122:123], -v[124:125]
	ds_load_b128 v[4:7], v36 offset:1120
	s_wait_loadcnt_dscnt 0x500
	v_mul_f64_e32 v[128:129], v[4:5], v[120:121]
	v_mul_f64_e32 v[120:121], v[6:7], v[120:121]
	v_add_f64_e32 v[32:33], v[28:29], v[32:33]
	v_add_f64_e32 v[124:125], v[30:31], v[130:131]
	scratch_load_b128 v[28:31], off, off offset:16
	v_mul_f64_e32 v[34:35], v[0:1], v[116:117]
	v_mul_f64_e32 v[116:117], v[2:3], v[116:117]
	v_add_f64_e32 v[32:33], v[32:33], v[122:123]
	s_delay_alu instid0(VALU_DEP_3) | instskip(NEXT) | instid1(VALU_DEP_3)
	v_fma_f64 v[34:35], v[2:3], v[114:115], v[34:35]
	v_fma_f64 v[114:115], v[0:1], v[114:115], -v[116:117]
	v_add_f64_e32 v[116:117], v[124:125], v[126:127]
	ds_load_b128 v[0:3], v36 offset:1136
	v_fma_f64 v[124:125], v[6:7], v[118:119], v[128:129]
	v_fma_f64 v[118:119], v[4:5], v[118:119], -v[120:121]
	ds_load_b128 v[4:7], v36 offset:1152
	s_wait_loadcnt_dscnt 0x501
	v_mul_f64_e32 v[122:123], v[0:1], v[10:11]
	v_mul_f64_e32 v[10:11], v[2:3], v[10:11]
	v_add_f64_e32 v[32:33], v[32:33], v[114:115]
	v_add_f64_e32 v[34:35], v[116:117], v[34:35]
	s_wait_loadcnt_dscnt 0x400
	v_mul_f64_e32 v[114:115], v[4:5], v[14:15]
	v_mul_f64_e32 v[14:15], v[6:7], v[14:15]
	v_fma_f64 v[116:117], v[2:3], v[8:9], v[122:123]
	v_fma_f64 v[8:9], v[0:1], v[8:9], -v[10:11]
	ds_load_b128 v[0:3], v36 offset:1168
	v_add_f64_e32 v[10:11], v[32:33], v[118:119]
	v_add_f64_e32 v[32:33], v[34:35], v[124:125]
	v_fma_f64 v[114:115], v[6:7], v[12:13], v[114:115]
	v_fma_f64 v[12:13], v[4:5], v[12:13], -v[14:15]
	ds_load_b128 v[4:7], v36 offset:1184
	s_wait_loadcnt_dscnt 0x301
	v_mul_f64_e32 v[34:35], v[0:1], v[18:19]
	v_mul_f64_e32 v[18:19], v[2:3], v[18:19]
	s_wait_loadcnt_dscnt 0x200
	v_mul_f64_e32 v[14:15], v[4:5], v[22:23]
	v_mul_f64_e32 v[22:23], v[6:7], v[22:23]
	v_add_f64_e32 v[8:9], v[10:11], v[8:9]
	v_add_f64_e32 v[10:11], v[32:33], v[116:117]
	v_fma_f64 v[32:33], v[2:3], v[16:17], v[34:35]
	v_fma_f64 v[16:17], v[0:1], v[16:17], -v[18:19]
	ds_load_b128 v[0:3], v36 offset:1200
	v_fma_f64 v[6:7], v[6:7], v[20:21], v[14:15]
	v_fma_f64 v[4:5], v[4:5], v[20:21], -v[22:23]
	s_wait_loadcnt_dscnt 0x100
	v_mul_f64_e32 v[18:19], v[2:3], v[26:27]
	v_add_f64_e32 v[8:9], v[8:9], v[12:13]
	v_add_f64_e32 v[10:11], v[10:11], v[114:115]
	v_mul_f64_e32 v[12:13], v[0:1], v[26:27]
	s_delay_alu instid0(VALU_DEP_4) | instskip(NEXT) | instid1(VALU_DEP_4)
	v_fma_f64 v[0:1], v[0:1], v[24:25], -v[18:19]
	v_add_f64_e32 v[8:9], v[8:9], v[16:17]
	s_delay_alu instid0(VALU_DEP_4) | instskip(NEXT) | instid1(VALU_DEP_4)
	v_add_f64_e32 v[10:11], v[10:11], v[32:33]
	v_fma_f64 v[2:3], v[2:3], v[24:25], v[12:13]
	s_delay_alu instid0(VALU_DEP_3) | instskip(NEXT) | instid1(VALU_DEP_3)
	v_add_f64_e32 v[4:5], v[8:9], v[4:5]
	v_add_f64_e32 v[6:7], v[10:11], v[6:7]
	s_delay_alu instid0(VALU_DEP_2) | instskip(NEXT) | instid1(VALU_DEP_2)
	v_add_f64_e32 v[0:1], v[4:5], v[0:1]
	v_add_f64_e32 v[2:3], v[6:7], v[2:3]
	s_wait_loadcnt 0x0
	s_delay_alu instid0(VALU_DEP_2) | instskip(NEXT) | instid1(VALU_DEP_2)
	v_add_f64_e64 v[0:1], v[28:29], -v[0:1]
	v_add_f64_e64 v[2:3], v[30:31], -v[2:3]
	scratch_store_b128 off, v[0:3], off offset:16
	s_wait_alu 0xfffe
	s_cbranch_vccz .LBB37_316
; %bb.242:
	global_load_b32 v0, v36, s[2:3] offset:144
	s_wait_loadcnt 0x0
	v_cmp_ne_u32_e32 vcc_lo, 37, v0
	s_cbranch_vccz .LBB37_244
; %bb.243:
	v_lshlrev_b32_e32 v0, 4, v0
	s_delay_alu instid0(VALU_DEP_1)
	v_add_nc_u32_e32 v8, 16, v0
	s_clause 0x1
	scratch_load_b128 v[0:3], v8, off offset:-16
	scratch_load_b128 v[4:7], off, s30
	s_wait_loadcnt 0x1
	scratch_store_b128 off, v[0:3], s30
	s_wait_loadcnt 0x0
	scratch_store_b128 v8, v[4:7], off offset:-16
.LBB37_244:
	v_mov_b32_e32 v0, 0
	global_load_b32 v1, v0, s[2:3] offset:140
	s_wait_loadcnt 0x0
	v_cmp_eq_u32_e32 vcc_lo, 36, v1
	s_cbranch_vccnz .LBB37_246
; %bb.245:
	v_lshlrev_b32_e32 v1, 4, v1
	s_delay_alu instid0(VALU_DEP_1)
	v_add_nc_u32_e32 v9, 16, v1
	s_clause 0x1
	scratch_load_b128 v[1:4], v9, off offset:-16
	scratch_load_b128 v[5:8], off, s24
	s_wait_loadcnt 0x1
	scratch_store_b128 off, v[1:4], s24
	s_wait_loadcnt 0x0
	scratch_store_b128 v9, v[5:8], off offset:-16
.LBB37_246:
	global_load_b32 v0, v0, s[2:3] offset:136
	s_wait_loadcnt 0x0
	v_cmp_eq_u32_e32 vcc_lo, 35, v0
	s_cbranch_vccnz .LBB37_248
; %bb.247:
	v_lshlrev_b32_e32 v0, 4, v0
	s_delay_alu instid0(VALU_DEP_1)
	v_add_nc_u32_e32 v8, 16, v0
	s_clause 0x1
	scratch_load_b128 v[0:3], v8, off offset:-16
	scratch_load_b128 v[4:7], off, s28
	s_wait_loadcnt 0x1
	scratch_store_b128 off, v[0:3], s28
	s_wait_loadcnt 0x0
	scratch_store_b128 v8, v[4:7], off offset:-16
.LBB37_248:
	v_mov_b32_e32 v0, 0
	global_load_b32 v1, v0, s[2:3] offset:132
	s_wait_loadcnt 0x0
	v_cmp_eq_u32_e32 vcc_lo, 34, v1
	s_cbranch_vccnz .LBB37_250
; %bb.249:
	v_lshlrev_b32_e32 v1, 4, v1
	s_delay_alu instid0(VALU_DEP_1)
	v_add_nc_u32_e32 v9, 16, v1
	s_clause 0x1
	scratch_load_b128 v[1:4], v9, off offset:-16
	scratch_load_b128 v[5:8], off, s22
	s_wait_loadcnt 0x1
	scratch_store_b128 off, v[1:4], s22
	s_wait_loadcnt 0x0
	scratch_store_b128 v9, v[5:8], off offset:-16
.LBB37_250:
	global_load_b32 v0, v0, s[2:3] offset:128
	s_wait_loadcnt 0x0
	v_cmp_eq_u32_e32 vcc_lo, 33, v0
	s_cbranch_vccnz .LBB37_252
; %bb.251:
	v_lshlrev_b32_e32 v0, 4, v0
	s_delay_alu instid0(VALU_DEP_1)
	v_add_nc_u32_e32 v8, 16, v0
	s_clause 0x1
	scratch_load_b128 v[0:3], v8, off offset:-16
	scratch_load_b128 v[4:7], off, s27
	s_wait_loadcnt 0x1
	scratch_store_b128 off, v[0:3], s27
	s_wait_loadcnt 0x0
	scratch_store_b128 v8, v[4:7], off offset:-16
.LBB37_252:
	;; [unrolled: 33-line block ×17, first 2 shown]
	v_mov_b32_e32 v0, 0
	global_load_b32 v1, v0, s[2:3] offset:4
	s_wait_loadcnt 0x0
	v_cmp_eq_u32_e32 vcc_lo, 2, v1
	s_cbranch_vccnz .LBB37_314
; %bb.313:
	v_lshlrev_b32_e32 v1, 4, v1
	s_delay_alu instid0(VALU_DEP_1)
	v_add_nc_u32_e32 v9, 16, v1
	s_clause 0x1
	scratch_load_b128 v[1:4], v9, off offset:-16
	scratch_load_b128 v[5:8], off, s37
	s_wait_loadcnt 0x1
	scratch_store_b128 off, v[1:4], s37
	s_wait_loadcnt 0x0
	scratch_store_b128 v9, v[5:8], off offset:-16
.LBB37_314:
	global_load_b32 v0, v0, s[2:3]
	s_wait_loadcnt 0x0
	v_cmp_eq_u32_e32 vcc_lo, 1, v0
	s_cbranch_vccnz .LBB37_316
; %bb.315:
	v_lshlrev_b32_e32 v0, 4, v0
	s_delay_alu instid0(VALU_DEP_1)
	v_add_nc_u32_e32 v8, 16, v0
	scratch_load_b128 v[0:3], v8, off offset:-16
	scratch_load_b128 v[4:7], off, off offset:16
	s_wait_loadcnt 0x1
	scratch_store_b128 off, v[0:3], off offset:16
	s_wait_loadcnt 0x0
	scratch_store_b128 v8, v[4:7], off offset:-16
.LBB37_316:
	scratch_load_b128 v[0:3], off, off offset:16
	s_clause 0xe
	scratch_load_b128 v[4:7], off, s37
	scratch_load_b128 v[8:11], off, s36
	;; [unrolled: 1-line block ×15, first 2 shown]
	s_wait_loadcnt 0xf
	global_store_b128 v[38:39], v[0:3], off
	s_wait_loadcnt 0xe
	global_store_b128 v[40:41], v[4:7], off
	s_clause 0x1
	scratch_load_b128 v[0:3], off, s20
	scratch_load_b128 v[4:7], off, s21
	s_wait_loadcnt 0xf
	global_store_b128 v[42:43], v[8:11], off
	s_clause 0x1
	scratch_load_b128 v[8:11], off, s15
	scratch_load_b128 v[36:39], off, s19
	s_wait_loadcnt 0x10
	global_store_b128 v[44:45], v[12:15], off
	s_clause 0x1
	scratch_load_b128 v[12:15], off, s13
	scratch_load_b128 v[40:43], off, s14
	s_wait_loadcnt 0x11
	global_store_b128 v[46:47], v[16:19], off
	s_wait_loadcnt 0x10
	global_store_b128 v[48:49], v[20:23], off
	s_clause 0x1
	scratch_load_b128 v[16:19], off, s11
	scratch_load_b128 v[20:23], off, s12
	s_wait_loadcnt 0x11
	global_store_b128 v[50:51], v[24:27], off
	s_clause 0x1
	scratch_load_b128 v[24:27], off, s9
	scratch_load_b128 v[44:47], off, s10
	s_wait_loadcnt 0x12
	global_store_b128 v[52:53], v[28:31], off
	s_clause 0x1
	scratch_load_b128 v[28:31], off, s5
	scratch_load_b128 v[48:51], off, s8
	;; [unrolled: 17-line block ×3, first 2 shown]
	s_wait_loadcnt 0x15
	global_store_b128 v[62:63], v[126:129], off
	s_wait_loadcnt 0x14
	global_store_b128 v[64:65], v[130:133], off
	s_clause 0x1
	scratch_load_b128 v[60:63], off, s22
	scratch_load_b128 v[126:129], off, s28
	s_wait_loadcnt 0x15
	global_store_b128 v[66:67], v[134:137], off
	s_clause 0x1
	scratch_load_b128 v[64:67], off, s24
	scratch_load_b128 v[130:133], off, s30
	s_wait_loadcnt 0x15
	global_store_b128 v[68:69], v[0:3], off
	s_wait_loadcnt 0x14
	global_store_b128 v[70:71], v[4:7], off
	;; [unrolled: 2-line block ×21, first 2 shown]
	s_wait_loadcnt 0x0
	s_clause 0x1
	global_store_b128 v[110:111], v[130:133], off
	global_store_b128 v[112:113], v[138:141], off
	s_nop 0
	s_sendmsg sendmsg(MSG_DEALLOC_VGPRS)
	s_endpgm
	.section	.rodata,"a",@progbits
	.p2align	6, 0x0
	.amdhsa_kernel _ZN9rocsolver6v33100L18getri_kernel_smallILi38E19rocblas_complex_numIdEPS3_EEvT1_iilPiilS6_bb
		.amdhsa_group_segment_fixed_size 1224
		.amdhsa_private_segment_fixed_size 640
		.amdhsa_kernarg_size 60
		.amdhsa_user_sgpr_count 2
		.amdhsa_user_sgpr_dispatch_ptr 0
		.amdhsa_user_sgpr_queue_ptr 0
		.amdhsa_user_sgpr_kernarg_segment_ptr 1
		.amdhsa_user_sgpr_dispatch_id 0
		.amdhsa_user_sgpr_private_segment_size 0
		.amdhsa_wavefront_size32 1
		.amdhsa_uses_dynamic_stack 0
		.amdhsa_enable_private_segment 1
		.amdhsa_system_sgpr_workgroup_id_x 1
		.amdhsa_system_sgpr_workgroup_id_y 0
		.amdhsa_system_sgpr_workgroup_id_z 0
		.amdhsa_system_sgpr_workgroup_info 0
		.amdhsa_system_vgpr_workitem_id 0
		.amdhsa_next_free_vgpr 150
		.amdhsa_next_free_sgpr 53
		.amdhsa_reserve_vcc 1
		.amdhsa_float_round_mode_32 0
		.amdhsa_float_round_mode_16_64 0
		.amdhsa_float_denorm_mode_32 3
		.amdhsa_float_denorm_mode_16_64 3
		.amdhsa_fp16_overflow 0
		.amdhsa_workgroup_processor_mode 1
		.amdhsa_memory_ordered 1
		.amdhsa_forward_progress 1
		.amdhsa_inst_pref_size 255
		.amdhsa_round_robin_scheduling 0
		.amdhsa_exception_fp_ieee_invalid_op 0
		.amdhsa_exception_fp_denorm_src 0
		.amdhsa_exception_fp_ieee_div_zero 0
		.amdhsa_exception_fp_ieee_overflow 0
		.amdhsa_exception_fp_ieee_underflow 0
		.amdhsa_exception_fp_ieee_inexact 0
		.amdhsa_exception_int_div_zero 0
	.end_amdhsa_kernel
	.section	.text._ZN9rocsolver6v33100L18getri_kernel_smallILi38E19rocblas_complex_numIdEPS3_EEvT1_iilPiilS6_bb,"axG",@progbits,_ZN9rocsolver6v33100L18getri_kernel_smallILi38E19rocblas_complex_numIdEPS3_EEvT1_iilPiilS6_bb,comdat
.Lfunc_end37:
	.size	_ZN9rocsolver6v33100L18getri_kernel_smallILi38E19rocblas_complex_numIdEPS3_EEvT1_iilPiilS6_bb, .Lfunc_end37-_ZN9rocsolver6v33100L18getri_kernel_smallILi38E19rocblas_complex_numIdEPS3_EEvT1_iilPiilS6_bb
                                        ; -- End function
	.set _ZN9rocsolver6v33100L18getri_kernel_smallILi38E19rocblas_complex_numIdEPS3_EEvT1_iilPiilS6_bb.num_vgpr, 150
	.set _ZN9rocsolver6v33100L18getri_kernel_smallILi38E19rocblas_complex_numIdEPS3_EEvT1_iilPiilS6_bb.num_agpr, 0
	.set _ZN9rocsolver6v33100L18getri_kernel_smallILi38E19rocblas_complex_numIdEPS3_EEvT1_iilPiilS6_bb.numbered_sgpr, 53
	.set _ZN9rocsolver6v33100L18getri_kernel_smallILi38E19rocblas_complex_numIdEPS3_EEvT1_iilPiilS6_bb.num_named_barrier, 0
	.set _ZN9rocsolver6v33100L18getri_kernel_smallILi38E19rocblas_complex_numIdEPS3_EEvT1_iilPiilS6_bb.private_seg_size, 640
	.set _ZN9rocsolver6v33100L18getri_kernel_smallILi38E19rocblas_complex_numIdEPS3_EEvT1_iilPiilS6_bb.uses_vcc, 1
	.set _ZN9rocsolver6v33100L18getri_kernel_smallILi38E19rocblas_complex_numIdEPS3_EEvT1_iilPiilS6_bb.uses_flat_scratch, 1
	.set _ZN9rocsolver6v33100L18getri_kernel_smallILi38E19rocblas_complex_numIdEPS3_EEvT1_iilPiilS6_bb.has_dyn_sized_stack, 0
	.set _ZN9rocsolver6v33100L18getri_kernel_smallILi38E19rocblas_complex_numIdEPS3_EEvT1_iilPiilS6_bb.has_recursion, 0
	.set _ZN9rocsolver6v33100L18getri_kernel_smallILi38E19rocblas_complex_numIdEPS3_EEvT1_iilPiilS6_bb.has_indirect_call, 0
	.section	.AMDGPU.csdata,"",@progbits
; Kernel info:
; codeLenInByte = 65044
; TotalNumSgprs: 55
; NumVgprs: 150
; ScratchSize: 640
; MemoryBound: 0
; FloatMode: 240
; IeeeMode: 1
; LDSByteSize: 1224 bytes/workgroup (compile time only)
; SGPRBlocks: 0
; VGPRBlocks: 18
; NumSGPRsForWavesPerEU: 55
; NumVGPRsForWavesPerEU: 150
; Occupancy: 9
; WaveLimiterHint : 1
; COMPUTE_PGM_RSRC2:SCRATCH_EN: 1
; COMPUTE_PGM_RSRC2:USER_SGPR: 2
; COMPUTE_PGM_RSRC2:TRAP_HANDLER: 0
; COMPUTE_PGM_RSRC2:TGID_X_EN: 1
; COMPUTE_PGM_RSRC2:TGID_Y_EN: 0
; COMPUTE_PGM_RSRC2:TGID_Z_EN: 0
; COMPUTE_PGM_RSRC2:TIDIG_COMP_CNT: 0
	.section	.text._ZN9rocsolver6v33100L18getri_kernel_smallILi39E19rocblas_complex_numIdEPS3_EEvT1_iilPiilS6_bb,"axG",@progbits,_ZN9rocsolver6v33100L18getri_kernel_smallILi39E19rocblas_complex_numIdEPS3_EEvT1_iilPiilS6_bb,comdat
	.globl	_ZN9rocsolver6v33100L18getri_kernel_smallILi39E19rocblas_complex_numIdEPS3_EEvT1_iilPiilS6_bb ; -- Begin function _ZN9rocsolver6v33100L18getri_kernel_smallILi39E19rocblas_complex_numIdEPS3_EEvT1_iilPiilS6_bb
	.p2align	8
	.type	_ZN9rocsolver6v33100L18getri_kernel_smallILi39E19rocblas_complex_numIdEPS3_EEvT1_iilPiilS6_bb,@function
_ZN9rocsolver6v33100L18getri_kernel_smallILi39E19rocblas_complex_numIdEPS3_EEvT1_iilPiilS6_bb: ; @_ZN9rocsolver6v33100L18getri_kernel_smallILi39E19rocblas_complex_numIdEPS3_EEvT1_iilPiilS6_bb
; %bb.0:
	s_mov_b32 s2, exec_lo
	v_cmpx_gt_u32_e32 39, v0
	s_cbranch_execz .LBB38_170
; %bb.1:
	s_clause 0x2
	s_load_b32 s2, s[0:1], 0x38
	s_load_b128 s[12:15], s[0:1], 0x10
	s_load_b128 s[4:7], s[0:1], 0x28
	s_mov_b32 s16, ttmp9
	s_wait_kmcnt 0x0
	s_bitcmp1_b32 s2, 8
	s_cselect_b32 s18, -1, 0
	s_bfe_u32 s2, s2, 0x10008
	s_ashr_i32 s17, ttmp9, 31
	s_cmp_eq_u32 s2, 0
                                        ; implicit-def: $sgpr2_sgpr3
	s_cbranch_scc1 .LBB38_3
; %bb.2:
	s_load_b32 s2, s[0:1], 0x20
	s_mul_u64 s[4:5], s[4:5], s[16:17]
	s_delay_alu instid0(SALU_CYCLE_1) | instskip(NEXT) | instid1(SALU_CYCLE_1)
	s_lshl_b64 s[4:5], s[4:5], 2
	s_add_nc_u64 s[4:5], s[14:15], s[4:5]
	s_wait_kmcnt 0x0
	s_ashr_i32 s3, s2, 31
	s_delay_alu instid0(SALU_CYCLE_1) | instskip(NEXT) | instid1(SALU_CYCLE_1)
	s_lshl_b64 s[2:3], s[2:3], 2
	s_add_nc_u64 s[2:3], s[4:5], s[2:3]
.LBB38_3:
	s_clause 0x1
	s_load_b128 s[8:11], s[0:1], 0x0
	s_load_b32 s48, s[0:1], 0x38
	s_mul_u64 s[0:1], s[12:13], s[16:17]
	v_lshlrev_b32_e32 v13, 4, v0
	s_lshl_b64 s[0:1], s[0:1], 4
	s_movk_i32 s14, 0xf0
	s_movk_i32 s12, 0xd0
	s_add_co_i32 s33, s14, 16
	s_movk_i32 s13, 0xe0
	s_movk_i32 s15, 0x100
	;; [unrolled: 1-line block ×12, first 2 shown]
	s_wait_kmcnt 0x0
	v_add3_u32 v5, s11, s11, v0
	s_ashr_i32 s5, s10, 31
	s_mov_b32 s4, s10
	s_add_nc_u64 s[0:1], s[8:9], s[0:1]
	s_lshl_b64 s[4:5], s[4:5], 4
	v_add_nc_u32_e32 v7, s11, v5
	v_ashrrev_i32_e32 v6, 31, v5
	s_add_nc_u64 s[0:1], s[0:1], s[4:5]
	s_ashr_i32 s9, s11, 31
	v_add_co_u32 v42, s4, s0, v13
	v_add_nc_u32_e32 v9, s11, v7
	v_ashrrev_i32_e32 v8, 31, v7
	s_mov_b32 s8, s11
	v_lshlrev_b64_e32 v[11:12], 4, v[5:6]
	v_add_co_ci_u32_e64 v43, null, s1, 0, s4
	v_add_nc_u32_e32 v16, s11, v9
	s_lshl_b64 s[8:9], s[8:9], 4
	v_lshlrev_b64_e32 v[14:15], 4, v[7:8]
	v_ashrrev_i32_e32 v10, 31, v9
	v_add_co_u32 v44, vcc_lo, v42, s8
	s_delay_alu instid0(VALU_DEP_1)
	v_add_co_ci_u32_e64 v45, null, s9, v43, vcc_lo
	v_add_co_u32 v46, vcc_lo, s0, v11
	v_ashrrev_i32_e32 v17, 31, v16
	v_add_nc_u32_e32 v11, s11, v16
	v_lshlrev_b64_e32 v[9:10], 4, v[9:10]
	s_wait_alu 0xfffd
	v_add_co_ci_u32_e64 v47, null, s1, v12, vcc_lo
	v_add_co_u32 v48, vcc_lo, s0, v14
	s_wait_alu 0xfffd
	v_add_co_ci_u32_e64 v49, null, s1, v15, vcc_lo
	v_lshlrev_b64_e32 v[14:15], 4, v[16:17]
	v_ashrrev_i32_e32 v12, 31, v11
	v_add_nc_u32_e32 v16, s11, v11
	v_add_co_u32 v50, vcc_lo, s0, v9
	s_wait_alu 0xfffd
	v_add_co_ci_u32_e64 v51, null, s1, v10, vcc_lo
	v_lshlrev_b64_e32 v[9:10], 4, v[11:12]
	v_add_nc_u32_e32 v11, s11, v16
	v_ashrrev_i32_e32 v17, 31, v16
	v_add_co_u32 v52, vcc_lo, s0, v14
	s_wait_alu 0xfffd
	v_add_co_ci_u32_e64 v53, null, s1, v15, vcc_lo
	v_ashrrev_i32_e32 v12, 31, v11
	v_lshlrev_b64_e32 v[30:31], 4, v[16:17]
	v_add_co_u32 v66, vcc_lo, s0, v9
	s_wait_alu 0xfffd
	v_add_co_ci_u32_e64 v67, null, s1, v10, vcc_lo
	v_lshlrev_b64_e32 v[9:10], 4, v[11:12]
	s_delay_alu instid0(VALU_DEP_4)
	v_add_co_u32 v56, vcc_lo, s0, v30
	s_wait_alu 0xfffd
	v_add_co_ci_u32_e64 v57, null, s1, v31, vcc_lo
	s_clause 0x1
	global_load_b128 v[1:4], v13, s[0:1]
	global_load_b128 v[5:8], v[44:45], off
	v_add_co_u32 v54, vcc_lo, s0, v9
	s_wait_alu 0xfffd
	v_add_co_ci_u32_e64 v55, null, s1, v10, vcc_lo
	s_clause 0x6
	global_load_b128 v[14:17], v[46:47], off
	global_load_b128 v[18:21], v[48:49], off
	;; [unrolled: 1-line block ×7, first 2 shown]
	v_add_nc_u32_e32 v9, s11, v11
	s_movk_i32 s10, 0xb0
	s_movk_i32 s4, 0x70
	;; [unrolled: 1-line block ×4, first 2 shown]
	v_add_nc_u32_e32 v11, s11, v9
	v_ashrrev_i32_e32 v10, 31, v9
	s_movk_i32 s9, 0xa0
	s_movk_i32 s53, 0x1b0
	s_movk_i32 s54, 0x1c0
	v_add_nc_u32_e32 v60, s11, v11
	v_lshlrev_b64_e32 v[9:10], 4, v[9:10]
	v_ashrrev_i32_e32 v12, 31, v11
	s_movk_i32 s55, 0x1d0
	s_movk_i32 s56, 0x1e0
	v_add_nc_u32_e32 v62, s11, v60
	v_ashrrev_i32_e32 v61, 31, v60
	v_lshlrev_b64_e32 v[11:12], 4, v[11:12]
	v_add_co_u32 v58, vcc_lo, s0, v9
	s_delay_alu instid0(VALU_DEP_4)
	v_add_nc_u32_e32 v64, s11, v62
	v_ashrrev_i32_e32 v63, 31, v62
	s_wait_alu 0xfffd
	v_add_co_ci_u32_e64 v59, null, s1, v10, vcc_lo
	v_lshlrev_b64_e32 v[9:10], 4, v[60:61]
	v_add_nc_u32_e32 v70, s11, v64
	v_ashrrev_i32_e32 v65, 31, v64
	v_lshlrev_b64_e32 v[62:63], 4, v[62:63]
	v_add_co_u32 v68, vcc_lo, s0, v11
	s_delay_alu instid0(VALU_DEP_4)
	v_add_nc_u32_e32 v72, s11, v70
	v_ashrrev_i32_e32 v71, 31, v70
	v_lshlrev_b64_e32 v[64:65], 4, v[64:65]
	s_wait_alu 0xfffd
	v_add_co_ci_u32_e64 v69, null, s1, v12, vcc_lo
	v_add_nc_u32_e32 v74, s11, v72
	v_ashrrev_i32_e32 v73, 31, v72
	v_add_co_u32 v60, vcc_lo, s0, v9
	v_lshlrev_b64_e32 v[70:71], 4, v[70:71]
	s_delay_alu instid0(VALU_DEP_4)
	v_add_nc_u32_e32 v76, s11, v74
	v_ashrrev_i32_e32 v75, 31, v74
	s_wait_alu 0xfffd
	v_add_co_ci_u32_e64 v61, null, s1, v10, vcc_lo
	v_add_co_u32 v62, vcc_lo, s0, v62
	v_add_nc_u32_e32 v78, s11, v76
	v_ashrrev_i32_e32 v77, 31, v76
	v_lshlrev_b64_e32 v[72:73], 4, v[72:73]
	s_wait_alu 0xfffd
	v_add_co_ci_u32_e64 v63, null, s1, v63, vcc_lo
	v_add_nc_u32_e32 v80, s11, v78
	v_ashrrev_i32_e32 v79, 31, v78
	v_add_co_u32 v64, vcc_lo, s0, v64
	v_lshlrev_b64_e32 v[74:75], 4, v[74:75]
	s_delay_alu instid0(VALU_DEP_4)
	v_add_nc_u32_e32 v82, s11, v80
	v_ashrrev_i32_e32 v81, 31, v80
	s_wait_alu 0xfffd
	v_add_co_ci_u32_e64 v65, null, s1, v65, vcc_lo
	v_add_co_u32 v70, vcc_lo, s0, v70
	v_add_nc_u32_e32 v84, s11, v82
	v_lshlrev_b64_e32 v[76:77], 4, v[76:77]
	v_ashrrev_i32_e32 v83, 31, v82
	s_wait_alu 0xfffd
	v_add_co_ci_u32_e64 v71, null, s1, v71, vcc_lo
	v_add_nc_u32_e32 v86, s11, v84
	v_add_co_u32 v72, vcc_lo, s0, v72
	v_lshlrev_b64_e32 v[78:79], 4, v[78:79]
	v_ashrrev_i32_e32 v85, 31, v84
	s_delay_alu instid0(VALU_DEP_4)
	v_add_nc_u32_e32 v88, s11, v86
	s_wait_alu 0xfffd
	v_add_co_ci_u32_e64 v73, null, s1, v73, vcc_lo
	v_add_co_u32 v74, vcc_lo, s0, v74
	v_lshlrev_b64_e32 v[80:81], 4, v[80:81]
	v_ashrrev_i32_e32 v87, 31, v86
	s_wait_alu 0xfffd
	v_add_co_ci_u32_e64 v75, null, s1, v75, vcc_lo
	v_add_co_u32 v76, vcc_lo, s0, v76
	v_lshlrev_b64_e32 v[82:83], 4, v[82:83]
	v_ashrrev_i32_e32 v89, 31, v88
	s_wait_alu 0xfffd
	v_add_co_ci_u32_e64 v77, null, s1, v77, vcc_lo
	v_add_co_u32 v78, vcc_lo, s0, v78
	v_lshlrev_b64_e32 v[84:85], 4, v[84:85]
	s_wait_alu 0xfffd
	v_add_co_ci_u32_e64 v79, null, s1, v79, vcc_lo
	v_add_co_u32 v80, vcc_lo, s0, v80
	v_lshlrev_b64_e32 v[86:87], 4, v[86:87]
	s_wait_alu 0xfffd
	v_add_co_ci_u32_e64 v81, null, s1, v81, vcc_lo
	v_add_co_u32 v82, vcc_lo, s0, v82
	v_add_nc_u32_e32 v90, s11, v88
	v_lshlrev_b64_e32 v[88:89], 4, v[88:89]
	s_wait_alu 0xfffd
	v_add_co_ci_u32_e64 v83, null, s1, v83, vcc_lo
	v_add_co_u32 v84, vcc_lo, s0, v84
	s_wait_alu 0xfffd
	v_add_co_ci_u32_e64 v85, null, s1, v85, vcc_lo
	v_add_co_u32 v86, vcc_lo, s0, v86
	;; [unrolled: 3-line block ×3, first 2 shown]
	s_clause 0x1
	global_load_b128 v[9:12], v[58:59], off
	global_load_b128 v[120:123], v[68:69], off
	s_wait_alu 0xfffd
	v_add_co_ci_u32_e64 v89, null, s1, v89, vcc_lo
	s_clause 0x3
	global_load_b128 v[124:127], v[60:61], off
	global_load_b128 v[128:131], v[62:63], off
	;; [unrolled: 1-line block ×4, first 2 shown]
	v_add_nc_u32_e32 v92, s11, v90
	v_ashrrev_i32_e32 v91, 31, v90
	s_movk_i32 s57, 0x1f0
	s_movk_i32 s58, 0x200
	;; [unrolled: 1-line block ×3, first 2 shown]
	v_add_nc_u32_e32 v94, s11, v92
	v_ashrrev_i32_e32 v93, 31, v92
	v_lshlrev_b64_e32 v[90:91], 4, v[90:91]
	s_wait_alu 0xfffe
	s_add_co_i32 s41, s10, 16
	s_add_co_i32 s38, s12, 16
	v_add_nc_u32_e32 v96, s11, v94
	v_ashrrev_i32_e32 v95, 31, v94
	v_lshlrev_b64_e32 v[92:93], 4, v[92:93]
	v_add_co_u32 v90, vcc_lo, s0, v90
	s_delay_alu instid0(VALU_DEP_4)
	v_add_nc_u32_e32 v98, s11, v96
	v_ashrrev_i32_e32 v97, 31, v96
	v_lshlrev_b64_e32 v[94:95], 4, v[94:95]
	s_wait_alu 0xfffd
	v_add_co_ci_u32_e64 v91, null, s1, v91, vcc_lo
	v_add_nc_u32_e32 v100, s11, v98
	v_ashrrev_i32_e32 v99, 31, v98
	v_lshlrev_b64_e32 v[96:97], 4, v[96:97]
	v_add_co_u32 v92, vcc_lo, s0, v92
	s_delay_alu instid0(VALU_DEP_4)
	v_add_nc_u32_e32 v102, s11, v100
	v_ashrrev_i32_e32 v101, 31, v100
	v_lshlrev_b64_e32 v[98:99], 4, v[98:99]
	s_wait_alu 0xfffd
	v_add_co_ci_u32_e64 v93, null, s1, v93, vcc_lo
	v_add_nc_u32_e32 v104, s11, v102
	v_ashrrev_i32_e32 v103, 31, v102
	v_add_co_u32 v94, vcc_lo, s0, v94
	v_lshlrev_b64_e32 v[100:101], 4, v[100:101]
	s_delay_alu instid0(VALU_DEP_4)
	v_add_nc_u32_e32 v106, s11, v104
	v_ashrrev_i32_e32 v105, 31, v104
	s_wait_alu 0xfffd
	v_add_co_ci_u32_e64 v95, null, s1, v95, vcc_lo
	v_add_co_u32 v96, vcc_lo, s0, v96
	v_add_nc_u32_e32 v108, s11, v106
	v_ashrrev_i32_e32 v107, 31, v106
	v_lshlrev_b64_e32 v[102:103], 4, v[102:103]
	s_wait_alu 0xfffd
	v_add_co_ci_u32_e64 v97, null, s1, v97, vcc_lo
	v_add_nc_u32_e32 v110, s11, v108
	v_ashrrev_i32_e32 v109, 31, v108
	v_add_co_u32 v98, vcc_lo, s0, v98
	v_lshlrev_b64_e32 v[104:105], 4, v[104:105]
	s_delay_alu instid0(VALU_DEP_4)
	v_add_nc_u32_e32 v112, s11, v110
	v_ashrrev_i32_e32 v111, 31, v110
	s_wait_alu 0xfffd
	v_add_co_ci_u32_e64 v99, null, s1, v99, vcc_lo
	v_add_co_u32 v100, vcc_lo, s0, v100
	v_add_nc_u32_e32 v114, s11, v112
	v_lshlrev_b64_e32 v[106:107], 4, v[106:107]
	v_ashrrev_i32_e32 v113, 31, v112
	s_wait_alu 0xfffd
	v_add_co_ci_u32_e64 v101, null, s1, v101, vcc_lo
	v_add_nc_u32_e32 v116, s11, v114
	v_add_co_u32 v102, vcc_lo, s0, v102
	v_lshlrev_b64_e32 v[108:109], 4, v[108:109]
	v_ashrrev_i32_e32 v115, 31, v114
	s_delay_alu instid0(VALU_DEP_4)
	v_add_nc_u32_e32 v118, s11, v116
	s_wait_alu 0xfffd
	v_add_co_ci_u32_e64 v103, null, s1, v103, vcc_lo
	v_add_co_u32 v104, vcc_lo, s0, v104
	v_lshlrev_b64_e32 v[110:111], 4, v[110:111]
	v_ashrrev_i32_e32 v117, 31, v116
	s_wait_alu 0xfffd
	v_add_co_ci_u32_e64 v105, null, s1, v105, vcc_lo
	v_add_co_u32 v106, vcc_lo, s0, v106
	v_lshlrev_b64_e32 v[112:113], 4, v[112:113]
	v_ashrrev_i32_e32 v119, 31, v118
	s_wait_alu 0xfffd
	v_add_co_ci_u32_e64 v107, null, s1, v107, vcc_lo
	v_add_co_u32 v108, vcc_lo, s0, v108
	v_lshlrev_b64_e32 v[114:115], 4, v[114:115]
	s_wait_alu 0xfffd
	v_add_co_ci_u32_e64 v109, null, s1, v109, vcc_lo
	v_add_co_u32 v110, vcc_lo, s0, v110
	v_lshlrev_b64_e32 v[116:117], 4, v[116:117]
	;; [unrolled: 4-line block ×3, first 2 shown]
	s_wait_alu 0xfffd
	v_add_co_ci_u32_e64 v113, null, s1, v113, vcc_lo
	v_add_co_u32 v114, vcc_lo, s0, v114
	s_wait_alu 0xfffd
	v_add_co_ci_u32_e64 v115, null, s1, v115, vcc_lo
	v_add_co_u32 v116, vcc_lo, s0, v116
	;; [unrolled: 3-line block ×3, first 2 shown]
	s_wait_alu 0xfffd
	v_add_co_ci_u32_e64 v119, null, s1, v119, vcc_lo
	s_movk_i32 s0, 0x50
	s_movk_i32 s1, 0x60
	s_wait_alu 0xfffe
	s_add_co_i32 s47, s0, 16
	s_movk_i32 s0, 0x220
	s_add_co_i32 s46, s1, 16
	s_movk_i32 s1, 0x230
	s_wait_alu 0xfffe
	s_add_co_i32 s14, s0, 16
	s_movk_i32 s0, 0x240
	s_movk_i32 s11, 0xc0
	s_add_co_i32 s10, s1, 16
	s_movk_i32 s1, 0x250
	s_wait_alu 0xfffe
	s_add_co_i32 s12, s0, 16
	s_movk_i32 s0, 0x260
	s_add_co_i32 s45, s4, 16
	s_add_co_i32 s44, s5, 16
	;; [unrolled: 1-line block ×25, first 2 shown]
	s_wait_alu 0xfffe
	s_add_co_i32 s15, s0, 16
	s_mov_b32 s37, 32
	s_mov_b32 s36, 48
	;; [unrolled: 1-line block ×3, first 2 shown]
	s_movk_i32 s34, 0x50
	s_bitcmp0_b32 s48, 0
	s_mov_b32 s1, -1
	s_wait_loadcnt 0xe
	scratch_store_b128 off, v[1:4], off offset:16
	s_wait_loadcnt 0xd
	scratch_store_b128 off, v[5:8], off offset:32
	s_clause 0x1
	global_load_b128 v[1:4], v[72:73], off
	global_load_b128 v[5:8], v[74:75], off
	s_wait_loadcnt 0xd
	s_clause 0x1
	scratch_store_b128 off, v[18:21], off offset:64
	scratch_store_b128 off, v[14:17], off offset:48
	s_clause 0x1
	global_load_b128 v[14:17], v[76:77], off
	global_load_b128 v[18:21], v[78:79], off
	s_wait_loadcnt 0xe
	scratch_store_b128 off, v[22:25], off offset:80
	s_wait_loadcnt 0xd
	scratch_store_b128 off, v[26:29], off offset:96
	s_clause 0x1
	global_load_b128 v[22:25], v[80:81], off
	global_load_b128 v[26:29], v[82:83], off
	s_wait_loadcnt 0xe
	scratch_store_b128 off, v[30:33], off offset:112
	s_wait_loadcnt 0xd
	scratch_store_b128 off, v[34:37], off offset:128
	s_clause 0x1
	global_load_b128 v[30:33], v[84:85], off
	global_load_b128 v[34:37], v[86:87], off
	s_wait_loadcnt 0xe
	scratch_store_b128 off, v[38:41], off offset:144
	global_load_b128 v[38:41], v[88:89], off
	s_wait_loadcnt 0xe
	scratch_store_b128 off, v[9:12], off offset:160
	;; [unrolled: 3-line block ×3, first 2 shown]
	s_wait_loadcnt 0xd
	scratch_store_b128 off, v[124:127], off offset:192
	s_clause 0x1
	global_load_b128 v[120:123], v[92:93], off
	global_load_b128 v[124:127], v[94:95], off
	s_wait_loadcnt 0xe
	scratch_store_b128 off, v[128:131], off offset:208
	s_wait_loadcnt 0xd
	scratch_store_b128 off, v[132:135], off offset:224
	s_clause 0x1
	global_load_b128 v[128:131], v[96:97], off
	global_load_b128 v[132:135], v[98:99], off
	s_wait_loadcnt 0xe
	scratch_store_b128 off, v[136:139], off offset:240
	s_wait_loadcnt 0xd
	scratch_store_b128 off, v[1:4], off offset:256
	s_clause 0x1
	global_load_b128 v[1:4], v[100:101], off
	global_load_b128 v[136:139], v[102:103], off
	s_wait_loadcnt 0xe
	scratch_store_b128 off, v[5:8], off offset:272
	s_wait_loadcnt 0xd
	scratch_store_b128 off, v[14:17], off offset:288
	s_clause 0x1
	global_load_b128 v[5:8], v[104:105], off
	global_load_b128 v[14:17], v[106:107], off
	s_wait_loadcnt 0xe
	scratch_store_b128 off, v[18:21], off offset:304
	s_wait_loadcnt 0xd
	scratch_store_b128 off, v[22:25], off offset:320
	s_clause 0x1
	global_load_b128 v[18:21], v[108:109], off
	global_load_b128 v[22:25], v[110:111], off
	s_wait_loadcnt 0xe
	scratch_store_b128 off, v[26:29], off offset:336
	global_load_b128 v[26:29], v[112:113], off
	s_wait_loadcnt 0xe
	scratch_store_b128 off, v[30:33], off offset:352
	global_load_b128 v[30:33], v[114:115], off
	s_wait_loadcnt 0xe
	scratch_store_b128 off, v[34:37], off offset:368
	s_wait_loadcnt 0xd
	scratch_store_b128 off, v[38:41], off offset:384
	s_clause 0x1
	global_load_b128 v[34:37], v[116:117], off
	global_load_b128 v[38:41], v[118:119], off
	s_wait_loadcnt 0xe
	scratch_store_b128 off, v[9:12], off offset:400
	s_wait_loadcnt 0xd
	scratch_store_b128 off, v[120:123], off offset:416
	;; [unrolled: 2-line block ×15, first 2 shown]
	s_cbranch_scc1 .LBB38_168
; %bb.4:
	v_cmp_eq_u32_e64 s0, 0, v0
	s_and_saveexec_b32 s1, s0
; %bb.5:
	v_mov_b32_e32 v1, 0
	ds_store_b32 v1, v1 offset:1248
; %bb.6:
	s_wait_alu 0xfffe
	s_or_b32 exec_lo, exec_lo, s1
	s_wait_storecnt_dscnt 0x0
	s_barrier_signal -1
	s_barrier_wait -1
	global_inv scope:SCOPE_SE
	scratch_load_b128 v[1:4], v13, off offset:16
	s_wait_loadcnt 0x0
	v_cmp_eq_f64_e32 vcc_lo, 0, v[1:2]
	v_cmp_eq_f64_e64 s1, 0, v[3:4]
	s_and_b32 s1, vcc_lo, s1
	s_wait_alu 0xfffe
	s_and_saveexec_b32 s48, s1
	s_cbranch_execz .LBB38_10
; %bb.7:
	v_mov_b32_e32 v1, 0
	s_mov_b32 s49, 0
	ds_load_b32 v2, v1 offset:1248
	s_wait_dscnt 0x0
	v_readfirstlane_b32 s1, v2
	v_add_nc_u32_e32 v2, 1, v0
	s_cmp_eq_u32 s1, 0
	s_delay_alu instid0(VALU_DEP_1) | instskip(SKIP_1) | instid1(SALU_CYCLE_1)
	v_cmp_gt_i32_e32 vcc_lo, s1, v2
	s_cselect_b32 s50, -1, 0
	s_or_b32 s50, s50, vcc_lo
	s_delay_alu instid0(SALU_CYCLE_1)
	s_and_b32 exec_lo, exec_lo, s50
	s_cbranch_execz .LBB38_10
; %bb.8:
	v_mov_b32_e32 v3, s1
.LBB38_9:                               ; =>This Inner Loop Header: Depth=1
	ds_cmpstore_rtn_b32 v3, v1, v2, v3 offset:1248
	s_wait_dscnt 0x0
	v_cmp_ne_u32_e32 vcc_lo, 0, v3
	v_cmp_le_i32_e64 s1, v3, v2
	s_and_b32 s1, vcc_lo, s1
	s_wait_alu 0xfffe
	s_and_b32 s1, exec_lo, s1
	s_wait_alu 0xfffe
	s_or_b32 s49, s1, s49
	s_delay_alu instid0(SALU_CYCLE_1)
	s_and_not1_b32 exec_lo, exec_lo, s49
	s_cbranch_execnz .LBB38_9
.LBB38_10:
	s_or_b32 exec_lo, exec_lo, s48
	v_mov_b32_e32 v1, 0
	s_barrier_signal -1
	s_barrier_wait -1
	global_inv scope:SCOPE_SE
	ds_load_b32 v2, v1 offset:1248
	s_and_saveexec_b32 s1, s0
	s_cbranch_execz .LBB38_12
; %bb.11:
	s_lshl_b64 s[48:49], s[16:17], 2
	s_delay_alu instid0(SALU_CYCLE_1)
	s_add_nc_u64 s[48:49], s[6:7], s[48:49]
	s_wait_dscnt 0x0
	global_store_b32 v1, v2, s[48:49]
.LBB38_12:
	s_wait_alu 0xfffe
	s_or_b32 exec_lo, exec_lo, s1
	s_wait_dscnt 0x0
	v_cmp_ne_u32_e32 vcc_lo, 0, v2
	s_mov_b32 s1, 0
	s_cbranch_vccnz .LBB38_168
; %bb.13:
	v_add_nc_u32_e32 v14, 16, v13
                                        ; implicit-def: $vgpr1_vgpr2
                                        ; implicit-def: $vgpr9_vgpr10
	scratch_load_b128 v[5:8], v14, off
	s_wait_loadcnt 0x0
	v_cmp_ngt_f64_e64 s1, |v[5:6]|, |v[7:8]|
	s_wait_alu 0xfffe
	s_and_saveexec_b32 s48, s1
	s_delay_alu instid0(SALU_CYCLE_1)
	s_xor_b32 s1, exec_lo, s48
	s_cbranch_execz .LBB38_15
; %bb.14:
	v_div_scale_f64 v[1:2], null, v[7:8], v[7:8], v[5:6]
	v_div_scale_f64 v[11:12], vcc_lo, v[5:6], v[7:8], v[5:6]
	s_delay_alu instid0(VALU_DEP_2) | instskip(NEXT) | instid1(TRANS32_DEP_1)
	v_rcp_f64_e32 v[3:4], v[1:2]
	v_fma_f64 v[9:10], -v[1:2], v[3:4], 1.0
	s_delay_alu instid0(VALU_DEP_1) | instskip(NEXT) | instid1(VALU_DEP_1)
	v_fma_f64 v[3:4], v[3:4], v[9:10], v[3:4]
	v_fma_f64 v[9:10], -v[1:2], v[3:4], 1.0
	s_delay_alu instid0(VALU_DEP_1) | instskip(NEXT) | instid1(VALU_DEP_1)
	v_fma_f64 v[3:4], v[3:4], v[9:10], v[3:4]
	v_mul_f64_e32 v[9:10], v[11:12], v[3:4]
	s_delay_alu instid0(VALU_DEP_1) | instskip(SKIP_1) | instid1(VALU_DEP_1)
	v_fma_f64 v[1:2], -v[1:2], v[9:10], v[11:12]
	s_wait_alu 0xfffd
	v_div_fmas_f64 v[1:2], v[1:2], v[3:4], v[9:10]
	s_delay_alu instid0(VALU_DEP_1) | instskip(NEXT) | instid1(VALU_DEP_1)
	v_div_fixup_f64 v[1:2], v[1:2], v[7:8], v[5:6]
	v_fma_f64 v[3:4], v[5:6], v[1:2], v[7:8]
	s_delay_alu instid0(VALU_DEP_1) | instskip(SKIP_1) | instid1(VALU_DEP_2)
	v_div_scale_f64 v[5:6], null, v[3:4], v[3:4], 1.0
	v_div_scale_f64 v[11:12], vcc_lo, 1.0, v[3:4], 1.0
	v_rcp_f64_e32 v[7:8], v[5:6]
	s_delay_alu instid0(TRANS32_DEP_1) | instskip(NEXT) | instid1(VALU_DEP_1)
	v_fma_f64 v[9:10], -v[5:6], v[7:8], 1.0
	v_fma_f64 v[7:8], v[7:8], v[9:10], v[7:8]
	s_delay_alu instid0(VALU_DEP_1) | instskip(NEXT) | instid1(VALU_DEP_1)
	v_fma_f64 v[9:10], -v[5:6], v[7:8], 1.0
	v_fma_f64 v[7:8], v[7:8], v[9:10], v[7:8]
	s_delay_alu instid0(VALU_DEP_1) | instskip(NEXT) | instid1(VALU_DEP_1)
	v_mul_f64_e32 v[9:10], v[11:12], v[7:8]
	v_fma_f64 v[5:6], -v[5:6], v[9:10], v[11:12]
	s_wait_alu 0xfffd
	s_delay_alu instid0(VALU_DEP_1) | instskip(NEXT) | instid1(VALU_DEP_1)
	v_div_fmas_f64 v[5:6], v[5:6], v[7:8], v[9:10]
	v_div_fixup_f64 v[3:4], v[5:6], v[3:4], 1.0
                                        ; implicit-def: $vgpr5_vgpr6
	s_delay_alu instid0(VALU_DEP_1) | instskip(SKIP_1) | instid1(VALU_DEP_2)
	v_mul_f64_e32 v[1:2], v[1:2], v[3:4]
	v_xor_b32_e32 v4, 0x80000000, v4
	v_xor_b32_e32 v10, 0x80000000, v2
	s_delay_alu instid0(VALU_DEP_3)
	v_mov_b32_e32 v9, v1
.LBB38_15:
	s_wait_alu 0xfffe
	s_and_not1_saveexec_b32 s1, s1
	s_cbranch_execz .LBB38_17
; %bb.16:
	v_div_scale_f64 v[1:2], null, v[5:6], v[5:6], v[7:8]
	v_div_scale_f64 v[11:12], vcc_lo, v[7:8], v[5:6], v[7:8]
	s_delay_alu instid0(VALU_DEP_2) | instskip(NEXT) | instid1(TRANS32_DEP_1)
	v_rcp_f64_e32 v[3:4], v[1:2]
	v_fma_f64 v[9:10], -v[1:2], v[3:4], 1.0
	s_delay_alu instid0(VALU_DEP_1) | instskip(NEXT) | instid1(VALU_DEP_1)
	v_fma_f64 v[3:4], v[3:4], v[9:10], v[3:4]
	v_fma_f64 v[9:10], -v[1:2], v[3:4], 1.0
	s_delay_alu instid0(VALU_DEP_1) | instskip(NEXT) | instid1(VALU_DEP_1)
	v_fma_f64 v[3:4], v[3:4], v[9:10], v[3:4]
	v_mul_f64_e32 v[9:10], v[11:12], v[3:4]
	s_delay_alu instid0(VALU_DEP_1) | instskip(SKIP_1) | instid1(VALU_DEP_1)
	v_fma_f64 v[1:2], -v[1:2], v[9:10], v[11:12]
	s_wait_alu 0xfffd
	v_div_fmas_f64 v[1:2], v[1:2], v[3:4], v[9:10]
	s_delay_alu instid0(VALU_DEP_1) | instskip(NEXT) | instid1(VALU_DEP_1)
	v_div_fixup_f64 v[3:4], v[1:2], v[5:6], v[7:8]
	v_fma_f64 v[1:2], v[7:8], v[3:4], v[5:6]
	s_delay_alu instid0(VALU_DEP_1) | instskip(NEXT) | instid1(VALU_DEP_1)
	v_div_scale_f64 v[5:6], null, v[1:2], v[1:2], 1.0
	v_rcp_f64_e32 v[7:8], v[5:6]
	s_delay_alu instid0(TRANS32_DEP_1) | instskip(NEXT) | instid1(VALU_DEP_1)
	v_fma_f64 v[9:10], -v[5:6], v[7:8], 1.0
	v_fma_f64 v[7:8], v[7:8], v[9:10], v[7:8]
	s_delay_alu instid0(VALU_DEP_1) | instskip(NEXT) | instid1(VALU_DEP_1)
	v_fma_f64 v[9:10], -v[5:6], v[7:8], 1.0
	v_fma_f64 v[7:8], v[7:8], v[9:10], v[7:8]
	v_div_scale_f64 v[9:10], vcc_lo, 1.0, v[1:2], 1.0
	s_delay_alu instid0(VALU_DEP_1) | instskip(NEXT) | instid1(VALU_DEP_1)
	v_mul_f64_e32 v[11:12], v[9:10], v[7:8]
	v_fma_f64 v[5:6], -v[5:6], v[11:12], v[9:10]
	s_wait_alu 0xfffd
	s_delay_alu instid0(VALU_DEP_1) | instskip(NEXT) | instid1(VALU_DEP_1)
	v_div_fmas_f64 v[5:6], v[5:6], v[7:8], v[11:12]
	v_div_fixup_f64 v[1:2], v[5:6], v[1:2], 1.0
	s_delay_alu instid0(VALU_DEP_1)
	v_mul_f64_e64 v[3:4], v[3:4], -v[1:2]
	v_xor_b32_e32 v10, 0x80000000, v2
	v_mov_b32_e32 v9, v1
.LBB38_17:
	s_wait_alu 0xfffe
	s_or_b32 exec_lo, exec_lo, s1
	scratch_store_b128 v14, v[1:4], off
	scratch_load_b128 v[15:18], off, s37
	v_xor_b32_e32 v12, 0x80000000, v4
	v_mov_b32_e32 v11, v3
	v_add_nc_u32_e32 v5, 0x270, v13
	ds_store_b128 v13, v[9:12]
	s_wait_loadcnt 0x0
	ds_store_b128 v13, v[15:18] offset:624
	s_wait_storecnt_dscnt 0x0
	s_barrier_signal -1
	s_barrier_wait -1
	global_inv scope:SCOPE_SE
	s_and_saveexec_b32 s1, s0
	s_cbranch_execz .LBB38_19
; %bb.18:
	scratch_load_b128 v[1:4], v14, off
	ds_load_b128 v[6:9], v5
	v_mov_b32_e32 v10, 0
	ds_load_b128 v[15:18], v10 offset:16
	s_wait_loadcnt_dscnt 0x1
	v_mul_f64_e32 v[10:11], v[6:7], v[3:4]
	v_mul_f64_e32 v[3:4], v[8:9], v[3:4]
	s_delay_alu instid0(VALU_DEP_2) | instskip(NEXT) | instid1(VALU_DEP_2)
	v_fma_f64 v[8:9], v[8:9], v[1:2], v[10:11]
	v_fma_f64 v[1:2], v[6:7], v[1:2], -v[3:4]
	s_delay_alu instid0(VALU_DEP_2) | instskip(NEXT) | instid1(VALU_DEP_2)
	v_add_f64_e32 v[3:4], 0, v[8:9]
	v_add_f64_e32 v[1:2], 0, v[1:2]
	s_wait_dscnt 0x0
	s_delay_alu instid0(VALU_DEP_2) | instskip(NEXT) | instid1(VALU_DEP_2)
	v_mul_f64_e32 v[6:7], v[3:4], v[17:18]
	v_mul_f64_e32 v[8:9], v[1:2], v[17:18]
	s_delay_alu instid0(VALU_DEP_2) | instskip(NEXT) | instid1(VALU_DEP_2)
	v_fma_f64 v[1:2], v[1:2], v[15:16], -v[6:7]
	v_fma_f64 v[3:4], v[3:4], v[15:16], v[8:9]
	scratch_store_b128 off, v[1:4], off offset:32
.LBB38_19:
	s_wait_alu 0xfffe
	s_or_b32 exec_lo, exec_lo, s1
	s_wait_loadcnt 0x0
	s_wait_storecnt 0x0
	s_barrier_signal -1
	s_barrier_wait -1
	global_inv scope:SCOPE_SE
	scratch_load_b128 v[1:4], off, s36
	s_mov_b32 s1, exec_lo
	s_wait_loadcnt 0x0
	ds_store_b128 v5, v[1:4]
	s_wait_dscnt 0x0
	s_barrier_signal -1
	s_barrier_wait -1
	global_inv scope:SCOPE_SE
	v_cmpx_gt_u32_e32 2, v0
	s_cbranch_execz .LBB38_23
; %bb.20:
	scratch_load_b128 v[1:4], v14, off
	ds_load_b128 v[6:9], v5
	s_wait_loadcnt_dscnt 0x0
	v_mul_f64_e32 v[10:11], v[8:9], v[3:4]
	v_mul_f64_e32 v[3:4], v[6:7], v[3:4]
	s_delay_alu instid0(VALU_DEP_2) | instskip(NEXT) | instid1(VALU_DEP_2)
	v_fma_f64 v[6:7], v[6:7], v[1:2], -v[10:11]
	v_fma_f64 v[3:4], v[8:9], v[1:2], v[3:4]
	s_delay_alu instid0(VALU_DEP_2) | instskip(NEXT) | instid1(VALU_DEP_2)
	v_add_f64_e32 v[1:2], 0, v[6:7]
	v_add_f64_e32 v[3:4], 0, v[3:4]
	s_and_saveexec_b32 s48, s0
	s_cbranch_execz .LBB38_22
; %bb.21:
	scratch_load_b128 v[6:9], off, off offset:32
	v_mov_b32_e32 v10, 0
	ds_load_b128 v[15:18], v10 offset:640
	s_wait_loadcnt_dscnt 0x0
	v_mul_f64_e32 v[10:11], v[15:16], v[8:9]
	v_mul_f64_e32 v[8:9], v[17:18], v[8:9]
	s_delay_alu instid0(VALU_DEP_2) | instskip(NEXT) | instid1(VALU_DEP_2)
	v_fma_f64 v[10:11], v[17:18], v[6:7], v[10:11]
	v_fma_f64 v[6:7], v[15:16], v[6:7], -v[8:9]
	s_delay_alu instid0(VALU_DEP_2) | instskip(NEXT) | instid1(VALU_DEP_2)
	v_add_f64_e32 v[3:4], v[3:4], v[10:11]
	v_add_f64_e32 v[1:2], v[1:2], v[6:7]
.LBB38_22:
	s_or_b32 exec_lo, exec_lo, s48
	v_mov_b32_e32 v6, 0
	ds_load_b128 v[6:9], v6 offset:32
	s_wait_dscnt 0x0
	v_mul_f64_e32 v[10:11], v[3:4], v[8:9]
	v_mul_f64_e32 v[8:9], v[1:2], v[8:9]
	s_delay_alu instid0(VALU_DEP_2) | instskip(NEXT) | instid1(VALU_DEP_2)
	v_fma_f64 v[1:2], v[1:2], v[6:7], -v[10:11]
	v_fma_f64 v[3:4], v[3:4], v[6:7], v[8:9]
	scratch_store_b128 off, v[1:4], off offset:48
.LBB38_23:
	s_wait_alu 0xfffe
	s_or_b32 exec_lo, exec_lo, s1
	s_wait_loadcnt 0x0
	s_wait_storecnt 0x0
	s_barrier_signal -1
	s_barrier_wait -1
	global_inv scope:SCOPE_SE
	scratch_load_b128 v[1:4], off, s35
	v_add_nc_u32_e32 v6, -1, v0
	s_mov_b32 s0, exec_lo
	s_wait_loadcnt 0x0
	ds_store_b128 v5, v[1:4]
	s_wait_dscnt 0x0
	s_barrier_signal -1
	s_barrier_wait -1
	global_inv scope:SCOPE_SE
	v_cmpx_gt_u32_e32 3, v0
	s_cbranch_execz .LBB38_27
; %bb.24:
	v_dual_mov_b32 v1, 0 :: v_dual_add_nc_u32 v8, 0x270, v13
	v_mov_b32_e32 v3, 0
	v_dual_mov_b32 v2, 0 :: v_dual_add_nc_u32 v7, -1, v0
	v_mov_b32_e32 v4, 0
	v_or_b32_e32 v9, 8, v14
	s_mov_b32 s1, 0
.LBB38_25:                              ; =>This Inner Loop Header: Depth=1
	scratch_load_b128 v[15:18], v9, off offset:-8
	ds_load_b128 v[19:22], v8
	v_add_nc_u32_e32 v7, 1, v7
	v_add_nc_u32_e32 v8, 16, v8
	v_add_nc_u32_e32 v9, 16, v9
	s_delay_alu instid0(VALU_DEP_3)
	v_cmp_lt_u32_e32 vcc_lo, 1, v7
	s_wait_alu 0xfffe
	s_or_b32 s1, vcc_lo, s1
	s_wait_loadcnt_dscnt 0x0
	v_mul_f64_e32 v[10:11], v[21:22], v[17:18]
	v_mul_f64_e32 v[17:18], v[19:20], v[17:18]
	s_delay_alu instid0(VALU_DEP_2) | instskip(NEXT) | instid1(VALU_DEP_2)
	v_fma_f64 v[10:11], v[19:20], v[15:16], -v[10:11]
	v_fma_f64 v[15:16], v[21:22], v[15:16], v[17:18]
	s_delay_alu instid0(VALU_DEP_2) | instskip(NEXT) | instid1(VALU_DEP_2)
	v_add_f64_e32 v[3:4], v[3:4], v[10:11]
	v_add_f64_e32 v[1:2], v[1:2], v[15:16]
	s_wait_alu 0xfffe
	s_and_not1_b32 exec_lo, exec_lo, s1
	s_cbranch_execnz .LBB38_25
; %bb.26:
	s_or_b32 exec_lo, exec_lo, s1
	v_mov_b32_e32 v7, 0
	ds_load_b128 v[7:10], v7 offset:48
	s_wait_dscnt 0x0
	v_mul_f64_e32 v[11:12], v[1:2], v[9:10]
	v_mul_f64_e32 v[15:16], v[3:4], v[9:10]
	s_delay_alu instid0(VALU_DEP_2) | instskip(NEXT) | instid1(VALU_DEP_2)
	v_fma_f64 v[9:10], v[3:4], v[7:8], -v[11:12]
	v_fma_f64 v[11:12], v[1:2], v[7:8], v[15:16]
	scratch_store_b128 off, v[9:12], off offset:64
.LBB38_27:
	s_wait_alu 0xfffe
	s_or_b32 exec_lo, exec_lo, s0
	s_wait_loadcnt 0x0
	s_wait_storecnt 0x0
	s_barrier_signal -1
	s_barrier_wait -1
	global_inv scope:SCOPE_SE
	scratch_load_b128 v[1:4], off, s34
	s_mov_b32 s0, exec_lo
	s_wait_loadcnt 0x0
	ds_store_b128 v5, v[1:4]
	s_wait_dscnt 0x0
	s_barrier_signal -1
	s_barrier_wait -1
	global_inv scope:SCOPE_SE
	v_cmpx_gt_u32_e32 4, v0
	s_cbranch_execz .LBB38_31
; %bb.28:
	v_dual_mov_b32 v1, 0 :: v_dual_add_nc_u32 v8, 0x270, v13
	v_mov_b32_e32 v3, 0
	v_dual_mov_b32 v2, 0 :: v_dual_add_nc_u32 v7, -1, v0
	v_mov_b32_e32 v4, 0
	v_or_b32_e32 v9, 8, v14
	s_mov_b32 s1, 0
.LBB38_29:                              ; =>This Inner Loop Header: Depth=1
	scratch_load_b128 v[15:18], v9, off offset:-8
	ds_load_b128 v[19:22], v8
	v_add_nc_u32_e32 v7, 1, v7
	v_add_nc_u32_e32 v8, 16, v8
	v_add_nc_u32_e32 v9, 16, v9
	s_delay_alu instid0(VALU_DEP_3)
	v_cmp_lt_u32_e32 vcc_lo, 2, v7
	s_wait_alu 0xfffe
	s_or_b32 s1, vcc_lo, s1
	s_wait_loadcnt_dscnt 0x0
	v_mul_f64_e32 v[10:11], v[21:22], v[17:18]
	v_mul_f64_e32 v[17:18], v[19:20], v[17:18]
	s_delay_alu instid0(VALU_DEP_2) | instskip(NEXT) | instid1(VALU_DEP_2)
	v_fma_f64 v[10:11], v[19:20], v[15:16], -v[10:11]
	v_fma_f64 v[15:16], v[21:22], v[15:16], v[17:18]
	s_delay_alu instid0(VALU_DEP_2) | instskip(NEXT) | instid1(VALU_DEP_2)
	v_add_f64_e32 v[3:4], v[3:4], v[10:11]
	v_add_f64_e32 v[1:2], v[1:2], v[15:16]
	s_wait_alu 0xfffe
	s_and_not1_b32 exec_lo, exec_lo, s1
	s_cbranch_execnz .LBB38_29
; %bb.30:
	s_or_b32 exec_lo, exec_lo, s1
	v_mov_b32_e32 v7, 0
	ds_load_b128 v[7:10], v7 offset:64
	s_wait_dscnt 0x0
	v_mul_f64_e32 v[11:12], v[1:2], v[9:10]
	v_mul_f64_e32 v[15:16], v[3:4], v[9:10]
	s_delay_alu instid0(VALU_DEP_2) | instskip(NEXT) | instid1(VALU_DEP_2)
	v_fma_f64 v[9:10], v[3:4], v[7:8], -v[11:12]
	v_fma_f64 v[11:12], v[1:2], v[7:8], v[15:16]
	scratch_store_b128 off, v[9:12], off offset:80
.LBB38_31:
	s_wait_alu 0xfffe
	s_or_b32 exec_lo, exec_lo, s0
	s_wait_loadcnt 0x0
	s_wait_storecnt 0x0
	s_barrier_signal -1
	s_barrier_wait -1
	global_inv scope:SCOPE_SE
	scratch_load_b128 v[1:4], off, s47
	;; [unrolled: 58-line block ×19, first 2 shown]
	s_mov_b32 s0, exec_lo
	s_wait_loadcnt 0x0
	ds_store_b128 v5, v[1:4]
	s_wait_dscnt 0x0
	s_barrier_signal -1
	s_barrier_wait -1
	global_inv scope:SCOPE_SE
	v_cmpx_gt_u32_e32 22, v0
	s_cbranch_execz .LBB38_103
; %bb.100:
	v_dual_mov_b32 v1, 0 :: v_dual_add_nc_u32 v8, 0x270, v13
	v_mov_b32_e32 v3, 0
	v_dual_mov_b32 v2, 0 :: v_dual_add_nc_u32 v7, -1, v0
	v_mov_b32_e32 v4, 0
	v_or_b32_e32 v9, 8, v14
	s_mov_b32 s1, 0
.LBB38_101:                             ; =>This Inner Loop Header: Depth=1
	scratch_load_b128 v[15:18], v9, off offset:-8
	ds_load_b128 v[19:22], v8
	v_add_nc_u32_e32 v7, 1, v7
	v_add_nc_u32_e32 v8, 16, v8
	v_add_nc_u32_e32 v9, 16, v9
	s_delay_alu instid0(VALU_DEP_3)
	v_cmp_lt_u32_e32 vcc_lo, 20, v7
	s_wait_alu 0xfffe
	s_or_b32 s1, vcc_lo, s1
	s_wait_loadcnt_dscnt 0x0
	v_mul_f64_e32 v[10:11], v[21:22], v[17:18]
	v_mul_f64_e32 v[17:18], v[19:20], v[17:18]
	s_delay_alu instid0(VALU_DEP_2) | instskip(NEXT) | instid1(VALU_DEP_2)
	v_fma_f64 v[10:11], v[19:20], v[15:16], -v[10:11]
	v_fma_f64 v[15:16], v[21:22], v[15:16], v[17:18]
	s_delay_alu instid0(VALU_DEP_2) | instskip(NEXT) | instid1(VALU_DEP_2)
	v_add_f64_e32 v[3:4], v[3:4], v[10:11]
	v_add_f64_e32 v[1:2], v[1:2], v[15:16]
	s_wait_alu 0xfffe
	s_and_not1_b32 exec_lo, exec_lo, s1
	s_cbranch_execnz .LBB38_101
; %bb.102:
	s_or_b32 exec_lo, exec_lo, s1
	v_mov_b32_e32 v7, 0
	ds_load_b128 v[7:10], v7 offset:352
	s_wait_dscnt 0x0
	v_mul_f64_e32 v[11:12], v[1:2], v[9:10]
	v_mul_f64_e32 v[15:16], v[3:4], v[9:10]
	s_delay_alu instid0(VALU_DEP_2) | instskip(NEXT) | instid1(VALU_DEP_2)
	v_fma_f64 v[9:10], v[3:4], v[7:8], -v[11:12]
	v_fma_f64 v[11:12], v[1:2], v[7:8], v[15:16]
	scratch_store_b128 off, v[9:12], off offset:368
.LBB38_103:
	s_wait_alu 0xfffe
	s_or_b32 exec_lo, exec_lo, s0
	s_wait_loadcnt 0x0
	s_wait_storecnt 0x0
	s_barrier_signal -1
	s_barrier_wait -1
	global_inv scope:SCOPE_SE
	scratch_load_b128 v[1:4], off, s24
	s_mov_b32 s0, exec_lo
	s_wait_loadcnt 0x0
	ds_store_b128 v5, v[1:4]
	s_wait_dscnt 0x0
	s_barrier_signal -1
	s_barrier_wait -1
	global_inv scope:SCOPE_SE
	v_cmpx_gt_u32_e32 23, v0
	s_cbranch_execz .LBB38_107
; %bb.104:
	v_dual_mov_b32 v1, 0 :: v_dual_add_nc_u32 v8, 0x270, v13
	v_mov_b32_e32 v3, 0
	v_dual_mov_b32 v2, 0 :: v_dual_add_nc_u32 v7, -1, v0
	v_mov_b32_e32 v4, 0
	v_or_b32_e32 v9, 8, v14
	s_mov_b32 s1, 0
.LBB38_105:                             ; =>This Inner Loop Header: Depth=1
	scratch_load_b128 v[15:18], v9, off offset:-8
	ds_load_b128 v[19:22], v8
	v_add_nc_u32_e32 v7, 1, v7
	v_add_nc_u32_e32 v8, 16, v8
	v_add_nc_u32_e32 v9, 16, v9
	s_delay_alu instid0(VALU_DEP_3)
	v_cmp_lt_u32_e32 vcc_lo, 21, v7
	s_wait_alu 0xfffe
	s_or_b32 s1, vcc_lo, s1
	s_wait_loadcnt_dscnt 0x0
	v_mul_f64_e32 v[10:11], v[21:22], v[17:18]
	v_mul_f64_e32 v[17:18], v[19:20], v[17:18]
	s_delay_alu instid0(VALU_DEP_2) | instskip(NEXT) | instid1(VALU_DEP_2)
	v_fma_f64 v[10:11], v[19:20], v[15:16], -v[10:11]
	v_fma_f64 v[15:16], v[21:22], v[15:16], v[17:18]
	s_delay_alu instid0(VALU_DEP_2) | instskip(NEXT) | instid1(VALU_DEP_2)
	v_add_f64_e32 v[3:4], v[3:4], v[10:11]
	v_add_f64_e32 v[1:2], v[1:2], v[15:16]
	s_wait_alu 0xfffe
	s_and_not1_b32 exec_lo, exec_lo, s1
	s_cbranch_execnz .LBB38_105
; %bb.106:
	s_or_b32 exec_lo, exec_lo, s1
	v_mov_b32_e32 v7, 0
	ds_load_b128 v[7:10], v7 offset:368
	s_wait_dscnt 0x0
	v_mul_f64_e32 v[11:12], v[1:2], v[9:10]
	v_mul_f64_e32 v[15:16], v[3:4], v[9:10]
	s_delay_alu instid0(VALU_DEP_2) | instskip(NEXT) | instid1(VALU_DEP_2)
	v_fma_f64 v[9:10], v[3:4], v[7:8], -v[11:12]
	v_fma_f64 v[11:12], v[1:2], v[7:8], v[15:16]
	scratch_store_b128 off, v[9:12], off offset:384
.LBB38_107:
	s_wait_alu 0xfffe
	s_or_b32 exec_lo, exec_lo, s0
	s_wait_loadcnt 0x0
	s_wait_storecnt 0x0
	s_barrier_signal -1
	s_barrier_wait -1
	global_inv scope:SCOPE_SE
	scratch_load_b128 v[1:4], off, s23
	;; [unrolled: 58-line block ×16, first 2 shown]
	s_mov_b32 s0, exec_lo
	s_wait_loadcnt 0x0
	ds_store_b128 v5, v[1:4]
	s_wait_dscnt 0x0
	s_barrier_signal -1
	s_barrier_wait -1
	global_inv scope:SCOPE_SE
	v_cmpx_ne_u32_e32 38, v0
	s_cbranch_execz .LBB38_167
; %bb.164:
	v_mov_b32_e32 v1, 0
	v_dual_mov_b32 v2, 0 :: v_dual_mov_b32 v3, 0
	v_mov_b32_e32 v4, 0
	v_or_b32_e32 v7, 8, v14
	s_mov_b32 s1, 0
.LBB38_165:                             ; =>This Inner Loop Header: Depth=1
	scratch_load_b128 v[8:11], v7, off offset:-8
	ds_load_b128 v[12:15], v5
	v_add_nc_u32_e32 v6, 1, v6
	v_add_nc_u32_e32 v5, 16, v5
	;; [unrolled: 1-line block ×3, first 2 shown]
	s_delay_alu instid0(VALU_DEP_3)
	v_cmp_lt_u32_e32 vcc_lo, 36, v6
	s_wait_alu 0xfffe
	s_or_b32 s1, vcc_lo, s1
	s_wait_loadcnt_dscnt 0x0
	v_mul_f64_e32 v[16:17], v[14:15], v[10:11]
	v_mul_f64_e32 v[10:11], v[12:13], v[10:11]
	s_delay_alu instid0(VALU_DEP_2) | instskip(NEXT) | instid1(VALU_DEP_2)
	v_fma_f64 v[12:13], v[12:13], v[8:9], -v[16:17]
	v_fma_f64 v[8:9], v[14:15], v[8:9], v[10:11]
	s_delay_alu instid0(VALU_DEP_2) | instskip(NEXT) | instid1(VALU_DEP_2)
	v_add_f64_e32 v[3:4], v[3:4], v[12:13]
	v_add_f64_e32 v[1:2], v[1:2], v[8:9]
	s_wait_alu 0xfffe
	s_and_not1_b32 exec_lo, exec_lo, s1
	s_cbranch_execnz .LBB38_165
; %bb.166:
	s_or_b32 exec_lo, exec_lo, s1
	v_mov_b32_e32 v5, 0
	ds_load_b128 v[5:8], v5 offset:608
	s_wait_dscnt 0x0
	v_mul_f64_e32 v[9:10], v[1:2], v[7:8]
	v_mul_f64_e32 v[7:8], v[3:4], v[7:8]
	s_delay_alu instid0(VALU_DEP_2) | instskip(NEXT) | instid1(VALU_DEP_2)
	v_fma_f64 v[3:4], v[3:4], v[5:6], -v[9:10]
	v_fma_f64 v[5:6], v[1:2], v[5:6], v[7:8]
	scratch_store_b128 off, v[3:6], off offset:624
.LBB38_167:
	s_wait_alu 0xfffe
	s_or_b32 exec_lo, exec_lo, s0
	s_mov_b32 s1, -1
	s_wait_loadcnt 0x0
	s_wait_storecnt 0x0
	s_barrier_signal -1
	s_barrier_wait -1
	global_inv scope:SCOPE_SE
.LBB38_168:
	s_wait_alu 0xfffe
	s_and_b32 vcc_lo, exec_lo, s1
	s_wait_alu 0xfffe
	s_cbranch_vccz .LBB38_170
; %bb.169:
	v_mov_b32_e32 v1, 0
	s_lshl_b64 s[0:1], s[16:17], 2
	s_wait_alu 0xfffe
	s_add_nc_u64 s[0:1], s[6:7], s[0:1]
	global_load_b32 v1, v1, s[0:1]
	s_wait_loadcnt 0x0
	v_cmp_ne_u32_e32 vcc_lo, 0, v1
	s_cbranch_vccz .LBB38_171
.LBB38_170:
	s_nop 0
	s_sendmsg sendmsg(MSG_DEALLOC_VGPRS)
	s_endpgm
.LBB38_171:
	v_lshl_add_u32 v38, v0, 4, 0x270
	s_mov_b32 s0, exec_lo
	v_cmpx_eq_u32_e32 38, v0
	s_cbranch_execz .LBB38_173
; %bb.172:
	scratch_load_b128 v[1:4], off, s9
	v_mov_b32_e32 v5, 0
	s_delay_alu instid0(VALU_DEP_1)
	v_dual_mov_b32 v6, v5 :: v_dual_mov_b32 v7, v5
	v_mov_b32_e32 v8, v5
	scratch_store_b128 off, v[5:8], off offset:608
	s_wait_loadcnt 0x0
	ds_store_b128 v38, v[1:4]
.LBB38_173:
	s_wait_alu 0xfffe
	s_or_b32 exec_lo, exec_lo, s0
	s_wait_storecnt_dscnt 0x0
	s_barrier_signal -1
	s_barrier_wait -1
	global_inv scope:SCOPE_SE
	s_clause 0x1
	scratch_load_b128 v[2:5], off, off offset:624
	scratch_load_b128 v[6:9], off, off offset:608
	v_mov_b32_e32 v1, 0
	s_mov_b32 s0, exec_lo
	ds_load_b128 v[10:13], v1 offset:1232
	s_wait_loadcnt_dscnt 0x100
	v_mul_f64_e32 v[14:15], v[12:13], v[4:5]
	v_mul_f64_e32 v[4:5], v[10:11], v[4:5]
	s_delay_alu instid0(VALU_DEP_2) | instskip(NEXT) | instid1(VALU_DEP_2)
	v_fma_f64 v[10:11], v[10:11], v[2:3], -v[14:15]
	v_fma_f64 v[2:3], v[12:13], v[2:3], v[4:5]
	s_delay_alu instid0(VALU_DEP_2) | instskip(NEXT) | instid1(VALU_DEP_2)
	v_add_f64_e32 v[4:5], 0, v[10:11]
	v_add_f64_e32 v[10:11], 0, v[2:3]
	s_wait_loadcnt 0x0
	s_delay_alu instid0(VALU_DEP_2) | instskip(NEXT) | instid1(VALU_DEP_2)
	v_add_f64_e64 v[2:3], v[6:7], -v[4:5]
	v_add_f64_e64 v[4:5], v[8:9], -v[10:11]
	scratch_store_b128 off, v[2:5], off offset:608
	v_cmpx_lt_u32_e32 36, v0
	s_cbranch_execz .LBB38_175
; %bb.174:
	scratch_load_b128 v[5:8], off, s12
	v_dual_mov_b32 v2, v1 :: v_dual_mov_b32 v3, v1
	v_mov_b32_e32 v4, v1
	scratch_store_b128 off, v[1:4], off offset:592
	s_wait_loadcnt 0x0
	ds_store_b128 v38, v[5:8]
.LBB38_175:
	s_wait_alu 0xfffe
	s_or_b32 exec_lo, exec_lo, s0
	s_wait_storecnt_dscnt 0x0
	s_barrier_signal -1
	s_barrier_wait -1
	global_inv scope:SCOPE_SE
	s_clause 0x2
	scratch_load_b128 v[2:5], off, off offset:608
	scratch_load_b128 v[6:9], off, off offset:624
	;; [unrolled: 1-line block ×3, first 2 shown]
	ds_load_b128 v[14:17], v1 offset:1216
	ds_load_b128 v[18:21], v1 offset:1232
	s_mov_b32 s0, exec_lo
	s_wait_loadcnt_dscnt 0x201
	v_mul_f64_e32 v[22:23], v[16:17], v[4:5]
	v_mul_f64_e32 v[4:5], v[14:15], v[4:5]
	s_wait_loadcnt_dscnt 0x100
	v_mul_f64_e32 v[24:25], v[18:19], v[8:9]
	v_mul_f64_e32 v[8:9], v[20:21], v[8:9]
	s_delay_alu instid0(VALU_DEP_4) | instskip(NEXT) | instid1(VALU_DEP_4)
	v_fma_f64 v[14:15], v[14:15], v[2:3], -v[22:23]
	v_fma_f64 v[1:2], v[16:17], v[2:3], v[4:5]
	s_delay_alu instid0(VALU_DEP_4) | instskip(NEXT) | instid1(VALU_DEP_4)
	v_fma_f64 v[3:4], v[20:21], v[6:7], v[24:25]
	v_fma_f64 v[5:6], v[18:19], v[6:7], -v[8:9]
	s_delay_alu instid0(VALU_DEP_4) | instskip(NEXT) | instid1(VALU_DEP_4)
	v_add_f64_e32 v[7:8], 0, v[14:15]
	v_add_f64_e32 v[1:2], 0, v[1:2]
	s_delay_alu instid0(VALU_DEP_2) | instskip(NEXT) | instid1(VALU_DEP_2)
	v_add_f64_e32 v[5:6], v[7:8], v[5:6]
	v_add_f64_e32 v[3:4], v[1:2], v[3:4]
	s_wait_loadcnt 0x0
	s_delay_alu instid0(VALU_DEP_2) | instskip(NEXT) | instid1(VALU_DEP_2)
	v_add_f64_e64 v[1:2], v[10:11], -v[5:6]
	v_add_f64_e64 v[3:4], v[12:13], -v[3:4]
	scratch_store_b128 off, v[1:4], off offset:592
	v_cmpx_lt_u32_e32 35, v0
	s_cbranch_execz .LBB38_177
; %bb.176:
	scratch_load_b128 v[1:4], off, s10
	v_mov_b32_e32 v5, 0
	s_delay_alu instid0(VALU_DEP_1)
	v_dual_mov_b32 v6, v5 :: v_dual_mov_b32 v7, v5
	v_mov_b32_e32 v8, v5
	scratch_store_b128 off, v[5:8], off offset:576
	s_wait_loadcnt 0x0
	ds_store_b128 v38, v[1:4]
.LBB38_177:
	s_wait_alu 0xfffe
	s_or_b32 exec_lo, exec_lo, s0
	s_wait_storecnt_dscnt 0x0
	s_barrier_signal -1
	s_barrier_wait -1
	global_inv scope:SCOPE_SE
	s_clause 0x3
	scratch_load_b128 v[2:5], off, off offset:592
	scratch_load_b128 v[6:9], off, off offset:608
	;; [unrolled: 1-line block ×4, first 2 shown]
	v_mov_b32_e32 v1, 0
	ds_load_b128 v[18:21], v1 offset:1200
	ds_load_b128 v[22:25], v1 offset:1216
	s_mov_b32 s0, exec_lo
	s_wait_loadcnt_dscnt 0x301
	v_mul_f64_e32 v[26:27], v[20:21], v[4:5]
	v_mul_f64_e32 v[4:5], v[18:19], v[4:5]
	s_wait_loadcnt_dscnt 0x200
	v_mul_f64_e32 v[28:29], v[22:23], v[8:9]
	v_mul_f64_e32 v[8:9], v[24:25], v[8:9]
	s_delay_alu instid0(VALU_DEP_4) | instskip(NEXT) | instid1(VALU_DEP_4)
	v_fma_f64 v[18:19], v[18:19], v[2:3], -v[26:27]
	v_fma_f64 v[20:21], v[20:21], v[2:3], v[4:5]
	ds_load_b128 v[2:5], v1 offset:1232
	v_fma_f64 v[24:25], v[24:25], v[6:7], v[28:29]
	v_fma_f64 v[6:7], v[22:23], v[6:7], -v[8:9]
	s_wait_loadcnt_dscnt 0x100
	v_mul_f64_e32 v[26:27], v[2:3], v[12:13]
	v_mul_f64_e32 v[12:13], v[4:5], v[12:13]
	v_add_f64_e32 v[8:9], 0, v[18:19]
	v_add_f64_e32 v[18:19], 0, v[20:21]
	s_delay_alu instid0(VALU_DEP_4) | instskip(NEXT) | instid1(VALU_DEP_4)
	v_fma_f64 v[4:5], v[4:5], v[10:11], v[26:27]
	v_fma_f64 v[2:3], v[2:3], v[10:11], -v[12:13]
	s_delay_alu instid0(VALU_DEP_4) | instskip(NEXT) | instid1(VALU_DEP_4)
	v_add_f64_e32 v[6:7], v[8:9], v[6:7]
	v_add_f64_e32 v[8:9], v[18:19], v[24:25]
	s_delay_alu instid0(VALU_DEP_2) | instskip(NEXT) | instid1(VALU_DEP_2)
	v_add_f64_e32 v[2:3], v[6:7], v[2:3]
	v_add_f64_e32 v[4:5], v[8:9], v[4:5]
	s_wait_loadcnt 0x0
	s_delay_alu instid0(VALU_DEP_2) | instskip(NEXT) | instid1(VALU_DEP_2)
	v_add_f64_e64 v[2:3], v[14:15], -v[2:3]
	v_add_f64_e64 v[4:5], v[16:17], -v[4:5]
	scratch_store_b128 off, v[2:5], off offset:576
	v_cmpx_lt_u32_e32 34, v0
	s_cbranch_execz .LBB38_179
; %bb.178:
	scratch_load_b128 v[5:8], off, s14
	v_dual_mov_b32 v2, v1 :: v_dual_mov_b32 v3, v1
	v_mov_b32_e32 v4, v1
	scratch_store_b128 off, v[1:4], off offset:560
	s_wait_loadcnt 0x0
	ds_store_b128 v38, v[5:8]
.LBB38_179:
	s_wait_alu 0xfffe
	s_or_b32 exec_lo, exec_lo, s0
	s_wait_storecnt_dscnt 0x0
	s_barrier_signal -1
	s_barrier_wait -1
	global_inv scope:SCOPE_SE
	s_clause 0x4
	scratch_load_b128 v[2:5], off, off offset:576
	scratch_load_b128 v[6:9], off, off offset:592
	scratch_load_b128 v[10:13], off, off offset:608
	scratch_load_b128 v[14:17], off, off offset:624
	scratch_load_b128 v[18:21], off, off offset:560
	ds_load_b128 v[22:25], v1 offset:1184
	ds_load_b128 v[26:29], v1 offset:1200
	s_mov_b32 s0, exec_lo
	s_wait_loadcnt_dscnt 0x401
	v_mul_f64_e32 v[30:31], v[24:25], v[4:5]
	v_mul_f64_e32 v[4:5], v[22:23], v[4:5]
	s_wait_loadcnt_dscnt 0x300
	v_mul_f64_e32 v[32:33], v[26:27], v[8:9]
	v_mul_f64_e32 v[8:9], v[28:29], v[8:9]
	s_delay_alu instid0(VALU_DEP_4) | instskip(NEXT) | instid1(VALU_DEP_4)
	v_fma_f64 v[30:31], v[22:23], v[2:3], -v[30:31]
	v_fma_f64 v[34:35], v[24:25], v[2:3], v[4:5]
	ds_load_b128 v[2:5], v1 offset:1216
	ds_load_b128 v[22:25], v1 offset:1232
	v_fma_f64 v[28:29], v[28:29], v[6:7], v[32:33]
	v_fma_f64 v[6:7], v[26:27], v[6:7], -v[8:9]
	s_wait_loadcnt_dscnt 0x201
	v_mul_f64_e32 v[36:37], v[2:3], v[12:13]
	v_mul_f64_e32 v[12:13], v[4:5], v[12:13]
	v_add_f64_e32 v[8:9], 0, v[30:31]
	v_add_f64_e32 v[26:27], 0, v[34:35]
	s_wait_loadcnt_dscnt 0x100
	v_mul_f64_e32 v[30:31], v[22:23], v[16:17]
	v_mul_f64_e32 v[16:17], v[24:25], v[16:17]
	v_fma_f64 v[4:5], v[4:5], v[10:11], v[36:37]
	v_fma_f64 v[1:2], v[2:3], v[10:11], -v[12:13]
	v_add_f64_e32 v[6:7], v[8:9], v[6:7]
	v_add_f64_e32 v[8:9], v[26:27], v[28:29]
	v_fma_f64 v[10:11], v[24:25], v[14:15], v[30:31]
	v_fma_f64 v[12:13], v[22:23], v[14:15], -v[16:17]
	s_delay_alu instid0(VALU_DEP_4) | instskip(NEXT) | instid1(VALU_DEP_4)
	v_add_f64_e32 v[1:2], v[6:7], v[1:2]
	v_add_f64_e32 v[3:4], v[8:9], v[4:5]
	s_delay_alu instid0(VALU_DEP_2) | instskip(NEXT) | instid1(VALU_DEP_2)
	v_add_f64_e32 v[1:2], v[1:2], v[12:13]
	v_add_f64_e32 v[3:4], v[3:4], v[10:11]
	s_wait_loadcnt 0x0
	s_delay_alu instid0(VALU_DEP_2) | instskip(NEXT) | instid1(VALU_DEP_2)
	v_add_f64_e64 v[1:2], v[18:19], -v[1:2]
	v_add_f64_e64 v[3:4], v[20:21], -v[3:4]
	scratch_store_b128 off, v[1:4], off offset:560
	v_cmpx_lt_u32_e32 33, v0
	s_cbranch_execz .LBB38_181
; %bb.180:
	scratch_load_b128 v[1:4], off, s11
	v_mov_b32_e32 v5, 0
	s_delay_alu instid0(VALU_DEP_1)
	v_dual_mov_b32 v6, v5 :: v_dual_mov_b32 v7, v5
	v_mov_b32_e32 v8, v5
	scratch_store_b128 off, v[5:8], off offset:544
	s_wait_loadcnt 0x0
	ds_store_b128 v38, v[1:4]
.LBB38_181:
	s_wait_alu 0xfffe
	s_or_b32 exec_lo, exec_lo, s0
	s_wait_storecnt_dscnt 0x0
	s_barrier_signal -1
	s_barrier_wait -1
	global_inv scope:SCOPE_SE
	s_clause 0x5
	scratch_load_b128 v[2:5], off, off offset:560
	scratch_load_b128 v[6:9], off, off offset:576
	;; [unrolled: 1-line block ×6, first 2 shown]
	v_mov_b32_e32 v1, 0
	ds_load_b128 v[26:29], v1 offset:1168
	ds_load_b128 v[30:33], v1 offset:1184
	s_mov_b32 s0, exec_lo
	s_wait_loadcnt_dscnt 0x501
	v_mul_f64_e32 v[34:35], v[28:29], v[4:5]
	v_mul_f64_e32 v[4:5], v[26:27], v[4:5]
	s_wait_loadcnt_dscnt 0x400
	v_mul_f64_e32 v[36:37], v[30:31], v[8:9]
	v_mul_f64_e32 v[8:9], v[32:33], v[8:9]
	s_delay_alu instid0(VALU_DEP_4) | instskip(NEXT) | instid1(VALU_DEP_4)
	v_fma_f64 v[34:35], v[26:27], v[2:3], -v[34:35]
	v_fma_f64 v[39:40], v[28:29], v[2:3], v[4:5]
	ds_load_b128 v[2:5], v1 offset:1200
	ds_load_b128 v[26:29], v1 offset:1216
	v_fma_f64 v[32:33], v[32:33], v[6:7], v[36:37]
	v_fma_f64 v[6:7], v[30:31], v[6:7], -v[8:9]
	s_wait_loadcnt_dscnt 0x301
	v_mul_f64_e32 v[120:121], v[2:3], v[12:13]
	v_mul_f64_e32 v[12:13], v[4:5], v[12:13]
	v_add_f64_e32 v[8:9], 0, v[34:35]
	v_add_f64_e32 v[30:31], 0, v[39:40]
	s_wait_loadcnt_dscnt 0x200
	v_mul_f64_e32 v[34:35], v[26:27], v[16:17]
	v_mul_f64_e32 v[16:17], v[28:29], v[16:17]
	v_fma_f64 v[36:37], v[4:5], v[10:11], v[120:121]
	v_fma_f64 v[10:11], v[2:3], v[10:11], -v[12:13]
	ds_load_b128 v[2:5], v1 offset:1232
	v_add_f64_e32 v[6:7], v[8:9], v[6:7]
	v_add_f64_e32 v[8:9], v[30:31], v[32:33]
	v_fma_f64 v[28:29], v[28:29], v[14:15], v[34:35]
	v_fma_f64 v[14:15], v[26:27], v[14:15], -v[16:17]
	s_wait_loadcnt_dscnt 0x100
	v_mul_f64_e32 v[12:13], v[2:3], v[20:21]
	v_mul_f64_e32 v[20:21], v[4:5], v[20:21]
	v_add_f64_e32 v[6:7], v[6:7], v[10:11]
	v_add_f64_e32 v[8:9], v[8:9], v[36:37]
	s_delay_alu instid0(VALU_DEP_4) | instskip(NEXT) | instid1(VALU_DEP_4)
	v_fma_f64 v[4:5], v[4:5], v[18:19], v[12:13]
	v_fma_f64 v[2:3], v[2:3], v[18:19], -v[20:21]
	s_delay_alu instid0(VALU_DEP_4) | instskip(NEXT) | instid1(VALU_DEP_4)
	v_add_f64_e32 v[6:7], v[6:7], v[14:15]
	v_add_f64_e32 v[8:9], v[8:9], v[28:29]
	s_delay_alu instid0(VALU_DEP_2) | instskip(NEXT) | instid1(VALU_DEP_2)
	v_add_f64_e32 v[2:3], v[6:7], v[2:3]
	v_add_f64_e32 v[4:5], v[8:9], v[4:5]
	s_wait_loadcnt 0x0
	s_delay_alu instid0(VALU_DEP_2) | instskip(NEXT) | instid1(VALU_DEP_2)
	v_add_f64_e64 v[2:3], v[22:23], -v[2:3]
	v_add_f64_e64 v[4:5], v[24:25], -v[4:5]
	scratch_store_b128 off, v[2:5], off offset:544
	v_cmpx_lt_u32_e32 32, v0
	s_cbranch_execz .LBB38_183
; %bb.182:
	scratch_load_b128 v[5:8], off, s5
	v_dual_mov_b32 v2, v1 :: v_dual_mov_b32 v3, v1
	v_mov_b32_e32 v4, v1
	scratch_store_b128 off, v[1:4], off offset:528
	s_wait_loadcnt 0x0
	ds_store_b128 v38, v[5:8]
.LBB38_183:
	s_wait_alu 0xfffe
	s_or_b32 exec_lo, exec_lo, s0
	s_wait_storecnt_dscnt 0x0
	s_barrier_signal -1
	s_barrier_wait -1
	global_inv scope:SCOPE_SE
	s_clause 0x5
	scratch_load_b128 v[2:5], off, off offset:544
	scratch_load_b128 v[6:9], off, off offset:560
	;; [unrolled: 1-line block ×6, first 2 shown]
	ds_load_b128 v[26:29], v1 offset:1152
	ds_load_b128 v[34:37], v1 offset:1168
	scratch_load_b128 v[30:33], off, off offset:528
	s_mov_b32 s0, exec_lo
	s_wait_loadcnt_dscnt 0x601
	v_mul_f64_e32 v[39:40], v[28:29], v[4:5]
	v_mul_f64_e32 v[4:5], v[26:27], v[4:5]
	s_wait_loadcnt_dscnt 0x500
	v_mul_f64_e32 v[120:121], v[34:35], v[8:9]
	v_mul_f64_e32 v[8:9], v[36:37], v[8:9]
	s_delay_alu instid0(VALU_DEP_4) | instskip(NEXT) | instid1(VALU_DEP_4)
	v_fma_f64 v[39:40], v[26:27], v[2:3], -v[39:40]
	v_fma_f64 v[122:123], v[28:29], v[2:3], v[4:5]
	ds_load_b128 v[2:5], v1 offset:1184
	ds_load_b128 v[26:29], v1 offset:1200
	v_fma_f64 v[36:37], v[36:37], v[6:7], v[120:121]
	v_fma_f64 v[6:7], v[34:35], v[6:7], -v[8:9]
	s_wait_loadcnt_dscnt 0x401
	v_mul_f64_e32 v[124:125], v[2:3], v[12:13]
	v_mul_f64_e32 v[12:13], v[4:5], v[12:13]
	v_add_f64_e32 v[8:9], 0, v[39:40]
	v_add_f64_e32 v[34:35], 0, v[122:123]
	s_wait_loadcnt_dscnt 0x300
	v_mul_f64_e32 v[39:40], v[26:27], v[16:17]
	v_mul_f64_e32 v[16:17], v[28:29], v[16:17]
	v_fma_f64 v[120:121], v[4:5], v[10:11], v[124:125]
	v_fma_f64 v[10:11], v[2:3], v[10:11], -v[12:13]
	v_add_f64_e32 v[12:13], v[8:9], v[6:7]
	v_add_f64_e32 v[34:35], v[34:35], v[36:37]
	ds_load_b128 v[2:5], v1 offset:1216
	ds_load_b128 v[6:9], v1 offset:1232
	v_fma_f64 v[28:29], v[28:29], v[14:15], v[39:40]
	v_fma_f64 v[14:15], v[26:27], v[14:15], -v[16:17]
	s_wait_loadcnt_dscnt 0x201
	v_mul_f64_e32 v[36:37], v[2:3], v[20:21]
	v_mul_f64_e32 v[20:21], v[4:5], v[20:21]
	s_wait_loadcnt_dscnt 0x100
	v_mul_f64_e32 v[16:17], v[6:7], v[24:25]
	v_mul_f64_e32 v[24:25], v[8:9], v[24:25]
	v_add_f64_e32 v[10:11], v[12:13], v[10:11]
	v_add_f64_e32 v[12:13], v[34:35], v[120:121]
	v_fma_f64 v[4:5], v[4:5], v[18:19], v[36:37]
	v_fma_f64 v[1:2], v[2:3], v[18:19], -v[20:21]
	v_fma_f64 v[8:9], v[8:9], v[22:23], v[16:17]
	v_fma_f64 v[6:7], v[6:7], v[22:23], -v[24:25]
	v_add_f64_e32 v[10:11], v[10:11], v[14:15]
	v_add_f64_e32 v[12:13], v[12:13], v[28:29]
	s_delay_alu instid0(VALU_DEP_2) | instskip(NEXT) | instid1(VALU_DEP_2)
	v_add_f64_e32 v[1:2], v[10:11], v[1:2]
	v_add_f64_e32 v[3:4], v[12:13], v[4:5]
	s_delay_alu instid0(VALU_DEP_2) | instskip(NEXT) | instid1(VALU_DEP_2)
	v_add_f64_e32 v[1:2], v[1:2], v[6:7]
	v_add_f64_e32 v[3:4], v[3:4], v[8:9]
	s_wait_loadcnt 0x0
	s_delay_alu instid0(VALU_DEP_2) | instskip(NEXT) | instid1(VALU_DEP_2)
	v_add_f64_e64 v[1:2], v[30:31], -v[1:2]
	v_add_f64_e64 v[3:4], v[32:33], -v[3:4]
	scratch_store_b128 off, v[1:4], off offset:528
	v_cmpx_lt_u32_e32 31, v0
	s_cbranch_execz .LBB38_185
; %bb.184:
	scratch_load_b128 v[1:4], off, s4
	v_mov_b32_e32 v5, 0
	s_delay_alu instid0(VALU_DEP_1)
	v_dual_mov_b32 v6, v5 :: v_dual_mov_b32 v7, v5
	v_mov_b32_e32 v8, v5
	scratch_store_b128 off, v[5:8], off offset:512
	s_wait_loadcnt 0x0
	ds_store_b128 v38, v[1:4]
.LBB38_185:
	s_wait_alu 0xfffe
	s_or_b32 exec_lo, exec_lo, s0
	s_wait_storecnt_dscnt 0x0
	s_barrier_signal -1
	s_barrier_wait -1
	global_inv scope:SCOPE_SE
	s_clause 0x6
	scratch_load_b128 v[2:5], off, off offset:528
	scratch_load_b128 v[6:9], off, off offset:544
	;; [unrolled: 1-line block ×7, first 2 shown]
	v_mov_b32_e32 v1, 0
	scratch_load_b128 v[34:37], off, off offset:512
	s_mov_b32 s0, exec_lo
	ds_load_b128 v[30:33], v1 offset:1136
	ds_load_b128 v[120:123], v1 offset:1152
	s_wait_loadcnt_dscnt 0x701
	v_mul_f64_e32 v[39:40], v[32:33], v[4:5]
	v_mul_f64_e32 v[4:5], v[30:31], v[4:5]
	s_wait_loadcnt_dscnt 0x600
	v_mul_f64_e32 v[124:125], v[120:121], v[8:9]
	v_mul_f64_e32 v[8:9], v[122:123], v[8:9]
	s_delay_alu instid0(VALU_DEP_4) | instskip(NEXT) | instid1(VALU_DEP_4)
	v_fma_f64 v[39:40], v[30:31], v[2:3], -v[39:40]
	v_fma_f64 v[126:127], v[32:33], v[2:3], v[4:5]
	ds_load_b128 v[2:5], v1 offset:1168
	ds_load_b128 v[30:33], v1 offset:1184
	v_fma_f64 v[122:123], v[122:123], v[6:7], v[124:125]
	v_fma_f64 v[6:7], v[120:121], v[6:7], -v[8:9]
	s_wait_loadcnt_dscnt 0x501
	v_mul_f64_e32 v[128:129], v[2:3], v[12:13]
	v_mul_f64_e32 v[12:13], v[4:5], v[12:13]
	s_wait_loadcnt_dscnt 0x400
	v_mul_f64_e32 v[120:121], v[30:31], v[16:17]
	v_mul_f64_e32 v[16:17], v[32:33], v[16:17]
	v_add_f64_e32 v[8:9], 0, v[39:40]
	v_add_f64_e32 v[39:40], 0, v[126:127]
	v_fma_f64 v[124:125], v[4:5], v[10:11], v[128:129]
	v_fma_f64 v[10:11], v[2:3], v[10:11], -v[12:13]
	v_fma_f64 v[32:33], v[32:33], v[14:15], v[120:121]
	v_fma_f64 v[14:15], v[30:31], v[14:15], -v[16:17]
	v_add_f64_e32 v[12:13], v[8:9], v[6:7]
	v_add_f64_e32 v[39:40], v[39:40], v[122:123]
	ds_load_b128 v[2:5], v1 offset:1200
	ds_load_b128 v[6:9], v1 offset:1216
	s_wait_loadcnt_dscnt 0x301
	v_mul_f64_e32 v[122:123], v[2:3], v[20:21]
	v_mul_f64_e32 v[20:21], v[4:5], v[20:21]
	s_wait_loadcnt_dscnt 0x200
	v_mul_f64_e32 v[16:17], v[6:7], v[24:25]
	v_mul_f64_e32 v[24:25], v[8:9], v[24:25]
	v_add_f64_e32 v[10:11], v[12:13], v[10:11]
	v_add_f64_e32 v[12:13], v[39:40], v[124:125]
	v_fma_f64 v[30:31], v[4:5], v[18:19], v[122:123]
	v_fma_f64 v[18:19], v[2:3], v[18:19], -v[20:21]
	ds_load_b128 v[2:5], v1 offset:1232
	v_fma_f64 v[8:9], v[8:9], v[22:23], v[16:17]
	v_fma_f64 v[6:7], v[6:7], v[22:23], -v[24:25]
	v_add_f64_e32 v[10:11], v[10:11], v[14:15]
	v_add_f64_e32 v[12:13], v[12:13], v[32:33]
	s_wait_loadcnt_dscnt 0x100
	v_mul_f64_e32 v[14:15], v[2:3], v[28:29]
	v_mul_f64_e32 v[20:21], v[4:5], v[28:29]
	s_delay_alu instid0(VALU_DEP_4) | instskip(NEXT) | instid1(VALU_DEP_4)
	v_add_f64_e32 v[10:11], v[10:11], v[18:19]
	v_add_f64_e32 v[12:13], v[12:13], v[30:31]
	s_delay_alu instid0(VALU_DEP_4) | instskip(NEXT) | instid1(VALU_DEP_4)
	v_fma_f64 v[4:5], v[4:5], v[26:27], v[14:15]
	v_fma_f64 v[2:3], v[2:3], v[26:27], -v[20:21]
	s_delay_alu instid0(VALU_DEP_4) | instskip(NEXT) | instid1(VALU_DEP_4)
	v_add_f64_e32 v[6:7], v[10:11], v[6:7]
	v_add_f64_e32 v[8:9], v[12:13], v[8:9]
	s_delay_alu instid0(VALU_DEP_2) | instskip(NEXT) | instid1(VALU_DEP_2)
	v_add_f64_e32 v[2:3], v[6:7], v[2:3]
	v_add_f64_e32 v[4:5], v[8:9], v[4:5]
	s_wait_loadcnt 0x0
	s_delay_alu instid0(VALU_DEP_2) | instskip(NEXT) | instid1(VALU_DEP_2)
	v_add_f64_e64 v[2:3], v[34:35], -v[2:3]
	v_add_f64_e64 v[4:5], v[36:37], -v[4:5]
	scratch_store_b128 off, v[2:5], off offset:512
	v_cmpx_lt_u32_e32 30, v0
	s_cbranch_execz .LBB38_187
; %bb.186:
	scratch_load_b128 v[5:8], off, s8
	v_dual_mov_b32 v2, v1 :: v_dual_mov_b32 v3, v1
	v_mov_b32_e32 v4, v1
	scratch_store_b128 off, v[1:4], off offset:496
	s_wait_loadcnt 0x0
	ds_store_b128 v38, v[5:8]
.LBB38_187:
	s_wait_alu 0xfffe
	s_or_b32 exec_lo, exec_lo, s0
	s_wait_storecnt_dscnt 0x0
	s_barrier_signal -1
	s_barrier_wait -1
	global_inv scope:SCOPE_SE
	s_clause 0x7
	scratch_load_b128 v[2:5], off, off offset:512
	scratch_load_b128 v[6:9], off, off offset:528
	scratch_load_b128 v[10:13], off, off offset:544
	scratch_load_b128 v[14:17], off, off offset:560
	scratch_load_b128 v[18:21], off, off offset:576
	scratch_load_b128 v[22:25], off, off offset:592
	scratch_load_b128 v[26:29], off, off offset:608
	scratch_load_b128 v[30:33], off, off offset:624
	ds_load_b128 v[34:37], v1 offset:1120
	ds_load_b128 v[120:123], v1 offset:1136
	scratch_load_b128 v[124:127], off, off offset:496
	s_mov_b32 s0, exec_lo
	s_wait_loadcnt_dscnt 0x801
	v_mul_f64_e32 v[39:40], v[36:37], v[4:5]
	v_mul_f64_e32 v[4:5], v[34:35], v[4:5]
	s_wait_loadcnt_dscnt 0x700
	v_mul_f64_e32 v[128:129], v[120:121], v[8:9]
	v_mul_f64_e32 v[8:9], v[122:123], v[8:9]
	s_delay_alu instid0(VALU_DEP_4) | instskip(NEXT) | instid1(VALU_DEP_4)
	v_fma_f64 v[39:40], v[34:35], v[2:3], -v[39:40]
	v_fma_f64 v[130:131], v[36:37], v[2:3], v[4:5]
	ds_load_b128 v[2:5], v1 offset:1152
	ds_load_b128 v[34:37], v1 offset:1168
	v_fma_f64 v[122:123], v[122:123], v[6:7], v[128:129]
	v_fma_f64 v[6:7], v[120:121], v[6:7], -v[8:9]
	s_wait_loadcnt_dscnt 0x601
	v_mul_f64_e32 v[132:133], v[2:3], v[12:13]
	v_mul_f64_e32 v[12:13], v[4:5], v[12:13]
	s_wait_loadcnt_dscnt 0x500
	v_mul_f64_e32 v[120:121], v[34:35], v[16:17]
	v_mul_f64_e32 v[16:17], v[36:37], v[16:17]
	v_add_f64_e32 v[8:9], 0, v[39:40]
	v_add_f64_e32 v[39:40], 0, v[130:131]
	v_fma_f64 v[128:129], v[4:5], v[10:11], v[132:133]
	v_fma_f64 v[10:11], v[2:3], v[10:11], -v[12:13]
	v_fma_f64 v[36:37], v[36:37], v[14:15], v[120:121]
	v_fma_f64 v[14:15], v[34:35], v[14:15], -v[16:17]
	v_add_f64_e32 v[12:13], v[8:9], v[6:7]
	v_add_f64_e32 v[39:40], v[39:40], v[122:123]
	ds_load_b128 v[2:5], v1 offset:1184
	ds_load_b128 v[6:9], v1 offset:1200
	s_wait_loadcnt_dscnt 0x401
	v_mul_f64_e32 v[122:123], v[2:3], v[20:21]
	v_mul_f64_e32 v[20:21], v[4:5], v[20:21]
	s_wait_loadcnt_dscnt 0x300
	v_mul_f64_e32 v[16:17], v[6:7], v[24:25]
	v_mul_f64_e32 v[24:25], v[8:9], v[24:25]
	v_add_f64_e32 v[10:11], v[12:13], v[10:11]
	v_add_f64_e32 v[12:13], v[39:40], v[128:129]
	v_fma_f64 v[34:35], v[4:5], v[18:19], v[122:123]
	v_fma_f64 v[18:19], v[2:3], v[18:19], -v[20:21]
	v_fma_f64 v[8:9], v[8:9], v[22:23], v[16:17]
	v_fma_f64 v[6:7], v[6:7], v[22:23], -v[24:25]
	v_add_f64_e32 v[14:15], v[10:11], v[14:15]
	v_add_f64_e32 v[20:21], v[12:13], v[36:37]
	ds_load_b128 v[2:5], v1 offset:1216
	ds_load_b128 v[10:13], v1 offset:1232
	s_wait_loadcnt_dscnt 0x201
	v_mul_f64_e32 v[36:37], v[2:3], v[28:29]
	v_mul_f64_e32 v[28:29], v[4:5], v[28:29]
	v_add_f64_e32 v[14:15], v[14:15], v[18:19]
	v_add_f64_e32 v[16:17], v[20:21], v[34:35]
	s_wait_loadcnt_dscnt 0x100
	v_mul_f64_e32 v[18:19], v[10:11], v[32:33]
	v_mul_f64_e32 v[20:21], v[12:13], v[32:33]
	v_fma_f64 v[4:5], v[4:5], v[26:27], v[36:37]
	v_fma_f64 v[1:2], v[2:3], v[26:27], -v[28:29]
	v_add_f64_e32 v[6:7], v[14:15], v[6:7]
	v_add_f64_e32 v[8:9], v[16:17], v[8:9]
	v_fma_f64 v[12:13], v[12:13], v[30:31], v[18:19]
	v_fma_f64 v[10:11], v[10:11], v[30:31], -v[20:21]
	s_delay_alu instid0(VALU_DEP_4) | instskip(NEXT) | instid1(VALU_DEP_4)
	v_add_f64_e32 v[1:2], v[6:7], v[1:2]
	v_add_f64_e32 v[3:4], v[8:9], v[4:5]
	s_delay_alu instid0(VALU_DEP_2) | instskip(NEXT) | instid1(VALU_DEP_2)
	v_add_f64_e32 v[1:2], v[1:2], v[10:11]
	v_add_f64_e32 v[3:4], v[3:4], v[12:13]
	s_wait_loadcnt 0x0
	s_delay_alu instid0(VALU_DEP_2) | instskip(NEXT) | instid1(VALU_DEP_2)
	v_add_f64_e64 v[1:2], v[124:125], -v[1:2]
	v_add_f64_e64 v[3:4], v[126:127], -v[3:4]
	scratch_store_b128 off, v[1:4], off offset:496
	v_cmpx_lt_u32_e32 29, v0
	s_cbranch_execz .LBB38_189
; %bb.188:
	scratch_load_b128 v[1:4], off, s13
	v_mov_b32_e32 v5, 0
	s_delay_alu instid0(VALU_DEP_1)
	v_dual_mov_b32 v6, v5 :: v_dual_mov_b32 v7, v5
	v_mov_b32_e32 v8, v5
	scratch_store_b128 off, v[5:8], off offset:480
	s_wait_loadcnt 0x0
	ds_store_b128 v38, v[1:4]
.LBB38_189:
	s_wait_alu 0xfffe
	s_or_b32 exec_lo, exec_lo, s0
	s_wait_storecnt_dscnt 0x0
	s_barrier_signal -1
	s_barrier_wait -1
	global_inv scope:SCOPE_SE
	s_clause 0x7
	scratch_load_b128 v[2:5], off, off offset:496
	scratch_load_b128 v[6:9], off, off offset:512
	;; [unrolled: 1-line block ×8, first 2 shown]
	v_mov_b32_e32 v1, 0
	s_mov_b32 s0, exec_lo
	ds_load_b128 v[34:37], v1 offset:1104
	s_clause 0x1
	scratch_load_b128 v[120:123], off, off offset:624
	scratch_load_b128 v[124:127], off, off offset:480
	ds_load_b128 v[128:131], v1 offset:1120
	s_wait_loadcnt_dscnt 0x901
	v_mul_f64_e32 v[39:40], v[36:37], v[4:5]
	v_mul_f64_e32 v[4:5], v[34:35], v[4:5]
	s_wait_loadcnt_dscnt 0x800
	v_mul_f64_e32 v[132:133], v[128:129], v[8:9]
	v_mul_f64_e32 v[8:9], v[130:131], v[8:9]
	s_delay_alu instid0(VALU_DEP_4) | instskip(NEXT) | instid1(VALU_DEP_4)
	v_fma_f64 v[39:40], v[34:35], v[2:3], -v[39:40]
	v_fma_f64 v[134:135], v[36:37], v[2:3], v[4:5]
	ds_load_b128 v[2:5], v1 offset:1136
	ds_load_b128 v[34:37], v1 offset:1152
	v_fma_f64 v[130:131], v[130:131], v[6:7], v[132:133]
	v_fma_f64 v[6:7], v[128:129], v[6:7], -v[8:9]
	s_wait_loadcnt_dscnt 0x701
	v_mul_f64_e32 v[136:137], v[2:3], v[12:13]
	v_mul_f64_e32 v[12:13], v[4:5], v[12:13]
	s_wait_loadcnt_dscnt 0x600
	v_mul_f64_e32 v[128:129], v[34:35], v[16:17]
	v_mul_f64_e32 v[16:17], v[36:37], v[16:17]
	v_add_f64_e32 v[8:9], 0, v[39:40]
	v_add_f64_e32 v[39:40], 0, v[134:135]
	v_fma_f64 v[132:133], v[4:5], v[10:11], v[136:137]
	v_fma_f64 v[10:11], v[2:3], v[10:11], -v[12:13]
	v_fma_f64 v[36:37], v[36:37], v[14:15], v[128:129]
	v_fma_f64 v[14:15], v[34:35], v[14:15], -v[16:17]
	v_add_f64_e32 v[12:13], v[8:9], v[6:7]
	v_add_f64_e32 v[39:40], v[39:40], v[130:131]
	ds_load_b128 v[2:5], v1 offset:1168
	ds_load_b128 v[6:9], v1 offset:1184
	s_wait_loadcnt_dscnt 0x501
	v_mul_f64_e32 v[130:131], v[2:3], v[20:21]
	v_mul_f64_e32 v[20:21], v[4:5], v[20:21]
	s_wait_loadcnt_dscnt 0x400
	v_mul_f64_e32 v[16:17], v[6:7], v[24:25]
	v_mul_f64_e32 v[24:25], v[8:9], v[24:25]
	v_add_f64_e32 v[10:11], v[12:13], v[10:11]
	v_add_f64_e32 v[12:13], v[39:40], v[132:133]
	v_fma_f64 v[34:35], v[4:5], v[18:19], v[130:131]
	v_fma_f64 v[18:19], v[2:3], v[18:19], -v[20:21]
	v_fma_f64 v[8:9], v[8:9], v[22:23], v[16:17]
	v_fma_f64 v[6:7], v[6:7], v[22:23], -v[24:25]
	v_add_f64_e32 v[14:15], v[10:11], v[14:15]
	v_add_f64_e32 v[20:21], v[12:13], v[36:37]
	ds_load_b128 v[2:5], v1 offset:1200
	ds_load_b128 v[10:13], v1 offset:1216
	s_wait_loadcnt_dscnt 0x301
	v_mul_f64_e32 v[36:37], v[2:3], v[28:29]
	v_mul_f64_e32 v[28:29], v[4:5], v[28:29]
	v_add_f64_e32 v[14:15], v[14:15], v[18:19]
	v_add_f64_e32 v[16:17], v[20:21], v[34:35]
	s_wait_loadcnt_dscnt 0x200
	v_mul_f64_e32 v[18:19], v[10:11], v[32:33]
	v_mul_f64_e32 v[20:21], v[12:13], v[32:33]
	v_fma_f64 v[22:23], v[4:5], v[26:27], v[36:37]
	v_fma_f64 v[24:25], v[2:3], v[26:27], -v[28:29]
	ds_load_b128 v[2:5], v1 offset:1232
	v_add_f64_e32 v[6:7], v[14:15], v[6:7]
	v_add_f64_e32 v[8:9], v[16:17], v[8:9]
	v_fma_f64 v[12:13], v[12:13], v[30:31], v[18:19]
	v_fma_f64 v[10:11], v[10:11], v[30:31], -v[20:21]
	s_wait_loadcnt_dscnt 0x100
	v_mul_f64_e32 v[14:15], v[2:3], v[122:123]
	v_mul_f64_e32 v[16:17], v[4:5], v[122:123]
	v_add_f64_e32 v[6:7], v[6:7], v[24:25]
	v_add_f64_e32 v[8:9], v[8:9], v[22:23]
	s_delay_alu instid0(VALU_DEP_4) | instskip(NEXT) | instid1(VALU_DEP_4)
	v_fma_f64 v[4:5], v[4:5], v[120:121], v[14:15]
	v_fma_f64 v[2:3], v[2:3], v[120:121], -v[16:17]
	s_delay_alu instid0(VALU_DEP_4) | instskip(NEXT) | instid1(VALU_DEP_4)
	v_add_f64_e32 v[6:7], v[6:7], v[10:11]
	v_add_f64_e32 v[8:9], v[8:9], v[12:13]
	s_delay_alu instid0(VALU_DEP_2) | instskip(NEXT) | instid1(VALU_DEP_2)
	v_add_f64_e32 v[2:3], v[6:7], v[2:3]
	v_add_f64_e32 v[4:5], v[8:9], v[4:5]
	s_wait_loadcnt 0x0
	s_delay_alu instid0(VALU_DEP_2) | instskip(NEXT) | instid1(VALU_DEP_2)
	v_add_f64_e64 v[2:3], v[124:125], -v[2:3]
	v_add_f64_e64 v[4:5], v[126:127], -v[4:5]
	scratch_store_b128 off, v[2:5], off offset:480
	v_cmpx_lt_u32_e32 28, v0
	s_cbranch_execz .LBB38_191
; %bb.190:
	scratch_load_b128 v[5:8], off, s19
	v_dual_mov_b32 v2, v1 :: v_dual_mov_b32 v3, v1
	v_mov_b32_e32 v4, v1
	scratch_store_b128 off, v[1:4], off offset:464
	s_wait_loadcnt 0x0
	ds_store_b128 v38, v[5:8]
.LBB38_191:
	s_wait_alu 0xfffe
	s_or_b32 exec_lo, exec_lo, s0
	s_wait_storecnt_dscnt 0x0
	s_barrier_signal -1
	s_barrier_wait -1
	global_inv scope:SCOPE_SE
	s_clause 0x8
	scratch_load_b128 v[2:5], off, off offset:480
	scratch_load_b128 v[6:9], off, off offset:496
	;; [unrolled: 1-line block ×9, first 2 shown]
	ds_load_b128 v[120:123], v1 offset:1088
	ds_load_b128 v[124:127], v1 offset:1104
	s_clause 0x1
	scratch_load_b128 v[128:131], off, off offset:464
	scratch_load_b128 v[132:135], off, off offset:624
	s_mov_b32 s0, exec_lo
	s_wait_loadcnt_dscnt 0xa01
	v_mul_f64_e32 v[39:40], v[122:123], v[4:5]
	v_mul_f64_e32 v[4:5], v[120:121], v[4:5]
	s_wait_loadcnt_dscnt 0x900
	v_mul_f64_e32 v[136:137], v[124:125], v[8:9]
	v_mul_f64_e32 v[8:9], v[126:127], v[8:9]
	s_delay_alu instid0(VALU_DEP_4) | instskip(NEXT) | instid1(VALU_DEP_4)
	v_fma_f64 v[39:40], v[120:121], v[2:3], -v[39:40]
	v_fma_f64 v[138:139], v[122:123], v[2:3], v[4:5]
	ds_load_b128 v[2:5], v1 offset:1120
	ds_load_b128 v[120:123], v1 offset:1136
	v_fma_f64 v[126:127], v[126:127], v[6:7], v[136:137]
	v_fma_f64 v[6:7], v[124:125], v[6:7], -v[8:9]
	s_wait_loadcnt_dscnt 0x801
	v_mul_f64_e32 v[140:141], v[2:3], v[12:13]
	v_mul_f64_e32 v[12:13], v[4:5], v[12:13]
	s_wait_loadcnt_dscnt 0x700
	v_mul_f64_e32 v[124:125], v[120:121], v[16:17]
	v_mul_f64_e32 v[16:17], v[122:123], v[16:17]
	v_add_f64_e32 v[8:9], 0, v[39:40]
	v_add_f64_e32 v[39:40], 0, v[138:139]
	v_fma_f64 v[136:137], v[4:5], v[10:11], v[140:141]
	v_fma_f64 v[10:11], v[2:3], v[10:11], -v[12:13]
	v_fma_f64 v[122:123], v[122:123], v[14:15], v[124:125]
	v_fma_f64 v[14:15], v[120:121], v[14:15], -v[16:17]
	v_add_f64_e32 v[12:13], v[8:9], v[6:7]
	v_add_f64_e32 v[39:40], v[39:40], v[126:127]
	ds_load_b128 v[2:5], v1 offset:1152
	ds_load_b128 v[6:9], v1 offset:1168
	s_wait_loadcnt_dscnt 0x601
	v_mul_f64_e32 v[126:127], v[2:3], v[20:21]
	v_mul_f64_e32 v[20:21], v[4:5], v[20:21]
	s_wait_loadcnt_dscnt 0x500
	v_mul_f64_e32 v[16:17], v[6:7], v[24:25]
	v_mul_f64_e32 v[24:25], v[8:9], v[24:25]
	v_add_f64_e32 v[10:11], v[12:13], v[10:11]
	v_add_f64_e32 v[12:13], v[39:40], v[136:137]
	v_fma_f64 v[39:40], v[4:5], v[18:19], v[126:127]
	v_fma_f64 v[18:19], v[2:3], v[18:19], -v[20:21]
	v_fma_f64 v[8:9], v[8:9], v[22:23], v[16:17]
	v_fma_f64 v[6:7], v[6:7], v[22:23], -v[24:25]
	v_add_f64_e32 v[14:15], v[10:11], v[14:15]
	v_add_f64_e32 v[20:21], v[12:13], v[122:123]
	ds_load_b128 v[2:5], v1 offset:1184
	ds_load_b128 v[10:13], v1 offset:1200
	s_wait_loadcnt_dscnt 0x401
	v_mul_f64_e32 v[120:121], v[2:3], v[28:29]
	v_mul_f64_e32 v[28:29], v[4:5], v[28:29]
	v_add_f64_e32 v[14:15], v[14:15], v[18:19]
	v_add_f64_e32 v[16:17], v[20:21], v[39:40]
	s_wait_loadcnt_dscnt 0x300
	v_mul_f64_e32 v[18:19], v[10:11], v[32:33]
	v_mul_f64_e32 v[20:21], v[12:13], v[32:33]
	v_fma_f64 v[22:23], v[4:5], v[26:27], v[120:121]
	v_fma_f64 v[24:25], v[2:3], v[26:27], -v[28:29]
	v_add_f64_e32 v[14:15], v[14:15], v[6:7]
	v_add_f64_e32 v[16:17], v[16:17], v[8:9]
	ds_load_b128 v[2:5], v1 offset:1216
	ds_load_b128 v[6:9], v1 offset:1232
	v_fma_f64 v[12:13], v[12:13], v[30:31], v[18:19]
	v_fma_f64 v[10:11], v[10:11], v[30:31], -v[20:21]
	s_wait_loadcnt_dscnt 0x201
	v_mul_f64_e32 v[26:27], v[2:3], v[36:37]
	v_mul_f64_e32 v[28:29], v[4:5], v[36:37]
	s_wait_loadcnt_dscnt 0x0
	v_mul_f64_e32 v[18:19], v[6:7], v[134:135]
	v_mul_f64_e32 v[20:21], v[8:9], v[134:135]
	v_add_f64_e32 v[14:15], v[14:15], v[24:25]
	v_add_f64_e32 v[16:17], v[16:17], v[22:23]
	v_fma_f64 v[4:5], v[4:5], v[34:35], v[26:27]
	v_fma_f64 v[1:2], v[2:3], v[34:35], -v[28:29]
	v_fma_f64 v[8:9], v[8:9], v[132:133], v[18:19]
	v_fma_f64 v[6:7], v[6:7], v[132:133], -v[20:21]
	v_add_f64_e32 v[10:11], v[14:15], v[10:11]
	v_add_f64_e32 v[12:13], v[16:17], v[12:13]
	s_delay_alu instid0(VALU_DEP_2) | instskip(NEXT) | instid1(VALU_DEP_2)
	v_add_f64_e32 v[1:2], v[10:11], v[1:2]
	v_add_f64_e32 v[3:4], v[12:13], v[4:5]
	s_delay_alu instid0(VALU_DEP_2) | instskip(NEXT) | instid1(VALU_DEP_2)
	;; [unrolled: 3-line block ×3, first 2 shown]
	v_add_f64_e64 v[1:2], v[128:129], -v[1:2]
	v_add_f64_e64 v[3:4], v[130:131], -v[3:4]
	scratch_store_b128 off, v[1:4], off offset:464
	v_cmpx_lt_u32_e32 27, v0
	s_cbranch_execz .LBB38_193
; %bb.192:
	scratch_load_b128 v[1:4], off, s20
	v_mov_b32_e32 v5, 0
	s_delay_alu instid0(VALU_DEP_1)
	v_dual_mov_b32 v6, v5 :: v_dual_mov_b32 v7, v5
	v_mov_b32_e32 v8, v5
	scratch_store_b128 off, v[5:8], off offset:448
	s_wait_loadcnt 0x0
	ds_store_b128 v38, v[1:4]
.LBB38_193:
	s_wait_alu 0xfffe
	s_or_b32 exec_lo, exec_lo, s0
	s_wait_storecnt_dscnt 0x0
	s_barrier_signal -1
	s_barrier_wait -1
	global_inv scope:SCOPE_SE
	s_clause 0x7
	scratch_load_b128 v[2:5], off, off offset:464
	scratch_load_b128 v[6:9], off, off offset:480
	scratch_load_b128 v[10:13], off, off offset:496
	scratch_load_b128 v[14:17], off, off offset:512
	scratch_load_b128 v[18:21], off, off offset:528
	scratch_load_b128 v[22:25], off, off offset:544
	scratch_load_b128 v[26:29], off, off offset:560
	scratch_load_b128 v[30:33], off, off offset:576
	v_mov_b32_e32 v1, 0
	s_clause 0x1
	scratch_load_b128 v[120:123], off, off offset:592
	scratch_load_b128 v[128:131], off, off offset:608
	s_mov_b32 s0, exec_lo
	ds_load_b128 v[34:37], v1 offset:1072
	ds_load_b128 v[124:127], v1 offset:1088
	s_wait_loadcnt_dscnt 0x901
	v_mul_f64_e32 v[39:40], v[36:37], v[4:5]
	v_mul_f64_e32 v[4:5], v[34:35], v[4:5]
	s_wait_loadcnt_dscnt 0x800
	v_mul_f64_e32 v[132:133], v[124:125], v[8:9]
	v_mul_f64_e32 v[8:9], v[126:127], v[8:9]
	s_delay_alu instid0(VALU_DEP_4) | instskip(NEXT) | instid1(VALU_DEP_4)
	v_fma_f64 v[39:40], v[34:35], v[2:3], -v[39:40]
	v_fma_f64 v[134:135], v[36:37], v[2:3], v[4:5]
	ds_load_b128 v[2:5], v1 offset:1104
	scratch_load_b128 v[34:37], off, off offset:624
	v_fma_f64 v[126:127], v[126:127], v[6:7], v[132:133]
	v_fma_f64 v[124:125], v[124:125], v[6:7], -v[8:9]
	ds_load_b128 v[6:9], v1 offset:1120
	s_wait_loadcnt_dscnt 0x801
	v_mul_f64_e32 v[136:137], v[2:3], v[12:13]
	v_mul_f64_e32 v[12:13], v[4:5], v[12:13]
	v_add_f64_e32 v[39:40], 0, v[39:40]
	v_add_f64_e32 v[132:133], 0, v[134:135]
	s_wait_loadcnt_dscnt 0x700
	v_mul_f64_e32 v[134:135], v[6:7], v[16:17]
	v_mul_f64_e32 v[16:17], v[8:9], v[16:17]
	v_fma_f64 v[136:137], v[4:5], v[10:11], v[136:137]
	v_fma_f64 v[10:11], v[2:3], v[10:11], -v[12:13]
	ds_load_b128 v[2:5], v1 offset:1136
	v_add_f64_e32 v[12:13], v[39:40], v[124:125]
	v_add_f64_e32 v[39:40], v[132:133], v[126:127]
	v_fma_f64 v[126:127], v[8:9], v[14:15], v[134:135]
	v_fma_f64 v[14:15], v[6:7], v[14:15], -v[16:17]
	ds_load_b128 v[6:9], v1 offset:1152
	s_wait_loadcnt_dscnt 0x601
	v_mul_f64_e32 v[124:125], v[2:3], v[20:21]
	v_mul_f64_e32 v[20:21], v[4:5], v[20:21]
	s_wait_loadcnt_dscnt 0x500
	v_mul_f64_e32 v[132:133], v[6:7], v[24:25]
	v_mul_f64_e32 v[24:25], v[8:9], v[24:25]
	v_add_f64_e32 v[16:17], v[12:13], v[10:11]
	v_add_f64_e32 v[39:40], v[39:40], v[136:137]
	scratch_load_b128 v[10:13], off, off offset:448
	v_fma_f64 v[124:125], v[4:5], v[18:19], v[124:125]
	v_fma_f64 v[18:19], v[2:3], v[18:19], -v[20:21]
	ds_load_b128 v[2:5], v1 offset:1168
	v_add_f64_e32 v[14:15], v[16:17], v[14:15]
	v_add_f64_e32 v[16:17], v[39:40], v[126:127]
	v_fma_f64 v[39:40], v[8:9], v[22:23], v[132:133]
	v_fma_f64 v[22:23], v[6:7], v[22:23], -v[24:25]
	ds_load_b128 v[6:9], v1 offset:1184
	s_wait_loadcnt_dscnt 0x501
	v_mul_f64_e32 v[20:21], v[2:3], v[28:29]
	v_mul_f64_e32 v[28:29], v[4:5], v[28:29]
	s_wait_loadcnt_dscnt 0x400
	v_mul_f64_e32 v[24:25], v[8:9], v[32:33]
	v_add_f64_e32 v[14:15], v[14:15], v[18:19]
	v_add_f64_e32 v[16:17], v[16:17], v[124:125]
	v_mul_f64_e32 v[18:19], v[6:7], v[32:33]
	v_fma_f64 v[20:21], v[4:5], v[26:27], v[20:21]
	v_fma_f64 v[26:27], v[2:3], v[26:27], -v[28:29]
	ds_load_b128 v[2:5], v1 offset:1200
	v_fma_f64 v[24:25], v[6:7], v[30:31], -v[24:25]
	v_add_f64_e32 v[14:15], v[14:15], v[22:23]
	v_add_f64_e32 v[16:17], v[16:17], v[39:40]
	v_fma_f64 v[18:19], v[8:9], v[30:31], v[18:19]
	ds_load_b128 v[6:9], v1 offset:1216
	s_wait_loadcnt_dscnt 0x301
	v_mul_f64_e32 v[22:23], v[2:3], v[122:123]
	v_mul_f64_e32 v[28:29], v[4:5], v[122:123]
	v_add_f64_e32 v[14:15], v[14:15], v[26:27]
	v_add_f64_e32 v[16:17], v[16:17], v[20:21]
	s_wait_loadcnt_dscnt 0x200
	v_mul_f64_e32 v[20:21], v[6:7], v[130:131]
	v_mul_f64_e32 v[26:27], v[8:9], v[130:131]
	v_fma_f64 v[22:23], v[4:5], v[120:121], v[22:23]
	v_fma_f64 v[28:29], v[2:3], v[120:121], -v[28:29]
	ds_load_b128 v[2:5], v1 offset:1232
	v_add_f64_e32 v[14:15], v[14:15], v[24:25]
	v_add_f64_e32 v[16:17], v[16:17], v[18:19]
	v_fma_f64 v[8:9], v[8:9], v[128:129], v[20:21]
	v_fma_f64 v[6:7], v[6:7], v[128:129], -v[26:27]
	s_wait_loadcnt_dscnt 0x100
	v_mul_f64_e32 v[18:19], v[2:3], v[36:37]
	v_mul_f64_e32 v[24:25], v[4:5], v[36:37]
	v_add_f64_e32 v[14:15], v[14:15], v[28:29]
	v_add_f64_e32 v[16:17], v[16:17], v[22:23]
	s_delay_alu instid0(VALU_DEP_4) | instskip(NEXT) | instid1(VALU_DEP_4)
	v_fma_f64 v[4:5], v[4:5], v[34:35], v[18:19]
	v_fma_f64 v[2:3], v[2:3], v[34:35], -v[24:25]
	s_delay_alu instid0(VALU_DEP_4) | instskip(NEXT) | instid1(VALU_DEP_4)
	v_add_f64_e32 v[6:7], v[14:15], v[6:7]
	v_add_f64_e32 v[8:9], v[16:17], v[8:9]
	s_delay_alu instid0(VALU_DEP_2) | instskip(NEXT) | instid1(VALU_DEP_2)
	v_add_f64_e32 v[2:3], v[6:7], v[2:3]
	v_add_f64_e32 v[4:5], v[8:9], v[4:5]
	s_wait_loadcnt 0x0
	s_delay_alu instid0(VALU_DEP_2) | instskip(NEXT) | instid1(VALU_DEP_2)
	v_add_f64_e64 v[2:3], v[10:11], -v[2:3]
	v_add_f64_e64 v[4:5], v[12:13], -v[4:5]
	scratch_store_b128 off, v[2:5], off offset:448
	v_cmpx_lt_u32_e32 26, v0
	s_cbranch_execz .LBB38_195
; %bb.194:
	scratch_load_b128 v[5:8], off, s22
	v_dual_mov_b32 v2, v1 :: v_dual_mov_b32 v3, v1
	v_mov_b32_e32 v4, v1
	scratch_store_b128 off, v[1:4], off offset:432
	s_wait_loadcnt 0x0
	ds_store_b128 v38, v[5:8]
.LBB38_195:
	s_wait_alu 0xfffe
	s_or_b32 exec_lo, exec_lo, s0
	s_wait_storecnt_dscnt 0x0
	s_barrier_signal -1
	s_barrier_wait -1
	global_inv scope:SCOPE_SE
	s_clause 0x7
	scratch_load_b128 v[2:5], off, off offset:448
	scratch_load_b128 v[6:9], off, off offset:464
	;; [unrolled: 1-line block ×8, first 2 shown]
	ds_load_b128 v[34:37], v1 offset:1056
	ds_load_b128 v[124:127], v1 offset:1072
	s_clause 0x1
	scratch_load_b128 v[120:123], off, off offset:576
	scratch_load_b128 v[128:131], off, off offset:592
	s_mov_b32 s0, exec_lo
	s_wait_loadcnt_dscnt 0x901
	v_mul_f64_e32 v[39:40], v[36:37], v[4:5]
	v_mul_f64_e32 v[4:5], v[34:35], v[4:5]
	s_wait_loadcnt_dscnt 0x800
	v_mul_f64_e32 v[132:133], v[124:125], v[8:9]
	v_mul_f64_e32 v[8:9], v[126:127], v[8:9]
	s_delay_alu instid0(VALU_DEP_4) | instskip(NEXT) | instid1(VALU_DEP_4)
	v_fma_f64 v[39:40], v[34:35], v[2:3], -v[39:40]
	v_fma_f64 v[134:135], v[36:37], v[2:3], v[4:5]
	ds_load_b128 v[2:5], v1 offset:1088
	scratch_load_b128 v[34:37], off, off offset:608
	v_fma_f64 v[132:133], v[126:127], v[6:7], v[132:133]
	v_fma_f64 v[138:139], v[124:125], v[6:7], -v[8:9]
	ds_load_b128 v[6:9], v1 offset:1104
	scratch_load_b128 v[124:127], off, off offset:624
	s_wait_loadcnt_dscnt 0x901
	v_mul_f64_e32 v[136:137], v[2:3], v[12:13]
	v_mul_f64_e32 v[12:13], v[4:5], v[12:13]
	s_wait_loadcnt_dscnt 0x800
	v_mul_f64_e32 v[140:141], v[6:7], v[16:17]
	v_mul_f64_e32 v[16:17], v[8:9], v[16:17]
	v_add_f64_e32 v[39:40], 0, v[39:40]
	v_add_f64_e32 v[134:135], 0, v[134:135]
	v_fma_f64 v[136:137], v[4:5], v[10:11], v[136:137]
	v_fma_f64 v[10:11], v[2:3], v[10:11], -v[12:13]
	ds_load_b128 v[2:5], v1 offset:1120
	v_add_f64_e32 v[12:13], v[39:40], v[138:139]
	v_add_f64_e32 v[39:40], v[134:135], v[132:133]
	v_fma_f64 v[134:135], v[8:9], v[14:15], v[140:141]
	v_fma_f64 v[14:15], v[6:7], v[14:15], -v[16:17]
	ds_load_b128 v[6:9], v1 offset:1136
	s_wait_loadcnt_dscnt 0x701
	v_mul_f64_e32 v[132:133], v[2:3], v[20:21]
	v_mul_f64_e32 v[20:21], v[4:5], v[20:21]
	s_wait_loadcnt_dscnt 0x600
	v_mul_f64_e32 v[16:17], v[6:7], v[24:25]
	v_mul_f64_e32 v[24:25], v[8:9], v[24:25]
	v_add_f64_e32 v[10:11], v[12:13], v[10:11]
	v_add_f64_e32 v[12:13], v[39:40], v[136:137]
	v_fma_f64 v[39:40], v[4:5], v[18:19], v[132:133]
	v_fma_f64 v[18:19], v[2:3], v[18:19], -v[20:21]
	ds_load_b128 v[2:5], v1 offset:1152
	v_fma_f64 v[16:17], v[8:9], v[22:23], v[16:17]
	v_fma_f64 v[22:23], v[6:7], v[22:23], -v[24:25]
	ds_load_b128 v[6:9], v1 offset:1168
	s_wait_loadcnt_dscnt 0x501
	v_mul_f64_e32 v[132:133], v[2:3], v[28:29]
	v_mul_f64_e32 v[28:29], v[4:5], v[28:29]
	v_add_f64_e32 v[14:15], v[10:11], v[14:15]
	v_add_f64_e32 v[20:21], v[12:13], v[134:135]
	scratch_load_b128 v[10:13], off, off offset:432
	s_wait_loadcnt_dscnt 0x500
	v_mul_f64_e32 v[24:25], v[8:9], v[32:33]
	v_add_f64_e32 v[14:15], v[14:15], v[18:19]
	v_add_f64_e32 v[18:19], v[20:21], v[39:40]
	v_mul_f64_e32 v[20:21], v[6:7], v[32:33]
	v_fma_f64 v[32:33], v[4:5], v[26:27], v[132:133]
	v_fma_f64 v[26:27], v[2:3], v[26:27], -v[28:29]
	ds_load_b128 v[2:5], v1 offset:1184
	v_fma_f64 v[24:25], v[6:7], v[30:31], -v[24:25]
	v_add_f64_e32 v[14:15], v[14:15], v[22:23]
	v_add_f64_e32 v[16:17], v[18:19], v[16:17]
	v_fma_f64 v[20:21], v[8:9], v[30:31], v[20:21]
	ds_load_b128 v[6:9], v1 offset:1200
	s_wait_loadcnt_dscnt 0x401
	v_mul_f64_e32 v[18:19], v[2:3], v[122:123]
	v_mul_f64_e32 v[22:23], v[4:5], v[122:123]
	s_wait_loadcnt_dscnt 0x300
	v_mul_f64_e32 v[28:29], v[8:9], v[130:131]
	v_add_f64_e32 v[14:15], v[14:15], v[26:27]
	v_add_f64_e32 v[16:17], v[16:17], v[32:33]
	v_mul_f64_e32 v[26:27], v[6:7], v[130:131]
	v_fma_f64 v[18:19], v[4:5], v[120:121], v[18:19]
	v_fma_f64 v[22:23], v[2:3], v[120:121], -v[22:23]
	ds_load_b128 v[2:5], v1 offset:1216
	v_fma_f64 v[28:29], v[6:7], v[128:129], -v[28:29]
	v_add_f64_e32 v[14:15], v[14:15], v[24:25]
	v_add_f64_e32 v[16:17], v[16:17], v[20:21]
	v_fma_f64 v[26:27], v[8:9], v[128:129], v[26:27]
	ds_load_b128 v[6:9], v1 offset:1232
	s_wait_loadcnt_dscnt 0x201
	v_mul_f64_e32 v[20:21], v[2:3], v[36:37]
	v_mul_f64_e32 v[24:25], v[4:5], v[36:37]
	v_add_f64_e32 v[14:15], v[14:15], v[22:23]
	v_add_f64_e32 v[16:17], v[16:17], v[18:19]
	s_wait_loadcnt_dscnt 0x100
	v_mul_f64_e32 v[18:19], v[6:7], v[126:127]
	v_mul_f64_e32 v[22:23], v[8:9], v[126:127]
	v_fma_f64 v[4:5], v[4:5], v[34:35], v[20:21]
	v_fma_f64 v[1:2], v[2:3], v[34:35], -v[24:25]
	v_add_f64_e32 v[14:15], v[14:15], v[28:29]
	v_add_f64_e32 v[16:17], v[16:17], v[26:27]
	v_fma_f64 v[8:9], v[8:9], v[124:125], v[18:19]
	v_fma_f64 v[6:7], v[6:7], v[124:125], -v[22:23]
	s_delay_alu instid0(VALU_DEP_4) | instskip(NEXT) | instid1(VALU_DEP_4)
	v_add_f64_e32 v[1:2], v[14:15], v[1:2]
	v_add_f64_e32 v[3:4], v[16:17], v[4:5]
	s_delay_alu instid0(VALU_DEP_2) | instskip(NEXT) | instid1(VALU_DEP_2)
	v_add_f64_e32 v[1:2], v[1:2], v[6:7]
	v_add_f64_e32 v[3:4], v[3:4], v[8:9]
	s_wait_loadcnt 0x0
	s_delay_alu instid0(VALU_DEP_2) | instskip(NEXT) | instid1(VALU_DEP_2)
	v_add_f64_e64 v[1:2], v[10:11], -v[1:2]
	v_add_f64_e64 v[3:4], v[12:13], -v[3:4]
	scratch_store_b128 off, v[1:4], off offset:432
	v_cmpx_lt_u32_e32 25, v0
	s_cbranch_execz .LBB38_197
; %bb.196:
	scratch_load_b128 v[1:4], off, s21
	v_mov_b32_e32 v5, 0
	s_delay_alu instid0(VALU_DEP_1)
	v_dual_mov_b32 v6, v5 :: v_dual_mov_b32 v7, v5
	v_mov_b32_e32 v8, v5
	scratch_store_b128 off, v[5:8], off offset:416
	s_wait_loadcnt 0x0
	ds_store_b128 v38, v[1:4]
.LBB38_197:
	s_wait_alu 0xfffe
	s_or_b32 exec_lo, exec_lo, s0
	s_wait_storecnt_dscnt 0x0
	s_barrier_signal -1
	s_barrier_wait -1
	global_inv scope:SCOPE_SE
	s_clause 0x7
	scratch_load_b128 v[2:5], off, off offset:432
	scratch_load_b128 v[6:9], off, off offset:448
	;; [unrolled: 1-line block ×8, first 2 shown]
	v_mov_b32_e32 v1, 0
	s_clause 0x1
	scratch_load_b128 v[120:123], off, off offset:560
	scratch_load_b128 v[128:131], off, off offset:576
	s_mov_b32 s0, exec_lo
	ds_load_b128 v[34:37], v1 offset:1040
	ds_load_b128 v[124:127], v1 offset:1056
	s_wait_loadcnt_dscnt 0x901
	v_mul_f64_e32 v[39:40], v[36:37], v[4:5]
	v_mul_f64_e32 v[4:5], v[34:35], v[4:5]
	s_wait_loadcnt_dscnt 0x800
	v_mul_f64_e32 v[132:133], v[124:125], v[8:9]
	v_mul_f64_e32 v[8:9], v[126:127], v[8:9]
	s_delay_alu instid0(VALU_DEP_4) | instskip(NEXT) | instid1(VALU_DEP_4)
	v_fma_f64 v[39:40], v[34:35], v[2:3], -v[39:40]
	v_fma_f64 v[134:135], v[36:37], v[2:3], v[4:5]
	ds_load_b128 v[2:5], v1 offset:1072
	scratch_load_b128 v[34:37], off, off offset:592
	v_fma_f64 v[132:133], v[126:127], v[6:7], v[132:133]
	v_fma_f64 v[138:139], v[124:125], v[6:7], -v[8:9]
	ds_load_b128 v[6:9], v1 offset:1088
	scratch_load_b128 v[124:127], off, off offset:608
	s_wait_loadcnt_dscnt 0x901
	v_mul_f64_e32 v[136:137], v[2:3], v[12:13]
	v_mul_f64_e32 v[12:13], v[4:5], v[12:13]
	s_wait_loadcnt_dscnt 0x800
	v_mul_f64_e32 v[140:141], v[6:7], v[16:17]
	v_mul_f64_e32 v[16:17], v[8:9], v[16:17]
	v_add_f64_e32 v[39:40], 0, v[39:40]
	v_add_f64_e32 v[134:135], 0, v[134:135]
	v_fma_f64 v[136:137], v[4:5], v[10:11], v[136:137]
	v_fma_f64 v[142:143], v[2:3], v[10:11], -v[12:13]
	ds_load_b128 v[2:5], v1 offset:1104
	scratch_load_b128 v[10:13], off, off offset:624
	v_add_f64_e32 v[39:40], v[39:40], v[138:139]
	v_add_f64_e32 v[132:133], v[134:135], v[132:133]
	v_fma_f64 v[138:139], v[8:9], v[14:15], v[140:141]
	v_fma_f64 v[14:15], v[6:7], v[14:15], -v[16:17]
	ds_load_b128 v[6:9], v1 offset:1120
	s_wait_loadcnt_dscnt 0x801
	v_mul_f64_e32 v[134:135], v[2:3], v[20:21]
	v_mul_f64_e32 v[20:21], v[4:5], v[20:21]
	v_add_f64_e32 v[16:17], v[39:40], v[142:143]
	v_add_f64_e32 v[39:40], v[132:133], v[136:137]
	s_wait_loadcnt_dscnt 0x700
	v_mul_f64_e32 v[132:133], v[6:7], v[24:25]
	v_mul_f64_e32 v[24:25], v[8:9], v[24:25]
	v_fma_f64 v[134:135], v[4:5], v[18:19], v[134:135]
	v_fma_f64 v[18:19], v[2:3], v[18:19], -v[20:21]
	ds_load_b128 v[2:5], v1 offset:1136
	v_add_f64_e32 v[14:15], v[16:17], v[14:15]
	v_add_f64_e32 v[16:17], v[39:40], v[138:139]
	v_fma_f64 v[39:40], v[8:9], v[22:23], v[132:133]
	v_fma_f64 v[22:23], v[6:7], v[22:23], -v[24:25]
	ds_load_b128 v[6:9], v1 offset:1152
	s_wait_loadcnt_dscnt 0x601
	v_mul_f64_e32 v[20:21], v[2:3], v[28:29]
	v_mul_f64_e32 v[28:29], v[4:5], v[28:29]
	s_wait_loadcnt_dscnt 0x500
	v_mul_f64_e32 v[132:133], v[6:7], v[32:33]
	v_mul_f64_e32 v[32:33], v[8:9], v[32:33]
	v_add_f64_e32 v[18:19], v[14:15], v[18:19]
	v_add_f64_e32 v[24:25], v[16:17], v[134:135]
	scratch_load_b128 v[14:17], off, off offset:416
	v_fma_f64 v[20:21], v[4:5], v[26:27], v[20:21]
	v_fma_f64 v[26:27], v[2:3], v[26:27], -v[28:29]
	ds_load_b128 v[2:5], v1 offset:1168
	v_add_f64_e32 v[18:19], v[18:19], v[22:23]
	v_add_f64_e32 v[22:23], v[24:25], v[39:40]
	v_fma_f64 v[39:40], v[8:9], v[30:31], v[132:133]
	v_fma_f64 v[30:31], v[6:7], v[30:31], -v[32:33]
	ds_load_b128 v[6:9], v1 offset:1184
	s_wait_loadcnt_dscnt 0x501
	v_mul_f64_e32 v[24:25], v[2:3], v[122:123]
	v_mul_f64_e32 v[28:29], v[4:5], v[122:123]
	v_add_f64_e32 v[18:19], v[18:19], v[26:27]
	v_add_f64_e32 v[20:21], v[22:23], v[20:21]
	s_wait_loadcnt_dscnt 0x400
	v_mul_f64_e32 v[22:23], v[6:7], v[130:131]
	v_mul_f64_e32 v[26:27], v[8:9], v[130:131]
	v_fma_f64 v[24:25], v[4:5], v[120:121], v[24:25]
	v_fma_f64 v[28:29], v[2:3], v[120:121], -v[28:29]
	ds_load_b128 v[2:5], v1 offset:1200
	v_add_f64_e32 v[18:19], v[18:19], v[30:31]
	v_add_f64_e32 v[20:21], v[20:21], v[39:40]
	v_fma_f64 v[22:23], v[8:9], v[128:129], v[22:23]
	v_fma_f64 v[26:27], v[6:7], v[128:129], -v[26:27]
	ds_load_b128 v[6:9], v1 offset:1216
	s_wait_loadcnt_dscnt 0x301
	v_mul_f64_e32 v[30:31], v[2:3], v[36:37]
	v_mul_f64_e32 v[32:33], v[4:5], v[36:37]
	v_add_f64_e32 v[18:19], v[18:19], v[28:29]
	v_add_f64_e32 v[20:21], v[20:21], v[24:25]
	s_wait_loadcnt_dscnt 0x200
	v_mul_f64_e32 v[24:25], v[6:7], v[126:127]
	v_mul_f64_e32 v[28:29], v[8:9], v[126:127]
	v_fma_f64 v[30:31], v[4:5], v[34:35], v[30:31]
	v_fma_f64 v[32:33], v[2:3], v[34:35], -v[32:33]
	ds_load_b128 v[2:5], v1 offset:1232
	v_add_f64_e32 v[18:19], v[18:19], v[26:27]
	v_add_f64_e32 v[20:21], v[20:21], v[22:23]
	v_fma_f64 v[8:9], v[8:9], v[124:125], v[24:25]
	s_wait_loadcnt_dscnt 0x100
	v_mul_f64_e32 v[22:23], v[2:3], v[12:13]
	v_mul_f64_e32 v[12:13], v[4:5], v[12:13]
	v_fma_f64 v[6:7], v[6:7], v[124:125], -v[28:29]
	v_add_f64_e32 v[18:19], v[18:19], v[32:33]
	v_add_f64_e32 v[20:21], v[20:21], v[30:31]
	v_fma_f64 v[4:5], v[4:5], v[10:11], v[22:23]
	v_fma_f64 v[2:3], v[2:3], v[10:11], -v[12:13]
	s_delay_alu instid0(VALU_DEP_4) | instskip(NEXT) | instid1(VALU_DEP_4)
	v_add_f64_e32 v[6:7], v[18:19], v[6:7]
	v_add_f64_e32 v[8:9], v[20:21], v[8:9]
	s_delay_alu instid0(VALU_DEP_2) | instskip(NEXT) | instid1(VALU_DEP_2)
	v_add_f64_e32 v[2:3], v[6:7], v[2:3]
	v_add_f64_e32 v[4:5], v[8:9], v[4:5]
	s_wait_loadcnt 0x0
	s_delay_alu instid0(VALU_DEP_2) | instskip(NEXT) | instid1(VALU_DEP_2)
	v_add_f64_e64 v[2:3], v[14:15], -v[2:3]
	v_add_f64_e64 v[4:5], v[16:17], -v[4:5]
	scratch_store_b128 off, v[2:5], off offset:416
	v_cmpx_lt_u32_e32 24, v0
	s_cbranch_execz .LBB38_199
; %bb.198:
	scratch_load_b128 v[5:8], off, s23
	v_dual_mov_b32 v2, v1 :: v_dual_mov_b32 v3, v1
	v_mov_b32_e32 v4, v1
	scratch_store_b128 off, v[1:4], off offset:400
	s_wait_loadcnt 0x0
	ds_store_b128 v38, v[5:8]
.LBB38_199:
	s_wait_alu 0xfffe
	s_or_b32 exec_lo, exec_lo, s0
	s_wait_storecnt_dscnt 0x0
	s_barrier_signal -1
	s_barrier_wait -1
	global_inv scope:SCOPE_SE
	s_clause 0x7
	scratch_load_b128 v[2:5], off, off offset:416
	scratch_load_b128 v[6:9], off, off offset:432
	scratch_load_b128 v[10:13], off, off offset:448
	scratch_load_b128 v[14:17], off, off offset:464
	scratch_load_b128 v[18:21], off, off offset:480
	scratch_load_b128 v[22:25], off, off offset:496
	scratch_load_b128 v[26:29], off, off offset:512
	scratch_load_b128 v[30:33], off, off offset:528
	ds_load_b128 v[34:37], v1 offset:1024
	ds_load_b128 v[124:127], v1 offset:1040
	s_clause 0x1
	scratch_load_b128 v[120:123], off, off offset:544
	scratch_load_b128 v[128:131], off, off offset:560
	s_mov_b32 s0, exec_lo
	s_wait_loadcnt_dscnt 0x901
	v_mul_f64_e32 v[39:40], v[36:37], v[4:5]
	v_mul_f64_e32 v[4:5], v[34:35], v[4:5]
	s_wait_loadcnt_dscnt 0x800
	v_mul_f64_e32 v[132:133], v[124:125], v[8:9]
	v_mul_f64_e32 v[8:9], v[126:127], v[8:9]
	s_delay_alu instid0(VALU_DEP_4) | instskip(NEXT) | instid1(VALU_DEP_4)
	v_fma_f64 v[39:40], v[34:35], v[2:3], -v[39:40]
	v_fma_f64 v[134:135], v[36:37], v[2:3], v[4:5]
	ds_load_b128 v[2:5], v1 offset:1056
	scratch_load_b128 v[34:37], off, off offset:576
	v_fma_f64 v[132:133], v[126:127], v[6:7], v[132:133]
	v_fma_f64 v[138:139], v[124:125], v[6:7], -v[8:9]
	ds_load_b128 v[6:9], v1 offset:1072
	scratch_load_b128 v[124:127], off, off offset:592
	s_wait_loadcnt_dscnt 0x901
	v_mul_f64_e32 v[136:137], v[2:3], v[12:13]
	v_mul_f64_e32 v[12:13], v[4:5], v[12:13]
	s_wait_loadcnt_dscnt 0x800
	v_mul_f64_e32 v[140:141], v[6:7], v[16:17]
	v_mul_f64_e32 v[16:17], v[8:9], v[16:17]
	v_add_f64_e32 v[39:40], 0, v[39:40]
	v_add_f64_e32 v[134:135], 0, v[134:135]
	v_fma_f64 v[136:137], v[4:5], v[10:11], v[136:137]
	v_fma_f64 v[142:143], v[2:3], v[10:11], -v[12:13]
	ds_load_b128 v[2:5], v1 offset:1088
	scratch_load_b128 v[10:13], off, off offset:608
	v_add_f64_e32 v[39:40], v[39:40], v[138:139]
	v_add_f64_e32 v[132:133], v[134:135], v[132:133]
	v_fma_f64 v[138:139], v[8:9], v[14:15], v[140:141]
	v_fma_f64 v[140:141], v[6:7], v[14:15], -v[16:17]
	ds_load_b128 v[6:9], v1 offset:1104
	scratch_load_b128 v[14:17], off, off offset:624
	s_wait_loadcnt_dscnt 0x901
	v_mul_f64_e32 v[134:135], v[2:3], v[20:21]
	v_mul_f64_e32 v[20:21], v[4:5], v[20:21]
	v_add_f64_e32 v[39:40], v[39:40], v[142:143]
	v_add_f64_e32 v[132:133], v[132:133], v[136:137]
	s_wait_loadcnt_dscnt 0x800
	v_mul_f64_e32 v[136:137], v[6:7], v[24:25]
	v_mul_f64_e32 v[24:25], v[8:9], v[24:25]
	v_fma_f64 v[134:135], v[4:5], v[18:19], v[134:135]
	v_fma_f64 v[18:19], v[2:3], v[18:19], -v[20:21]
	ds_load_b128 v[2:5], v1 offset:1120
	v_add_f64_e32 v[20:21], v[39:40], v[140:141]
	v_add_f64_e32 v[39:40], v[132:133], v[138:139]
	v_fma_f64 v[136:137], v[8:9], v[22:23], v[136:137]
	v_fma_f64 v[22:23], v[6:7], v[22:23], -v[24:25]
	ds_load_b128 v[6:9], v1 offset:1136
	s_wait_loadcnt_dscnt 0x701
	v_mul_f64_e32 v[132:133], v[2:3], v[28:29]
	v_mul_f64_e32 v[28:29], v[4:5], v[28:29]
	s_wait_loadcnt_dscnt 0x600
	v_mul_f64_e32 v[24:25], v[6:7], v[32:33]
	v_mul_f64_e32 v[32:33], v[8:9], v[32:33]
	v_add_f64_e32 v[18:19], v[20:21], v[18:19]
	v_add_f64_e32 v[20:21], v[39:40], v[134:135]
	v_fma_f64 v[39:40], v[4:5], v[26:27], v[132:133]
	v_fma_f64 v[26:27], v[2:3], v[26:27], -v[28:29]
	ds_load_b128 v[2:5], v1 offset:1152
	v_fma_f64 v[24:25], v[8:9], v[30:31], v[24:25]
	v_fma_f64 v[30:31], v[6:7], v[30:31], -v[32:33]
	ds_load_b128 v[6:9], v1 offset:1168
	v_add_f64_e32 v[22:23], v[18:19], v[22:23]
	v_add_f64_e32 v[28:29], v[20:21], v[136:137]
	scratch_load_b128 v[18:21], off, off offset:400
	s_wait_loadcnt_dscnt 0x601
	v_mul_f64_e32 v[132:133], v[2:3], v[122:123]
	v_mul_f64_e32 v[122:123], v[4:5], v[122:123]
	s_wait_loadcnt_dscnt 0x500
	v_mul_f64_e32 v[32:33], v[8:9], v[130:131]
	v_add_f64_e32 v[22:23], v[22:23], v[26:27]
	v_add_f64_e32 v[26:27], v[28:29], v[39:40]
	v_mul_f64_e32 v[28:29], v[6:7], v[130:131]
	v_fma_f64 v[39:40], v[4:5], v[120:121], v[132:133]
	v_fma_f64 v[120:121], v[2:3], v[120:121], -v[122:123]
	ds_load_b128 v[2:5], v1 offset:1184
	v_fma_f64 v[32:33], v[6:7], v[128:129], -v[32:33]
	v_add_f64_e32 v[22:23], v[22:23], v[30:31]
	v_add_f64_e32 v[24:25], v[26:27], v[24:25]
	v_fma_f64 v[28:29], v[8:9], v[128:129], v[28:29]
	ds_load_b128 v[6:9], v1 offset:1200
	s_wait_loadcnt_dscnt 0x401
	v_mul_f64_e32 v[26:27], v[2:3], v[36:37]
	v_mul_f64_e32 v[30:31], v[4:5], v[36:37]
	s_wait_loadcnt_dscnt 0x300
	v_mul_f64_e32 v[36:37], v[6:7], v[126:127]
	v_add_f64_e32 v[22:23], v[22:23], v[120:121]
	v_add_f64_e32 v[24:25], v[24:25], v[39:40]
	v_mul_f64_e32 v[39:40], v[8:9], v[126:127]
	v_fma_f64 v[26:27], v[4:5], v[34:35], v[26:27]
	v_fma_f64 v[30:31], v[2:3], v[34:35], -v[30:31]
	ds_load_b128 v[2:5], v1 offset:1216
	v_add_f64_e32 v[22:23], v[22:23], v[32:33]
	v_add_f64_e32 v[24:25], v[24:25], v[28:29]
	v_fma_f64 v[32:33], v[8:9], v[124:125], v[36:37]
	v_fma_f64 v[34:35], v[6:7], v[124:125], -v[39:40]
	ds_load_b128 v[6:9], v1 offset:1232
	s_wait_loadcnt_dscnt 0x201
	v_mul_f64_e32 v[28:29], v[2:3], v[12:13]
	v_mul_f64_e32 v[12:13], v[4:5], v[12:13]
	v_add_f64_e32 v[22:23], v[22:23], v[30:31]
	v_add_f64_e32 v[24:25], v[24:25], v[26:27]
	s_wait_loadcnt_dscnt 0x100
	v_mul_f64_e32 v[26:27], v[6:7], v[16:17]
	v_mul_f64_e32 v[16:17], v[8:9], v[16:17]
	v_fma_f64 v[4:5], v[4:5], v[10:11], v[28:29]
	v_fma_f64 v[1:2], v[2:3], v[10:11], -v[12:13]
	v_add_f64_e32 v[10:11], v[22:23], v[34:35]
	v_add_f64_e32 v[12:13], v[24:25], v[32:33]
	v_fma_f64 v[8:9], v[8:9], v[14:15], v[26:27]
	v_fma_f64 v[6:7], v[6:7], v[14:15], -v[16:17]
	s_delay_alu instid0(VALU_DEP_4) | instskip(NEXT) | instid1(VALU_DEP_4)
	v_add_f64_e32 v[1:2], v[10:11], v[1:2]
	v_add_f64_e32 v[3:4], v[12:13], v[4:5]
	s_delay_alu instid0(VALU_DEP_2) | instskip(NEXT) | instid1(VALU_DEP_2)
	v_add_f64_e32 v[1:2], v[1:2], v[6:7]
	v_add_f64_e32 v[3:4], v[3:4], v[8:9]
	s_wait_loadcnt 0x0
	s_delay_alu instid0(VALU_DEP_2) | instskip(NEXT) | instid1(VALU_DEP_2)
	v_add_f64_e64 v[1:2], v[18:19], -v[1:2]
	v_add_f64_e64 v[3:4], v[20:21], -v[3:4]
	scratch_store_b128 off, v[1:4], off offset:400
	v_cmpx_lt_u32_e32 23, v0
	s_cbranch_execz .LBB38_201
; %bb.200:
	scratch_load_b128 v[1:4], off, s24
	v_mov_b32_e32 v5, 0
	s_delay_alu instid0(VALU_DEP_1)
	v_dual_mov_b32 v6, v5 :: v_dual_mov_b32 v7, v5
	v_mov_b32_e32 v8, v5
	scratch_store_b128 off, v[5:8], off offset:384
	s_wait_loadcnt 0x0
	ds_store_b128 v38, v[1:4]
.LBB38_201:
	s_wait_alu 0xfffe
	s_or_b32 exec_lo, exec_lo, s0
	s_wait_storecnt_dscnt 0x0
	s_barrier_signal -1
	s_barrier_wait -1
	global_inv scope:SCOPE_SE
	s_clause 0x7
	scratch_load_b128 v[2:5], off, off offset:400
	scratch_load_b128 v[6:9], off, off offset:416
	;; [unrolled: 1-line block ×8, first 2 shown]
	v_mov_b32_e32 v1, 0
	s_clause 0x1
	scratch_load_b128 v[120:123], off, off offset:528
	scratch_load_b128 v[128:131], off, off offset:544
	s_mov_b32 s0, exec_lo
	ds_load_b128 v[34:37], v1 offset:1008
	ds_load_b128 v[124:127], v1 offset:1024
	s_wait_loadcnt_dscnt 0x901
	v_mul_f64_e32 v[39:40], v[36:37], v[4:5]
	v_mul_f64_e32 v[4:5], v[34:35], v[4:5]
	s_wait_loadcnt_dscnt 0x800
	v_mul_f64_e32 v[132:133], v[124:125], v[8:9]
	v_mul_f64_e32 v[8:9], v[126:127], v[8:9]
	s_delay_alu instid0(VALU_DEP_4) | instskip(NEXT) | instid1(VALU_DEP_4)
	v_fma_f64 v[39:40], v[34:35], v[2:3], -v[39:40]
	v_fma_f64 v[134:135], v[36:37], v[2:3], v[4:5]
	ds_load_b128 v[2:5], v1 offset:1040
	scratch_load_b128 v[34:37], off, off offset:560
	v_fma_f64 v[132:133], v[126:127], v[6:7], v[132:133]
	v_fma_f64 v[138:139], v[124:125], v[6:7], -v[8:9]
	ds_load_b128 v[6:9], v1 offset:1056
	scratch_load_b128 v[124:127], off, off offset:576
	s_wait_loadcnt_dscnt 0x901
	v_mul_f64_e32 v[136:137], v[2:3], v[12:13]
	v_mul_f64_e32 v[12:13], v[4:5], v[12:13]
	s_wait_loadcnt_dscnt 0x800
	v_mul_f64_e32 v[140:141], v[6:7], v[16:17]
	v_mul_f64_e32 v[16:17], v[8:9], v[16:17]
	v_add_f64_e32 v[39:40], 0, v[39:40]
	v_add_f64_e32 v[134:135], 0, v[134:135]
	v_fma_f64 v[136:137], v[4:5], v[10:11], v[136:137]
	v_fma_f64 v[142:143], v[2:3], v[10:11], -v[12:13]
	ds_load_b128 v[2:5], v1 offset:1072
	scratch_load_b128 v[10:13], off, off offset:592
	v_add_f64_e32 v[39:40], v[39:40], v[138:139]
	v_add_f64_e32 v[132:133], v[134:135], v[132:133]
	v_fma_f64 v[138:139], v[8:9], v[14:15], v[140:141]
	v_fma_f64 v[140:141], v[6:7], v[14:15], -v[16:17]
	ds_load_b128 v[6:9], v1 offset:1088
	scratch_load_b128 v[14:17], off, off offset:608
	s_wait_loadcnt_dscnt 0x901
	v_mul_f64_e32 v[134:135], v[2:3], v[20:21]
	v_mul_f64_e32 v[20:21], v[4:5], v[20:21]
	v_add_f64_e32 v[39:40], v[39:40], v[142:143]
	v_add_f64_e32 v[132:133], v[132:133], v[136:137]
	s_wait_loadcnt_dscnt 0x800
	v_mul_f64_e32 v[136:137], v[6:7], v[24:25]
	v_mul_f64_e32 v[24:25], v[8:9], v[24:25]
	v_fma_f64 v[134:135], v[4:5], v[18:19], v[134:135]
	v_fma_f64 v[142:143], v[2:3], v[18:19], -v[20:21]
	ds_load_b128 v[2:5], v1 offset:1104
	scratch_load_b128 v[18:21], off, off offset:624
	v_add_f64_e32 v[39:40], v[39:40], v[140:141]
	v_add_f64_e32 v[132:133], v[132:133], v[138:139]
	v_fma_f64 v[136:137], v[8:9], v[22:23], v[136:137]
	v_fma_f64 v[22:23], v[6:7], v[22:23], -v[24:25]
	ds_load_b128 v[6:9], v1 offset:1120
	s_wait_loadcnt_dscnt 0x801
	v_mul_f64_e32 v[138:139], v[2:3], v[28:29]
	v_mul_f64_e32 v[28:29], v[4:5], v[28:29]
	v_add_f64_e32 v[24:25], v[39:40], v[142:143]
	v_add_f64_e32 v[39:40], v[132:133], v[134:135]
	s_wait_loadcnt_dscnt 0x700
	v_mul_f64_e32 v[132:133], v[6:7], v[32:33]
	v_mul_f64_e32 v[32:33], v[8:9], v[32:33]
	v_fma_f64 v[134:135], v[4:5], v[26:27], v[138:139]
	v_fma_f64 v[26:27], v[2:3], v[26:27], -v[28:29]
	ds_load_b128 v[2:5], v1 offset:1136
	s_wait_loadcnt_dscnt 0x600
	v_mul_f64_e32 v[28:29], v[2:3], v[122:123]
	v_add_f64_e32 v[22:23], v[24:25], v[22:23]
	v_add_f64_e32 v[24:25], v[39:40], v[136:137]
	v_mul_f64_e32 v[39:40], v[4:5], v[122:123]
	v_fma_f64 v[122:123], v[8:9], v[30:31], v[132:133]
	v_fma_f64 v[30:31], v[6:7], v[30:31], -v[32:33]
	ds_load_b128 v[6:9], v1 offset:1152
	v_fma_f64 v[28:29], v[4:5], v[120:121], v[28:29]
	v_add_f64_e32 v[26:27], v[22:23], v[26:27]
	v_add_f64_e32 v[32:33], v[24:25], v[134:135]
	scratch_load_b128 v[22:25], off, off offset:384
	v_fma_f64 v[39:40], v[2:3], v[120:121], -v[39:40]
	ds_load_b128 v[2:5], v1 offset:1168
	s_wait_loadcnt_dscnt 0x601
	v_mul_f64_e32 v[132:133], v[6:7], v[130:131]
	v_mul_f64_e32 v[130:131], v[8:9], v[130:131]
	v_add_f64_e32 v[26:27], v[26:27], v[30:31]
	v_add_f64_e32 v[30:31], v[32:33], v[122:123]
	s_delay_alu instid0(VALU_DEP_4) | instskip(NEXT) | instid1(VALU_DEP_4)
	v_fma_f64 v[120:121], v[8:9], v[128:129], v[132:133]
	v_fma_f64 v[122:123], v[6:7], v[128:129], -v[130:131]
	ds_load_b128 v[6:9], v1 offset:1184
	s_wait_loadcnt_dscnt 0x501
	v_mul_f64_e32 v[32:33], v[2:3], v[36:37]
	v_mul_f64_e32 v[36:37], v[4:5], v[36:37]
	v_add_f64_e32 v[26:27], v[26:27], v[39:40]
	v_add_f64_e32 v[28:29], v[30:31], v[28:29]
	s_delay_alu instid0(VALU_DEP_4) | instskip(NEXT) | instid1(VALU_DEP_4)
	v_fma_f64 v[32:33], v[4:5], v[34:35], v[32:33]
	v_fma_f64 v[34:35], v[2:3], v[34:35], -v[36:37]
	ds_load_b128 v[2:5], v1 offset:1200
	s_wait_loadcnt_dscnt 0x401
	v_mul_f64_e32 v[30:31], v[6:7], v[126:127]
	v_mul_f64_e32 v[39:40], v[8:9], v[126:127]
	v_add_f64_e32 v[26:27], v[26:27], v[122:123]
	v_add_f64_e32 v[28:29], v[28:29], v[120:121]
	s_wait_loadcnt_dscnt 0x300
	v_mul_f64_e32 v[36:37], v[2:3], v[12:13]
	v_mul_f64_e32 v[12:13], v[4:5], v[12:13]
	v_fma_f64 v[30:31], v[8:9], v[124:125], v[30:31]
	v_fma_f64 v[39:40], v[6:7], v[124:125], -v[39:40]
	ds_load_b128 v[6:9], v1 offset:1216
	v_add_f64_e32 v[26:27], v[26:27], v[34:35]
	v_add_f64_e32 v[28:29], v[28:29], v[32:33]
	v_fma_f64 v[34:35], v[4:5], v[10:11], v[36:37]
	v_fma_f64 v[10:11], v[2:3], v[10:11], -v[12:13]
	ds_load_b128 v[2:5], v1 offset:1232
	s_wait_loadcnt_dscnt 0x201
	v_mul_f64_e32 v[32:33], v[6:7], v[16:17]
	v_mul_f64_e32 v[16:17], v[8:9], v[16:17]
	v_add_f64_e32 v[12:13], v[26:27], v[39:40]
	v_add_f64_e32 v[26:27], v[28:29], v[30:31]
	s_wait_loadcnt_dscnt 0x100
	v_mul_f64_e32 v[28:29], v[2:3], v[20:21]
	v_mul_f64_e32 v[20:21], v[4:5], v[20:21]
	v_fma_f64 v[8:9], v[8:9], v[14:15], v[32:33]
	v_fma_f64 v[6:7], v[6:7], v[14:15], -v[16:17]
	v_add_f64_e32 v[10:11], v[12:13], v[10:11]
	v_add_f64_e32 v[12:13], v[26:27], v[34:35]
	v_fma_f64 v[4:5], v[4:5], v[18:19], v[28:29]
	v_fma_f64 v[2:3], v[2:3], v[18:19], -v[20:21]
	s_delay_alu instid0(VALU_DEP_4) | instskip(NEXT) | instid1(VALU_DEP_4)
	v_add_f64_e32 v[6:7], v[10:11], v[6:7]
	v_add_f64_e32 v[8:9], v[12:13], v[8:9]
	s_delay_alu instid0(VALU_DEP_2) | instskip(NEXT) | instid1(VALU_DEP_2)
	v_add_f64_e32 v[2:3], v[6:7], v[2:3]
	v_add_f64_e32 v[4:5], v[8:9], v[4:5]
	s_wait_loadcnt 0x0
	s_delay_alu instid0(VALU_DEP_2) | instskip(NEXT) | instid1(VALU_DEP_2)
	v_add_f64_e64 v[2:3], v[22:23], -v[2:3]
	v_add_f64_e64 v[4:5], v[24:25], -v[4:5]
	scratch_store_b128 off, v[2:5], off offset:384
	v_cmpx_lt_u32_e32 22, v0
	s_cbranch_execz .LBB38_203
; %bb.202:
	scratch_load_b128 v[5:8], off, s25
	v_dual_mov_b32 v2, v1 :: v_dual_mov_b32 v3, v1
	v_mov_b32_e32 v4, v1
	scratch_store_b128 off, v[1:4], off offset:368
	s_wait_loadcnt 0x0
	ds_store_b128 v38, v[5:8]
.LBB38_203:
	s_wait_alu 0xfffe
	s_or_b32 exec_lo, exec_lo, s0
	s_wait_storecnt_dscnt 0x0
	s_barrier_signal -1
	s_barrier_wait -1
	global_inv scope:SCOPE_SE
	s_clause 0x7
	scratch_load_b128 v[2:5], off, off offset:384
	scratch_load_b128 v[6:9], off, off offset:400
	;; [unrolled: 1-line block ×8, first 2 shown]
	ds_load_b128 v[34:37], v1 offset:992
	ds_load_b128 v[124:127], v1 offset:1008
	s_clause 0x1
	scratch_load_b128 v[120:123], off, off offset:512
	scratch_load_b128 v[128:131], off, off offset:528
	s_mov_b32 s0, exec_lo
	s_wait_loadcnt_dscnt 0x901
	v_mul_f64_e32 v[39:40], v[36:37], v[4:5]
	v_mul_f64_e32 v[4:5], v[34:35], v[4:5]
	s_wait_loadcnt_dscnt 0x800
	v_mul_f64_e32 v[132:133], v[124:125], v[8:9]
	v_mul_f64_e32 v[8:9], v[126:127], v[8:9]
	s_delay_alu instid0(VALU_DEP_4) | instskip(NEXT) | instid1(VALU_DEP_4)
	v_fma_f64 v[39:40], v[34:35], v[2:3], -v[39:40]
	v_fma_f64 v[134:135], v[36:37], v[2:3], v[4:5]
	ds_load_b128 v[2:5], v1 offset:1024
	scratch_load_b128 v[34:37], off, off offset:544
	v_fma_f64 v[132:133], v[126:127], v[6:7], v[132:133]
	v_fma_f64 v[138:139], v[124:125], v[6:7], -v[8:9]
	ds_load_b128 v[6:9], v1 offset:1040
	scratch_load_b128 v[124:127], off, off offset:560
	s_wait_loadcnt_dscnt 0x901
	v_mul_f64_e32 v[136:137], v[2:3], v[12:13]
	v_mul_f64_e32 v[12:13], v[4:5], v[12:13]
	s_wait_loadcnt_dscnt 0x800
	v_mul_f64_e32 v[140:141], v[6:7], v[16:17]
	v_mul_f64_e32 v[16:17], v[8:9], v[16:17]
	v_add_f64_e32 v[39:40], 0, v[39:40]
	v_add_f64_e32 v[134:135], 0, v[134:135]
	v_fma_f64 v[136:137], v[4:5], v[10:11], v[136:137]
	v_fma_f64 v[142:143], v[2:3], v[10:11], -v[12:13]
	ds_load_b128 v[2:5], v1 offset:1056
	scratch_load_b128 v[10:13], off, off offset:576
	v_add_f64_e32 v[39:40], v[39:40], v[138:139]
	v_add_f64_e32 v[132:133], v[134:135], v[132:133]
	v_fma_f64 v[138:139], v[8:9], v[14:15], v[140:141]
	v_fma_f64 v[140:141], v[6:7], v[14:15], -v[16:17]
	ds_load_b128 v[6:9], v1 offset:1072
	scratch_load_b128 v[14:17], off, off offset:592
	s_wait_loadcnt_dscnt 0x901
	v_mul_f64_e32 v[134:135], v[2:3], v[20:21]
	v_mul_f64_e32 v[20:21], v[4:5], v[20:21]
	v_add_f64_e32 v[39:40], v[39:40], v[142:143]
	v_add_f64_e32 v[132:133], v[132:133], v[136:137]
	s_wait_loadcnt_dscnt 0x800
	v_mul_f64_e32 v[136:137], v[6:7], v[24:25]
	v_mul_f64_e32 v[24:25], v[8:9], v[24:25]
	v_fma_f64 v[134:135], v[4:5], v[18:19], v[134:135]
	v_fma_f64 v[142:143], v[2:3], v[18:19], -v[20:21]
	ds_load_b128 v[2:5], v1 offset:1088
	scratch_load_b128 v[18:21], off, off offset:608
	v_add_f64_e32 v[39:40], v[39:40], v[140:141]
	v_add_f64_e32 v[132:133], v[132:133], v[138:139]
	v_fma_f64 v[136:137], v[8:9], v[22:23], v[136:137]
	v_fma_f64 v[140:141], v[6:7], v[22:23], -v[24:25]
	ds_load_b128 v[6:9], v1 offset:1104
	s_wait_loadcnt_dscnt 0x801
	v_mul_f64_e32 v[138:139], v[2:3], v[28:29]
	v_mul_f64_e32 v[28:29], v[4:5], v[28:29]
	scratch_load_b128 v[22:25], off, off offset:624
	v_add_f64_e32 v[39:40], v[39:40], v[142:143]
	v_add_f64_e32 v[132:133], v[132:133], v[134:135]
	s_wait_loadcnt_dscnt 0x800
	v_mul_f64_e32 v[134:135], v[6:7], v[32:33]
	v_mul_f64_e32 v[32:33], v[8:9], v[32:33]
	v_fma_f64 v[138:139], v[4:5], v[26:27], v[138:139]
	v_fma_f64 v[26:27], v[2:3], v[26:27], -v[28:29]
	ds_load_b128 v[2:5], v1 offset:1120
	v_add_f64_e32 v[28:29], v[39:40], v[140:141]
	v_add_f64_e32 v[39:40], v[132:133], v[136:137]
	v_fma_f64 v[134:135], v[8:9], v[30:31], v[134:135]
	v_fma_f64 v[30:31], v[6:7], v[30:31], -v[32:33]
	ds_load_b128 v[6:9], v1 offset:1136
	s_wait_loadcnt_dscnt 0x701
	v_mul_f64_e32 v[132:133], v[2:3], v[122:123]
	v_mul_f64_e32 v[122:123], v[4:5], v[122:123]
	s_wait_loadcnt_dscnt 0x600
	v_mul_f64_e32 v[32:33], v[6:7], v[130:131]
	v_add_f64_e32 v[26:27], v[28:29], v[26:27]
	v_add_f64_e32 v[28:29], v[39:40], v[138:139]
	v_mul_f64_e32 v[39:40], v[8:9], v[130:131]
	v_fma_f64 v[130:131], v[4:5], v[120:121], v[132:133]
	v_fma_f64 v[120:121], v[2:3], v[120:121], -v[122:123]
	ds_load_b128 v[2:5], v1 offset:1152
	v_fma_f64 v[32:33], v[8:9], v[128:129], v[32:33]
	v_add_f64_e32 v[30:31], v[26:27], v[30:31]
	v_add_f64_e32 v[122:123], v[28:29], v[134:135]
	scratch_load_b128 v[26:29], off, off offset:368
	v_fma_f64 v[39:40], v[6:7], v[128:129], -v[39:40]
	ds_load_b128 v[6:9], v1 offset:1168
	s_wait_loadcnt_dscnt 0x601
	v_mul_f64_e32 v[132:133], v[2:3], v[36:37]
	v_mul_f64_e32 v[36:37], v[4:5], v[36:37]
	v_add_f64_e32 v[30:31], v[30:31], v[120:121]
	v_add_f64_e32 v[120:121], v[122:123], v[130:131]
	s_wait_loadcnt_dscnt 0x500
	v_mul_f64_e32 v[122:123], v[6:7], v[126:127]
	v_mul_f64_e32 v[126:127], v[8:9], v[126:127]
	v_fma_f64 v[128:129], v[4:5], v[34:35], v[132:133]
	v_fma_f64 v[34:35], v[2:3], v[34:35], -v[36:37]
	ds_load_b128 v[2:5], v1 offset:1184
	v_add_f64_e32 v[30:31], v[30:31], v[39:40]
	v_add_f64_e32 v[32:33], v[120:121], v[32:33]
	v_fma_f64 v[39:40], v[8:9], v[124:125], v[122:123]
	v_fma_f64 v[120:121], v[6:7], v[124:125], -v[126:127]
	ds_load_b128 v[6:9], v1 offset:1200
	s_wait_loadcnt_dscnt 0x401
	v_mul_f64_e32 v[36:37], v[2:3], v[12:13]
	v_mul_f64_e32 v[12:13], v[4:5], v[12:13]
	v_add_f64_e32 v[30:31], v[30:31], v[34:35]
	v_add_f64_e32 v[32:33], v[32:33], v[128:129]
	s_wait_loadcnt_dscnt 0x300
	v_mul_f64_e32 v[34:35], v[6:7], v[16:17]
	v_mul_f64_e32 v[16:17], v[8:9], v[16:17]
	v_fma_f64 v[36:37], v[4:5], v[10:11], v[36:37]
	v_fma_f64 v[10:11], v[2:3], v[10:11], -v[12:13]
	ds_load_b128 v[2:5], v1 offset:1216
	v_add_f64_e32 v[12:13], v[30:31], v[120:121]
	v_add_f64_e32 v[30:31], v[32:33], v[39:40]
	v_fma_f64 v[34:35], v[8:9], v[14:15], v[34:35]
	v_fma_f64 v[14:15], v[6:7], v[14:15], -v[16:17]
	ds_load_b128 v[6:9], v1 offset:1232
	s_wait_loadcnt_dscnt 0x201
	v_mul_f64_e32 v[32:33], v[2:3], v[20:21]
	v_mul_f64_e32 v[20:21], v[4:5], v[20:21]
	s_wait_loadcnt_dscnt 0x100
	v_mul_f64_e32 v[16:17], v[6:7], v[24:25]
	v_mul_f64_e32 v[24:25], v[8:9], v[24:25]
	v_add_f64_e32 v[10:11], v[12:13], v[10:11]
	v_add_f64_e32 v[12:13], v[30:31], v[36:37]
	v_fma_f64 v[4:5], v[4:5], v[18:19], v[32:33]
	v_fma_f64 v[1:2], v[2:3], v[18:19], -v[20:21]
	v_fma_f64 v[8:9], v[8:9], v[22:23], v[16:17]
	v_fma_f64 v[6:7], v[6:7], v[22:23], -v[24:25]
	v_add_f64_e32 v[10:11], v[10:11], v[14:15]
	v_add_f64_e32 v[12:13], v[12:13], v[34:35]
	s_delay_alu instid0(VALU_DEP_2) | instskip(NEXT) | instid1(VALU_DEP_2)
	v_add_f64_e32 v[1:2], v[10:11], v[1:2]
	v_add_f64_e32 v[3:4], v[12:13], v[4:5]
	s_delay_alu instid0(VALU_DEP_2) | instskip(NEXT) | instid1(VALU_DEP_2)
	v_add_f64_e32 v[1:2], v[1:2], v[6:7]
	v_add_f64_e32 v[3:4], v[3:4], v[8:9]
	s_wait_loadcnt 0x0
	s_delay_alu instid0(VALU_DEP_2) | instskip(NEXT) | instid1(VALU_DEP_2)
	v_add_f64_e64 v[1:2], v[26:27], -v[1:2]
	v_add_f64_e64 v[3:4], v[28:29], -v[3:4]
	scratch_store_b128 off, v[1:4], off offset:368
	v_cmpx_lt_u32_e32 21, v0
	s_cbranch_execz .LBB38_205
; %bb.204:
	scratch_load_b128 v[1:4], off, s26
	v_mov_b32_e32 v5, 0
	s_delay_alu instid0(VALU_DEP_1)
	v_dual_mov_b32 v6, v5 :: v_dual_mov_b32 v7, v5
	v_mov_b32_e32 v8, v5
	scratch_store_b128 off, v[5:8], off offset:352
	s_wait_loadcnt 0x0
	ds_store_b128 v38, v[1:4]
.LBB38_205:
	s_wait_alu 0xfffe
	s_or_b32 exec_lo, exec_lo, s0
	s_wait_storecnt_dscnt 0x0
	s_barrier_signal -1
	s_barrier_wait -1
	global_inv scope:SCOPE_SE
	s_clause 0x7
	scratch_load_b128 v[2:5], off, off offset:368
	scratch_load_b128 v[6:9], off, off offset:384
	;; [unrolled: 1-line block ×8, first 2 shown]
	v_mov_b32_e32 v1, 0
	s_clause 0x1
	scratch_load_b128 v[120:123], off, off offset:496
	scratch_load_b128 v[128:131], off, off offset:512
	s_mov_b32 s0, exec_lo
	ds_load_b128 v[34:37], v1 offset:976
	ds_load_b128 v[124:127], v1 offset:992
	s_wait_loadcnt_dscnt 0x901
	v_mul_f64_e32 v[39:40], v[36:37], v[4:5]
	v_mul_f64_e32 v[4:5], v[34:35], v[4:5]
	s_wait_loadcnt_dscnt 0x800
	v_mul_f64_e32 v[132:133], v[124:125], v[8:9]
	v_mul_f64_e32 v[8:9], v[126:127], v[8:9]
	s_delay_alu instid0(VALU_DEP_4) | instskip(NEXT) | instid1(VALU_DEP_4)
	v_fma_f64 v[39:40], v[34:35], v[2:3], -v[39:40]
	v_fma_f64 v[134:135], v[36:37], v[2:3], v[4:5]
	ds_load_b128 v[2:5], v1 offset:1008
	scratch_load_b128 v[34:37], off, off offset:528
	v_fma_f64 v[132:133], v[126:127], v[6:7], v[132:133]
	v_fma_f64 v[138:139], v[124:125], v[6:7], -v[8:9]
	ds_load_b128 v[6:9], v1 offset:1024
	scratch_load_b128 v[124:127], off, off offset:544
	s_wait_loadcnt_dscnt 0x901
	v_mul_f64_e32 v[136:137], v[2:3], v[12:13]
	v_mul_f64_e32 v[12:13], v[4:5], v[12:13]
	s_wait_loadcnt_dscnt 0x800
	v_mul_f64_e32 v[140:141], v[6:7], v[16:17]
	v_mul_f64_e32 v[16:17], v[8:9], v[16:17]
	v_add_f64_e32 v[39:40], 0, v[39:40]
	v_add_f64_e32 v[134:135], 0, v[134:135]
	v_fma_f64 v[136:137], v[4:5], v[10:11], v[136:137]
	v_fma_f64 v[142:143], v[2:3], v[10:11], -v[12:13]
	ds_load_b128 v[2:5], v1 offset:1040
	scratch_load_b128 v[10:13], off, off offset:560
	v_add_f64_e32 v[39:40], v[39:40], v[138:139]
	v_add_f64_e32 v[132:133], v[134:135], v[132:133]
	v_fma_f64 v[138:139], v[8:9], v[14:15], v[140:141]
	v_fma_f64 v[140:141], v[6:7], v[14:15], -v[16:17]
	ds_load_b128 v[6:9], v1 offset:1056
	scratch_load_b128 v[14:17], off, off offset:576
	s_wait_loadcnt_dscnt 0x901
	v_mul_f64_e32 v[134:135], v[2:3], v[20:21]
	v_mul_f64_e32 v[20:21], v[4:5], v[20:21]
	v_add_f64_e32 v[39:40], v[39:40], v[142:143]
	v_add_f64_e32 v[132:133], v[132:133], v[136:137]
	s_wait_loadcnt_dscnt 0x800
	v_mul_f64_e32 v[136:137], v[6:7], v[24:25]
	v_mul_f64_e32 v[24:25], v[8:9], v[24:25]
	v_fma_f64 v[134:135], v[4:5], v[18:19], v[134:135]
	v_fma_f64 v[142:143], v[2:3], v[18:19], -v[20:21]
	ds_load_b128 v[2:5], v1 offset:1072
	scratch_load_b128 v[18:21], off, off offset:592
	v_add_f64_e32 v[39:40], v[39:40], v[140:141]
	v_add_f64_e32 v[132:133], v[132:133], v[138:139]
	v_fma_f64 v[136:137], v[8:9], v[22:23], v[136:137]
	v_fma_f64 v[140:141], v[6:7], v[22:23], -v[24:25]
	ds_load_b128 v[6:9], v1 offset:1088
	s_wait_loadcnt_dscnt 0x801
	v_mul_f64_e32 v[138:139], v[2:3], v[28:29]
	v_mul_f64_e32 v[28:29], v[4:5], v[28:29]
	scratch_load_b128 v[22:25], off, off offset:608
	v_add_f64_e32 v[39:40], v[39:40], v[142:143]
	v_add_f64_e32 v[132:133], v[132:133], v[134:135]
	s_wait_loadcnt_dscnt 0x800
	v_mul_f64_e32 v[134:135], v[6:7], v[32:33]
	v_mul_f64_e32 v[32:33], v[8:9], v[32:33]
	v_fma_f64 v[138:139], v[4:5], v[26:27], v[138:139]
	v_fma_f64 v[142:143], v[2:3], v[26:27], -v[28:29]
	ds_load_b128 v[2:5], v1 offset:1104
	scratch_load_b128 v[26:29], off, off offset:624
	v_add_f64_e32 v[39:40], v[39:40], v[140:141]
	v_add_f64_e32 v[132:133], v[132:133], v[136:137]
	v_fma_f64 v[134:135], v[8:9], v[30:31], v[134:135]
	v_fma_f64 v[30:31], v[6:7], v[30:31], -v[32:33]
	ds_load_b128 v[6:9], v1 offset:1120
	s_wait_loadcnt_dscnt 0x801
	v_mul_f64_e32 v[136:137], v[2:3], v[122:123]
	v_mul_f64_e32 v[122:123], v[4:5], v[122:123]
	v_add_f64_e32 v[32:33], v[39:40], v[142:143]
	v_add_f64_e32 v[39:40], v[132:133], v[138:139]
	s_wait_loadcnt_dscnt 0x700
	v_mul_f64_e32 v[132:133], v[6:7], v[130:131]
	v_mul_f64_e32 v[130:131], v[8:9], v[130:131]
	v_fma_f64 v[136:137], v[4:5], v[120:121], v[136:137]
	v_fma_f64 v[120:121], v[2:3], v[120:121], -v[122:123]
	ds_load_b128 v[2:5], v1 offset:1136
	v_add_f64_e32 v[30:31], v[32:33], v[30:31]
	v_add_f64_e32 v[32:33], v[39:40], v[134:135]
	v_fma_f64 v[122:123], v[8:9], v[128:129], v[132:133]
	v_fma_f64 v[128:129], v[6:7], v[128:129], -v[130:131]
	ds_load_b128 v[6:9], v1 offset:1152
	s_wait_loadcnt_dscnt 0x500
	v_mul_f64_e32 v[132:133], v[6:7], v[126:127]
	v_mul_f64_e32 v[126:127], v[8:9], v[126:127]
	v_add_f64_e32 v[120:121], v[30:31], v[120:121]
	v_add_f64_e32 v[130:131], v[32:33], v[136:137]
	scratch_load_b128 v[30:33], off, off offset:352
	v_mul_f64_e32 v[39:40], v[2:3], v[36:37]
	v_mul_f64_e32 v[36:37], v[4:5], v[36:37]
	s_delay_alu instid0(VALU_DEP_2) | instskip(NEXT) | instid1(VALU_DEP_2)
	v_fma_f64 v[39:40], v[4:5], v[34:35], v[39:40]
	v_fma_f64 v[34:35], v[2:3], v[34:35], -v[36:37]
	v_add_f64_e32 v[36:37], v[120:121], v[128:129]
	v_add_f64_e32 v[120:121], v[130:131], v[122:123]
	ds_load_b128 v[2:5], v1 offset:1168
	v_fma_f64 v[128:129], v[8:9], v[124:125], v[132:133]
	v_fma_f64 v[124:125], v[6:7], v[124:125], -v[126:127]
	ds_load_b128 v[6:9], v1 offset:1184
	s_wait_loadcnt_dscnt 0x501
	v_mul_f64_e32 v[122:123], v[2:3], v[12:13]
	v_mul_f64_e32 v[12:13], v[4:5], v[12:13]
	v_add_f64_e32 v[34:35], v[36:37], v[34:35]
	v_add_f64_e32 v[36:37], v[120:121], v[39:40]
	s_wait_loadcnt_dscnt 0x400
	v_mul_f64_e32 v[39:40], v[6:7], v[16:17]
	v_mul_f64_e32 v[16:17], v[8:9], v[16:17]
	v_fma_f64 v[120:121], v[4:5], v[10:11], v[122:123]
	v_fma_f64 v[10:11], v[2:3], v[10:11], -v[12:13]
	ds_load_b128 v[2:5], v1 offset:1200
	v_add_f64_e32 v[12:13], v[34:35], v[124:125]
	v_add_f64_e32 v[34:35], v[36:37], v[128:129]
	v_fma_f64 v[39:40], v[8:9], v[14:15], v[39:40]
	v_fma_f64 v[14:15], v[6:7], v[14:15], -v[16:17]
	ds_load_b128 v[6:9], v1 offset:1216
	s_wait_loadcnt_dscnt 0x301
	v_mul_f64_e32 v[36:37], v[2:3], v[20:21]
	v_mul_f64_e32 v[20:21], v[4:5], v[20:21]
	s_wait_loadcnt_dscnt 0x200
	v_mul_f64_e32 v[16:17], v[6:7], v[24:25]
	v_mul_f64_e32 v[24:25], v[8:9], v[24:25]
	v_add_f64_e32 v[10:11], v[12:13], v[10:11]
	v_add_f64_e32 v[12:13], v[34:35], v[120:121]
	v_fma_f64 v[34:35], v[4:5], v[18:19], v[36:37]
	v_fma_f64 v[18:19], v[2:3], v[18:19], -v[20:21]
	ds_load_b128 v[2:5], v1 offset:1232
	v_fma_f64 v[8:9], v[8:9], v[22:23], v[16:17]
	v_fma_f64 v[6:7], v[6:7], v[22:23], -v[24:25]
	s_wait_loadcnt_dscnt 0x100
	v_mul_f64_e32 v[20:21], v[4:5], v[28:29]
	v_add_f64_e32 v[10:11], v[10:11], v[14:15]
	v_add_f64_e32 v[12:13], v[12:13], v[39:40]
	v_mul_f64_e32 v[14:15], v[2:3], v[28:29]
	s_delay_alu instid0(VALU_DEP_4) | instskip(NEXT) | instid1(VALU_DEP_4)
	v_fma_f64 v[2:3], v[2:3], v[26:27], -v[20:21]
	v_add_f64_e32 v[10:11], v[10:11], v[18:19]
	s_delay_alu instid0(VALU_DEP_4) | instskip(NEXT) | instid1(VALU_DEP_4)
	v_add_f64_e32 v[12:13], v[12:13], v[34:35]
	v_fma_f64 v[4:5], v[4:5], v[26:27], v[14:15]
	s_delay_alu instid0(VALU_DEP_3) | instskip(NEXT) | instid1(VALU_DEP_3)
	v_add_f64_e32 v[6:7], v[10:11], v[6:7]
	v_add_f64_e32 v[8:9], v[12:13], v[8:9]
	s_delay_alu instid0(VALU_DEP_2) | instskip(NEXT) | instid1(VALU_DEP_2)
	v_add_f64_e32 v[2:3], v[6:7], v[2:3]
	v_add_f64_e32 v[4:5], v[8:9], v[4:5]
	s_wait_loadcnt 0x0
	s_delay_alu instid0(VALU_DEP_2) | instskip(NEXT) | instid1(VALU_DEP_2)
	v_add_f64_e64 v[2:3], v[30:31], -v[2:3]
	v_add_f64_e64 v[4:5], v[32:33], -v[4:5]
	scratch_store_b128 off, v[2:5], off offset:352
	v_cmpx_lt_u32_e32 20, v0
	s_cbranch_execz .LBB38_207
; %bb.206:
	scratch_load_b128 v[5:8], off, s28
	v_dual_mov_b32 v2, v1 :: v_dual_mov_b32 v3, v1
	v_mov_b32_e32 v4, v1
	scratch_store_b128 off, v[1:4], off offset:336
	s_wait_loadcnt 0x0
	ds_store_b128 v38, v[5:8]
.LBB38_207:
	s_wait_alu 0xfffe
	s_or_b32 exec_lo, exec_lo, s0
	s_wait_storecnt_dscnt 0x0
	s_barrier_signal -1
	s_barrier_wait -1
	global_inv scope:SCOPE_SE
	s_clause 0x7
	scratch_load_b128 v[2:5], off, off offset:352
	scratch_load_b128 v[6:9], off, off offset:368
	;; [unrolled: 1-line block ×8, first 2 shown]
	ds_load_b128 v[34:37], v1 offset:960
	ds_load_b128 v[124:127], v1 offset:976
	s_clause 0x1
	scratch_load_b128 v[120:123], off, off offset:480
	scratch_load_b128 v[128:131], off, off offset:496
	s_mov_b32 s0, exec_lo
	s_wait_loadcnt_dscnt 0x901
	v_mul_f64_e32 v[39:40], v[36:37], v[4:5]
	v_mul_f64_e32 v[4:5], v[34:35], v[4:5]
	s_wait_loadcnt_dscnt 0x800
	v_mul_f64_e32 v[132:133], v[124:125], v[8:9]
	v_mul_f64_e32 v[8:9], v[126:127], v[8:9]
	s_delay_alu instid0(VALU_DEP_4) | instskip(NEXT) | instid1(VALU_DEP_4)
	v_fma_f64 v[39:40], v[34:35], v[2:3], -v[39:40]
	v_fma_f64 v[134:135], v[36:37], v[2:3], v[4:5]
	ds_load_b128 v[2:5], v1 offset:992
	scratch_load_b128 v[34:37], off, off offset:512
	v_fma_f64 v[132:133], v[126:127], v[6:7], v[132:133]
	v_fma_f64 v[138:139], v[124:125], v[6:7], -v[8:9]
	ds_load_b128 v[6:9], v1 offset:1008
	scratch_load_b128 v[124:127], off, off offset:528
	s_wait_loadcnt_dscnt 0x901
	v_mul_f64_e32 v[136:137], v[2:3], v[12:13]
	v_mul_f64_e32 v[12:13], v[4:5], v[12:13]
	s_wait_loadcnt_dscnt 0x800
	v_mul_f64_e32 v[140:141], v[6:7], v[16:17]
	v_mul_f64_e32 v[16:17], v[8:9], v[16:17]
	v_add_f64_e32 v[39:40], 0, v[39:40]
	v_add_f64_e32 v[134:135], 0, v[134:135]
	v_fma_f64 v[136:137], v[4:5], v[10:11], v[136:137]
	v_fma_f64 v[142:143], v[2:3], v[10:11], -v[12:13]
	ds_load_b128 v[2:5], v1 offset:1024
	scratch_load_b128 v[10:13], off, off offset:544
	v_add_f64_e32 v[39:40], v[39:40], v[138:139]
	v_add_f64_e32 v[132:133], v[134:135], v[132:133]
	v_fma_f64 v[138:139], v[8:9], v[14:15], v[140:141]
	v_fma_f64 v[140:141], v[6:7], v[14:15], -v[16:17]
	ds_load_b128 v[6:9], v1 offset:1040
	scratch_load_b128 v[14:17], off, off offset:560
	s_wait_loadcnt_dscnt 0x901
	v_mul_f64_e32 v[134:135], v[2:3], v[20:21]
	v_mul_f64_e32 v[20:21], v[4:5], v[20:21]
	v_add_f64_e32 v[39:40], v[39:40], v[142:143]
	v_add_f64_e32 v[132:133], v[132:133], v[136:137]
	s_wait_loadcnt_dscnt 0x800
	v_mul_f64_e32 v[136:137], v[6:7], v[24:25]
	v_mul_f64_e32 v[24:25], v[8:9], v[24:25]
	v_fma_f64 v[134:135], v[4:5], v[18:19], v[134:135]
	v_fma_f64 v[142:143], v[2:3], v[18:19], -v[20:21]
	ds_load_b128 v[2:5], v1 offset:1056
	scratch_load_b128 v[18:21], off, off offset:576
	v_add_f64_e32 v[39:40], v[39:40], v[140:141]
	v_add_f64_e32 v[132:133], v[132:133], v[138:139]
	v_fma_f64 v[136:137], v[8:9], v[22:23], v[136:137]
	v_fma_f64 v[140:141], v[6:7], v[22:23], -v[24:25]
	ds_load_b128 v[6:9], v1 offset:1072
	s_wait_loadcnt_dscnt 0x801
	v_mul_f64_e32 v[138:139], v[2:3], v[28:29]
	v_mul_f64_e32 v[28:29], v[4:5], v[28:29]
	scratch_load_b128 v[22:25], off, off offset:592
	v_add_f64_e32 v[39:40], v[39:40], v[142:143]
	v_add_f64_e32 v[132:133], v[132:133], v[134:135]
	s_wait_loadcnt_dscnt 0x800
	v_mul_f64_e32 v[134:135], v[6:7], v[32:33]
	v_mul_f64_e32 v[32:33], v[8:9], v[32:33]
	v_fma_f64 v[138:139], v[4:5], v[26:27], v[138:139]
	v_fma_f64 v[142:143], v[2:3], v[26:27], -v[28:29]
	ds_load_b128 v[2:5], v1 offset:1088
	scratch_load_b128 v[26:29], off, off offset:608
	v_add_f64_e32 v[39:40], v[39:40], v[140:141]
	v_add_f64_e32 v[132:133], v[132:133], v[136:137]
	v_fma_f64 v[134:135], v[8:9], v[30:31], v[134:135]
	v_fma_f64 v[140:141], v[6:7], v[30:31], -v[32:33]
	ds_load_b128 v[6:9], v1 offset:1104
	s_wait_loadcnt_dscnt 0x801
	v_mul_f64_e32 v[136:137], v[2:3], v[122:123]
	v_mul_f64_e32 v[122:123], v[4:5], v[122:123]
	scratch_load_b128 v[30:33], off, off offset:624
	v_add_f64_e32 v[39:40], v[39:40], v[142:143]
	v_add_f64_e32 v[132:133], v[132:133], v[138:139]
	s_wait_loadcnt_dscnt 0x800
	v_mul_f64_e32 v[138:139], v[6:7], v[130:131]
	v_mul_f64_e32 v[130:131], v[8:9], v[130:131]
	v_fma_f64 v[136:137], v[4:5], v[120:121], v[136:137]
	v_fma_f64 v[120:121], v[2:3], v[120:121], -v[122:123]
	ds_load_b128 v[2:5], v1 offset:1120
	v_add_f64_e32 v[39:40], v[39:40], v[140:141]
	v_add_f64_e32 v[122:123], v[132:133], v[134:135]
	v_fma_f64 v[134:135], v[8:9], v[128:129], v[138:139]
	v_fma_f64 v[128:129], v[6:7], v[128:129], -v[130:131]
	ds_load_b128 v[6:9], v1 offset:1136
	s_wait_loadcnt_dscnt 0x701
	v_mul_f64_e32 v[132:133], v[2:3], v[36:37]
	v_mul_f64_e32 v[36:37], v[4:5], v[36:37]
	v_add_f64_e32 v[39:40], v[39:40], v[120:121]
	v_add_f64_e32 v[120:121], v[122:123], v[136:137]
	s_delay_alu instid0(VALU_DEP_4) | instskip(NEXT) | instid1(VALU_DEP_4)
	v_fma_f64 v[130:131], v[4:5], v[34:35], v[132:133]
	v_fma_f64 v[132:133], v[2:3], v[34:35], -v[36:37]
	scratch_load_b128 v[34:37], off, off offset:336
	s_wait_loadcnt_dscnt 0x700
	v_mul_f64_e32 v[122:123], v[6:7], v[126:127]
	v_mul_f64_e32 v[126:127], v[8:9], v[126:127]
	ds_load_b128 v[2:5], v1 offset:1152
	v_add_f64_e32 v[39:40], v[39:40], v[128:129]
	v_add_f64_e32 v[120:121], v[120:121], v[134:135]
	v_fma_f64 v[122:123], v[8:9], v[124:125], v[122:123]
	v_fma_f64 v[124:125], v[6:7], v[124:125], -v[126:127]
	ds_load_b128 v[6:9], v1 offset:1168
	s_wait_loadcnt_dscnt 0x601
	v_mul_f64_e32 v[128:129], v[2:3], v[12:13]
	v_mul_f64_e32 v[12:13], v[4:5], v[12:13]
	v_add_f64_e32 v[39:40], v[39:40], v[132:133]
	v_add_f64_e32 v[120:121], v[120:121], v[130:131]
	s_wait_loadcnt_dscnt 0x500
	v_mul_f64_e32 v[126:127], v[6:7], v[16:17]
	v_mul_f64_e32 v[16:17], v[8:9], v[16:17]
	v_fma_f64 v[128:129], v[4:5], v[10:11], v[128:129]
	v_fma_f64 v[10:11], v[2:3], v[10:11], -v[12:13]
	ds_load_b128 v[2:5], v1 offset:1184
	v_add_f64_e32 v[12:13], v[39:40], v[124:125]
	v_add_f64_e32 v[39:40], v[120:121], v[122:123]
	v_fma_f64 v[122:123], v[8:9], v[14:15], v[126:127]
	v_fma_f64 v[14:15], v[6:7], v[14:15], -v[16:17]
	ds_load_b128 v[6:9], v1 offset:1200
	s_wait_loadcnt_dscnt 0x401
	v_mul_f64_e32 v[120:121], v[2:3], v[20:21]
	v_mul_f64_e32 v[20:21], v[4:5], v[20:21]
	s_wait_loadcnt_dscnt 0x300
	v_mul_f64_e32 v[16:17], v[6:7], v[24:25]
	v_mul_f64_e32 v[24:25], v[8:9], v[24:25]
	v_add_f64_e32 v[10:11], v[12:13], v[10:11]
	v_add_f64_e32 v[12:13], v[39:40], v[128:129]
	v_fma_f64 v[39:40], v[4:5], v[18:19], v[120:121]
	v_fma_f64 v[18:19], v[2:3], v[18:19], -v[20:21]
	ds_load_b128 v[2:5], v1 offset:1216
	v_fma_f64 v[16:17], v[8:9], v[22:23], v[16:17]
	v_fma_f64 v[22:23], v[6:7], v[22:23], -v[24:25]
	ds_load_b128 v[6:9], v1 offset:1232
	s_wait_loadcnt_dscnt 0x201
	v_mul_f64_e32 v[20:21], v[4:5], v[28:29]
	v_add_f64_e32 v[10:11], v[10:11], v[14:15]
	v_add_f64_e32 v[12:13], v[12:13], v[122:123]
	v_mul_f64_e32 v[14:15], v[2:3], v[28:29]
	s_wait_loadcnt_dscnt 0x100
	v_mul_f64_e32 v[24:25], v[8:9], v[32:33]
	v_fma_f64 v[1:2], v[2:3], v[26:27], -v[20:21]
	v_add_f64_e32 v[10:11], v[10:11], v[18:19]
	v_add_f64_e32 v[12:13], v[12:13], v[39:40]
	v_mul_f64_e32 v[18:19], v[6:7], v[32:33]
	v_fma_f64 v[4:5], v[4:5], v[26:27], v[14:15]
	v_fma_f64 v[6:7], v[6:7], v[30:31], -v[24:25]
	v_add_f64_e32 v[10:11], v[10:11], v[22:23]
	v_add_f64_e32 v[12:13], v[12:13], v[16:17]
	v_fma_f64 v[8:9], v[8:9], v[30:31], v[18:19]
	s_delay_alu instid0(VALU_DEP_3) | instskip(NEXT) | instid1(VALU_DEP_3)
	v_add_f64_e32 v[1:2], v[10:11], v[1:2]
	v_add_f64_e32 v[3:4], v[12:13], v[4:5]
	s_delay_alu instid0(VALU_DEP_2) | instskip(NEXT) | instid1(VALU_DEP_2)
	v_add_f64_e32 v[1:2], v[1:2], v[6:7]
	v_add_f64_e32 v[3:4], v[3:4], v[8:9]
	s_wait_loadcnt 0x0
	s_delay_alu instid0(VALU_DEP_2) | instskip(NEXT) | instid1(VALU_DEP_2)
	v_add_f64_e64 v[1:2], v[34:35], -v[1:2]
	v_add_f64_e64 v[3:4], v[36:37], -v[3:4]
	scratch_store_b128 off, v[1:4], off offset:336
	v_cmpx_lt_u32_e32 19, v0
	s_cbranch_execz .LBB38_209
; %bb.208:
	scratch_load_b128 v[1:4], off, s27
	v_mov_b32_e32 v5, 0
	s_delay_alu instid0(VALU_DEP_1)
	v_dual_mov_b32 v6, v5 :: v_dual_mov_b32 v7, v5
	v_mov_b32_e32 v8, v5
	scratch_store_b128 off, v[5:8], off offset:320
	s_wait_loadcnt 0x0
	ds_store_b128 v38, v[1:4]
.LBB38_209:
	s_wait_alu 0xfffe
	s_or_b32 exec_lo, exec_lo, s0
	s_wait_storecnt_dscnt 0x0
	s_barrier_signal -1
	s_barrier_wait -1
	global_inv scope:SCOPE_SE
	s_clause 0x7
	scratch_load_b128 v[2:5], off, off offset:336
	scratch_load_b128 v[6:9], off, off offset:352
	;; [unrolled: 1-line block ×8, first 2 shown]
	v_mov_b32_e32 v1, 0
	s_clause 0x1
	scratch_load_b128 v[120:123], off, off offset:464
	scratch_load_b128 v[128:131], off, off offset:480
	s_mov_b32 s0, exec_lo
	ds_load_b128 v[34:37], v1 offset:944
	ds_load_b128 v[124:127], v1 offset:960
	s_wait_loadcnt_dscnt 0x901
	v_mul_f64_e32 v[39:40], v[36:37], v[4:5]
	v_mul_f64_e32 v[4:5], v[34:35], v[4:5]
	s_wait_loadcnt_dscnt 0x800
	v_mul_f64_e32 v[132:133], v[124:125], v[8:9]
	v_mul_f64_e32 v[8:9], v[126:127], v[8:9]
	s_delay_alu instid0(VALU_DEP_4) | instskip(NEXT) | instid1(VALU_DEP_4)
	v_fma_f64 v[39:40], v[34:35], v[2:3], -v[39:40]
	v_fma_f64 v[134:135], v[36:37], v[2:3], v[4:5]
	ds_load_b128 v[2:5], v1 offset:976
	scratch_load_b128 v[34:37], off, off offset:496
	v_fma_f64 v[132:133], v[126:127], v[6:7], v[132:133]
	v_fma_f64 v[138:139], v[124:125], v[6:7], -v[8:9]
	ds_load_b128 v[6:9], v1 offset:992
	scratch_load_b128 v[124:127], off, off offset:512
	s_wait_loadcnt_dscnt 0x901
	v_mul_f64_e32 v[136:137], v[2:3], v[12:13]
	v_mul_f64_e32 v[12:13], v[4:5], v[12:13]
	s_wait_loadcnt_dscnt 0x800
	v_mul_f64_e32 v[140:141], v[6:7], v[16:17]
	v_mul_f64_e32 v[16:17], v[8:9], v[16:17]
	v_add_f64_e32 v[39:40], 0, v[39:40]
	v_add_f64_e32 v[134:135], 0, v[134:135]
	v_fma_f64 v[136:137], v[4:5], v[10:11], v[136:137]
	v_fma_f64 v[142:143], v[2:3], v[10:11], -v[12:13]
	ds_load_b128 v[2:5], v1 offset:1008
	scratch_load_b128 v[10:13], off, off offset:528
	v_add_f64_e32 v[39:40], v[39:40], v[138:139]
	v_add_f64_e32 v[132:133], v[134:135], v[132:133]
	v_fma_f64 v[138:139], v[8:9], v[14:15], v[140:141]
	v_fma_f64 v[140:141], v[6:7], v[14:15], -v[16:17]
	ds_load_b128 v[6:9], v1 offset:1024
	scratch_load_b128 v[14:17], off, off offset:544
	s_wait_loadcnt_dscnt 0x901
	v_mul_f64_e32 v[134:135], v[2:3], v[20:21]
	v_mul_f64_e32 v[20:21], v[4:5], v[20:21]
	v_add_f64_e32 v[39:40], v[39:40], v[142:143]
	v_add_f64_e32 v[132:133], v[132:133], v[136:137]
	s_wait_loadcnt_dscnt 0x800
	v_mul_f64_e32 v[136:137], v[6:7], v[24:25]
	v_mul_f64_e32 v[24:25], v[8:9], v[24:25]
	v_fma_f64 v[134:135], v[4:5], v[18:19], v[134:135]
	v_fma_f64 v[142:143], v[2:3], v[18:19], -v[20:21]
	ds_load_b128 v[2:5], v1 offset:1040
	scratch_load_b128 v[18:21], off, off offset:560
	v_add_f64_e32 v[39:40], v[39:40], v[140:141]
	v_add_f64_e32 v[132:133], v[132:133], v[138:139]
	v_fma_f64 v[136:137], v[8:9], v[22:23], v[136:137]
	v_fma_f64 v[140:141], v[6:7], v[22:23], -v[24:25]
	ds_load_b128 v[6:9], v1 offset:1056
	s_wait_loadcnt_dscnt 0x801
	v_mul_f64_e32 v[138:139], v[2:3], v[28:29]
	v_mul_f64_e32 v[28:29], v[4:5], v[28:29]
	scratch_load_b128 v[22:25], off, off offset:576
	v_add_f64_e32 v[39:40], v[39:40], v[142:143]
	v_add_f64_e32 v[132:133], v[132:133], v[134:135]
	s_wait_loadcnt_dscnt 0x800
	v_mul_f64_e32 v[134:135], v[6:7], v[32:33]
	v_mul_f64_e32 v[32:33], v[8:9], v[32:33]
	v_fma_f64 v[138:139], v[4:5], v[26:27], v[138:139]
	v_fma_f64 v[142:143], v[2:3], v[26:27], -v[28:29]
	ds_load_b128 v[2:5], v1 offset:1072
	scratch_load_b128 v[26:29], off, off offset:592
	v_add_f64_e32 v[39:40], v[39:40], v[140:141]
	v_add_f64_e32 v[132:133], v[132:133], v[136:137]
	v_fma_f64 v[134:135], v[8:9], v[30:31], v[134:135]
	v_fma_f64 v[140:141], v[6:7], v[30:31], -v[32:33]
	ds_load_b128 v[6:9], v1 offset:1088
	s_wait_loadcnt_dscnt 0x801
	v_mul_f64_e32 v[136:137], v[2:3], v[122:123]
	v_mul_f64_e32 v[122:123], v[4:5], v[122:123]
	scratch_load_b128 v[30:33], off, off offset:608
	v_add_f64_e32 v[39:40], v[39:40], v[142:143]
	v_add_f64_e32 v[132:133], v[132:133], v[138:139]
	s_wait_loadcnt_dscnt 0x800
	v_mul_f64_e32 v[138:139], v[6:7], v[130:131]
	v_mul_f64_e32 v[130:131], v[8:9], v[130:131]
	v_fma_f64 v[136:137], v[4:5], v[120:121], v[136:137]
	v_fma_f64 v[142:143], v[2:3], v[120:121], -v[122:123]
	ds_load_b128 v[2:5], v1 offset:1104
	scratch_load_b128 v[120:123], off, off offset:624
	v_add_f64_e32 v[39:40], v[39:40], v[140:141]
	v_add_f64_e32 v[132:133], v[132:133], v[134:135]
	v_fma_f64 v[138:139], v[8:9], v[128:129], v[138:139]
	v_fma_f64 v[128:129], v[6:7], v[128:129], -v[130:131]
	ds_load_b128 v[6:9], v1 offset:1120
	s_wait_loadcnt_dscnt 0x801
	v_mul_f64_e32 v[134:135], v[2:3], v[36:37]
	v_mul_f64_e32 v[36:37], v[4:5], v[36:37]
	v_add_f64_e32 v[39:40], v[39:40], v[142:143]
	v_add_f64_e32 v[130:131], v[132:133], v[136:137]
	s_wait_loadcnt_dscnt 0x700
	v_mul_f64_e32 v[132:133], v[6:7], v[126:127]
	v_mul_f64_e32 v[126:127], v[8:9], v[126:127]
	v_fma_f64 v[134:135], v[4:5], v[34:35], v[134:135]
	v_fma_f64 v[34:35], v[2:3], v[34:35], -v[36:37]
	ds_load_b128 v[2:5], v1 offset:1136
	v_add_f64_e32 v[36:37], v[39:40], v[128:129]
	v_add_f64_e32 v[39:40], v[130:131], v[138:139]
	v_fma_f64 v[130:131], v[8:9], v[124:125], v[132:133]
	v_fma_f64 v[124:125], v[6:7], v[124:125], -v[126:127]
	ds_load_b128 v[6:9], v1 offset:1152
	s_wait_loadcnt_dscnt 0x500
	v_mul_f64_e32 v[132:133], v[6:7], v[16:17]
	v_mul_f64_e32 v[16:17], v[8:9], v[16:17]
	v_add_f64_e32 v[126:127], v[36:37], v[34:35]
	v_add_f64_e32 v[39:40], v[39:40], v[134:135]
	scratch_load_b128 v[34:37], off, off offset:320
	v_mul_f64_e32 v[128:129], v[2:3], v[12:13]
	v_mul_f64_e32 v[12:13], v[4:5], v[12:13]
	v_add_f64_e32 v[39:40], v[39:40], v[130:131]
	s_delay_alu instid0(VALU_DEP_3) | instskip(NEXT) | instid1(VALU_DEP_3)
	v_fma_f64 v[128:129], v[4:5], v[10:11], v[128:129]
	v_fma_f64 v[10:11], v[2:3], v[10:11], -v[12:13]
	v_add_f64_e32 v[12:13], v[126:127], v[124:125]
	ds_load_b128 v[2:5], v1 offset:1168
	v_fma_f64 v[126:127], v[8:9], v[14:15], v[132:133]
	v_fma_f64 v[14:15], v[6:7], v[14:15], -v[16:17]
	ds_load_b128 v[6:9], v1 offset:1184
	s_wait_loadcnt_dscnt 0x501
	v_mul_f64_e32 v[124:125], v[2:3], v[20:21]
	v_mul_f64_e32 v[20:21], v[4:5], v[20:21]
	s_wait_loadcnt_dscnt 0x400
	v_mul_f64_e32 v[16:17], v[6:7], v[24:25]
	v_mul_f64_e32 v[24:25], v[8:9], v[24:25]
	v_add_f64_e32 v[10:11], v[12:13], v[10:11]
	v_add_f64_e32 v[12:13], v[39:40], v[128:129]
	v_fma_f64 v[39:40], v[4:5], v[18:19], v[124:125]
	v_fma_f64 v[18:19], v[2:3], v[18:19], -v[20:21]
	ds_load_b128 v[2:5], v1 offset:1200
	v_fma_f64 v[16:17], v[8:9], v[22:23], v[16:17]
	v_fma_f64 v[22:23], v[6:7], v[22:23], -v[24:25]
	ds_load_b128 v[6:9], v1 offset:1216
	v_add_f64_e32 v[10:11], v[10:11], v[14:15]
	v_add_f64_e32 v[12:13], v[12:13], v[126:127]
	s_wait_loadcnt_dscnt 0x301
	v_mul_f64_e32 v[14:15], v[2:3], v[28:29]
	v_mul_f64_e32 v[20:21], v[4:5], v[28:29]
	s_wait_loadcnt_dscnt 0x200
	v_mul_f64_e32 v[24:25], v[8:9], v[32:33]
	v_add_f64_e32 v[10:11], v[10:11], v[18:19]
	v_add_f64_e32 v[12:13], v[12:13], v[39:40]
	v_mul_f64_e32 v[18:19], v[6:7], v[32:33]
	v_fma_f64 v[14:15], v[4:5], v[26:27], v[14:15]
	v_fma_f64 v[20:21], v[2:3], v[26:27], -v[20:21]
	ds_load_b128 v[2:5], v1 offset:1232
	v_fma_f64 v[6:7], v[6:7], v[30:31], -v[24:25]
	v_add_f64_e32 v[10:11], v[10:11], v[22:23]
	v_add_f64_e32 v[12:13], v[12:13], v[16:17]
	s_wait_loadcnt_dscnt 0x100
	v_mul_f64_e32 v[16:17], v[2:3], v[122:123]
	v_mul_f64_e32 v[22:23], v[4:5], v[122:123]
	v_fma_f64 v[8:9], v[8:9], v[30:31], v[18:19]
	v_add_f64_e32 v[10:11], v[10:11], v[20:21]
	v_add_f64_e32 v[12:13], v[12:13], v[14:15]
	v_fma_f64 v[4:5], v[4:5], v[120:121], v[16:17]
	v_fma_f64 v[2:3], v[2:3], v[120:121], -v[22:23]
	s_delay_alu instid0(VALU_DEP_4) | instskip(NEXT) | instid1(VALU_DEP_4)
	v_add_f64_e32 v[6:7], v[10:11], v[6:7]
	v_add_f64_e32 v[8:9], v[12:13], v[8:9]
	s_delay_alu instid0(VALU_DEP_2) | instskip(NEXT) | instid1(VALU_DEP_2)
	v_add_f64_e32 v[2:3], v[6:7], v[2:3]
	v_add_f64_e32 v[4:5], v[8:9], v[4:5]
	s_wait_loadcnt 0x0
	s_delay_alu instid0(VALU_DEP_2) | instskip(NEXT) | instid1(VALU_DEP_2)
	v_add_f64_e64 v[2:3], v[34:35], -v[2:3]
	v_add_f64_e64 v[4:5], v[36:37], -v[4:5]
	scratch_store_b128 off, v[2:5], off offset:320
	v_cmpx_lt_u32_e32 18, v0
	s_cbranch_execz .LBB38_211
; %bb.210:
	scratch_load_b128 v[5:8], off, s29
	v_dual_mov_b32 v2, v1 :: v_dual_mov_b32 v3, v1
	v_mov_b32_e32 v4, v1
	scratch_store_b128 off, v[1:4], off offset:304
	s_wait_loadcnt 0x0
	ds_store_b128 v38, v[5:8]
.LBB38_211:
	s_wait_alu 0xfffe
	s_or_b32 exec_lo, exec_lo, s0
	s_wait_storecnt_dscnt 0x0
	s_barrier_signal -1
	s_barrier_wait -1
	global_inv scope:SCOPE_SE
	s_clause 0x7
	scratch_load_b128 v[2:5], off, off offset:320
	scratch_load_b128 v[6:9], off, off offset:336
	;; [unrolled: 1-line block ×8, first 2 shown]
	ds_load_b128 v[34:37], v1 offset:928
	ds_load_b128 v[124:127], v1 offset:944
	s_clause 0x1
	scratch_load_b128 v[120:123], off, off offset:448
	scratch_load_b128 v[128:131], off, off offset:464
	s_mov_b32 s0, exec_lo
	s_wait_loadcnt_dscnt 0x901
	v_mul_f64_e32 v[39:40], v[36:37], v[4:5]
	v_mul_f64_e32 v[4:5], v[34:35], v[4:5]
	s_wait_loadcnt_dscnt 0x800
	v_mul_f64_e32 v[132:133], v[124:125], v[8:9]
	v_mul_f64_e32 v[8:9], v[126:127], v[8:9]
	s_delay_alu instid0(VALU_DEP_4) | instskip(NEXT) | instid1(VALU_DEP_4)
	v_fma_f64 v[39:40], v[34:35], v[2:3], -v[39:40]
	v_fma_f64 v[134:135], v[36:37], v[2:3], v[4:5]
	ds_load_b128 v[2:5], v1 offset:960
	scratch_load_b128 v[34:37], off, off offset:480
	v_fma_f64 v[132:133], v[126:127], v[6:7], v[132:133]
	v_fma_f64 v[138:139], v[124:125], v[6:7], -v[8:9]
	ds_load_b128 v[6:9], v1 offset:976
	scratch_load_b128 v[124:127], off, off offset:496
	s_wait_loadcnt_dscnt 0x901
	v_mul_f64_e32 v[136:137], v[2:3], v[12:13]
	v_mul_f64_e32 v[12:13], v[4:5], v[12:13]
	s_wait_loadcnt_dscnt 0x800
	v_mul_f64_e32 v[140:141], v[6:7], v[16:17]
	v_mul_f64_e32 v[16:17], v[8:9], v[16:17]
	v_add_f64_e32 v[39:40], 0, v[39:40]
	v_add_f64_e32 v[134:135], 0, v[134:135]
	v_fma_f64 v[136:137], v[4:5], v[10:11], v[136:137]
	v_fma_f64 v[142:143], v[2:3], v[10:11], -v[12:13]
	ds_load_b128 v[2:5], v1 offset:992
	scratch_load_b128 v[10:13], off, off offset:512
	v_add_f64_e32 v[39:40], v[39:40], v[138:139]
	v_add_f64_e32 v[132:133], v[134:135], v[132:133]
	v_fma_f64 v[138:139], v[8:9], v[14:15], v[140:141]
	v_fma_f64 v[140:141], v[6:7], v[14:15], -v[16:17]
	ds_load_b128 v[6:9], v1 offset:1008
	scratch_load_b128 v[14:17], off, off offset:528
	s_wait_loadcnt_dscnt 0x901
	v_mul_f64_e32 v[134:135], v[2:3], v[20:21]
	v_mul_f64_e32 v[20:21], v[4:5], v[20:21]
	v_add_f64_e32 v[39:40], v[39:40], v[142:143]
	v_add_f64_e32 v[132:133], v[132:133], v[136:137]
	s_wait_loadcnt_dscnt 0x800
	v_mul_f64_e32 v[136:137], v[6:7], v[24:25]
	v_mul_f64_e32 v[24:25], v[8:9], v[24:25]
	v_fma_f64 v[134:135], v[4:5], v[18:19], v[134:135]
	v_fma_f64 v[142:143], v[2:3], v[18:19], -v[20:21]
	ds_load_b128 v[2:5], v1 offset:1024
	scratch_load_b128 v[18:21], off, off offset:544
	v_add_f64_e32 v[39:40], v[39:40], v[140:141]
	v_add_f64_e32 v[132:133], v[132:133], v[138:139]
	v_fma_f64 v[136:137], v[8:9], v[22:23], v[136:137]
	v_fma_f64 v[140:141], v[6:7], v[22:23], -v[24:25]
	ds_load_b128 v[6:9], v1 offset:1040
	s_wait_loadcnt_dscnt 0x801
	v_mul_f64_e32 v[138:139], v[2:3], v[28:29]
	v_mul_f64_e32 v[28:29], v[4:5], v[28:29]
	scratch_load_b128 v[22:25], off, off offset:560
	v_add_f64_e32 v[39:40], v[39:40], v[142:143]
	v_add_f64_e32 v[132:133], v[132:133], v[134:135]
	s_wait_loadcnt_dscnt 0x800
	v_mul_f64_e32 v[134:135], v[6:7], v[32:33]
	v_mul_f64_e32 v[32:33], v[8:9], v[32:33]
	v_fma_f64 v[138:139], v[4:5], v[26:27], v[138:139]
	v_fma_f64 v[142:143], v[2:3], v[26:27], -v[28:29]
	ds_load_b128 v[2:5], v1 offset:1056
	scratch_load_b128 v[26:29], off, off offset:576
	v_add_f64_e32 v[39:40], v[39:40], v[140:141]
	v_add_f64_e32 v[132:133], v[132:133], v[136:137]
	v_fma_f64 v[134:135], v[8:9], v[30:31], v[134:135]
	v_fma_f64 v[140:141], v[6:7], v[30:31], -v[32:33]
	ds_load_b128 v[6:9], v1 offset:1072
	s_wait_loadcnt_dscnt 0x801
	v_mul_f64_e32 v[136:137], v[2:3], v[122:123]
	v_mul_f64_e32 v[122:123], v[4:5], v[122:123]
	scratch_load_b128 v[30:33], off, off offset:592
	v_add_f64_e32 v[39:40], v[39:40], v[142:143]
	v_add_f64_e32 v[132:133], v[132:133], v[138:139]
	s_wait_loadcnt_dscnt 0x800
	v_mul_f64_e32 v[138:139], v[6:7], v[130:131]
	v_mul_f64_e32 v[130:131], v[8:9], v[130:131]
	v_fma_f64 v[136:137], v[4:5], v[120:121], v[136:137]
	v_fma_f64 v[142:143], v[2:3], v[120:121], -v[122:123]
	ds_load_b128 v[2:5], v1 offset:1088
	scratch_load_b128 v[120:123], off, off offset:608
	v_add_f64_e32 v[39:40], v[39:40], v[140:141]
	v_add_f64_e32 v[132:133], v[132:133], v[134:135]
	v_fma_f64 v[138:139], v[8:9], v[128:129], v[138:139]
	v_fma_f64 v[140:141], v[6:7], v[128:129], -v[130:131]
	ds_load_b128 v[6:9], v1 offset:1104
	scratch_load_b128 v[128:131], off, off offset:624
	s_wait_loadcnt_dscnt 0x901
	v_mul_f64_e32 v[134:135], v[2:3], v[36:37]
	v_mul_f64_e32 v[36:37], v[4:5], v[36:37]
	v_add_f64_e32 v[39:40], v[39:40], v[142:143]
	v_add_f64_e32 v[132:133], v[132:133], v[136:137]
	s_wait_loadcnt_dscnt 0x800
	v_mul_f64_e32 v[136:137], v[6:7], v[126:127]
	v_mul_f64_e32 v[126:127], v[8:9], v[126:127]
	v_fma_f64 v[134:135], v[4:5], v[34:35], v[134:135]
	v_fma_f64 v[34:35], v[2:3], v[34:35], -v[36:37]
	ds_load_b128 v[2:5], v1 offset:1120
	v_add_f64_e32 v[36:37], v[39:40], v[140:141]
	v_add_f64_e32 v[39:40], v[132:133], v[138:139]
	v_fma_f64 v[136:137], v[8:9], v[124:125], v[136:137]
	v_fma_f64 v[124:125], v[6:7], v[124:125], -v[126:127]
	ds_load_b128 v[6:9], v1 offset:1136
	s_wait_loadcnt_dscnt 0x701
	v_mul_f64_e32 v[132:133], v[2:3], v[12:13]
	v_mul_f64_e32 v[12:13], v[4:5], v[12:13]
	v_add_f64_e32 v[34:35], v[36:37], v[34:35]
	v_add_f64_e32 v[36:37], v[39:40], v[134:135]
	s_delay_alu instid0(VALU_DEP_4) | instskip(NEXT) | instid1(VALU_DEP_4)
	v_fma_f64 v[126:127], v[4:5], v[10:11], v[132:133]
	v_fma_f64 v[132:133], v[2:3], v[10:11], -v[12:13]
	scratch_load_b128 v[10:13], off, off offset:304
	s_wait_loadcnt_dscnt 0x700
	v_mul_f64_e32 v[39:40], v[6:7], v[16:17]
	v_mul_f64_e32 v[16:17], v[8:9], v[16:17]
	ds_load_b128 v[2:5], v1 offset:1152
	v_add_f64_e32 v[34:35], v[34:35], v[124:125]
	v_add_f64_e32 v[36:37], v[36:37], v[136:137]
	v_fma_f64 v[39:40], v[8:9], v[14:15], v[39:40]
	v_fma_f64 v[14:15], v[6:7], v[14:15], -v[16:17]
	ds_load_b128 v[6:9], v1 offset:1168
	s_wait_loadcnt_dscnt 0x601
	v_mul_f64_e32 v[124:125], v[2:3], v[20:21]
	v_mul_f64_e32 v[20:21], v[4:5], v[20:21]
	v_add_f64_e32 v[16:17], v[34:35], v[132:133]
	v_add_f64_e32 v[34:35], v[36:37], v[126:127]
	s_wait_loadcnt_dscnt 0x500
	v_mul_f64_e32 v[36:37], v[6:7], v[24:25]
	v_mul_f64_e32 v[24:25], v[8:9], v[24:25]
	v_fma_f64 v[124:125], v[4:5], v[18:19], v[124:125]
	v_fma_f64 v[18:19], v[2:3], v[18:19], -v[20:21]
	ds_load_b128 v[2:5], v1 offset:1184
	v_add_f64_e32 v[14:15], v[16:17], v[14:15]
	v_add_f64_e32 v[16:17], v[34:35], v[39:40]
	v_fma_f64 v[34:35], v[8:9], v[22:23], v[36:37]
	v_fma_f64 v[22:23], v[6:7], v[22:23], -v[24:25]
	ds_load_b128 v[6:9], v1 offset:1200
	s_wait_loadcnt_dscnt 0x401
	v_mul_f64_e32 v[20:21], v[2:3], v[28:29]
	v_mul_f64_e32 v[28:29], v[4:5], v[28:29]
	s_wait_loadcnt_dscnt 0x300
	v_mul_f64_e32 v[24:25], v[8:9], v[32:33]
	v_add_f64_e32 v[14:15], v[14:15], v[18:19]
	v_add_f64_e32 v[16:17], v[16:17], v[124:125]
	v_mul_f64_e32 v[18:19], v[6:7], v[32:33]
	v_fma_f64 v[20:21], v[4:5], v[26:27], v[20:21]
	v_fma_f64 v[26:27], v[2:3], v[26:27], -v[28:29]
	ds_load_b128 v[2:5], v1 offset:1216
	v_fma_f64 v[24:25], v[6:7], v[30:31], -v[24:25]
	v_add_f64_e32 v[14:15], v[14:15], v[22:23]
	v_add_f64_e32 v[16:17], v[16:17], v[34:35]
	v_fma_f64 v[18:19], v[8:9], v[30:31], v[18:19]
	ds_load_b128 v[6:9], v1 offset:1232
	s_wait_loadcnt_dscnt 0x201
	v_mul_f64_e32 v[22:23], v[2:3], v[122:123]
	v_mul_f64_e32 v[28:29], v[4:5], v[122:123]
	v_add_f64_e32 v[14:15], v[14:15], v[26:27]
	v_add_f64_e32 v[16:17], v[16:17], v[20:21]
	s_wait_loadcnt_dscnt 0x100
	v_mul_f64_e32 v[20:21], v[6:7], v[130:131]
	v_mul_f64_e32 v[26:27], v[8:9], v[130:131]
	v_fma_f64 v[4:5], v[4:5], v[120:121], v[22:23]
	v_fma_f64 v[1:2], v[2:3], v[120:121], -v[28:29]
	v_add_f64_e32 v[14:15], v[14:15], v[24:25]
	v_add_f64_e32 v[16:17], v[16:17], v[18:19]
	v_fma_f64 v[8:9], v[8:9], v[128:129], v[20:21]
	v_fma_f64 v[6:7], v[6:7], v[128:129], -v[26:27]
	s_delay_alu instid0(VALU_DEP_4) | instskip(NEXT) | instid1(VALU_DEP_4)
	v_add_f64_e32 v[1:2], v[14:15], v[1:2]
	v_add_f64_e32 v[3:4], v[16:17], v[4:5]
	s_delay_alu instid0(VALU_DEP_2) | instskip(NEXT) | instid1(VALU_DEP_2)
	v_add_f64_e32 v[1:2], v[1:2], v[6:7]
	v_add_f64_e32 v[3:4], v[3:4], v[8:9]
	s_wait_loadcnt 0x0
	s_delay_alu instid0(VALU_DEP_2) | instskip(NEXT) | instid1(VALU_DEP_2)
	v_add_f64_e64 v[1:2], v[10:11], -v[1:2]
	v_add_f64_e64 v[3:4], v[12:13], -v[3:4]
	scratch_store_b128 off, v[1:4], off offset:304
	v_cmpx_lt_u32_e32 17, v0
	s_cbranch_execz .LBB38_213
; %bb.212:
	scratch_load_b128 v[1:4], off, s30
	v_mov_b32_e32 v5, 0
	s_delay_alu instid0(VALU_DEP_1)
	v_dual_mov_b32 v6, v5 :: v_dual_mov_b32 v7, v5
	v_mov_b32_e32 v8, v5
	scratch_store_b128 off, v[5:8], off offset:288
	s_wait_loadcnt 0x0
	ds_store_b128 v38, v[1:4]
.LBB38_213:
	s_wait_alu 0xfffe
	s_or_b32 exec_lo, exec_lo, s0
	s_wait_storecnt_dscnt 0x0
	s_barrier_signal -1
	s_barrier_wait -1
	global_inv scope:SCOPE_SE
	s_clause 0x7
	scratch_load_b128 v[2:5], off, off offset:304
	scratch_load_b128 v[6:9], off, off offset:320
	;; [unrolled: 1-line block ×8, first 2 shown]
	v_mov_b32_e32 v1, 0
	s_clause 0x1
	scratch_load_b128 v[120:123], off, off offset:432
	scratch_load_b128 v[128:131], off, off offset:448
	s_mov_b32 s0, exec_lo
	ds_load_b128 v[34:37], v1 offset:912
	ds_load_b128 v[124:127], v1 offset:928
	s_wait_loadcnt_dscnt 0x901
	v_mul_f64_e32 v[39:40], v[36:37], v[4:5]
	v_mul_f64_e32 v[4:5], v[34:35], v[4:5]
	s_wait_loadcnt_dscnt 0x800
	v_mul_f64_e32 v[132:133], v[124:125], v[8:9]
	v_mul_f64_e32 v[8:9], v[126:127], v[8:9]
	s_delay_alu instid0(VALU_DEP_4) | instskip(NEXT) | instid1(VALU_DEP_4)
	v_fma_f64 v[39:40], v[34:35], v[2:3], -v[39:40]
	v_fma_f64 v[134:135], v[36:37], v[2:3], v[4:5]
	ds_load_b128 v[2:5], v1 offset:944
	scratch_load_b128 v[34:37], off, off offset:464
	v_fma_f64 v[132:133], v[126:127], v[6:7], v[132:133]
	v_fma_f64 v[138:139], v[124:125], v[6:7], -v[8:9]
	ds_load_b128 v[6:9], v1 offset:960
	scratch_load_b128 v[124:127], off, off offset:480
	s_wait_loadcnt_dscnt 0x901
	v_mul_f64_e32 v[136:137], v[2:3], v[12:13]
	v_mul_f64_e32 v[12:13], v[4:5], v[12:13]
	s_wait_loadcnt_dscnt 0x800
	v_mul_f64_e32 v[140:141], v[6:7], v[16:17]
	v_mul_f64_e32 v[16:17], v[8:9], v[16:17]
	v_add_f64_e32 v[39:40], 0, v[39:40]
	v_add_f64_e32 v[134:135], 0, v[134:135]
	v_fma_f64 v[136:137], v[4:5], v[10:11], v[136:137]
	v_fma_f64 v[142:143], v[2:3], v[10:11], -v[12:13]
	ds_load_b128 v[2:5], v1 offset:976
	scratch_load_b128 v[10:13], off, off offset:496
	v_add_f64_e32 v[39:40], v[39:40], v[138:139]
	v_add_f64_e32 v[132:133], v[134:135], v[132:133]
	v_fma_f64 v[138:139], v[8:9], v[14:15], v[140:141]
	v_fma_f64 v[140:141], v[6:7], v[14:15], -v[16:17]
	ds_load_b128 v[6:9], v1 offset:992
	scratch_load_b128 v[14:17], off, off offset:512
	s_wait_loadcnt_dscnt 0x901
	v_mul_f64_e32 v[134:135], v[2:3], v[20:21]
	v_mul_f64_e32 v[20:21], v[4:5], v[20:21]
	v_add_f64_e32 v[39:40], v[39:40], v[142:143]
	v_add_f64_e32 v[132:133], v[132:133], v[136:137]
	s_wait_loadcnt_dscnt 0x800
	v_mul_f64_e32 v[136:137], v[6:7], v[24:25]
	v_mul_f64_e32 v[24:25], v[8:9], v[24:25]
	v_fma_f64 v[134:135], v[4:5], v[18:19], v[134:135]
	v_fma_f64 v[142:143], v[2:3], v[18:19], -v[20:21]
	ds_load_b128 v[2:5], v1 offset:1008
	scratch_load_b128 v[18:21], off, off offset:528
	v_add_f64_e32 v[39:40], v[39:40], v[140:141]
	v_add_f64_e32 v[132:133], v[132:133], v[138:139]
	v_fma_f64 v[136:137], v[8:9], v[22:23], v[136:137]
	v_fma_f64 v[140:141], v[6:7], v[22:23], -v[24:25]
	ds_load_b128 v[6:9], v1 offset:1024
	s_wait_loadcnt_dscnt 0x801
	v_mul_f64_e32 v[138:139], v[2:3], v[28:29]
	v_mul_f64_e32 v[28:29], v[4:5], v[28:29]
	scratch_load_b128 v[22:25], off, off offset:544
	v_add_f64_e32 v[39:40], v[39:40], v[142:143]
	v_add_f64_e32 v[132:133], v[132:133], v[134:135]
	s_wait_loadcnt_dscnt 0x800
	v_mul_f64_e32 v[134:135], v[6:7], v[32:33]
	v_mul_f64_e32 v[32:33], v[8:9], v[32:33]
	v_fma_f64 v[138:139], v[4:5], v[26:27], v[138:139]
	v_fma_f64 v[142:143], v[2:3], v[26:27], -v[28:29]
	ds_load_b128 v[2:5], v1 offset:1040
	scratch_load_b128 v[26:29], off, off offset:560
	v_add_f64_e32 v[39:40], v[39:40], v[140:141]
	v_add_f64_e32 v[132:133], v[132:133], v[136:137]
	v_fma_f64 v[134:135], v[8:9], v[30:31], v[134:135]
	v_fma_f64 v[140:141], v[6:7], v[30:31], -v[32:33]
	ds_load_b128 v[6:9], v1 offset:1056
	s_wait_loadcnt_dscnt 0x801
	v_mul_f64_e32 v[136:137], v[2:3], v[122:123]
	v_mul_f64_e32 v[122:123], v[4:5], v[122:123]
	scratch_load_b128 v[30:33], off, off offset:576
	v_add_f64_e32 v[39:40], v[39:40], v[142:143]
	v_add_f64_e32 v[132:133], v[132:133], v[138:139]
	s_wait_loadcnt_dscnt 0x800
	v_mul_f64_e32 v[138:139], v[6:7], v[130:131]
	v_mul_f64_e32 v[130:131], v[8:9], v[130:131]
	v_fma_f64 v[136:137], v[4:5], v[120:121], v[136:137]
	v_fma_f64 v[142:143], v[2:3], v[120:121], -v[122:123]
	ds_load_b128 v[2:5], v1 offset:1072
	scratch_load_b128 v[120:123], off, off offset:592
	v_add_f64_e32 v[39:40], v[39:40], v[140:141]
	v_add_f64_e32 v[132:133], v[132:133], v[134:135]
	v_fma_f64 v[138:139], v[8:9], v[128:129], v[138:139]
	v_fma_f64 v[140:141], v[6:7], v[128:129], -v[130:131]
	ds_load_b128 v[6:9], v1 offset:1088
	scratch_load_b128 v[128:131], off, off offset:608
	s_wait_loadcnt_dscnt 0x901
	v_mul_f64_e32 v[134:135], v[2:3], v[36:37]
	v_mul_f64_e32 v[36:37], v[4:5], v[36:37]
	v_add_f64_e32 v[39:40], v[39:40], v[142:143]
	v_add_f64_e32 v[132:133], v[132:133], v[136:137]
	s_wait_loadcnt_dscnt 0x800
	v_mul_f64_e32 v[136:137], v[6:7], v[126:127]
	v_mul_f64_e32 v[126:127], v[8:9], v[126:127]
	v_fma_f64 v[134:135], v[4:5], v[34:35], v[134:135]
	v_fma_f64 v[142:143], v[2:3], v[34:35], -v[36:37]
	ds_load_b128 v[2:5], v1 offset:1104
	scratch_load_b128 v[34:37], off, off offset:624
	v_add_f64_e32 v[39:40], v[39:40], v[140:141]
	v_add_f64_e32 v[132:133], v[132:133], v[138:139]
	v_fma_f64 v[136:137], v[8:9], v[124:125], v[136:137]
	v_fma_f64 v[124:125], v[6:7], v[124:125], -v[126:127]
	ds_load_b128 v[6:9], v1 offset:1120
	s_wait_loadcnt_dscnt 0x801
	v_mul_f64_e32 v[138:139], v[2:3], v[12:13]
	v_mul_f64_e32 v[12:13], v[4:5], v[12:13]
	v_add_f64_e32 v[39:40], v[39:40], v[142:143]
	v_add_f64_e32 v[126:127], v[132:133], v[134:135]
	s_wait_loadcnt_dscnt 0x700
	v_mul_f64_e32 v[132:133], v[6:7], v[16:17]
	v_mul_f64_e32 v[16:17], v[8:9], v[16:17]
	v_fma_f64 v[134:135], v[4:5], v[10:11], v[138:139]
	v_fma_f64 v[10:11], v[2:3], v[10:11], -v[12:13]
	ds_load_b128 v[2:5], v1 offset:1136
	v_add_f64_e32 v[12:13], v[39:40], v[124:125]
	v_add_f64_e32 v[39:40], v[126:127], v[136:137]
	v_fma_f64 v[126:127], v[8:9], v[14:15], v[132:133]
	v_fma_f64 v[14:15], v[6:7], v[14:15], -v[16:17]
	ds_load_b128 v[6:9], v1 offset:1152
	s_wait_loadcnt_dscnt 0x500
	v_mul_f64_e32 v[132:133], v[6:7], v[24:25]
	v_mul_f64_e32 v[24:25], v[8:9], v[24:25]
	v_add_f64_e32 v[16:17], v[12:13], v[10:11]
	v_add_f64_e32 v[39:40], v[39:40], v[134:135]
	scratch_load_b128 v[10:13], off, off offset:288
	v_mul_f64_e32 v[124:125], v[2:3], v[20:21]
	v_mul_f64_e32 v[20:21], v[4:5], v[20:21]
	v_add_f64_e32 v[14:15], v[16:17], v[14:15]
	v_add_f64_e32 v[16:17], v[39:40], v[126:127]
	v_fma_f64 v[39:40], v[8:9], v[22:23], v[132:133]
	v_fma_f64 v[124:125], v[4:5], v[18:19], v[124:125]
	v_fma_f64 v[18:19], v[2:3], v[18:19], -v[20:21]
	ds_load_b128 v[2:5], v1 offset:1168
	v_fma_f64 v[22:23], v[6:7], v[22:23], -v[24:25]
	ds_load_b128 v[6:9], v1 offset:1184
	s_wait_loadcnt_dscnt 0x501
	v_mul_f64_e32 v[20:21], v[2:3], v[28:29]
	v_mul_f64_e32 v[28:29], v[4:5], v[28:29]
	s_wait_loadcnt_dscnt 0x400
	v_mul_f64_e32 v[24:25], v[8:9], v[32:33]
	v_add_f64_e32 v[16:17], v[16:17], v[124:125]
	v_add_f64_e32 v[14:15], v[14:15], v[18:19]
	v_mul_f64_e32 v[18:19], v[6:7], v[32:33]
	v_fma_f64 v[20:21], v[4:5], v[26:27], v[20:21]
	v_fma_f64 v[26:27], v[2:3], v[26:27], -v[28:29]
	ds_load_b128 v[2:5], v1 offset:1200
	v_fma_f64 v[24:25], v[6:7], v[30:31], -v[24:25]
	v_add_f64_e32 v[16:17], v[16:17], v[39:40]
	v_add_f64_e32 v[14:15], v[14:15], v[22:23]
	v_fma_f64 v[18:19], v[8:9], v[30:31], v[18:19]
	ds_load_b128 v[6:9], v1 offset:1216
	s_wait_loadcnt_dscnt 0x301
	v_mul_f64_e32 v[22:23], v[2:3], v[122:123]
	v_mul_f64_e32 v[28:29], v[4:5], v[122:123]
	v_add_f64_e32 v[16:17], v[16:17], v[20:21]
	v_add_f64_e32 v[14:15], v[14:15], v[26:27]
	s_wait_loadcnt_dscnt 0x200
	v_mul_f64_e32 v[20:21], v[6:7], v[130:131]
	v_mul_f64_e32 v[26:27], v[8:9], v[130:131]
	v_fma_f64 v[22:23], v[4:5], v[120:121], v[22:23]
	v_fma_f64 v[28:29], v[2:3], v[120:121], -v[28:29]
	ds_load_b128 v[2:5], v1 offset:1232
	v_add_f64_e32 v[16:17], v[16:17], v[18:19]
	v_add_f64_e32 v[14:15], v[14:15], v[24:25]
	s_wait_loadcnt_dscnt 0x100
	v_mul_f64_e32 v[18:19], v[2:3], v[36:37]
	v_mul_f64_e32 v[24:25], v[4:5], v[36:37]
	v_fma_f64 v[8:9], v[8:9], v[128:129], v[20:21]
	v_fma_f64 v[6:7], v[6:7], v[128:129], -v[26:27]
	v_add_f64_e32 v[16:17], v[16:17], v[22:23]
	v_add_f64_e32 v[14:15], v[14:15], v[28:29]
	v_fma_f64 v[4:5], v[4:5], v[34:35], v[18:19]
	v_fma_f64 v[2:3], v[2:3], v[34:35], -v[24:25]
	s_delay_alu instid0(VALU_DEP_4) | instskip(NEXT) | instid1(VALU_DEP_4)
	v_add_f64_e32 v[8:9], v[16:17], v[8:9]
	v_add_f64_e32 v[6:7], v[14:15], v[6:7]
	s_delay_alu instid0(VALU_DEP_2) | instskip(NEXT) | instid1(VALU_DEP_2)
	v_add_f64_e32 v[4:5], v[8:9], v[4:5]
	v_add_f64_e32 v[2:3], v[6:7], v[2:3]
	s_wait_loadcnt 0x0
	s_delay_alu instid0(VALU_DEP_2) | instskip(NEXT) | instid1(VALU_DEP_2)
	v_add_f64_e64 v[4:5], v[12:13], -v[4:5]
	v_add_f64_e64 v[2:3], v[10:11], -v[2:3]
	scratch_store_b128 off, v[2:5], off offset:288
	v_cmpx_lt_u32_e32 16, v0
	s_cbranch_execz .LBB38_215
; %bb.214:
	scratch_load_b128 v[5:8], off, s31
	v_dual_mov_b32 v2, v1 :: v_dual_mov_b32 v3, v1
	v_mov_b32_e32 v4, v1
	scratch_store_b128 off, v[1:4], off offset:272
	s_wait_loadcnt 0x0
	ds_store_b128 v38, v[5:8]
.LBB38_215:
	s_wait_alu 0xfffe
	s_or_b32 exec_lo, exec_lo, s0
	s_wait_storecnt_dscnt 0x0
	s_barrier_signal -1
	s_barrier_wait -1
	global_inv scope:SCOPE_SE
	s_clause 0x7
	scratch_load_b128 v[2:5], off, off offset:288
	scratch_load_b128 v[6:9], off, off offset:304
	;; [unrolled: 1-line block ×8, first 2 shown]
	ds_load_b128 v[34:37], v1 offset:896
	ds_load_b128 v[124:127], v1 offset:912
	s_clause 0x1
	scratch_load_b128 v[120:123], off, off offset:416
	scratch_load_b128 v[128:131], off, off offset:432
	s_mov_b32 s0, exec_lo
	s_wait_loadcnt_dscnt 0x901
	v_mul_f64_e32 v[39:40], v[36:37], v[4:5]
	v_mul_f64_e32 v[4:5], v[34:35], v[4:5]
	s_wait_loadcnt_dscnt 0x800
	v_mul_f64_e32 v[132:133], v[124:125], v[8:9]
	v_mul_f64_e32 v[8:9], v[126:127], v[8:9]
	s_delay_alu instid0(VALU_DEP_4) | instskip(NEXT) | instid1(VALU_DEP_4)
	v_fma_f64 v[39:40], v[34:35], v[2:3], -v[39:40]
	v_fma_f64 v[134:135], v[36:37], v[2:3], v[4:5]
	ds_load_b128 v[2:5], v1 offset:928
	scratch_load_b128 v[34:37], off, off offset:448
	v_fma_f64 v[132:133], v[126:127], v[6:7], v[132:133]
	v_fma_f64 v[138:139], v[124:125], v[6:7], -v[8:9]
	ds_load_b128 v[6:9], v1 offset:944
	scratch_load_b128 v[124:127], off, off offset:464
	s_wait_loadcnt_dscnt 0x901
	v_mul_f64_e32 v[136:137], v[2:3], v[12:13]
	v_mul_f64_e32 v[12:13], v[4:5], v[12:13]
	s_wait_loadcnt_dscnt 0x800
	v_mul_f64_e32 v[140:141], v[6:7], v[16:17]
	v_mul_f64_e32 v[16:17], v[8:9], v[16:17]
	v_add_f64_e32 v[39:40], 0, v[39:40]
	v_add_f64_e32 v[134:135], 0, v[134:135]
	v_fma_f64 v[136:137], v[4:5], v[10:11], v[136:137]
	v_fma_f64 v[142:143], v[2:3], v[10:11], -v[12:13]
	ds_load_b128 v[2:5], v1 offset:960
	scratch_load_b128 v[10:13], off, off offset:480
	v_add_f64_e32 v[39:40], v[39:40], v[138:139]
	v_add_f64_e32 v[132:133], v[134:135], v[132:133]
	v_fma_f64 v[138:139], v[8:9], v[14:15], v[140:141]
	v_fma_f64 v[140:141], v[6:7], v[14:15], -v[16:17]
	ds_load_b128 v[6:9], v1 offset:976
	scratch_load_b128 v[14:17], off, off offset:496
	s_wait_loadcnt_dscnt 0x901
	v_mul_f64_e32 v[134:135], v[2:3], v[20:21]
	v_mul_f64_e32 v[20:21], v[4:5], v[20:21]
	v_add_f64_e32 v[39:40], v[39:40], v[142:143]
	v_add_f64_e32 v[132:133], v[132:133], v[136:137]
	s_wait_loadcnt_dscnt 0x800
	v_mul_f64_e32 v[136:137], v[6:7], v[24:25]
	v_mul_f64_e32 v[24:25], v[8:9], v[24:25]
	v_fma_f64 v[134:135], v[4:5], v[18:19], v[134:135]
	v_fma_f64 v[142:143], v[2:3], v[18:19], -v[20:21]
	ds_load_b128 v[2:5], v1 offset:992
	scratch_load_b128 v[18:21], off, off offset:512
	v_add_f64_e32 v[39:40], v[39:40], v[140:141]
	v_add_f64_e32 v[132:133], v[132:133], v[138:139]
	v_fma_f64 v[136:137], v[8:9], v[22:23], v[136:137]
	v_fma_f64 v[140:141], v[6:7], v[22:23], -v[24:25]
	ds_load_b128 v[6:9], v1 offset:1008
	s_wait_loadcnt_dscnt 0x801
	v_mul_f64_e32 v[138:139], v[2:3], v[28:29]
	v_mul_f64_e32 v[28:29], v[4:5], v[28:29]
	scratch_load_b128 v[22:25], off, off offset:528
	v_add_f64_e32 v[39:40], v[39:40], v[142:143]
	v_add_f64_e32 v[132:133], v[132:133], v[134:135]
	s_wait_loadcnt_dscnt 0x800
	v_mul_f64_e32 v[134:135], v[6:7], v[32:33]
	v_mul_f64_e32 v[32:33], v[8:9], v[32:33]
	v_fma_f64 v[138:139], v[4:5], v[26:27], v[138:139]
	v_fma_f64 v[142:143], v[2:3], v[26:27], -v[28:29]
	ds_load_b128 v[2:5], v1 offset:1024
	scratch_load_b128 v[26:29], off, off offset:544
	v_add_f64_e32 v[39:40], v[39:40], v[140:141]
	v_add_f64_e32 v[132:133], v[132:133], v[136:137]
	v_fma_f64 v[134:135], v[8:9], v[30:31], v[134:135]
	v_fma_f64 v[140:141], v[6:7], v[30:31], -v[32:33]
	ds_load_b128 v[6:9], v1 offset:1040
	s_wait_loadcnt_dscnt 0x801
	v_mul_f64_e32 v[136:137], v[2:3], v[122:123]
	v_mul_f64_e32 v[122:123], v[4:5], v[122:123]
	scratch_load_b128 v[30:33], off, off offset:560
	v_add_f64_e32 v[39:40], v[39:40], v[142:143]
	v_add_f64_e32 v[132:133], v[132:133], v[138:139]
	s_wait_loadcnt_dscnt 0x800
	v_mul_f64_e32 v[138:139], v[6:7], v[130:131]
	v_mul_f64_e32 v[130:131], v[8:9], v[130:131]
	v_fma_f64 v[136:137], v[4:5], v[120:121], v[136:137]
	v_fma_f64 v[142:143], v[2:3], v[120:121], -v[122:123]
	ds_load_b128 v[2:5], v1 offset:1056
	scratch_load_b128 v[120:123], off, off offset:576
	v_add_f64_e32 v[39:40], v[39:40], v[140:141]
	v_add_f64_e32 v[132:133], v[132:133], v[134:135]
	v_fma_f64 v[138:139], v[8:9], v[128:129], v[138:139]
	v_fma_f64 v[140:141], v[6:7], v[128:129], -v[130:131]
	ds_load_b128 v[6:9], v1 offset:1072
	scratch_load_b128 v[128:131], off, off offset:592
	s_wait_loadcnt_dscnt 0x901
	v_mul_f64_e32 v[134:135], v[2:3], v[36:37]
	v_mul_f64_e32 v[36:37], v[4:5], v[36:37]
	v_add_f64_e32 v[39:40], v[39:40], v[142:143]
	v_add_f64_e32 v[132:133], v[132:133], v[136:137]
	s_wait_loadcnt_dscnt 0x800
	v_mul_f64_e32 v[136:137], v[6:7], v[126:127]
	v_mul_f64_e32 v[126:127], v[8:9], v[126:127]
	v_fma_f64 v[134:135], v[4:5], v[34:35], v[134:135]
	v_fma_f64 v[142:143], v[2:3], v[34:35], -v[36:37]
	ds_load_b128 v[2:5], v1 offset:1088
	scratch_load_b128 v[34:37], off, off offset:608
	v_add_f64_e32 v[39:40], v[39:40], v[140:141]
	v_add_f64_e32 v[132:133], v[132:133], v[138:139]
	v_fma_f64 v[136:137], v[8:9], v[124:125], v[136:137]
	v_fma_f64 v[140:141], v[6:7], v[124:125], -v[126:127]
	ds_load_b128 v[6:9], v1 offset:1104
	s_wait_loadcnt_dscnt 0x801
	v_mul_f64_e32 v[138:139], v[2:3], v[12:13]
	v_mul_f64_e32 v[12:13], v[4:5], v[12:13]
	scratch_load_b128 v[124:127], off, off offset:624
	v_add_f64_e32 v[39:40], v[39:40], v[142:143]
	v_add_f64_e32 v[132:133], v[132:133], v[134:135]
	s_wait_loadcnt_dscnt 0x800
	v_mul_f64_e32 v[134:135], v[6:7], v[16:17]
	v_mul_f64_e32 v[16:17], v[8:9], v[16:17]
	v_fma_f64 v[138:139], v[4:5], v[10:11], v[138:139]
	v_fma_f64 v[10:11], v[2:3], v[10:11], -v[12:13]
	ds_load_b128 v[2:5], v1 offset:1120
	v_add_f64_e32 v[12:13], v[39:40], v[140:141]
	v_add_f64_e32 v[39:40], v[132:133], v[136:137]
	v_fma_f64 v[134:135], v[8:9], v[14:15], v[134:135]
	v_fma_f64 v[14:15], v[6:7], v[14:15], -v[16:17]
	ds_load_b128 v[6:9], v1 offset:1136
	s_wait_loadcnt_dscnt 0x701
	v_mul_f64_e32 v[132:133], v[2:3], v[20:21]
	v_mul_f64_e32 v[20:21], v[4:5], v[20:21]
	v_add_f64_e32 v[10:11], v[12:13], v[10:11]
	v_add_f64_e32 v[12:13], v[39:40], v[138:139]
	s_delay_alu instid0(VALU_DEP_4) | instskip(NEXT) | instid1(VALU_DEP_4)
	v_fma_f64 v[39:40], v[4:5], v[18:19], v[132:133]
	v_fma_f64 v[18:19], v[2:3], v[18:19], -v[20:21]
	ds_load_b128 v[2:5], v1 offset:1152
	v_add_f64_e32 v[14:15], v[10:11], v[14:15]
	v_add_f64_e32 v[20:21], v[12:13], v[134:135]
	scratch_load_b128 v[10:13], off, off offset:272
	s_wait_loadcnt_dscnt 0x701
	v_mul_f64_e32 v[16:17], v[6:7], v[24:25]
	v_mul_f64_e32 v[24:25], v[8:9], v[24:25]
	v_add_f64_e32 v[14:15], v[14:15], v[18:19]
	v_add_f64_e32 v[18:19], v[20:21], v[39:40]
	s_delay_alu instid0(VALU_DEP_4) | instskip(NEXT) | instid1(VALU_DEP_4)
	v_fma_f64 v[16:17], v[8:9], v[22:23], v[16:17]
	v_fma_f64 v[22:23], v[6:7], v[22:23], -v[24:25]
	ds_load_b128 v[6:9], v1 offset:1168
	s_wait_loadcnt_dscnt 0x601
	v_mul_f64_e32 v[132:133], v[2:3], v[28:29]
	v_mul_f64_e32 v[28:29], v[4:5], v[28:29]
	s_wait_loadcnt_dscnt 0x500
	v_mul_f64_e32 v[20:21], v[6:7], v[32:33]
	v_mul_f64_e32 v[24:25], v[8:9], v[32:33]
	v_add_f64_e32 v[16:17], v[18:19], v[16:17]
	v_add_f64_e32 v[14:15], v[14:15], v[22:23]
	v_fma_f64 v[32:33], v[4:5], v[26:27], v[132:133]
	v_fma_f64 v[26:27], v[2:3], v[26:27], -v[28:29]
	ds_load_b128 v[2:5], v1 offset:1184
	v_fma_f64 v[20:21], v[8:9], v[30:31], v[20:21]
	v_fma_f64 v[24:25], v[6:7], v[30:31], -v[24:25]
	ds_load_b128 v[6:9], v1 offset:1200
	s_wait_loadcnt_dscnt 0x401
	v_mul_f64_e32 v[18:19], v[2:3], v[122:123]
	v_mul_f64_e32 v[22:23], v[4:5], v[122:123]
	v_add_f64_e32 v[16:17], v[16:17], v[32:33]
	v_add_f64_e32 v[14:15], v[14:15], v[26:27]
	s_wait_loadcnt_dscnt 0x300
	v_mul_f64_e32 v[26:27], v[6:7], v[130:131]
	v_mul_f64_e32 v[28:29], v[8:9], v[130:131]
	v_fma_f64 v[18:19], v[4:5], v[120:121], v[18:19]
	v_fma_f64 v[22:23], v[2:3], v[120:121], -v[22:23]
	ds_load_b128 v[2:5], v1 offset:1216
	v_add_f64_e32 v[16:17], v[16:17], v[20:21]
	v_add_f64_e32 v[14:15], v[14:15], v[24:25]
	v_fma_f64 v[26:27], v[8:9], v[128:129], v[26:27]
	v_fma_f64 v[28:29], v[6:7], v[128:129], -v[28:29]
	ds_load_b128 v[6:9], v1 offset:1232
	s_wait_loadcnt_dscnt 0x201
	v_mul_f64_e32 v[20:21], v[2:3], v[36:37]
	v_mul_f64_e32 v[24:25], v[4:5], v[36:37]
	v_add_f64_e32 v[16:17], v[16:17], v[18:19]
	v_add_f64_e32 v[14:15], v[14:15], v[22:23]
	s_wait_loadcnt_dscnt 0x100
	v_mul_f64_e32 v[18:19], v[6:7], v[126:127]
	v_mul_f64_e32 v[22:23], v[8:9], v[126:127]
	v_fma_f64 v[4:5], v[4:5], v[34:35], v[20:21]
	v_fma_f64 v[1:2], v[2:3], v[34:35], -v[24:25]
	v_add_f64_e32 v[16:17], v[16:17], v[26:27]
	v_add_f64_e32 v[14:15], v[14:15], v[28:29]
	v_fma_f64 v[8:9], v[8:9], v[124:125], v[18:19]
	v_fma_f64 v[6:7], v[6:7], v[124:125], -v[22:23]
	s_delay_alu instid0(VALU_DEP_4) | instskip(NEXT) | instid1(VALU_DEP_4)
	v_add_f64_e32 v[3:4], v[16:17], v[4:5]
	v_add_f64_e32 v[1:2], v[14:15], v[1:2]
	s_delay_alu instid0(VALU_DEP_2) | instskip(NEXT) | instid1(VALU_DEP_2)
	v_add_f64_e32 v[3:4], v[3:4], v[8:9]
	v_add_f64_e32 v[1:2], v[1:2], v[6:7]
	s_wait_loadcnt 0x0
	s_delay_alu instid0(VALU_DEP_2) | instskip(NEXT) | instid1(VALU_DEP_2)
	v_add_f64_e64 v[3:4], v[12:13], -v[3:4]
	v_add_f64_e64 v[1:2], v[10:11], -v[1:2]
	scratch_store_b128 off, v[1:4], off offset:272
	v_cmpx_lt_u32_e32 15, v0
	s_cbranch_execz .LBB38_217
; %bb.216:
	scratch_load_b128 v[1:4], off, s33
	v_mov_b32_e32 v5, 0
	s_delay_alu instid0(VALU_DEP_1)
	v_dual_mov_b32 v6, v5 :: v_dual_mov_b32 v7, v5
	v_mov_b32_e32 v8, v5
	scratch_store_b128 off, v[5:8], off offset:256
	s_wait_loadcnt 0x0
	ds_store_b128 v38, v[1:4]
.LBB38_217:
	s_wait_alu 0xfffe
	s_or_b32 exec_lo, exec_lo, s0
	s_wait_storecnt_dscnt 0x0
	s_barrier_signal -1
	s_barrier_wait -1
	global_inv scope:SCOPE_SE
	s_clause 0x7
	scratch_load_b128 v[2:5], off, off offset:272
	scratch_load_b128 v[6:9], off, off offset:288
	;; [unrolled: 1-line block ×8, first 2 shown]
	v_mov_b32_e32 v1, 0
	s_clause 0x1
	scratch_load_b128 v[120:123], off, off offset:400
	scratch_load_b128 v[128:131], off, off offset:416
	s_mov_b32 s0, exec_lo
	ds_load_b128 v[34:37], v1 offset:880
	ds_load_b128 v[124:127], v1 offset:896
	s_wait_loadcnt_dscnt 0x901
	v_mul_f64_e32 v[39:40], v[36:37], v[4:5]
	v_mul_f64_e32 v[4:5], v[34:35], v[4:5]
	s_wait_loadcnt_dscnt 0x800
	v_mul_f64_e32 v[132:133], v[124:125], v[8:9]
	v_mul_f64_e32 v[8:9], v[126:127], v[8:9]
	s_delay_alu instid0(VALU_DEP_4) | instskip(NEXT) | instid1(VALU_DEP_4)
	v_fma_f64 v[39:40], v[34:35], v[2:3], -v[39:40]
	v_fma_f64 v[134:135], v[36:37], v[2:3], v[4:5]
	ds_load_b128 v[2:5], v1 offset:912
	scratch_load_b128 v[34:37], off, off offset:432
	v_fma_f64 v[132:133], v[126:127], v[6:7], v[132:133]
	v_fma_f64 v[138:139], v[124:125], v[6:7], -v[8:9]
	ds_load_b128 v[6:9], v1 offset:928
	scratch_load_b128 v[124:127], off, off offset:448
	s_wait_loadcnt_dscnt 0x901
	v_mul_f64_e32 v[136:137], v[2:3], v[12:13]
	v_mul_f64_e32 v[12:13], v[4:5], v[12:13]
	s_wait_loadcnt_dscnt 0x800
	v_mul_f64_e32 v[140:141], v[6:7], v[16:17]
	v_mul_f64_e32 v[16:17], v[8:9], v[16:17]
	v_add_f64_e32 v[39:40], 0, v[39:40]
	v_add_f64_e32 v[134:135], 0, v[134:135]
	v_fma_f64 v[136:137], v[4:5], v[10:11], v[136:137]
	v_fma_f64 v[142:143], v[2:3], v[10:11], -v[12:13]
	ds_load_b128 v[2:5], v1 offset:944
	scratch_load_b128 v[10:13], off, off offset:464
	v_add_f64_e32 v[39:40], v[39:40], v[138:139]
	v_add_f64_e32 v[132:133], v[134:135], v[132:133]
	v_fma_f64 v[138:139], v[8:9], v[14:15], v[140:141]
	v_fma_f64 v[140:141], v[6:7], v[14:15], -v[16:17]
	ds_load_b128 v[6:9], v1 offset:960
	scratch_load_b128 v[14:17], off, off offset:480
	s_wait_loadcnt_dscnt 0x901
	v_mul_f64_e32 v[134:135], v[2:3], v[20:21]
	v_mul_f64_e32 v[20:21], v[4:5], v[20:21]
	v_add_f64_e32 v[39:40], v[39:40], v[142:143]
	v_add_f64_e32 v[132:133], v[132:133], v[136:137]
	s_wait_loadcnt_dscnt 0x800
	v_mul_f64_e32 v[136:137], v[6:7], v[24:25]
	v_mul_f64_e32 v[24:25], v[8:9], v[24:25]
	v_fma_f64 v[134:135], v[4:5], v[18:19], v[134:135]
	v_fma_f64 v[142:143], v[2:3], v[18:19], -v[20:21]
	ds_load_b128 v[2:5], v1 offset:976
	scratch_load_b128 v[18:21], off, off offset:496
	v_add_f64_e32 v[39:40], v[39:40], v[140:141]
	v_add_f64_e32 v[132:133], v[132:133], v[138:139]
	v_fma_f64 v[136:137], v[8:9], v[22:23], v[136:137]
	v_fma_f64 v[140:141], v[6:7], v[22:23], -v[24:25]
	ds_load_b128 v[6:9], v1 offset:992
	s_wait_loadcnt_dscnt 0x801
	v_mul_f64_e32 v[138:139], v[2:3], v[28:29]
	v_mul_f64_e32 v[28:29], v[4:5], v[28:29]
	scratch_load_b128 v[22:25], off, off offset:512
	v_add_f64_e32 v[39:40], v[39:40], v[142:143]
	v_add_f64_e32 v[132:133], v[132:133], v[134:135]
	s_wait_loadcnt_dscnt 0x800
	v_mul_f64_e32 v[134:135], v[6:7], v[32:33]
	v_mul_f64_e32 v[32:33], v[8:9], v[32:33]
	v_fma_f64 v[138:139], v[4:5], v[26:27], v[138:139]
	v_fma_f64 v[142:143], v[2:3], v[26:27], -v[28:29]
	ds_load_b128 v[2:5], v1 offset:1008
	scratch_load_b128 v[26:29], off, off offset:528
	v_add_f64_e32 v[39:40], v[39:40], v[140:141]
	v_add_f64_e32 v[132:133], v[132:133], v[136:137]
	v_fma_f64 v[134:135], v[8:9], v[30:31], v[134:135]
	v_fma_f64 v[140:141], v[6:7], v[30:31], -v[32:33]
	ds_load_b128 v[6:9], v1 offset:1024
	s_wait_loadcnt_dscnt 0x801
	v_mul_f64_e32 v[136:137], v[2:3], v[122:123]
	v_mul_f64_e32 v[122:123], v[4:5], v[122:123]
	scratch_load_b128 v[30:33], off, off offset:544
	v_add_f64_e32 v[39:40], v[39:40], v[142:143]
	v_add_f64_e32 v[132:133], v[132:133], v[138:139]
	s_wait_loadcnt_dscnt 0x800
	v_mul_f64_e32 v[138:139], v[6:7], v[130:131]
	v_mul_f64_e32 v[130:131], v[8:9], v[130:131]
	v_fma_f64 v[136:137], v[4:5], v[120:121], v[136:137]
	v_fma_f64 v[142:143], v[2:3], v[120:121], -v[122:123]
	ds_load_b128 v[2:5], v1 offset:1040
	scratch_load_b128 v[120:123], off, off offset:560
	v_add_f64_e32 v[39:40], v[39:40], v[140:141]
	v_add_f64_e32 v[132:133], v[132:133], v[134:135]
	v_fma_f64 v[138:139], v[8:9], v[128:129], v[138:139]
	v_fma_f64 v[140:141], v[6:7], v[128:129], -v[130:131]
	ds_load_b128 v[6:9], v1 offset:1056
	scratch_load_b128 v[128:131], off, off offset:576
	s_wait_loadcnt_dscnt 0x901
	v_mul_f64_e32 v[134:135], v[2:3], v[36:37]
	v_mul_f64_e32 v[36:37], v[4:5], v[36:37]
	v_add_f64_e32 v[39:40], v[39:40], v[142:143]
	v_add_f64_e32 v[132:133], v[132:133], v[136:137]
	s_wait_loadcnt_dscnt 0x800
	v_mul_f64_e32 v[136:137], v[6:7], v[126:127]
	v_mul_f64_e32 v[126:127], v[8:9], v[126:127]
	v_fma_f64 v[134:135], v[4:5], v[34:35], v[134:135]
	v_fma_f64 v[142:143], v[2:3], v[34:35], -v[36:37]
	ds_load_b128 v[2:5], v1 offset:1072
	scratch_load_b128 v[34:37], off, off offset:592
	v_add_f64_e32 v[39:40], v[39:40], v[140:141]
	v_add_f64_e32 v[132:133], v[132:133], v[138:139]
	v_fma_f64 v[136:137], v[8:9], v[124:125], v[136:137]
	v_fma_f64 v[140:141], v[6:7], v[124:125], -v[126:127]
	ds_load_b128 v[6:9], v1 offset:1088
	s_wait_loadcnt_dscnt 0x801
	v_mul_f64_e32 v[138:139], v[2:3], v[12:13]
	v_mul_f64_e32 v[12:13], v[4:5], v[12:13]
	scratch_load_b128 v[124:127], off, off offset:608
	v_add_f64_e32 v[39:40], v[39:40], v[142:143]
	v_add_f64_e32 v[132:133], v[132:133], v[134:135]
	s_wait_loadcnt_dscnt 0x800
	v_mul_f64_e32 v[134:135], v[6:7], v[16:17]
	v_mul_f64_e32 v[16:17], v[8:9], v[16:17]
	v_fma_f64 v[138:139], v[4:5], v[10:11], v[138:139]
	v_fma_f64 v[142:143], v[2:3], v[10:11], -v[12:13]
	ds_load_b128 v[2:5], v1 offset:1104
	scratch_load_b128 v[10:13], off, off offset:624
	v_add_f64_e32 v[39:40], v[39:40], v[140:141]
	v_add_f64_e32 v[132:133], v[132:133], v[136:137]
	v_fma_f64 v[134:135], v[8:9], v[14:15], v[134:135]
	v_fma_f64 v[14:15], v[6:7], v[14:15], -v[16:17]
	ds_load_b128 v[6:9], v1 offset:1120
	s_wait_loadcnt_dscnt 0x801
	v_mul_f64_e32 v[136:137], v[2:3], v[20:21]
	v_mul_f64_e32 v[20:21], v[4:5], v[20:21]
	v_add_f64_e32 v[16:17], v[39:40], v[142:143]
	v_add_f64_e32 v[39:40], v[132:133], v[138:139]
	s_wait_loadcnt_dscnt 0x700
	v_mul_f64_e32 v[132:133], v[6:7], v[24:25]
	v_mul_f64_e32 v[24:25], v[8:9], v[24:25]
	v_fma_f64 v[136:137], v[4:5], v[18:19], v[136:137]
	v_fma_f64 v[18:19], v[2:3], v[18:19], -v[20:21]
	ds_load_b128 v[2:5], v1 offset:1136
	v_add_f64_e32 v[14:15], v[16:17], v[14:15]
	v_add_f64_e32 v[16:17], v[39:40], v[134:135]
	v_fma_f64 v[39:40], v[8:9], v[22:23], v[132:133]
	v_fma_f64 v[22:23], v[6:7], v[22:23], -v[24:25]
	ds_load_b128 v[6:9], v1 offset:1152
	s_wait_loadcnt_dscnt 0x500
	v_mul_f64_e32 v[132:133], v[6:7], v[32:33]
	v_mul_f64_e32 v[32:33], v[8:9], v[32:33]
	v_add_f64_e32 v[18:19], v[14:15], v[18:19]
	v_add_f64_e32 v[24:25], v[16:17], v[136:137]
	scratch_load_b128 v[14:17], off, off offset:256
	v_mul_f64_e32 v[20:21], v[2:3], v[28:29]
	v_mul_f64_e32 v[28:29], v[4:5], v[28:29]
	v_add_f64_e32 v[18:19], v[18:19], v[22:23]
	v_add_f64_e32 v[22:23], v[24:25], v[39:40]
	v_fma_f64 v[39:40], v[8:9], v[30:31], v[132:133]
	v_fma_f64 v[20:21], v[4:5], v[26:27], v[20:21]
	v_fma_f64 v[26:27], v[2:3], v[26:27], -v[28:29]
	ds_load_b128 v[2:5], v1 offset:1168
	v_fma_f64 v[30:31], v[6:7], v[30:31], -v[32:33]
	ds_load_b128 v[6:9], v1 offset:1184
	s_wait_loadcnt_dscnt 0x501
	v_mul_f64_e32 v[24:25], v[2:3], v[122:123]
	v_mul_f64_e32 v[28:29], v[4:5], v[122:123]
	v_add_f64_e32 v[20:21], v[22:23], v[20:21]
	v_add_f64_e32 v[18:19], v[18:19], v[26:27]
	s_wait_loadcnt_dscnt 0x400
	v_mul_f64_e32 v[22:23], v[6:7], v[130:131]
	v_mul_f64_e32 v[26:27], v[8:9], v[130:131]
	v_fma_f64 v[24:25], v[4:5], v[120:121], v[24:25]
	v_fma_f64 v[28:29], v[2:3], v[120:121], -v[28:29]
	ds_load_b128 v[2:5], v1 offset:1200
	v_add_f64_e32 v[20:21], v[20:21], v[39:40]
	v_add_f64_e32 v[18:19], v[18:19], v[30:31]
	v_fma_f64 v[22:23], v[8:9], v[128:129], v[22:23]
	v_fma_f64 v[26:27], v[6:7], v[128:129], -v[26:27]
	ds_load_b128 v[6:9], v1 offset:1216
	s_wait_loadcnt_dscnt 0x301
	v_mul_f64_e32 v[30:31], v[2:3], v[36:37]
	v_mul_f64_e32 v[32:33], v[4:5], v[36:37]
	v_add_f64_e32 v[20:21], v[20:21], v[24:25]
	v_add_f64_e32 v[18:19], v[18:19], v[28:29]
	s_wait_loadcnt_dscnt 0x200
	v_mul_f64_e32 v[24:25], v[6:7], v[126:127]
	v_mul_f64_e32 v[28:29], v[8:9], v[126:127]
	v_fma_f64 v[30:31], v[4:5], v[34:35], v[30:31]
	v_fma_f64 v[32:33], v[2:3], v[34:35], -v[32:33]
	ds_load_b128 v[2:5], v1 offset:1232
	v_add_f64_e32 v[20:21], v[20:21], v[22:23]
	v_add_f64_e32 v[18:19], v[18:19], v[26:27]
	s_wait_loadcnt_dscnt 0x100
	v_mul_f64_e32 v[22:23], v[2:3], v[12:13]
	v_mul_f64_e32 v[12:13], v[4:5], v[12:13]
	v_fma_f64 v[8:9], v[8:9], v[124:125], v[24:25]
	v_fma_f64 v[6:7], v[6:7], v[124:125], -v[28:29]
	v_add_f64_e32 v[20:21], v[20:21], v[30:31]
	v_add_f64_e32 v[18:19], v[18:19], v[32:33]
	v_fma_f64 v[4:5], v[4:5], v[10:11], v[22:23]
	v_fma_f64 v[2:3], v[2:3], v[10:11], -v[12:13]
	s_delay_alu instid0(VALU_DEP_4) | instskip(NEXT) | instid1(VALU_DEP_4)
	v_add_f64_e32 v[8:9], v[20:21], v[8:9]
	v_add_f64_e32 v[6:7], v[18:19], v[6:7]
	s_delay_alu instid0(VALU_DEP_2) | instskip(NEXT) | instid1(VALU_DEP_2)
	v_add_f64_e32 v[4:5], v[8:9], v[4:5]
	v_add_f64_e32 v[2:3], v[6:7], v[2:3]
	s_wait_loadcnt 0x0
	s_delay_alu instid0(VALU_DEP_2) | instskip(NEXT) | instid1(VALU_DEP_2)
	v_add_f64_e64 v[4:5], v[16:17], -v[4:5]
	v_add_f64_e64 v[2:3], v[14:15], -v[2:3]
	scratch_store_b128 off, v[2:5], off offset:256
	v_cmpx_lt_u32_e32 14, v0
	s_cbranch_execz .LBB38_219
; %bb.218:
	scratch_load_b128 v[5:8], off, s39
	v_dual_mov_b32 v2, v1 :: v_dual_mov_b32 v3, v1
	v_mov_b32_e32 v4, v1
	scratch_store_b128 off, v[1:4], off offset:240
	s_wait_loadcnt 0x0
	ds_store_b128 v38, v[5:8]
.LBB38_219:
	s_wait_alu 0xfffe
	s_or_b32 exec_lo, exec_lo, s0
	s_wait_storecnt_dscnt 0x0
	s_barrier_signal -1
	s_barrier_wait -1
	global_inv scope:SCOPE_SE
	s_clause 0x7
	scratch_load_b128 v[2:5], off, off offset:256
	scratch_load_b128 v[6:9], off, off offset:272
	;; [unrolled: 1-line block ×8, first 2 shown]
	ds_load_b128 v[34:37], v1 offset:864
	ds_load_b128 v[124:127], v1 offset:880
	s_clause 0x1
	scratch_load_b128 v[120:123], off, off offset:384
	scratch_load_b128 v[128:131], off, off offset:400
	s_mov_b32 s0, exec_lo
	s_wait_loadcnt_dscnt 0x901
	v_mul_f64_e32 v[39:40], v[36:37], v[4:5]
	v_mul_f64_e32 v[4:5], v[34:35], v[4:5]
	s_wait_loadcnt_dscnt 0x800
	v_mul_f64_e32 v[132:133], v[124:125], v[8:9]
	v_mul_f64_e32 v[8:9], v[126:127], v[8:9]
	s_delay_alu instid0(VALU_DEP_4) | instskip(NEXT) | instid1(VALU_DEP_4)
	v_fma_f64 v[39:40], v[34:35], v[2:3], -v[39:40]
	v_fma_f64 v[134:135], v[36:37], v[2:3], v[4:5]
	ds_load_b128 v[2:5], v1 offset:896
	scratch_load_b128 v[34:37], off, off offset:416
	v_fma_f64 v[132:133], v[126:127], v[6:7], v[132:133]
	v_fma_f64 v[138:139], v[124:125], v[6:7], -v[8:9]
	ds_load_b128 v[6:9], v1 offset:912
	scratch_load_b128 v[124:127], off, off offset:432
	s_wait_loadcnt_dscnt 0x901
	v_mul_f64_e32 v[136:137], v[2:3], v[12:13]
	v_mul_f64_e32 v[12:13], v[4:5], v[12:13]
	s_wait_loadcnt_dscnt 0x800
	v_mul_f64_e32 v[140:141], v[6:7], v[16:17]
	v_mul_f64_e32 v[16:17], v[8:9], v[16:17]
	v_add_f64_e32 v[39:40], 0, v[39:40]
	v_add_f64_e32 v[134:135], 0, v[134:135]
	v_fma_f64 v[136:137], v[4:5], v[10:11], v[136:137]
	v_fma_f64 v[142:143], v[2:3], v[10:11], -v[12:13]
	ds_load_b128 v[2:5], v1 offset:928
	scratch_load_b128 v[10:13], off, off offset:448
	v_add_f64_e32 v[39:40], v[39:40], v[138:139]
	v_add_f64_e32 v[132:133], v[134:135], v[132:133]
	v_fma_f64 v[138:139], v[8:9], v[14:15], v[140:141]
	v_fma_f64 v[140:141], v[6:7], v[14:15], -v[16:17]
	ds_load_b128 v[6:9], v1 offset:944
	scratch_load_b128 v[14:17], off, off offset:464
	s_wait_loadcnt_dscnt 0x901
	v_mul_f64_e32 v[134:135], v[2:3], v[20:21]
	v_mul_f64_e32 v[20:21], v[4:5], v[20:21]
	v_add_f64_e32 v[39:40], v[39:40], v[142:143]
	v_add_f64_e32 v[132:133], v[132:133], v[136:137]
	s_wait_loadcnt_dscnt 0x800
	v_mul_f64_e32 v[136:137], v[6:7], v[24:25]
	v_mul_f64_e32 v[24:25], v[8:9], v[24:25]
	v_fma_f64 v[134:135], v[4:5], v[18:19], v[134:135]
	v_fma_f64 v[142:143], v[2:3], v[18:19], -v[20:21]
	ds_load_b128 v[2:5], v1 offset:960
	scratch_load_b128 v[18:21], off, off offset:480
	v_add_f64_e32 v[39:40], v[39:40], v[140:141]
	v_add_f64_e32 v[132:133], v[132:133], v[138:139]
	v_fma_f64 v[136:137], v[8:9], v[22:23], v[136:137]
	v_fma_f64 v[140:141], v[6:7], v[22:23], -v[24:25]
	ds_load_b128 v[6:9], v1 offset:976
	s_wait_loadcnt_dscnt 0x801
	v_mul_f64_e32 v[138:139], v[2:3], v[28:29]
	v_mul_f64_e32 v[28:29], v[4:5], v[28:29]
	scratch_load_b128 v[22:25], off, off offset:496
	v_add_f64_e32 v[39:40], v[39:40], v[142:143]
	v_add_f64_e32 v[132:133], v[132:133], v[134:135]
	s_wait_loadcnt_dscnt 0x800
	v_mul_f64_e32 v[134:135], v[6:7], v[32:33]
	v_mul_f64_e32 v[32:33], v[8:9], v[32:33]
	v_fma_f64 v[138:139], v[4:5], v[26:27], v[138:139]
	v_fma_f64 v[142:143], v[2:3], v[26:27], -v[28:29]
	ds_load_b128 v[2:5], v1 offset:992
	scratch_load_b128 v[26:29], off, off offset:512
	v_add_f64_e32 v[39:40], v[39:40], v[140:141]
	v_add_f64_e32 v[132:133], v[132:133], v[136:137]
	v_fma_f64 v[134:135], v[8:9], v[30:31], v[134:135]
	v_fma_f64 v[140:141], v[6:7], v[30:31], -v[32:33]
	ds_load_b128 v[6:9], v1 offset:1008
	s_wait_loadcnt_dscnt 0x801
	v_mul_f64_e32 v[136:137], v[2:3], v[122:123]
	v_mul_f64_e32 v[122:123], v[4:5], v[122:123]
	scratch_load_b128 v[30:33], off, off offset:528
	v_add_f64_e32 v[39:40], v[39:40], v[142:143]
	v_add_f64_e32 v[132:133], v[132:133], v[138:139]
	s_wait_loadcnt_dscnt 0x800
	v_mul_f64_e32 v[138:139], v[6:7], v[130:131]
	v_mul_f64_e32 v[130:131], v[8:9], v[130:131]
	v_fma_f64 v[136:137], v[4:5], v[120:121], v[136:137]
	v_fma_f64 v[142:143], v[2:3], v[120:121], -v[122:123]
	ds_load_b128 v[2:5], v1 offset:1024
	scratch_load_b128 v[120:123], off, off offset:544
	v_add_f64_e32 v[39:40], v[39:40], v[140:141]
	v_add_f64_e32 v[132:133], v[132:133], v[134:135]
	v_fma_f64 v[138:139], v[8:9], v[128:129], v[138:139]
	v_fma_f64 v[140:141], v[6:7], v[128:129], -v[130:131]
	ds_load_b128 v[6:9], v1 offset:1040
	scratch_load_b128 v[128:131], off, off offset:560
	s_wait_loadcnt_dscnt 0x901
	v_mul_f64_e32 v[134:135], v[2:3], v[36:37]
	v_mul_f64_e32 v[36:37], v[4:5], v[36:37]
	v_add_f64_e32 v[39:40], v[39:40], v[142:143]
	v_add_f64_e32 v[132:133], v[132:133], v[136:137]
	s_wait_loadcnt_dscnt 0x800
	v_mul_f64_e32 v[136:137], v[6:7], v[126:127]
	v_mul_f64_e32 v[126:127], v[8:9], v[126:127]
	v_fma_f64 v[134:135], v[4:5], v[34:35], v[134:135]
	v_fma_f64 v[142:143], v[2:3], v[34:35], -v[36:37]
	ds_load_b128 v[2:5], v1 offset:1056
	scratch_load_b128 v[34:37], off, off offset:576
	v_add_f64_e32 v[39:40], v[39:40], v[140:141]
	v_add_f64_e32 v[132:133], v[132:133], v[138:139]
	v_fma_f64 v[136:137], v[8:9], v[124:125], v[136:137]
	v_fma_f64 v[140:141], v[6:7], v[124:125], -v[126:127]
	ds_load_b128 v[6:9], v1 offset:1072
	s_wait_loadcnt_dscnt 0x801
	v_mul_f64_e32 v[138:139], v[2:3], v[12:13]
	v_mul_f64_e32 v[12:13], v[4:5], v[12:13]
	scratch_load_b128 v[124:127], off, off offset:592
	v_add_f64_e32 v[39:40], v[39:40], v[142:143]
	v_add_f64_e32 v[132:133], v[132:133], v[134:135]
	s_wait_loadcnt_dscnt 0x800
	v_mul_f64_e32 v[134:135], v[6:7], v[16:17]
	v_mul_f64_e32 v[16:17], v[8:9], v[16:17]
	v_fma_f64 v[138:139], v[4:5], v[10:11], v[138:139]
	v_fma_f64 v[142:143], v[2:3], v[10:11], -v[12:13]
	ds_load_b128 v[2:5], v1 offset:1088
	scratch_load_b128 v[10:13], off, off offset:608
	v_add_f64_e32 v[39:40], v[39:40], v[140:141]
	v_add_f64_e32 v[132:133], v[132:133], v[136:137]
	v_fma_f64 v[134:135], v[8:9], v[14:15], v[134:135]
	v_fma_f64 v[140:141], v[6:7], v[14:15], -v[16:17]
	ds_load_b128 v[6:9], v1 offset:1104
	s_wait_loadcnt_dscnt 0x801
	v_mul_f64_e32 v[136:137], v[2:3], v[20:21]
	v_mul_f64_e32 v[20:21], v[4:5], v[20:21]
	scratch_load_b128 v[14:17], off, off offset:624
	v_add_f64_e32 v[39:40], v[39:40], v[142:143]
	v_add_f64_e32 v[132:133], v[132:133], v[138:139]
	s_wait_loadcnt_dscnt 0x800
	v_mul_f64_e32 v[138:139], v[6:7], v[24:25]
	v_mul_f64_e32 v[24:25], v[8:9], v[24:25]
	v_fma_f64 v[136:137], v[4:5], v[18:19], v[136:137]
	v_fma_f64 v[18:19], v[2:3], v[18:19], -v[20:21]
	ds_load_b128 v[2:5], v1 offset:1120
	v_add_f64_e32 v[20:21], v[39:40], v[140:141]
	v_add_f64_e32 v[39:40], v[132:133], v[134:135]
	v_fma_f64 v[134:135], v[8:9], v[22:23], v[138:139]
	v_fma_f64 v[22:23], v[6:7], v[22:23], -v[24:25]
	ds_load_b128 v[6:9], v1 offset:1136
	s_wait_loadcnt_dscnt 0x701
	v_mul_f64_e32 v[132:133], v[2:3], v[28:29]
	v_mul_f64_e32 v[28:29], v[4:5], v[28:29]
	v_add_f64_e32 v[18:19], v[20:21], v[18:19]
	v_add_f64_e32 v[20:21], v[39:40], v[136:137]
	s_delay_alu instid0(VALU_DEP_4) | instskip(NEXT) | instid1(VALU_DEP_4)
	v_fma_f64 v[39:40], v[4:5], v[26:27], v[132:133]
	v_fma_f64 v[26:27], v[2:3], v[26:27], -v[28:29]
	ds_load_b128 v[2:5], v1 offset:1152
	v_add_f64_e32 v[22:23], v[18:19], v[22:23]
	v_add_f64_e32 v[28:29], v[20:21], v[134:135]
	scratch_load_b128 v[18:21], off, off offset:240
	s_wait_loadcnt_dscnt 0x701
	v_mul_f64_e32 v[24:25], v[6:7], v[32:33]
	v_mul_f64_e32 v[32:33], v[8:9], v[32:33]
	v_add_f64_e32 v[22:23], v[22:23], v[26:27]
	v_add_f64_e32 v[26:27], v[28:29], v[39:40]
	s_delay_alu instid0(VALU_DEP_4) | instskip(NEXT) | instid1(VALU_DEP_4)
	v_fma_f64 v[24:25], v[8:9], v[30:31], v[24:25]
	v_fma_f64 v[30:31], v[6:7], v[30:31], -v[32:33]
	ds_load_b128 v[6:9], v1 offset:1168
	s_wait_loadcnt_dscnt 0x601
	v_mul_f64_e32 v[132:133], v[2:3], v[122:123]
	v_mul_f64_e32 v[122:123], v[4:5], v[122:123]
	s_wait_loadcnt_dscnt 0x500
	v_mul_f64_e32 v[28:29], v[6:7], v[130:131]
	v_mul_f64_e32 v[32:33], v[8:9], v[130:131]
	v_add_f64_e32 v[24:25], v[26:27], v[24:25]
	v_add_f64_e32 v[22:23], v[22:23], v[30:31]
	v_fma_f64 v[39:40], v[4:5], v[120:121], v[132:133]
	v_fma_f64 v[120:121], v[2:3], v[120:121], -v[122:123]
	ds_load_b128 v[2:5], v1 offset:1184
	v_fma_f64 v[28:29], v[8:9], v[128:129], v[28:29]
	v_fma_f64 v[32:33], v[6:7], v[128:129], -v[32:33]
	ds_load_b128 v[6:9], v1 offset:1200
	s_wait_loadcnt_dscnt 0x401
	v_mul_f64_e32 v[26:27], v[2:3], v[36:37]
	v_mul_f64_e32 v[30:31], v[4:5], v[36:37]
	v_add_f64_e32 v[24:25], v[24:25], v[39:40]
	v_add_f64_e32 v[22:23], v[22:23], v[120:121]
	s_wait_loadcnt_dscnt 0x300
	v_mul_f64_e32 v[36:37], v[6:7], v[126:127]
	v_mul_f64_e32 v[39:40], v[8:9], v[126:127]
	v_fma_f64 v[26:27], v[4:5], v[34:35], v[26:27]
	v_fma_f64 v[30:31], v[2:3], v[34:35], -v[30:31]
	ds_load_b128 v[2:5], v1 offset:1216
	v_add_f64_e32 v[24:25], v[24:25], v[28:29]
	v_add_f64_e32 v[22:23], v[22:23], v[32:33]
	v_fma_f64 v[32:33], v[8:9], v[124:125], v[36:37]
	v_fma_f64 v[34:35], v[6:7], v[124:125], -v[39:40]
	ds_load_b128 v[6:9], v1 offset:1232
	s_wait_loadcnt_dscnt 0x201
	v_mul_f64_e32 v[28:29], v[2:3], v[12:13]
	v_mul_f64_e32 v[12:13], v[4:5], v[12:13]
	v_add_f64_e32 v[24:25], v[24:25], v[26:27]
	v_add_f64_e32 v[22:23], v[22:23], v[30:31]
	s_wait_loadcnt_dscnt 0x100
	v_mul_f64_e32 v[26:27], v[6:7], v[16:17]
	v_mul_f64_e32 v[16:17], v[8:9], v[16:17]
	v_fma_f64 v[4:5], v[4:5], v[10:11], v[28:29]
	v_fma_f64 v[1:2], v[2:3], v[10:11], -v[12:13]
	v_add_f64_e32 v[12:13], v[24:25], v[32:33]
	v_add_f64_e32 v[10:11], v[22:23], v[34:35]
	v_fma_f64 v[8:9], v[8:9], v[14:15], v[26:27]
	v_fma_f64 v[6:7], v[6:7], v[14:15], -v[16:17]
	s_delay_alu instid0(VALU_DEP_4) | instskip(NEXT) | instid1(VALU_DEP_4)
	v_add_f64_e32 v[3:4], v[12:13], v[4:5]
	v_add_f64_e32 v[1:2], v[10:11], v[1:2]
	s_delay_alu instid0(VALU_DEP_2) | instskip(NEXT) | instid1(VALU_DEP_2)
	v_add_f64_e32 v[3:4], v[3:4], v[8:9]
	v_add_f64_e32 v[1:2], v[1:2], v[6:7]
	s_wait_loadcnt 0x0
	s_delay_alu instid0(VALU_DEP_2) | instskip(NEXT) | instid1(VALU_DEP_2)
	v_add_f64_e64 v[3:4], v[20:21], -v[3:4]
	v_add_f64_e64 v[1:2], v[18:19], -v[1:2]
	scratch_store_b128 off, v[1:4], off offset:240
	v_cmpx_lt_u32_e32 13, v0
	s_cbranch_execz .LBB38_221
; %bb.220:
	scratch_load_b128 v[1:4], off, s38
	v_mov_b32_e32 v5, 0
	s_delay_alu instid0(VALU_DEP_1)
	v_dual_mov_b32 v6, v5 :: v_dual_mov_b32 v7, v5
	v_mov_b32_e32 v8, v5
	scratch_store_b128 off, v[5:8], off offset:224
	s_wait_loadcnt 0x0
	ds_store_b128 v38, v[1:4]
.LBB38_221:
	s_wait_alu 0xfffe
	s_or_b32 exec_lo, exec_lo, s0
	s_wait_storecnt_dscnt 0x0
	s_barrier_signal -1
	s_barrier_wait -1
	global_inv scope:SCOPE_SE
	s_clause 0x7
	scratch_load_b128 v[2:5], off, off offset:240
	scratch_load_b128 v[6:9], off, off offset:256
	;; [unrolled: 1-line block ×8, first 2 shown]
	v_mov_b32_e32 v1, 0
	s_clause 0x1
	scratch_load_b128 v[120:123], off, off offset:368
	scratch_load_b128 v[128:131], off, off offset:384
	s_mov_b32 s0, exec_lo
	ds_load_b128 v[34:37], v1 offset:848
	ds_load_b128 v[124:127], v1 offset:864
	s_wait_loadcnt_dscnt 0x901
	v_mul_f64_e32 v[39:40], v[36:37], v[4:5]
	v_mul_f64_e32 v[4:5], v[34:35], v[4:5]
	s_wait_loadcnt_dscnt 0x800
	v_mul_f64_e32 v[132:133], v[124:125], v[8:9]
	v_mul_f64_e32 v[8:9], v[126:127], v[8:9]
	s_delay_alu instid0(VALU_DEP_4) | instskip(NEXT) | instid1(VALU_DEP_4)
	v_fma_f64 v[39:40], v[34:35], v[2:3], -v[39:40]
	v_fma_f64 v[134:135], v[36:37], v[2:3], v[4:5]
	ds_load_b128 v[2:5], v1 offset:880
	scratch_load_b128 v[34:37], off, off offset:400
	v_fma_f64 v[132:133], v[126:127], v[6:7], v[132:133]
	v_fma_f64 v[138:139], v[124:125], v[6:7], -v[8:9]
	ds_load_b128 v[6:9], v1 offset:896
	scratch_load_b128 v[124:127], off, off offset:416
	s_wait_loadcnt_dscnt 0x901
	v_mul_f64_e32 v[136:137], v[2:3], v[12:13]
	v_mul_f64_e32 v[12:13], v[4:5], v[12:13]
	s_wait_loadcnt_dscnt 0x800
	v_mul_f64_e32 v[140:141], v[6:7], v[16:17]
	v_mul_f64_e32 v[16:17], v[8:9], v[16:17]
	v_add_f64_e32 v[39:40], 0, v[39:40]
	v_add_f64_e32 v[134:135], 0, v[134:135]
	v_fma_f64 v[136:137], v[4:5], v[10:11], v[136:137]
	v_fma_f64 v[142:143], v[2:3], v[10:11], -v[12:13]
	ds_load_b128 v[2:5], v1 offset:912
	scratch_load_b128 v[10:13], off, off offset:432
	v_add_f64_e32 v[39:40], v[39:40], v[138:139]
	v_add_f64_e32 v[132:133], v[134:135], v[132:133]
	v_fma_f64 v[138:139], v[8:9], v[14:15], v[140:141]
	v_fma_f64 v[140:141], v[6:7], v[14:15], -v[16:17]
	ds_load_b128 v[6:9], v1 offset:928
	scratch_load_b128 v[14:17], off, off offset:448
	s_wait_loadcnt_dscnt 0x901
	v_mul_f64_e32 v[134:135], v[2:3], v[20:21]
	v_mul_f64_e32 v[20:21], v[4:5], v[20:21]
	v_add_f64_e32 v[39:40], v[39:40], v[142:143]
	v_add_f64_e32 v[132:133], v[132:133], v[136:137]
	s_wait_loadcnt_dscnt 0x800
	v_mul_f64_e32 v[136:137], v[6:7], v[24:25]
	v_mul_f64_e32 v[24:25], v[8:9], v[24:25]
	v_fma_f64 v[134:135], v[4:5], v[18:19], v[134:135]
	v_fma_f64 v[142:143], v[2:3], v[18:19], -v[20:21]
	ds_load_b128 v[2:5], v1 offset:944
	scratch_load_b128 v[18:21], off, off offset:464
	v_add_f64_e32 v[39:40], v[39:40], v[140:141]
	v_add_f64_e32 v[132:133], v[132:133], v[138:139]
	v_fma_f64 v[136:137], v[8:9], v[22:23], v[136:137]
	v_fma_f64 v[140:141], v[6:7], v[22:23], -v[24:25]
	ds_load_b128 v[6:9], v1 offset:960
	s_wait_loadcnt_dscnt 0x801
	v_mul_f64_e32 v[138:139], v[2:3], v[28:29]
	v_mul_f64_e32 v[28:29], v[4:5], v[28:29]
	scratch_load_b128 v[22:25], off, off offset:480
	v_add_f64_e32 v[39:40], v[39:40], v[142:143]
	v_add_f64_e32 v[132:133], v[132:133], v[134:135]
	s_wait_loadcnt_dscnt 0x800
	v_mul_f64_e32 v[134:135], v[6:7], v[32:33]
	v_mul_f64_e32 v[32:33], v[8:9], v[32:33]
	v_fma_f64 v[138:139], v[4:5], v[26:27], v[138:139]
	v_fma_f64 v[142:143], v[2:3], v[26:27], -v[28:29]
	ds_load_b128 v[2:5], v1 offset:976
	scratch_load_b128 v[26:29], off, off offset:496
	v_add_f64_e32 v[39:40], v[39:40], v[140:141]
	v_add_f64_e32 v[132:133], v[132:133], v[136:137]
	v_fma_f64 v[134:135], v[8:9], v[30:31], v[134:135]
	v_fma_f64 v[140:141], v[6:7], v[30:31], -v[32:33]
	ds_load_b128 v[6:9], v1 offset:992
	s_wait_loadcnt_dscnt 0x801
	v_mul_f64_e32 v[136:137], v[2:3], v[122:123]
	v_mul_f64_e32 v[122:123], v[4:5], v[122:123]
	scratch_load_b128 v[30:33], off, off offset:512
	v_add_f64_e32 v[39:40], v[39:40], v[142:143]
	v_add_f64_e32 v[132:133], v[132:133], v[138:139]
	s_wait_loadcnt_dscnt 0x800
	v_mul_f64_e32 v[138:139], v[6:7], v[130:131]
	v_mul_f64_e32 v[130:131], v[8:9], v[130:131]
	v_fma_f64 v[136:137], v[4:5], v[120:121], v[136:137]
	v_fma_f64 v[142:143], v[2:3], v[120:121], -v[122:123]
	ds_load_b128 v[2:5], v1 offset:1008
	scratch_load_b128 v[120:123], off, off offset:528
	v_add_f64_e32 v[39:40], v[39:40], v[140:141]
	v_add_f64_e32 v[132:133], v[132:133], v[134:135]
	v_fma_f64 v[138:139], v[8:9], v[128:129], v[138:139]
	v_fma_f64 v[140:141], v[6:7], v[128:129], -v[130:131]
	ds_load_b128 v[6:9], v1 offset:1024
	scratch_load_b128 v[128:131], off, off offset:544
	s_wait_loadcnt_dscnt 0x901
	v_mul_f64_e32 v[134:135], v[2:3], v[36:37]
	v_mul_f64_e32 v[36:37], v[4:5], v[36:37]
	v_add_f64_e32 v[39:40], v[39:40], v[142:143]
	v_add_f64_e32 v[132:133], v[132:133], v[136:137]
	s_wait_loadcnt_dscnt 0x800
	v_mul_f64_e32 v[136:137], v[6:7], v[126:127]
	v_mul_f64_e32 v[126:127], v[8:9], v[126:127]
	v_fma_f64 v[134:135], v[4:5], v[34:35], v[134:135]
	v_fma_f64 v[142:143], v[2:3], v[34:35], -v[36:37]
	ds_load_b128 v[2:5], v1 offset:1040
	scratch_load_b128 v[34:37], off, off offset:560
	v_add_f64_e32 v[39:40], v[39:40], v[140:141]
	v_add_f64_e32 v[132:133], v[132:133], v[138:139]
	v_fma_f64 v[136:137], v[8:9], v[124:125], v[136:137]
	v_fma_f64 v[140:141], v[6:7], v[124:125], -v[126:127]
	ds_load_b128 v[6:9], v1 offset:1056
	s_wait_loadcnt_dscnt 0x801
	v_mul_f64_e32 v[138:139], v[2:3], v[12:13]
	v_mul_f64_e32 v[12:13], v[4:5], v[12:13]
	scratch_load_b128 v[124:127], off, off offset:576
	v_add_f64_e32 v[39:40], v[39:40], v[142:143]
	v_add_f64_e32 v[132:133], v[132:133], v[134:135]
	s_wait_loadcnt_dscnt 0x800
	v_mul_f64_e32 v[134:135], v[6:7], v[16:17]
	v_mul_f64_e32 v[16:17], v[8:9], v[16:17]
	v_fma_f64 v[138:139], v[4:5], v[10:11], v[138:139]
	v_fma_f64 v[142:143], v[2:3], v[10:11], -v[12:13]
	ds_load_b128 v[2:5], v1 offset:1072
	scratch_load_b128 v[10:13], off, off offset:592
	v_add_f64_e32 v[39:40], v[39:40], v[140:141]
	v_add_f64_e32 v[132:133], v[132:133], v[136:137]
	v_fma_f64 v[134:135], v[8:9], v[14:15], v[134:135]
	v_fma_f64 v[140:141], v[6:7], v[14:15], -v[16:17]
	ds_load_b128 v[6:9], v1 offset:1088
	s_wait_loadcnt_dscnt 0x801
	v_mul_f64_e32 v[136:137], v[2:3], v[20:21]
	v_mul_f64_e32 v[20:21], v[4:5], v[20:21]
	scratch_load_b128 v[14:17], off, off offset:608
	v_add_f64_e32 v[39:40], v[39:40], v[142:143]
	v_add_f64_e32 v[132:133], v[132:133], v[138:139]
	s_wait_loadcnt_dscnt 0x800
	v_mul_f64_e32 v[138:139], v[6:7], v[24:25]
	v_mul_f64_e32 v[24:25], v[8:9], v[24:25]
	v_fma_f64 v[136:137], v[4:5], v[18:19], v[136:137]
	v_fma_f64 v[142:143], v[2:3], v[18:19], -v[20:21]
	ds_load_b128 v[2:5], v1 offset:1104
	scratch_load_b128 v[18:21], off, off offset:624
	v_add_f64_e32 v[39:40], v[39:40], v[140:141]
	v_add_f64_e32 v[132:133], v[132:133], v[134:135]
	v_fma_f64 v[138:139], v[8:9], v[22:23], v[138:139]
	v_fma_f64 v[22:23], v[6:7], v[22:23], -v[24:25]
	ds_load_b128 v[6:9], v1 offset:1120
	s_wait_loadcnt_dscnt 0x801
	v_mul_f64_e32 v[134:135], v[2:3], v[28:29]
	v_mul_f64_e32 v[28:29], v[4:5], v[28:29]
	v_add_f64_e32 v[24:25], v[39:40], v[142:143]
	v_add_f64_e32 v[39:40], v[132:133], v[136:137]
	s_wait_loadcnt_dscnt 0x700
	v_mul_f64_e32 v[132:133], v[6:7], v[32:33]
	v_mul_f64_e32 v[32:33], v[8:9], v[32:33]
	v_fma_f64 v[134:135], v[4:5], v[26:27], v[134:135]
	v_fma_f64 v[26:27], v[2:3], v[26:27], -v[28:29]
	ds_load_b128 v[2:5], v1 offset:1136
	s_wait_loadcnt_dscnt 0x600
	v_mul_f64_e32 v[28:29], v[2:3], v[122:123]
	v_add_f64_e32 v[22:23], v[24:25], v[22:23]
	v_add_f64_e32 v[24:25], v[39:40], v[138:139]
	v_mul_f64_e32 v[39:40], v[4:5], v[122:123]
	v_fma_f64 v[122:123], v[8:9], v[30:31], v[132:133]
	v_fma_f64 v[30:31], v[6:7], v[30:31], -v[32:33]
	ds_load_b128 v[6:9], v1 offset:1152
	v_fma_f64 v[28:29], v[4:5], v[120:121], v[28:29]
	v_add_f64_e32 v[26:27], v[22:23], v[26:27]
	v_add_f64_e32 v[32:33], v[24:25], v[134:135]
	scratch_load_b128 v[22:25], off, off offset:224
	v_fma_f64 v[39:40], v[2:3], v[120:121], -v[39:40]
	ds_load_b128 v[2:5], v1 offset:1168
	s_wait_loadcnt_dscnt 0x601
	v_mul_f64_e32 v[132:133], v[6:7], v[130:131]
	v_mul_f64_e32 v[130:131], v[8:9], v[130:131]
	v_add_f64_e32 v[26:27], v[26:27], v[30:31]
	v_add_f64_e32 v[30:31], v[32:33], v[122:123]
	s_wait_loadcnt_dscnt 0x500
	v_mul_f64_e32 v[32:33], v[2:3], v[36:37]
	v_mul_f64_e32 v[36:37], v[4:5], v[36:37]
	v_fma_f64 v[120:121], v[8:9], v[128:129], v[132:133]
	v_fma_f64 v[122:123], v[6:7], v[128:129], -v[130:131]
	ds_load_b128 v[6:9], v1 offset:1184
	v_add_f64_e32 v[26:27], v[26:27], v[39:40]
	v_add_f64_e32 v[28:29], v[30:31], v[28:29]
	v_fma_f64 v[32:33], v[4:5], v[34:35], v[32:33]
	v_fma_f64 v[34:35], v[2:3], v[34:35], -v[36:37]
	ds_load_b128 v[2:5], v1 offset:1200
	s_wait_loadcnt_dscnt 0x401
	v_mul_f64_e32 v[30:31], v[6:7], v[126:127]
	v_mul_f64_e32 v[39:40], v[8:9], v[126:127]
	s_wait_loadcnt_dscnt 0x300
	v_mul_f64_e32 v[36:37], v[2:3], v[12:13]
	v_mul_f64_e32 v[12:13], v[4:5], v[12:13]
	v_add_f64_e32 v[26:27], v[26:27], v[122:123]
	v_add_f64_e32 v[28:29], v[28:29], v[120:121]
	v_fma_f64 v[30:31], v[8:9], v[124:125], v[30:31]
	v_fma_f64 v[39:40], v[6:7], v[124:125], -v[39:40]
	ds_load_b128 v[6:9], v1 offset:1216
	v_add_f64_e32 v[26:27], v[26:27], v[34:35]
	v_add_f64_e32 v[28:29], v[28:29], v[32:33]
	v_fma_f64 v[34:35], v[4:5], v[10:11], v[36:37]
	v_fma_f64 v[10:11], v[2:3], v[10:11], -v[12:13]
	ds_load_b128 v[2:5], v1 offset:1232
	s_wait_loadcnt_dscnt 0x201
	v_mul_f64_e32 v[32:33], v[6:7], v[16:17]
	v_mul_f64_e32 v[16:17], v[8:9], v[16:17]
	v_add_f64_e32 v[12:13], v[26:27], v[39:40]
	v_add_f64_e32 v[26:27], v[28:29], v[30:31]
	s_wait_loadcnt_dscnt 0x100
	v_mul_f64_e32 v[28:29], v[2:3], v[20:21]
	v_mul_f64_e32 v[20:21], v[4:5], v[20:21]
	v_fma_f64 v[8:9], v[8:9], v[14:15], v[32:33]
	v_fma_f64 v[6:7], v[6:7], v[14:15], -v[16:17]
	v_add_f64_e32 v[10:11], v[12:13], v[10:11]
	v_add_f64_e32 v[12:13], v[26:27], v[34:35]
	v_fma_f64 v[4:5], v[4:5], v[18:19], v[28:29]
	v_fma_f64 v[2:3], v[2:3], v[18:19], -v[20:21]
	s_delay_alu instid0(VALU_DEP_4) | instskip(NEXT) | instid1(VALU_DEP_4)
	v_add_f64_e32 v[6:7], v[10:11], v[6:7]
	v_add_f64_e32 v[8:9], v[12:13], v[8:9]
	s_delay_alu instid0(VALU_DEP_2) | instskip(NEXT) | instid1(VALU_DEP_2)
	v_add_f64_e32 v[2:3], v[6:7], v[2:3]
	v_add_f64_e32 v[4:5], v[8:9], v[4:5]
	s_wait_loadcnt 0x0
	s_delay_alu instid0(VALU_DEP_2) | instskip(NEXT) | instid1(VALU_DEP_2)
	v_add_f64_e64 v[2:3], v[22:23], -v[2:3]
	v_add_f64_e64 v[4:5], v[24:25], -v[4:5]
	scratch_store_b128 off, v[2:5], off offset:224
	v_cmpx_lt_u32_e32 12, v0
	s_cbranch_execz .LBB38_223
; %bb.222:
	scratch_load_b128 v[5:8], off, s40
	v_dual_mov_b32 v2, v1 :: v_dual_mov_b32 v3, v1
	v_mov_b32_e32 v4, v1
	scratch_store_b128 off, v[1:4], off offset:208
	s_wait_loadcnt 0x0
	ds_store_b128 v38, v[5:8]
.LBB38_223:
	s_wait_alu 0xfffe
	s_or_b32 exec_lo, exec_lo, s0
	s_wait_storecnt_dscnt 0x0
	s_barrier_signal -1
	s_barrier_wait -1
	global_inv scope:SCOPE_SE
	s_clause 0x7
	scratch_load_b128 v[2:5], off, off offset:224
	scratch_load_b128 v[6:9], off, off offset:240
	;; [unrolled: 1-line block ×8, first 2 shown]
	ds_load_b128 v[34:37], v1 offset:832
	ds_load_b128 v[124:127], v1 offset:848
	s_clause 0x1
	scratch_load_b128 v[120:123], off, off offset:352
	scratch_load_b128 v[128:131], off, off offset:368
	s_mov_b32 s0, exec_lo
	s_wait_loadcnt_dscnt 0x901
	v_mul_f64_e32 v[39:40], v[36:37], v[4:5]
	v_mul_f64_e32 v[4:5], v[34:35], v[4:5]
	s_wait_loadcnt_dscnt 0x800
	v_mul_f64_e32 v[132:133], v[124:125], v[8:9]
	v_mul_f64_e32 v[8:9], v[126:127], v[8:9]
	s_delay_alu instid0(VALU_DEP_4) | instskip(NEXT) | instid1(VALU_DEP_4)
	v_fma_f64 v[39:40], v[34:35], v[2:3], -v[39:40]
	v_fma_f64 v[134:135], v[36:37], v[2:3], v[4:5]
	ds_load_b128 v[2:5], v1 offset:864
	scratch_load_b128 v[34:37], off, off offset:384
	v_fma_f64 v[132:133], v[126:127], v[6:7], v[132:133]
	v_fma_f64 v[138:139], v[124:125], v[6:7], -v[8:9]
	ds_load_b128 v[6:9], v1 offset:880
	scratch_load_b128 v[124:127], off, off offset:400
	s_wait_loadcnt_dscnt 0x901
	v_mul_f64_e32 v[136:137], v[2:3], v[12:13]
	v_mul_f64_e32 v[12:13], v[4:5], v[12:13]
	s_wait_loadcnt_dscnt 0x800
	v_mul_f64_e32 v[140:141], v[6:7], v[16:17]
	v_mul_f64_e32 v[16:17], v[8:9], v[16:17]
	v_add_f64_e32 v[39:40], 0, v[39:40]
	v_add_f64_e32 v[134:135], 0, v[134:135]
	v_fma_f64 v[136:137], v[4:5], v[10:11], v[136:137]
	v_fma_f64 v[142:143], v[2:3], v[10:11], -v[12:13]
	ds_load_b128 v[2:5], v1 offset:896
	scratch_load_b128 v[10:13], off, off offset:416
	v_add_f64_e32 v[39:40], v[39:40], v[138:139]
	v_add_f64_e32 v[132:133], v[134:135], v[132:133]
	v_fma_f64 v[138:139], v[8:9], v[14:15], v[140:141]
	v_fma_f64 v[140:141], v[6:7], v[14:15], -v[16:17]
	ds_load_b128 v[6:9], v1 offset:912
	scratch_load_b128 v[14:17], off, off offset:432
	s_wait_loadcnt_dscnt 0x901
	v_mul_f64_e32 v[134:135], v[2:3], v[20:21]
	v_mul_f64_e32 v[20:21], v[4:5], v[20:21]
	v_add_f64_e32 v[39:40], v[39:40], v[142:143]
	v_add_f64_e32 v[132:133], v[132:133], v[136:137]
	s_wait_loadcnt_dscnt 0x800
	v_mul_f64_e32 v[136:137], v[6:7], v[24:25]
	v_mul_f64_e32 v[24:25], v[8:9], v[24:25]
	v_fma_f64 v[134:135], v[4:5], v[18:19], v[134:135]
	v_fma_f64 v[142:143], v[2:3], v[18:19], -v[20:21]
	ds_load_b128 v[2:5], v1 offset:928
	scratch_load_b128 v[18:21], off, off offset:448
	v_add_f64_e32 v[39:40], v[39:40], v[140:141]
	v_add_f64_e32 v[132:133], v[132:133], v[138:139]
	v_fma_f64 v[136:137], v[8:9], v[22:23], v[136:137]
	v_fma_f64 v[140:141], v[6:7], v[22:23], -v[24:25]
	ds_load_b128 v[6:9], v1 offset:944
	s_wait_loadcnt_dscnt 0x801
	v_mul_f64_e32 v[138:139], v[2:3], v[28:29]
	v_mul_f64_e32 v[28:29], v[4:5], v[28:29]
	scratch_load_b128 v[22:25], off, off offset:464
	v_add_f64_e32 v[39:40], v[39:40], v[142:143]
	v_add_f64_e32 v[132:133], v[132:133], v[134:135]
	s_wait_loadcnt_dscnt 0x800
	v_mul_f64_e32 v[134:135], v[6:7], v[32:33]
	v_mul_f64_e32 v[32:33], v[8:9], v[32:33]
	v_fma_f64 v[138:139], v[4:5], v[26:27], v[138:139]
	v_fma_f64 v[142:143], v[2:3], v[26:27], -v[28:29]
	ds_load_b128 v[2:5], v1 offset:960
	scratch_load_b128 v[26:29], off, off offset:480
	v_add_f64_e32 v[39:40], v[39:40], v[140:141]
	v_add_f64_e32 v[132:133], v[132:133], v[136:137]
	v_fma_f64 v[134:135], v[8:9], v[30:31], v[134:135]
	v_fma_f64 v[140:141], v[6:7], v[30:31], -v[32:33]
	ds_load_b128 v[6:9], v1 offset:976
	s_wait_loadcnt_dscnt 0x801
	v_mul_f64_e32 v[136:137], v[2:3], v[122:123]
	v_mul_f64_e32 v[122:123], v[4:5], v[122:123]
	scratch_load_b128 v[30:33], off, off offset:496
	v_add_f64_e32 v[39:40], v[39:40], v[142:143]
	v_add_f64_e32 v[132:133], v[132:133], v[138:139]
	s_wait_loadcnt_dscnt 0x800
	v_mul_f64_e32 v[138:139], v[6:7], v[130:131]
	v_mul_f64_e32 v[130:131], v[8:9], v[130:131]
	v_fma_f64 v[136:137], v[4:5], v[120:121], v[136:137]
	v_fma_f64 v[142:143], v[2:3], v[120:121], -v[122:123]
	ds_load_b128 v[2:5], v1 offset:992
	scratch_load_b128 v[120:123], off, off offset:512
	v_add_f64_e32 v[39:40], v[39:40], v[140:141]
	v_add_f64_e32 v[132:133], v[132:133], v[134:135]
	v_fma_f64 v[138:139], v[8:9], v[128:129], v[138:139]
	v_fma_f64 v[140:141], v[6:7], v[128:129], -v[130:131]
	ds_load_b128 v[6:9], v1 offset:1008
	scratch_load_b128 v[128:131], off, off offset:528
	s_wait_loadcnt_dscnt 0x901
	v_mul_f64_e32 v[134:135], v[2:3], v[36:37]
	v_mul_f64_e32 v[36:37], v[4:5], v[36:37]
	v_add_f64_e32 v[39:40], v[39:40], v[142:143]
	v_add_f64_e32 v[132:133], v[132:133], v[136:137]
	s_wait_loadcnt_dscnt 0x800
	v_mul_f64_e32 v[136:137], v[6:7], v[126:127]
	v_mul_f64_e32 v[126:127], v[8:9], v[126:127]
	v_fma_f64 v[134:135], v[4:5], v[34:35], v[134:135]
	v_fma_f64 v[142:143], v[2:3], v[34:35], -v[36:37]
	ds_load_b128 v[2:5], v1 offset:1024
	scratch_load_b128 v[34:37], off, off offset:544
	v_add_f64_e32 v[39:40], v[39:40], v[140:141]
	v_add_f64_e32 v[132:133], v[132:133], v[138:139]
	v_fma_f64 v[136:137], v[8:9], v[124:125], v[136:137]
	v_fma_f64 v[140:141], v[6:7], v[124:125], -v[126:127]
	ds_load_b128 v[6:9], v1 offset:1040
	s_wait_loadcnt_dscnt 0x801
	v_mul_f64_e32 v[138:139], v[2:3], v[12:13]
	v_mul_f64_e32 v[12:13], v[4:5], v[12:13]
	scratch_load_b128 v[124:127], off, off offset:560
	v_add_f64_e32 v[39:40], v[39:40], v[142:143]
	v_add_f64_e32 v[132:133], v[132:133], v[134:135]
	s_wait_loadcnt_dscnt 0x800
	v_mul_f64_e32 v[134:135], v[6:7], v[16:17]
	v_mul_f64_e32 v[16:17], v[8:9], v[16:17]
	v_fma_f64 v[138:139], v[4:5], v[10:11], v[138:139]
	v_fma_f64 v[142:143], v[2:3], v[10:11], -v[12:13]
	ds_load_b128 v[2:5], v1 offset:1056
	scratch_load_b128 v[10:13], off, off offset:576
	v_add_f64_e32 v[39:40], v[39:40], v[140:141]
	v_add_f64_e32 v[132:133], v[132:133], v[136:137]
	v_fma_f64 v[134:135], v[8:9], v[14:15], v[134:135]
	v_fma_f64 v[140:141], v[6:7], v[14:15], -v[16:17]
	ds_load_b128 v[6:9], v1 offset:1072
	s_wait_loadcnt_dscnt 0x801
	v_mul_f64_e32 v[136:137], v[2:3], v[20:21]
	v_mul_f64_e32 v[20:21], v[4:5], v[20:21]
	scratch_load_b128 v[14:17], off, off offset:592
	v_add_f64_e32 v[39:40], v[39:40], v[142:143]
	v_add_f64_e32 v[132:133], v[132:133], v[138:139]
	s_wait_loadcnt_dscnt 0x800
	v_mul_f64_e32 v[138:139], v[6:7], v[24:25]
	v_mul_f64_e32 v[24:25], v[8:9], v[24:25]
	v_fma_f64 v[136:137], v[4:5], v[18:19], v[136:137]
	v_fma_f64 v[142:143], v[2:3], v[18:19], -v[20:21]
	ds_load_b128 v[2:5], v1 offset:1088
	scratch_load_b128 v[18:21], off, off offset:608
	v_add_f64_e32 v[39:40], v[39:40], v[140:141]
	v_add_f64_e32 v[132:133], v[132:133], v[134:135]
	v_fma_f64 v[138:139], v[8:9], v[22:23], v[138:139]
	v_fma_f64 v[140:141], v[6:7], v[22:23], -v[24:25]
	ds_load_b128 v[6:9], v1 offset:1104
	s_wait_loadcnt_dscnt 0x801
	v_mul_f64_e32 v[134:135], v[2:3], v[28:29]
	v_mul_f64_e32 v[28:29], v[4:5], v[28:29]
	scratch_load_b128 v[22:25], off, off offset:624
	v_add_f64_e32 v[39:40], v[39:40], v[142:143]
	v_add_f64_e32 v[132:133], v[132:133], v[136:137]
	s_wait_loadcnt_dscnt 0x800
	v_mul_f64_e32 v[136:137], v[6:7], v[32:33]
	v_mul_f64_e32 v[32:33], v[8:9], v[32:33]
	v_fma_f64 v[134:135], v[4:5], v[26:27], v[134:135]
	v_fma_f64 v[26:27], v[2:3], v[26:27], -v[28:29]
	ds_load_b128 v[2:5], v1 offset:1120
	v_add_f64_e32 v[28:29], v[39:40], v[140:141]
	v_add_f64_e32 v[39:40], v[132:133], v[138:139]
	v_fma_f64 v[136:137], v[8:9], v[30:31], v[136:137]
	v_fma_f64 v[30:31], v[6:7], v[30:31], -v[32:33]
	ds_load_b128 v[6:9], v1 offset:1136
	s_wait_loadcnt_dscnt 0x701
	v_mul_f64_e32 v[132:133], v[2:3], v[122:123]
	v_mul_f64_e32 v[122:123], v[4:5], v[122:123]
	s_wait_loadcnt_dscnt 0x600
	v_mul_f64_e32 v[32:33], v[6:7], v[130:131]
	v_add_f64_e32 v[26:27], v[28:29], v[26:27]
	v_add_f64_e32 v[28:29], v[39:40], v[134:135]
	v_mul_f64_e32 v[39:40], v[8:9], v[130:131]
	v_fma_f64 v[130:131], v[4:5], v[120:121], v[132:133]
	v_fma_f64 v[120:121], v[2:3], v[120:121], -v[122:123]
	ds_load_b128 v[2:5], v1 offset:1152
	v_fma_f64 v[32:33], v[8:9], v[128:129], v[32:33]
	v_add_f64_e32 v[30:31], v[26:27], v[30:31]
	v_add_f64_e32 v[122:123], v[28:29], v[136:137]
	scratch_load_b128 v[26:29], off, off offset:208
	v_fma_f64 v[39:40], v[6:7], v[128:129], -v[39:40]
	ds_load_b128 v[6:9], v1 offset:1168
	s_wait_loadcnt_dscnt 0x601
	v_mul_f64_e32 v[132:133], v[2:3], v[36:37]
	v_mul_f64_e32 v[36:37], v[4:5], v[36:37]
	v_add_f64_e32 v[30:31], v[30:31], v[120:121]
	v_add_f64_e32 v[120:121], v[122:123], v[130:131]
	s_wait_loadcnt_dscnt 0x500
	v_mul_f64_e32 v[122:123], v[6:7], v[126:127]
	v_mul_f64_e32 v[126:127], v[8:9], v[126:127]
	v_fma_f64 v[128:129], v[4:5], v[34:35], v[132:133]
	v_fma_f64 v[34:35], v[2:3], v[34:35], -v[36:37]
	ds_load_b128 v[2:5], v1 offset:1184
	v_add_f64_e32 v[30:31], v[30:31], v[39:40]
	v_add_f64_e32 v[32:33], v[120:121], v[32:33]
	v_fma_f64 v[39:40], v[8:9], v[124:125], v[122:123]
	v_fma_f64 v[120:121], v[6:7], v[124:125], -v[126:127]
	ds_load_b128 v[6:9], v1 offset:1200
	s_wait_loadcnt_dscnt 0x401
	v_mul_f64_e32 v[36:37], v[2:3], v[12:13]
	v_mul_f64_e32 v[12:13], v[4:5], v[12:13]
	v_add_f64_e32 v[30:31], v[30:31], v[34:35]
	v_add_f64_e32 v[32:33], v[32:33], v[128:129]
	s_wait_loadcnt_dscnt 0x300
	v_mul_f64_e32 v[34:35], v[6:7], v[16:17]
	v_mul_f64_e32 v[16:17], v[8:9], v[16:17]
	v_fma_f64 v[36:37], v[4:5], v[10:11], v[36:37]
	v_fma_f64 v[10:11], v[2:3], v[10:11], -v[12:13]
	ds_load_b128 v[2:5], v1 offset:1216
	v_add_f64_e32 v[12:13], v[30:31], v[120:121]
	v_add_f64_e32 v[30:31], v[32:33], v[39:40]
	v_fma_f64 v[34:35], v[8:9], v[14:15], v[34:35]
	v_fma_f64 v[14:15], v[6:7], v[14:15], -v[16:17]
	ds_load_b128 v[6:9], v1 offset:1232
	s_wait_loadcnt_dscnt 0x201
	v_mul_f64_e32 v[32:33], v[2:3], v[20:21]
	v_mul_f64_e32 v[20:21], v[4:5], v[20:21]
	s_wait_loadcnt_dscnt 0x100
	v_mul_f64_e32 v[16:17], v[6:7], v[24:25]
	v_mul_f64_e32 v[24:25], v[8:9], v[24:25]
	v_add_f64_e32 v[10:11], v[12:13], v[10:11]
	v_add_f64_e32 v[12:13], v[30:31], v[36:37]
	v_fma_f64 v[4:5], v[4:5], v[18:19], v[32:33]
	v_fma_f64 v[1:2], v[2:3], v[18:19], -v[20:21]
	v_fma_f64 v[8:9], v[8:9], v[22:23], v[16:17]
	v_fma_f64 v[6:7], v[6:7], v[22:23], -v[24:25]
	v_add_f64_e32 v[10:11], v[10:11], v[14:15]
	v_add_f64_e32 v[12:13], v[12:13], v[34:35]
	s_delay_alu instid0(VALU_DEP_2) | instskip(NEXT) | instid1(VALU_DEP_2)
	v_add_f64_e32 v[1:2], v[10:11], v[1:2]
	v_add_f64_e32 v[3:4], v[12:13], v[4:5]
	s_delay_alu instid0(VALU_DEP_2) | instskip(NEXT) | instid1(VALU_DEP_2)
	v_add_f64_e32 v[1:2], v[1:2], v[6:7]
	v_add_f64_e32 v[3:4], v[3:4], v[8:9]
	s_wait_loadcnt 0x0
	s_delay_alu instid0(VALU_DEP_2) | instskip(NEXT) | instid1(VALU_DEP_2)
	v_add_f64_e64 v[1:2], v[26:27], -v[1:2]
	v_add_f64_e64 v[3:4], v[28:29], -v[3:4]
	scratch_store_b128 off, v[1:4], off offset:208
	v_cmpx_lt_u32_e32 11, v0
	s_cbranch_execz .LBB38_225
; %bb.224:
	scratch_load_b128 v[1:4], off, s41
	v_mov_b32_e32 v5, 0
	s_delay_alu instid0(VALU_DEP_1)
	v_dual_mov_b32 v6, v5 :: v_dual_mov_b32 v7, v5
	v_mov_b32_e32 v8, v5
	scratch_store_b128 off, v[5:8], off offset:192
	s_wait_loadcnt 0x0
	ds_store_b128 v38, v[1:4]
.LBB38_225:
	s_wait_alu 0xfffe
	s_or_b32 exec_lo, exec_lo, s0
	s_wait_storecnt_dscnt 0x0
	s_barrier_signal -1
	s_barrier_wait -1
	global_inv scope:SCOPE_SE
	s_clause 0x7
	scratch_load_b128 v[2:5], off, off offset:208
	scratch_load_b128 v[6:9], off, off offset:224
	;; [unrolled: 1-line block ×8, first 2 shown]
	v_mov_b32_e32 v1, 0
	s_clause 0x1
	scratch_load_b128 v[120:123], off, off offset:336
	scratch_load_b128 v[128:131], off, off offset:352
	s_mov_b32 s0, exec_lo
	ds_load_b128 v[34:37], v1 offset:816
	ds_load_b128 v[124:127], v1 offset:832
	s_wait_loadcnt_dscnt 0x901
	v_mul_f64_e32 v[39:40], v[36:37], v[4:5]
	v_mul_f64_e32 v[4:5], v[34:35], v[4:5]
	s_wait_loadcnt_dscnt 0x800
	v_mul_f64_e32 v[132:133], v[124:125], v[8:9]
	v_mul_f64_e32 v[8:9], v[126:127], v[8:9]
	s_delay_alu instid0(VALU_DEP_4) | instskip(NEXT) | instid1(VALU_DEP_4)
	v_fma_f64 v[39:40], v[34:35], v[2:3], -v[39:40]
	v_fma_f64 v[134:135], v[36:37], v[2:3], v[4:5]
	ds_load_b128 v[2:5], v1 offset:848
	scratch_load_b128 v[34:37], off, off offset:368
	v_fma_f64 v[132:133], v[126:127], v[6:7], v[132:133]
	v_fma_f64 v[138:139], v[124:125], v[6:7], -v[8:9]
	ds_load_b128 v[6:9], v1 offset:864
	scratch_load_b128 v[124:127], off, off offset:384
	s_wait_loadcnt_dscnt 0x901
	v_mul_f64_e32 v[136:137], v[2:3], v[12:13]
	v_mul_f64_e32 v[12:13], v[4:5], v[12:13]
	s_wait_loadcnt_dscnt 0x800
	v_mul_f64_e32 v[140:141], v[6:7], v[16:17]
	v_mul_f64_e32 v[16:17], v[8:9], v[16:17]
	v_add_f64_e32 v[39:40], 0, v[39:40]
	v_add_f64_e32 v[134:135], 0, v[134:135]
	v_fma_f64 v[136:137], v[4:5], v[10:11], v[136:137]
	v_fma_f64 v[142:143], v[2:3], v[10:11], -v[12:13]
	ds_load_b128 v[2:5], v1 offset:880
	scratch_load_b128 v[10:13], off, off offset:400
	v_add_f64_e32 v[39:40], v[39:40], v[138:139]
	v_add_f64_e32 v[132:133], v[134:135], v[132:133]
	v_fma_f64 v[138:139], v[8:9], v[14:15], v[140:141]
	v_fma_f64 v[140:141], v[6:7], v[14:15], -v[16:17]
	ds_load_b128 v[6:9], v1 offset:896
	scratch_load_b128 v[14:17], off, off offset:416
	s_wait_loadcnt_dscnt 0x901
	v_mul_f64_e32 v[134:135], v[2:3], v[20:21]
	v_mul_f64_e32 v[20:21], v[4:5], v[20:21]
	v_add_f64_e32 v[39:40], v[39:40], v[142:143]
	v_add_f64_e32 v[132:133], v[132:133], v[136:137]
	s_wait_loadcnt_dscnt 0x800
	v_mul_f64_e32 v[136:137], v[6:7], v[24:25]
	v_mul_f64_e32 v[24:25], v[8:9], v[24:25]
	v_fma_f64 v[134:135], v[4:5], v[18:19], v[134:135]
	v_fma_f64 v[142:143], v[2:3], v[18:19], -v[20:21]
	ds_load_b128 v[2:5], v1 offset:912
	scratch_load_b128 v[18:21], off, off offset:432
	v_add_f64_e32 v[39:40], v[39:40], v[140:141]
	v_add_f64_e32 v[132:133], v[132:133], v[138:139]
	v_fma_f64 v[136:137], v[8:9], v[22:23], v[136:137]
	v_fma_f64 v[140:141], v[6:7], v[22:23], -v[24:25]
	ds_load_b128 v[6:9], v1 offset:928
	s_wait_loadcnt_dscnt 0x801
	v_mul_f64_e32 v[138:139], v[2:3], v[28:29]
	v_mul_f64_e32 v[28:29], v[4:5], v[28:29]
	scratch_load_b128 v[22:25], off, off offset:448
	v_add_f64_e32 v[39:40], v[39:40], v[142:143]
	v_add_f64_e32 v[132:133], v[132:133], v[134:135]
	s_wait_loadcnt_dscnt 0x800
	v_mul_f64_e32 v[134:135], v[6:7], v[32:33]
	v_mul_f64_e32 v[32:33], v[8:9], v[32:33]
	v_fma_f64 v[138:139], v[4:5], v[26:27], v[138:139]
	v_fma_f64 v[142:143], v[2:3], v[26:27], -v[28:29]
	ds_load_b128 v[2:5], v1 offset:944
	scratch_load_b128 v[26:29], off, off offset:464
	v_add_f64_e32 v[39:40], v[39:40], v[140:141]
	v_add_f64_e32 v[132:133], v[132:133], v[136:137]
	v_fma_f64 v[134:135], v[8:9], v[30:31], v[134:135]
	v_fma_f64 v[140:141], v[6:7], v[30:31], -v[32:33]
	ds_load_b128 v[6:9], v1 offset:960
	s_wait_loadcnt_dscnt 0x801
	v_mul_f64_e32 v[136:137], v[2:3], v[122:123]
	v_mul_f64_e32 v[122:123], v[4:5], v[122:123]
	scratch_load_b128 v[30:33], off, off offset:480
	v_add_f64_e32 v[39:40], v[39:40], v[142:143]
	v_add_f64_e32 v[132:133], v[132:133], v[138:139]
	s_wait_loadcnt_dscnt 0x800
	v_mul_f64_e32 v[138:139], v[6:7], v[130:131]
	v_mul_f64_e32 v[130:131], v[8:9], v[130:131]
	v_fma_f64 v[136:137], v[4:5], v[120:121], v[136:137]
	v_fma_f64 v[142:143], v[2:3], v[120:121], -v[122:123]
	ds_load_b128 v[2:5], v1 offset:976
	scratch_load_b128 v[120:123], off, off offset:496
	v_add_f64_e32 v[39:40], v[39:40], v[140:141]
	v_add_f64_e32 v[132:133], v[132:133], v[134:135]
	v_fma_f64 v[138:139], v[8:9], v[128:129], v[138:139]
	v_fma_f64 v[140:141], v[6:7], v[128:129], -v[130:131]
	ds_load_b128 v[6:9], v1 offset:992
	scratch_load_b128 v[128:131], off, off offset:512
	s_wait_loadcnt_dscnt 0x901
	v_mul_f64_e32 v[134:135], v[2:3], v[36:37]
	v_mul_f64_e32 v[36:37], v[4:5], v[36:37]
	v_add_f64_e32 v[39:40], v[39:40], v[142:143]
	v_add_f64_e32 v[132:133], v[132:133], v[136:137]
	s_wait_loadcnt_dscnt 0x800
	v_mul_f64_e32 v[136:137], v[6:7], v[126:127]
	v_mul_f64_e32 v[126:127], v[8:9], v[126:127]
	v_fma_f64 v[134:135], v[4:5], v[34:35], v[134:135]
	v_fma_f64 v[142:143], v[2:3], v[34:35], -v[36:37]
	ds_load_b128 v[2:5], v1 offset:1008
	scratch_load_b128 v[34:37], off, off offset:528
	v_add_f64_e32 v[39:40], v[39:40], v[140:141]
	v_add_f64_e32 v[132:133], v[132:133], v[138:139]
	v_fma_f64 v[136:137], v[8:9], v[124:125], v[136:137]
	v_fma_f64 v[140:141], v[6:7], v[124:125], -v[126:127]
	ds_load_b128 v[6:9], v1 offset:1024
	s_wait_loadcnt_dscnt 0x801
	v_mul_f64_e32 v[138:139], v[2:3], v[12:13]
	v_mul_f64_e32 v[12:13], v[4:5], v[12:13]
	scratch_load_b128 v[124:127], off, off offset:544
	v_add_f64_e32 v[39:40], v[39:40], v[142:143]
	v_add_f64_e32 v[132:133], v[132:133], v[134:135]
	s_wait_loadcnt_dscnt 0x800
	v_mul_f64_e32 v[134:135], v[6:7], v[16:17]
	v_mul_f64_e32 v[16:17], v[8:9], v[16:17]
	v_fma_f64 v[138:139], v[4:5], v[10:11], v[138:139]
	v_fma_f64 v[142:143], v[2:3], v[10:11], -v[12:13]
	ds_load_b128 v[2:5], v1 offset:1040
	scratch_load_b128 v[10:13], off, off offset:560
	v_add_f64_e32 v[39:40], v[39:40], v[140:141]
	v_add_f64_e32 v[132:133], v[132:133], v[136:137]
	v_fma_f64 v[134:135], v[8:9], v[14:15], v[134:135]
	v_fma_f64 v[140:141], v[6:7], v[14:15], -v[16:17]
	ds_load_b128 v[6:9], v1 offset:1056
	s_wait_loadcnt_dscnt 0x801
	v_mul_f64_e32 v[136:137], v[2:3], v[20:21]
	v_mul_f64_e32 v[20:21], v[4:5], v[20:21]
	scratch_load_b128 v[14:17], off, off offset:576
	;; [unrolled: 18-line block ×3, first 2 shown]
	v_add_f64_e32 v[39:40], v[39:40], v[142:143]
	v_add_f64_e32 v[132:133], v[132:133], v[136:137]
	s_wait_loadcnt_dscnt 0x800
	v_mul_f64_e32 v[136:137], v[6:7], v[32:33]
	v_mul_f64_e32 v[32:33], v[8:9], v[32:33]
	v_fma_f64 v[134:135], v[4:5], v[26:27], v[134:135]
	v_fma_f64 v[142:143], v[2:3], v[26:27], -v[28:29]
	ds_load_b128 v[2:5], v1 offset:1104
	scratch_load_b128 v[26:29], off, off offset:624
	v_add_f64_e32 v[39:40], v[39:40], v[140:141]
	v_add_f64_e32 v[132:133], v[132:133], v[138:139]
	v_fma_f64 v[136:137], v[8:9], v[30:31], v[136:137]
	v_fma_f64 v[30:31], v[6:7], v[30:31], -v[32:33]
	ds_load_b128 v[6:9], v1 offset:1120
	s_wait_loadcnt_dscnt 0x801
	v_mul_f64_e32 v[138:139], v[2:3], v[122:123]
	v_mul_f64_e32 v[122:123], v[4:5], v[122:123]
	v_add_f64_e32 v[32:33], v[39:40], v[142:143]
	v_add_f64_e32 v[39:40], v[132:133], v[134:135]
	s_wait_loadcnt_dscnt 0x700
	v_mul_f64_e32 v[132:133], v[6:7], v[130:131]
	v_mul_f64_e32 v[130:131], v[8:9], v[130:131]
	v_fma_f64 v[134:135], v[4:5], v[120:121], v[138:139]
	v_fma_f64 v[120:121], v[2:3], v[120:121], -v[122:123]
	ds_load_b128 v[2:5], v1 offset:1136
	v_add_f64_e32 v[30:31], v[32:33], v[30:31]
	v_add_f64_e32 v[32:33], v[39:40], v[136:137]
	v_fma_f64 v[122:123], v[8:9], v[128:129], v[132:133]
	v_fma_f64 v[128:129], v[6:7], v[128:129], -v[130:131]
	ds_load_b128 v[6:9], v1 offset:1152
	s_wait_loadcnt_dscnt 0x500
	v_mul_f64_e32 v[132:133], v[6:7], v[126:127]
	v_mul_f64_e32 v[126:127], v[8:9], v[126:127]
	v_add_f64_e32 v[120:121], v[30:31], v[120:121]
	v_add_f64_e32 v[130:131], v[32:33], v[134:135]
	scratch_load_b128 v[30:33], off, off offset:192
	v_mul_f64_e32 v[39:40], v[2:3], v[36:37]
	v_mul_f64_e32 v[36:37], v[4:5], v[36:37]
	s_delay_alu instid0(VALU_DEP_2) | instskip(NEXT) | instid1(VALU_DEP_2)
	v_fma_f64 v[39:40], v[4:5], v[34:35], v[39:40]
	v_fma_f64 v[34:35], v[2:3], v[34:35], -v[36:37]
	v_add_f64_e32 v[36:37], v[120:121], v[128:129]
	v_add_f64_e32 v[120:121], v[130:131], v[122:123]
	ds_load_b128 v[2:5], v1 offset:1168
	v_fma_f64 v[128:129], v[8:9], v[124:125], v[132:133]
	v_fma_f64 v[124:125], v[6:7], v[124:125], -v[126:127]
	ds_load_b128 v[6:9], v1 offset:1184
	s_wait_loadcnt_dscnt 0x501
	v_mul_f64_e32 v[122:123], v[2:3], v[12:13]
	v_mul_f64_e32 v[12:13], v[4:5], v[12:13]
	v_add_f64_e32 v[34:35], v[36:37], v[34:35]
	v_add_f64_e32 v[36:37], v[120:121], v[39:40]
	s_wait_loadcnt_dscnt 0x400
	v_mul_f64_e32 v[39:40], v[6:7], v[16:17]
	v_mul_f64_e32 v[16:17], v[8:9], v[16:17]
	v_fma_f64 v[120:121], v[4:5], v[10:11], v[122:123]
	v_fma_f64 v[10:11], v[2:3], v[10:11], -v[12:13]
	ds_load_b128 v[2:5], v1 offset:1200
	v_add_f64_e32 v[12:13], v[34:35], v[124:125]
	v_add_f64_e32 v[34:35], v[36:37], v[128:129]
	v_fma_f64 v[39:40], v[8:9], v[14:15], v[39:40]
	v_fma_f64 v[14:15], v[6:7], v[14:15], -v[16:17]
	ds_load_b128 v[6:9], v1 offset:1216
	s_wait_loadcnt_dscnt 0x301
	v_mul_f64_e32 v[36:37], v[2:3], v[20:21]
	v_mul_f64_e32 v[20:21], v[4:5], v[20:21]
	s_wait_loadcnt_dscnt 0x200
	v_mul_f64_e32 v[16:17], v[6:7], v[24:25]
	v_mul_f64_e32 v[24:25], v[8:9], v[24:25]
	v_add_f64_e32 v[10:11], v[12:13], v[10:11]
	v_add_f64_e32 v[12:13], v[34:35], v[120:121]
	v_fma_f64 v[34:35], v[4:5], v[18:19], v[36:37]
	v_fma_f64 v[18:19], v[2:3], v[18:19], -v[20:21]
	ds_load_b128 v[2:5], v1 offset:1232
	v_fma_f64 v[8:9], v[8:9], v[22:23], v[16:17]
	v_fma_f64 v[6:7], v[6:7], v[22:23], -v[24:25]
	s_wait_loadcnt_dscnt 0x100
	v_mul_f64_e32 v[20:21], v[4:5], v[28:29]
	v_add_f64_e32 v[10:11], v[10:11], v[14:15]
	v_add_f64_e32 v[12:13], v[12:13], v[39:40]
	v_mul_f64_e32 v[14:15], v[2:3], v[28:29]
	s_delay_alu instid0(VALU_DEP_4) | instskip(NEXT) | instid1(VALU_DEP_4)
	v_fma_f64 v[2:3], v[2:3], v[26:27], -v[20:21]
	v_add_f64_e32 v[10:11], v[10:11], v[18:19]
	s_delay_alu instid0(VALU_DEP_4) | instskip(NEXT) | instid1(VALU_DEP_4)
	v_add_f64_e32 v[12:13], v[12:13], v[34:35]
	v_fma_f64 v[4:5], v[4:5], v[26:27], v[14:15]
	s_delay_alu instid0(VALU_DEP_3) | instskip(NEXT) | instid1(VALU_DEP_3)
	v_add_f64_e32 v[6:7], v[10:11], v[6:7]
	v_add_f64_e32 v[8:9], v[12:13], v[8:9]
	s_delay_alu instid0(VALU_DEP_2) | instskip(NEXT) | instid1(VALU_DEP_2)
	v_add_f64_e32 v[2:3], v[6:7], v[2:3]
	v_add_f64_e32 v[4:5], v[8:9], v[4:5]
	s_wait_loadcnt 0x0
	s_delay_alu instid0(VALU_DEP_2) | instskip(NEXT) | instid1(VALU_DEP_2)
	v_add_f64_e64 v[2:3], v[30:31], -v[2:3]
	v_add_f64_e64 v[4:5], v[32:33], -v[4:5]
	scratch_store_b128 off, v[2:5], off offset:192
	v_cmpx_lt_u32_e32 10, v0
	s_cbranch_execz .LBB38_227
; %bb.226:
	scratch_load_b128 v[5:8], off, s42
	v_dual_mov_b32 v2, v1 :: v_dual_mov_b32 v3, v1
	v_mov_b32_e32 v4, v1
	scratch_store_b128 off, v[1:4], off offset:176
	s_wait_loadcnt 0x0
	ds_store_b128 v38, v[5:8]
.LBB38_227:
	s_wait_alu 0xfffe
	s_or_b32 exec_lo, exec_lo, s0
	s_wait_storecnt_dscnt 0x0
	s_barrier_signal -1
	s_barrier_wait -1
	global_inv scope:SCOPE_SE
	s_clause 0x7
	scratch_load_b128 v[2:5], off, off offset:192
	scratch_load_b128 v[6:9], off, off offset:208
	;; [unrolled: 1-line block ×8, first 2 shown]
	ds_load_b128 v[34:37], v1 offset:800
	ds_load_b128 v[124:127], v1 offset:816
	s_clause 0x1
	scratch_load_b128 v[120:123], off, off offset:320
	scratch_load_b128 v[128:131], off, off offset:336
	s_mov_b32 s0, exec_lo
	s_wait_loadcnt_dscnt 0x901
	v_mul_f64_e32 v[39:40], v[36:37], v[4:5]
	v_mul_f64_e32 v[4:5], v[34:35], v[4:5]
	s_wait_loadcnt_dscnt 0x800
	v_mul_f64_e32 v[132:133], v[124:125], v[8:9]
	v_mul_f64_e32 v[8:9], v[126:127], v[8:9]
	s_delay_alu instid0(VALU_DEP_4) | instskip(NEXT) | instid1(VALU_DEP_4)
	v_fma_f64 v[39:40], v[34:35], v[2:3], -v[39:40]
	v_fma_f64 v[134:135], v[36:37], v[2:3], v[4:5]
	ds_load_b128 v[2:5], v1 offset:832
	scratch_load_b128 v[34:37], off, off offset:352
	v_fma_f64 v[132:133], v[126:127], v[6:7], v[132:133]
	v_fma_f64 v[138:139], v[124:125], v[6:7], -v[8:9]
	ds_load_b128 v[6:9], v1 offset:848
	scratch_load_b128 v[124:127], off, off offset:368
	s_wait_loadcnt_dscnt 0x901
	v_mul_f64_e32 v[136:137], v[2:3], v[12:13]
	v_mul_f64_e32 v[12:13], v[4:5], v[12:13]
	s_wait_loadcnt_dscnt 0x800
	v_mul_f64_e32 v[140:141], v[6:7], v[16:17]
	v_mul_f64_e32 v[16:17], v[8:9], v[16:17]
	v_add_f64_e32 v[39:40], 0, v[39:40]
	v_add_f64_e32 v[134:135], 0, v[134:135]
	v_fma_f64 v[136:137], v[4:5], v[10:11], v[136:137]
	v_fma_f64 v[142:143], v[2:3], v[10:11], -v[12:13]
	ds_load_b128 v[2:5], v1 offset:864
	scratch_load_b128 v[10:13], off, off offset:384
	v_add_f64_e32 v[39:40], v[39:40], v[138:139]
	v_add_f64_e32 v[132:133], v[134:135], v[132:133]
	v_fma_f64 v[138:139], v[8:9], v[14:15], v[140:141]
	v_fma_f64 v[140:141], v[6:7], v[14:15], -v[16:17]
	ds_load_b128 v[6:9], v1 offset:880
	scratch_load_b128 v[14:17], off, off offset:400
	s_wait_loadcnt_dscnt 0x901
	v_mul_f64_e32 v[134:135], v[2:3], v[20:21]
	v_mul_f64_e32 v[20:21], v[4:5], v[20:21]
	v_add_f64_e32 v[39:40], v[39:40], v[142:143]
	v_add_f64_e32 v[132:133], v[132:133], v[136:137]
	s_wait_loadcnt_dscnt 0x800
	v_mul_f64_e32 v[136:137], v[6:7], v[24:25]
	v_mul_f64_e32 v[24:25], v[8:9], v[24:25]
	v_fma_f64 v[134:135], v[4:5], v[18:19], v[134:135]
	v_fma_f64 v[142:143], v[2:3], v[18:19], -v[20:21]
	ds_load_b128 v[2:5], v1 offset:896
	scratch_load_b128 v[18:21], off, off offset:416
	v_add_f64_e32 v[39:40], v[39:40], v[140:141]
	v_add_f64_e32 v[132:133], v[132:133], v[138:139]
	v_fma_f64 v[136:137], v[8:9], v[22:23], v[136:137]
	v_fma_f64 v[140:141], v[6:7], v[22:23], -v[24:25]
	ds_load_b128 v[6:9], v1 offset:912
	s_wait_loadcnt_dscnt 0x801
	v_mul_f64_e32 v[138:139], v[2:3], v[28:29]
	v_mul_f64_e32 v[28:29], v[4:5], v[28:29]
	scratch_load_b128 v[22:25], off, off offset:432
	v_add_f64_e32 v[39:40], v[39:40], v[142:143]
	v_add_f64_e32 v[132:133], v[132:133], v[134:135]
	s_wait_loadcnt_dscnt 0x800
	v_mul_f64_e32 v[134:135], v[6:7], v[32:33]
	v_mul_f64_e32 v[32:33], v[8:9], v[32:33]
	v_fma_f64 v[138:139], v[4:5], v[26:27], v[138:139]
	v_fma_f64 v[142:143], v[2:3], v[26:27], -v[28:29]
	ds_load_b128 v[2:5], v1 offset:928
	scratch_load_b128 v[26:29], off, off offset:448
	v_add_f64_e32 v[39:40], v[39:40], v[140:141]
	v_add_f64_e32 v[132:133], v[132:133], v[136:137]
	v_fma_f64 v[134:135], v[8:9], v[30:31], v[134:135]
	v_fma_f64 v[140:141], v[6:7], v[30:31], -v[32:33]
	ds_load_b128 v[6:9], v1 offset:944
	s_wait_loadcnt_dscnt 0x801
	v_mul_f64_e32 v[136:137], v[2:3], v[122:123]
	v_mul_f64_e32 v[122:123], v[4:5], v[122:123]
	scratch_load_b128 v[30:33], off, off offset:464
	v_add_f64_e32 v[39:40], v[39:40], v[142:143]
	v_add_f64_e32 v[132:133], v[132:133], v[138:139]
	s_wait_loadcnt_dscnt 0x800
	v_mul_f64_e32 v[138:139], v[6:7], v[130:131]
	v_mul_f64_e32 v[130:131], v[8:9], v[130:131]
	v_fma_f64 v[136:137], v[4:5], v[120:121], v[136:137]
	v_fma_f64 v[142:143], v[2:3], v[120:121], -v[122:123]
	ds_load_b128 v[2:5], v1 offset:960
	scratch_load_b128 v[120:123], off, off offset:480
	v_add_f64_e32 v[39:40], v[39:40], v[140:141]
	v_add_f64_e32 v[132:133], v[132:133], v[134:135]
	v_fma_f64 v[138:139], v[8:9], v[128:129], v[138:139]
	v_fma_f64 v[140:141], v[6:7], v[128:129], -v[130:131]
	ds_load_b128 v[6:9], v1 offset:976
	scratch_load_b128 v[128:131], off, off offset:496
	s_wait_loadcnt_dscnt 0x901
	v_mul_f64_e32 v[134:135], v[2:3], v[36:37]
	v_mul_f64_e32 v[36:37], v[4:5], v[36:37]
	v_add_f64_e32 v[39:40], v[39:40], v[142:143]
	v_add_f64_e32 v[132:133], v[132:133], v[136:137]
	s_wait_loadcnt_dscnt 0x800
	v_mul_f64_e32 v[136:137], v[6:7], v[126:127]
	v_mul_f64_e32 v[126:127], v[8:9], v[126:127]
	v_fma_f64 v[134:135], v[4:5], v[34:35], v[134:135]
	v_fma_f64 v[142:143], v[2:3], v[34:35], -v[36:37]
	ds_load_b128 v[2:5], v1 offset:992
	scratch_load_b128 v[34:37], off, off offset:512
	v_add_f64_e32 v[39:40], v[39:40], v[140:141]
	v_add_f64_e32 v[132:133], v[132:133], v[138:139]
	v_fma_f64 v[136:137], v[8:9], v[124:125], v[136:137]
	v_fma_f64 v[140:141], v[6:7], v[124:125], -v[126:127]
	ds_load_b128 v[6:9], v1 offset:1008
	s_wait_loadcnt_dscnt 0x801
	v_mul_f64_e32 v[138:139], v[2:3], v[12:13]
	v_mul_f64_e32 v[12:13], v[4:5], v[12:13]
	scratch_load_b128 v[124:127], off, off offset:528
	v_add_f64_e32 v[39:40], v[39:40], v[142:143]
	v_add_f64_e32 v[132:133], v[132:133], v[134:135]
	s_wait_loadcnt_dscnt 0x800
	v_mul_f64_e32 v[134:135], v[6:7], v[16:17]
	v_mul_f64_e32 v[16:17], v[8:9], v[16:17]
	v_fma_f64 v[138:139], v[4:5], v[10:11], v[138:139]
	v_fma_f64 v[142:143], v[2:3], v[10:11], -v[12:13]
	ds_load_b128 v[2:5], v1 offset:1024
	scratch_load_b128 v[10:13], off, off offset:544
	v_add_f64_e32 v[39:40], v[39:40], v[140:141]
	v_add_f64_e32 v[132:133], v[132:133], v[136:137]
	v_fma_f64 v[134:135], v[8:9], v[14:15], v[134:135]
	v_fma_f64 v[140:141], v[6:7], v[14:15], -v[16:17]
	ds_load_b128 v[6:9], v1 offset:1040
	s_wait_loadcnt_dscnt 0x801
	v_mul_f64_e32 v[136:137], v[2:3], v[20:21]
	v_mul_f64_e32 v[20:21], v[4:5], v[20:21]
	scratch_load_b128 v[14:17], off, off offset:560
	;; [unrolled: 18-line block ×4, first 2 shown]
	v_add_f64_e32 v[39:40], v[39:40], v[142:143]
	v_add_f64_e32 v[132:133], v[132:133], v[134:135]
	s_wait_loadcnt_dscnt 0x800
	v_mul_f64_e32 v[134:135], v[6:7], v[130:131]
	v_mul_f64_e32 v[130:131], v[8:9], v[130:131]
	v_fma_f64 v[138:139], v[4:5], v[120:121], v[138:139]
	v_fma_f64 v[120:121], v[2:3], v[120:121], -v[122:123]
	ds_load_b128 v[2:5], v1 offset:1120
	v_add_f64_e32 v[39:40], v[39:40], v[140:141]
	v_add_f64_e32 v[122:123], v[132:133], v[136:137]
	v_fma_f64 v[134:135], v[8:9], v[128:129], v[134:135]
	v_fma_f64 v[128:129], v[6:7], v[128:129], -v[130:131]
	ds_load_b128 v[6:9], v1 offset:1136
	s_wait_loadcnt_dscnt 0x701
	v_mul_f64_e32 v[132:133], v[2:3], v[36:37]
	v_mul_f64_e32 v[36:37], v[4:5], v[36:37]
	v_add_f64_e32 v[39:40], v[39:40], v[120:121]
	v_add_f64_e32 v[120:121], v[122:123], v[138:139]
	s_delay_alu instid0(VALU_DEP_4) | instskip(NEXT) | instid1(VALU_DEP_4)
	v_fma_f64 v[130:131], v[4:5], v[34:35], v[132:133]
	v_fma_f64 v[132:133], v[2:3], v[34:35], -v[36:37]
	scratch_load_b128 v[34:37], off, off offset:176
	s_wait_loadcnt_dscnt 0x700
	v_mul_f64_e32 v[122:123], v[6:7], v[126:127]
	v_mul_f64_e32 v[126:127], v[8:9], v[126:127]
	ds_load_b128 v[2:5], v1 offset:1152
	v_add_f64_e32 v[39:40], v[39:40], v[128:129]
	v_add_f64_e32 v[120:121], v[120:121], v[134:135]
	v_fma_f64 v[122:123], v[8:9], v[124:125], v[122:123]
	v_fma_f64 v[124:125], v[6:7], v[124:125], -v[126:127]
	ds_load_b128 v[6:9], v1 offset:1168
	s_wait_loadcnt_dscnt 0x601
	v_mul_f64_e32 v[128:129], v[2:3], v[12:13]
	v_mul_f64_e32 v[12:13], v[4:5], v[12:13]
	s_wait_loadcnt_dscnt 0x500
	v_mul_f64_e32 v[126:127], v[6:7], v[16:17]
	v_mul_f64_e32 v[16:17], v[8:9], v[16:17]
	v_add_f64_e32 v[39:40], v[39:40], v[132:133]
	v_add_f64_e32 v[120:121], v[120:121], v[130:131]
	v_fma_f64 v[128:129], v[4:5], v[10:11], v[128:129]
	v_fma_f64 v[10:11], v[2:3], v[10:11], -v[12:13]
	ds_load_b128 v[2:5], v1 offset:1184
	v_add_f64_e32 v[12:13], v[39:40], v[124:125]
	v_add_f64_e32 v[39:40], v[120:121], v[122:123]
	v_fma_f64 v[122:123], v[8:9], v[14:15], v[126:127]
	v_fma_f64 v[14:15], v[6:7], v[14:15], -v[16:17]
	ds_load_b128 v[6:9], v1 offset:1200
	s_wait_loadcnt_dscnt 0x401
	v_mul_f64_e32 v[120:121], v[2:3], v[20:21]
	v_mul_f64_e32 v[20:21], v[4:5], v[20:21]
	s_wait_loadcnt_dscnt 0x300
	v_mul_f64_e32 v[16:17], v[6:7], v[24:25]
	v_mul_f64_e32 v[24:25], v[8:9], v[24:25]
	v_add_f64_e32 v[10:11], v[12:13], v[10:11]
	v_add_f64_e32 v[12:13], v[39:40], v[128:129]
	v_fma_f64 v[39:40], v[4:5], v[18:19], v[120:121]
	v_fma_f64 v[18:19], v[2:3], v[18:19], -v[20:21]
	ds_load_b128 v[2:5], v1 offset:1216
	v_fma_f64 v[16:17], v[8:9], v[22:23], v[16:17]
	v_fma_f64 v[22:23], v[6:7], v[22:23], -v[24:25]
	ds_load_b128 v[6:9], v1 offset:1232
	s_wait_loadcnt_dscnt 0x201
	v_mul_f64_e32 v[20:21], v[4:5], v[28:29]
	v_add_f64_e32 v[10:11], v[10:11], v[14:15]
	v_add_f64_e32 v[12:13], v[12:13], v[122:123]
	v_mul_f64_e32 v[14:15], v[2:3], v[28:29]
	s_wait_loadcnt_dscnt 0x100
	v_mul_f64_e32 v[24:25], v[8:9], v[32:33]
	v_fma_f64 v[1:2], v[2:3], v[26:27], -v[20:21]
	v_add_f64_e32 v[10:11], v[10:11], v[18:19]
	v_add_f64_e32 v[12:13], v[12:13], v[39:40]
	v_mul_f64_e32 v[18:19], v[6:7], v[32:33]
	v_fma_f64 v[4:5], v[4:5], v[26:27], v[14:15]
	v_fma_f64 v[6:7], v[6:7], v[30:31], -v[24:25]
	v_add_f64_e32 v[10:11], v[10:11], v[22:23]
	v_add_f64_e32 v[12:13], v[12:13], v[16:17]
	v_fma_f64 v[8:9], v[8:9], v[30:31], v[18:19]
	s_delay_alu instid0(VALU_DEP_3) | instskip(NEXT) | instid1(VALU_DEP_3)
	v_add_f64_e32 v[1:2], v[10:11], v[1:2]
	v_add_f64_e32 v[3:4], v[12:13], v[4:5]
	s_delay_alu instid0(VALU_DEP_2) | instskip(NEXT) | instid1(VALU_DEP_2)
	v_add_f64_e32 v[1:2], v[1:2], v[6:7]
	v_add_f64_e32 v[3:4], v[3:4], v[8:9]
	s_wait_loadcnt 0x0
	s_delay_alu instid0(VALU_DEP_2) | instskip(NEXT) | instid1(VALU_DEP_2)
	v_add_f64_e64 v[1:2], v[34:35], -v[1:2]
	v_add_f64_e64 v[3:4], v[36:37], -v[3:4]
	scratch_store_b128 off, v[1:4], off offset:176
	v_cmpx_lt_u32_e32 9, v0
	s_cbranch_execz .LBB38_229
; %bb.228:
	scratch_load_b128 v[1:4], off, s43
	v_mov_b32_e32 v5, 0
	s_delay_alu instid0(VALU_DEP_1)
	v_dual_mov_b32 v6, v5 :: v_dual_mov_b32 v7, v5
	v_mov_b32_e32 v8, v5
	scratch_store_b128 off, v[5:8], off offset:160
	s_wait_loadcnt 0x0
	ds_store_b128 v38, v[1:4]
.LBB38_229:
	s_wait_alu 0xfffe
	s_or_b32 exec_lo, exec_lo, s0
	s_wait_storecnt_dscnt 0x0
	s_barrier_signal -1
	s_barrier_wait -1
	global_inv scope:SCOPE_SE
	s_clause 0x7
	scratch_load_b128 v[2:5], off, off offset:176
	scratch_load_b128 v[6:9], off, off offset:192
	;; [unrolled: 1-line block ×8, first 2 shown]
	v_mov_b32_e32 v1, 0
	s_clause 0x1
	scratch_load_b128 v[120:123], off, off offset:304
	scratch_load_b128 v[128:131], off, off offset:320
	s_mov_b32 s0, exec_lo
	ds_load_b128 v[34:37], v1 offset:784
	ds_load_b128 v[124:127], v1 offset:800
	s_wait_loadcnt_dscnt 0x901
	v_mul_f64_e32 v[39:40], v[36:37], v[4:5]
	v_mul_f64_e32 v[4:5], v[34:35], v[4:5]
	s_wait_loadcnt_dscnt 0x800
	v_mul_f64_e32 v[132:133], v[124:125], v[8:9]
	v_mul_f64_e32 v[8:9], v[126:127], v[8:9]
	s_delay_alu instid0(VALU_DEP_4) | instskip(NEXT) | instid1(VALU_DEP_4)
	v_fma_f64 v[39:40], v[34:35], v[2:3], -v[39:40]
	v_fma_f64 v[134:135], v[36:37], v[2:3], v[4:5]
	ds_load_b128 v[2:5], v1 offset:816
	scratch_load_b128 v[34:37], off, off offset:336
	v_fma_f64 v[132:133], v[126:127], v[6:7], v[132:133]
	v_fma_f64 v[138:139], v[124:125], v[6:7], -v[8:9]
	ds_load_b128 v[6:9], v1 offset:832
	scratch_load_b128 v[124:127], off, off offset:352
	s_wait_loadcnt_dscnt 0x901
	v_mul_f64_e32 v[136:137], v[2:3], v[12:13]
	v_mul_f64_e32 v[12:13], v[4:5], v[12:13]
	s_wait_loadcnt_dscnt 0x800
	v_mul_f64_e32 v[140:141], v[6:7], v[16:17]
	v_mul_f64_e32 v[16:17], v[8:9], v[16:17]
	v_add_f64_e32 v[39:40], 0, v[39:40]
	v_add_f64_e32 v[134:135], 0, v[134:135]
	v_fma_f64 v[136:137], v[4:5], v[10:11], v[136:137]
	v_fma_f64 v[142:143], v[2:3], v[10:11], -v[12:13]
	ds_load_b128 v[2:5], v1 offset:848
	scratch_load_b128 v[10:13], off, off offset:368
	v_add_f64_e32 v[39:40], v[39:40], v[138:139]
	v_add_f64_e32 v[132:133], v[134:135], v[132:133]
	v_fma_f64 v[138:139], v[8:9], v[14:15], v[140:141]
	v_fma_f64 v[140:141], v[6:7], v[14:15], -v[16:17]
	ds_load_b128 v[6:9], v1 offset:864
	scratch_load_b128 v[14:17], off, off offset:384
	s_wait_loadcnt_dscnt 0x901
	v_mul_f64_e32 v[134:135], v[2:3], v[20:21]
	v_mul_f64_e32 v[20:21], v[4:5], v[20:21]
	v_add_f64_e32 v[39:40], v[39:40], v[142:143]
	v_add_f64_e32 v[132:133], v[132:133], v[136:137]
	s_wait_loadcnt_dscnt 0x800
	v_mul_f64_e32 v[136:137], v[6:7], v[24:25]
	v_mul_f64_e32 v[24:25], v[8:9], v[24:25]
	v_fma_f64 v[134:135], v[4:5], v[18:19], v[134:135]
	v_fma_f64 v[142:143], v[2:3], v[18:19], -v[20:21]
	ds_load_b128 v[2:5], v1 offset:880
	scratch_load_b128 v[18:21], off, off offset:400
	v_add_f64_e32 v[39:40], v[39:40], v[140:141]
	v_add_f64_e32 v[132:133], v[132:133], v[138:139]
	v_fma_f64 v[136:137], v[8:9], v[22:23], v[136:137]
	v_fma_f64 v[140:141], v[6:7], v[22:23], -v[24:25]
	ds_load_b128 v[6:9], v1 offset:896
	s_wait_loadcnt_dscnt 0x801
	v_mul_f64_e32 v[138:139], v[2:3], v[28:29]
	v_mul_f64_e32 v[28:29], v[4:5], v[28:29]
	scratch_load_b128 v[22:25], off, off offset:416
	v_add_f64_e32 v[39:40], v[39:40], v[142:143]
	v_add_f64_e32 v[132:133], v[132:133], v[134:135]
	s_wait_loadcnt_dscnt 0x800
	v_mul_f64_e32 v[134:135], v[6:7], v[32:33]
	v_mul_f64_e32 v[32:33], v[8:9], v[32:33]
	v_fma_f64 v[138:139], v[4:5], v[26:27], v[138:139]
	v_fma_f64 v[142:143], v[2:3], v[26:27], -v[28:29]
	ds_load_b128 v[2:5], v1 offset:912
	scratch_load_b128 v[26:29], off, off offset:432
	v_add_f64_e32 v[39:40], v[39:40], v[140:141]
	v_add_f64_e32 v[132:133], v[132:133], v[136:137]
	v_fma_f64 v[134:135], v[8:9], v[30:31], v[134:135]
	v_fma_f64 v[140:141], v[6:7], v[30:31], -v[32:33]
	ds_load_b128 v[6:9], v1 offset:928
	s_wait_loadcnt_dscnt 0x801
	v_mul_f64_e32 v[136:137], v[2:3], v[122:123]
	v_mul_f64_e32 v[122:123], v[4:5], v[122:123]
	scratch_load_b128 v[30:33], off, off offset:448
	v_add_f64_e32 v[39:40], v[39:40], v[142:143]
	v_add_f64_e32 v[132:133], v[132:133], v[138:139]
	s_wait_loadcnt_dscnt 0x800
	v_mul_f64_e32 v[138:139], v[6:7], v[130:131]
	v_mul_f64_e32 v[130:131], v[8:9], v[130:131]
	v_fma_f64 v[136:137], v[4:5], v[120:121], v[136:137]
	v_fma_f64 v[142:143], v[2:3], v[120:121], -v[122:123]
	ds_load_b128 v[2:5], v1 offset:944
	scratch_load_b128 v[120:123], off, off offset:464
	v_add_f64_e32 v[39:40], v[39:40], v[140:141]
	v_add_f64_e32 v[132:133], v[132:133], v[134:135]
	v_fma_f64 v[138:139], v[8:9], v[128:129], v[138:139]
	v_fma_f64 v[140:141], v[6:7], v[128:129], -v[130:131]
	ds_load_b128 v[6:9], v1 offset:960
	scratch_load_b128 v[128:131], off, off offset:480
	s_wait_loadcnt_dscnt 0x901
	v_mul_f64_e32 v[134:135], v[2:3], v[36:37]
	v_mul_f64_e32 v[36:37], v[4:5], v[36:37]
	v_add_f64_e32 v[39:40], v[39:40], v[142:143]
	v_add_f64_e32 v[132:133], v[132:133], v[136:137]
	s_wait_loadcnt_dscnt 0x800
	v_mul_f64_e32 v[136:137], v[6:7], v[126:127]
	v_mul_f64_e32 v[126:127], v[8:9], v[126:127]
	v_fma_f64 v[134:135], v[4:5], v[34:35], v[134:135]
	v_fma_f64 v[142:143], v[2:3], v[34:35], -v[36:37]
	ds_load_b128 v[2:5], v1 offset:976
	scratch_load_b128 v[34:37], off, off offset:496
	v_add_f64_e32 v[39:40], v[39:40], v[140:141]
	v_add_f64_e32 v[132:133], v[132:133], v[138:139]
	v_fma_f64 v[136:137], v[8:9], v[124:125], v[136:137]
	v_fma_f64 v[140:141], v[6:7], v[124:125], -v[126:127]
	ds_load_b128 v[6:9], v1 offset:992
	s_wait_loadcnt_dscnt 0x801
	v_mul_f64_e32 v[138:139], v[2:3], v[12:13]
	v_mul_f64_e32 v[12:13], v[4:5], v[12:13]
	scratch_load_b128 v[124:127], off, off offset:512
	v_add_f64_e32 v[39:40], v[39:40], v[142:143]
	v_add_f64_e32 v[132:133], v[132:133], v[134:135]
	s_wait_loadcnt_dscnt 0x800
	v_mul_f64_e32 v[134:135], v[6:7], v[16:17]
	v_mul_f64_e32 v[16:17], v[8:9], v[16:17]
	v_fma_f64 v[138:139], v[4:5], v[10:11], v[138:139]
	v_fma_f64 v[142:143], v[2:3], v[10:11], -v[12:13]
	ds_load_b128 v[2:5], v1 offset:1008
	scratch_load_b128 v[10:13], off, off offset:528
	v_add_f64_e32 v[39:40], v[39:40], v[140:141]
	v_add_f64_e32 v[132:133], v[132:133], v[136:137]
	v_fma_f64 v[134:135], v[8:9], v[14:15], v[134:135]
	v_fma_f64 v[140:141], v[6:7], v[14:15], -v[16:17]
	ds_load_b128 v[6:9], v1 offset:1024
	s_wait_loadcnt_dscnt 0x801
	v_mul_f64_e32 v[136:137], v[2:3], v[20:21]
	v_mul_f64_e32 v[20:21], v[4:5], v[20:21]
	scratch_load_b128 v[14:17], off, off offset:544
	;; [unrolled: 18-line block ×4, first 2 shown]
	v_add_f64_e32 v[39:40], v[39:40], v[142:143]
	v_add_f64_e32 v[132:133], v[132:133], v[134:135]
	s_wait_loadcnt_dscnt 0x800
	v_mul_f64_e32 v[134:135], v[6:7], v[130:131]
	v_mul_f64_e32 v[130:131], v[8:9], v[130:131]
	v_fma_f64 v[138:139], v[4:5], v[120:121], v[138:139]
	v_fma_f64 v[142:143], v[2:3], v[120:121], -v[122:123]
	ds_load_b128 v[2:5], v1 offset:1104
	scratch_load_b128 v[120:123], off, off offset:624
	v_add_f64_e32 v[39:40], v[39:40], v[140:141]
	v_add_f64_e32 v[132:133], v[132:133], v[136:137]
	v_fma_f64 v[134:135], v[8:9], v[128:129], v[134:135]
	v_fma_f64 v[128:129], v[6:7], v[128:129], -v[130:131]
	ds_load_b128 v[6:9], v1 offset:1120
	s_wait_loadcnt_dscnt 0x801
	v_mul_f64_e32 v[136:137], v[2:3], v[36:37]
	v_mul_f64_e32 v[36:37], v[4:5], v[36:37]
	v_add_f64_e32 v[39:40], v[39:40], v[142:143]
	v_add_f64_e32 v[130:131], v[132:133], v[138:139]
	s_wait_loadcnt_dscnt 0x700
	v_mul_f64_e32 v[132:133], v[6:7], v[126:127]
	v_mul_f64_e32 v[126:127], v[8:9], v[126:127]
	v_fma_f64 v[136:137], v[4:5], v[34:35], v[136:137]
	v_fma_f64 v[34:35], v[2:3], v[34:35], -v[36:37]
	ds_load_b128 v[2:5], v1 offset:1136
	v_add_f64_e32 v[36:37], v[39:40], v[128:129]
	v_add_f64_e32 v[39:40], v[130:131], v[134:135]
	v_fma_f64 v[130:131], v[8:9], v[124:125], v[132:133]
	v_fma_f64 v[124:125], v[6:7], v[124:125], -v[126:127]
	ds_load_b128 v[6:9], v1 offset:1152
	s_wait_loadcnt_dscnt 0x500
	v_mul_f64_e32 v[132:133], v[6:7], v[16:17]
	v_mul_f64_e32 v[16:17], v[8:9], v[16:17]
	v_add_f64_e32 v[126:127], v[36:37], v[34:35]
	v_add_f64_e32 v[39:40], v[39:40], v[136:137]
	scratch_load_b128 v[34:37], off, off offset:160
	v_mul_f64_e32 v[128:129], v[2:3], v[12:13]
	v_mul_f64_e32 v[12:13], v[4:5], v[12:13]
	v_add_f64_e32 v[39:40], v[39:40], v[130:131]
	s_delay_alu instid0(VALU_DEP_3) | instskip(NEXT) | instid1(VALU_DEP_3)
	v_fma_f64 v[128:129], v[4:5], v[10:11], v[128:129]
	v_fma_f64 v[10:11], v[2:3], v[10:11], -v[12:13]
	v_add_f64_e32 v[12:13], v[126:127], v[124:125]
	ds_load_b128 v[2:5], v1 offset:1168
	v_fma_f64 v[126:127], v[8:9], v[14:15], v[132:133]
	v_fma_f64 v[14:15], v[6:7], v[14:15], -v[16:17]
	ds_load_b128 v[6:9], v1 offset:1184
	s_wait_loadcnt_dscnt 0x501
	v_mul_f64_e32 v[124:125], v[2:3], v[20:21]
	v_mul_f64_e32 v[20:21], v[4:5], v[20:21]
	s_wait_loadcnt_dscnt 0x400
	v_mul_f64_e32 v[16:17], v[6:7], v[24:25]
	v_mul_f64_e32 v[24:25], v[8:9], v[24:25]
	v_add_f64_e32 v[10:11], v[12:13], v[10:11]
	v_add_f64_e32 v[12:13], v[39:40], v[128:129]
	v_fma_f64 v[39:40], v[4:5], v[18:19], v[124:125]
	v_fma_f64 v[18:19], v[2:3], v[18:19], -v[20:21]
	ds_load_b128 v[2:5], v1 offset:1200
	v_fma_f64 v[16:17], v[8:9], v[22:23], v[16:17]
	v_fma_f64 v[22:23], v[6:7], v[22:23], -v[24:25]
	ds_load_b128 v[6:9], v1 offset:1216
	v_add_f64_e32 v[10:11], v[10:11], v[14:15]
	v_add_f64_e32 v[12:13], v[12:13], v[126:127]
	s_wait_loadcnt_dscnt 0x301
	v_mul_f64_e32 v[14:15], v[2:3], v[28:29]
	v_mul_f64_e32 v[20:21], v[4:5], v[28:29]
	s_wait_loadcnt_dscnt 0x200
	v_mul_f64_e32 v[24:25], v[8:9], v[32:33]
	v_add_f64_e32 v[10:11], v[10:11], v[18:19]
	v_add_f64_e32 v[12:13], v[12:13], v[39:40]
	v_mul_f64_e32 v[18:19], v[6:7], v[32:33]
	v_fma_f64 v[14:15], v[4:5], v[26:27], v[14:15]
	v_fma_f64 v[20:21], v[2:3], v[26:27], -v[20:21]
	ds_load_b128 v[2:5], v1 offset:1232
	v_fma_f64 v[6:7], v[6:7], v[30:31], -v[24:25]
	v_add_f64_e32 v[10:11], v[10:11], v[22:23]
	v_add_f64_e32 v[12:13], v[12:13], v[16:17]
	s_wait_loadcnt_dscnt 0x100
	v_mul_f64_e32 v[16:17], v[2:3], v[122:123]
	v_mul_f64_e32 v[22:23], v[4:5], v[122:123]
	v_fma_f64 v[8:9], v[8:9], v[30:31], v[18:19]
	v_add_f64_e32 v[10:11], v[10:11], v[20:21]
	v_add_f64_e32 v[12:13], v[12:13], v[14:15]
	v_fma_f64 v[4:5], v[4:5], v[120:121], v[16:17]
	v_fma_f64 v[2:3], v[2:3], v[120:121], -v[22:23]
	s_delay_alu instid0(VALU_DEP_4) | instskip(NEXT) | instid1(VALU_DEP_4)
	v_add_f64_e32 v[6:7], v[10:11], v[6:7]
	v_add_f64_e32 v[8:9], v[12:13], v[8:9]
	s_delay_alu instid0(VALU_DEP_2) | instskip(NEXT) | instid1(VALU_DEP_2)
	v_add_f64_e32 v[2:3], v[6:7], v[2:3]
	v_add_f64_e32 v[4:5], v[8:9], v[4:5]
	s_wait_loadcnt 0x0
	s_delay_alu instid0(VALU_DEP_2) | instskip(NEXT) | instid1(VALU_DEP_2)
	v_add_f64_e64 v[2:3], v[34:35], -v[2:3]
	v_add_f64_e64 v[4:5], v[36:37], -v[4:5]
	scratch_store_b128 off, v[2:5], off offset:160
	v_cmpx_lt_u32_e32 8, v0
	s_cbranch_execz .LBB38_231
; %bb.230:
	scratch_load_b128 v[5:8], off, s44
	v_dual_mov_b32 v2, v1 :: v_dual_mov_b32 v3, v1
	v_mov_b32_e32 v4, v1
	scratch_store_b128 off, v[1:4], off offset:144
	s_wait_loadcnt 0x0
	ds_store_b128 v38, v[5:8]
.LBB38_231:
	s_wait_alu 0xfffe
	s_or_b32 exec_lo, exec_lo, s0
	s_wait_storecnt_dscnt 0x0
	s_barrier_signal -1
	s_barrier_wait -1
	global_inv scope:SCOPE_SE
	s_clause 0x7
	scratch_load_b128 v[2:5], off, off offset:160
	scratch_load_b128 v[6:9], off, off offset:176
	;; [unrolled: 1-line block ×8, first 2 shown]
	ds_load_b128 v[34:37], v1 offset:768
	ds_load_b128 v[124:127], v1 offset:784
	s_clause 0x1
	scratch_load_b128 v[120:123], off, off offset:288
	scratch_load_b128 v[128:131], off, off offset:304
	s_mov_b32 s0, exec_lo
	s_wait_loadcnt_dscnt 0x901
	v_mul_f64_e32 v[39:40], v[36:37], v[4:5]
	v_mul_f64_e32 v[4:5], v[34:35], v[4:5]
	s_wait_loadcnt_dscnt 0x800
	v_mul_f64_e32 v[132:133], v[124:125], v[8:9]
	v_mul_f64_e32 v[8:9], v[126:127], v[8:9]
	s_delay_alu instid0(VALU_DEP_4) | instskip(NEXT) | instid1(VALU_DEP_4)
	v_fma_f64 v[39:40], v[34:35], v[2:3], -v[39:40]
	v_fma_f64 v[134:135], v[36:37], v[2:3], v[4:5]
	ds_load_b128 v[2:5], v1 offset:800
	scratch_load_b128 v[34:37], off, off offset:320
	v_fma_f64 v[132:133], v[126:127], v[6:7], v[132:133]
	v_fma_f64 v[138:139], v[124:125], v[6:7], -v[8:9]
	ds_load_b128 v[6:9], v1 offset:816
	scratch_load_b128 v[124:127], off, off offset:336
	s_wait_loadcnt_dscnt 0x901
	v_mul_f64_e32 v[136:137], v[2:3], v[12:13]
	v_mul_f64_e32 v[12:13], v[4:5], v[12:13]
	s_wait_loadcnt_dscnt 0x800
	v_mul_f64_e32 v[140:141], v[6:7], v[16:17]
	v_mul_f64_e32 v[16:17], v[8:9], v[16:17]
	v_add_f64_e32 v[39:40], 0, v[39:40]
	v_add_f64_e32 v[134:135], 0, v[134:135]
	v_fma_f64 v[136:137], v[4:5], v[10:11], v[136:137]
	v_fma_f64 v[142:143], v[2:3], v[10:11], -v[12:13]
	ds_load_b128 v[2:5], v1 offset:832
	scratch_load_b128 v[10:13], off, off offset:352
	v_add_f64_e32 v[39:40], v[39:40], v[138:139]
	v_add_f64_e32 v[132:133], v[134:135], v[132:133]
	v_fma_f64 v[138:139], v[8:9], v[14:15], v[140:141]
	v_fma_f64 v[140:141], v[6:7], v[14:15], -v[16:17]
	ds_load_b128 v[6:9], v1 offset:848
	scratch_load_b128 v[14:17], off, off offset:368
	s_wait_loadcnt_dscnt 0x901
	v_mul_f64_e32 v[134:135], v[2:3], v[20:21]
	v_mul_f64_e32 v[20:21], v[4:5], v[20:21]
	v_add_f64_e32 v[39:40], v[39:40], v[142:143]
	v_add_f64_e32 v[132:133], v[132:133], v[136:137]
	s_wait_loadcnt_dscnt 0x800
	v_mul_f64_e32 v[136:137], v[6:7], v[24:25]
	v_mul_f64_e32 v[24:25], v[8:9], v[24:25]
	v_fma_f64 v[134:135], v[4:5], v[18:19], v[134:135]
	v_fma_f64 v[142:143], v[2:3], v[18:19], -v[20:21]
	ds_load_b128 v[2:5], v1 offset:864
	scratch_load_b128 v[18:21], off, off offset:384
	v_add_f64_e32 v[39:40], v[39:40], v[140:141]
	v_add_f64_e32 v[132:133], v[132:133], v[138:139]
	v_fma_f64 v[136:137], v[8:9], v[22:23], v[136:137]
	v_fma_f64 v[140:141], v[6:7], v[22:23], -v[24:25]
	ds_load_b128 v[6:9], v1 offset:880
	s_wait_loadcnt_dscnt 0x801
	v_mul_f64_e32 v[138:139], v[2:3], v[28:29]
	v_mul_f64_e32 v[28:29], v[4:5], v[28:29]
	scratch_load_b128 v[22:25], off, off offset:400
	v_add_f64_e32 v[39:40], v[39:40], v[142:143]
	v_add_f64_e32 v[132:133], v[132:133], v[134:135]
	s_wait_loadcnt_dscnt 0x800
	v_mul_f64_e32 v[134:135], v[6:7], v[32:33]
	v_mul_f64_e32 v[32:33], v[8:9], v[32:33]
	v_fma_f64 v[138:139], v[4:5], v[26:27], v[138:139]
	v_fma_f64 v[142:143], v[2:3], v[26:27], -v[28:29]
	ds_load_b128 v[2:5], v1 offset:896
	scratch_load_b128 v[26:29], off, off offset:416
	v_add_f64_e32 v[39:40], v[39:40], v[140:141]
	v_add_f64_e32 v[132:133], v[132:133], v[136:137]
	v_fma_f64 v[134:135], v[8:9], v[30:31], v[134:135]
	v_fma_f64 v[140:141], v[6:7], v[30:31], -v[32:33]
	ds_load_b128 v[6:9], v1 offset:912
	s_wait_loadcnt_dscnt 0x801
	v_mul_f64_e32 v[136:137], v[2:3], v[122:123]
	v_mul_f64_e32 v[122:123], v[4:5], v[122:123]
	scratch_load_b128 v[30:33], off, off offset:432
	v_add_f64_e32 v[39:40], v[39:40], v[142:143]
	v_add_f64_e32 v[132:133], v[132:133], v[138:139]
	s_wait_loadcnt_dscnt 0x800
	v_mul_f64_e32 v[138:139], v[6:7], v[130:131]
	v_mul_f64_e32 v[130:131], v[8:9], v[130:131]
	v_fma_f64 v[136:137], v[4:5], v[120:121], v[136:137]
	v_fma_f64 v[142:143], v[2:3], v[120:121], -v[122:123]
	ds_load_b128 v[2:5], v1 offset:928
	scratch_load_b128 v[120:123], off, off offset:448
	v_add_f64_e32 v[39:40], v[39:40], v[140:141]
	v_add_f64_e32 v[132:133], v[132:133], v[134:135]
	v_fma_f64 v[138:139], v[8:9], v[128:129], v[138:139]
	v_fma_f64 v[140:141], v[6:7], v[128:129], -v[130:131]
	ds_load_b128 v[6:9], v1 offset:944
	scratch_load_b128 v[128:131], off, off offset:464
	s_wait_loadcnt_dscnt 0x901
	v_mul_f64_e32 v[134:135], v[2:3], v[36:37]
	v_mul_f64_e32 v[36:37], v[4:5], v[36:37]
	v_add_f64_e32 v[39:40], v[39:40], v[142:143]
	v_add_f64_e32 v[132:133], v[132:133], v[136:137]
	s_wait_loadcnt_dscnt 0x800
	v_mul_f64_e32 v[136:137], v[6:7], v[126:127]
	v_mul_f64_e32 v[126:127], v[8:9], v[126:127]
	v_fma_f64 v[134:135], v[4:5], v[34:35], v[134:135]
	v_fma_f64 v[142:143], v[2:3], v[34:35], -v[36:37]
	ds_load_b128 v[2:5], v1 offset:960
	scratch_load_b128 v[34:37], off, off offset:480
	v_add_f64_e32 v[39:40], v[39:40], v[140:141]
	v_add_f64_e32 v[132:133], v[132:133], v[138:139]
	v_fma_f64 v[136:137], v[8:9], v[124:125], v[136:137]
	v_fma_f64 v[140:141], v[6:7], v[124:125], -v[126:127]
	ds_load_b128 v[6:9], v1 offset:976
	s_wait_loadcnt_dscnt 0x801
	v_mul_f64_e32 v[138:139], v[2:3], v[12:13]
	v_mul_f64_e32 v[12:13], v[4:5], v[12:13]
	scratch_load_b128 v[124:127], off, off offset:496
	v_add_f64_e32 v[39:40], v[39:40], v[142:143]
	v_add_f64_e32 v[132:133], v[132:133], v[134:135]
	s_wait_loadcnt_dscnt 0x800
	v_mul_f64_e32 v[134:135], v[6:7], v[16:17]
	v_mul_f64_e32 v[16:17], v[8:9], v[16:17]
	v_fma_f64 v[138:139], v[4:5], v[10:11], v[138:139]
	v_fma_f64 v[142:143], v[2:3], v[10:11], -v[12:13]
	ds_load_b128 v[2:5], v1 offset:992
	scratch_load_b128 v[10:13], off, off offset:512
	v_add_f64_e32 v[39:40], v[39:40], v[140:141]
	v_add_f64_e32 v[132:133], v[132:133], v[136:137]
	v_fma_f64 v[134:135], v[8:9], v[14:15], v[134:135]
	v_fma_f64 v[140:141], v[6:7], v[14:15], -v[16:17]
	ds_load_b128 v[6:9], v1 offset:1008
	s_wait_loadcnt_dscnt 0x801
	v_mul_f64_e32 v[136:137], v[2:3], v[20:21]
	v_mul_f64_e32 v[20:21], v[4:5], v[20:21]
	scratch_load_b128 v[14:17], off, off offset:528
	;; [unrolled: 18-line block ×5, first 2 shown]
	v_add_f64_e32 v[39:40], v[39:40], v[142:143]
	v_add_f64_e32 v[132:133], v[132:133], v[138:139]
	s_wait_loadcnt_dscnt 0x800
	v_mul_f64_e32 v[138:139], v[6:7], v[126:127]
	v_mul_f64_e32 v[126:127], v[8:9], v[126:127]
	v_fma_f64 v[136:137], v[4:5], v[34:35], v[136:137]
	v_fma_f64 v[34:35], v[2:3], v[34:35], -v[36:37]
	ds_load_b128 v[2:5], v1 offset:1120
	v_add_f64_e32 v[36:37], v[39:40], v[140:141]
	v_add_f64_e32 v[39:40], v[132:133], v[134:135]
	v_fma_f64 v[134:135], v[8:9], v[124:125], v[138:139]
	v_fma_f64 v[124:125], v[6:7], v[124:125], -v[126:127]
	ds_load_b128 v[6:9], v1 offset:1136
	s_wait_loadcnt_dscnt 0x701
	v_mul_f64_e32 v[132:133], v[2:3], v[12:13]
	v_mul_f64_e32 v[12:13], v[4:5], v[12:13]
	v_add_f64_e32 v[34:35], v[36:37], v[34:35]
	v_add_f64_e32 v[36:37], v[39:40], v[136:137]
	s_delay_alu instid0(VALU_DEP_4) | instskip(NEXT) | instid1(VALU_DEP_4)
	v_fma_f64 v[126:127], v[4:5], v[10:11], v[132:133]
	v_fma_f64 v[132:133], v[2:3], v[10:11], -v[12:13]
	scratch_load_b128 v[10:13], off, off offset:144
	s_wait_loadcnt_dscnt 0x700
	v_mul_f64_e32 v[39:40], v[6:7], v[16:17]
	v_mul_f64_e32 v[16:17], v[8:9], v[16:17]
	ds_load_b128 v[2:5], v1 offset:1152
	v_add_f64_e32 v[34:35], v[34:35], v[124:125]
	v_add_f64_e32 v[36:37], v[36:37], v[134:135]
	v_fma_f64 v[39:40], v[8:9], v[14:15], v[39:40]
	v_fma_f64 v[14:15], v[6:7], v[14:15], -v[16:17]
	ds_load_b128 v[6:9], v1 offset:1168
	s_wait_loadcnt_dscnt 0x601
	v_mul_f64_e32 v[124:125], v[2:3], v[20:21]
	v_mul_f64_e32 v[20:21], v[4:5], v[20:21]
	v_add_f64_e32 v[16:17], v[34:35], v[132:133]
	v_add_f64_e32 v[34:35], v[36:37], v[126:127]
	s_wait_loadcnt_dscnt 0x500
	v_mul_f64_e32 v[36:37], v[6:7], v[24:25]
	v_mul_f64_e32 v[24:25], v[8:9], v[24:25]
	v_fma_f64 v[124:125], v[4:5], v[18:19], v[124:125]
	v_fma_f64 v[18:19], v[2:3], v[18:19], -v[20:21]
	ds_load_b128 v[2:5], v1 offset:1184
	v_add_f64_e32 v[14:15], v[16:17], v[14:15]
	v_add_f64_e32 v[16:17], v[34:35], v[39:40]
	v_fma_f64 v[34:35], v[8:9], v[22:23], v[36:37]
	v_fma_f64 v[22:23], v[6:7], v[22:23], -v[24:25]
	ds_load_b128 v[6:9], v1 offset:1200
	s_wait_loadcnt_dscnt 0x401
	v_mul_f64_e32 v[20:21], v[2:3], v[28:29]
	v_mul_f64_e32 v[28:29], v[4:5], v[28:29]
	s_wait_loadcnt_dscnt 0x300
	v_mul_f64_e32 v[24:25], v[8:9], v[32:33]
	v_add_f64_e32 v[14:15], v[14:15], v[18:19]
	v_add_f64_e32 v[16:17], v[16:17], v[124:125]
	v_mul_f64_e32 v[18:19], v[6:7], v[32:33]
	v_fma_f64 v[20:21], v[4:5], v[26:27], v[20:21]
	v_fma_f64 v[26:27], v[2:3], v[26:27], -v[28:29]
	ds_load_b128 v[2:5], v1 offset:1216
	v_fma_f64 v[24:25], v[6:7], v[30:31], -v[24:25]
	v_add_f64_e32 v[14:15], v[14:15], v[22:23]
	v_add_f64_e32 v[16:17], v[16:17], v[34:35]
	v_fma_f64 v[18:19], v[8:9], v[30:31], v[18:19]
	ds_load_b128 v[6:9], v1 offset:1232
	s_wait_loadcnt_dscnt 0x201
	v_mul_f64_e32 v[22:23], v[2:3], v[122:123]
	v_mul_f64_e32 v[28:29], v[4:5], v[122:123]
	v_add_f64_e32 v[14:15], v[14:15], v[26:27]
	v_add_f64_e32 v[16:17], v[16:17], v[20:21]
	s_wait_loadcnt_dscnt 0x100
	v_mul_f64_e32 v[20:21], v[6:7], v[130:131]
	v_mul_f64_e32 v[26:27], v[8:9], v[130:131]
	v_fma_f64 v[4:5], v[4:5], v[120:121], v[22:23]
	v_fma_f64 v[1:2], v[2:3], v[120:121], -v[28:29]
	v_add_f64_e32 v[14:15], v[14:15], v[24:25]
	v_add_f64_e32 v[16:17], v[16:17], v[18:19]
	v_fma_f64 v[8:9], v[8:9], v[128:129], v[20:21]
	v_fma_f64 v[6:7], v[6:7], v[128:129], -v[26:27]
	s_delay_alu instid0(VALU_DEP_4) | instskip(NEXT) | instid1(VALU_DEP_4)
	v_add_f64_e32 v[1:2], v[14:15], v[1:2]
	v_add_f64_e32 v[3:4], v[16:17], v[4:5]
	s_delay_alu instid0(VALU_DEP_2) | instskip(NEXT) | instid1(VALU_DEP_2)
	v_add_f64_e32 v[1:2], v[1:2], v[6:7]
	v_add_f64_e32 v[3:4], v[3:4], v[8:9]
	s_wait_loadcnt 0x0
	s_delay_alu instid0(VALU_DEP_2) | instskip(NEXT) | instid1(VALU_DEP_2)
	v_add_f64_e64 v[1:2], v[10:11], -v[1:2]
	v_add_f64_e64 v[3:4], v[12:13], -v[3:4]
	scratch_store_b128 off, v[1:4], off offset:144
	v_cmpx_lt_u32_e32 7, v0
	s_cbranch_execz .LBB38_233
; %bb.232:
	scratch_load_b128 v[1:4], off, s45
	v_mov_b32_e32 v5, 0
	s_delay_alu instid0(VALU_DEP_1)
	v_dual_mov_b32 v6, v5 :: v_dual_mov_b32 v7, v5
	v_mov_b32_e32 v8, v5
	scratch_store_b128 off, v[5:8], off offset:128
	s_wait_loadcnt 0x0
	ds_store_b128 v38, v[1:4]
.LBB38_233:
	s_wait_alu 0xfffe
	s_or_b32 exec_lo, exec_lo, s0
	s_wait_storecnt_dscnt 0x0
	s_barrier_signal -1
	s_barrier_wait -1
	global_inv scope:SCOPE_SE
	s_clause 0x7
	scratch_load_b128 v[2:5], off, off offset:144
	scratch_load_b128 v[6:9], off, off offset:160
	;; [unrolled: 1-line block ×8, first 2 shown]
	v_mov_b32_e32 v1, 0
	s_clause 0x1
	scratch_load_b128 v[120:123], off, off offset:272
	scratch_load_b128 v[128:131], off, off offset:288
	s_mov_b32 s0, exec_lo
	ds_load_b128 v[34:37], v1 offset:752
	ds_load_b128 v[124:127], v1 offset:768
	s_wait_loadcnt_dscnt 0x901
	v_mul_f64_e32 v[39:40], v[36:37], v[4:5]
	v_mul_f64_e32 v[4:5], v[34:35], v[4:5]
	s_wait_loadcnt_dscnt 0x800
	v_mul_f64_e32 v[132:133], v[124:125], v[8:9]
	v_mul_f64_e32 v[8:9], v[126:127], v[8:9]
	s_delay_alu instid0(VALU_DEP_4) | instskip(NEXT) | instid1(VALU_DEP_4)
	v_fma_f64 v[39:40], v[34:35], v[2:3], -v[39:40]
	v_fma_f64 v[134:135], v[36:37], v[2:3], v[4:5]
	ds_load_b128 v[2:5], v1 offset:784
	scratch_load_b128 v[34:37], off, off offset:304
	v_fma_f64 v[132:133], v[126:127], v[6:7], v[132:133]
	v_fma_f64 v[138:139], v[124:125], v[6:7], -v[8:9]
	ds_load_b128 v[6:9], v1 offset:800
	scratch_load_b128 v[124:127], off, off offset:320
	s_wait_loadcnt_dscnt 0x901
	v_mul_f64_e32 v[136:137], v[2:3], v[12:13]
	v_mul_f64_e32 v[12:13], v[4:5], v[12:13]
	s_wait_loadcnt_dscnt 0x800
	v_mul_f64_e32 v[140:141], v[6:7], v[16:17]
	v_mul_f64_e32 v[16:17], v[8:9], v[16:17]
	v_add_f64_e32 v[39:40], 0, v[39:40]
	v_add_f64_e32 v[134:135], 0, v[134:135]
	v_fma_f64 v[136:137], v[4:5], v[10:11], v[136:137]
	v_fma_f64 v[142:143], v[2:3], v[10:11], -v[12:13]
	ds_load_b128 v[2:5], v1 offset:816
	scratch_load_b128 v[10:13], off, off offset:336
	v_add_f64_e32 v[39:40], v[39:40], v[138:139]
	v_add_f64_e32 v[132:133], v[134:135], v[132:133]
	v_fma_f64 v[138:139], v[8:9], v[14:15], v[140:141]
	v_fma_f64 v[140:141], v[6:7], v[14:15], -v[16:17]
	ds_load_b128 v[6:9], v1 offset:832
	scratch_load_b128 v[14:17], off, off offset:352
	s_wait_loadcnt_dscnt 0x901
	v_mul_f64_e32 v[134:135], v[2:3], v[20:21]
	v_mul_f64_e32 v[20:21], v[4:5], v[20:21]
	v_add_f64_e32 v[39:40], v[39:40], v[142:143]
	v_add_f64_e32 v[132:133], v[132:133], v[136:137]
	s_wait_loadcnt_dscnt 0x800
	v_mul_f64_e32 v[136:137], v[6:7], v[24:25]
	v_mul_f64_e32 v[24:25], v[8:9], v[24:25]
	v_fma_f64 v[134:135], v[4:5], v[18:19], v[134:135]
	v_fma_f64 v[142:143], v[2:3], v[18:19], -v[20:21]
	ds_load_b128 v[2:5], v1 offset:848
	scratch_load_b128 v[18:21], off, off offset:368
	v_add_f64_e32 v[39:40], v[39:40], v[140:141]
	v_add_f64_e32 v[132:133], v[132:133], v[138:139]
	v_fma_f64 v[136:137], v[8:9], v[22:23], v[136:137]
	v_fma_f64 v[140:141], v[6:7], v[22:23], -v[24:25]
	ds_load_b128 v[6:9], v1 offset:864
	s_wait_loadcnt_dscnt 0x801
	v_mul_f64_e32 v[138:139], v[2:3], v[28:29]
	v_mul_f64_e32 v[28:29], v[4:5], v[28:29]
	scratch_load_b128 v[22:25], off, off offset:384
	v_add_f64_e32 v[39:40], v[39:40], v[142:143]
	v_add_f64_e32 v[132:133], v[132:133], v[134:135]
	s_wait_loadcnt_dscnt 0x800
	v_mul_f64_e32 v[134:135], v[6:7], v[32:33]
	v_mul_f64_e32 v[32:33], v[8:9], v[32:33]
	v_fma_f64 v[138:139], v[4:5], v[26:27], v[138:139]
	v_fma_f64 v[142:143], v[2:3], v[26:27], -v[28:29]
	ds_load_b128 v[2:5], v1 offset:880
	scratch_load_b128 v[26:29], off, off offset:400
	v_add_f64_e32 v[39:40], v[39:40], v[140:141]
	v_add_f64_e32 v[132:133], v[132:133], v[136:137]
	v_fma_f64 v[134:135], v[8:9], v[30:31], v[134:135]
	v_fma_f64 v[140:141], v[6:7], v[30:31], -v[32:33]
	ds_load_b128 v[6:9], v1 offset:896
	s_wait_loadcnt_dscnt 0x801
	v_mul_f64_e32 v[136:137], v[2:3], v[122:123]
	v_mul_f64_e32 v[122:123], v[4:5], v[122:123]
	scratch_load_b128 v[30:33], off, off offset:416
	v_add_f64_e32 v[39:40], v[39:40], v[142:143]
	v_add_f64_e32 v[132:133], v[132:133], v[138:139]
	s_wait_loadcnt_dscnt 0x800
	v_mul_f64_e32 v[138:139], v[6:7], v[130:131]
	v_mul_f64_e32 v[130:131], v[8:9], v[130:131]
	v_fma_f64 v[136:137], v[4:5], v[120:121], v[136:137]
	v_fma_f64 v[142:143], v[2:3], v[120:121], -v[122:123]
	ds_load_b128 v[2:5], v1 offset:912
	scratch_load_b128 v[120:123], off, off offset:432
	v_add_f64_e32 v[39:40], v[39:40], v[140:141]
	v_add_f64_e32 v[132:133], v[132:133], v[134:135]
	v_fma_f64 v[138:139], v[8:9], v[128:129], v[138:139]
	v_fma_f64 v[140:141], v[6:7], v[128:129], -v[130:131]
	ds_load_b128 v[6:9], v1 offset:928
	scratch_load_b128 v[128:131], off, off offset:448
	s_wait_loadcnt_dscnt 0x901
	v_mul_f64_e32 v[134:135], v[2:3], v[36:37]
	v_mul_f64_e32 v[36:37], v[4:5], v[36:37]
	v_add_f64_e32 v[39:40], v[39:40], v[142:143]
	v_add_f64_e32 v[132:133], v[132:133], v[136:137]
	s_wait_loadcnt_dscnt 0x800
	v_mul_f64_e32 v[136:137], v[6:7], v[126:127]
	v_mul_f64_e32 v[126:127], v[8:9], v[126:127]
	v_fma_f64 v[134:135], v[4:5], v[34:35], v[134:135]
	v_fma_f64 v[142:143], v[2:3], v[34:35], -v[36:37]
	ds_load_b128 v[2:5], v1 offset:944
	scratch_load_b128 v[34:37], off, off offset:464
	v_add_f64_e32 v[39:40], v[39:40], v[140:141]
	v_add_f64_e32 v[132:133], v[132:133], v[138:139]
	v_fma_f64 v[136:137], v[8:9], v[124:125], v[136:137]
	v_fma_f64 v[140:141], v[6:7], v[124:125], -v[126:127]
	ds_load_b128 v[6:9], v1 offset:960
	s_wait_loadcnt_dscnt 0x801
	v_mul_f64_e32 v[138:139], v[2:3], v[12:13]
	v_mul_f64_e32 v[12:13], v[4:5], v[12:13]
	scratch_load_b128 v[124:127], off, off offset:480
	v_add_f64_e32 v[39:40], v[39:40], v[142:143]
	v_add_f64_e32 v[132:133], v[132:133], v[134:135]
	s_wait_loadcnt_dscnt 0x800
	v_mul_f64_e32 v[134:135], v[6:7], v[16:17]
	v_mul_f64_e32 v[16:17], v[8:9], v[16:17]
	v_fma_f64 v[138:139], v[4:5], v[10:11], v[138:139]
	v_fma_f64 v[142:143], v[2:3], v[10:11], -v[12:13]
	ds_load_b128 v[2:5], v1 offset:976
	scratch_load_b128 v[10:13], off, off offset:496
	v_add_f64_e32 v[39:40], v[39:40], v[140:141]
	v_add_f64_e32 v[132:133], v[132:133], v[136:137]
	v_fma_f64 v[134:135], v[8:9], v[14:15], v[134:135]
	v_fma_f64 v[140:141], v[6:7], v[14:15], -v[16:17]
	ds_load_b128 v[6:9], v1 offset:992
	s_wait_loadcnt_dscnt 0x801
	v_mul_f64_e32 v[136:137], v[2:3], v[20:21]
	v_mul_f64_e32 v[20:21], v[4:5], v[20:21]
	scratch_load_b128 v[14:17], off, off offset:512
	v_add_f64_e32 v[39:40], v[39:40], v[142:143]
	v_add_f64_e32 v[132:133], v[132:133], v[138:139]
	s_wait_loadcnt_dscnt 0x800
	v_mul_f64_e32 v[138:139], v[6:7], v[24:25]
	v_mul_f64_e32 v[24:25], v[8:9], v[24:25]
	v_fma_f64 v[136:137], v[4:5], v[18:19], v[136:137]
	v_fma_f64 v[142:143], v[2:3], v[18:19], -v[20:21]
	ds_load_b128 v[2:5], v1 offset:1008
	scratch_load_b128 v[18:21], off, off offset:528
	v_add_f64_e32 v[39:40], v[39:40], v[140:141]
	v_add_f64_e32 v[132:133], v[132:133], v[134:135]
	v_fma_f64 v[138:139], v[8:9], v[22:23], v[138:139]
	v_fma_f64 v[140:141], v[6:7], v[22:23], -v[24:25]
	ds_load_b128 v[6:9], v1 offset:1024
	s_wait_loadcnt_dscnt 0x801
	v_mul_f64_e32 v[134:135], v[2:3], v[28:29]
	v_mul_f64_e32 v[28:29], v[4:5], v[28:29]
	scratch_load_b128 v[22:25], off, off offset:544
	v_add_f64_e32 v[39:40], v[39:40], v[142:143]
	v_add_f64_e32 v[132:133], v[132:133], v[136:137]
	s_wait_loadcnt_dscnt 0x800
	v_mul_f64_e32 v[136:137], v[6:7], v[32:33]
	v_mul_f64_e32 v[32:33], v[8:9], v[32:33]
	v_fma_f64 v[134:135], v[4:5], v[26:27], v[134:135]
	v_fma_f64 v[142:143], v[2:3], v[26:27], -v[28:29]
	ds_load_b128 v[2:5], v1 offset:1040
	scratch_load_b128 v[26:29], off, off offset:560
	v_add_f64_e32 v[39:40], v[39:40], v[140:141]
	v_add_f64_e32 v[132:133], v[132:133], v[138:139]
	v_fma_f64 v[136:137], v[8:9], v[30:31], v[136:137]
	v_fma_f64 v[140:141], v[6:7], v[30:31], -v[32:33]
	ds_load_b128 v[6:9], v1 offset:1056
	s_wait_loadcnt_dscnt 0x801
	v_mul_f64_e32 v[138:139], v[2:3], v[122:123]
	v_mul_f64_e32 v[122:123], v[4:5], v[122:123]
	scratch_load_b128 v[30:33], off, off offset:576
	v_add_f64_e32 v[39:40], v[39:40], v[142:143]
	v_add_f64_e32 v[132:133], v[132:133], v[134:135]
	s_wait_loadcnt_dscnt 0x800
	v_mul_f64_e32 v[134:135], v[6:7], v[130:131]
	v_mul_f64_e32 v[130:131], v[8:9], v[130:131]
	v_fma_f64 v[138:139], v[4:5], v[120:121], v[138:139]
	v_fma_f64 v[142:143], v[2:3], v[120:121], -v[122:123]
	ds_load_b128 v[2:5], v1 offset:1072
	scratch_load_b128 v[120:123], off, off offset:592
	v_add_f64_e32 v[39:40], v[39:40], v[140:141]
	v_add_f64_e32 v[132:133], v[132:133], v[136:137]
	v_fma_f64 v[134:135], v[8:9], v[128:129], v[134:135]
	v_fma_f64 v[140:141], v[6:7], v[128:129], -v[130:131]
	ds_load_b128 v[6:9], v1 offset:1088
	s_wait_loadcnt_dscnt 0x801
	v_mul_f64_e32 v[136:137], v[2:3], v[36:37]
	v_mul_f64_e32 v[36:37], v[4:5], v[36:37]
	scratch_load_b128 v[128:131], off, off offset:608
	v_add_f64_e32 v[39:40], v[39:40], v[142:143]
	v_add_f64_e32 v[132:133], v[132:133], v[138:139]
	s_wait_loadcnt_dscnt 0x800
	v_mul_f64_e32 v[138:139], v[6:7], v[126:127]
	v_mul_f64_e32 v[126:127], v[8:9], v[126:127]
	v_fma_f64 v[136:137], v[4:5], v[34:35], v[136:137]
	v_fma_f64 v[142:143], v[2:3], v[34:35], -v[36:37]
	ds_load_b128 v[2:5], v1 offset:1104
	scratch_load_b128 v[34:37], off, off offset:624
	v_add_f64_e32 v[39:40], v[39:40], v[140:141]
	v_add_f64_e32 v[132:133], v[132:133], v[134:135]
	v_fma_f64 v[138:139], v[8:9], v[124:125], v[138:139]
	v_fma_f64 v[124:125], v[6:7], v[124:125], -v[126:127]
	ds_load_b128 v[6:9], v1 offset:1120
	s_wait_loadcnt_dscnt 0x801
	v_mul_f64_e32 v[134:135], v[2:3], v[12:13]
	v_mul_f64_e32 v[12:13], v[4:5], v[12:13]
	v_add_f64_e32 v[39:40], v[39:40], v[142:143]
	v_add_f64_e32 v[126:127], v[132:133], v[136:137]
	s_wait_loadcnt_dscnt 0x700
	v_mul_f64_e32 v[132:133], v[6:7], v[16:17]
	v_mul_f64_e32 v[16:17], v[8:9], v[16:17]
	v_fma_f64 v[134:135], v[4:5], v[10:11], v[134:135]
	v_fma_f64 v[10:11], v[2:3], v[10:11], -v[12:13]
	ds_load_b128 v[2:5], v1 offset:1136
	v_add_f64_e32 v[12:13], v[39:40], v[124:125]
	v_add_f64_e32 v[39:40], v[126:127], v[138:139]
	v_fma_f64 v[126:127], v[8:9], v[14:15], v[132:133]
	v_fma_f64 v[14:15], v[6:7], v[14:15], -v[16:17]
	ds_load_b128 v[6:9], v1 offset:1152
	s_wait_loadcnt_dscnt 0x500
	v_mul_f64_e32 v[132:133], v[6:7], v[24:25]
	v_mul_f64_e32 v[24:25], v[8:9], v[24:25]
	v_add_f64_e32 v[16:17], v[12:13], v[10:11]
	v_add_f64_e32 v[39:40], v[39:40], v[134:135]
	scratch_load_b128 v[10:13], off, off offset:128
	v_mul_f64_e32 v[124:125], v[2:3], v[20:21]
	v_mul_f64_e32 v[20:21], v[4:5], v[20:21]
	v_add_f64_e32 v[14:15], v[16:17], v[14:15]
	v_add_f64_e32 v[16:17], v[39:40], v[126:127]
	v_fma_f64 v[39:40], v[8:9], v[22:23], v[132:133]
	v_fma_f64 v[124:125], v[4:5], v[18:19], v[124:125]
	v_fma_f64 v[18:19], v[2:3], v[18:19], -v[20:21]
	ds_load_b128 v[2:5], v1 offset:1168
	v_fma_f64 v[22:23], v[6:7], v[22:23], -v[24:25]
	ds_load_b128 v[6:9], v1 offset:1184
	s_wait_loadcnt_dscnt 0x501
	v_mul_f64_e32 v[20:21], v[2:3], v[28:29]
	v_mul_f64_e32 v[28:29], v[4:5], v[28:29]
	s_wait_loadcnt_dscnt 0x400
	v_mul_f64_e32 v[24:25], v[8:9], v[32:33]
	v_add_f64_e32 v[16:17], v[16:17], v[124:125]
	v_add_f64_e32 v[14:15], v[14:15], v[18:19]
	v_mul_f64_e32 v[18:19], v[6:7], v[32:33]
	v_fma_f64 v[20:21], v[4:5], v[26:27], v[20:21]
	v_fma_f64 v[26:27], v[2:3], v[26:27], -v[28:29]
	ds_load_b128 v[2:5], v1 offset:1200
	v_fma_f64 v[24:25], v[6:7], v[30:31], -v[24:25]
	v_add_f64_e32 v[16:17], v[16:17], v[39:40]
	v_add_f64_e32 v[14:15], v[14:15], v[22:23]
	v_fma_f64 v[18:19], v[8:9], v[30:31], v[18:19]
	ds_load_b128 v[6:9], v1 offset:1216
	s_wait_loadcnt_dscnt 0x301
	v_mul_f64_e32 v[22:23], v[2:3], v[122:123]
	v_mul_f64_e32 v[28:29], v[4:5], v[122:123]
	v_add_f64_e32 v[16:17], v[16:17], v[20:21]
	v_add_f64_e32 v[14:15], v[14:15], v[26:27]
	s_wait_loadcnt_dscnt 0x200
	v_mul_f64_e32 v[20:21], v[6:7], v[130:131]
	v_mul_f64_e32 v[26:27], v[8:9], v[130:131]
	v_fma_f64 v[22:23], v[4:5], v[120:121], v[22:23]
	v_fma_f64 v[28:29], v[2:3], v[120:121], -v[28:29]
	ds_load_b128 v[2:5], v1 offset:1232
	v_add_f64_e32 v[16:17], v[16:17], v[18:19]
	v_add_f64_e32 v[14:15], v[14:15], v[24:25]
	s_wait_loadcnt_dscnt 0x100
	v_mul_f64_e32 v[18:19], v[2:3], v[36:37]
	v_mul_f64_e32 v[24:25], v[4:5], v[36:37]
	v_fma_f64 v[8:9], v[8:9], v[128:129], v[20:21]
	v_fma_f64 v[6:7], v[6:7], v[128:129], -v[26:27]
	v_add_f64_e32 v[16:17], v[16:17], v[22:23]
	v_add_f64_e32 v[14:15], v[14:15], v[28:29]
	v_fma_f64 v[4:5], v[4:5], v[34:35], v[18:19]
	v_fma_f64 v[2:3], v[2:3], v[34:35], -v[24:25]
	s_delay_alu instid0(VALU_DEP_4) | instskip(NEXT) | instid1(VALU_DEP_4)
	v_add_f64_e32 v[8:9], v[16:17], v[8:9]
	v_add_f64_e32 v[6:7], v[14:15], v[6:7]
	s_delay_alu instid0(VALU_DEP_2) | instskip(NEXT) | instid1(VALU_DEP_2)
	v_add_f64_e32 v[4:5], v[8:9], v[4:5]
	v_add_f64_e32 v[2:3], v[6:7], v[2:3]
	s_wait_loadcnt 0x0
	s_delay_alu instid0(VALU_DEP_2) | instskip(NEXT) | instid1(VALU_DEP_2)
	v_add_f64_e64 v[4:5], v[12:13], -v[4:5]
	v_add_f64_e64 v[2:3], v[10:11], -v[2:3]
	scratch_store_b128 off, v[2:5], off offset:128
	v_cmpx_lt_u32_e32 6, v0
	s_cbranch_execz .LBB38_235
; %bb.234:
	scratch_load_b128 v[5:8], off, s46
	v_dual_mov_b32 v2, v1 :: v_dual_mov_b32 v3, v1
	v_mov_b32_e32 v4, v1
	scratch_store_b128 off, v[1:4], off offset:112
	s_wait_loadcnt 0x0
	ds_store_b128 v38, v[5:8]
.LBB38_235:
	s_wait_alu 0xfffe
	s_or_b32 exec_lo, exec_lo, s0
	s_wait_storecnt_dscnt 0x0
	s_barrier_signal -1
	s_barrier_wait -1
	global_inv scope:SCOPE_SE
	s_clause 0x7
	scratch_load_b128 v[2:5], off, off offset:128
	scratch_load_b128 v[6:9], off, off offset:144
	;; [unrolled: 1-line block ×8, first 2 shown]
	ds_load_b128 v[34:37], v1 offset:736
	ds_load_b128 v[124:127], v1 offset:752
	s_clause 0x1
	scratch_load_b128 v[120:123], off, off offset:256
	scratch_load_b128 v[128:131], off, off offset:272
	s_mov_b32 s0, exec_lo
	s_wait_loadcnt_dscnt 0x901
	v_mul_f64_e32 v[39:40], v[36:37], v[4:5]
	v_mul_f64_e32 v[4:5], v[34:35], v[4:5]
	s_wait_loadcnt_dscnt 0x800
	v_mul_f64_e32 v[132:133], v[124:125], v[8:9]
	v_mul_f64_e32 v[8:9], v[126:127], v[8:9]
	s_delay_alu instid0(VALU_DEP_4) | instskip(NEXT) | instid1(VALU_DEP_4)
	v_fma_f64 v[39:40], v[34:35], v[2:3], -v[39:40]
	v_fma_f64 v[134:135], v[36:37], v[2:3], v[4:5]
	ds_load_b128 v[2:5], v1 offset:768
	scratch_load_b128 v[34:37], off, off offset:288
	v_fma_f64 v[132:133], v[126:127], v[6:7], v[132:133]
	v_fma_f64 v[138:139], v[124:125], v[6:7], -v[8:9]
	ds_load_b128 v[6:9], v1 offset:784
	scratch_load_b128 v[124:127], off, off offset:304
	s_wait_loadcnt_dscnt 0x901
	v_mul_f64_e32 v[136:137], v[2:3], v[12:13]
	v_mul_f64_e32 v[12:13], v[4:5], v[12:13]
	s_wait_loadcnt_dscnt 0x800
	v_mul_f64_e32 v[140:141], v[6:7], v[16:17]
	v_mul_f64_e32 v[16:17], v[8:9], v[16:17]
	v_add_f64_e32 v[39:40], 0, v[39:40]
	v_add_f64_e32 v[134:135], 0, v[134:135]
	v_fma_f64 v[136:137], v[4:5], v[10:11], v[136:137]
	v_fma_f64 v[142:143], v[2:3], v[10:11], -v[12:13]
	ds_load_b128 v[2:5], v1 offset:800
	scratch_load_b128 v[10:13], off, off offset:320
	v_add_f64_e32 v[39:40], v[39:40], v[138:139]
	v_add_f64_e32 v[132:133], v[134:135], v[132:133]
	v_fma_f64 v[138:139], v[8:9], v[14:15], v[140:141]
	v_fma_f64 v[140:141], v[6:7], v[14:15], -v[16:17]
	ds_load_b128 v[6:9], v1 offset:816
	scratch_load_b128 v[14:17], off, off offset:336
	s_wait_loadcnt_dscnt 0x901
	v_mul_f64_e32 v[134:135], v[2:3], v[20:21]
	v_mul_f64_e32 v[20:21], v[4:5], v[20:21]
	v_add_f64_e32 v[39:40], v[39:40], v[142:143]
	v_add_f64_e32 v[132:133], v[132:133], v[136:137]
	s_wait_loadcnt_dscnt 0x800
	v_mul_f64_e32 v[136:137], v[6:7], v[24:25]
	v_mul_f64_e32 v[24:25], v[8:9], v[24:25]
	v_fma_f64 v[134:135], v[4:5], v[18:19], v[134:135]
	v_fma_f64 v[142:143], v[2:3], v[18:19], -v[20:21]
	ds_load_b128 v[2:5], v1 offset:832
	scratch_load_b128 v[18:21], off, off offset:352
	v_add_f64_e32 v[39:40], v[39:40], v[140:141]
	v_add_f64_e32 v[132:133], v[132:133], v[138:139]
	v_fma_f64 v[136:137], v[8:9], v[22:23], v[136:137]
	v_fma_f64 v[140:141], v[6:7], v[22:23], -v[24:25]
	ds_load_b128 v[6:9], v1 offset:848
	s_wait_loadcnt_dscnt 0x801
	v_mul_f64_e32 v[138:139], v[2:3], v[28:29]
	v_mul_f64_e32 v[28:29], v[4:5], v[28:29]
	scratch_load_b128 v[22:25], off, off offset:368
	v_add_f64_e32 v[39:40], v[39:40], v[142:143]
	v_add_f64_e32 v[132:133], v[132:133], v[134:135]
	s_wait_loadcnt_dscnt 0x800
	v_mul_f64_e32 v[134:135], v[6:7], v[32:33]
	v_mul_f64_e32 v[32:33], v[8:9], v[32:33]
	v_fma_f64 v[138:139], v[4:5], v[26:27], v[138:139]
	v_fma_f64 v[142:143], v[2:3], v[26:27], -v[28:29]
	ds_load_b128 v[2:5], v1 offset:864
	scratch_load_b128 v[26:29], off, off offset:384
	v_add_f64_e32 v[39:40], v[39:40], v[140:141]
	v_add_f64_e32 v[132:133], v[132:133], v[136:137]
	v_fma_f64 v[134:135], v[8:9], v[30:31], v[134:135]
	v_fma_f64 v[140:141], v[6:7], v[30:31], -v[32:33]
	ds_load_b128 v[6:9], v1 offset:880
	s_wait_loadcnt_dscnt 0x801
	v_mul_f64_e32 v[136:137], v[2:3], v[122:123]
	v_mul_f64_e32 v[122:123], v[4:5], v[122:123]
	scratch_load_b128 v[30:33], off, off offset:400
	v_add_f64_e32 v[39:40], v[39:40], v[142:143]
	v_add_f64_e32 v[132:133], v[132:133], v[138:139]
	s_wait_loadcnt_dscnt 0x800
	v_mul_f64_e32 v[138:139], v[6:7], v[130:131]
	v_mul_f64_e32 v[130:131], v[8:9], v[130:131]
	v_fma_f64 v[136:137], v[4:5], v[120:121], v[136:137]
	v_fma_f64 v[142:143], v[2:3], v[120:121], -v[122:123]
	ds_load_b128 v[2:5], v1 offset:896
	scratch_load_b128 v[120:123], off, off offset:416
	v_add_f64_e32 v[39:40], v[39:40], v[140:141]
	v_add_f64_e32 v[132:133], v[132:133], v[134:135]
	v_fma_f64 v[138:139], v[8:9], v[128:129], v[138:139]
	v_fma_f64 v[140:141], v[6:7], v[128:129], -v[130:131]
	ds_load_b128 v[6:9], v1 offset:912
	scratch_load_b128 v[128:131], off, off offset:432
	s_wait_loadcnt_dscnt 0x901
	v_mul_f64_e32 v[134:135], v[2:3], v[36:37]
	v_mul_f64_e32 v[36:37], v[4:5], v[36:37]
	v_add_f64_e32 v[39:40], v[39:40], v[142:143]
	v_add_f64_e32 v[132:133], v[132:133], v[136:137]
	s_wait_loadcnt_dscnt 0x800
	v_mul_f64_e32 v[136:137], v[6:7], v[126:127]
	v_mul_f64_e32 v[126:127], v[8:9], v[126:127]
	v_fma_f64 v[134:135], v[4:5], v[34:35], v[134:135]
	v_fma_f64 v[142:143], v[2:3], v[34:35], -v[36:37]
	ds_load_b128 v[2:5], v1 offset:928
	scratch_load_b128 v[34:37], off, off offset:448
	v_add_f64_e32 v[39:40], v[39:40], v[140:141]
	v_add_f64_e32 v[132:133], v[132:133], v[138:139]
	v_fma_f64 v[136:137], v[8:9], v[124:125], v[136:137]
	v_fma_f64 v[140:141], v[6:7], v[124:125], -v[126:127]
	ds_load_b128 v[6:9], v1 offset:944
	s_wait_loadcnt_dscnt 0x801
	v_mul_f64_e32 v[138:139], v[2:3], v[12:13]
	v_mul_f64_e32 v[12:13], v[4:5], v[12:13]
	scratch_load_b128 v[124:127], off, off offset:464
	v_add_f64_e32 v[39:40], v[39:40], v[142:143]
	v_add_f64_e32 v[132:133], v[132:133], v[134:135]
	s_wait_loadcnt_dscnt 0x800
	v_mul_f64_e32 v[134:135], v[6:7], v[16:17]
	v_mul_f64_e32 v[16:17], v[8:9], v[16:17]
	v_fma_f64 v[138:139], v[4:5], v[10:11], v[138:139]
	v_fma_f64 v[142:143], v[2:3], v[10:11], -v[12:13]
	ds_load_b128 v[2:5], v1 offset:960
	scratch_load_b128 v[10:13], off, off offset:480
	v_add_f64_e32 v[39:40], v[39:40], v[140:141]
	v_add_f64_e32 v[132:133], v[132:133], v[136:137]
	v_fma_f64 v[134:135], v[8:9], v[14:15], v[134:135]
	v_fma_f64 v[140:141], v[6:7], v[14:15], -v[16:17]
	ds_load_b128 v[6:9], v1 offset:976
	s_wait_loadcnt_dscnt 0x801
	v_mul_f64_e32 v[136:137], v[2:3], v[20:21]
	v_mul_f64_e32 v[20:21], v[4:5], v[20:21]
	scratch_load_b128 v[14:17], off, off offset:496
	v_add_f64_e32 v[39:40], v[39:40], v[142:143]
	v_add_f64_e32 v[132:133], v[132:133], v[138:139]
	s_wait_loadcnt_dscnt 0x800
	v_mul_f64_e32 v[138:139], v[6:7], v[24:25]
	v_mul_f64_e32 v[24:25], v[8:9], v[24:25]
	v_fma_f64 v[136:137], v[4:5], v[18:19], v[136:137]
	v_fma_f64 v[142:143], v[2:3], v[18:19], -v[20:21]
	ds_load_b128 v[2:5], v1 offset:992
	scratch_load_b128 v[18:21], off, off offset:512
	v_add_f64_e32 v[39:40], v[39:40], v[140:141]
	v_add_f64_e32 v[132:133], v[132:133], v[134:135]
	v_fma_f64 v[138:139], v[8:9], v[22:23], v[138:139]
	v_fma_f64 v[140:141], v[6:7], v[22:23], -v[24:25]
	ds_load_b128 v[6:9], v1 offset:1008
	s_wait_loadcnt_dscnt 0x801
	v_mul_f64_e32 v[134:135], v[2:3], v[28:29]
	v_mul_f64_e32 v[28:29], v[4:5], v[28:29]
	scratch_load_b128 v[22:25], off, off offset:528
	v_add_f64_e32 v[39:40], v[39:40], v[142:143]
	v_add_f64_e32 v[132:133], v[132:133], v[136:137]
	s_wait_loadcnt_dscnt 0x800
	v_mul_f64_e32 v[136:137], v[6:7], v[32:33]
	v_mul_f64_e32 v[32:33], v[8:9], v[32:33]
	v_fma_f64 v[134:135], v[4:5], v[26:27], v[134:135]
	v_fma_f64 v[142:143], v[2:3], v[26:27], -v[28:29]
	ds_load_b128 v[2:5], v1 offset:1024
	scratch_load_b128 v[26:29], off, off offset:544
	v_add_f64_e32 v[39:40], v[39:40], v[140:141]
	v_add_f64_e32 v[132:133], v[132:133], v[138:139]
	v_fma_f64 v[136:137], v[8:9], v[30:31], v[136:137]
	v_fma_f64 v[140:141], v[6:7], v[30:31], -v[32:33]
	ds_load_b128 v[6:9], v1 offset:1040
	s_wait_loadcnt_dscnt 0x801
	v_mul_f64_e32 v[138:139], v[2:3], v[122:123]
	v_mul_f64_e32 v[122:123], v[4:5], v[122:123]
	scratch_load_b128 v[30:33], off, off offset:560
	v_add_f64_e32 v[39:40], v[39:40], v[142:143]
	v_add_f64_e32 v[132:133], v[132:133], v[134:135]
	s_wait_loadcnt_dscnt 0x800
	v_mul_f64_e32 v[134:135], v[6:7], v[130:131]
	v_mul_f64_e32 v[130:131], v[8:9], v[130:131]
	v_fma_f64 v[138:139], v[4:5], v[120:121], v[138:139]
	v_fma_f64 v[142:143], v[2:3], v[120:121], -v[122:123]
	ds_load_b128 v[2:5], v1 offset:1056
	scratch_load_b128 v[120:123], off, off offset:576
	v_add_f64_e32 v[39:40], v[39:40], v[140:141]
	v_add_f64_e32 v[132:133], v[132:133], v[136:137]
	v_fma_f64 v[134:135], v[8:9], v[128:129], v[134:135]
	v_fma_f64 v[140:141], v[6:7], v[128:129], -v[130:131]
	ds_load_b128 v[6:9], v1 offset:1072
	s_wait_loadcnt_dscnt 0x801
	v_mul_f64_e32 v[136:137], v[2:3], v[36:37]
	v_mul_f64_e32 v[36:37], v[4:5], v[36:37]
	scratch_load_b128 v[128:131], off, off offset:592
	v_add_f64_e32 v[39:40], v[39:40], v[142:143]
	v_add_f64_e32 v[132:133], v[132:133], v[138:139]
	s_wait_loadcnt_dscnt 0x800
	v_mul_f64_e32 v[138:139], v[6:7], v[126:127]
	v_mul_f64_e32 v[126:127], v[8:9], v[126:127]
	v_fma_f64 v[136:137], v[4:5], v[34:35], v[136:137]
	v_fma_f64 v[142:143], v[2:3], v[34:35], -v[36:37]
	ds_load_b128 v[2:5], v1 offset:1088
	scratch_load_b128 v[34:37], off, off offset:608
	v_add_f64_e32 v[39:40], v[39:40], v[140:141]
	v_add_f64_e32 v[132:133], v[132:133], v[134:135]
	v_fma_f64 v[138:139], v[8:9], v[124:125], v[138:139]
	v_fma_f64 v[140:141], v[6:7], v[124:125], -v[126:127]
	ds_load_b128 v[6:9], v1 offset:1104
	s_wait_loadcnt_dscnt 0x801
	v_mul_f64_e32 v[134:135], v[2:3], v[12:13]
	v_mul_f64_e32 v[12:13], v[4:5], v[12:13]
	scratch_load_b128 v[124:127], off, off offset:624
	v_add_f64_e32 v[39:40], v[39:40], v[142:143]
	v_add_f64_e32 v[132:133], v[132:133], v[136:137]
	s_wait_loadcnt_dscnt 0x800
	v_mul_f64_e32 v[136:137], v[6:7], v[16:17]
	v_mul_f64_e32 v[16:17], v[8:9], v[16:17]
	v_fma_f64 v[134:135], v[4:5], v[10:11], v[134:135]
	v_fma_f64 v[10:11], v[2:3], v[10:11], -v[12:13]
	ds_load_b128 v[2:5], v1 offset:1120
	v_add_f64_e32 v[12:13], v[39:40], v[140:141]
	v_add_f64_e32 v[39:40], v[132:133], v[138:139]
	v_fma_f64 v[136:137], v[8:9], v[14:15], v[136:137]
	v_fma_f64 v[14:15], v[6:7], v[14:15], -v[16:17]
	ds_load_b128 v[6:9], v1 offset:1136
	s_wait_loadcnt_dscnt 0x701
	v_mul_f64_e32 v[132:133], v[2:3], v[20:21]
	v_mul_f64_e32 v[20:21], v[4:5], v[20:21]
	v_add_f64_e32 v[10:11], v[12:13], v[10:11]
	v_add_f64_e32 v[12:13], v[39:40], v[134:135]
	s_delay_alu instid0(VALU_DEP_4) | instskip(NEXT) | instid1(VALU_DEP_4)
	v_fma_f64 v[39:40], v[4:5], v[18:19], v[132:133]
	v_fma_f64 v[18:19], v[2:3], v[18:19], -v[20:21]
	ds_load_b128 v[2:5], v1 offset:1152
	v_add_f64_e32 v[14:15], v[10:11], v[14:15]
	v_add_f64_e32 v[20:21], v[12:13], v[136:137]
	scratch_load_b128 v[10:13], off, off offset:112
	s_wait_loadcnt_dscnt 0x701
	v_mul_f64_e32 v[16:17], v[6:7], v[24:25]
	v_mul_f64_e32 v[24:25], v[8:9], v[24:25]
	v_add_f64_e32 v[14:15], v[14:15], v[18:19]
	v_add_f64_e32 v[18:19], v[20:21], v[39:40]
	s_delay_alu instid0(VALU_DEP_4) | instskip(NEXT) | instid1(VALU_DEP_4)
	v_fma_f64 v[16:17], v[8:9], v[22:23], v[16:17]
	v_fma_f64 v[22:23], v[6:7], v[22:23], -v[24:25]
	ds_load_b128 v[6:9], v1 offset:1168
	s_wait_loadcnt_dscnt 0x601
	v_mul_f64_e32 v[132:133], v[2:3], v[28:29]
	v_mul_f64_e32 v[28:29], v[4:5], v[28:29]
	s_wait_loadcnt_dscnt 0x500
	v_mul_f64_e32 v[20:21], v[6:7], v[32:33]
	v_mul_f64_e32 v[24:25], v[8:9], v[32:33]
	v_add_f64_e32 v[16:17], v[18:19], v[16:17]
	v_add_f64_e32 v[14:15], v[14:15], v[22:23]
	v_fma_f64 v[32:33], v[4:5], v[26:27], v[132:133]
	v_fma_f64 v[26:27], v[2:3], v[26:27], -v[28:29]
	ds_load_b128 v[2:5], v1 offset:1184
	v_fma_f64 v[20:21], v[8:9], v[30:31], v[20:21]
	v_fma_f64 v[24:25], v[6:7], v[30:31], -v[24:25]
	ds_load_b128 v[6:9], v1 offset:1200
	s_wait_loadcnt_dscnt 0x401
	v_mul_f64_e32 v[18:19], v[2:3], v[122:123]
	v_mul_f64_e32 v[22:23], v[4:5], v[122:123]
	v_add_f64_e32 v[16:17], v[16:17], v[32:33]
	v_add_f64_e32 v[14:15], v[14:15], v[26:27]
	s_wait_loadcnt_dscnt 0x300
	v_mul_f64_e32 v[26:27], v[6:7], v[130:131]
	v_mul_f64_e32 v[28:29], v[8:9], v[130:131]
	v_fma_f64 v[18:19], v[4:5], v[120:121], v[18:19]
	v_fma_f64 v[22:23], v[2:3], v[120:121], -v[22:23]
	ds_load_b128 v[2:5], v1 offset:1216
	v_add_f64_e32 v[16:17], v[16:17], v[20:21]
	v_add_f64_e32 v[14:15], v[14:15], v[24:25]
	v_fma_f64 v[26:27], v[8:9], v[128:129], v[26:27]
	v_fma_f64 v[28:29], v[6:7], v[128:129], -v[28:29]
	ds_load_b128 v[6:9], v1 offset:1232
	s_wait_loadcnt_dscnt 0x201
	v_mul_f64_e32 v[20:21], v[2:3], v[36:37]
	v_mul_f64_e32 v[24:25], v[4:5], v[36:37]
	v_add_f64_e32 v[16:17], v[16:17], v[18:19]
	v_add_f64_e32 v[14:15], v[14:15], v[22:23]
	s_wait_loadcnt_dscnt 0x100
	v_mul_f64_e32 v[18:19], v[6:7], v[126:127]
	v_mul_f64_e32 v[22:23], v[8:9], v[126:127]
	v_fma_f64 v[4:5], v[4:5], v[34:35], v[20:21]
	v_fma_f64 v[1:2], v[2:3], v[34:35], -v[24:25]
	v_add_f64_e32 v[16:17], v[16:17], v[26:27]
	v_add_f64_e32 v[14:15], v[14:15], v[28:29]
	v_fma_f64 v[8:9], v[8:9], v[124:125], v[18:19]
	v_fma_f64 v[6:7], v[6:7], v[124:125], -v[22:23]
	s_delay_alu instid0(VALU_DEP_4) | instskip(NEXT) | instid1(VALU_DEP_4)
	v_add_f64_e32 v[3:4], v[16:17], v[4:5]
	v_add_f64_e32 v[1:2], v[14:15], v[1:2]
	s_delay_alu instid0(VALU_DEP_2) | instskip(NEXT) | instid1(VALU_DEP_2)
	v_add_f64_e32 v[3:4], v[3:4], v[8:9]
	v_add_f64_e32 v[1:2], v[1:2], v[6:7]
	s_wait_loadcnt 0x0
	s_delay_alu instid0(VALU_DEP_2) | instskip(NEXT) | instid1(VALU_DEP_2)
	v_add_f64_e64 v[3:4], v[12:13], -v[3:4]
	v_add_f64_e64 v[1:2], v[10:11], -v[1:2]
	scratch_store_b128 off, v[1:4], off offset:112
	v_cmpx_lt_u32_e32 5, v0
	s_cbranch_execz .LBB38_237
; %bb.236:
	scratch_load_b128 v[1:4], off, s47
	v_mov_b32_e32 v5, 0
	s_delay_alu instid0(VALU_DEP_1)
	v_dual_mov_b32 v6, v5 :: v_dual_mov_b32 v7, v5
	v_mov_b32_e32 v8, v5
	scratch_store_b128 off, v[5:8], off offset:96
	s_wait_loadcnt 0x0
	ds_store_b128 v38, v[1:4]
.LBB38_237:
	s_wait_alu 0xfffe
	s_or_b32 exec_lo, exec_lo, s0
	s_wait_storecnt_dscnt 0x0
	s_barrier_signal -1
	s_barrier_wait -1
	global_inv scope:SCOPE_SE
	s_clause 0x7
	scratch_load_b128 v[2:5], off, off offset:112
	scratch_load_b128 v[6:9], off, off offset:128
	;; [unrolled: 1-line block ×8, first 2 shown]
	v_mov_b32_e32 v1, 0
	s_clause 0x1
	scratch_load_b128 v[120:123], off, off offset:240
	scratch_load_b128 v[128:131], off, off offset:256
	s_mov_b32 s0, exec_lo
	ds_load_b128 v[34:37], v1 offset:720
	ds_load_b128 v[124:127], v1 offset:736
	s_wait_loadcnt_dscnt 0x901
	v_mul_f64_e32 v[39:40], v[36:37], v[4:5]
	v_mul_f64_e32 v[4:5], v[34:35], v[4:5]
	s_wait_loadcnt_dscnt 0x800
	v_mul_f64_e32 v[132:133], v[124:125], v[8:9]
	v_mul_f64_e32 v[8:9], v[126:127], v[8:9]
	s_delay_alu instid0(VALU_DEP_4) | instskip(NEXT) | instid1(VALU_DEP_4)
	v_fma_f64 v[39:40], v[34:35], v[2:3], -v[39:40]
	v_fma_f64 v[134:135], v[36:37], v[2:3], v[4:5]
	ds_load_b128 v[2:5], v1 offset:752
	scratch_load_b128 v[34:37], off, off offset:272
	v_fma_f64 v[132:133], v[126:127], v[6:7], v[132:133]
	v_fma_f64 v[138:139], v[124:125], v[6:7], -v[8:9]
	ds_load_b128 v[6:9], v1 offset:768
	scratch_load_b128 v[124:127], off, off offset:288
	s_wait_loadcnt_dscnt 0x901
	v_mul_f64_e32 v[136:137], v[2:3], v[12:13]
	v_mul_f64_e32 v[12:13], v[4:5], v[12:13]
	s_wait_loadcnt_dscnt 0x800
	v_mul_f64_e32 v[140:141], v[6:7], v[16:17]
	v_mul_f64_e32 v[16:17], v[8:9], v[16:17]
	v_add_f64_e32 v[39:40], 0, v[39:40]
	v_add_f64_e32 v[134:135], 0, v[134:135]
	v_fma_f64 v[136:137], v[4:5], v[10:11], v[136:137]
	v_fma_f64 v[142:143], v[2:3], v[10:11], -v[12:13]
	ds_load_b128 v[2:5], v1 offset:784
	scratch_load_b128 v[10:13], off, off offset:304
	v_add_f64_e32 v[39:40], v[39:40], v[138:139]
	v_add_f64_e32 v[132:133], v[134:135], v[132:133]
	v_fma_f64 v[138:139], v[8:9], v[14:15], v[140:141]
	v_fma_f64 v[140:141], v[6:7], v[14:15], -v[16:17]
	ds_load_b128 v[6:9], v1 offset:800
	scratch_load_b128 v[14:17], off, off offset:320
	s_wait_loadcnt_dscnt 0x901
	v_mul_f64_e32 v[134:135], v[2:3], v[20:21]
	v_mul_f64_e32 v[20:21], v[4:5], v[20:21]
	v_add_f64_e32 v[39:40], v[39:40], v[142:143]
	v_add_f64_e32 v[132:133], v[132:133], v[136:137]
	s_wait_loadcnt_dscnt 0x800
	v_mul_f64_e32 v[136:137], v[6:7], v[24:25]
	v_mul_f64_e32 v[24:25], v[8:9], v[24:25]
	v_fma_f64 v[134:135], v[4:5], v[18:19], v[134:135]
	v_fma_f64 v[142:143], v[2:3], v[18:19], -v[20:21]
	ds_load_b128 v[2:5], v1 offset:816
	scratch_load_b128 v[18:21], off, off offset:336
	v_add_f64_e32 v[39:40], v[39:40], v[140:141]
	v_add_f64_e32 v[132:133], v[132:133], v[138:139]
	v_fma_f64 v[136:137], v[8:9], v[22:23], v[136:137]
	v_fma_f64 v[140:141], v[6:7], v[22:23], -v[24:25]
	ds_load_b128 v[6:9], v1 offset:832
	s_wait_loadcnt_dscnt 0x801
	v_mul_f64_e32 v[138:139], v[2:3], v[28:29]
	v_mul_f64_e32 v[28:29], v[4:5], v[28:29]
	scratch_load_b128 v[22:25], off, off offset:352
	v_add_f64_e32 v[39:40], v[39:40], v[142:143]
	v_add_f64_e32 v[132:133], v[132:133], v[134:135]
	s_wait_loadcnt_dscnt 0x800
	v_mul_f64_e32 v[134:135], v[6:7], v[32:33]
	v_mul_f64_e32 v[32:33], v[8:9], v[32:33]
	v_fma_f64 v[138:139], v[4:5], v[26:27], v[138:139]
	v_fma_f64 v[142:143], v[2:3], v[26:27], -v[28:29]
	ds_load_b128 v[2:5], v1 offset:848
	scratch_load_b128 v[26:29], off, off offset:368
	v_add_f64_e32 v[39:40], v[39:40], v[140:141]
	v_add_f64_e32 v[132:133], v[132:133], v[136:137]
	v_fma_f64 v[134:135], v[8:9], v[30:31], v[134:135]
	v_fma_f64 v[140:141], v[6:7], v[30:31], -v[32:33]
	ds_load_b128 v[6:9], v1 offset:864
	s_wait_loadcnt_dscnt 0x801
	v_mul_f64_e32 v[136:137], v[2:3], v[122:123]
	v_mul_f64_e32 v[122:123], v[4:5], v[122:123]
	scratch_load_b128 v[30:33], off, off offset:384
	v_add_f64_e32 v[39:40], v[39:40], v[142:143]
	v_add_f64_e32 v[132:133], v[132:133], v[138:139]
	s_wait_loadcnt_dscnt 0x800
	v_mul_f64_e32 v[138:139], v[6:7], v[130:131]
	v_mul_f64_e32 v[130:131], v[8:9], v[130:131]
	v_fma_f64 v[136:137], v[4:5], v[120:121], v[136:137]
	v_fma_f64 v[142:143], v[2:3], v[120:121], -v[122:123]
	ds_load_b128 v[2:5], v1 offset:880
	scratch_load_b128 v[120:123], off, off offset:400
	v_add_f64_e32 v[39:40], v[39:40], v[140:141]
	v_add_f64_e32 v[132:133], v[132:133], v[134:135]
	v_fma_f64 v[138:139], v[8:9], v[128:129], v[138:139]
	v_fma_f64 v[140:141], v[6:7], v[128:129], -v[130:131]
	ds_load_b128 v[6:9], v1 offset:896
	scratch_load_b128 v[128:131], off, off offset:416
	s_wait_loadcnt_dscnt 0x901
	v_mul_f64_e32 v[134:135], v[2:3], v[36:37]
	v_mul_f64_e32 v[36:37], v[4:5], v[36:37]
	v_add_f64_e32 v[39:40], v[39:40], v[142:143]
	v_add_f64_e32 v[132:133], v[132:133], v[136:137]
	s_wait_loadcnt_dscnt 0x800
	v_mul_f64_e32 v[136:137], v[6:7], v[126:127]
	v_mul_f64_e32 v[126:127], v[8:9], v[126:127]
	v_fma_f64 v[134:135], v[4:5], v[34:35], v[134:135]
	v_fma_f64 v[142:143], v[2:3], v[34:35], -v[36:37]
	ds_load_b128 v[2:5], v1 offset:912
	scratch_load_b128 v[34:37], off, off offset:432
	v_add_f64_e32 v[39:40], v[39:40], v[140:141]
	v_add_f64_e32 v[132:133], v[132:133], v[138:139]
	v_fma_f64 v[136:137], v[8:9], v[124:125], v[136:137]
	v_fma_f64 v[140:141], v[6:7], v[124:125], -v[126:127]
	ds_load_b128 v[6:9], v1 offset:928
	s_wait_loadcnt_dscnt 0x801
	v_mul_f64_e32 v[138:139], v[2:3], v[12:13]
	v_mul_f64_e32 v[12:13], v[4:5], v[12:13]
	scratch_load_b128 v[124:127], off, off offset:448
	v_add_f64_e32 v[39:40], v[39:40], v[142:143]
	v_add_f64_e32 v[132:133], v[132:133], v[134:135]
	s_wait_loadcnt_dscnt 0x800
	v_mul_f64_e32 v[134:135], v[6:7], v[16:17]
	v_mul_f64_e32 v[16:17], v[8:9], v[16:17]
	v_fma_f64 v[138:139], v[4:5], v[10:11], v[138:139]
	v_fma_f64 v[142:143], v[2:3], v[10:11], -v[12:13]
	ds_load_b128 v[2:5], v1 offset:944
	scratch_load_b128 v[10:13], off, off offset:464
	v_add_f64_e32 v[39:40], v[39:40], v[140:141]
	v_add_f64_e32 v[132:133], v[132:133], v[136:137]
	v_fma_f64 v[134:135], v[8:9], v[14:15], v[134:135]
	v_fma_f64 v[140:141], v[6:7], v[14:15], -v[16:17]
	ds_load_b128 v[6:9], v1 offset:960
	s_wait_loadcnt_dscnt 0x801
	v_mul_f64_e32 v[136:137], v[2:3], v[20:21]
	v_mul_f64_e32 v[20:21], v[4:5], v[20:21]
	scratch_load_b128 v[14:17], off, off offset:480
	;; [unrolled: 18-line block ×6, first 2 shown]
	v_add_f64_e32 v[39:40], v[39:40], v[142:143]
	v_add_f64_e32 v[132:133], v[132:133], v[136:137]
	s_wait_loadcnt_dscnt 0x800
	v_mul_f64_e32 v[136:137], v[6:7], v[16:17]
	v_mul_f64_e32 v[16:17], v[8:9], v[16:17]
	v_fma_f64 v[134:135], v[4:5], v[10:11], v[134:135]
	v_fma_f64 v[142:143], v[2:3], v[10:11], -v[12:13]
	ds_load_b128 v[2:5], v1 offset:1104
	scratch_load_b128 v[10:13], off, off offset:624
	v_add_f64_e32 v[39:40], v[39:40], v[140:141]
	v_add_f64_e32 v[132:133], v[132:133], v[138:139]
	v_fma_f64 v[136:137], v[8:9], v[14:15], v[136:137]
	v_fma_f64 v[14:15], v[6:7], v[14:15], -v[16:17]
	ds_load_b128 v[6:9], v1 offset:1120
	s_wait_loadcnt_dscnt 0x801
	v_mul_f64_e32 v[138:139], v[2:3], v[20:21]
	v_mul_f64_e32 v[20:21], v[4:5], v[20:21]
	v_add_f64_e32 v[16:17], v[39:40], v[142:143]
	v_add_f64_e32 v[39:40], v[132:133], v[134:135]
	s_wait_loadcnt_dscnt 0x700
	v_mul_f64_e32 v[132:133], v[6:7], v[24:25]
	v_mul_f64_e32 v[24:25], v[8:9], v[24:25]
	v_fma_f64 v[134:135], v[4:5], v[18:19], v[138:139]
	v_fma_f64 v[18:19], v[2:3], v[18:19], -v[20:21]
	ds_load_b128 v[2:5], v1 offset:1136
	v_add_f64_e32 v[14:15], v[16:17], v[14:15]
	v_add_f64_e32 v[16:17], v[39:40], v[136:137]
	v_fma_f64 v[39:40], v[8:9], v[22:23], v[132:133]
	v_fma_f64 v[22:23], v[6:7], v[22:23], -v[24:25]
	ds_load_b128 v[6:9], v1 offset:1152
	s_wait_loadcnt_dscnt 0x500
	v_mul_f64_e32 v[132:133], v[6:7], v[32:33]
	v_mul_f64_e32 v[32:33], v[8:9], v[32:33]
	v_add_f64_e32 v[18:19], v[14:15], v[18:19]
	v_add_f64_e32 v[24:25], v[16:17], v[134:135]
	scratch_load_b128 v[14:17], off, off offset:96
	v_mul_f64_e32 v[20:21], v[2:3], v[28:29]
	v_mul_f64_e32 v[28:29], v[4:5], v[28:29]
	v_add_f64_e32 v[18:19], v[18:19], v[22:23]
	v_add_f64_e32 v[22:23], v[24:25], v[39:40]
	v_fma_f64 v[39:40], v[8:9], v[30:31], v[132:133]
	v_fma_f64 v[20:21], v[4:5], v[26:27], v[20:21]
	v_fma_f64 v[26:27], v[2:3], v[26:27], -v[28:29]
	ds_load_b128 v[2:5], v1 offset:1168
	v_fma_f64 v[30:31], v[6:7], v[30:31], -v[32:33]
	ds_load_b128 v[6:9], v1 offset:1184
	s_wait_loadcnt_dscnt 0x501
	v_mul_f64_e32 v[24:25], v[2:3], v[122:123]
	v_mul_f64_e32 v[28:29], v[4:5], v[122:123]
	v_add_f64_e32 v[20:21], v[22:23], v[20:21]
	v_add_f64_e32 v[18:19], v[18:19], v[26:27]
	s_wait_loadcnt_dscnt 0x400
	v_mul_f64_e32 v[22:23], v[6:7], v[130:131]
	v_mul_f64_e32 v[26:27], v[8:9], v[130:131]
	v_fma_f64 v[24:25], v[4:5], v[120:121], v[24:25]
	v_fma_f64 v[28:29], v[2:3], v[120:121], -v[28:29]
	ds_load_b128 v[2:5], v1 offset:1200
	v_add_f64_e32 v[20:21], v[20:21], v[39:40]
	v_add_f64_e32 v[18:19], v[18:19], v[30:31]
	v_fma_f64 v[22:23], v[8:9], v[128:129], v[22:23]
	v_fma_f64 v[26:27], v[6:7], v[128:129], -v[26:27]
	ds_load_b128 v[6:9], v1 offset:1216
	s_wait_loadcnt_dscnt 0x301
	v_mul_f64_e32 v[30:31], v[2:3], v[36:37]
	v_mul_f64_e32 v[32:33], v[4:5], v[36:37]
	v_add_f64_e32 v[20:21], v[20:21], v[24:25]
	v_add_f64_e32 v[18:19], v[18:19], v[28:29]
	s_wait_loadcnt_dscnt 0x200
	v_mul_f64_e32 v[24:25], v[6:7], v[126:127]
	v_mul_f64_e32 v[28:29], v[8:9], v[126:127]
	v_fma_f64 v[30:31], v[4:5], v[34:35], v[30:31]
	v_fma_f64 v[32:33], v[2:3], v[34:35], -v[32:33]
	ds_load_b128 v[2:5], v1 offset:1232
	v_add_f64_e32 v[20:21], v[20:21], v[22:23]
	v_add_f64_e32 v[18:19], v[18:19], v[26:27]
	s_wait_loadcnt_dscnt 0x100
	v_mul_f64_e32 v[22:23], v[2:3], v[12:13]
	v_mul_f64_e32 v[12:13], v[4:5], v[12:13]
	v_fma_f64 v[8:9], v[8:9], v[124:125], v[24:25]
	v_fma_f64 v[6:7], v[6:7], v[124:125], -v[28:29]
	v_add_f64_e32 v[20:21], v[20:21], v[30:31]
	v_add_f64_e32 v[18:19], v[18:19], v[32:33]
	v_fma_f64 v[4:5], v[4:5], v[10:11], v[22:23]
	v_fma_f64 v[2:3], v[2:3], v[10:11], -v[12:13]
	s_delay_alu instid0(VALU_DEP_4) | instskip(NEXT) | instid1(VALU_DEP_4)
	v_add_f64_e32 v[8:9], v[20:21], v[8:9]
	v_add_f64_e32 v[6:7], v[18:19], v[6:7]
	s_delay_alu instid0(VALU_DEP_2) | instskip(NEXT) | instid1(VALU_DEP_2)
	v_add_f64_e32 v[4:5], v[8:9], v[4:5]
	v_add_f64_e32 v[2:3], v[6:7], v[2:3]
	s_wait_loadcnt 0x0
	s_delay_alu instid0(VALU_DEP_2) | instskip(NEXT) | instid1(VALU_DEP_2)
	v_add_f64_e64 v[4:5], v[16:17], -v[4:5]
	v_add_f64_e64 v[2:3], v[14:15], -v[2:3]
	scratch_store_b128 off, v[2:5], off offset:96
	v_cmpx_lt_u32_e32 4, v0
	s_cbranch_execz .LBB38_239
; %bb.238:
	scratch_load_b128 v[5:8], off, s34
	v_dual_mov_b32 v2, v1 :: v_dual_mov_b32 v3, v1
	v_mov_b32_e32 v4, v1
	scratch_store_b128 off, v[1:4], off offset:80
	s_wait_loadcnt 0x0
	ds_store_b128 v38, v[5:8]
.LBB38_239:
	s_wait_alu 0xfffe
	s_or_b32 exec_lo, exec_lo, s0
	s_wait_storecnt_dscnt 0x0
	s_barrier_signal -1
	s_barrier_wait -1
	global_inv scope:SCOPE_SE
	s_clause 0x7
	scratch_load_b128 v[2:5], off, off offset:96
	scratch_load_b128 v[6:9], off, off offset:112
	;; [unrolled: 1-line block ×8, first 2 shown]
	ds_load_b128 v[120:123], v1 offset:704
	ds_load_b128 v[124:127], v1 offset:720
	s_clause 0x1
	scratch_load_b128 v[34:37], off, off offset:224
	scratch_load_b128 v[128:131], off, off offset:240
	s_mov_b32 s0, exec_lo
	s_wait_loadcnt_dscnt 0x901
	v_mul_f64_e32 v[39:40], v[122:123], v[4:5]
	v_mul_f64_e32 v[4:5], v[120:121], v[4:5]
	s_wait_loadcnt_dscnt 0x800
	v_mul_f64_e32 v[132:133], v[124:125], v[8:9]
	v_mul_f64_e32 v[8:9], v[126:127], v[8:9]
	s_delay_alu instid0(VALU_DEP_4) | instskip(NEXT) | instid1(VALU_DEP_4)
	v_fma_f64 v[39:40], v[120:121], v[2:3], -v[39:40]
	v_fma_f64 v[134:135], v[122:123], v[2:3], v[4:5]
	ds_load_b128 v[2:5], v1 offset:736
	scratch_load_b128 v[120:123], off, off offset:256
	v_fma_f64 v[132:133], v[126:127], v[6:7], v[132:133]
	v_fma_f64 v[138:139], v[124:125], v[6:7], -v[8:9]
	ds_load_b128 v[6:9], v1 offset:752
	scratch_load_b128 v[124:127], off, off offset:272
	s_wait_loadcnt_dscnt 0x901
	v_mul_f64_e32 v[136:137], v[2:3], v[12:13]
	v_mul_f64_e32 v[12:13], v[4:5], v[12:13]
	s_wait_loadcnt_dscnt 0x800
	v_mul_f64_e32 v[140:141], v[6:7], v[16:17]
	v_mul_f64_e32 v[16:17], v[8:9], v[16:17]
	v_add_f64_e32 v[39:40], 0, v[39:40]
	v_add_f64_e32 v[134:135], 0, v[134:135]
	v_fma_f64 v[136:137], v[4:5], v[10:11], v[136:137]
	v_fma_f64 v[142:143], v[2:3], v[10:11], -v[12:13]
	ds_load_b128 v[2:5], v1 offset:768
	scratch_load_b128 v[10:13], off, off offset:288
	v_add_f64_e32 v[39:40], v[39:40], v[138:139]
	v_add_f64_e32 v[132:133], v[134:135], v[132:133]
	v_fma_f64 v[138:139], v[8:9], v[14:15], v[140:141]
	v_fma_f64 v[140:141], v[6:7], v[14:15], -v[16:17]
	ds_load_b128 v[6:9], v1 offset:784
	scratch_load_b128 v[14:17], off, off offset:304
	s_wait_loadcnt_dscnt 0x901
	v_mul_f64_e32 v[134:135], v[2:3], v[20:21]
	v_mul_f64_e32 v[20:21], v[4:5], v[20:21]
	v_add_f64_e32 v[39:40], v[39:40], v[142:143]
	v_add_f64_e32 v[132:133], v[132:133], v[136:137]
	s_wait_loadcnt_dscnt 0x800
	v_mul_f64_e32 v[136:137], v[6:7], v[24:25]
	v_mul_f64_e32 v[24:25], v[8:9], v[24:25]
	v_fma_f64 v[134:135], v[4:5], v[18:19], v[134:135]
	v_fma_f64 v[142:143], v[2:3], v[18:19], -v[20:21]
	ds_load_b128 v[2:5], v1 offset:800
	scratch_load_b128 v[18:21], off, off offset:320
	v_add_f64_e32 v[39:40], v[39:40], v[140:141]
	v_add_f64_e32 v[132:133], v[132:133], v[138:139]
	v_fma_f64 v[136:137], v[8:9], v[22:23], v[136:137]
	v_fma_f64 v[140:141], v[6:7], v[22:23], -v[24:25]
	ds_load_b128 v[6:9], v1 offset:816
	s_wait_loadcnt_dscnt 0x801
	v_mul_f64_e32 v[138:139], v[2:3], v[28:29]
	v_mul_f64_e32 v[28:29], v[4:5], v[28:29]
	scratch_load_b128 v[22:25], off, off offset:336
	v_add_f64_e32 v[39:40], v[39:40], v[142:143]
	v_add_f64_e32 v[132:133], v[132:133], v[134:135]
	s_wait_loadcnt_dscnt 0x800
	v_mul_f64_e32 v[134:135], v[6:7], v[32:33]
	v_mul_f64_e32 v[32:33], v[8:9], v[32:33]
	v_fma_f64 v[138:139], v[4:5], v[26:27], v[138:139]
	v_fma_f64 v[142:143], v[2:3], v[26:27], -v[28:29]
	ds_load_b128 v[2:5], v1 offset:832
	scratch_load_b128 v[26:29], off, off offset:352
	v_add_f64_e32 v[39:40], v[39:40], v[140:141]
	v_add_f64_e32 v[132:133], v[132:133], v[136:137]
	v_fma_f64 v[134:135], v[8:9], v[30:31], v[134:135]
	v_fma_f64 v[140:141], v[6:7], v[30:31], -v[32:33]
	ds_load_b128 v[6:9], v1 offset:848
	s_wait_loadcnt_dscnt 0x801
	v_mul_f64_e32 v[136:137], v[2:3], v[36:37]
	v_mul_f64_e32 v[36:37], v[4:5], v[36:37]
	scratch_load_b128 v[30:33], off, off offset:368
	v_add_f64_e32 v[39:40], v[39:40], v[142:143]
	v_add_f64_e32 v[132:133], v[132:133], v[138:139]
	s_wait_loadcnt_dscnt 0x800
	v_mul_f64_e32 v[138:139], v[6:7], v[130:131]
	v_mul_f64_e32 v[130:131], v[8:9], v[130:131]
	v_fma_f64 v[136:137], v[4:5], v[34:35], v[136:137]
	v_fma_f64 v[142:143], v[2:3], v[34:35], -v[36:37]
	ds_load_b128 v[2:5], v1 offset:864
	scratch_load_b128 v[34:37], off, off offset:384
	v_add_f64_e32 v[39:40], v[39:40], v[140:141]
	v_add_f64_e32 v[132:133], v[132:133], v[134:135]
	v_fma_f64 v[138:139], v[8:9], v[128:129], v[138:139]
	v_fma_f64 v[140:141], v[6:7], v[128:129], -v[130:131]
	ds_load_b128 v[6:9], v1 offset:880
	scratch_load_b128 v[128:131], off, off offset:400
	s_wait_loadcnt_dscnt 0x901
	v_mul_f64_e32 v[134:135], v[2:3], v[122:123]
	v_mul_f64_e32 v[122:123], v[4:5], v[122:123]
	v_add_f64_e32 v[39:40], v[39:40], v[142:143]
	v_add_f64_e32 v[132:133], v[132:133], v[136:137]
	s_wait_loadcnt_dscnt 0x800
	v_mul_f64_e32 v[136:137], v[6:7], v[126:127]
	v_mul_f64_e32 v[126:127], v[8:9], v[126:127]
	v_fma_f64 v[134:135], v[4:5], v[120:121], v[134:135]
	v_fma_f64 v[142:143], v[2:3], v[120:121], -v[122:123]
	ds_load_b128 v[2:5], v1 offset:896
	scratch_load_b128 v[120:123], off, off offset:416
	v_add_f64_e32 v[39:40], v[39:40], v[140:141]
	v_add_f64_e32 v[132:133], v[132:133], v[138:139]
	v_fma_f64 v[136:137], v[8:9], v[124:125], v[136:137]
	v_fma_f64 v[140:141], v[6:7], v[124:125], -v[126:127]
	ds_load_b128 v[6:9], v1 offset:912
	s_wait_loadcnt_dscnt 0x801
	v_mul_f64_e32 v[138:139], v[2:3], v[12:13]
	v_mul_f64_e32 v[12:13], v[4:5], v[12:13]
	scratch_load_b128 v[124:127], off, off offset:432
	v_add_f64_e32 v[39:40], v[39:40], v[142:143]
	v_add_f64_e32 v[132:133], v[132:133], v[134:135]
	s_wait_loadcnt_dscnt 0x800
	v_mul_f64_e32 v[134:135], v[6:7], v[16:17]
	v_mul_f64_e32 v[16:17], v[8:9], v[16:17]
	v_fma_f64 v[138:139], v[4:5], v[10:11], v[138:139]
	v_fma_f64 v[142:143], v[2:3], v[10:11], -v[12:13]
	ds_load_b128 v[2:5], v1 offset:928
	scratch_load_b128 v[10:13], off, off offset:448
	v_add_f64_e32 v[39:40], v[39:40], v[140:141]
	v_add_f64_e32 v[132:133], v[132:133], v[136:137]
	v_fma_f64 v[134:135], v[8:9], v[14:15], v[134:135]
	v_fma_f64 v[140:141], v[6:7], v[14:15], -v[16:17]
	ds_load_b128 v[6:9], v1 offset:944
	s_wait_loadcnt_dscnt 0x801
	v_mul_f64_e32 v[136:137], v[2:3], v[20:21]
	v_mul_f64_e32 v[20:21], v[4:5], v[20:21]
	scratch_load_b128 v[14:17], off, off offset:464
	;; [unrolled: 18-line block ×7, first 2 shown]
	v_add_f64_e32 v[39:40], v[39:40], v[142:143]
	v_add_f64_e32 v[132:133], v[132:133], v[134:135]
	s_wait_loadcnt_dscnt 0x800
	v_mul_f64_e32 v[134:135], v[6:7], v[24:25]
	v_mul_f64_e32 v[24:25], v[8:9], v[24:25]
	v_fma_f64 v[138:139], v[4:5], v[18:19], v[138:139]
	v_fma_f64 v[18:19], v[2:3], v[18:19], -v[20:21]
	ds_load_b128 v[2:5], v1 offset:1120
	v_add_f64_e32 v[20:21], v[39:40], v[140:141]
	v_add_f64_e32 v[39:40], v[132:133], v[136:137]
	v_fma_f64 v[134:135], v[8:9], v[22:23], v[134:135]
	v_fma_f64 v[22:23], v[6:7], v[22:23], -v[24:25]
	ds_load_b128 v[6:9], v1 offset:1136
	s_wait_loadcnt_dscnt 0x701
	v_mul_f64_e32 v[132:133], v[2:3], v[28:29]
	v_mul_f64_e32 v[28:29], v[4:5], v[28:29]
	v_add_f64_e32 v[18:19], v[20:21], v[18:19]
	v_add_f64_e32 v[20:21], v[39:40], v[138:139]
	s_delay_alu instid0(VALU_DEP_4) | instskip(NEXT) | instid1(VALU_DEP_4)
	v_fma_f64 v[39:40], v[4:5], v[26:27], v[132:133]
	v_fma_f64 v[26:27], v[2:3], v[26:27], -v[28:29]
	ds_load_b128 v[2:5], v1 offset:1152
	v_add_f64_e32 v[22:23], v[18:19], v[22:23]
	v_add_f64_e32 v[28:29], v[20:21], v[134:135]
	scratch_load_b128 v[18:21], off, off offset:80
	s_wait_loadcnt_dscnt 0x701
	v_mul_f64_e32 v[24:25], v[6:7], v[32:33]
	v_mul_f64_e32 v[32:33], v[8:9], v[32:33]
	v_add_f64_e32 v[22:23], v[22:23], v[26:27]
	v_add_f64_e32 v[26:27], v[28:29], v[39:40]
	s_delay_alu instid0(VALU_DEP_4) | instskip(NEXT) | instid1(VALU_DEP_4)
	v_fma_f64 v[24:25], v[8:9], v[30:31], v[24:25]
	v_fma_f64 v[30:31], v[6:7], v[30:31], -v[32:33]
	ds_load_b128 v[6:9], v1 offset:1168
	s_wait_loadcnt_dscnt 0x601
	v_mul_f64_e32 v[132:133], v[2:3], v[36:37]
	v_mul_f64_e32 v[36:37], v[4:5], v[36:37]
	s_wait_loadcnt_dscnt 0x500
	v_mul_f64_e32 v[28:29], v[6:7], v[130:131]
	v_mul_f64_e32 v[32:33], v[8:9], v[130:131]
	v_add_f64_e32 v[24:25], v[26:27], v[24:25]
	v_add_f64_e32 v[22:23], v[22:23], v[30:31]
	v_fma_f64 v[39:40], v[4:5], v[34:35], v[132:133]
	v_fma_f64 v[34:35], v[2:3], v[34:35], -v[36:37]
	ds_load_b128 v[2:5], v1 offset:1184
	v_fma_f64 v[28:29], v[8:9], v[128:129], v[28:29]
	v_fma_f64 v[32:33], v[6:7], v[128:129], -v[32:33]
	ds_load_b128 v[6:9], v1 offset:1200
	s_wait_loadcnt_dscnt 0x401
	v_mul_f64_e32 v[26:27], v[2:3], v[122:123]
	v_mul_f64_e32 v[30:31], v[4:5], v[122:123]
	v_add_f64_e32 v[24:25], v[24:25], v[39:40]
	v_add_f64_e32 v[22:23], v[22:23], v[34:35]
	s_wait_loadcnt_dscnt 0x300
	v_mul_f64_e32 v[34:35], v[6:7], v[126:127]
	v_mul_f64_e32 v[36:37], v[8:9], v[126:127]
	v_fma_f64 v[26:27], v[4:5], v[120:121], v[26:27]
	v_fma_f64 v[30:31], v[2:3], v[120:121], -v[30:31]
	ds_load_b128 v[2:5], v1 offset:1216
	v_add_f64_e32 v[24:25], v[24:25], v[28:29]
	v_add_f64_e32 v[22:23], v[22:23], v[32:33]
	v_fma_f64 v[32:33], v[8:9], v[124:125], v[34:35]
	v_fma_f64 v[34:35], v[6:7], v[124:125], -v[36:37]
	ds_load_b128 v[6:9], v1 offset:1232
	s_wait_loadcnt_dscnt 0x201
	v_mul_f64_e32 v[28:29], v[2:3], v[12:13]
	v_mul_f64_e32 v[12:13], v[4:5], v[12:13]
	v_add_f64_e32 v[24:25], v[24:25], v[26:27]
	v_add_f64_e32 v[22:23], v[22:23], v[30:31]
	s_wait_loadcnt_dscnt 0x100
	v_mul_f64_e32 v[26:27], v[6:7], v[16:17]
	v_mul_f64_e32 v[16:17], v[8:9], v[16:17]
	v_fma_f64 v[4:5], v[4:5], v[10:11], v[28:29]
	v_fma_f64 v[1:2], v[2:3], v[10:11], -v[12:13]
	v_add_f64_e32 v[12:13], v[24:25], v[32:33]
	v_add_f64_e32 v[10:11], v[22:23], v[34:35]
	v_fma_f64 v[8:9], v[8:9], v[14:15], v[26:27]
	v_fma_f64 v[6:7], v[6:7], v[14:15], -v[16:17]
	s_delay_alu instid0(VALU_DEP_4) | instskip(NEXT) | instid1(VALU_DEP_4)
	v_add_f64_e32 v[3:4], v[12:13], v[4:5]
	v_add_f64_e32 v[1:2], v[10:11], v[1:2]
	s_delay_alu instid0(VALU_DEP_2) | instskip(NEXT) | instid1(VALU_DEP_2)
	v_add_f64_e32 v[3:4], v[3:4], v[8:9]
	v_add_f64_e32 v[1:2], v[1:2], v[6:7]
	s_wait_loadcnt 0x0
	s_delay_alu instid0(VALU_DEP_2) | instskip(NEXT) | instid1(VALU_DEP_2)
	v_add_f64_e64 v[3:4], v[20:21], -v[3:4]
	v_add_f64_e64 v[1:2], v[18:19], -v[1:2]
	scratch_store_b128 off, v[1:4], off offset:80
	v_cmpx_lt_u32_e32 3, v0
	s_cbranch_execz .LBB38_241
; %bb.240:
	scratch_load_b128 v[1:4], off, s35
	v_mov_b32_e32 v5, 0
	s_delay_alu instid0(VALU_DEP_1)
	v_dual_mov_b32 v6, v5 :: v_dual_mov_b32 v7, v5
	v_mov_b32_e32 v8, v5
	scratch_store_b128 off, v[5:8], off offset:64
	s_wait_loadcnt 0x0
	ds_store_b128 v38, v[1:4]
.LBB38_241:
	s_wait_alu 0xfffe
	s_or_b32 exec_lo, exec_lo, s0
	s_wait_storecnt_dscnt 0x0
	s_barrier_signal -1
	s_barrier_wait -1
	global_inv scope:SCOPE_SE
	s_clause 0x7
	scratch_load_b128 v[2:5], off, off offset:80
	scratch_load_b128 v[6:9], off, off offset:96
	;; [unrolled: 1-line block ×8, first 2 shown]
	v_mov_b32_e32 v1, 0
	s_clause 0x1
	scratch_load_b128 v[34:37], off, off offset:208
	scratch_load_b128 v[128:131], off, off offset:224
	s_mov_b32 s0, exec_lo
	ds_load_b128 v[120:123], v1 offset:688
	ds_load_b128 v[124:127], v1 offset:704
	s_wait_loadcnt_dscnt 0x901
	v_mul_f64_e32 v[39:40], v[122:123], v[4:5]
	v_mul_f64_e32 v[4:5], v[120:121], v[4:5]
	s_wait_loadcnt_dscnt 0x800
	v_mul_f64_e32 v[132:133], v[124:125], v[8:9]
	v_mul_f64_e32 v[8:9], v[126:127], v[8:9]
	s_delay_alu instid0(VALU_DEP_4) | instskip(NEXT) | instid1(VALU_DEP_4)
	v_fma_f64 v[39:40], v[120:121], v[2:3], -v[39:40]
	v_fma_f64 v[134:135], v[122:123], v[2:3], v[4:5]
	ds_load_b128 v[2:5], v1 offset:720
	scratch_load_b128 v[120:123], off, off offset:240
	v_fma_f64 v[132:133], v[126:127], v[6:7], v[132:133]
	v_fma_f64 v[138:139], v[124:125], v[6:7], -v[8:9]
	ds_load_b128 v[6:9], v1 offset:736
	scratch_load_b128 v[124:127], off, off offset:256
	s_wait_loadcnt_dscnt 0x901
	v_mul_f64_e32 v[136:137], v[2:3], v[12:13]
	v_mul_f64_e32 v[12:13], v[4:5], v[12:13]
	s_wait_loadcnt_dscnt 0x800
	v_mul_f64_e32 v[140:141], v[6:7], v[16:17]
	v_mul_f64_e32 v[16:17], v[8:9], v[16:17]
	v_add_f64_e32 v[39:40], 0, v[39:40]
	v_add_f64_e32 v[134:135], 0, v[134:135]
	v_fma_f64 v[136:137], v[4:5], v[10:11], v[136:137]
	v_fma_f64 v[142:143], v[2:3], v[10:11], -v[12:13]
	ds_load_b128 v[2:5], v1 offset:752
	scratch_load_b128 v[10:13], off, off offset:272
	v_add_f64_e32 v[39:40], v[39:40], v[138:139]
	v_add_f64_e32 v[132:133], v[134:135], v[132:133]
	v_fma_f64 v[138:139], v[8:9], v[14:15], v[140:141]
	v_fma_f64 v[140:141], v[6:7], v[14:15], -v[16:17]
	ds_load_b128 v[6:9], v1 offset:768
	scratch_load_b128 v[14:17], off, off offset:288
	s_wait_loadcnt_dscnt 0x901
	v_mul_f64_e32 v[134:135], v[2:3], v[20:21]
	v_mul_f64_e32 v[20:21], v[4:5], v[20:21]
	v_add_f64_e32 v[39:40], v[39:40], v[142:143]
	v_add_f64_e32 v[132:133], v[132:133], v[136:137]
	s_wait_loadcnt_dscnt 0x800
	v_mul_f64_e32 v[136:137], v[6:7], v[24:25]
	v_mul_f64_e32 v[24:25], v[8:9], v[24:25]
	v_fma_f64 v[134:135], v[4:5], v[18:19], v[134:135]
	v_fma_f64 v[142:143], v[2:3], v[18:19], -v[20:21]
	ds_load_b128 v[2:5], v1 offset:784
	scratch_load_b128 v[18:21], off, off offset:304
	v_add_f64_e32 v[39:40], v[39:40], v[140:141]
	v_add_f64_e32 v[132:133], v[132:133], v[138:139]
	v_fma_f64 v[136:137], v[8:9], v[22:23], v[136:137]
	v_fma_f64 v[140:141], v[6:7], v[22:23], -v[24:25]
	ds_load_b128 v[6:9], v1 offset:800
	s_wait_loadcnt_dscnt 0x801
	v_mul_f64_e32 v[138:139], v[2:3], v[28:29]
	v_mul_f64_e32 v[28:29], v[4:5], v[28:29]
	scratch_load_b128 v[22:25], off, off offset:320
	v_add_f64_e32 v[39:40], v[39:40], v[142:143]
	v_add_f64_e32 v[132:133], v[132:133], v[134:135]
	s_wait_loadcnt_dscnt 0x800
	v_mul_f64_e32 v[134:135], v[6:7], v[32:33]
	v_mul_f64_e32 v[32:33], v[8:9], v[32:33]
	v_fma_f64 v[138:139], v[4:5], v[26:27], v[138:139]
	v_fma_f64 v[142:143], v[2:3], v[26:27], -v[28:29]
	ds_load_b128 v[2:5], v1 offset:816
	scratch_load_b128 v[26:29], off, off offset:336
	v_add_f64_e32 v[39:40], v[39:40], v[140:141]
	v_add_f64_e32 v[132:133], v[132:133], v[136:137]
	v_fma_f64 v[134:135], v[8:9], v[30:31], v[134:135]
	v_fma_f64 v[140:141], v[6:7], v[30:31], -v[32:33]
	ds_load_b128 v[6:9], v1 offset:832
	s_wait_loadcnt_dscnt 0x801
	v_mul_f64_e32 v[136:137], v[2:3], v[36:37]
	v_mul_f64_e32 v[36:37], v[4:5], v[36:37]
	scratch_load_b128 v[30:33], off, off offset:352
	v_add_f64_e32 v[39:40], v[39:40], v[142:143]
	v_add_f64_e32 v[132:133], v[132:133], v[138:139]
	s_wait_loadcnt_dscnt 0x800
	v_mul_f64_e32 v[138:139], v[6:7], v[130:131]
	v_mul_f64_e32 v[130:131], v[8:9], v[130:131]
	v_fma_f64 v[136:137], v[4:5], v[34:35], v[136:137]
	v_fma_f64 v[142:143], v[2:3], v[34:35], -v[36:37]
	ds_load_b128 v[2:5], v1 offset:848
	scratch_load_b128 v[34:37], off, off offset:368
	v_add_f64_e32 v[39:40], v[39:40], v[140:141]
	v_add_f64_e32 v[132:133], v[132:133], v[134:135]
	v_fma_f64 v[138:139], v[8:9], v[128:129], v[138:139]
	v_fma_f64 v[140:141], v[6:7], v[128:129], -v[130:131]
	ds_load_b128 v[6:9], v1 offset:864
	scratch_load_b128 v[128:131], off, off offset:384
	s_wait_loadcnt_dscnt 0x901
	v_mul_f64_e32 v[134:135], v[2:3], v[122:123]
	v_mul_f64_e32 v[122:123], v[4:5], v[122:123]
	v_add_f64_e32 v[39:40], v[39:40], v[142:143]
	v_add_f64_e32 v[132:133], v[132:133], v[136:137]
	s_wait_loadcnt_dscnt 0x800
	v_mul_f64_e32 v[136:137], v[6:7], v[126:127]
	v_mul_f64_e32 v[126:127], v[8:9], v[126:127]
	v_fma_f64 v[134:135], v[4:5], v[120:121], v[134:135]
	v_fma_f64 v[142:143], v[2:3], v[120:121], -v[122:123]
	ds_load_b128 v[2:5], v1 offset:880
	scratch_load_b128 v[120:123], off, off offset:400
	v_add_f64_e32 v[39:40], v[39:40], v[140:141]
	v_add_f64_e32 v[132:133], v[132:133], v[138:139]
	v_fma_f64 v[136:137], v[8:9], v[124:125], v[136:137]
	v_fma_f64 v[140:141], v[6:7], v[124:125], -v[126:127]
	ds_load_b128 v[6:9], v1 offset:896
	s_wait_loadcnt_dscnt 0x801
	v_mul_f64_e32 v[138:139], v[2:3], v[12:13]
	v_mul_f64_e32 v[12:13], v[4:5], v[12:13]
	scratch_load_b128 v[124:127], off, off offset:416
	v_add_f64_e32 v[39:40], v[39:40], v[142:143]
	v_add_f64_e32 v[132:133], v[132:133], v[134:135]
	s_wait_loadcnt_dscnt 0x800
	v_mul_f64_e32 v[134:135], v[6:7], v[16:17]
	v_mul_f64_e32 v[16:17], v[8:9], v[16:17]
	v_fma_f64 v[138:139], v[4:5], v[10:11], v[138:139]
	v_fma_f64 v[142:143], v[2:3], v[10:11], -v[12:13]
	ds_load_b128 v[2:5], v1 offset:912
	scratch_load_b128 v[10:13], off, off offset:432
	v_add_f64_e32 v[39:40], v[39:40], v[140:141]
	v_add_f64_e32 v[132:133], v[132:133], v[136:137]
	v_fma_f64 v[134:135], v[8:9], v[14:15], v[134:135]
	v_fma_f64 v[140:141], v[6:7], v[14:15], -v[16:17]
	ds_load_b128 v[6:9], v1 offset:928
	s_wait_loadcnt_dscnt 0x801
	v_mul_f64_e32 v[136:137], v[2:3], v[20:21]
	v_mul_f64_e32 v[20:21], v[4:5], v[20:21]
	scratch_load_b128 v[14:17], off, off offset:448
	v_add_f64_e32 v[39:40], v[39:40], v[142:143]
	v_add_f64_e32 v[132:133], v[132:133], v[138:139]
	s_wait_loadcnt_dscnt 0x800
	v_mul_f64_e32 v[138:139], v[6:7], v[24:25]
	v_mul_f64_e32 v[24:25], v[8:9], v[24:25]
	v_fma_f64 v[136:137], v[4:5], v[18:19], v[136:137]
	v_fma_f64 v[142:143], v[2:3], v[18:19], -v[20:21]
	ds_load_b128 v[2:5], v1 offset:944
	scratch_load_b128 v[18:21], off, off offset:464
	v_add_f64_e32 v[39:40], v[39:40], v[140:141]
	v_add_f64_e32 v[132:133], v[132:133], v[134:135]
	v_fma_f64 v[138:139], v[8:9], v[22:23], v[138:139]
	v_fma_f64 v[140:141], v[6:7], v[22:23], -v[24:25]
	ds_load_b128 v[6:9], v1 offset:960
	s_wait_loadcnt_dscnt 0x801
	v_mul_f64_e32 v[134:135], v[2:3], v[28:29]
	v_mul_f64_e32 v[28:29], v[4:5], v[28:29]
	scratch_load_b128 v[22:25], off, off offset:480
	v_add_f64_e32 v[39:40], v[39:40], v[142:143]
	v_add_f64_e32 v[132:133], v[132:133], v[136:137]
	s_wait_loadcnt_dscnt 0x800
	v_mul_f64_e32 v[136:137], v[6:7], v[32:33]
	v_mul_f64_e32 v[32:33], v[8:9], v[32:33]
	v_fma_f64 v[134:135], v[4:5], v[26:27], v[134:135]
	v_fma_f64 v[142:143], v[2:3], v[26:27], -v[28:29]
	ds_load_b128 v[2:5], v1 offset:976
	scratch_load_b128 v[26:29], off, off offset:496
	v_add_f64_e32 v[39:40], v[39:40], v[140:141]
	v_add_f64_e32 v[132:133], v[132:133], v[138:139]
	v_fma_f64 v[136:137], v[8:9], v[30:31], v[136:137]
	v_fma_f64 v[140:141], v[6:7], v[30:31], -v[32:33]
	ds_load_b128 v[6:9], v1 offset:992
	s_wait_loadcnt_dscnt 0x801
	v_mul_f64_e32 v[138:139], v[2:3], v[36:37]
	v_mul_f64_e32 v[36:37], v[4:5], v[36:37]
	scratch_load_b128 v[30:33], off, off offset:512
	v_add_f64_e32 v[39:40], v[39:40], v[142:143]
	v_add_f64_e32 v[132:133], v[132:133], v[134:135]
	s_wait_loadcnt_dscnt 0x800
	v_mul_f64_e32 v[134:135], v[6:7], v[130:131]
	v_mul_f64_e32 v[130:131], v[8:9], v[130:131]
	v_fma_f64 v[138:139], v[4:5], v[34:35], v[138:139]
	v_fma_f64 v[142:143], v[2:3], v[34:35], -v[36:37]
	ds_load_b128 v[2:5], v1 offset:1008
	scratch_load_b128 v[34:37], off, off offset:528
	v_add_f64_e32 v[39:40], v[39:40], v[140:141]
	v_add_f64_e32 v[132:133], v[132:133], v[136:137]
	v_fma_f64 v[134:135], v[8:9], v[128:129], v[134:135]
	v_fma_f64 v[140:141], v[6:7], v[128:129], -v[130:131]
	ds_load_b128 v[6:9], v1 offset:1024
	s_wait_loadcnt_dscnt 0x801
	v_mul_f64_e32 v[136:137], v[2:3], v[122:123]
	v_mul_f64_e32 v[122:123], v[4:5], v[122:123]
	scratch_load_b128 v[128:131], off, off offset:544
	v_add_f64_e32 v[39:40], v[39:40], v[142:143]
	v_add_f64_e32 v[132:133], v[132:133], v[138:139]
	s_wait_loadcnt_dscnt 0x800
	v_mul_f64_e32 v[138:139], v[6:7], v[126:127]
	v_mul_f64_e32 v[126:127], v[8:9], v[126:127]
	v_fma_f64 v[136:137], v[4:5], v[120:121], v[136:137]
	v_fma_f64 v[142:143], v[2:3], v[120:121], -v[122:123]
	ds_load_b128 v[2:5], v1 offset:1040
	scratch_load_b128 v[120:123], off, off offset:560
	v_add_f64_e32 v[39:40], v[39:40], v[140:141]
	v_add_f64_e32 v[132:133], v[132:133], v[134:135]
	v_fma_f64 v[138:139], v[8:9], v[124:125], v[138:139]
	v_fma_f64 v[140:141], v[6:7], v[124:125], -v[126:127]
	ds_load_b128 v[6:9], v1 offset:1056
	s_wait_loadcnt_dscnt 0x801
	v_mul_f64_e32 v[134:135], v[2:3], v[12:13]
	v_mul_f64_e32 v[12:13], v[4:5], v[12:13]
	scratch_load_b128 v[124:127], off, off offset:576
	v_add_f64_e32 v[39:40], v[39:40], v[142:143]
	v_add_f64_e32 v[132:133], v[132:133], v[136:137]
	s_wait_loadcnt_dscnt 0x800
	v_mul_f64_e32 v[136:137], v[6:7], v[16:17]
	v_mul_f64_e32 v[16:17], v[8:9], v[16:17]
	v_fma_f64 v[134:135], v[4:5], v[10:11], v[134:135]
	v_fma_f64 v[142:143], v[2:3], v[10:11], -v[12:13]
	ds_load_b128 v[2:5], v1 offset:1072
	scratch_load_b128 v[10:13], off, off offset:592
	v_add_f64_e32 v[39:40], v[39:40], v[140:141]
	v_add_f64_e32 v[132:133], v[132:133], v[138:139]
	v_fma_f64 v[136:137], v[8:9], v[14:15], v[136:137]
	v_fma_f64 v[140:141], v[6:7], v[14:15], -v[16:17]
	ds_load_b128 v[6:9], v1 offset:1088
	s_wait_loadcnt_dscnt 0x801
	v_mul_f64_e32 v[138:139], v[2:3], v[20:21]
	v_mul_f64_e32 v[20:21], v[4:5], v[20:21]
	scratch_load_b128 v[14:17], off, off offset:608
	v_add_f64_e32 v[39:40], v[39:40], v[142:143]
	v_add_f64_e32 v[132:133], v[132:133], v[134:135]
	s_wait_loadcnt_dscnt 0x800
	v_mul_f64_e32 v[134:135], v[6:7], v[24:25]
	v_mul_f64_e32 v[24:25], v[8:9], v[24:25]
	v_fma_f64 v[138:139], v[4:5], v[18:19], v[138:139]
	v_fma_f64 v[142:143], v[2:3], v[18:19], -v[20:21]
	ds_load_b128 v[2:5], v1 offset:1104
	scratch_load_b128 v[18:21], off, off offset:624
	v_add_f64_e32 v[39:40], v[39:40], v[140:141]
	v_add_f64_e32 v[132:133], v[132:133], v[136:137]
	v_fma_f64 v[134:135], v[8:9], v[22:23], v[134:135]
	v_fma_f64 v[22:23], v[6:7], v[22:23], -v[24:25]
	ds_load_b128 v[6:9], v1 offset:1120
	s_wait_loadcnt_dscnt 0x801
	v_mul_f64_e32 v[136:137], v[2:3], v[28:29]
	v_mul_f64_e32 v[28:29], v[4:5], v[28:29]
	v_add_f64_e32 v[24:25], v[39:40], v[142:143]
	v_add_f64_e32 v[39:40], v[132:133], v[138:139]
	s_wait_loadcnt_dscnt 0x700
	v_mul_f64_e32 v[132:133], v[6:7], v[32:33]
	v_mul_f64_e32 v[32:33], v[8:9], v[32:33]
	v_fma_f64 v[136:137], v[4:5], v[26:27], v[136:137]
	v_fma_f64 v[26:27], v[2:3], v[26:27], -v[28:29]
	ds_load_b128 v[2:5], v1 offset:1136
	v_add_f64_e32 v[22:23], v[24:25], v[22:23]
	v_add_f64_e32 v[24:25], v[39:40], v[134:135]
	v_fma_f64 v[39:40], v[8:9], v[30:31], v[132:133]
	v_fma_f64 v[30:31], v[6:7], v[30:31], -v[32:33]
	ds_load_b128 v[6:9], v1 offset:1152
	s_wait_loadcnt_dscnt 0x500
	v_mul_f64_e32 v[132:133], v[6:7], v[130:131]
	v_mul_f64_e32 v[130:131], v[8:9], v[130:131]
	v_add_f64_e32 v[26:27], v[22:23], v[26:27]
	v_add_f64_e32 v[32:33], v[24:25], v[136:137]
	scratch_load_b128 v[22:25], off, off offset:64
	v_mul_f64_e32 v[28:29], v[2:3], v[36:37]
	v_mul_f64_e32 v[36:37], v[4:5], v[36:37]
	v_add_f64_e32 v[26:27], v[26:27], v[30:31]
	v_add_f64_e32 v[30:31], v[32:33], v[39:40]
	v_fma_f64 v[39:40], v[8:9], v[128:129], v[132:133]
	v_fma_f64 v[28:29], v[4:5], v[34:35], v[28:29]
	v_fma_f64 v[34:35], v[2:3], v[34:35], -v[36:37]
	ds_load_b128 v[2:5], v1 offset:1168
	s_wait_loadcnt_dscnt 0x500
	v_mul_f64_e32 v[32:33], v[2:3], v[122:123]
	v_mul_f64_e32 v[36:37], v[4:5], v[122:123]
	v_fma_f64 v[122:123], v[6:7], v[128:129], -v[130:131]
	ds_load_b128 v[6:9], v1 offset:1184
	v_add_f64_e32 v[28:29], v[30:31], v[28:29]
	v_add_f64_e32 v[26:27], v[26:27], v[34:35]
	v_fma_f64 v[32:33], v[4:5], v[120:121], v[32:33]
	v_fma_f64 v[36:37], v[2:3], v[120:121], -v[36:37]
	ds_load_b128 v[2:5], v1 offset:1200
	s_wait_loadcnt_dscnt 0x401
	v_mul_f64_e32 v[30:31], v[6:7], v[126:127]
	v_mul_f64_e32 v[34:35], v[8:9], v[126:127]
	v_add_f64_e32 v[28:29], v[28:29], v[39:40]
	v_add_f64_e32 v[26:27], v[26:27], v[122:123]
	s_wait_loadcnt_dscnt 0x300
	v_mul_f64_e32 v[39:40], v[2:3], v[12:13]
	v_mul_f64_e32 v[12:13], v[4:5], v[12:13]
	v_fma_f64 v[30:31], v[8:9], v[124:125], v[30:31]
	v_fma_f64 v[34:35], v[6:7], v[124:125], -v[34:35]
	ds_load_b128 v[6:9], v1 offset:1216
	v_add_f64_e32 v[28:29], v[28:29], v[32:33]
	v_add_f64_e32 v[26:27], v[26:27], v[36:37]
	v_fma_f64 v[36:37], v[4:5], v[10:11], v[39:40]
	v_fma_f64 v[10:11], v[2:3], v[10:11], -v[12:13]
	ds_load_b128 v[2:5], v1 offset:1232
	s_wait_loadcnt_dscnt 0x201
	v_mul_f64_e32 v[32:33], v[6:7], v[16:17]
	v_mul_f64_e32 v[16:17], v[8:9], v[16:17]
	v_add_f64_e32 v[12:13], v[26:27], v[34:35]
	v_add_f64_e32 v[26:27], v[28:29], v[30:31]
	s_wait_loadcnt_dscnt 0x100
	v_mul_f64_e32 v[28:29], v[2:3], v[20:21]
	v_mul_f64_e32 v[20:21], v[4:5], v[20:21]
	v_fma_f64 v[8:9], v[8:9], v[14:15], v[32:33]
	v_fma_f64 v[6:7], v[6:7], v[14:15], -v[16:17]
	v_add_f64_e32 v[10:11], v[12:13], v[10:11]
	v_add_f64_e32 v[12:13], v[26:27], v[36:37]
	v_fma_f64 v[4:5], v[4:5], v[18:19], v[28:29]
	v_fma_f64 v[2:3], v[2:3], v[18:19], -v[20:21]
	s_delay_alu instid0(VALU_DEP_4) | instskip(NEXT) | instid1(VALU_DEP_4)
	v_add_f64_e32 v[6:7], v[10:11], v[6:7]
	v_add_f64_e32 v[8:9], v[12:13], v[8:9]
	s_delay_alu instid0(VALU_DEP_2) | instskip(NEXT) | instid1(VALU_DEP_2)
	v_add_f64_e32 v[2:3], v[6:7], v[2:3]
	v_add_f64_e32 v[4:5], v[8:9], v[4:5]
	s_wait_loadcnt 0x0
	s_delay_alu instid0(VALU_DEP_2) | instskip(NEXT) | instid1(VALU_DEP_2)
	v_add_f64_e64 v[2:3], v[22:23], -v[2:3]
	v_add_f64_e64 v[4:5], v[24:25], -v[4:5]
	scratch_store_b128 off, v[2:5], off offset:64
	v_cmpx_lt_u32_e32 2, v0
	s_cbranch_execz .LBB38_243
; %bb.242:
	scratch_load_b128 v[5:8], off, s36
	v_dual_mov_b32 v2, v1 :: v_dual_mov_b32 v3, v1
	v_mov_b32_e32 v4, v1
	scratch_store_b128 off, v[1:4], off offset:48
	s_wait_loadcnt 0x0
	ds_store_b128 v38, v[5:8]
.LBB38_243:
	s_wait_alu 0xfffe
	s_or_b32 exec_lo, exec_lo, s0
	s_wait_storecnt_dscnt 0x0
	s_barrier_signal -1
	s_barrier_wait -1
	global_inv scope:SCOPE_SE
	s_clause 0x7
	scratch_load_b128 v[2:5], off, off offset:64
	scratch_load_b128 v[6:9], off, off offset:80
	;; [unrolled: 1-line block ×8, first 2 shown]
	ds_load_b128 v[120:123], v1 offset:672
	ds_load_b128 v[124:127], v1 offset:688
	s_clause 0x1
	scratch_load_b128 v[34:37], off, off offset:192
	scratch_load_b128 v[128:131], off, off offset:208
	s_mov_b32 s0, exec_lo
	s_wait_loadcnt_dscnt 0x901
	v_mul_f64_e32 v[39:40], v[122:123], v[4:5]
	v_mul_f64_e32 v[4:5], v[120:121], v[4:5]
	s_wait_loadcnt_dscnt 0x800
	v_mul_f64_e32 v[132:133], v[124:125], v[8:9]
	v_mul_f64_e32 v[8:9], v[126:127], v[8:9]
	s_delay_alu instid0(VALU_DEP_4) | instskip(NEXT) | instid1(VALU_DEP_4)
	v_fma_f64 v[39:40], v[120:121], v[2:3], -v[39:40]
	v_fma_f64 v[134:135], v[122:123], v[2:3], v[4:5]
	ds_load_b128 v[2:5], v1 offset:704
	scratch_load_b128 v[120:123], off, off offset:224
	v_fma_f64 v[132:133], v[126:127], v[6:7], v[132:133]
	v_fma_f64 v[138:139], v[124:125], v[6:7], -v[8:9]
	ds_load_b128 v[6:9], v1 offset:720
	scratch_load_b128 v[124:127], off, off offset:240
	s_wait_loadcnt_dscnt 0x901
	v_mul_f64_e32 v[136:137], v[2:3], v[12:13]
	v_mul_f64_e32 v[12:13], v[4:5], v[12:13]
	s_wait_loadcnt_dscnt 0x800
	v_mul_f64_e32 v[140:141], v[6:7], v[16:17]
	v_mul_f64_e32 v[16:17], v[8:9], v[16:17]
	v_add_f64_e32 v[39:40], 0, v[39:40]
	v_add_f64_e32 v[134:135], 0, v[134:135]
	v_fma_f64 v[136:137], v[4:5], v[10:11], v[136:137]
	v_fma_f64 v[142:143], v[2:3], v[10:11], -v[12:13]
	ds_load_b128 v[2:5], v1 offset:736
	scratch_load_b128 v[10:13], off, off offset:256
	v_add_f64_e32 v[39:40], v[39:40], v[138:139]
	v_add_f64_e32 v[132:133], v[134:135], v[132:133]
	v_fma_f64 v[138:139], v[8:9], v[14:15], v[140:141]
	v_fma_f64 v[140:141], v[6:7], v[14:15], -v[16:17]
	ds_load_b128 v[6:9], v1 offset:752
	scratch_load_b128 v[14:17], off, off offset:272
	s_wait_loadcnt_dscnt 0x901
	v_mul_f64_e32 v[134:135], v[2:3], v[20:21]
	v_mul_f64_e32 v[20:21], v[4:5], v[20:21]
	v_add_f64_e32 v[39:40], v[39:40], v[142:143]
	v_add_f64_e32 v[132:133], v[132:133], v[136:137]
	s_wait_loadcnt_dscnt 0x800
	v_mul_f64_e32 v[136:137], v[6:7], v[24:25]
	v_mul_f64_e32 v[24:25], v[8:9], v[24:25]
	v_fma_f64 v[134:135], v[4:5], v[18:19], v[134:135]
	v_fma_f64 v[142:143], v[2:3], v[18:19], -v[20:21]
	ds_load_b128 v[2:5], v1 offset:768
	scratch_load_b128 v[18:21], off, off offset:288
	v_add_f64_e32 v[39:40], v[39:40], v[140:141]
	v_add_f64_e32 v[132:133], v[132:133], v[138:139]
	v_fma_f64 v[136:137], v[8:9], v[22:23], v[136:137]
	v_fma_f64 v[140:141], v[6:7], v[22:23], -v[24:25]
	ds_load_b128 v[6:9], v1 offset:784
	s_wait_loadcnt_dscnt 0x801
	v_mul_f64_e32 v[138:139], v[2:3], v[28:29]
	v_mul_f64_e32 v[28:29], v[4:5], v[28:29]
	scratch_load_b128 v[22:25], off, off offset:304
	v_add_f64_e32 v[39:40], v[39:40], v[142:143]
	v_add_f64_e32 v[132:133], v[132:133], v[134:135]
	s_wait_loadcnt_dscnt 0x800
	v_mul_f64_e32 v[134:135], v[6:7], v[32:33]
	v_mul_f64_e32 v[32:33], v[8:9], v[32:33]
	v_fma_f64 v[138:139], v[4:5], v[26:27], v[138:139]
	v_fma_f64 v[142:143], v[2:3], v[26:27], -v[28:29]
	ds_load_b128 v[2:5], v1 offset:800
	scratch_load_b128 v[26:29], off, off offset:320
	v_add_f64_e32 v[39:40], v[39:40], v[140:141]
	v_add_f64_e32 v[132:133], v[132:133], v[136:137]
	v_fma_f64 v[134:135], v[8:9], v[30:31], v[134:135]
	v_fma_f64 v[140:141], v[6:7], v[30:31], -v[32:33]
	ds_load_b128 v[6:9], v1 offset:816
	s_wait_loadcnt_dscnt 0x801
	v_mul_f64_e32 v[136:137], v[2:3], v[36:37]
	v_mul_f64_e32 v[36:37], v[4:5], v[36:37]
	scratch_load_b128 v[30:33], off, off offset:336
	v_add_f64_e32 v[39:40], v[39:40], v[142:143]
	v_add_f64_e32 v[132:133], v[132:133], v[138:139]
	s_wait_loadcnt_dscnt 0x800
	v_mul_f64_e32 v[138:139], v[6:7], v[130:131]
	v_mul_f64_e32 v[130:131], v[8:9], v[130:131]
	v_fma_f64 v[136:137], v[4:5], v[34:35], v[136:137]
	v_fma_f64 v[142:143], v[2:3], v[34:35], -v[36:37]
	ds_load_b128 v[2:5], v1 offset:832
	scratch_load_b128 v[34:37], off, off offset:352
	v_add_f64_e32 v[39:40], v[39:40], v[140:141]
	v_add_f64_e32 v[132:133], v[132:133], v[134:135]
	v_fma_f64 v[138:139], v[8:9], v[128:129], v[138:139]
	v_fma_f64 v[140:141], v[6:7], v[128:129], -v[130:131]
	ds_load_b128 v[6:9], v1 offset:848
	scratch_load_b128 v[128:131], off, off offset:368
	s_wait_loadcnt_dscnt 0x901
	v_mul_f64_e32 v[134:135], v[2:3], v[122:123]
	v_mul_f64_e32 v[122:123], v[4:5], v[122:123]
	v_add_f64_e32 v[39:40], v[39:40], v[142:143]
	v_add_f64_e32 v[132:133], v[132:133], v[136:137]
	s_wait_loadcnt_dscnt 0x800
	v_mul_f64_e32 v[136:137], v[6:7], v[126:127]
	v_mul_f64_e32 v[126:127], v[8:9], v[126:127]
	v_fma_f64 v[134:135], v[4:5], v[120:121], v[134:135]
	v_fma_f64 v[142:143], v[2:3], v[120:121], -v[122:123]
	ds_load_b128 v[2:5], v1 offset:864
	scratch_load_b128 v[120:123], off, off offset:384
	v_add_f64_e32 v[39:40], v[39:40], v[140:141]
	v_add_f64_e32 v[132:133], v[132:133], v[138:139]
	v_fma_f64 v[136:137], v[8:9], v[124:125], v[136:137]
	v_fma_f64 v[140:141], v[6:7], v[124:125], -v[126:127]
	ds_load_b128 v[6:9], v1 offset:880
	s_wait_loadcnt_dscnt 0x801
	v_mul_f64_e32 v[138:139], v[2:3], v[12:13]
	v_mul_f64_e32 v[12:13], v[4:5], v[12:13]
	scratch_load_b128 v[124:127], off, off offset:400
	v_add_f64_e32 v[39:40], v[39:40], v[142:143]
	v_add_f64_e32 v[132:133], v[132:133], v[134:135]
	s_wait_loadcnt_dscnt 0x800
	v_mul_f64_e32 v[134:135], v[6:7], v[16:17]
	v_mul_f64_e32 v[16:17], v[8:9], v[16:17]
	v_fma_f64 v[138:139], v[4:5], v[10:11], v[138:139]
	v_fma_f64 v[142:143], v[2:3], v[10:11], -v[12:13]
	ds_load_b128 v[2:5], v1 offset:896
	scratch_load_b128 v[10:13], off, off offset:416
	v_add_f64_e32 v[39:40], v[39:40], v[140:141]
	v_add_f64_e32 v[132:133], v[132:133], v[136:137]
	v_fma_f64 v[134:135], v[8:9], v[14:15], v[134:135]
	v_fma_f64 v[140:141], v[6:7], v[14:15], -v[16:17]
	ds_load_b128 v[6:9], v1 offset:912
	s_wait_loadcnt_dscnt 0x801
	v_mul_f64_e32 v[136:137], v[2:3], v[20:21]
	v_mul_f64_e32 v[20:21], v[4:5], v[20:21]
	scratch_load_b128 v[14:17], off, off offset:432
	;; [unrolled: 18-line block ×8, first 2 shown]
	v_add_f64_e32 v[39:40], v[39:40], v[142:143]
	v_add_f64_e32 v[132:133], v[132:133], v[138:139]
	s_wait_loadcnt_dscnt 0x800
	v_mul_f64_e32 v[138:139], v[6:7], v[32:33]
	v_mul_f64_e32 v[32:33], v[8:9], v[32:33]
	v_fma_f64 v[136:137], v[4:5], v[26:27], v[136:137]
	v_fma_f64 v[26:27], v[2:3], v[26:27], -v[28:29]
	ds_load_b128 v[2:5], v1 offset:1120
	v_add_f64_e32 v[28:29], v[39:40], v[140:141]
	v_add_f64_e32 v[39:40], v[132:133], v[134:135]
	v_fma_f64 v[134:135], v[8:9], v[30:31], v[138:139]
	v_fma_f64 v[30:31], v[6:7], v[30:31], -v[32:33]
	ds_load_b128 v[6:9], v1 offset:1136
	s_wait_loadcnt_dscnt 0x701
	v_mul_f64_e32 v[132:133], v[2:3], v[36:37]
	v_mul_f64_e32 v[36:37], v[4:5], v[36:37]
	s_wait_loadcnt_dscnt 0x600
	v_mul_f64_e32 v[32:33], v[6:7], v[130:131]
	v_add_f64_e32 v[26:27], v[28:29], v[26:27]
	v_add_f64_e32 v[28:29], v[39:40], v[136:137]
	v_mul_f64_e32 v[39:40], v[8:9], v[130:131]
	v_fma_f64 v[130:131], v[4:5], v[34:35], v[132:133]
	v_fma_f64 v[34:35], v[2:3], v[34:35], -v[36:37]
	ds_load_b128 v[2:5], v1 offset:1152
	v_fma_f64 v[32:33], v[8:9], v[128:129], v[32:33]
	v_add_f64_e32 v[30:31], v[26:27], v[30:31]
	v_add_f64_e32 v[36:37], v[28:29], v[134:135]
	scratch_load_b128 v[26:29], off, off offset:48
	v_fma_f64 v[39:40], v[6:7], v[128:129], -v[39:40]
	ds_load_b128 v[6:9], v1 offset:1168
	s_wait_loadcnt_dscnt 0x601
	v_mul_f64_e32 v[132:133], v[2:3], v[122:123]
	v_mul_f64_e32 v[122:123], v[4:5], v[122:123]
	v_add_f64_e32 v[30:31], v[30:31], v[34:35]
	v_add_f64_e32 v[34:35], v[36:37], v[130:131]
	s_wait_loadcnt_dscnt 0x500
	v_mul_f64_e32 v[36:37], v[6:7], v[126:127]
	v_mul_f64_e32 v[126:127], v[8:9], v[126:127]
	v_fma_f64 v[128:129], v[4:5], v[120:121], v[132:133]
	v_fma_f64 v[120:121], v[2:3], v[120:121], -v[122:123]
	ds_load_b128 v[2:5], v1 offset:1184
	v_add_f64_e32 v[30:31], v[30:31], v[39:40]
	v_add_f64_e32 v[32:33], v[34:35], v[32:33]
	v_fma_f64 v[36:37], v[8:9], v[124:125], v[36:37]
	v_fma_f64 v[39:40], v[6:7], v[124:125], -v[126:127]
	ds_load_b128 v[6:9], v1 offset:1200
	s_wait_loadcnt_dscnt 0x401
	v_mul_f64_e32 v[34:35], v[2:3], v[12:13]
	v_mul_f64_e32 v[12:13], v[4:5], v[12:13]
	v_add_f64_e32 v[30:31], v[30:31], v[120:121]
	v_add_f64_e32 v[32:33], v[32:33], v[128:129]
	s_wait_loadcnt_dscnt 0x300
	v_mul_f64_e32 v[120:121], v[6:7], v[16:17]
	v_mul_f64_e32 v[16:17], v[8:9], v[16:17]
	v_fma_f64 v[34:35], v[4:5], v[10:11], v[34:35]
	v_fma_f64 v[10:11], v[2:3], v[10:11], -v[12:13]
	ds_load_b128 v[2:5], v1 offset:1216
	v_add_f64_e32 v[12:13], v[30:31], v[39:40]
	v_add_f64_e32 v[30:31], v[32:33], v[36:37]
	v_fma_f64 v[36:37], v[8:9], v[14:15], v[120:121]
	v_fma_f64 v[14:15], v[6:7], v[14:15], -v[16:17]
	ds_load_b128 v[6:9], v1 offset:1232
	s_wait_loadcnt_dscnt 0x201
	v_mul_f64_e32 v[32:33], v[2:3], v[20:21]
	v_mul_f64_e32 v[20:21], v[4:5], v[20:21]
	s_wait_loadcnt_dscnt 0x100
	v_mul_f64_e32 v[16:17], v[6:7], v[24:25]
	v_mul_f64_e32 v[24:25], v[8:9], v[24:25]
	v_add_f64_e32 v[10:11], v[12:13], v[10:11]
	v_add_f64_e32 v[12:13], v[30:31], v[34:35]
	v_fma_f64 v[4:5], v[4:5], v[18:19], v[32:33]
	v_fma_f64 v[1:2], v[2:3], v[18:19], -v[20:21]
	v_fma_f64 v[8:9], v[8:9], v[22:23], v[16:17]
	v_fma_f64 v[6:7], v[6:7], v[22:23], -v[24:25]
	v_add_f64_e32 v[10:11], v[10:11], v[14:15]
	v_add_f64_e32 v[12:13], v[12:13], v[36:37]
	s_delay_alu instid0(VALU_DEP_2) | instskip(NEXT) | instid1(VALU_DEP_2)
	v_add_f64_e32 v[1:2], v[10:11], v[1:2]
	v_add_f64_e32 v[3:4], v[12:13], v[4:5]
	s_delay_alu instid0(VALU_DEP_2) | instskip(NEXT) | instid1(VALU_DEP_2)
	v_add_f64_e32 v[1:2], v[1:2], v[6:7]
	v_add_f64_e32 v[3:4], v[3:4], v[8:9]
	s_wait_loadcnt 0x0
	s_delay_alu instid0(VALU_DEP_2) | instskip(NEXT) | instid1(VALU_DEP_2)
	v_add_f64_e64 v[1:2], v[26:27], -v[1:2]
	v_add_f64_e64 v[3:4], v[28:29], -v[3:4]
	scratch_store_b128 off, v[1:4], off offset:48
	v_cmpx_lt_u32_e32 1, v0
	s_cbranch_execz .LBB38_245
; %bb.244:
	scratch_load_b128 v[1:4], off, s37
	v_mov_b32_e32 v5, 0
	s_delay_alu instid0(VALU_DEP_1)
	v_dual_mov_b32 v6, v5 :: v_dual_mov_b32 v7, v5
	v_mov_b32_e32 v8, v5
	scratch_store_b128 off, v[5:8], off offset:32
	s_wait_loadcnt 0x0
	ds_store_b128 v38, v[1:4]
.LBB38_245:
	s_wait_alu 0xfffe
	s_or_b32 exec_lo, exec_lo, s0
	s_wait_storecnt_dscnt 0x0
	s_barrier_signal -1
	s_barrier_wait -1
	global_inv scope:SCOPE_SE
	s_clause 0x7
	scratch_load_b128 v[2:5], off, off offset:48
	scratch_load_b128 v[6:9], off, off offset:64
	;; [unrolled: 1-line block ×8, first 2 shown]
	v_mov_b32_e32 v1, 0
	s_clause 0x1
	scratch_load_b128 v[34:37], off, off offset:176
	scratch_load_b128 v[128:131], off, off offset:192
	s_mov_b32 s0, exec_lo
	ds_load_b128 v[120:123], v1 offset:656
	ds_load_b128 v[124:127], v1 offset:672
	s_wait_loadcnt_dscnt 0x901
	v_mul_f64_e32 v[39:40], v[122:123], v[4:5]
	v_mul_f64_e32 v[4:5], v[120:121], v[4:5]
	s_wait_loadcnt_dscnt 0x800
	v_mul_f64_e32 v[132:133], v[124:125], v[8:9]
	v_mul_f64_e32 v[8:9], v[126:127], v[8:9]
	s_delay_alu instid0(VALU_DEP_4) | instskip(NEXT) | instid1(VALU_DEP_4)
	v_fma_f64 v[39:40], v[120:121], v[2:3], -v[39:40]
	v_fma_f64 v[134:135], v[122:123], v[2:3], v[4:5]
	ds_load_b128 v[2:5], v1 offset:688
	scratch_load_b128 v[120:123], off, off offset:208
	v_fma_f64 v[132:133], v[126:127], v[6:7], v[132:133]
	v_fma_f64 v[138:139], v[124:125], v[6:7], -v[8:9]
	ds_load_b128 v[6:9], v1 offset:704
	scratch_load_b128 v[124:127], off, off offset:224
	s_wait_loadcnt_dscnt 0x901
	v_mul_f64_e32 v[136:137], v[2:3], v[12:13]
	v_mul_f64_e32 v[12:13], v[4:5], v[12:13]
	s_wait_loadcnt_dscnt 0x800
	v_mul_f64_e32 v[140:141], v[6:7], v[16:17]
	v_mul_f64_e32 v[16:17], v[8:9], v[16:17]
	v_add_f64_e32 v[39:40], 0, v[39:40]
	v_add_f64_e32 v[134:135], 0, v[134:135]
	v_fma_f64 v[136:137], v[4:5], v[10:11], v[136:137]
	v_fma_f64 v[142:143], v[2:3], v[10:11], -v[12:13]
	ds_load_b128 v[2:5], v1 offset:720
	scratch_load_b128 v[10:13], off, off offset:240
	v_add_f64_e32 v[39:40], v[39:40], v[138:139]
	v_add_f64_e32 v[132:133], v[134:135], v[132:133]
	v_fma_f64 v[138:139], v[8:9], v[14:15], v[140:141]
	v_fma_f64 v[140:141], v[6:7], v[14:15], -v[16:17]
	ds_load_b128 v[6:9], v1 offset:736
	scratch_load_b128 v[14:17], off, off offset:256
	s_wait_loadcnt_dscnt 0x901
	v_mul_f64_e32 v[134:135], v[2:3], v[20:21]
	v_mul_f64_e32 v[20:21], v[4:5], v[20:21]
	v_add_f64_e32 v[39:40], v[39:40], v[142:143]
	v_add_f64_e32 v[132:133], v[132:133], v[136:137]
	s_wait_loadcnt_dscnt 0x800
	v_mul_f64_e32 v[136:137], v[6:7], v[24:25]
	v_mul_f64_e32 v[24:25], v[8:9], v[24:25]
	v_fma_f64 v[134:135], v[4:5], v[18:19], v[134:135]
	v_fma_f64 v[142:143], v[2:3], v[18:19], -v[20:21]
	ds_load_b128 v[2:5], v1 offset:752
	scratch_load_b128 v[18:21], off, off offset:272
	v_add_f64_e32 v[39:40], v[39:40], v[140:141]
	v_add_f64_e32 v[132:133], v[132:133], v[138:139]
	v_fma_f64 v[136:137], v[8:9], v[22:23], v[136:137]
	v_fma_f64 v[140:141], v[6:7], v[22:23], -v[24:25]
	ds_load_b128 v[6:9], v1 offset:768
	s_wait_loadcnt_dscnt 0x801
	v_mul_f64_e32 v[138:139], v[2:3], v[28:29]
	v_mul_f64_e32 v[28:29], v[4:5], v[28:29]
	scratch_load_b128 v[22:25], off, off offset:288
	v_add_f64_e32 v[39:40], v[39:40], v[142:143]
	v_add_f64_e32 v[132:133], v[132:133], v[134:135]
	s_wait_loadcnt_dscnt 0x800
	v_mul_f64_e32 v[134:135], v[6:7], v[32:33]
	v_mul_f64_e32 v[32:33], v[8:9], v[32:33]
	v_fma_f64 v[138:139], v[4:5], v[26:27], v[138:139]
	v_fma_f64 v[142:143], v[2:3], v[26:27], -v[28:29]
	ds_load_b128 v[2:5], v1 offset:784
	scratch_load_b128 v[26:29], off, off offset:304
	v_add_f64_e32 v[39:40], v[39:40], v[140:141]
	v_add_f64_e32 v[132:133], v[132:133], v[136:137]
	v_fma_f64 v[134:135], v[8:9], v[30:31], v[134:135]
	v_fma_f64 v[140:141], v[6:7], v[30:31], -v[32:33]
	ds_load_b128 v[6:9], v1 offset:800
	s_wait_loadcnt_dscnt 0x801
	v_mul_f64_e32 v[136:137], v[2:3], v[36:37]
	v_mul_f64_e32 v[36:37], v[4:5], v[36:37]
	scratch_load_b128 v[30:33], off, off offset:320
	v_add_f64_e32 v[39:40], v[39:40], v[142:143]
	v_add_f64_e32 v[132:133], v[132:133], v[138:139]
	s_wait_loadcnt_dscnt 0x800
	v_mul_f64_e32 v[138:139], v[6:7], v[130:131]
	v_mul_f64_e32 v[130:131], v[8:9], v[130:131]
	v_fma_f64 v[136:137], v[4:5], v[34:35], v[136:137]
	v_fma_f64 v[142:143], v[2:3], v[34:35], -v[36:37]
	ds_load_b128 v[2:5], v1 offset:816
	scratch_load_b128 v[34:37], off, off offset:336
	v_add_f64_e32 v[39:40], v[39:40], v[140:141]
	v_add_f64_e32 v[132:133], v[132:133], v[134:135]
	v_fma_f64 v[138:139], v[8:9], v[128:129], v[138:139]
	v_fma_f64 v[140:141], v[6:7], v[128:129], -v[130:131]
	ds_load_b128 v[6:9], v1 offset:832
	scratch_load_b128 v[128:131], off, off offset:352
	s_wait_loadcnt_dscnt 0x901
	v_mul_f64_e32 v[134:135], v[2:3], v[122:123]
	v_mul_f64_e32 v[122:123], v[4:5], v[122:123]
	v_add_f64_e32 v[39:40], v[39:40], v[142:143]
	v_add_f64_e32 v[132:133], v[132:133], v[136:137]
	s_wait_loadcnt_dscnt 0x800
	v_mul_f64_e32 v[136:137], v[6:7], v[126:127]
	v_mul_f64_e32 v[126:127], v[8:9], v[126:127]
	v_fma_f64 v[134:135], v[4:5], v[120:121], v[134:135]
	v_fma_f64 v[142:143], v[2:3], v[120:121], -v[122:123]
	ds_load_b128 v[2:5], v1 offset:848
	scratch_load_b128 v[120:123], off, off offset:368
	v_add_f64_e32 v[39:40], v[39:40], v[140:141]
	v_add_f64_e32 v[132:133], v[132:133], v[138:139]
	v_fma_f64 v[136:137], v[8:9], v[124:125], v[136:137]
	v_fma_f64 v[140:141], v[6:7], v[124:125], -v[126:127]
	ds_load_b128 v[6:9], v1 offset:864
	s_wait_loadcnt_dscnt 0x801
	v_mul_f64_e32 v[138:139], v[2:3], v[12:13]
	v_mul_f64_e32 v[12:13], v[4:5], v[12:13]
	scratch_load_b128 v[124:127], off, off offset:384
	v_add_f64_e32 v[39:40], v[39:40], v[142:143]
	v_add_f64_e32 v[132:133], v[132:133], v[134:135]
	s_wait_loadcnt_dscnt 0x800
	v_mul_f64_e32 v[134:135], v[6:7], v[16:17]
	v_mul_f64_e32 v[16:17], v[8:9], v[16:17]
	v_fma_f64 v[138:139], v[4:5], v[10:11], v[138:139]
	v_fma_f64 v[142:143], v[2:3], v[10:11], -v[12:13]
	ds_load_b128 v[2:5], v1 offset:880
	scratch_load_b128 v[10:13], off, off offset:400
	v_add_f64_e32 v[39:40], v[39:40], v[140:141]
	v_add_f64_e32 v[132:133], v[132:133], v[136:137]
	v_fma_f64 v[134:135], v[8:9], v[14:15], v[134:135]
	v_fma_f64 v[140:141], v[6:7], v[14:15], -v[16:17]
	ds_load_b128 v[6:9], v1 offset:896
	s_wait_loadcnt_dscnt 0x801
	v_mul_f64_e32 v[136:137], v[2:3], v[20:21]
	v_mul_f64_e32 v[20:21], v[4:5], v[20:21]
	scratch_load_b128 v[14:17], off, off offset:416
	;; [unrolled: 18-line block ×8, first 2 shown]
	v_add_f64_e32 v[39:40], v[39:40], v[142:143]
	v_add_f64_e32 v[132:133], v[132:133], v[138:139]
	s_wait_loadcnt_dscnt 0x800
	v_mul_f64_e32 v[138:139], v[6:7], v[32:33]
	v_mul_f64_e32 v[32:33], v[8:9], v[32:33]
	v_fma_f64 v[136:137], v[4:5], v[26:27], v[136:137]
	v_fma_f64 v[142:143], v[2:3], v[26:27], -v[28:29]
	ds_load_b128 v[2:5], v1 offset:1104
	scratch_load_b128 v[26:29], off, off offset:624
	v_add_f64_e32 v[39:40], v[39:40], v[140:141]
	v_add_f64_e32 v[132:133], v[132:133], v[134:135]
	v_fma_f64 v[138:139], v[8:9], v[30:31], v[138:139]
	v_fma_f64 v[30:31], v[6:7], v[30:31], -v[32:33]
	ds_load_b128 v[6:9], v1 offset:1120
	s_wait_loadcnt_dscnt 0x801
	v_mul_f64_e32 v[134:135], v[2:3], v[36:37]
	v_mul_f64_e32 v[36:37], v[4:5], v[36:37]
	v_add_f64_e32 v[32:33], v[39:40], v[142:143]
	v_add_f64_e32 v[39:40], v[132:133], v[136:137]
	s_wait_loadcnt_dscnt 0x700
	v_mul_f64_e32 v[132:133], v[6:7], v[130:131]
	v_mul_f64_e32 v[130:131], v[8:9], v[130:131]
	v_fma_f64 v[134:135], v[4:5], v[34:35], v[134:135]
	v_fma_f64 v[34:35], v[2:3], v[34:35], -v[36:37]
	ds_load_b128 v[2:5], v1 offset:1136
	s_wait_loadcnt_dscnt 0x600
	v_mul_f64_e32 v[36:37], v[2:3], v[122:123]
	v_add_f64_e32 v[30:31], v[32:33], v[30:31]
	v_add_f64_e32 v[32:33], v[39:40], v[138:139]
	v_mul_f64_e32 v[39:40], v[4:5], v[122:123]
	v_fma_f64 v[122:123], v[8:9], v[128:129], v[132:133]
	v_fma_f64 v[128:129], v[6:7], v[128:129], -v[130:131]
	ds_load_b128 v[6:9], v1 offset:1152
	v_fma_f64 v[36:37], v[4:5], v[120:121], v[36:37]
	v_add_f64_e32 v[34:35], v[30:31], v[34:35]
	v_add_f64_e32 v[130:131], v[32:33], v[134:135]
	scratch_load_b128 v[30:33], off, off offset:32
	v_fma_f64 v[39:40], v[2:3], v[120:121], -v[39:40]
	ds_load_b128 v[2:5], v1 offset:1168
	s_wait_loadcnt_dscnt 0x601
	v_mul_f64_e32 v[132:133], v[6:7], v[126:127]
	v_mul_f64_e32 v[126:127], v[8:9], v[126:127]
	v_add_f64_e32 v[34:35], v[34:35], v[128:129]
	v_add_f64_e32 v[120:121], v[130:131], v[122:123]
	s_wait_loadcnt_dscnt 0x500
	v_mul_f64_e32 v[122:123], v[2:3], v[12:13]
	v_mul_f64_e32 v[12:13], v[4:5], v[12:13]
	v_fma_f64 v[128:129], v[8:9], v[124:125], v[132:133]
	v_fma_f64 v[124:125], v[6:7], v[124:125], -v[126:127]
	ds_load_b128 v[6:9], v1 offset:1184
	v_add_f64_e32 v[34:35], v[34:35], v[39:40]
	v_add_f64_e32 v[36:37], v[120:121], v[36:37]
	v_fma_f64 v[120:121], v[4:5], v[10:11], v[122:123]
	v_fma_f64 v[10:11], v[2:3], v[10:11], -v[12:13]
	ds_load_b128 v[2:5], v1 offset:1200
	s_wait_loadcnt_dscnt 0x401
	v_mul_f64_e32 v[39:40], v[6:7], v[16:17]
	v_mul_f64_e32 v[16:17], v[8:9], v[16:17]
	v_add_f64_e32 v[12:13], v[34:35], v[124:125]
	v_add_f64_e32 v[34:35], v[36:37], v[128:129]
	s_wait_loadcnt_dscnt 0x300
	v_mul_f64_e32 v[36:37], v[2:3], v[20:21]
	v_mul_f64_e32 v[20:21], v[4:5], v[20:21]
	v_fma_f64 v[39:40], v[8:9], v[14:15], v[39:40]
	v_fma_f64 v[14:15], v[6:7], v[14:15], -v[16:17]
	ds_load_b128 v[6:9], v1 offset:1216
	v_add_f64_e32 v[10:11], v[12:13], v[10:11]
	v_add_f64_e32 v[12:13], v[34:35], v[120:121]
	v_fma_f64 v[34:35], v[4:5], v[18:19], v[36:37]
	v_fma_f64 v[18:19], v[2:3], v[18:19], -v[20:21]
	ds_load_b128 v[2:5], v1 offset:1232
	s_wait_loadcnt_dscnt 0x201
	v_mul_f64_e32 v[16:17], v[6:7], v[24:25]
	v_mul_f64_e32 v[24:25], v[8:9], v[24:25]
	s_wait_loadcnt_dscnt 0x100
	v_mul_f64_e32 v[20:21], v[4:5], v[28:29]
	v_add_f64_e32 v[10:11], v[10:11], v[14:15]
	v_add_f64_e32 v[12:13], v[12:13], v[39:40]
	v_mul_f64_e32 v[14:15], v[2:3], v[28:29]
	v_fma_f64 v[8:9], v[8:9], v[22:23], v[16:17]
	v_fma_f64 v[6:7], v[6:7], v[22:23], -v[24:25]
	v_fma_f64 v[2:3], v[2:3], v[26:27], -v[20:21]
	v_add_f64_e32 v[10:11], v[10:11], v[18:19]
	v_add_f64_e32 v[12:13], v[12:13], v[34:35]
	v_fma_f64 v[4:5], v[4:5], v[26:27], v[14:15]
	s_delay_alu instid0(VALU_DEP_3) | instskip(NEXT) | instid1(VALU_DEP_3)
	v_add_f64_e32 v[6:7], v[10:11], v[6:7]
	v_add_f64_e32 v[8:9], v[12:13], v[8:9]
	s_delay_alu instid0(VALU_DEP_2) | instskip(NEXT) | instid1(VALU_DEP_2)
	v_add_f64_e32 v[2:3], v[6:7], v[2:3]
	v_add_f64_e32 v[4:5], v[8:9], v[4:5]
	s_wait_loadcnt 0x0
	s_delay_alu instid0(VALU_DEP_2) | instskip(NEXT) | instid1(VALU_DEP_2)
	v_add_f64_e64 v[2:3], v[30:31], -v[2:3]
	v_add_f64_e64 v[4:5], v[32:33], -v[4:5]
	scratch_store_b128 off, v[2:5], off offset:32
	v_cmpx_ne_u32_e32 0, v0
	s_cbranch_execz .LBB38_247
; %bb.246:
	scratch_load_b128 v[5:8], off, off offset:16
	v_dual_mov_b32 v2, v1 :: v_dual_mov_b32 v3, v1
	v_mov_b32_e32 v4, v1
	scratch_store_b128 off, v[1:4], off offset:16
	s_wait_loadcnt 0x0
	ds_store_b128 v38, v[5:8]
.LBB38_247:
	s_wait_alu 0xfffe
	s_or_b32 exec_lo, exec_lo, s0
	s_wait_storecnt_dscnt 0x0
	s_barrier_signal -1
	s_barrier_wait -1
	global_inv scope:SCOPE_SE
	s_clause 0x7
	scratch_load_b128 v[2:5], off, off offset:32
	scratch_load_b128 v[6:9], off, off offset:48
	;; [unrolled: 1-line block ×8, first 2 shown]
	ds_load_b128 v[38:41], v1 offset:640
	ds_load_b128 v[120:123], v1 offset:656
	s_clause 0x1
	scratch_load_b128 v[34:37], off, off offset:160
	scratch_load_b128 v[124:127], off, off offset:176
	s_and_b32 vcc_lo, exec_lo, s18
	s_wait_loadcnt_dscnt 0x901
	v_mul_f64_e32 v[128:129], v[40:41], v[4:5]
	v_mul_f64_e32 v[4:5], v[38:39], v[4:5]
	s_wait_loadcnt_dscnt 0x800
	v_mul_f64_e32 v[130:131], v[120:121], v[8:9]
	v_mul_f64_e32 v[8:9], v[122:123], v[8:9]
	s_delay_alu instid0(VALU_DEP_4) | instskip(NEXT) | instid1(VALU_DEP_4)
	v_fma_f64 v[128:129], v[38:39], v[2:3], -v[128:129]
	v_fma_f64 v[132:133], v[40:41], v[2:3], v[4:5]
	ds_load_b128 v[2:5], v1 offset:672
	scratch_load_b128 v[38:41], off, off offset:192
	v_fma_f64 v[130:131], v[122:123], v[6:7], v[130:131]
	v_fma_f64 v[136:137], v[120:121], v[6:7], -v[8:9]
	ds_load_b128 v[6:9], v1 offset:688
	scratch_load_b128 v[120:123], off, off offset:208
	s_wait_loadcnt_dscnt 0x901
	v_mul_f64_e32 v[134:135], v[2:3], v[12:13]
	v_mul_f64_e32 v[12:13], v[4:5], v[12:13]
	s_wait_loadcnt_dscnt 0x800
	v_mul_f64_e32 v[138:139], v[6:7], v[16:17]
	v_mul_f64_e32 v[16:17], v[8:9], v[16:17]
	v_add_f64_e32 v[128:129], 0, v[128:129]
	v_add_f64_e32 v[132:133], 0, v[132:133]
	v_fma_f64 v[134:135], v[4:5], v[10:11], v[134:135]
	v_fma_f64 v[140:141], v[2:3], v[10:11], -v[12:13]
	ds_load_b128 v[2:5], v1 offset:704
	scratch_load_b128 v[10:13], off, off offset:224
	v_add_f64_e32 v[128:129], v[128:129], v[136:137]
	v_add_f64_e32 v[130:131], v[132:133], v[130:131]
	v_fma_f64 v[136:137], v[8:9], v[14:15], v[138:139]
	v_fma_f64 v[138:139], v[6:7], v[14:15], -v[16:17]
	ds_load_b128 v[6:9], v1 offset:720
	scratch_load_b128 v[14:17], off, off offset:240
	s_wait_loadcnt_dscnt 0x901
	v_mul_f64_e32 v[132:133], v[2:3], v[20:21]
	v_mul_f64_e32 v[20:21], v[4:5], v[20:21]
	v_add_f64_e32 v[128:129], v[128:129], v[140:141]
	v_add_f64_e32 v[130:131], v[130:131], v[134:135]
	s_wait_loadcnt_dscnt 0x800
	v_mul_f64_e32 v[134:135], v[6:7], v[24:25]
	v_mul_f64_e32 v[24:25], v[8:9], v[24:25]
	v_fma_f64 v[132:133], v[4:5], v[18:19], v[132:133]
	v_fma_f64 v[140:141], v[2:3], v[18:19], -v[20:21]
	ds_load_b128 v[2:5], v1 offset:736
	scratch_load_b128 v[18:21], off, off offset:256
	v_add_f64_e32 v[128:129], v[128:129], v[138:139]
	v_add_f64_e32 v[130:131], v[130:131], v[136:137]
	v_fma_f64 v[134:135], v[8:9], v[22:23], v[134:135]
	v_fma_f64 v[138:139], v[6:7], v[22:23], -v[24:25]
	ds_load_b128 v[6:9], v1 offset:752
	s_wait_loadcnt_dscnt 0x801
	v_mul_f64_e32 v[136:137], v[2:3], v[28:29]
	v_mul_f64_e32 v[28:29], v[4:5], v[28:29]
	scratch_load_b128 v[22:25], off, off offset:272
	v_add_f64_e32 v[128:129], v[128:129], v[140:141]
	v_add_f64_e32 v[130:131], v[130:131], v[132:133]
	s_wait_loadcnt_dscnt 0x800
	v_mul_f64_e32 v[132:133], v[6:7], v[32:33]
	v_mul_f64_e32 v[32:33], v[8:9], v[32:33]
	v_fma_f64 v[136:137], v[4:5], v[26:27], v[136:137]
	v_fma_f64 v[140:141], v[2:3], v[26:27], -v[28:29]
	ds_load_b128 v[2:5], v1 offset:768
	scratch_load_b128 v[26:29], off, off offset:288
	v_add_f64_e32 v[128:129], v[128:129], v[138:139]
	v_add_f64_e32 v[130:131], v[130:131], v[134:135]
	v_fma_f64 v[132:133], v[8:9], v[30:31], v[132:133]
	v_fma_f64 v[138:139], v[6:7], v[30:31], -v[32:33]
	ds_load_b128 v[6:9], v1 offset:784
	s_wait_loadcnt_dscnt 0x801
	v_mul_f64_e32 v[134:135], v[2:3], v[36:37]
	v_mul_f64_e32 v[36:37], v[4:5], v[36:37]
	scratch_load_b128 v[30:33], off, off offset:304
	v_add_f64_e32 v[128:129], v[128:129], v[140:141]
	v_add_f64_e32 v[130:131], v[130:131], v[136:137]
	s_wait_loadcnt_dscnt 0x800
	v_mul_f64_e32 v[136:137], v[6:7], v[126:127]
	v_mul_f64_e32 v[126:127], v[8:9], v[126:127]
	v_fma_f64 v[134:135], v[4:5], v[34:35], v[134:135]
	v_fma_f64 v[140:141], v[2:3], v[34:35], -v[36:37]
	ds_load_b128 v[2:5], v1 offset:800
	scratch_load_b128 v[34:37], off, off offset:320
	v_add_f64_e32 v[128:129], v[128:129], v[138:139]
	v_add_f64_e32 v[130:131], v[130:131], v[132:133]
	v_fma_f64 v[136:137], v[8:9], v[124:125], v[136:137]
	v_fma_f64 v[138:139], v[6:7], v[124:125], -v[126:127]
	ds_load_b128 v[6:9], v1 offset:816
	scratch_load_b128 v[124:127], off, off offset:336
	s_wait_loadcnt_dscnt 0x901
	v_mul_f64_e32 v[132:133], v[2:3], v[40:41]
	v_mul_f64_e32 v[40:41], v[4:5], v[40:41]
	v_add_f64_e32 v[128:129], v[128:129], v[140:141]
	v_add_f64_e32 v[130:131], v[130:131], v[134:135]
	s_wait_loadcnt_dscnt 0x800
	v_mul_f64_e32 v[134:135], v[6:7], v[122:123]
	v_mul_f64_e32 v[122:123], v[8:9], v[122:123]
	v_fma_f64 v[132:133], v[4:5], v[38:39], v[132:133]
	v_fma_f64 v[140:141], v[2:3], v[38:39], -v[40:41]
	ds_load_b128 v[2:5], v1 offset:832
	scratch_load_b128 v[38:41], off, off offset:352
	v_add_f64_e32 v[128:129], v[128:129], v[138:139]
	v_add_f64_e32 v[130:131], v[130:131], v[136:137]
	v_fma_f64 v[134:135], v[8:9], v[120:121], v[134:135]
	v_fma_f64 v[138:139], v[6:7], v[120:121], -v[122:123]
	ds_load_b128 v[6:9], v1 offset:848
	s_wait_loadcnt_dscnt 0x801
	v_mul_f64_e32 v[136:137], v[2:3], v[12:13]
	v_mul_f64_e32 v[12:13], v[4:5], v[12:13]
	scratch_load_b128 v[120:123], off, off offset:368
	v_add_f64_e32 v[128:129], v[128:129], v[140:141]
	v_add_f64_e32 v[130:131], v[130:131], v[132:133]
	s_wait_loadcnt_dscnt 0x800
	v_mul_f64_e32 v[132:133], v[6:7], v[16:17]
	v_mul_f64_e32 v[16:17], v[8:9], v[16:17]
	v_fma_f64 v[136:137], v[4:5], v[10:11], v[136:137]
	v_fma_f64 v[140:141], v[2:3], v[10:11], -v[12:13]
	ds_load_b128 v[2:5], v1 offset:864
	scratch_load_b128 v[10:13], off, off offset:384
	v_add_f64_e32 v[128:129], v[128:129], v[138:139]
	v_add_f64_e32 v[130:131], v[130:131], v[134:135]
	v_fma_f64 v[132:133], v[8:9], v[14:15], v[132:133]
	v_fma_f64 v[138:139], v[6:7], v[14:15], -v[16:17]
	ds_load_b128 v[6:9], v1 offset:880
	s_wait_loadcnt_dscnt 0x801
	v_mul_f64_e32 v[134:135], v[2:3], v[20:21]
	v_mul_f64_e32 v[20:21], v[4:5], v[20:21]
	scratch_load_b128 v[14:17], off, off offset:400
	;; [unrolled: 18-line block ×9, first 2 shown]
	v_add_f64_e32 v[128:129], v[128:129], v[140:141]
	v_add_f64_e32 v[130:131], v[130:131], v[134:135]
	s_wait_loadcnt_dscnt 0x800
	v_mul_f64_e32 v[134:135], v[6:7], v[126:127]
	v_mul_f64_e32 v[126:127], v[8:9], v[126:127]
	v_fma_f64 v[132:133], v[4:5], v[34:35], v[132:133]
	v_fma_f64 v[34:35], v[2:3], v[34:35], -v[36:37]
	ds_load_b128 v[2:5], v1 offset:1120
	v_add_f64_e32 v[36:37], v[128:129], v[138:139]
	v_add_f64_e32 v[128:129], v[130:131], v[136:137]
	v_fma_f64 v[134:135], v[8:9], v[124:125], v[134:135]
	v_fma_f64 v[124:125], v[6:7], v[124:125], -v[126:127]
	ds_load_b128 v[6:9], v1 offset:1136
	s_wait_loadcnt_dscnt 0x701
	v_mul_f64_e32 v[130:131], v[2:3], v[40:41]
	v_mul_f64_e32 v[40:41], v[4:5], v[40:41]
	v_add_f64_e32 v[34:35], v[36:37], v[34:35]
	v_add_f64_e32 v[36:37], v[128:129], v[132:133]
	s_delay_alu instid0(VALU_DEP_4) | instskip(NEXT) | instid1(VALU_DEP_4)
	v_fma_f64 v[128:129], v[4:5], v[38:39], v[130:131]
	v_fma_f64 v[38:39], v[2:3], v[38:39], -v[40:41]
	ds_load_b128 v[2:5], v1 offset:1152
	v_add_f64_e32 v[40:41], v[34:35], v[124:125]
	v_add_f64_e32 v[124:125], v[36:37], v[134:135]
	scratch_load_b128 v[34:37], off, off offset:16
	s_wait_loadcnt_dscnt 0x701
	v_mul_f64_e32 v[126:127], v[6:7], v[122:123]
	v_mul_f64_e32 v[122:123], v[8:9], v[122:123]
	v_add_f64_e32 v[38:39], v[40:41], v[38:39]
	v_add_f64_e32 v[40:41], v[124:125], v[128:129]
	s_delay_alu instid0(VALU_DEP_4) | instskip(NEXT) | instid1(VALU_DEP_4)
	v_fma_f64 v[126:127], v[8:9], v[120:121], v[126:127]
	v_fma_f64 v[120:121], v[6:7], v[120:121], -v[122:123]
	ds_load_b128 v[6:9], v1 offset:1168
	s_wait_loadcnt_dscnt 0x601
	v_mul_f64_e32 v[130:131], v[2:3], v[12:13]
	v_mul_f64_e32 v[12:13], v[4:5], v[12:13]
	s_wait_loadcnt_dscnt 0x500
	v_mul_f64_e32 v[122:123], v[6:7], v[16:17]
	v_mul_f64_e32 v[16:17], v[8:9], v[16:17]
	s_delay_alu instid0(VALU_DEP_4) | instskip(NEXT) | instid1(VALU_DEP_4)
	v_fma_f64 v[124:125], v[4:5], v[10:11], v[130:131]
	v_fma_f64 v[10:11], v[2:3], v[10:11], -v[12:13]
	v_add_f64_e32 v[12:13], v[38:39], v[120:121]
	v_add_f64_e32 v[38:39], v[40:41], v[126:127]
	ds_load_b128 v[2:5], v1 offset:1184
	v_fma_f64 v[120:121], v[8:9], v[14:15], v[122:123]
	v_fma_f64 v[14:15], v[6:7], v[14:15], -v[16:17]
	ds_load_b128 v[6:9], v1 offset:1200
	s_wait_loadcnt_dscnt 0x401
	v_mul_f64_e32 v[40:41], v[2:3], v[20:21]
	v_mul_f64_e32 v[20:21], v[4:5], v[20:21]
	v_add_f64_e32 v[10:11], v[12:13], v[10:11]
	v_add_f64_e32 v[12:13], v[38:39], v[124:125]
	s_wait_loadcnt_dscnt 0x300
	v_mul_f64_e32 v[16:17], v[6:7], v[24:25]
	v_mul_f64_e32 v[24:25], v[8:9], v[24:25]
	v_fma_f64 v[38:39], v[4:5], v[18:19], v[40:41]
	v_fma_f64 v[18:19], v[2:3], v[18:19], -v[20:21]
	ds_load_b128 v[2:5], v1 offset:1216
	v_add_f64_e32 v[10:11], v[10:11], v[14:15]
	v_add_f64_e32 v[12:13], v[12:13], v[120:121]
	v_fma_f64 v[16:17], v[8:9], v[22:23], v[16:17]
	v_fma_f64 v[22:23], v[6:7], v[22:23], -v[24:25]
	ds_load_b128 v[6:9], v1 offset:1232
	s_wait_loadcnt_dscnt 0x201
	v_mul_f64_e32 v[14:15], v[2:3], v[28:29]
	v_mul_f64_e32 v[20:21], v[4:5], v[28:29]
	s_wait_loadcnt_dscnt 0x100
	v_mul_f64_e32 v[0:1], v[6:7], v[32:33]
	v_add_f64_e32 v[10:11], v[10:11], v[18:19]
	v_add_f64_e32 v[12:13], v[12:13], v[38:39]
	v_mul_f64_e32 v[18:19], v[8:9], v[32:33]
	v_fma_f64 v[4:5], v[4:5], v[26:27], v[14:15]
	v_fma_f64 v[2:3], v[2:3], v[26:27], -v[20:21]
	v_fma_f64 v[0:1], v[8:9], v[30:31], v[0:1]
	v_add_f64_e32 v[10:11], v[10:11], v[22:23]
	v_add_f64_e32 v[12:13], v[12:13], v[16:17]
	v_fma_f64 v[6:7], v[6:7], v[30:31], -v[18:19]
	s_delay_alu instid0(VALU_DEP_3) | instskip(NEXT) | instid1(VALU_DEP_3)
	v_add_f64_e32 v[2:3], v[10:11], v[2:3]
	v_add_f64_e32 v[4:5], v[12:13], v[4:5]
	s_delay_alu instid0(VALU_DEP_2) | instskip(NEXT) | instid1(VALU_DEP_2)
	v_add_f64_e32 v[2:3], v[2:3], v[6:7]
	v_add_f64_e32 v[4:5], v[4:5], v[0:1]
	s_wait_loadcnt 0x0
	s_delay_alu instid0(VALU_DEP_2) | instskip(NEXT) | instid1(VALU_DEP_2)
	v_add_f64_e64 v[0:1], v[34:35], -v[2:3]
	v_add_f64_e64 v[2:3], v[36:37], -v[4:5]
	scratch_store_b128 off, v[0:3], off offset:16
	s_wait_alu 0xfffe
	s_cbranch_vccz .LBB38_324
; %bb.248:
	v_mov_b32_e32 v0, 0
	global_load_b32 v1, v0, s[2:3] offset:148
	s_wait_loadcnt 0x0
	v_cmp_ne_u32_e32 vcc_lo, 38, v1
	s_cbranch_vccz .LBB38_250
; %bb.249:
	v_lshlrev_b32_e32 v1, 4, v1
	s_delay_alu instid0(VALU_DEP_1)
	v_add_nc_u32_e32 v9, 16, v1
	s_clause 0x1
	scratch_load_b128 v[1:4], v9, off offset:-16
	scratch_load_b128 v[5:8], off, s9
	s_wait_loadcnt 0x1
	scratch_store_b128 off, v[1:4], s9
	s_wait_loadcnt 0x0
	scratch_store_b128 v9, v[5:8], off offset:-16
.LBB38_250:
	global_load_b32 v0, v0, s[2:3] offset:144
	s_wait_loadcnt 0x0
	v_cmp_eq_u32_e32 vcc_lo, 37, v0
	s_cbranch_vccnz .LBB38_252
; %bb.251:
	v_lshlrev_b32_e32 v0, 4, v0
	s_delay_alu instid0(VALU_DEP_1)
	v_add_nc_u32_e32 v8, 16, v0
	s_clause 0x1
	scratch_load_b128 v[0:3], v8, off offset:-16
	scratch_load_b128 v[4:7], off, s12
	s_wait_loadcnt 0x1
	scratch_store_b128 off, v[0:3], s12
	s_wait_loadcnt 0x0
	scratch_store_b128 v8, v[4:7], off offset:-16
.LBB38_252:
	v_mov_b32_e32 v0, 0
	global_load_b32 v1, v0, s[2:3] offset:140
	s_wait_loadcnt 0x0
	v_cmp_eq_u32_e32 vcc_lo, 36, v1
	s_cbranch_vccnz .LBB38_254
; %bb.253:
	v_lshlrev_b32_e32 v1, 4, v1
	s_delay_alu instid0(VALU_DEP_1)
	v_add_nc_u32_e32 v9, 16, v1
	s_clause 0x1
	scratch_load_b128 v[1:4], v9, off offset:-16
	scratch_load_b128 v[5:8], off, s10
	s_wait_loadcnt 0x1
	scratch_store_b128 off, v[1:4], s10
	s_wait_loadcnt 0x0
	scratch_store_b128 v9, v[5:8], off offset:-16
.LBB38_254:
	global_load_b32 v0, v0, s[2:3] offset:136
	s_wait_loadcnt 0x0
	v_cmp_eq_u32_e32 vcc_lo, 35, v0
	s_cbranch_vccnz .LBB38_256
; %bb.255:
	v_lshlrev_b32_e32 v0, 4, v0
	s_delay_alu instid0(VALU_DEP_1)
	v_add_nc_u32_e32 v8, 16, v0
	s_clause 0x1
	scratch_load_b128 v[0:3], v8, off offset:-16
	scratch_load_b128 v[4:7], off, s14
	s_wait_loadcnt 0x1
	scratch_store_b128 off, v[0:3], s14
	s_wait_loadcnt 0x0
	scratch_store_b128 v8, v[4:7], off offset:-16
.LBB38_256:
	v_mov_b32_e32 v0, 0
	global_load_b32 v1, v0, s[2:3] offset:132
	s_wait_loadcnt 0x0
	v_cmp_eq_u32_e32 vcc_lo, 34, v1
	s_cbranch_vccnz .LBB38_258
; %bb.257:
	v_lshlrev_b32_e32 v1, 4, v1
	s_delay_alu instid0(VALU_DEP_1)
	v_add_nc_u32_e32 v9, 16, v1
	s_clause 0x1
	scratch_load_b128 v[1:4], v9, off offset:-16
	scratch_load_b128 v[5:8], off, s11
	s_wait_loadcnt 0x1
	scratch_store_b128 off, v[1:4], s11
	s_wait_loadcnt 0x0
	scratch_store_b128 v9, v[5:8], off offset:-16
.LBB38_258:
	;; [unrolled: 33-line block ×18, first 2 shown]
	global_load_b32 v0, v0, s[2:3]
	s_wait_loadcnt 0x0
	v_cmp_eq_u32_e32 vcc_lo, 1, v0
	s_cbranch_vccnz .LBB38_324
; %bb.323:
	v_lshlrev_b32_e32 v0, 4, v0
	s_delay_alu instid0(VALU_DEP_1)
	v_add_nc_u32_e32 v8, 16, v0
	scratch_load_b128 v[0:3], v8, off offset:-16
	scratch_load_b128 v[4:7], off, off offset:16
	s_wait_loadcnt 0x1
	scratch_store_b128 off, v[0:3], off offset:16
	s_wait_loadcnt 0x0
	scratch_store_b128 v8, v[4:7], off offset:-16
.LBB38_324:
	scratch_load_b128 v[0:3], off, off offset:16
	s_clause 0xd
	scratch_load_b128 v[4:7], off, s37
	scratch_load_b128 v[8:11], off, s36
	;; [unrolled: 1-line block ×14, first 2 shown]
	s_wait_loadcnt 0xe
	global_store_b128 v[42:43], v[0:3], off
	s_clause 0x1
	scratch_load_b128 v[0:3], off, s33
	scratch_load_b128 v[40:43], off, s31
	s_wait_loadcnt 0xf
	global_store_b128 v[44:45], v[4:7], off
	s_wait_loadcnt 0xe
	global_store_b128 v[46:47], v[8:11], off
	s_clause 0x1
	scratch_load_b128 v[4:7], off, s30
	scratch_load_b128 v[8:11], off, s29
	s_wait_loadcnt 0xf
	global_store_b128 v[48:49], v[12:15], off
	s_clause 0x1
	scratch_load_b128 v[12:15], off, s27
	scratch_load_b128 v[44:47], off, s28
	s_wait_loadcnt 0x10
	global_store_b128 v[50:51], v[16:19], off
	s_clause 0x1
	scratch_load_b128 v[16:19], off, s26
	scratch_load_b128 v[48:51], off, s25
	s_wait_loadcnt 0x11
	global_store_b128 v[52:53], v[20:23], off
	s_wait_loadcnt 0x10
	global_store_b128 v[66:67], v[24:27], off
	s_clause 0x1
	scratch_load_b128 v[20:23], off, s24
	scratch_load_b128 v[24:27], off, s23
	s_wait_loadcnt 0x11
	global_store_b128 v[56:57], v[28:31], off
	s_clause 0x1
	scratch_load_b128 v[28:31], off, s21
	scratch_load_b128 v[140:143], off, s22
	;; [unrolled: 17-line block ×4, first 2 shown]
	s_wait_loadcnt 0x16
	global_store_b128 v[74:75], v[40:43], off
	s_wait_loadcnt 0x15
	global_store_b128 v[76:77], v[4:7], off
	;; [unrolled: 2-line block ×23, first 2 shown]
	s_nop 0
	s_sendmsg sendmsg(MSG_DEALLOC_VGPRS)
	s_endpgm
	.section	.rodata,"a",@progbits
	.p2align	6, 0x0
	.amdhsa_kernel _ZN9rocsolver6v33100L18getri_kernel_smallILi39E19rocblas_complex_numIdEPS3_EEvT1_iilPiilS6_bb
		.amdhsa_group_segment_fixed_size 1256
		.amdhsa_private_segment_fixed_size 656
		.amdhsa_kernarg_size 60
		.amdhsa_user_sgpr_count 2
		.amdhsa_user_sgpr_dispatch_ptr 0
		.amdhsa_user_sgpr_queue_ptr 0
		.amdhsa_user_sgpr_kernarg_segment_ptr 1
		.amdhsa_user_sgpr_dispatch_id 0
		.amdhsa_user_sgpr_private_segment_size 0
		.amdhsa_wavefront_size32 1
		.amdhsa_uses_dynamic_stack 0
		.amdhsa_enable_private_segment 1
		.amdhsa_system_sgpr_workgroup_id_x 1
		.amdhsa_system_sgpr_workgroup_id_y 0
		.amdhsa_system_sgpr_workgroup_id_z 0
		.amdhsa_system_sgpr_workgroup_info 0
		.amdhsa_system_vgpr_workitem_id 0
		.amdhsa_next_free_vgpr 144
		.amdhsa_next_free_sgpr 60
		.amdhsa_reserve_vcc 1
		.amdhsa_float_round_mode_32 0
		.amdhsa_float_round_mode_16_64 0
		.amdhsa_float_denorm_mode_32 3
		.amdhsa_float_denorm_mode_16_64 3
		.amdhsa_fp16_overflow 0
		.amdhsa_workgroup_processor_mode 1
		.amdhsa_memory_ordered 1
		.amdhsa_forward_progress 1
		.amdhsa_inst_pref_size 255
		.amdhsa_round_robin_scheduling 0
		.amdhsa_exception_fp_ieee_invalid_op 0
		.amdhsa_exception_fp_denorm_src 0
		.amdhsa_exception_fp_ieee_div_zero 0
		.amdhsa_exception_fp_ieee_overflow 0
		.amdhsa_exception_fp_ieee_underflow 0
		.amdhsa_exception_fp_ieee_inexact 0
		.amdhsa_exception_int_div_zero 0
	.end_amdhsa_kernel
	.section	.text._ZN9rocsolver6v33100L18getri_kernel_smallILi39E19rocblas_complex_numIdEPS3_EEvT1_iilPiilS6_bb,"axG",@progbits,_ZN9rocsolver6v33100L18getri_kernel_smallILi39E19rocblas_complex_numIdEPS3_EEvT1_iilPiilS6_bb,comdat
.Lfunc_end38:
	.size	_ZN9rocsolver6v33100L18getri_kernel_smallILi39E19rocblas_complex_numIdEPS3_EEvT1_iilPiilS6_bb, .Lfunc_end38-_ZN9rocsolver6v33100L18getri_kernel_smallILi39E19rocblas_complex_numIdEPS3_EEvT1_iilPiilS6_bb
                                        ; -- End function
	.set _ZN9rocsolver6v33100L18getri_kernel_smallILi39E19rocblas_complex_numIdEPS3_EEvT1_iilPiilS6_bb.num_vgpr, 144
	.set _ZN9rocsolver6v33100L18getri_kernel_smallILi39E19rocblas_complex_numIdEPS3_EEvT1_iilPiilS6_bb.num_agpr, 0
	.set _ZN9rocsolver6v33100L18getri_kernel_smallILi39E19rocblas_complex_numIdEPS3_EEvT1_iilPiilS6_bb.numbered_sgpr, 60
	.set _ZN9rocsolver6v33100L18getri_kernel_smallILi39E19rocblas_complex_numIdEPS3_EEvT1_iilPiilS6_bb.num_named_barrier, 0
	.set _ZN9rocsolver6v33100L18getri_kernel_smallILi39E19rocblas_complex_numIdEPS3_EEvT1_iilPiilS6_bb.private_seg_size, 656
	.set _ZN9rocsolver6v33100L18getri_kernel_smallILi39E19rocblas_complex_numIdEPS3_EEvT1_iilPiilS6_bb.uses_vcc, 1
	.set _ZN9rocsolver6v33100L18getri_kernel_smallILi39E19rocblas_complex_numIdEPS3_EEvT1_iilPiilS6_bb.uses_flat_scratch, 1
	.set _ZN9rocsolver6v33100L18getri_kernel_smallILi39E19rocblas_complex_numIdEPS3_EEvT1_iilPiilS6_bb.has_dyn_sized_stack, 0
	.set _ZN9rocsolver6v33100L18getri_kernel_smallILi39E19rocblas_complex_numIdEPS3_EEvT1_iilPiilS6_bb.has_recursion, 0
	.set _ZN9rocsolver6v33100L18getri_kernel_smallILi39E19rocblas_complex_numIdEPS3_EEvT1_iilPiilS6_bb.has_indirect_call, 0
	.section	.AMDGPU.csdata,"",@progbits
; Kernel info:
; codeLenInByte = 67824
; TotalNumSgprs: 62
; NumVgprs: 144
; ScratchSize: 656
; MemoryBound: 0
; FloatMode: 240
; IeeeMode: 1
; LDSByteSize: 1256 bytes/workgroup (compile time only)
; SGPRBlocks: 0
; VGPRBlocks: 17
; NumSGPRsForWavesPerEU: 62
; NumVGPRsForWavesPerEU: 144
; Occupancy: 10
; WaveLimiterHint : 1
; COMPUTE_PGM_RSRC2:SCRATCH_EN: 1
; COMPUTE_PGM_RSRC2:USER_SGPR: 2
; COMPUTE_PGM_RSRC2:TRAP_HANDLER: 0
; COMPUTE_PGM_RSRC2:TGID_X_EN: 1
; COMPUTE_PGM_RSRC2:TGID_Y_EN: 0
; COMPUTE_PGM_RSRC2:TGID_Z_EN: 0
; COMPUTE_PGM_RSRC2:TIDIG_COMP_CNT: 0
	.section	.text._ZN9rocsolver6v33100L18getri_kernel_smallILi40E19rocblas_complex_numIdEPS3_EEvT1_iilPiilS6_bb,"axG",@progbits,_ZN9rocsolver6v33100L18getri_kernel_smallILi40E19rocblas_complex_numIdEPS3_EEvT1_iilPiilS6_bb,comdat
	.globl	_ZN9rocsolver6v33100L18getri_kernel_smallILi40E19rocblas_complex_numIdEPS3_EEvT1_iilPiilS6_bb ; -- Begin function _ZN9rocsolver6v33100L18getri_kernel_smallILi40E19rocblas_complex_numIdEPS3_EEvT1_iilPiilS6_bb
	.p2align	8
	.type	_ZN9rocsolver6v33100L18getri_kernel_smallILi40E19rocblas_complex_numIdEPS3_EEvT1_iilPiilS6_bb,@function
_ZN9rocsolver6v33100L18getri_kernel_smallILi40E19rocblas_complex_numIdEPS3_EEvT1_iilPiilS6_bb: ; @_ZN9rocsolver6v33100L18getri_kernel_smallILi40E19rocblas_complex_numIdEPS3_EEvT1_iilPiilS6_bb
; %bb.0:
	s_mov_b32 s2, exec_lo
	v_cmpx_gt_u32_e32 40, v0
	s_cbranch_execz .LBB39_174
; %bb.1:
	s_clause 0x2
	s_load_b32 s2, s[0:1], 0x38
	s_load_b128 s[12:15], s[0:1], 0x10
	s_load_b128 s[4:7], s[0:1], 0x28
	s_mov_b32 s16, ttmp9
	s_wait_kmcnt 0x0
	s_bitcmp1_b32 s2, 8
	s_cselect_b32 s18, -1, 0
	s_bfe_u32 s2, s2, 0x10008
	s_ashr_i32 s17, ttmp9, 31
	s_cmp_eq_u32 s2, 0
                                        ; implicit-def: $sgpr2_sgpr3
	s_cbranch_scc1 .LBB39_3
; %bb.2:
	s_load_b32 s2, s[0:1], 0x20
	s_mul_u64 s[4:5], s[4:5], s[16:17]
	s_delay_alu instid0(SALU_CYCLE_1) | instskip(NEXT) | instid1(SALU_CYCLE_1)
	s_lshl_b64 s[4:5], s[4:5], 2
	s_add_nc_u64 s[4:5], s[14:15], s[4:5]
	s_wait_kmcnt 0x0
	s_ashr_i32 s3, s2, 31
	s_delay_alu instid0(SALU_CYCLE_1) | instskip(NEXT) | instid1(SALU_CYCLE_1)
	s_lshl_b64 s[2:3], s[2:3], 2
	s_add_nc_u64 s[2:3], s[4:5], s[2:3]
.LBB39_3:
	s_clause 0x1
	s_load_b128 s[8:11], s[0:1], 0x0
	s_load_b32 s49, s[0:1], 0x38
	s_mul_u64 s[0:1], s[12:13], s[16:17]
	v_lshlrev_b32_e32 v13, 4, v0
	s_lshl_b64 s[0:1], s[0:1], 4
	s_movk_i32 s22, 0x140
	s_movk_i32 s23, 0x150
	;; [unrolled: 1-line block ×15, first 2 shown]
	s_wait_kmcnt 0x0
	v_add3_u32 v5, s11, s11, v0
	s_ashr_i32 s5, s10, 31
	s_mov_b32 s4, s10
	s_add_nc_u64 s[0:1], s[8:9], s[0:1]
	s_lshl_b64 s[4:5], s[4:5], 4
	v_add_nc_u32_e32 v7, s11, v5
	v_ashrrev_i32_e32 v6, 31, v5
	s_add_nc_u64 s[0:1], s[0:1], s[4:5]
	s_ashr_i32 s9, s11, 31
	v_add_co_u32 v46, s4, s0, v13
	v_add_nc_u32_e32 v9, s11, v7
	v_ashrrev_i32_e32 v8, 31, v7
	s_mov_b32 s8, s11
	v_lshlrev_b64_e32 v[11:12], 4, v[5:6]
	v_add_co_ci_u32_e64 v47, null, s1, 0, s4
	v_add_nc_u32_e32 v16, s11, v9
	s_lshl_b64 s[8:9], s[8:9], 4
	v_lshlrev_b64_e32 v[14:15], 4, v[7:8]
	v_ashrrev_i32_e32 v10, 31, v9
	v_add_co_u32 v48, vcc_lo, v46, s8
	s_delay_alu instid0(VALU_DEP_1)
	v_add_co_ci_u32_e64 v49, null, s9, v47, vcc_lo
	v_add_co_u32 v50, vcc_lo, s0, v11
	v_ashrrev_i32_e32 v17, 31, v16
	v_add_nc_u32_e32 v11, s11, v16
	v_lshlrev_b64_e32 v[9:10], 4, v[9:10]
	s_wait_alu 0xfffd
	v_add_co_ci_u32_e64 v51, null, s1, v12, vcc_lo
	v_add_co_u32 v52, vcc_lo, s0, v14
	s_wait_alu 0xfffd
	v_add_co_ci_u32_e64 v53, null, s1, v15, vcc_lo
	v_lshlrev_b64_e32 v[14:15], 4, v[16:17]
	v_ashrrev_i32_e32 v12, 31, v11
	v_add_nc_u32_e32 v16, s11, v11
	v_add_co_u32 v54, vcc_lo, s0, v9
	s_wait_alu 0xfffd
	v_add_co_ci_u32_e64 v55, null, s1, v10, vcc_lo
	v_lshlrev_b64_e32 v[9:10], 4, v[11:12]
	v_ashrrev_i32_e32 v17, 31, v16
	v_add_nc_u32_e32 v11, s11, v16
	v_add_co_u32 v56, vcc_lo, s0, v14
	s_wait_alu 0xfffd
	v_add_co_ci_u32_e64 v57, null, s1, v15, vcc_lo
	v_lshlrev_b64_e32 v[14:15], 4, v[16:17]
	v_add_nc_u32_e32 v16, s11, v11
	v_ashrrev_i32_e32 v12, 31, v11
	v_add_co_u32 v58, vcc_lo, s0, v9
	s_wait_alu 0xfffd
	v_add_co_ci_u32_e64 v59, null, s1, v10, vcc_lo
	v_add_nc_u32_e32 v24, s11, v16
	v_ashrrev_i32_e32 v17, 31, v16
	v_lshlrev_b64_e32 v[22:23], 4, v[11:12]
	v_add_co_u32 v60, vcc_lo, s0, v14
	s_delay_alu instid0(VALU_DEP_4)
	v_add_nc_u32_e32 v28, s11, v24
	v_ashrrev_i32_e32 v25, 31, v24
	v_lshlrev_b64_e32 v[26:27], 4, v[16:17]
	s_clause 0x1
	global_load_b128 v[1:4], v13, s[0:1]
	global_load_b128 v[5:8], v[48:49], off
	v_add_nc_u32_e32 v32, s11, v28
	v_lshlrev_b64_e32 v[30:31], 4, v[24:25]
	global_load_b128 v[9:12], v[50:51], off
	s_wait_alu 0xfffd
	v_add_co_ci_u32_e64 v61, null, s1, v15, vcc_lo
	s_clause 0x1
	global_load_b128 v[14:17], v[52:53], off
	global_load_b128 v[18:21], v[54:55], off
	v_add_co_u32 v62, vcc_lo, s0, v22
	v_add_nc_u32_e32 v40, s11, v32
	v_ashrrev_i32_e32 v29, 31, v28
	v_ashrrev_i32_e32 v33, 31, v32
	s_wait_alu 0xfffd
	v_add_co_ci_u32_e64 v63, null, s1, v23, vcc_lo
	v_add_co_u32 v64, vcc_lo, s0, v26
	s_wait_alu 0xfffd
	v_add_co_ci_u32_e64 v65, null, s1, v27, vcc_lo
	v_add_co_u32 v66, vcc_lo, s0, v30
	v_add_nc_u32_e32 v44, s11, v40
	global_load_b128 v[22:25], v[56:57], off
	v_lshlrev_b64_e32 v[38:39], 4, v[28:29]
	s_wait_alu 0xfffd
	v_add_co_ci_u32_e64 v67, null, s1, v31, vcc_lo
	v_lshlrev_b64_e32 v[42:43], 4, v[32:33]
	s_clause 0x2
	global_load_b128 v[26:29], v[58:59], off
	global_load_b128 v[30:33], v[60:61], off
	;; [unrolled: 1-line block ×3, first 2 shown]
	v_ashrrev_i32_e32 v41, 31, v40
	v_add_nc_u32_e32 v74, s11, v44
	v_ashrrev_i32_e32 v45, 31, v44
	v_add_co_u32 v68, vcc_lo, s0, v38
	s_wait_alu 0xfffd
	v_add_co_ci_u32_e64 v69, null, s1, v39, vcc_lo
	v_lshlrev_b64_e32 v[72:73], 4, v[40:41]
	v_add_co_u32 v70, vcc_lo, s0, v42
	v_add_nc_u32_e32 v78, s11, v74
	s_wait_alu 0xfffd
	v_add_co_ci_u32_e64 v71, null, s1, v43, vcc_lo
	v_lshlrev_b64_e32 v[76:77], 4, v[44:45]
	s_clause 0x1
	global_load_b128 v[38:41], v[64:65], off
	global_load_b128 v[42:45], v[66:67], off
	v_ashrrev_i32_e32 v75, 31, v74
	v_ashrrev_i32_e32 v79, 31, v78
	v_add_co_u32 v72, vcc_lo, s0, v72
	s_wait_alu 0xfffd
	v_add_co_ci_u32_e64 v73, null, s1, v73, vcc_lo
	v_lshlrev_b64_e32 v[80:81], 4, v[74:75]
	v_add_nc_u32_e32 v82, s11, v78
	v_lshlrev_b64_e32 v[78:79], 4, v[78:79]
	global_load_b128 v[114:117], v[68:69], off
	v_add_co_u32 v74, vcc_lo, s0, v76
	s_clause 0x1
	global_load_b128 v[118:121], v[70:71], off
	global_load_b128 v[122:125], v[72:73], off
	s_wait_alu 0xfffd
	v_add_co_ci_u32_e64 v75, null, s1, v77, vcc_lo
	v_add_co_u32 v76, vcc_lo, s0, v80
	s_wait_alu 0xfffd
	v_add_co_ci_u32_e64 v77, null, s1, v81, vcc_lo
	v_add_co_u32 v78, vcc_lo, s0, v78
	v_ashrrev_i32_e32 v83, 31, v82
	s_wait_alu 0xfffd
	v_add_co_ci_u32_e64 v79, null, s1, v79, vcc_lo
	s_clause 0x2
	global_load_b128 v[126:129], v[74:75], off
	global_load_b128 v[130:133], v[76:77], off
	;; [unrolled: 1-line block ×3, first 2 shown]
	v_lshlrev_b64_e32 v[80:81], 4, v[82:83]
	v_add_nc_u32_e32 v84, s11, v82
	s_movk_i32 s4, 0x70
	s_movk_i32 s5, 0x80
	;; [unrolled: 1-line block ×4, first 2 shown]
	v_add_co_u32 v80, vcc_lo, s0, v80
	s_wait_alu 0xfffd
	v_add_co_ci_u32_e64 v81, null, s1, v81, vcc_lo
	v_add_nc_u32_e32 v86, s11, v84
	v_ashrrev_i32_e32 v85, 31, v84
	s_movk_i32 s10, 0xb0
	global_load_b128 v[138:141], v[80:81], off
	s_movk_i32 s52, 0x1c0
	v_ashrrev_i32_e32 v87, 31, v86
	v_lshlrev_b64_e32 v[82:83], 4, v[84:85]
	s_movk_i32 s53, 0x1d0
	s_movk_i32 s54, 0x1e0
	;; [unrolled: 1-line block ×3, first 2 shown]
	v_lshlrev_b64_e32 v[84:85], 4, v[86:87]
	v_add_nc_u32_e32 v86, s11, v86
	v_add_co_u32 v82, vcc_lo, s0, v82
	s_wait_alu 0xfffd
	v_add_co_ci_u32_e64 v83, null, s1, v83, vcc_lo
	s_delay_alu instid0(VALU_DEP_3)
	v_add_nc_u32_e32 v88, s11, v86
	v_ashrrev_i32_e32 v87, 31, v86
	v_add_co_u32 v84, vcc_lo, s0, v84
	s_wait_alu 0xfffd
	v_add_co_ci_u32_e64 v85, null, s1, v85, vcc_lo
	v_add_nc_u32_e32 v90, s11, v88
	v_ashrrev_i32_e32 v89, 31, v88
	v_lshlrev_b64_e32 v[86:87], 4, v[86:87]
	s_clause 0x1
	global_load_b128 v[142:145], v[82:83], off
	global_load_b128 v[146:149], v[84:85], off
	s_movk_i32 s56, 0x200
	v_add_nc_u32_e32 v92, s11, v90
	v_ashrrev_i32_e32 v91, 31, v90
	v_lshlrev_b64_e32 v[88:89], 4, v[88:89]
	v_add_co_u32 v86, vcc_lo, s0, v86
	s_delay_alu instid0(VALU_DEP_4)
	v_add_nc_u32_e32 v94, s11, v92
	v_ashrrev_i32_e32 v93, 31, v92
	v_lshlrev_b64_e32 v[90:91], 4, v[90:91]
	s_wait_alu 0xfffd
	v_add_co_ci_u32_e64 v87, null, s1, v87, vcc_lo
	v_add_nc_u32_e32 v96, s11, v94
	v_ashrrev_i32_e32 v95, 31, v94
	v_lshlrev_b64_e32 v[92:93], 4, v[92:93]
	v_add_co_u32 v88, vcc_lo, s0, v88
	s_delay_alu instid0(VALU_DEP_4)
	v_add_nc_u32_e32 v98, s11, v96
	v_ashrrev_i32_e32 v97, 31, v96
	v_lshlrev_b64_e32 v[94:95], 4, v[94:95]
	s_wait_alu 0xfffd
	v_add_co_ci_u32_e64 v89, null, s1, v89, vcc_lo
	v_add_nc_u32_e32 v100, s11, v98
	v_ashrrev_i32_e32 v99, 31, v98
	v_add_co_u32 v90, vcc_lo, s0, v90
	v_lshlrev_b64_e32 v[96:97], 4, v[96:97]
	s_delay_alu instid0(VALU_DEP_4)
	v_add_nc_u32_e32 v102, s11, v100
	v_ashrrev_i32_e32 v101, 31, v100
	s_wait_alu 0xfffd
	v_add_co_ci_u32_e64 v91, null, s1, v91, vcc_lo
	v_add_co_u32 v92, vcc_lo, s0, v92
	v_add_nc_u32_e32 v104, s11, v102
	v_ashrrev_i32_e32 v103, 31, v102
	v_lshlrev_b64_e32 v[98:99], 4, v[98:99]
	s_wait_alu 0xfffd
	v_add_co_ci_u32_e64 v93, null, s1, v93, vcc_lo
	v_add_nc_u32_e32 v106, s11, v104
	v_ashrrev_i32_e32 v105, 31, v104
	v_add_co_u32 v94, vcc_lo, s0, v94
	v_lshlrev_b64_e32 v[100:101], 4, v[100:101]
	s_delay_alu instid0(VALU_DEP_4)
	v_add_nc_u32_e32 v108, s11, v106
	v_ashrrev_i32_e32 v107, 31, v106
	s_wait_alu 0xfffd
	v_add_co_ci_u32_e64 v95, null, s1, v95, vcc_lo
	v_add_co_u32 v96, vcc_lo, s0, v96
	v_lshlrev_b64_e32 v[102:103], 4, v[102:103]
	v_add_nc_u32_e32 v110, s11, v108
	s_wait_alu 0xfffd
	v_add_co_ci_u32_e64 v97, null, s1, v97, vcc_lo
	v_add_co_u32 v98, vcc_lo, s0, v98
	v_lshlrev_b64_e32 v[104:105], 4, v[104:105]
	v_ashrrev_i32_e32 v109, 31, v108
	s_wait_alu 0xfffd
	v_add_co_ci_u32_e64 v99, null, s1, v99, vcc_lo
	v_add_co_u32 v100, vcc_lo, s0, v100
	v_lshlrev_b64_e32 v[106:107], 4, v[106:107]
	s_wait_alu 0xfffd
	v_add_co_ci_u32_e64 v101, null, s1, v101, vcc_lo
	v_add_co_u32 v102, vcc_lo, s0, v102
	v_add_nc_u32_e32 v112, s11, v110
	s_clause 0x4
	global_load_b128 v[150:153], v[86:87], off
	global_load_b128 v[154:157], v[88:89], off
	;; [unrolled: 1-line block ×5, first 2 shown]
	s_wait_alu 0xfffd
	v_add_co_ci_u32_e64 v103, null, s1, v103, vcc_lo
	v_add_co_u32 v104, vcc_lo, s0, v104
	s_wait_alu 0xfffd
	v_add_co_ci_u32_e64 v105, null, s1, v105, vcc_lo
	v_add_co_u32 v106, vcc_lo, s0, v106
	v_add_nc_u32_e32 v170, s11, v112
	s_wait_alu 0xfffd
	v_add_co_ci_u32_e64 v107, null, s1, v107, vcc_lo
	v_ashrrev_i32_e32 v111, 31, v110
	v_ashrrev_i32_e32 v113, 31, v112
	;; [unrolled: 1-line block ×3, first 2 shown]
	s_movk_i32 s57, 0x210
	s_movk_i32 s58, 0x220
	v_lshlrev_b64_e32 v[110:111], 4, v[110:111]
	s_movk_i32 s59, 0x230
	s_movk_i32 s60, 0x240
	s_add_co_i32 s25, s22, 16
	s_add_co_i32 s22, s23, 16
	;; [unrolled: 1-line block ×3, first 2 shown]
	s_wait_alu 0xfffe
	s_add_co_i32 s46, s4, 16
	s_add_co_i32 s45, s5, 16
	;; [unrolled: 1-line block ×25, first 2 shown]
	s_mov_b32 s33, 32
	s_mov_b32 s31, 48
	;; [unrolled: 1-line block ×3, first 2 shown]
	s_movk_i32 s29, 0x50
	s_wait_loadcnt 0x18
	scratch_store_b128 off, v[1:4], off offset:16
	s_wait_loadcnt 0x17
	scratch_store_b128 off, v[5:8], off offset:32
	s_clause 0x1
	global_load_b128 v[1:4], v[96:97], off
	global_load_b128 v[5:8], v[98:99], off
	s_wait_loadcnt 0x18
	scratch_store_b128 off, v[9:12], off offset:48
	s_wait_loadcnt 0x17
	scratch_store_b128 off, v[14:17], off offset:64
	;; [unrolled: 2-line block ×3, first 2 shown]
	v_lshlrev_b64_e32 v[18:19], 4, v[108:109]
	s_clause 0x1
	global_load_b128 v[9:12], v[100:101], off
	global_load_b128 v[14:17], v[102:103], off
	v_add_co_u32 v108, vcc_lo, s0, v18
	s_wait_alu 0xfffd
	v_add_co_ci_u32_e64 v109, null, s1, v19, vcc_lo
	v_add_co_u32 v110, vcc_lo, s0, v110
	s_wait_alu 0xfffd
	v_add_co_ci_u32_e64 v111, null, s1, v111, vcc_lo
	s_wait_loadcnt 0x17
	scratch_store_b128 off, v[22:25], off offset:96
	s_wait_loadcnt 0x16
	scratch_store_b128 off, v[26:29], off offset:112
	;; [unrolled: 2-line block ×3, first 2 shown]
	s_clause 0x1
	global_load_b128 v[18:21], v[104:105], off
	global_load_b128 v[22:25], v[106:107], off
	s_wait_loadcnt 0x16
	scratch_store_b128 off, v[34:37], off offset:144
	v_add_nc_u32_e32 v34, s11, v170
	v_lshlrev_b64_e32 v[36:37], 4, v[170:171]
	s_wait_loadcnt 0x15
	scratch_store_b128 off, v[38:41], off offset:160
	s_wait_loadcnt 0x14
	scratch_store_b128 off, v[42:45], off offset:176
	v_add_nc_u32_e32 v170, s11, v34
	v_lshlrev_b64_e32 v[26:27], 4, v[112:113]
	v_ashrrev_i32_e32 v35, 31, v34
	s_delay_alu instid0(VALU_DEP_3) | instskip(SKIP_1) | instid1(VALU_DEP_4)
	v_ashrrev_i32_e32 v171, 31, v170
	v_add_nc_u32_e32 v42, s11, v170
	v_add_co_u32 v112, vcc_lo, s0, v26
	s_wait_alu 0xfffd
	v_add_co_ci_u32_e64 v113, null, s1, v27, vcc_lo
	v_lshlrev_b64_e32 v[44:45], 4, v[170:171]
	v_add_nc_u32_e32 v170, s11, v42
	s_clause 0x1
	global_load_b128 v[26:29], v[108:109], off
	global_load_b128 v[30:33], v[110:111], off
	s_wait_loadcnt 0x15
	scratch_store_b128 off, v[114:117], off offset:192
	s_wait_loadcnt 0x14
	scratch_store_b128 off, v[118:121], off offset:208
	;; [unrolled: 2-line block ×3, first 2 shown]
	v_ashrrev_i32_e32 v43, 31, v42
	v_add_nc_u32_e32 v122, s11, v170
	v_lshlrev_b64_e32 v[34:35], 4, v[34:35]
	v_ashrrev_i32_e32 v171, 31, v170
	v_add_co_u32 v114, vcc_lo, s0, v36
	s_delay_alu instid0(VALU_DEP_4)
	v_ashrrev_i32_e32 v123, 31, v122
	s_wait_alu 0xfffd
	v_add_co_ci_u32_e64 v115, null, s1, v37, vcc_lo
	v_lshlrev_b64_e32 v[42:43], 4, v[42:43]
	v_add_co_u32 v116, vcc_lo, s0, v34
	v_lshlrev_b64_e32 v[124:125], 4, v[170:171]
	s_wait_alu 0xfffd
	v_add_co_ci_u32_e64 v117, null, s1, v35, vcc_lo
	s_clause 0x1
	global_load_b128 v[34:37], v[112:113], off
	global_load_b128 v[38:41], v[114:115], off
	s_wait_loadcnt 0x14
	scratch_store_b128 off, v[126:129], off offset:240
	v_add_co_u32 v118, vcc_lo, s0, v44
	s_wait_loadcnt 0x13
	scratch_store_b128 off, v[130:133], off offset:256
	s_wait_loadcnt 0x12
	scratch_store_b128 off, v[134:137], off offset:272
	v_lshlrev_b64_e32 v[134:135], 4, v[122:123]
	s_wait_alu 0xfffd
	v_add_co_ci_u32_e64 v119, null, s1, v45, vcc_lo
	v_add_co_u32 v120, vcc_lo, s0, v42
	s_wait_alu 0xfffd
	v_add_co_ci_u32_e64 v121, null, s1, v43, vcc_lo
	v_add_co_u32 v122, vcc_lo, s0, v124
	;; [unrolled: 3-line block ×3, first 2 shown]
	s_wait_alu 0xfffd
	v_add_co_ci_u32_e64 v125, null, s1, v135, vcc_lo
	s_clause 0x3
	global_load_b128 v[42:45], v[116:117], off
	global_load_b128 v[126:129], v[118:119], off
	;; [unrolled: 1-line block ×4, first 2 shown]
	s_wait_loadcnt 0x15
	scratch_store_b128 off, v[138:141], off offset:288
	global_load_b128 v[138:141], v[124:125], off
	s_movk_i32 s0, 0x50
	s_movk_i32 s1, 0x60
	s_wait_alu 0xfffe
	s_add_co_i32 s48, s0, 16
	s_movk_i32 s0, 0x250
	s_movk_i32 s11, 0xc0
	s_add_co_i32 s47, s1, 16
	s_wait_alu 0xfffe
	s_add_co_i32 s26, s0, 16
	s_movk_i32 s0, 0x260
	s_movk_i32 s1, 0x270
	s_add_co_i32 s41, s11, 16
	s_add_co_i32 s11, s53, 16
	s_wait_alu 0xfffe
	s_add_co_i32 s28, s0, 16
	s_add_co_i32 s35, s1, 16
	s_mov_b32 s1, -1
	s_bitcmp0_b32 s49, 0
	s_wait_loadcnt 0x15
	scratch_store_b128 off, v[142:145], off offset:304
	s_wait_loadcnt 0x14
	scratch_store_b128 off, v[146:149], off offset:320
	;; [unrolled: 2-line block ×22, first 2 shown]
	s_cbranch_scc1 .LBB39_172
; %bb.4:
	v_cmp_eq_u32_e64 s0, 0, v0
	s_and_saveexec_b32 s1, s0
; %bb.5:
	v_mov_b32_e32 v1, 0
	ds_store_b32 v1, v1 offset:1280
; %bb.6:
	s_wait_alu 0xfffe
	s_or_b32 exec_lo, exec_lo, s1
	s_wait_storecnt_dscnt 0x0
	s_barrier_signal -1
	s_barrier_wait -1
	global_inv scope:SCOPE_SE
	scratch_load_b128 v[1:4], v13, off offset:16
	s_wait_loadcnt 0x0
	v_cmp_eq_f64_e32 vcc_lo, 0, v[1:2]
	v_cmp_eq_f64_e64 s1, 0, v[3:4]
	s_and_b32 s1, vcc_lo, s1
	s_wait_alu 0xfffe
	s_and_saveexec_b32 s49, s1
	s_cbranch_execz .LBB39_10
; %bb.7:
	v_mov_b32_e32 v1, 0
	s_mov_b32 s50, 0
	ds_load_b32 v2, v1 offset:1280
	s_wait_dscnt 0x0
	v_readfirstlane_b32 s1, v2
	v_add_nc_u32_e32 v2, 1, v0
	s_cmp_eq_u32 s1, 0
	s_delay_alu instid0(VALU_DEP_1) | instskip(SKIP_1) | instid1(SALU_CYCLE_1)
	v_cmp_gt_i32_e32 vcc_lo, s1, v2
	s_cselect_b32 s51, -1, 0
	s_or_b32 s51, s51, vcc_lo
	s_delay_alu instid0(SALU_CYCLE_1)
	s_and_b32 exec_lo, exec_lo, s51
	s_cbranch_execz .LBB39_10
; %bb.8:
	v_mov_b32_e32 v3, s1
.LBB39_9:                               ; =>This Inner Loop Header: Depth=1
	ds_cmpstore_rtn_b32 v3, v1, v2, v3 offset:1280
	s_wait_dscnt 0x0
	v_cmp_ne_u32_e32 vcc_lo, 0, v3
	v_cmp_le_i32_e64 s1, v3, v2
	s_and_b32 s1, vcc_lo, s1
	s_wait_alu 0xfffe
	s_and_b32 s1, exec_lo, s1
	s_wait_alu 0xfffe
	s_or_b32 s50, s1, s50
	s_delay_alu instid0(SALU_CYCLE_1)
	s_and_not1_b32 exec_lo, exec_lo, s50
	s_cbranch_execnz .LBB39_9
.LBB39_10:
	s_or_b32 exec_lo, exec_lo, s49
	v_mov_b32_e32 v1, 0
	s_barrier_signal -1
	s_barrier_wait -1
	global_inv scope:SCOPE_SE
	ds_load_b32 v2, v1 offset:1280
	s_and_saveexec_b32 s1, s0
	s_cbranch_execz .LBB39_12
; %bb.11:
	s_lshl_b64 s[50:51], s[16:17], 2
	s_delay_alu instid0(SALU_CYCLE_1)
	s_add_nc_u64 s[50:51], s[6:7], s[50:51]
	s_wait_dscnt 0x0
	global_store_b32 v1, v2, s[50:51]
.LBB39_12:
	s_wait_alu 0xfffe
	s_or_b32 exec_lo, exec_lo, s1
	s_wait_dscnt 0x0
	v_cmp_ne_u32_e32 vcc_lo, 0, v2
	s_mov_b32 s1, 0
	s_cbranch_vccnz .LBB39_172
; %bb.13:
	v_add_nc_u32_e32 v14, 16, v13
                                        ; implicit-def: $vgpr1_vgpr2
                                        ; implicit-def: $vgpr9_vgpr10
	scratch_load_b128 v[5:8], v14, off
	s_wait_loadcnt 0x0
	v_cmp_ngt_f64_e64 s1, |v[5:6]|, |v[7:8]|
	s_wait_alu 0xfffe
	s_and_saveexec_b32 s49, s1
	s_delay_alu instid0(SALU_CYCLE_1)
	s_xor_b32 s1, exec_lo, s49
	s_cbranch_execz .LBB39_15
; %bb.14:
	v_div_scale_f64 v[1:2], null, v[7:8], v[7:8], v[5:6]
	v_div_scale_f64 v[11:12], vcc_lo, v[5:6], v[7:8], v[5:6]
	s_delay_alu instid0(VALU_DEP_2) | instskip(NEXT) | instid1(TRANS32_DEP_1)
	v_rcp_f64_e32 v[3:4], v[1:2]
	v_fma_f64 v[9:10], -v[1:2], v[3:4], 1.0
	s_delay_alu instid0(VALU_DEP_1) | instskip(NEXT) | instid1(VALU_DEP_1)
	v_fma_f64 v[3:4], v[3:4], v[9:10], v[3:4]
	v_fma_f64 v[9:10], -v[1:2], v[3:4], 1.0
	s_delay_alu instid0(VALU_DEP_1) | instskip(NEXT) | instid1(VALU_DEP_1)
	v_fma_f64 v[3:4], v[3:4], v[9:10], v[3:4]
	v_mul_f64_e32 v[9:10], v[11:12], v[3:4]
	s_delay_alu instid0(VALU_DEP_1) | instskip(SKIP_1) | instid1(VALU_DEP_1)
	v_fma_f64 v[1:2], -v[1:2], v[9:10], v[11:12]
	s_wait_alu 0xfffd
	v_div_fmas_f64 v[1:2], v[1:2], v[3:4], v[9:10]
	s_delay_alu instid0(VALU_DEP_1) | instskip(NEXT) | instid1(VALU_DEP_1)
	v_div_fixup_f64 v[1:2], v[1:2], v[7:8], v[5:6]
	v_fma_f64 v[3:4], v[5:6], v[1:2], v[7:8]
	s_delay_alu instid0(VALU_DEP_1) | instskip(SKIP_1) | instid1(VALU_DEP_2)
	v_div_scale_f64 v[5:6], null, v[3:4], v[3:4], 1.0
	v_div_scale_f64 v[11:12], vcc_lo, 1.0, v[3:4], 1.0
	v_rcp_f64_e32 v[7:8], v[5:6]
	s_delay_alu instid0(TRANS32_DEP_1) | instskip(NEXT) | instid1(VALU_DEP_1)
	v_fma_f64 v[9:10], -v[5:6], v[7:8], 1.0
	v_fma_f64 v[7:8], v[7:8], v[9:10], v[7:8]
	s_delay_alu instid0(VALU_DEP_1) | instskip(NEXT) | instid1(VALU_DEP_1)
	v_fma_f64 v[9:10], -v[5:6], v[7:8], 1.0
	v_fma_f64 v[7:8], v[7:8], v[9:10], v[7:8]
	s_delay_alu instid0(VALU_DEP_1) | instskip(NEXT) | instid1(VALU_DEP_1)
	v_mul_f64_e32 v[9:10], v[11:12], v[7:8]
	v_fma_f64 v[5:6], -v[5:6], v[9:10], v[11:12]
	s_wait_alu 0xfffd
	s_delay_alu instid0(VALU_DEP_1) | instskip(NEXT) | instid1(VALU_DEP_1)
	v_div_fmas_f64 v[5:6], v[5:6], v[7:8], v[9:10]
	v_div_fixup_f64 v[3:4], v[5:6], v[3:4], 1.0
                                        ; implicit-def: $vgpr5_vgpr6
	s_delay_alu instid0(VALU_DEP_1) | instskip(SKIP_1) | instid1(VALU_DEP_2)
	v_mul_f64_e32 v[1:2], v[1:2], v[3:4]
	v_xor_b32_e32 v4, 0x80000000, v4
	v_xor_b32_e32 v10, 0x80000000, v2
	s_delay_alu instid0(VALU_DEP_3)
	v_mov_b32_e32 v9, v1
.LBB39_15:
	s_wait_alu 0xfffe
	s_and_not1_saveexec_b32 s1, s1
	s_cbranch_execz .LBB39_17
; %bb.16:
	v_div_scale_f64 v[1:2], null, v[5:6], v[5:6], v[7:8]
	v_div_scale_f64 v[11:12], vcc_lo, v[7:8], v[5:6], v[7:8]
	s_delay_alu instid0(VALU_DEP_2) | instskip(NEXT) | instid1(TRANS32_DEP_1)
	v_rcp_f64_e32 v[3:4], v[1:2]
	v_fma_f64 v[9:10], -v[1:2], v[3:4], 1.0
	s_delay_alu instid0(VALU_DEP_1) | instskip(NEXT) | instid1(VALU_DEP_1)
	v_fma_f64 v[3:4], v[3:4], v[9:10], v[3:4]
	v_fma_f64 v[9:10], -v[1:2], v[3:4], 1.0
	s_delay_alu instid0(VALU_DEP_1) | instskip(NEXT) | instid1(VALU_DEP_1)
	v_fma_f64 v[3:4], v[3:4], v[9:10], v[3:4]
	v_mul_f64_e32 v[9:10], v[11:12], v[3:4]
	s_delay_alu instid0(VALU_DEP_1) | instskip(SKIP_1) | instid1(VALU_DEP_1)
	v_fma_f64 v[1:2], -v[1:2], v[9:10], v[11:12]
	s_wait_alu 0xfffd
	v_div_fmas_f64 v[1:2], v[1:2], v[3:4], v[9:10]
	s_delay_alu instid0(VALU_DEP_1) | instskip(NEXT) | instid1(VALU_DEP_1)
	v_div_fixup_f64 v[3:4], v[1:2], v[5:6], v[7:8]
	v_fma_f64 v[1:2], v[7:8], v[3:4], v[5:6]
	s_delay_alu instid0(VALU_DEP_1) | instskip(NEXT) | instid1(VALU_DEP_1)
	v_div_scale_f64 v[5:6], null, v[1:2], v[1:2], 1.0
	v_rcp_f64_e32 v[7:8], v[5:6]
	s_delay_alu instid0(TRANS32_DEP_1) | instskip(NEXT) | instid1(VALU_DEP_1)
	v_fma_f64 v[9:10], -v[5:6], v[7:8], 1.0
	v_fma_f64 v[7:8], v[7:8], v[9:10], v[7:8]
	s_delay_alu instid0(VALU_DEP_1) | instskip(NEXT) | instid1(VALU_DEP_1)
	v_fma_f64 v[9:10], -v[5:6], v[7:8], 1.0
	v_fma_f64 v[7:8], v[7:8], v[9:10], v[7:8]
	v_div_scale_f64 v[9:10], vcc_lo, 1.0, v[1:2], 1.0
	s_delay_alu instid0(VALU_DEP_1) | instskip(NEXT) | instid1(VALU_DEP_1)
	v_mul_f64_e32 v[11:12], v[9:10], v[7:8]
	v_fma_f64 v[5:6], -v[5:6], v[11:12], v[9:10]
	s_wait_alu 0xfffd
	s_delay_alu instid0(VALU_DEP_1) | instskip(NEXT) | instid1(VALU_DEP_1)
	v_div_fmas_f64 v[5:6], v[5:6], v[7:8], v[11:12]
	v_div_fixup_f64 v[1:2], v[5:6], v[1:2], 1.0
	s_delay_alu instid0(VALU_DEP_1)
	v_mul_f64_e64 v[3:4], v[3:4], -v[1:2]
	v_xor_b32_e32 v10, 0x80000000, v2
	v_mov_b32_e32 v9, v1
.LBB39_17:
	s_wait_alu 0xfffe
	s_or_b32 exec_lo, exec_lo, s1
	scratch_store_b128 v14, v[1:4], off
	scratch_load_b128 v[15:18], off, s33
	v_xor_b32_e32 v12, 0x80000000, v4
	v_mov_b32_e32 v11, v3
	v_add_nc_u32_e32 v5, 0x280, v13
	ds_store_b128 v13, v[9:12]
	s_wait_loadcnt 0x0
	ds_store_b128 v13, v[15:18] offset:640
	s_wait_storecnt_dscnt 0x0
	s_barrier_signal -1
	s_barrier_wait -1
	global_inv scope:SCOPE_SE
	s_and_saveexec_b32 s1, s0
	s_cbranch_execz .LBB39_19
; %bb.18:
	scratch_load_b128 v[1:4], v14, off
	ds_load_b128 v[6:9], v5
	v_mov_b32_e32 v10, 0
	ds_load_b128 v[15:18], v10 offset:16
	s_wait_loadcnt_dscnt 0x1
	v_mul_f64_e32 v[10:11], v[6:7], v[3:4]
	v_mul_f64_e32 v[3:4], v[8:9], v[3:4]
	s_delay_alu instid0(VALU_DEP_2) | instskip(NEXT) | instid1(VALU_DEP_2)
	v_fma_f64 v[8:9], v[8:9], v[1:2], v[10:11]
	v_fma_f64 v[1:2], v[6:7], v[1:2], -v[3:4]
	s_delay_alu instid0(VALU_DEP_2) | instskip(NEXT) | instid1(VALU_DEP_2)
	v_add_f64_e32 v[3:4], 0, v[8:9]
	v_add_f64_e32 v[1:2], 0, v[1:2]
	s_wait_dscnt 0x0
	s_delay_alu instid0(VALU_DEP_2) | instskip(NEXT) | instid1(VALU_DEP_2)
	v_mul_f64_e32 v[6:7], v[3:4], v[17:18]
	v_mul_f64_e32 v[8:9], v[1:2], v[17:18]
	s_delay_alu instid0(VALU_DEP_2) | instskip(NEXT) | instid1(VALU_DEP_2)
	v_fma_f64 v[1:2], v[1:2], v[15:16], -v[6:7]
	v_fma_f64 v[3:4], v[3:4], v[15:16], v[8:9]
	scratch_store_b128 off, v[1:4], off offset:32
.LBB39_19:
	s_wait_alu 0xfffe
	s_or_b32 exec_lo, exec_lo, s1
	s_wait_loadcnt 0x0
	s_wait_storecnt 0x0
	s_barrier_signal -1
	s_barrier_wait -1
	global_inv scope:SCOPE_SE
	scratch_load_b128 v[1:4], off, s31
	s_mov_b32 s1, exec_lo
	s_wait_loadcnt 0x0
	ds_store_b128 v5, v[1:4]
	s_wait_dscnt 0x0
	s_barrier_signal -1
	s_barrier_wait -1
	global_inv scope:SCOPE_SE
	v_cmpx_gt_u32_e32 2, v0
	s_cbranch_execz .LBB39_23
; %bb.20:
	scratch_load_b128 v[1:4], v14, off
	ds_load_b128 v[6:9], v5
	s_wait_loadcnt_dscnt 0x0
	v_mul_f64_e32 v[10:11], v[8:9], v[3:4]
	v_mul_f64_e32 v[3:4], v[6:7], v[3:4]
	s_delay_alu instid0(VALU_DEP_2) | instskip(NEXT) | instid1(VALU_DEP_2)
	v_fma_f64 v[6:7], v[6:7], v[1:2], -v[10:11]
	v_fma_f64 v[3:4], v[8:9], v[1:2], v[3:4]
	s_delay_alu instid0(VALU_DEP_2) | instskip(NEXT) | instid1(VALU_DEP_2)
	v_add_f64_e32 v[1:2], 0, v[6:7]
	v_add_f64_e32 v[3:4], 0, v[3:4]
	s_and_saveexec_b32 s49, s0
	s_cbranch_execz .LBB39_22
; %bb.21:
	scratch_load_b128 v[6:9], off, off offset:32
	v_mov_b32_e32 v10, 0
	ds_load_b128 v[15:18], v10 offset:656
	s_wait_loadcnt_dscnt 0x0
	v_mul_f64_e32 v[10:11], v[15:16], v[8:9]
	v_mul_f64_e32 v[8:9], v[17:18], v[8:9]
	s_delay_alu instid0(VALU_DEP_2) | instskip(NEXT) | instid1(VALU_DEP_2)
	v_fma_f64 v[10:11], v[17:18], v[6:7], v[10:11]
	v_fma_f64 v[6:7], v[15:16], v[6:7], -v[8:9]
	s_delay_alu instid0(VALU_DEP_2) | instskip(NEXT) | instid1(VALU_DEP_2)
	v_add_f64_e32 v[3:4], v[3:4], v[10:11]
	v_add_f64_e32 v[1:2], v[1:2], v[6:7]
.LBB39_22:
	s_or_b32 exec_lo, exec_lo, s49
	v_mov_b32_e32 v6, 0
	ds_load_b128 v[6:9], v6 offset:32
	s_wait_dscnt 0x0
	v_mul_f64_e32 v[10:11], v[3:4], v[8:9]
	v_mul_f64_e32 v[8:9], v[1:2], v[8:9]
	s_delay_alu instid0(VALU_DEP_2) | instskip(NEXT) | instid1(VALU_DEP_2)
	v_fma_f64 v[1:2], v[1:2], v[6:7], -v[10:11]
	v_fma_f64 v[3:4], v[3:4], v[6:7], v[8:9]
	scratch_store_b128 off, v[1:4], off offset:48
.LBB39_23:
	s_wait_alu 0xfffe
	s_or_b32 exec_lo, exec_lo, s1
	s_wait_loadcnt 0x0
	s_wait_storecnt 0x0
	s_barrier_signal -1
	s_barrier_wait -1
	global_inv scope:SCOPE_SE
	scratch_load_b128 v[1:4], off, s30
	v_add_nc_u32_e32 v6, -1, v0
	s_mov_b32 s0, exec_lo
	s_wait_loadcnt 0x0
	ds_store_b128 v5, v[1:4]
	s_wait_dscnt 0x0
	s_barrier_signal -1
	s_barrier_wait -1
	global_inv scope:SCOPE_SE
	v_cmpx_gt_u32_e32 3, v0
	s_cbranch_execz .LBB39_27
; %bb.24:
	v_dual_mov_b32 v1, 0 :: v_dual_add_nc_u32 v8, 0x280, v13
	v_mov_b32_e32 v3, 0
	v_dual_mov_b32 v2, 0 :: v_dual_add_nc_u32 v7, -1, v0
	v_mov_b32_e32 v4, 0
	v_or_b32_e32 v9, 8, v14
	s_mov_b32 s1, 0
.LBB39_25:                              ; =>This Inner Loop Header: Depth=1
	scratch_load_b128 v[15:18], v9, off offset:-8
	ds_load_b128 v[19:22], v8
	v_add_nc_u32_e32 v7, 1, v7
	v_add_nc_u32_e32 v8, 16, v8
	v_add_nc_u32_e32 v9, 16, v9
	s_delay_alu instid0(VALU_DEP_3)
	v_cmp_lt_u32_e32 vcc_lo, 1, v7
	s_wait_alu 0xfffe
	s_or_b32 s1, vcc_lo, s1
	s_wait_loadcnt_dscnt 0x0
	v_mul_f64_e32 v[10:11], v[21:22], v[17:18]
	v_mul_f64_e32 v[17:18], v[19:20], v[17:18]
	s_delay_alu instid0(VALU_DEP_2) | instskip(NEXT) | instid1(VALU_DEP_2)
	v_fma_f64 v[10:11], v[19:20], v[15:16], -v[10:11]
	v_fma_f64 v[15:16], v[21:22], v[15:16], v[17:18]
	s_delay_alu instid0(VALU_DEP_2) | instskip(NEXT) | instid1(VALU_DEP_2)
	v_add_f64_e32 v[3:4], v[3:4], v[10:11]
	v_add_f64_e32 v[1:2], v[1:2], v[15:16]
	s_wait_alu 0xfffe
	s_and_not1_b32 exec_lo, exec_lo, s1
	s_cbranch_execnz .LBB39_25
; %bb.26:
	s_or_b32 exec_lo, exec_lo, s1
	v_mov_b32_e32 v7, 0
	ds_load_b128 v[7:10], v7 offset:48
	s_wait_dscnt 0x0
	v_mul_f64_e32 v[11:12], v[1:2], v[9:10]
	v_mul_f64_e32 v[15:16], v[3:4], v[9:10]
	s_delay_alu instid0(VALU_DEP_2) | instskip(NEXT) | instid1(VALU_DEP_2)
	v_fma_f64 v[9:10], v[3:4], v[7:8], -v[11:12]
	v_fma_f64 v[11:12], v[1:2], v[7:8], v[15:16]
	scratch_store_b128 off, v[9:12], off offset:64
.LBB39_27:
	s_wait_alu 0xfffe
	s_or_b32 exec_lo, exec_lo, s0
	s_wait_loadcnt 0x0
	s_wait_storecnt 0x0
	s_barrier_signal -1
	s_barrier_wait -1
	global_inv scope:SCOPE_SE
	scratch_load_b128 v[1:4], off, s29
	s_mov_b32 s0, exec_lo
	s_wait_loadcnt 0x0
	ds_store_b128 v5, v[1:4]
	s_wait_dscnt 0x0
	s_barrier_signal -1
	s_barrier_wait -1
	global_inv scope:SCOPE_SE
	v_cmpx_gt_u32_e32 4, v0
	s_cbranch_execz .LBB39_31
; %bb.28:
	v_dual_mov_b32 v1, 0 :: v_dual_add_nc_u32 v8, 0x280, v13
	v_mov_b32_e32 v3, 0
	v_dual_mov_b32 v2, 0 :: v_dual_add_nc_u32 v7, -1, v0
	v_mov_b32_e32 v4, 0
	v_or_b32_e32 v9, 8, v14
	s_mov_b32 s1, 0
.LBB39_29:                              ; =>This Inner Loop Header: Depth=1
	scratch_load_b128 v[15:18], v9, off offset:-8
	ds_load_b128 v[19:22], v8
	v_add_nc_u32_e32 v7, 1, v7
	v_add_nc_u32_e32 v8, 16, v8
	v_add_nc_u32_e32 v9, 16, v9
	s_delay_alu instid0(VALU_DEP_3)
	v_cmp_lt_u32_e32 vcc_lo, 2, v7
	s_wait_alu 0xfffe
	s_or_b32 s1, vcc_lo, s1
	s_wait_loadcnt_dscnt 0x0
	v_mul_f64_e32 v[10:11], v[21:22], v[17:18]
	v_mul_f64_e32 v[17:18], v[19:20], v[17:18]
	s_delay_alu instid0(VALU_DEP_2) | instskip(NEXT) | instid1(VALU_DEP_2)
	v_fma_f64 v[10:11], v[19:20], v[15:16], -v[10:11]
	v_fma_f64 v[15:16], v[21:22], v[15:16], v[17:18]
	s_delay_alu instid0(VALU_DEP_2) | instskip(NEXT) | instid1(VALU_DEP_2)
	v_add_f64_e32 v[3:4], v[3:4], v[10:11]
	v_add_f64_e32 v[1:2], v[1:2], v[15:16]
	s_wait_alu 0xfffe
	s_and_not1_b32 exec_lo, exec_lo, s1
	s_cbranch_execnz .LBB39_29
; %bb.30:
	s_or_b32 exec_lo, exec_lo, s1
	v_mov_b32_e32 v7, 0
	ds_load_b128 v[7:10], v7 offset:64
	s_wait_dscnt 0x0
	v_mul_f64_e32 v[11:12], v[1:2], v[9:10]
	v_mul_f64_e32 v[15:16], v[3:4], v[9:10]
	s_delay_alu instid0(VALU_DEP_2) | instskip(NEXT) | instid1(VALU_DEP_2)
	v_fma_f64 v[9:10], v[3:4], v[7:8], -v[11:12]
	v_fma_f64 v[11:12], v[1:2], v[7:8], v[15:16]
	scratch_store_b128 off, v[9:12], off offset:80
.LBB39_31:
	s_wait_alu 0xfffe
	s_or_b32 exec_lo, exec_lo, s0
	s_wait_loadcnt 0x0
	s_wait_storecnt 0x0
	s_barrier_signal -1
	s_barrier_wait -1
	global_inv scope:SCOPE_SE
	scratch_load_b128 v[1:4], off, s48
	;; [unrolled: 58-line block ×19, first 2 shown]
	s_mov_b32 s0, exec_lo
	s_wait_loadcnt 0x0
	ds_store_b128 v5, v[1:4]
	s_wait_dscnt 0x0
	s_barrier_signal -1
	s_barrier_wait -1
	global_inv scope:SCOPE_SE
	v_cmpx_gt_u32_e32 22, v0
	s_cbranch_execz .LBB39_103
; %bb.100:
	v_dual_mov_b32 v1, 0 :: v_dual_add_nc_u32 v8, 0x280, v13
	v_mov_b32_e32 v3, 0
	v_dual_mov_b32 v2, 0 :: v_dual_add_nc_u32 v7, -1, v0
	v_mov_b32_e32 v4, 0
	v_or_b32_e32 v9, 8, v14
	s_mov_b32 s1, 0
.LBB39_101:                             ; =>This Inner Loop Header: Depth=1
	scratch_load_b128 v[15:18], v9, off offset:-8
	ds_load_b128 v[19:22], v8
	v_add_nc_u32_e32 v7, 1, v7
	v_add_nc_u32_e32 v8, 16, v8
	v_add_nc_u32_e32 v9, 16, v9
	s_delay_alu instid0(VALU_DEP_3)
	v_cmp_lt_u32_e32 vcc_lo, 20, v7
	s_wait_alu 0xfffe
	s_or_b32 s1, vcc_lo, s1
	s_wait_loadcnt_dscnt 0x0
	v_mul_f64_e32 v[10:11], v[21:22], v[17:18]
	v_mul_f64_e32 v[17:18], v[19:20], v[17:18]
	s_delay_alu instid0(VALU_DEP_2) | instskip(NEXT) | instid1(VALU_DEP_2)
	v_fma_f64 v[10:11], v[19:20], v[15:16], -v[10:11]
	v_fma_f64 v[15:16], v[21:22], v[15:16], v[17:18]
	s_delay_alu instid0(VALU_DEP_2) | instskip(NEXT) | instid1(VALU_DEP_2)
	v_add_f64_e32 v[3:4], v[3:4], v[10:11]
	v_add_f64_e32 v[1:2], v[1:2], v[15:16]
	s_wait_alu 0xfffe
	s_and_not1_b32 exec_lo, exec_lo, s1
	s_cbranch_execnz .LBB39_101
; %bb.102:
	s_or_b32 exec_lo, exec_lo, s1
	v_mov_b32_e32 v7, 0
	ds_load_b128 v[7:10], v7 offset:352
	s_wait_dscnt 0x0
	v_mul_f64_e32 v[11:12], v[1:2], v[9:10]
	v_mul_f64_e32 v[15:16], v[3:4], v[9:10]
	s_delay_alu instid0(VALU_DEP_2) | instskip(NEXT) | instid1(VALU_DEP_2)
	v_fma_f64 v[9:10], v[3:4], v[7:8], -v[11:12]
	v_fma_f64 v[11:12], v[1:2], v[7:8], v[15:16]
	scratch_store_b128 off, v[9:12], off offset:368
.LBB39_103:
	s_wait_alu 0xfffe
	s_or_b32 exec_lo, exec_lo, s0
	s_wait_loadcnt 0x0
	s_wait_storecnt 0x0
	s_barrier_signal -1
	s_barrier_wait -1
	global_inv scope:SCOPE_SE
	scratch_load_b128 v[1:4], off, s20
	s_mov_b32 s0, exec_lo
	s_wait_loadcnt 0x0
	ds_store_b128 v5, v[1:4]
	s_wait_dscnt 0x0
	s_barrier_signal -1
	s_barrier_wait -1
	global_inv scope:SCOPE_SE
	v_cmpx_gt_u32_e32 23, v0
	s_cbranch_execz .LBB39_107
; %bb.104:
	v_dual_mov_b32 v1, 0 :: v_dual_add_nc_u32 v8, 0x280, v13
	v_mov_b32_e32 v3, 0
	v_dual_mov_b32 v2, 0 :: v_dual_add_nc_u32 v7, -1, v0
	v_mov_b32_e32 v4, 0
	v_or_b32_e32 v9, 8, v14
	s_mov_b32 s1, 0
.LBB39_105:                             ; =>This Inner Loop Header: Depth=1
	scratch_load_b128 v[15:18], v9, off offset:-8
	ds_load_b128 v[19:22], v8
	v_add_nc_u32_e32 v7, 1, v7
	v_add_nc_u32_e32 v8, 16, v8
	v_add_nc_u32_e32 v9, 16, v9
	s_delay_alu instid0(VALU_DEP_3)
	v_cmp_lt_u32_e32 vcc_lo, 21, v7
	s_wait_alu 0xfffe
	s_or_b32 s1, vcc_lo, s1
	s_wait_loadcnt_dscnt 0x0
	v_mul_f64_e32 v[10:11], v[21:22], v[17:18]
	v_mul_f64_e32 v[17:18], v[19:20], v[17:18]
	s_delay_alu instid0(VALU_DEP_2) | instskip(NEXT) | instid1(VALU_DEP_2)
	v_fma_f64 v[10:11], v[19:20], v[15:16], -v[10:11]
	v_fma_f64 v[15:16], v[21:22], v[15:16], v[17:18]
	s_delay_alu instid0(VALU_DEP_2) | instskip(NEXT) | instid1(VALU_DEP_2)
	v_add_f64_e32 v[3:4], v[3:4], v[10:11]
	v_add_f64_e32 v[1:2], v[1:2], v[15:16]
	s_wait_alu 0xfffe
	s_and_not1_b32 exec_lo, exec_lo, s1
	s_cbranch_execnz .LBB39_105
; %bb.106:
	s_or_b32 exec_lo, exec_lo, s1
	v_mov_b32_e32 v7, 0
	ds_load_b128 v[7:10], v7 offset:368
	s_wait_dscnt 0x0
	v_mul_f64_e32 v[11:12], v[1:2], v[9:10]
	v_mul_f64_e32 v[15:16], v[3:4], v[9:10]
	s_delay_alu instid0(VALU_DEP_2) | instskip(NEXT) | instid1(VALU_DEP_2)
	v_fma_f64 v[9:10], v[3:4], v[7:8], -v[11:12]
	v_fma_f64 v[11:12], v[1:2], v[7:8], v[15:16]
	scratch_store_b128 off, v[9:12], off offset:384
.LBB39_107:
	s_wait_alu 0xfffe
	s_or_b32 exec_lo, exec_lo, s0
	s_wait_loadcnt 0x0
	s_wait_storecnt 0x0
	s_barrier_signal -1
	s_barrier_wait -1
	global_inv scope:SCOPE_SE
	scratch_load_b128 v[1:4], off, s21
	s_mov_b32 s0, exec_lo
	s_wait_loadcnt 0x0
	ds_store_b128 v5, v[1:4]
	s_wait_dscnt 0x0
	s_barrier_signal -1
	s_barrier_wait -1
	global_inv scope:SCOPE_SE
	v_cmpx_gt_u32_e32 24, v0
	s_cbranch_execz .LBB39_111
; %bb.108:
	v_dual_mov_b32 v1, 0 :: v_dual_add_nc_u32 v8, 0x280, v13
	v_mov_b32_e32 v3, 0
	v_dual_mov_b32 v2, 0 :: v_dual_add_nc_u32 v7, -1, v0
	v_mov_b32_e32 v4, 0
	v_or_b32_e32 v9, 8, v14
	s_mov_b32 s1, 0
.LBB39_109:                             ; =>This Inner Loop Header: Depth=1
	scratch_load_b128 v[15:18], v9, off offset:-8
	ds_load_b128 v[19:22], v8
	v_add_nc_u32_e32 v7, 1, v7
	v_add_nc_u32_e32 v8, 16, v8
	v_add_nc_u32_e32 v9, 16, v9
	s_delay_alu instid0(VALU_DEP_3)
	v_cmp_lt_u32_e32 vcc_lo, 22, v7
	s_wait_alu 0xfffe
	s_or_b32 s1, vcc_lo, s1
	s_wait_loadcnt_dscnt 0x0
	v_mul_f64_e32 v[10:11], v[21:22], v[17:18]
	v_mul_f64_e32 v[17:18], v[19:20], v[17:18]
	s_delay_alu instid0(VALU_DEP_2) | instskip(NEXT) | instid1(VALU_DEP_2)
	v_fma_f64 v[10:11], v[19:20], v[15:16], -v[10:11]
	v_fma_f64 v[15:16], v[21:22], v[15:16], v[17:18]
	s_delay_alu instid0(VALU_DEP_2) | instskip(NEXT) | instid1(VALU_DEP_2)
	v_add_f64_e32 v[3:4], v[3:4], v[10:11]
	v_add_f64_e32 v[1:2], v[1:2], v[15:16]
	s_wait_alu 0xfffe
	s_and_not1_b32 exec_lo, exec_lo, s1
	s_cbranch_execnz .LBB39_109
; %bb.110:
	s_or_b32 exec_lo, exec_lo, s1
	v_mov_b32_e32 v7, 0
	ds_load_b128 v[7:10], v7 offset:384
	s_wait_dscnt 0x0
	v_mul_f64_e32 v[11:12], v[1:2], v[9:10]
	v_mul_f64_e32 v[15:16], v[3:4], v[9:10]
	s_delay_alu instid0(VALU_DEP_2) | instskip(NEXT) | instid1(VALU_DEP_2)
	v_fma_f64 v[9:10], v[3:4], v[7:8], -v[11:12]
	v_fma_f64 v[11:12], v[1:2], v[7:8], v[15:16]
	scratch_store_b128 off, v[9:12], off offset:400
.LBB39_111:
	s_wait_alu 0xfffe
	s_or_b32 exec_lo, exec_lo, s0
	s_wait_loadcnt 0x0
	s_wait_storecnt 0x0
	s_barrier_signal -1
	s_barrier_wait -1
	global_inv scope:SCOPE_SE
	scratch_load_b128 v[1:4], off, s15
	s_mov_b32 s0, exec_lo
	s_wait_loadcnt 0x0
	ds_store_b128 v5, v[1:4]
	s_wait_dscnt 0x0
	s_barrier_signal -1
	s_barrier_wait -1
	global_inv scope:SCOPE_SE
	v_cmpx_gt_u32_e32 25, v0
	s_cbranch_execz .LBB39_115
; %bb.112:
	v_dual_mov_b32 v1, 0 :: v_dual_add_nc_u32 v8, 0x280, v13
	v_mov_b32_e32 v3, 0
	v_dual_mov_b32 v2, 0 :: v_dual_add_nc_u32 v7, -1, v0
	v_mov_b32_e32 v4, 0
	v_or_b32_e32 v9, 8, v14
	s_mov_b32 s1, 0
.LBB39_113:                             ; =>This Inner Loop Header: Depth=1
	scratch_load_b128 v[15:18], v9, off offset:-8
	ds_load_b128 v[19:22], v8
	v_add_nc_u32_e32 v7, 1, v7
	v_add_nc_u32_e32 v8, 16, v8
	v_add_nc_u32_e32 v9, 16, v9
	s_delay_alu instid0(VALU_DEP_3)
	v_cmp_lt_u32_e32 vcc_lo, 23, v7
	s_wait_alu 0xfffe
	s_or_b32 s1, vcc_lo, s1
	s_wait_loadcnt_dscnt 0x0
	v_mul_f64_e32 v[10:11], v[21:22], v[17:18]
	v_mul_f64_e32 v[17:18], v[19:20], v[17:18]
	s_delay_alu instid0(VALU_DEP_2) | instskip(NEXT) | instid1(VALU_DEP_2)
	v_fma_f64 v[10:11], v[19:20], v[15:16], -v[10:11]
	v_fma_f64 v[15:16], v[21:22], v[15:16], v[17:18]
	s_delay_alu instid0(VALU_DEP_2) | instskip(NEXT) | instid1(VALU_DEP_2)
	v_add_f64_e32 v[3:4], v[3:4], v[10:11]
	v_add_f64_e32 v[1:2], v[1:2], v[15:16]
	s_wait_alu 0xfffe
	s_and_not1_b32 exec_lo, exec_lo, s1
	s_cbranch_execnz .LBB39_113
; %bb.114:
	s_or_b32 exec_lo, exec_lo, s1
	v_mov_b32_e32 v7, 0
	ds_load_b128 v[7:10], v7 offset:400
	s_wait_dscnt 0x0
	v_mul_f64_e32 v[11:12], v[1:2], v[9:10]
	v_mul_f64_e32 v[15:16], v[3:4], v[9:10]
	s_delay_alu instid0(VALU_DEP_2) | instskip(NEXT) | instid1(VALU_DEP_2)
	v_fma_f64 v[9:10], v[3:4], v[7:8], -v[11:12]
	v_fma_f64 v[11:12], v[1:2], v[7:8], v[15:16]
	scratch_store_b128 off, v[9:12], off offset:416
.LBB39_115:
	s_wait_alu 0xfffe
	s_or_b32 exec_lo, exec_lo, s0
	s_wait_loadcnt 0x0
	s_wait_storecnt 0x0
	s_barrier_signal -1
	s_barrier_wait -1
	global_inv scope:SCOPE_SE
	scratch_load_b128 v[1:4], off, s19
	s_mov_b32 s0, exec_lo
	s_wait_loadcnt 0x0
	ds_store_b128 v5, v[1:4]
	s_wait_dscnt 0x0
	s_barrier_signal -1
	s_barrier_wait -1
	global_inv scope:SCOPE_SE
	v_cmpx_gt_u32_e32 26, v0
	s_cbranch_execz .LBB39_119
; %bb.116:
	v_dual_mov_b32 v1, 0 :: v_dual_add_nc_u32 v8, 0x280, v13
	v_mov_b32_e32 v3, 0
	v_dual_mov_b32 v2, 0 :: v_dual_add_nc_u32 v7, -1, v0
	v_mov_b32_e32 v4, 0
	v_or_b32_e32 v9, 8, v14
	s_mov_b32 s1, 0
.LBB39_117:                             ; =>This Inner Loop Header: Depth=1
	scratch_load_b128 v[15:18], v9, off offset:-8
	ds_load_b128 v[19:22], v8
	v_add_nc_u32_e32 v7, 1, v7
	v_add_nc_u32_e32 v8, 16, v8
	v_add_nc_u32_e32 v9, 16, v9
	s_delay_alu instid0(VALU_DEP_3)
	v_cmp_lt_u32_e32 vcc_lo, 24, v7
	s_wait_alu 0xfffe
	s_or_b32 s1, vcc_lo, s1
	s_wait_loadcnt_dscnt 0x0
	v_mul_f64_e32 v[10:11], v[21:22], v[17:18]
	v_mul_f64_e32 v[17:18], v[19:20], v[17:18]
	s_delay_alu instid0(VALU_DEP_2) | instskip(NEXT) | instid1(VALU_DEP_2)
	v_fma_f64 v[10:11], v[19:20], v[15:16], -v[10:11]
	v_fma_f64 v[15:16], v[21:22], v[15:16], v[17:18]
	s_delay_alu instid0(VALU_DEP_2) | instskip(NEXT) | instid1(VALU_DEP_2)
	v_add_f64_e32 v[3:4], v[3:4], v[10:11]
	v_add_f64_e32 v[1:2], v[1:2], v[15:16]
	s_wait_alu 0xfffe
	s_and_not1_b32 exec_lo, exec_lo, s1
	s_cbranch_execnz .LBB39_117
; %bb.118:
	s_or_b32 exec_lo, exec_lo, s1
	v_mov_b32_e32 v7, 0
	ds_load_b128 v[7:10], v7 offset:416
	s_wait_dscnt 0x0
	v_mul_f64_e32 v[11:12], v[1:2], v[9:10]
	v_mul_f64_e32 v[15:16], v[3:4], v[9:10]
	s_delay_alu instid0(VALU_DEP_2) | instskip(NEXT) | instid1(VALU_DEP_2)
	v_fma_f64 v[9:10], v[3:4], v[7:8], -v[11:12]
	v_fma_f64 v[11:12], v[1:2], v[7:8], v[15:16]
	scratch_store_b128 off, v[9:12], off offset:432
.LBB39_119:
	s_wait_alu 0xfffe
	s_or_b32 exec_lo, exec_lo, s0
	s_wait_loadcnt 0x0
	s_wait_storecnt 0x0
	s_barrier_signal -1
	s_barrier_wait -1
	global_inv scope:SCOPE_SE
	scratch_load_b128 v[1:4], off, s13
	s_mov_b32 s0, exec_lo
	s_wait_loadcnt 0x0
	ds_store_b128 v5, v[1:4]
	s_wait_dscnt 0x0
	s_barrier_signal -1
	s_barrier_wait -1
	global_inv scope:SCOPE_SE
	v_cmpx_gt_u32_e32 27, v0
	s_cbranch_execz .LBB39_123
; %bb.120:
	v_dual_mov_b32 v1, 0 :: v_dual_add_nc_u32 v8, 0x280, v13
	v_mov_b32_e32 v3, 0
	v_dual_mov_b32 v2, 0 :: v_dual_add_nc_u32 v7, -1, v0
	v_mov_b32_e32 v4, 0
	v_or_b32_e32 v9, 8, v14
	s_mov_b32 s1, 0
.LBB39_121:                             ; =>This Inner Loop Header: Depth=1
	scratch_load_b128 v[15:18], v9, off offset:-8
	ds_load_b128 v[19:22], v8
	v_add_nc_u32_e32 v7, 1, v7
	v_add_nc_u32_e32 v8, 16, v8
	v_add_nc_u32_e32 v9, 16, v9
	s_delay_alu instid0(VALU_DEP_3)
	v_cmp_lt_u32_e32 vcc_lo, 25, v7
	s_wait_alu 0xfffe
	s_or_b32 s1, vcc_lo, s1
	s_wait_loadcnt_dscnt 0x0
	v_mul_f64_e32 v[10:11], v[21:22], v[17:18]
	v_mul_f64_e32 v[17:18], v[19:20], v[17:18]
	s_delay_alu instid0(VALU_DEP_2) | instskip(NEXT) | instid1(VALU_DEP_2)
	v_fma_f64 v[10:11], v[19:20], v[15:16], -v[10:11]
	v_fma_f64 v[15:16], v[21:22], v[15:16], v[17:18]
	s_delay_alu instid0(VALU_DEP_2) | instskip(NEXT) | instid1(VALU_DEP_2)
	v_add_f64_e32 v[3:4], v[3:4], v[10:11]
	v_add_f64_e32 v[1:2], v[1:2], v[15:16]
	s_wait_alu 0xfffe
	s_and_not1_b32 exec_lo, exec_lo, s1
	s_cbranch_execnz .LBB39_121
; %bb.122:
	s_or_b32 exec_lo, exec_lo, s1
	v_mov_b32_e32 v7, 0
	ds_load_b128 v[7:10], v7 offset:432
	s_wait_dscnt 0x0
	v_mul_f64_e32 v[11:12], v[1:2], v[9:10]
	v_mul_f64_e32 v[15:16], v[3:4], v[9:10]
	s_delay_alu instid0(VALU_DEP_2) | instskip(NEXT) | instid1(VALU_DEP_2)
	v_fma_f64 v[9:10], v[3:4], v[7:8], -v[11:12]
	v_fma_f64 v[11:12], v[1:2], v[7:8], v[15:16]
	scratch_store_b128 off, v[9:12], off offset:448
.LBB39_123:
	s_wait_alu 0xfffe
	s_or_b32 exec_lo, exec_lo, s0
	s_wait_loadcnt 0x0
	s_wait_storecnt 0x0
	s_barrier_signal -1
	s_barrier_wait -1
	global_inv scope:SCOPE_SE
	scratch_load_b128 v[1:4], off, s14
	s_mov_b32 s0, exec_lo
	s_wait_loadcnt 0x0
	ds_store_b128 v5, v[1:4]
	s_wait_dscnt 0x0
	s_barrier_signal -1
	s_barrier_wait -1
	global_inv scope:SCOPE_SE
	v_cmpx_gt_u32_e32 28, v0
	s_cbranch_execz .LBB39_127
; %bb.124:
	v_dual_mov_b32 v1, 0 :: v_dual_add_nc_u32 v8, 0x280, v13
	v_mov_b32_e32 v3, 0
	v_dual_mov_b32 v2, 0 :: v_dual_add_nc_u32 v7, -1, v0
	v_mov_b32_e32 v4, 0
	v_or_b32_e32 v9, 8, v14
	s_mov_b32 s1, 0
.LBB39_125:                             ; =>This Inner Loop Header: Depth=1
	scratch_load_b128 v[15:18], v9, off offset:-8
	ds_load_b128 v[19:22], v8
	v_add_nc_u32_e32 v7, 1, v7
	v_add_nc_u32_e32 v8, 16, v8
	v_add_nc_u32_e32 v9, 16, v9
	s_delay_alu instid0(VALU_DEP_3)
	v_cmp_lt_u32_e32 vcc_lo, 26, v7
	s_wait_alu 0xfffe
	s_or_b32 s1, vcc_lo, s1
	s_wait_loadcnt_dscnt 0x0
	v_mul_f64_e32 v[10:11], v[21:22], v[17:18]
	v_mul_f64_e32 v[17:18], v[19:20], v[17:18]
	s_delay_alu instid0(VALU_DEP_2) | instskip(NEXT) | instid1(VALU_DEP_2)
	v_fma_f64 v[10:11], v[19:20], v[15:16], -v[10:11]
	v_fma_f64 v[15:16], v[21:22], v[15:16], v[17:18]
	s_delay_alu instid0(VALU_DEP_2) | instskip(NEXT) | instid1(VALU_DEP_2)
	v_add_f64_e32 v[3:4], v[3:4], v[10:11]
	v_add_f64_e32 v[1:2], v[1:2], v[15:16]
	s_wait_alu 0xfffe
	s_and_not1_b32 exec_lo, exec_lo, s1
	s_cbranch_execnz .LBB39_125
; %bb.126:
	s_or_b32 exec_lo, exec_lo, s1
	v_mov_b32_e32 v7, 0
	ds_load_b128 v[7:10], v7 offset:448
	s_wait_dscnt 0x0
	v_mul_f64_e32 v[11:12], v[1:2], v[9:10]
	v_mul_f64_e32 v[15:16], v[3:4], v[9:10]
	s_delay_alu instid0(VALU_DEP_2) | instskip(NEXT) | instid1(VALU_DEP_2)
	v_fma_f64 v[9:10], v[3:4], v[7:8], -v[11:12]
	v_fma_f64 v[11:12], v[1:2], v[7:8], v[15:16]
	scratch_store_b128 off, v[9:12], off offset:464
.LBB39_127:
	s_wait_alu 0xfffe
	s_or_b32 exec_lo, exec_lo, s0
	s_wait_loadcnt 0x0
	s_wait_storecnt 0x0
	s_barrier_signal -1
	s_barrier_wait -1
	global_inv scope:SCOPE_SE
	scratch_load_b128 v[1:4], off, s11
	s_mov_b32 s0, exec_lo
	s_wait_loadcnt 0x0
	ds_store_b128 v5, v[1:4]
	s_wait_dscnt 0x0
	s_barrier_signal -1
	s_barrier_wait -1
	global_inv scope:SCOPE_SE
	v_cmpx_gt_u32_e32 29, v0
	s_cbranch_execz .LBB39_131
; %bb.128:
	v_dual_mov_b32 v1, 0 :: v_dual_add_nc_u32 v8, 0x280, v13
	v_mov_b32_e32 v3, 0
	v_dual_mov_b32 v2, 0 :: v_dual_add_nc_u32 v7, -1, v0
	v_mov_b32_e32 v4, 0
	v_or_b32_e32 v9, 8, v14
	s_mov_b32 s1, 0
.LBB39_129:                             ; =>This Inner Loop Header: Depth=1
	scratch_load_b128 v[15:18], v9, off offset:-8
	ds_load_b128 v[19:22], v8
	v_add_nc_u32_e32 v7, 1, v7
	v_add_nc_u32_e32 v8, 16, v8
	v_add_nc_u32_e32 v9, 16, v9
	s_delay_alu instid0(VALU_DEP_3)
	v_cmp_lt_u32_e32 vcc_lo, 27, v7
	s_wait_alu 0xfffe
	s_or_b32 s1, vcc_lo, s1
	s_wait_loadcnt_dscnt 0x0
	v_mul_f64_e32 v[10:11], v[21:22], v[17:18]
	v_mul_f64_e32 v[17:18], v[19:20], v[17:18]
	s_delay_alu instid0(VALU_DEP_2) | instskip(NEXT) | instid1(VALU_DEP_2)
	v_fma_f64 v[10:11], v[19:20], v[15:16], -v[10:11]
	v_fma_f64 v[15:16], v[21:22], v[15:16], v[17:18]
	s_delay_alu instid0(VALU_DEP_2) | instskip(NEXT) | instid1(VALU_DEP_2)
	v_add_f64_e32 v[3:4], v[3:4], v[10:11]
	v_add_f64_e32 v[1:2], v[1:2], v[15:16]
	s_wait_alu 0xfffe
	s_and_not1_b32 exec_lo, exec_lo, s1
	s_cbranch_execnz .LBB39_129
; %bb.130:
	s_or_b32 exec_lo, exec_lo, s1
	v_mov_b32_e32 v7, 0
	ds_load_b128 v[7:10], v7 offset:464
	s_wait_dscnt 0x0
	v_mul_f64_e32 v[11:12], v[1:2], v[9:10]
	v_mul_f64_e32 v[15:16], v[3:4], v[9:10]
	s_delay_alu instid0(VALU_DEP_2) | instskip(NEXT) | instid1(VALU_DEP_2)
	v_fma_f64 v[9:10], v[3:4], v[7:8], -v[11:12]
	v_fma_f64 v[11:12], v[1:2], v[7:8], v[15:16]
	scratch_store_b128 off, v[9:12], off offset:480
.LBB39_131:
	s_wait_alu 0xfffe
	s_or_b32 exec_lo, exec_lo, s0
	s_wait_loadcnt 0x0
	s_wait_storecnt 0x0
	s_barrier_signal -1
	s_barrier_wait -1
	global_inv scope:SCOPE_SE
	scratch_load_b128 v[1:4], off, s12
	s_mov_b32 s0, exec_lo
	s_wait_loadcnt 0x0
	ds_store_b128 v5, v[1:4]
	s_wait_dscnt 0x0
	s_barrier_signal -1
	s_barrier_wait -1
	global_inv scope:SCOPE_SE
	v_cmpx_gt_u32_e32 30, v0
	s_cbranch_execz .LBB39_135
; %bb.132:
	v_dual_mov_b32 v1, 0 :: v_dual_add_nc_u32 v8, 0x280, v13
	v_mov_b32_e32 v3, 0
	v_dual_mov_b32 v2, 0 :: v_dual_add_nc_u32 v7, -1, v0
	v_mov_b32_e32 v4, 0
	v_or_b32_e32 v9, 8, v14
	s_mov_b32 s1, 0
.LBB39_133:                             ; =>This Inner Loop Header: Depth=1
	scratch_load_b128 v[15:18], v9, off offset:-8
	ds_load_b128 v[19:22], v8
	v_add_nc_u32_e32 v7, 1, v7
	v_add_nc_u32_e32 v8, 16, v8
	v_add_nc_u32_e32 v9, 16, v9
	s_delay_alu instid0(VALU_DEP_3)
	v_cmp_lt_u32_e32 vcc_lo, 28, v7
	s_wait_alu 0xfffe
	s_or_b32 s1, vcc_lo, s1
	s_wait_loadcnt_dscnt 0x0
	v_mul_f64_e32 v[10:11], v[21:22], v[17:18]
	v_mul_f64_e32 v[17:18], v[19:20], v[17:18]
	s_delay_alu instid0(VALU_DEP_2) | instskip(NEXT) | instid1(VALU_DEP_2)
	v_fma_f64 v[10:11], v[19:20], v[15:16], -v[10:11]
	v_fma_f64 v[15:16], v[21:22], v[15:16], v[17:18]
	s_delay_alu instid0(VALU_DEP_2) | instskip(NEXT) | instid1(VALU_DEP_2)
	v_add_f64_e32 v[3:4], v[3:4], v[10:11]
	v_add_f64_e32 v[1:2], v[1:2], v[15:16]
	s_wait_alu 0xfffe
	s_and_not1_b32 exec_lo, exec_lo, s1
	s_cbranch_execnz .LBB39_133
; %bb.134:
	s_or_b32 exec_lo, exec_lo, s1
	v_mov_b32_e32 v7, 0
	ds_load_b128 v[7:10], v7 offset:480
	s_wait_dscnt 0x0
	v_mul_f64_e32 v[11:12], v[1:2], v[9:10]
	v_mul_f64_e32 v[15:16], v[3:4], v[9:10]
	s_delay_alu instid0(VALU_DEP_2) | instskip(NEXT) | instid1(VALU_DEP_2)
	v_fma_f64 v[9:10], v[3:4], v[7:8], -v[11:12]
	v_fma_f64 v[11:12], v[1:2], v[7:8], v[15:16]
	scratch_store_b128 off, v[9:12], off offset:496
.LBB39_135:
	s_wait_alu 0xfffe
	s_or_b32 exec_lo, exec_lo, s0
	s_wait_loadcnt 0x0
	s_wait_storecnt 0x0
	s_barrier_signal -1
	s_barrier_wait -1
	global_inv scope:SCOPE_SE
	scratch_load_b128 v[1:4], off, s9
	s_mov_b32 s0, exec_lo
	s_wait_loadcnt 0x0
	ds_store_b128 v5, v[1:4]
	s_wait_dscnt 0x0
	s_barrier_signal -1
	s_barrier_wait -1
	global_inv scope:SCOPE_SE
	v_cmpx_gt_u32_e32 31, v0
	s_cbranch_execz .LBB39_139
; %bb.136:
	v_dual_mov_b32 v1, 0 :: v_dual_add_nc_u32 v8, 0x280, v13
	v_mov_b32_e32 v3, 0
	v_dual_mov_b32 v2, 0 :: v_dual_add_nc_u32 v7, -1, v0
	v_mov_b32_e32 v4, 0
	v_or_b32_e32 v9, 8, v14
	s_mov_b32 s1, 0
.LBB39_137:                             ; =>This Inner Loop Header: Depth=1
	scratch_load_b128 v[15:18], v9, off offset:-8
	ds_load_b128 v[19:22], v8
	v_add_nc_u32_e32 v7, 1, v7
	v_add_nc_u32_e32 v8, 16, v8
	v_add_nc_u32_e32 v9, 16, v9
	s_delay_alu instid0(VALU_DEP_3)
	v_cmp_lt_u32_e32 vcc_lo, 29, v7
	s_wait_alu 0xfffe
	s_or_b32 s1, vcc_lo, s1
	s_wait_loadcnt_dscnt 0x0
	v_mul_f64_e32 v[10:11], v[21:22], v[17:18]
	v_mul_f64_e32 v[17:18], v[19:20], v[17:18]
	s_delay_alu instid0(VALU_DEP_2) | instskip(NEXT) | instid1(VALU_DEP_2)
	v_fma_f64 v[10:11], v[19:20], v[15:16], -v[10:11]
	v_fma_f64 v[15:16], v[21:22], v[15:16], v[17:18]
	s_delay_alu instid0(VALU_DEP_2) | instskip(NEXT) | instid1(VALU_DEP_2)
	v_add_f64_e32 v[3:4], v[3:4], v[10:11]
	v_add_f64_e32 v[1:2], v[1:2], v[15:16]
	s_wait_alu 0xfffe
	s_and_not1_b32 exec_lo, exec_lo, s1
	s_cbranch_execnz .LBB39_137
; %bb.138:
	s_or_b32 exec_lo, exec_lo, s1
	v_mov_b32_e32 v7, 0
	ds_load_b128 v[7:10], v7 offset:496
	s_wait_dscnt 0x0
	v_mul_f64_e32 v[11:12], v[1:2], v[9:10]
	v_mul_f64_e32 v[15:16], v[3:4], v[9:10]
	s_delay_alu instid0(VALU_DEP_2) | instskip(NEXT) | instid1(VALU_DEP_2)
	v_fma_f64 v[9:10], v[3:4], v[7:8], -v[11:12]
	v_fma_f64 v[11:12], v[1:2], v[7:8], v[15:16]
	scratch_store_b128 off, v[9:12], off offset:512
.LBB39_139:
	s_wait_alu 0xfffe
	s_or_b32 exec_lo, exec_lo, s0
	s_wait_loadcnt 0x0
	s_wait_storecnt 0x0
	s_barrier_signal -1
	s_barrier_wait -1
	global_inv scope:SCOPE_SE
	scratch_load_b128 v[1:4], off, s10
	s_mov_b32 s0, exec_lo
	s_wait_loadcnt 0x0
	ds_store_b128 v5, v[1:4]
	s_wait_dscnt 0x0
	s_barrier_signal -1
	s_barrier_wait -1
	global_inv scope:SCOPE_SE
	v_cmpx_gt_u32_e32 32, v0
	s_cbranch_execz .LBB39_143
; %bb.140:
	v_dual_mov_b32 v1, 0 :: v_dual_add_nc_u32 v8, 0x280, v13
	v_mov_b32_e32 v3, 0
	v_dual_mov_b32 v2, 0 :: v_dual_add_nc_u32 v7, -1, v0
	v_mov_b32_e32 v4, 0
	v_or_b32_e32 v9, 8, v14
	s_mov_b32 s1, 0
.LBB39_141:                             ; =>This Inner Loop Header: Depth=1
	scratch_load_b128 v[15:18], v9, off offset:-8
	ds_load_b128 v[19:22], v8
	v_add_nc_u32_e32 v7, 1, v7
	v_add_nc_u32_e32 v8, 16, v8
	v_add_nc_u32_e32 v9, 16, v9
	s_delay_alu instid0(VALU_DEP_3)
	v_cmp_lt_u32_e32 vcc_lo, 30, v7
	s_wait_alu 0xfffe
	s_or_b32 s1, vcc_lo, s1
	s_wait_loadcnt_dscnt 0x0
	v_mul_f64_e32 v[10:11], v[21:22], v[17:18]
	v_mul_f64_e32 v[17:18], v[19:20], v[17:18]
	s_delay_alu instid0(VALU_DEP_2) | instskip(NEXT) | instid1(VALU_DEP_2)
	v_fma_f64 v[10:11], v[19:20], v[15:16], -v[10:11]
	v_fma_f64 v[15:16], v[21:22], v[15:16], v[17:18]
	s_delay_alu instid0(VALU_DEP_2) | instskip(NEXT) | instid1(VALU_DEP_2)
	v_add_f64_e32 v[3:4], v[3:4], v[10:11]
	v_add_f64_e32 v[1:2], v[1:2], v[15:16]
	s_wait_alu 0xfffe
	s_and_not1_b32 exec_lo, exec_lo, s1
	s_cbranch_execnz .LBB39_141
; %bb.142:
	s_or_b32 exec_lo, exec_lo, s1
	v_mov_b32_e32 v7, 0
	ds_load_b128 v[7:10], v7 offset:512
	s_wait_dscnt 0x0
	v_mul_f64_e32 v[11:12], v[1:2], v[9:10]
	v_mul_f64_e32 v[15:16], v[3:4], v[9:10]
	s_delay_alu instid0(VALU_DEP_2) | instskip(NEXT) | instid1(VALU_DEP_2)
	v_fma_f64 v[9:10], v[3:4], v[7:8], -v[11:12]
	v_fma_f64 v[11:12], v[1:2], v[7:8], v[15:16]
	scratch_store_b128 off, v[9:12], off offset:528
.LBB39_143:
	s_wait_alu 0xfffe
	s_or_b32 exec_lo, exec_lo, s0
	s_wait_loadcnt 0x0
	s_wait_storecnt 0x0
	s_barrier_signal -1
	s_barrier_wait -1
	global_inv scope:SCOPE_SE
	scratch_load_b128 v[1:4], off, s5
	s_mov_b32 s0, exec_lo
	s_wait_loadcnt 0x0
	ds_store_b128 v5, v[1:4]
	s_wait_dscnt 0x0
	s_barrier_signal -1
	s_barrier_wait -1
	global_inv scope:SCOPE_SE
	v_cmpx_gt_u32_e32 33, v0
	s_cbranch_execz .LBB39_147
; %bb.144:
	v_dual_mov_b32 v1, 0 :: v_dual_add_nc_u32 v8, 0x280, v13
	v_mov_b32_e32 v3, 0
	v_dual_mov_b32 v2, 0 :: v_dual_add_nc_u32 v7, -1, v0
	v_mov_b32_e32 v4, 0
	v_or_b32_e32 v9, 8, v14
	s_mov_b32 s1, 0
.LBB39_145:                             ; =>This Inner Loop Header: Depth=1
	scratch_load_b128 v[15:18], v9, off offset:-8
	ds_load_b128 v[19:22], v8
	v_add_nc_u32_e32 v7, 1, v7
	v_add_nc_u32_e32 v8, 16, v8
	v_add_nc_u32_e32 v9, 16, v9
	s_delay_alu instid0(VALU_DEP_3)
	v_cmp_lt_u32_e32 vcc_lo, 31, v7
	s_wait_alu 0xfffe
	s_or_b32 s1, vcc_lo, s1
	s_wait_loadcnt_dscnt 0x0
	v_mul_f64_e32 v[10:11], v[21:22], v[17:18]
	v_mul_f64_e32 v[17:18], v[19:20], v[17:18]
	s_delay_alu instid0(VALU_DEP_2) | instskip(NEXT) | instid1(VALU_DEP_2)
	v_fma_f64 v[10:11], v[19:20], v[15:16], -v[10:11]
	v_fma_f64 v[15:16], v[21:22], v[15:16], v[17:18]
	s_delay_alu instid0(VALU_DEP_2) | instskip(NEXT) | instid1(VALU_DEP_2)
	v_add_f64_e32 v[3:4], v[3:4], v[10:11]
	v_add_f64_e32 v[1:2], v[1:2], v[15:16]
	s_wait_alu 0xfffe
	s_and_not1_b32 exec_lo, exec_lo, s1
	s_cbranch_execnz .LBB39_145
; %bb.146:
	s_or_b32 exec_lo, exec_lo, s1
	v_mov_b32_e32 v7, 0
	ds_load_b128 v[7:10], v7 offset:528
	s_wait_dscnt 0x0
	v_mul_f64_e32 v[11:12], v[1:2], v[9:10]
	v_mul_f64_e32 v[15:16], v[3:4], v[9:10]
	s_delay_alu instid0(VALU_DEP_2) | instskip(NEXT) | instid1(VALU_DEP_2)
	v_fma_f64 v[9:10], v[3:4], v[7:8], -v[11:12]
	v_fma_f64 v[11:12], v[1:2], v[7:8], v[15:16]
	scratch_store_b128 off, v[9:12], off offset:544
.LBB39_147:
	s_wait_alu 0xfffe
	s_or_b32 exec_lo, exec_lo, s0
	s_wait_loadcnt 0x0
	s_wait_storecnt 0x0
	s_barrier_signal -1
	s_barrier_wait -1
	global_inv scope:SCOPE_SE
	scratch_load_b128 v[1:4], off, s8
	s_mov_b32 s0, exec_lo
	s_wait_loadcnt 0x0
	ds_store_b128 v5, v[1:4]
	s_wait_dscnt 0x0
	s_barrier_signal -1
	s_barrier_wait -1
	global_inv scope:SCOPE_SE
	v_cmpx_gt_u32_e32 34, v0
	s_cbranch_execz .LBB39_151
; %bb.148:
	v_dual_mov_b32 v1, 0 :: v_dual_add_nc_u32 v8, 0x280, v13
	v_mov_b32_e32 v3, 0
	v_dual_mov_b32 v2, 0 :: v_dual_add_nc_u32 v7, -1, v0
	v_mov_b32_e32 v4, 0
	v_or_b32_e32 v9, 8, v14
	s_mov_b32 s1, 0
.LBB39_149:                             ; =>This Inner Loop Header: Depth=1
	scratch_load_b128 v[15:18], v9, off offset:-8
	ds_load_b128 v[19:22], v8
	v_add_nc_u32_e32 v7, 1, v7
	v_add_nc_u32_e32 v8, 16, v8
	v_add_nc_u32_e32 v9, 16, v9
	s_delay_alu instid0(VALU_DEP_3)
	v_cmp_lt_u32_e32 vcc_lo, 32, v7
	s_wait_alu 0xfffe
	s_or_b32 s1, vcc_lo, s1
	s_wait_loadcnt_dscnt 0x0
	v_mul_f64_e32 v[10:11], v[21:22], v[17:18]
	v_mul_f64_e32 v[17:18], v[19:20], v[17:18]
	s_delay_alu instid0(VALU_DEP_2) | instskip(NEXT) | instid1(VALU_DEP_2)
	v_fma_f64 v[10:11], v[19:20], v[15:16], -v[10:11]
	v_fma_f64 v[15:16], v[21:22], v[15:16], v[17:18]
	s_delay_alu instid0(VALU_DEP_2) | instskip(NEXT) | instid1(VALU_DEP_2)
	v_add_f64_e32 v[3:4], v[3:4], v[10:11]
	v_add_f64_e32 v[1:2], v[1:2], v[15:16]
	s_wait_alu 0xfffe
	s_and_not1_b32 exec_lo, exec_lo, s1
	s_cbranch_execnz .LBB39_149
; %bb.150:
	s_or_b32 exec_lo, exec_lo, s1
	v_mov_b32_e32 v7, 0
	ds_load_b128 v[7:10], v7 offset:544
	s_wait_dscnt 0x0
	v_mul_f64_e32 v[11:12], v[1:2], v[9:10]
	v_mul_f64_e32 v[15:16], v[3:4], v[9:10]
	s_delay_alu instid0(VALU_DEP_2) | instskip(NEXT) | instid1(VALU_DEP_2)
	v_fma_f64 v[9:10], v[3:4], v[7:8], -v[11:12]
	v_fma_f64 v[11:12], v[1:2], v[7:8], v[15:16]
	scratch_store_b128 off, v[9:12], off offset:560
.LBB39_151:
	s_wait_alu 0xfffe
	s_or_b32 exec_lo, exec_lo, s0
	s_wait_loadcnt 0x0
	s_wait_storecnt 0x0
	s_barrier_signal -1
	s_barrier_wait -1
	global_inv scope:SCOPE_SE
	scratch_load_b128 v[1:4], off, s4
	s_mov_b32 s0, exec_lo
	s_wait_loadcnt 0x0
	ds_store_b128 v5, v[1:4]
	s_wait_dscnt 0x0
	s_barrier_signal -1
	s_barrier_wait -1
	global_inv scope:SCOPE_SE
	v_cmpx_gt_u32_e32 35, v0
	s_cbranch_execz .LBB39_155
; %bb.152:
	v_dual_mov_b32 v1, 0 :: v_dual_add_nc_u32 v8, 0x280, v13
	v_mov_b32_e32 v3, 0
	v_dual_mov_b32 v2, 0 :: v_dual_add_nc_u32 v7, -1, v0
	v_mov_b32_e32 v4, 0
	v_or_b32_e32 v9, 8, v14
	s_mov_b32 s1, 0
.LBB39_153:                             ; =>This Inner Loop Header: Depth=1
	scratch_load_b128 v[15:18], v9, off offset:-8
	ds_load_b128 v[19:22], v8
	v_add_nc_u32_e32 v7, 1, v7
	v_add_nc_u32_e32 v8, 16, v8
	v_add_nc_u32_e32 v9, 16, v9
	s_delay_alu instid0(VALU_DEP_3)
	v_cmp_lt_u32_e32 vcc_lo, 33, v7
	s_wait_alu 0xfffe
	s_or_b32 s1, vcc_lo, s1
	s_wait_loadcnt_dscnt 0x0
	v_mul_f64_e32 v[10:11], v[21:22], v[17:18]
	v_mul_f64_e32 v[17:18], v[19:20], v[17:18]
	s_delay_alu instid0(VALU_DEP_2) | instskip(NEXT) | instid1(VALU_DEP_2)
	v_fma_f64 v[10:11], v[19:20], v[15:16], -v[10:11]
	v_fma_f64 v[15:16], v[21:22], v[15:16], v[17:18]
	s_delay_alu instid0(VALU_DEP_2) | instskip(NEXT) | instid1(VALU_DEP_2)
	v_add_f64_e32 v[3:4], v[3:4], v[10:11]
	v_add_f64_e32 v[1:2], v[1:2], v[15:16]
	s_wait_alu 0xfffe
	s_and_not1_b32 exec_lo, exec_lo, s1
	s_cbranch_execnz .LBB39_153
; %bb.154:
	s_or_b32 exec_lo, exec_lo, s1
	v_mov_b32_e32 v7, 0
	ds_load_b128 v[7:10], v7 offset:560
	s_wait_dscnt 0x0
	v_mul_f64_e32 v[11:12], v[1:2], v[9:10]
	v_mul_f64_e32 v[15:16], v[3:4], v[9:10]
	s_delay_alu instid0(VALU_DEP_2) | instskip(NEXT) | instid1(VALU_DEP_2)
	v_fma_f64 v[9:10], v[3:4], v[7:8], -v[11:12]
	v_fma_f64 v[11:12], v[1:2], v[7:8], v[15:16]
	scratch_store_b128 off, v[9:12], off offset:576
.LBB39_155:
	s_wait_alu 0xfffe
	s_or_b32 exec_lo, exec_lo, s0
	s_wait_loadcnt 0x0
	s_wait_storecnt 0x0
	s_barrier_signal -1
	s_barrier_wait -1
	global_inv scope:SCOPE_SE
	scratch_load_b128 v[1:4], off, s27
	s_mov_b32 s0, exec_lo
	s_wait_loadcnt 0x0
	ds_store_b128 v5, v[1:4]
	s_wait_dscnt 0x0
	s_barrier_signal -1
	s_barrier_wait -1
	global_inv scope:SCOPE_SE
	v_cmpx_gt_u32_e32 36, v0
	s_cbranch_execz .LBB39_159
; %bb.156:
	v_dual_mov_b32 v1, 0 :: v_dual_add_nc_u32 v8, 0x280, v13
	v_mov_b32_e32 v3, 0
	v_dual_mov_b32 v2, 0 :: v_dual_add_nc_u32 v7, -1, v0
	v_mov_b32_e32 v4, 0
	v_or_b32_e32 v9, 8, v14
	s_mov_b32 s1, 0
.LBB39_157:                             ; =>This Inner Loop Header: Depth=1
	scratch_load_b128 v[15:18], v9, off offset:-8
	ds_load_b128 v[19:22], v8
	v_add_nc_u32_e32 v7, 1, v7
	v_add_nc_u32_e32 v8, 16, v8
	v_add_nc_u32_e32 v9, 16, v9
	s_delay_alu instid0(VALU_DEP_3)
	v_cmp_lt_u32_e32 vcc_lo, 34, v7
	s_wait_alu 0xfffe
	s_or_b32 s1, vcc_lo, s1
	s_wait_loadcnt_dscnt 0x0
	v_mul_f64_e32 v[10:11], v[21:22], v[17:18]
	v_mul_f64_e32 v[17:18], v[19:20], v[17:18]
	s_delay_alu instid0(VALU_DEP_2) | instskip(NEXT) | instid1(VALU_DEP_2)
	v_fma_f64 v[10:11], v[19:20], v[15:16], -v[10:11]
	v_fma_f64 v[15:16], v[21:22], v[15:16], v[17:18]
	s_delay_alu instid0(VALU_DEP_2) | instskip(NEXT) | instid1(VALU_DEP_2)
	v_add_f64_e32 v[3:4], v[3:4], v[10:11]
	v_add_f64_e32 v[1:2], v[1:2], v[15:16]
	s_wait_alu 0xfffe
	s_and_not1_b32 exec_lo, exec_lo, s1
	s_cbranch_execnz .LBB39_157
; %bb.158:
	s_or_b32 exec_lo, exec_lo, s1
	v_mov_b32_e32 v7, 0
	ds_load_b128 v[7:10], v7 offset:576
	s_wait_dscnt 0x0
	v_mul_f64_e32 v[11:12], v[1:2], v[9:10]
	v_mul_f64_e32 v[15:16], v[3:4], v[9:10]
	s_delay_alu instid0(VALU_DEP_2) | instskip(NEXT) | instid1(VALU_DEP_2)
	v_fma_f64 v[9:10], v[3:4], v[7:8], -v[11:12]
	v_fma_f64 v[11:12], v[1:2], v[7:8], v[15:16]
	scratch_store_b128 off, v[9:12], off offset:592
.LBB39_159:
	s_wait_alu 0xfffe
	s_or_b32 exec_lo, exec_lo, s0
	s_wait_loadcnt 0x0
	s_wait_storecnt 0x0
	s_barrier_signal -1
	s_barrier_wait -1
	global_inv scope:SCOPE_SE
	scratch_load_b128 v[1:4], off, s26
	s_mov_b32 s0, exec_lo
	s_wait_loadcnt 0x0
	ds_store_b128 v5, v[1:4]
	s_wait_dscnt 0x0
	s_barrier_signal -1
	s_barrier_wait -1
	global_inv scope:SCOPE_SE
	v_cmpx_gt_u32_e32 37, v0
	s_cbranch_execz .LBB39_163
; %bb.160:
	v_dual_mov_b32 v1, 0 :: v_dual_add_nc_u32 v8, 0x280, v13
	v_mov_b32_e32 v3, 0
	v_dual_mov_b32 v2, 0 :: v_dual_add_nc_u32 v7, -1, v0
	v_mov_b32_e32 v4, 0
	v_or_b32_e32 v9, 8, v14
	s_mov_b32 s1, 0
.LBB39_161:                             ; =>This Inner Loop Header: Depth=1
	scratch_load_b128 v[15:18], v9, off offset:-8
	ds_load_b128 v[19:22], v8
	v_add_nc_u32_e32 v7, 1, v7
	v_add_nc_u32_e32 v8, 16, v8
	v_add_nc_u32_e32 v9, 16, v9
	s_delay_alu instid0(VALU_DEP_3)
	v_cmp_lt_u32_e32 vcc_lo, 35, v7
	s_wait_alu 0xfffe
	s_or_b32 s1, vcc_lo, s1
	s_wait_loadcnt_dscnt 0x0
	v_mul_f64_e32 v[10:11], v[21:22], v[17:18]
	v_mul_f64_e32 v[17:18], v[19:20], v[17:18]
	s_delay_alu instid0(VALU_DEP_2) | instskip(NEXT) | instid1(VALU_DEP_2)
	v_fma_f64 v[10:11], v[19:20], v[15:16], -v[10:11]
	v_fma_f64 v[15:16], v[21:22], v[15:16], v[17:18]
	s_delay_alu instid0(VALU_DEP_2) | instskip(NEXT) | instid1(VALU_DEP_2)
	v_add_f64_e32 v[3:4], v[3:4], v[10:11]
	v_add_f64_e32 v[1:2], v[1:2], v[15:16]
	s_wait_alu 0xfffe
	s_and_not1_b32 exec_lo, exec_lo, s1
	s_cbranch_execnz .LBB39_161
; %bb.162:
	s_or_b32 exec_lo, exec_lo, s1
	v_mov_b32_e32 v7, 0
	ds_load_b128 v[7:10], v7 offset:592
	s_wait_dscnt 0x0
	v_mul_f64_e32 v[11:12], v[1:2], v[9:10]
	v_mul_f64_e32 v[15:16], v[3:4], v[9:10]
	s_delay_alu instid0(VALU_DEP_2) | instskip(NEXT) | instid1(VALU_DEP_2)
	v_fma_f64 v[9:10], v[3:4], v[7:8], -v[11:12]
	v_fma_f64 v[11:12], v[1:2], v[7:8], v[15:16]
	scratch_store_b128 off, v[9:12], off offset:608
.LBB39_163:
	s_wait_alu 0xfffe
	s_or_b32 exec_lo, exec_lo, s0
	s_wait_loadcnt 0x0
	s_wait_storecnt 0x0
	s_barrier_signal -1
	s_barrier_wait -1
	global_inv scope:SCOPE_SE
	scratch_load_b128 v[1:4], off, s28
	s_mov_b32 s0, exec_lo
	s_wait_loadcnt 0x0
	ds_store_b128 v5, v[1:4]
	s_wait_dscnt 0x0
	s_barrier_signal -1
	s_barrier_wait -1
	global_inv scope:SCOPE_SE
	v_cmpx_gt_u32_e32 38, v0
	s_cbranch_execz .LBB39_167
; %bb.164:
	v_dual_mov_b32 v1, 0 :: v_dual_add_nc_u32 v8, 0x280, v13
	v_mov_b32_e32 v3, 0
	v_dual_mov_b32 v2, 0 :: v_dual_add_nc_u32 v7, -1, v0
	v_mov_b32_e32 v4, 0
	v_or_b32_e32 v9, 8, v14
	s_mov_b32 s1, 0
.LBB39_165:                             ; =>This Inner Loop Header: Depth=1
	scratch_load_b128 v[10:13], v9, off offset:-8
	ds_load_b128 v[15:18], v8
	v_add_nc_u32_e32 v7, 1, v7
	v_add_nc_u32_e32 v8, 16, v8
	v_add_nc_u32_e32 v9, 16, v9
	s_delay_alu instid0(VALU_DEP_3)
	v_cmp_lt_u32_e32 vcc_lo, 36, v7
	s_wait_alu 0xfffe
	s_or_b32 s1, vcc_lo, s1
	s_wait_loadcnt_dscnt 0x0
	v_mul_f64_e32 v[19:20], v[17:18], v[12:13]
	v_mul_f64_e32 v[12:13], v[15:16], v[12:13]
	s_delay_alu instid0(VALU_DEP_2) | instskip(NEXT) | instid1(VALU_DEP_2)
	v_fma_f64 v[15:16], v[15:16], v[10:11], -v[19:20]
	v_fma_f64 v[10:11], v[17:18], v[10:11], v[12:13]
	s_delay_alu instid0(VALU_DEP_2) | instskip(NEXT) | instid1(VALU_DEP_2)
	v_add_f64_e32 v[3:4], v[3:4], v[15:16]
	v_add_f64_e32 v[1:2], v[1:2], v[10:11]
	s_wait_alu 0xfffe
	s_and_not1_b32 exec_lo, exec_lo, s1
	s_cbranch_execnz .LBB39_165
; %bb.166:
	s_or_b32 exec_lo, exec_lo, s1
	v_mov_b32_e32 v7, 0
	ds_load_b128 v[7:10], v7 offset:608
	s_wait_dscnt 0x0
	v_mul_f64_e32 v[11:12], v[1:2], v[9:10]
	v_mul_f64_e32 v[15:16], v[3:4], v[9:10]
	s_delay_alu instid0(VALU_DEP_2) | instskip(NEXT) | instid1(VALU_DEP_2)
	v_fma_f64 v[9:10], v[3:4], v[7:8], -v[11:12]
	v_fma_f64 v[11:12], v[1:2], v[7:8], v[15:16]
	scratch_store_b128 off, v[9:12], off offset:624
.LBB39_167:
	s_wait_alu 0xfffe
	s_or_b32 exec_lo, exec_lo, s0
	s_wait_loadcnt 0x0
	s_wait_storecnt 0x0
	s_barrier_signal -1
	s_barrier_wait -1
	global_inv scope:SCOPE_SE
	scratch_load_b128 v[1:4], off, s35
	s_mov_b32 s0, exec_lo
	s_wait_loadcnt 0x0
	ds_store_b128 v5, v[1:4]
	s_wait_dscnt 0x0
	s_barrier_signal -1
	s_barrier_wait -1
	global_inv scope:SCOPE_SE
	v_cmpx_ne_u32_e32 39, v0
	s_cbranch_execz .LBB39_171
; %bb.168:
	v_mov_b32_e32 v1, 0
	v_dual_mov_b32 v2, 0 :: v_dual_mov_b32 v3, 0
	v_mov_b32_e32 v4, 0
	v_or_b32_e32 v7, 8, v14
	s_mov_b32 s1, 0
.LBB39_169:                             ; =>This Inner Loop Header: Depth=1
	scratch_load_b128 v[8:11], v7, off offset:-8
	ds_load_b128 v[12:15], v5
	v_add_nc_u32_e32 v6, 1, v6
	v_add_nc_u32_e32 v5, 16, v5
	;; [unrolled: 1-line block ×3, first 2 shown]
	s_delay_alu instid0(VALU_DEP_3)
	v_cmp_lt_u32_e32 vcc_lo, 37, v6
	s_wait_alu 0xfffe
	s_or_b32 s1, vcc_lo, s1
	s_wait_loadcnt_dscnt 0x0
	v_mul_f64_e32 v[16:17], v[14:15], v[10:11]
	v_mul_f64_e32 v[10:11], v[12:13], v[10:11]
	s_delay_alu instid0(VALU_DEP_2) | instskip(NEXT) | instid1(VALU_DEP_2)
	v_fma_f64 v[12:13], v[12:13], v[8:9], -v[16:17]
	v_fma_f64 v[8:9], v[14:15], v[8:9], v[10:11]
	s_delay_alu instid0(VALU_DEP_2) | instskip(NEXT) | instid1(VALU_DEP_2)
	v_add_f64_e32 v[3:4], v[3:4], v[12:13]
	v_add_f64_e32 v[1:2], v[1:2], v[8:9]
	s_wait_alu 0xfffe
	s_and_not1_b32 exec_lo, exec_lo, s1
	s_cbranch_execnz .LBB39_169
; %bb.170:
	s_or_b32 exec_lo, exec_lo, s1
	v_mov_b32_e32 v5, 0
	ds_load_b128 v[5:8], v5 offset:624
	s_wait_dscnt 0x0
	v_mul_f64_e32 v[9:10], v[1:2], v[7:8]
	v_mul_f64_e32 v[7:8], v[3:4], v[7:8]
	s_delay_alu instid0(VALU_DEP_2) | instskip(NEXT) | instid1(VALU_DEP_2)
	v_fma_f64 v[3:4], v[3:4], v[5:6], -v[9:10]
	v_fma_f64 v[5:6], v[1:2], v[5:6], v[7:8]
	scratch_store_b128 off, v[3:6], off offset:640
.LBB39_171:
	s_wait_alu 0xfffe
	s_or_b32 exec_lo, exec_lo, s0
	s_mov_b32 s1, -1
	s_wait_loadcnt 0x0
	s_wait_storecnt 0x0
	s_barrier_signal -1
	s_barrier_wait -1
	global_inv scope:SCOPE_SE
.LBB39_172:
	s_wait_alu 0xfffe
	s_and_b32 vcc_lo, exec_lo, s1
	s_wait_alu 0xfffe
	s_cbranch_vccz .LBB39_174
; %bb.173:
	v_mov_b32_e32 v1, 0
	s_lshl_b64 s[0:1], s[16:17], 2
	s_wait_alu 0xfffe
	s_add_nc_u64 s[0:1], s[6:7], s[0:1]
	global_load_b32 v1, v1, s[0:1]
	s_wait_loadcnt 0x0
	v_cmp_ne_u32_e32 vcc_lo, 0, v1
	s_cbranch_vccz .LBB39_175
.LBB39_174:
	s_nop 0
	s_sendmsg sendmsg(MSG_DEALLOC_VGPRS)
	s_endpgm
.LBB39_175:
	v_lshl_add_u32 v126, v0, 4, 0x280
	s_mov_b32 s0, exec_lo
	v_cmpx_eq_u32_e32 39, v0
	s_cbranch_execz .LBB39_177
; %bb.176:
	scratch_load_b128 v[1:4], off, s28
	v_mov_b32_e32 v5, 0
	s_delay_alu instid0(VALU_DEP_1)
	v_dual_mov_b32 v6, v5 :: v_dual_mov_b32 v7, v5
	v_mov_b32_e32 v8, v5
	scratch_store_b128 off, v[5:8], off offset:624
	s_wait_loadcnt 0x0
	ds_store_b128 v126, v[1:4]
.LBB39_177:
	s_wait_alu 0xfffe
	s_or_b32 exec_lo, exec_lo, s0
	s_wait_storecnt_dscnt 0x0
	s_barrier_signal -1
	s_barrier_wait -1
	global_inv scope:SCOPE_SE
	s_clause 0x1
	scratch_load_b128 v[2:5], off, off offset:640
	scratch_load_b128 v[6:9], off, off offset:624
	v_mov_b32_e32 v1, 0
	s_mov_b32 s0, exec_lo
	ds_load_b128 v[10:13], v1 offset:1264
	s_wait_loadcnt_dscnt 0x100
	v_mul_f64_e32 v[14:15], v[12:13], v[4:5]
	v_mul_f64_e32 v[4:5], v[10:11], v[4:5]
	s_delay_alu instid0(VALU_DEP_2) | instskip(NEXT) | instid1(VALU_DEP_2)
	v_fma_f64 v[10:11], v[10:11], v[2:3], -v[14:15]
	v_fma_f64 v[2:3], v[12:13], v[2:3], v[4:5]
	s_delay_alu instid0(VALU_DEP_2) | instskip(NEXT) | instid1(VALU_DEP_2)
	v_add_f64_e32 v[4:5], 0, v[10:11]
	v_add_f64_e32 v[10:11], 0, v[2:3]
	s_wait_loadcnt 0x0
	s_delay_alu instid0(VALU_DEP_2) | instskip(NEXT) | instid1(VALU_DEP_2)
	v_add_f64_e64 v[2:3], v[6:7], -v[4:5]
	v_add_f64_e64 v[4:5], v[8:9], -v[10:11]
	scratch_store_b128 off, v[2:5], off offset:624
	v_cmpx_lt_u32_e32 37, v0
	s_cbranch_execz .LBB39_179
; %bb.178:
	scratch_load_b128 v[5:8], off, s26
	v_dual_mov_b32 v2, v1 :: v_dual_mov_b32 v3, v1
	v_mov_b32_e32 v4, v1
	scratch_store_b128 off, v[1:4], off offset:608
	s_wait_loadcnt 0x0
	ds_store_b128 v126, v[5:8]
.LBB39_179:
	s_wait_alu 0xfffe
	s_or_b32 exec_lo, exec_lo, s0
	s_wait_storecnt_dscnt 0x0
	s_barrier_signal -1
	s_barrier_wait -1
	global_inv scope:SCOPE_SE
	s_clause 0x2
	scratch_load_b128 v[2:5], off, off offset:624
	scratch_load_b128 v[6:9], off, off offset:640
	;; [unrolled: 1-line block ×3, first 2 shown]
	ds_load_b128 v[14:17], v1 offset:1248
	ds_load_b128 v[18:21], v1 offset:1264
	s_mov_b32 s0, exec_lo
	s_wait_loadcnt_dscnt 0x201
	v_mul_f64_e32 v[22:23], v[16:17], v[4:5]
	v_mul_f64_e32 v[4:5], v[14:15], v[4:5]
	s_wait_loadcnt_dscnt 0x100
	v_mul_f64_e32 v[24:25], v[18:19], v[8:9]
	v_mul_f64_e32 v[8:9], v[20:21], v[8:9]
	s_delay_alu instid0(VALU_DEP_4) | instskip(NEXT) | instid1(VALU_DEP_4)
	v_fma_f64 v[14:15], v[14:15], v[2:3], -v[22:23]
	v_fma_f64 v[1:2], v[16:17], v[2:3], v[4:5]
	s_delay_alu instid0(VALU_DEP_4) | instskip(NEXT) | instid1(VALU_DEP_4)
	v_fma_f64 v[3:4], v[20:21], v[6:7], v[24:25]
	v_fma_f64 v[5:6], v[18:19], v[6:7], -v[8:9]
	s_delay_alu instid0(VALU_DEP_4) | instskip(NEXT) | instid1(VALU_DEP_4)
	v_add_f64_e32 v[7:8], 0, v[14:15]
	v_add_f64_e32 v[1:2], 0, v[1:2]
	s_delay_alu instid0(VALU_DEP_2) | instskip(NEXT) | instid1(VALU_DEP_2)
	v_add_f64_e32 v[5:6], v[7:8], v[5:6]
	v_add_f64_e32 v[3:4], v[1:2], v[3:4]
	s_wait_loadcnt 0x0
	s_delay_alu instid0(VALU_DEP_2) | instskip(NEXT) | instid1(VALU_DEP_2)
	v_add_f64_e64 v[1:2], v[10:11], -v[5:6]
	v_add_f64_e64 v[3:4], v[12:13], -v[3:4]
	scratch_store_b128 off, v[1:4], off offset:608
	v_cmpx_lt_u32_e32 36, v0
	s_cbranch_execz .LBB39_181
; %bb.180:
	scratch_load_b128 v[1:4], off, s27
	v_mov_b32_e32 v5, 0
	s_delay_alu instid0(VALU_DEP_1)
	v_dual_mov_b32 v6, v5 :: v_dual_mov_b32 v7, v5
	v_mov_b32_e32 v8, v5
	scratch_store_b128 off, v[5:8], off offset:592
	s_wait_loadcnt 0x0
	ds_store_b128 v126, v[1:4]
.LBB39_181:
	s_wait_alu 0xfffe
	s_or_b32 exec_lo, exec_lo, s0
	s_wait_storecnt_dscnt 0x0
	s_barrier_signal -1
	s_barrier_wait -1
	global_inv scope:SCOPE_SE
	s_clause 0x3
	scratch_load_b128 v[2:5], off, off offset:608
	scratch_load_b128 v[6:9], off, off offset:624
	;; [unrolled: 1-line block ×4, first 2 shown]
	v_mov_b32_e32 v1, 0
	ds_load_b128 v[18:21], v1 offset:1232
	ds_load_b128 v[22:25], v1 offset:1248
	s_mov_b32 s0, exec_lo
	s_wait_loadcnt_dscnt 0x301
	v_mul_f64_e32 v[26:27], v[20:21], v[4:5]
	v_mul_f64_e32 v[4:5], v[18:19], v[4:5]
	s_wait_loadcnt_dscnt 0x200
	v_mul_f64_e32 v[28:29], v[22:23], v[8:9]
	v_mul_f64_e32 v[8:9], v[24:25], v[8:9]
	s_delay_alu instid0(VALU_DEP_4) | instskip(NEXT) | instid1(VALU_DEP_4)
	v_fma_f64 v[18:19], v[18:19], v[2:3], -v[26:27]
	v_fma_f64 v[20:21], v[20:21], v[2:3], v[4:5]
	ds_load_b128 v[2:5], v1 offset:1264
	v_fma_f64 v[24:25], v[24:25], v[6:7], v[28:29]
	v_fma_f64 v[6:7], v[22:23], v[6:7], -v[8:9]
	s_wait_loadcnt_dscnt 0x100
	v_mul_f64_e32 v[26:27], v[2:3], v[12:13]
	v_mul_f64_e32 v[12:13], v[4:5], v[12:13]
	v_add_f64_e32 v[8:9], 0, v[18:19]
	v_add_f64_e32 v[18:19], 0, v[20:21]
	s_delay_alu instid0(VALU_DEP_4) | instskip(NEXT) | instid1(VALU_DEP_4)
	v_fma_f64 v[4:5], v[4:5], v[10:11], v[26:27]
	v_fma_f64 v[2:3], v[2:3], v[10:11], -v[12:13]
	s_delay_alu instid0(VALU_DEP_4) | instskip(NEXT) | instid1(VALU_DEP_4)
	v_add_f64_e32 v[6:7], v[8:9], v[6:7]
	v_add_f64_e32 v[8:9], v[18:19], v[24:25]
	s_delay_alu instid0(VALU_DEP_2) | instskip(NEXT) | instid1(VALU_DEP_2)
	v_add_f64_e32 v[2:3], v[6:7], v[2:3]
	v_add_f64_e32 v[4:5], v[8:9], v[4:5]
	s_wait_loadcnt 0x0
	s_delay_alu instid0(VALU_DEP_2) | instskip(NEXT) | instid1(VALU_DEP_2)
	v_add_f64_e64 v[2:3], v[14:15], -v[2:3]
	v_add_f64_e64 v[4:5], v[16:17], -v[4:5]
	scratch_store_b128 off, v[2:5], off offset:592
	v_cmpx_lt_u32_e32 35, v0
	s_cbranch_execz .LBB39_183
; %bb.182:
	scratch_load_b128 v[5:8], off, s4
	v_dual_mov_b32 v2, v1 :: v_dual_mov_b32 v3, v1
	v_mov_b32_e32 v4, v1
	scratch_store_b128 off, v[1:4], off offset:576
	s_wait_loadcnt 0x0
	ds_store_b128 v126, v[5:8]
.LBB39_183:
	s_wait_alu 0xfffe
	s_or_b32 exec_lo, exec_lo, s0
	s_wait_storecnt_dscnt 0x0
	s_barrier_signal -1
	s_barrier_wait -1
	global_inv scope:SCOPE_SE
	s_clause 0x4
	scratch_load_b128 v[2:5], off, off offset:592
	scratch_load_b128 v[6:9], off, off offset:608
	;; [unrolled: 1-line block ×5, first 2 shown]
	ds_load_b128 v[22:25], v1 offset:1216
	ds_load_b128 v[26:29], v1 offset:1232
	s_mov_b32 s0, exec_lo
	s_wait_loadcnt_dscnt 0x401
	v_mul_f64_e32 v[30:31], v[24:25], v[4:5]
	v_mul_f64_e32 v[4:5], v[22:23], v[4:5]
	s_wait_loadcnt_dscnt 0x300
	v_mul_f64_e32 v[32:33], v[26:27], v[8:9]
	v_mul_f64_e32 v[8:9], v[28:29], v[8:9]
	s_delay_alu instid0(VALU_DEP_4) | instskip(NEXT) | instid1(VALU_DEP_4)
	v_fma_f64 v[30:31], v[22:23], v[2:3], -v[30:31]
	v_fma_f64 v[34:35], v[24:25], v[2:3], v[4:5]
	ds_load_b128 v[2:5], v1 offset:1248
	ds_load_b128 v[22:25], v1 offset:1264
	v_fma_f64 v[28:29], v[28:29], v[6:7], v[32:33]
	v_fma_f64 v[6:7], v[26:27], v[6:7], -v[8:9]
	s_wait_loadcnt_dscnt 0x201
	v_mul_f64_e32 v[36:37], v[2:3], v[12:13]
	v_mul_f64_e32 v[12:13], v[4:5], v[12:13]
	v_add_f64_e32 v[8:9], 0, v[30:31]
	v_add_f64_e32 v[26:27], 0, v[34:35]
	s_wait_loadcnt_dscnt 0x100
	v_mul_f64_e32 v[30:31], v[22:23], v[16:17]
	v_mul_f64_e32 v[16:17], v[24:25], v[16:17]
	v_fma_f64 v[4:5], v[4:5], v[10:11], v[36:37]
	v_fma_f64 v[1:2], v[2:3], v[10:11], -v[12:13]
	v_add_f64_e32 v[6:7], v[8:9], v[6:7]
	v_add_f64_e32 v[8:9], v[26:27], v[28:29]
	v_fma_f64 v[10:11], v[24:25], v[14:15], v[30:31]
	v_fma_f64 v[12:13], v[22:23], v[14:15], -v[16:17]
	s_delay_alu instid0(VALU_DEP_4) | instskip(NEXT) | instid1(VALU_DEP_4)
	v_add_f64_e32 v[1:2], v[6:7], v[1:2]
	v_add_f64_e32 v[3:4], v[8:9], v[4:5]
	s_delay_alu instid0(VALU_DEP_2) | instskip(NEXT) | instid1(VALU_DEP_2)
	v_add_f64_e32 v[1:2], v[1:2], v[12:13]
	v_add_f64_e32 v[3:4], v[3:4], v[10:11]
	s_wait_loadcnt 0x0
	s_delay_alu instid0(VALU_DEP_2) | instskip(NEXT) | instid1(VALU_DEP_2)
	v_add_f64_e64 v[1:2], v[18:19], -v[1:2]
	v_add_f64_e64 v[3:4], v[20:21], -v[3:4]
	scratch_store_b128 off, v[1:4], off offset:576
	v_cmpx_lt_u32_e32 34, v0
	s_cbranch_execz .LBB39_185
; %bb.184:
	scratch_load_b128 v[1:4], off, s8
	v_mov_b32_e32 v5, 0
	s_delay_alu instid0(VALU_DEP_1)
	v_dual_mov_b32 v6, v5 :: v_dual_mov_b32 v7, v5
	v_mov_b32_e32 v8, v5
	scratch_store_b128 off, v[5:8], off offset:560
	s_wait_loadcnt 0x0
	ds_store_b128 v126, v[1:4]
.LBB39_185:
	s_wait_alu 0xfffe
	s_or_b32 exec_lo, exec_lo, s0
	s_wait_storecnt_dscnt 0x0
	s_barrier_signal -1
	s_barrier_wait -1
	global_inv scope:SCOPE_SE
	s_clause 0x5
	scratch_load_b128 v[2:5], off, off offset:576
	scratch_load_b128 v[6:9], off, off offset:592
	;; [unrolled: 1-line block ×6, first 2 shown]
	v_mov_b32_e32 v1, 0
	ds_load_b128 v[26:29], v1 offset:1200
	ds_load_b128 v[30:33], v1 offset:1216
	s_mov_b32 s0, exec_lo
	s_wait_loadcnt_dscnt 0x501
	v_mul_f64_e32 v[34:35], v[28:29], v[4:5]
	v_mul_f64_e32 v[4:5], v[26:27], v[4:5]
	s_wait_loadcnt_dscnt 0x400
	v_mul_f64_e32 v[36:37], v[30:31], v[8:9]
	v_mul_f64_e32 v[8:9], v[32:33], v[8:9]
	s_delay_alu instid0(VALU_DEP_4) | instskip(NEXT) | instid1(VALU_DEP_4)
	v_fma_f64 v[34:35], v[26:27], v[2:3], -v[34:35]
	v_fma_f64 v[38:39], v[28:29], v[2:3], v[4:5]
	ds_load_b128 v[2:5], v1 offset:1232
	ds_load_b128 v[26:29], v1 offset:1248
	v_fma_f64 v[32:33], v[32:33], v[6:7], v[36:37]
	v_fma_f64 v[6:7], v[30:31], v[6:7], -v[8:9]
	s_wait_loadcnt_dscnt 0x301
	v_mul_f64_e32 v[40:41], v[2:3], v[12:13]
	v_mul_f64_e32 v[12:13], v[4:5], v[12:13]
	v_add_f64_e32 v[8:9], 0, v[34:35]
	v_add_f64_e32 v[30:31], 0, v[38:39]
	s_wait_loadcnt_dscnt 0x200
	v_mul_f64_e32 v[34:35], v[26:27], v[16:17]
	v_mul_f64_e32 v[16:17], v[28:29], v[16:17]
	v_fma_f64 v[36:37], v[4:5], v[10:11], v[40:41]
	v_fma_f64 v[10:11], v[2:3], v[10:11], -v[12:13]
	ds_load_b128 v[2:5], v1 offset:1264
	v_add_f64_e32 v[6:7], v[8:9], v[6:7]
	v_add_f64_e32 v[8:9], v[30:31], v[32:33]
	v_fma_f64 v[28:29], v[28:29], v[14:15], v[34:35]
	v_fma_f64 v[14:15], v[26:27], v[14:15], -v[16:17]
	s_wait_loadcnt_dscnt 0x100
	v_mul_f64_e32 v[12:13], v[2:3], v[20:21]
	v_mul_f64_e32 v[20:21], v[4:5], v[20:21]
	v_add_f64_e32 v[6:7], v[6:7], v[10:11]
	v_add_f64_e32 v[8:9], v[8:9], v[36:37]
	s_delay_alu instid0(VALU_DEP_4) | instskip(NEXT) | instid1(VALU_DEP_4)
	v_fma_f64 v[4:5], v[4:5], v[18:19], v[12:13]
	v_fma_f64 v[2:3], v[2:3], v[18:19], -v[20:21]
	s_delay_alu instid0(VALU_DEP_4) | instskip(NEXT) | instid1(VALU_DEP_4)
	v_add_f64_e32 v[6:7], v[6:7], v[14:15]
	v_add_f64_e32 v[8:9], v[8:9], v[28:29]
	s_delay_alu instid0(VALU_DEP_2) | instskip(NEXT) | instid1(VALU_DEP_2)
	v_add_f64_e32 v[2:3], v[6:7], v[2:3]
	v_add_f64_e32 v[4:5], v[8:9], v[4:5]
	s_wait_loadcnt 0x0
	s_delay_alu instid0(VALU_DEP_2) | instskip(NEXT) | instid1(VALU_DEP_2)
	v_add_f64_e64 v[2:3], v[22:23], -v[2:3]
	v_add_f64_e64 v[4:5], v[24:25], -v[4:5]
	scratch_store_b128 off, v[2:5], off offset:560
	v_cmpx_lt_u32_e32 33, v0
	s_cbranch_execz .LBB39_187
; %bb.186:
	scratch_load_b128 v[5:8], off, s5
	v_dual_mov_b32 v2, v1 :: v_dual_mov_b32 v3, v1
	v_mov_b32_e32 v4, v1
	scratch_store_b128 off, v[1:4], off offset:544
	s_wait_loadcnt 0x0
	ds_store_b128 v126, v[5:8]
.LBB39_187:
	s_wait_alu 0xfffe
	s_or_b32 exec_lo, exec_lo, s0
	s_wait_storecnt_dscnt 0x0
	s_barrier_signal -1
	s_barrier_wait -1
	global_inv scope:SCOPE_SE
	s_clause 0x5
	scratch_load_b128 v[2:5], off, off offset:560
	scratch_load_b128 v[6:9], off, off offset:576
	;; [unrolled: 1-line block ×6, first 2 shown]
	ds_load_b128 v[26:29], v1 offset:1184
	ds_load_b128 v[34:37], v1 offset:1200
	scratch_load_b128 v[30:33], off, off offset:544
	s_mov_b32 s0, exec_lo
	s_wait_loadcnt_dscnt 0x601
	v_mul_f64_e32 v[38:39], v[28:29], v[4:5]
	v_mul_f64_e32 v[4:5], v[26:27], v[4:5]
	s_wait_loadcnt_dscnt 0x500
	v_mul_f64_e32 v[40:41], v[34:35], v[8:9]
	v_mul_f64_e32 v[8:9], v[36:37], v[8:9]
	s_delay_alu instid0(VALU_DEP_4) | instskip(NEXT) | instid1(VALU_DEP_4)
	v_fma_f64 v[38:39], v[26:27], v[2:3], -v[38:39]
	v_fma_f64 v[42:43], v[28:29], v[2:3], v[4:5]
	ds_load_b128 v[2:5], v1 offset:1216
	ds_load_b128 v[26:29], v1 offset:1232
	v_fma_f64 v[36:37], v[36:37], v[6:7], v[40:41]
	v_fma_f64 v[6:7], v[34:35], v[6:7], -v[8:9]
	s_wait_loadcnt_dscnt 0x401
	v_mul_f64_e32 v[44:45], v[2:3], v[12:13]
	v_mul_f64_e32 v[12:13], v[4:5], v[12:13]
	v_add_f64_e32 v[8:9], 0, v[38:39]
	v_add_f64_e32 v[34:35], 0, v[42:43]
	s_wait_loadcnt_dscnt 0x300
	v_mul_f64_e32 v[38:39], v[26:27], v[16:17]
	v_mul_f64_e32 v[16:17], v[28:29], v[16:17]
	v_fma_f64 v[40:41], v[4:5], v[10:11], v[44:45]
	v_fma_f64 v[10:11], v[2:3], v[10:11], -v[12:13]
	v_add_f64_e32 v[12:13], v[8:9], v[6:7]
	v_add_f64_e32 v[34:35], v[34:35], v[36:37]
	ds_load_b128 v[2:5], v1 offset:1248
	ds_load_b128 v[6:9], v1 offset:1264
	v_fma_f64 v[28:29], v[28:29], v[14:15], v[38:39]
	v_fma_f64 v[14:15], v[26:27], v[14:15], -v[16:17]
	s_wait_loadcnt_dscnt 0x201
	v_mul_f64_e32 v[36:37], v[2:3], v[20:21]
	v_mul_f64_e32 v[20:21], v[4:5], v[20:21]
	s_wait_loadcnt_dscnt 0x100
	v_mul_f64_e32 v[16:17], v[6:7], v[24:25]
	v_mul_f64_e32 v[24:25], v[8:9], v[24:25]
	v_add_f64_e32 v[10:11], v[12:13], v[10:11]
	v_add_f64_e32 v[12:13], v[34:35], v[40:41]
	v_fma_f64 v[4:5], v[4:5], v[18:19], v[36:37]
	v_fma_f64 v[1:2], v[2:3], v[18:19], -v[20:21]
	v_fma_f64 v[8:9], v[8:9], v[22:23], v[16:17]
	v_fma_f64 v[6:7], v[6:7], v[22:23], -v[24:25]
	v_add_f64_e32 v[10:11], v[10:11], v[14:15]
	v_add_f64_e32 v[12:13], v[12:13], v[28:29]
	s_delay_alu instid0(VALU_DEP_2) | instskip(NEXT) | instid1(VALU_DEP_2)
	v_add_f64_e32 v[1:2], v[10:11], v[1:2]
	v_add_f64_e32 v[3:4], v[12:13], v[4:5]
	s_delay_alu instid0(VALU_DEP_2) | instskip(NEXT) | instid1(VALU_DEP_2)
	v_add_f64_e32 v[1:2], v[1:2], v[6:7]
	v_add_f64_e32 v[3:4], v[3:4], v[8:9]
	s_wait_loadcnt 0x0
	s_delay_alu instid0(VALU_DEP_2) | instskip(NEXT) | instid1(VALU_DEP_2)
	v_add_f64_e64 v[1:2], v[30:31], -v[1:2]
	v_add_f64_e64 v[3:4], v[32:33], -v[3:4]
	scratch_store_b128 off, v[1:4], off offset:544
	v_cmpx_lt_u32_e32 32, v0
	s_cbranch_execz .LBB39_189
; %bb.188:
	scratch_load_b128 v[1:4], off, s10
	v_mov_b32_e32 v5, 0
	s_delay_alu instid0(VALU_DEP_1)
	v_dual_mov_b32 v6, v5 :: v_dual_mov_b32 v7, v5
	v_mov_b32_e32 v8, v5
	scratch_store_b128 off, v[5:8], off offset:528
	s_wait_loadcnt 0x0
	ds_store_b128 v126, v[1:4]
.LBB39_189:
	s_wait_alu 0xfffe
	s_or_b32 exec_lo, exec_lo, s0
	s_wait_storecnt_dscnt 0x0
	s_barrier_signal -1
	s_barrier_wait -1
	global_inv scope:SCOPE_SE
	s_clause 0x6
	scratch_load_b128 v[2:5], off, off offset:544
	scratch_load_b128 v[6:9], off, off offset:560
	;; [unrolled: 1-line block ×7, first 2 shown]
	v_mov_b32_e32 v1, 0
	scratch_load_b128 v[34:37], off, off offset:528
	s_mov_b32 s0, exec_lo
	ds_load_b128 v[30:33], v1 offset:1168
	ds_load_b128 v[38:41], v1 offset:1184
	s_wait_loadcnt_dscnt 0x701
	v_mul_f64_e32 v[42:43], v[32:33], v[4:5]
	v_mul_f64_e32 v[4:5], v[30:31], v[4:5]
	s_wait_loadcnt_dscnt 0x600
	v_mul_f64_e32 v[44:45], v[38:39], v[8:9]
	v_mul_f64_e32 v[8:9], v[40:41], v[8:9]
	s_delay_alu instid0(VALU_DEP_4) | instskip(NEXT) | instid1(VALU_DEP_4)
	v_fma_f64 v[42:43], v[30:31], v[2:3], -v[42:43]
	v_fma_f64 v[127:128], v[32:33], v[2:3], v[4:5]
	ds_load_b128 v[2:5], v1 offset:1200
	ds_load_b128 v[30:33], v1 offset:1216
	v_fma_f64 v[40:41], v[40:41], v[6:7], v[44:45]
	v_fma_f64 v[6:7], v[38:39], v[6:7], -v[8:9]
	s_wait_loadcnt_dscnt 0x501
	v_mul_f64_e32 v[129:130], v[2:3], v[12:13]
	v_mul_f64_e32 v[12:13], v[4:5], v[12:13]
	v_add_f64_e32 v[8:9], 0, v[42:43]
	v_add_f64_e32 v[38:39], 0, v[127:128]
	s_wait_loadcnt_dscnt 0x400
	v_mul_f64_e32 v[42:43], v[30:31], v[16:17]
	v_mul_f64_e32 v[16:17], v[32:33], v[16:17]
	v_fma_f64 v[44:45], v[4:5], v[10:11], v[129:130]
	v_fma_f64 v[10:11], v[2:3], v[10:11], -v[12:13]
	v_add_f64_e32 v[12:13], v[8:9], v[6:7]
	v_add_f64_e32 v[38:39], v[38:39], v[40:41]
	ds_load_b128 v[2:5], v1 offset:1232
	ds_load_b128 v[6:9], v1 offset:1248
	v_fma_f64 v[32:33], v[32:33], v[14:15], v[42:43]
	v_fma_f64 v[14:15], v[30:31], v[14:15], -v[16:17]
	s_wait_loadcnt_dscnt 0x301
	v_mul_f64_e32 v[40:41], v[2:3], v[20:21]
	v_mul_f64_e32 v[20:21], v[4:5], v[20:21]
	s_wait_loadcnt_dscnt 0x200
	v_mul_f64_e32 v[16:17], v[6:7], v[24:25]
	v_mul_f64_e32 v[24:25], v[8:9], v[24:25]
	v_add_f64_e32 v[10:11], v[12:13], v[10:11]
	v_add_f64_e32 v[12:13], v[38:39], v[44:45]
	v_fma_f64 v[30:31], v[4:5], v[18:19], v[40:41]
	v_fma_f64 v[18:19], v[2:3], v[18:19], -v[20:21]
	ds_load_b128 v[2:5], v1 offset:1264
	v_fma_f64 v[8:9], v[8:9], v[22:23], v[16:17]
	v_fma_f64 v[6:7], v[6:7], v[22:23], -v[24:25]
	v_add_f64_e32 v[10:11], v[10:11], v[14:15]
	v_add_f64_e32 v[12:13], v[12:13], v[32:33]
	s_wait_loadcnt_dscnt 0x100
	v_mul_f64_e32 v[14:15], v[2:3], v[28:29]
	v_mul_f64_e32 v[20:21], v[4:5], v[28:29]
	s_delay_alu instid0(VALU_DEP_4) | instskip(NEXT) | instid1(VALU_DEP_4)
	v_add_f64_e32 v[10:11], v[10:11], v[18:19]
	v_add_f64_e32 v[12:13], v[12:13], v[30:31]
	s_delay_alu instid0(VALU_DEP_4) | instskip(NEXT) | instid1(VALU_DEP_4)
	v_fma_f64 v[4:5], v[4:5], v[26:27], v[14:15]
	v_fma_f64 v[2:3], v[2:3], v[26:27], -v[20:21]
	s_delay_alu instid0(VALU_DEP_4) | instskip(NEXT) | instid1(VALU_DEP_4)
	v_add_f64_e32 v[6:7], v[10:11], v[6:7]
	v_add_f64_e32 v[8:9], v[12:13], v[8:9]
	s_delay_alu instid0(VALU_DEP_2) | instskip(NEXT) | instid1(VALU_DEP_2)
	v_add_f64_e32 v[2:3], v[6:7], v[2:3]
	v_add_f64_e32 v[4:5], v[8:9], v[4:5]
	s_wait_loadcnt 0x0
	s_delay_alu instid0(VALU_DEP_2) | instskip(NEXT) | instid1(VALU_DEP_2)
	v_add_f64_e64 v[2:3], v[34:35], -v[2:3]
	v_add_f64_e64 v[4:5], v[36:37], -v[4:5]
	scratch_store_b128 off, v[2:5], off offset:528
	v_cmpx_lt_u32_e32 31, v0
	s_cbranch_execz .LBB39_191
; %bb.190:
	scratch_load_b128 v[5:8], off, s9
	v_dual_mov_b32 v2, v1 :: v_dual_mov_b32 v3, v1
	v_mov_b32_e32 v4, v1
	scratch_store_b128 off, v[1:4], off offset:512
	s_wait_loadcnt 0x0
	ds_store_b128 v126, v[5:8]
.LBB39_191:
	s_wait_alu 0xfffe
	s_or_b32 exec_lo, exec_lo, s0
	s_wait_storecnt_dscnt 0x0
	s_barrier_signal -1
	s_barrier_wait -1
	global_inv scope:SCOPE_SE
	s_clause 0x7
	scratch_load_b128 v[2:5], off, off offset:528
	scratch_load_b128 v[6:9], off, off offset:544
	;; [unrolled: 1-line block ×8, first 2 shown]
	ds_load_b128 v[34:37], v1 offset:1152
	ds_load_b128 v[38:41], v1 offset:1168
	scratch_load_b128 v[42:45], off, off offset:512
	s_mov_b32 s0, exec_lo
	s_wait_loadcnt_dscnt 0x801
	v_mul_f64_e32 v[127:128], v[36:37], v[4:5]
	v_mul_f64_e32 v[4:5], v[34:35], v[4:5]
	s_wait_loadcnt_dscnt 0x700
	v_mul_f64_e32 v[129:130], v[38:39], v[8:9]
	v_mul_f64_e32 v[8:9], v[40:41], v[8:9]
	s_delay_alu instid0(VALU_DEP_4) | instskip(NEXT) | instid1(VALU_DEP_4)
	v_fma_f64 v[127:128], v[34:35], v[2:3], -v[127:128]
	v_fma_f64 v[131:132], v[36:37], v[2:3], v[4:5]
	ds_load_b128 v[2:5], v1 offset:1184
	ds_load_b128 v[34:37], v1 offset:1200
	v_fma_f64 v[40:41], v[40:41], v[6:7], v[129:130]
	v_fma_f64 v[6:7], v[38:39], v[6:7], -v[8:9]
	s_wait_loadcnt_dscnt 0x601
	v_mul_f64_e32 v[133:134], v[2:3], v[12:13]
	v_mul_f64_e32 v[12:13], v[4:5], v[12:13]
	v_add_f64_e32 v[8:9], 0, v[127:128]
	v_add_f64_e32 v[38:39], 0, v[131:132]
	s_wait_loadcnt_dscnt 0x500
	v_mul_f64_e32 v[127:128], v[34:35], v[16:17]
	v_mul_f64_e32 v[16:17], v[36:37], v[16:17]
	v_fma_f64 v[129:130], v[4:5], v[10:11], v[133:134]
	v_fma_f64 v[10:11], v[2:3], v[10:11], -v[12:13]
	v_add_f64_e32 v[12:13], v[8:9], v[6:7]
	v_add_f64_e32 v[38:39], v[38:39], v[40:41]
	ds_load_b128 v[2:5], v1 offset:1216
	ds_load_b128 v[6:9], v1 offset:1232
	v_fma_f64 v[36:37], v[36:37], v[14:15], v[127:128]
	v_fma_f64 v[14:15], v[34:35], v[14:15], -v[16:17]
	s_wait_loadcnt_dscnt 0x401
	v_mul_f64_e32 v[40:41], v[2:3], v[20:21]
	v_mul_f64_e32 v[20:21], v[4:5], v[20:21]
	s_wait_loadcnt_dscnt 0x300
	v_mul_f64_e32 v[16:17], v[6:7], v[24:25]
	v_mul_f64_e32 v[24:25], v[8:9], v[24:25]
	v_add_f64_e32 v[10:11], v[12:13], v[10:11]
	v_add_f64_e32 v[12:13], v[38:39], v[129:130]
	v_fma_f64 v[34:35], v[4:5], v[18:19], v[40:41]
	v_fma_f64 v[18:19], v[2:3], v[18:19], -v[20:21]
	v_fma_f64 v[8:9], v[8:9], v[22:23], v[16:17]
	v_fma_f64 v[6:7], v[6:7], v[22:23], -v[24:25]
	v_add_f64_e32 v[14:15], v[10:11], v[14:15]
	v_add_f64_e32 v[20:21], v[12:13], v[36:37]
	ds_load_b128 v[2:5], v1 offset:1248
	ds_load_b128 v[10:13], v1 offset:1264
	s_wait_loadcnt_dscnt 0x201
	v_mul_f64_e32 v[36:37], v[2:3], v[28:29]
	v_mul_f64_e32 v[28:29], v[4:5], v[28:29]
	v_add_f64_e32 v[14:15], v[14:15], v[18:19]
	v_add_f64_e32 v[16:17], v[20:21], v[34:35]
	s_wait_loadcnt_dscnt 0x100
	v_mul_f64_e32 v[18:19], v[10:11], v[32:33]
	v_mul_f64_e32 v[20:21], v[12:13], v[32:33]
	v_fma_f64 v[4:5], v[4:5], v[26:27], v[36:37]
	v_fma_f64 v[1:2], v[2:3], v[26:27], -v[28:29]
	v_add_f64_e32 v[6:7], v[14:15], v[6:7]
	v_add_f64_e32 v[8:9], v[16:17], v[8:9]
	v_fma_f64 v[12:13], v[12:13], v[30:31], v[18:19]
	v_fma_f64 v[10:11], v[10:11], v[30:31], -v[20:21]
	s_delay_alu instid0(VALU_DEP_4) | instskip(NEXT) | instid1(VALU_DEP_4)
	v_add_f64_e32 v[1:2], v[6:7], v[1:2]
	v_add_f64_e32 v[3:4], v[8:9], v[4:5]
	s_delay_alu instid0(VALU_DEP_2) | instskip(NEXT) | instid1(VALU_DEP_2)
	v_add_f64_e32 v[1:2], v[1:2], v[10:11]
	v_add_f64_e32 v[3:4], v[3:4], v[12:13]
	s_wait_loadcnt 0x0
	s_delay_alu instid0(VALU_DEP_2) | instskip(NEXT) | instid1(VALU_DEP_2)
	v_add_f64_e64 v[1:2], v[42:43], -v[1:2]
	v_add_f64_e64 v[3:4], v[44:45], -v[3:4]
	scratch_store_b128 off, v[1:4], off offset:512
	v_cmpx_lt_u32_e32 30, v0
	s_cbranch_execz .LBB39_193
; %bb.192:
	scratch_load_b128 v[1:4], off, s12
	v_mov_b32_e32 v5, 0
	s_delay_alu instid0(VALU_DEP_1)
	v_dual_mov_b32 v6, v5 :: v_dual_mov_b32 v7, v5
	v_mov_b32_e32 v8, v5
	scratch_store_b128 off, v[5:8], off offset:496
	s_wait_loadcnt 0x0
	ds_store_b128 v126, v[1:4]
.LBB39_193:
	s_wait_alu 0xfffe
	s_or_b32 exec_lo, exec_lo, s0
	s_wait_storecnt_dscnt 0x0
	s_barrier_signal -1
	s_barrier_wait -1
	global_inv scope:SCOPE_SE
	s_clause 0x7
	scratch_load_b128 v[2:5], off, off offset:512
	scratch_load_b128 v[6:9], off, off offset:528
	;; [unrolled: 1-line block ×8, first 2 shown]
	v_mov_b32_e32 v1, 0
	s_mov_b32 s0, exec_lo
	ds_load_b128 v[34:37], v1 offset:1136
	s_clause 0x1
	scratch_load_b128 v[38:41], off, off offset:640
	scratch_load_b128 v[42:45], off, off offset:496
	ds_load_b128 v[127:130], v1 offset:1152
	s_wait_loadcnt_dscnt 0x901
	v_mul_f64_e32 v[131:132], v[36:37], v[4:5]
	v_mul_f64_e32 v[4:5], v[34:35], v[4:5]
	s_wait_loadcnt_dscnt 0x800
	v_mul_f64_e32 v[133:134], v[127:128], v[8:9]
	v_mul_f64_e32 v[8:9], v[129:130], v[8:9]
	s_delay_alu instid0(VALU_DEP_4) | instskip(NEXT) | instid1(VALU_DEP_4)
	v_fma_f64 v[131:132], v[34:35], v[2:3], -v[131:132]
	v_fma_f64 v[135:136], v[36:37], v[2:3], v[4:5]
	ds_load_b128 v[2:5], v1 offset:1168
	ds_load_b128 v[34:37], v1 offset:1184
	v_fma_f64 v[129:130], v[129:130], v[6:7], v[133:134]
	v_fma_f64 v[6:7], v[127:128], v[6:7], -v[8:9]
	s_wait_loadcnt_dscnt 0x701
	v_mul_f64_e32 v[137:138], v[2:3], v[12:13]
	v_mul_f64_e32 v[12:13], v[4:5], v[12:13]
	v_add_f64_e32 v[8:9], 0, v[131:132]
	v_add_f64_e32 v[127:128], 0, v[135:136]
	s_wait_loadcnt_dscnt 0x600
	v_mul_f64_e32 v[131:132], v[34:35], v[16:17]
	v_mul_f64_e32 v[16:17], v[36:37], v[16:17]
	v_fma_f64 v[133:134], v[4:5], v[10:11], v[137:138]
	v_fma_f64 v[10:11], v[2:3], v[10:11], -v[12:13]
	v_add_f64_e32 v[12:13], v[8:9], v[6:7]
	v_add_f64_e32 v[127:128], v[127:128], v[129:130]
	ds_load_b128 v[2:5], v1 offset:1200
	ds_load_b128 v[6:9], v1 offset:1216
	v_fma_f64 v[36:37], v[36:37], v[14:15], v[131:132]
	v_fma_f64 v[14:15], v[34:35], v[14:15], -v[16:17]
	s_wait_loadcnt_dscnt 0x501
	v_mul_f64_e32 v[129:130], v[2:3], v[20:21]
	v_mul_f64_e32 v[20:21], v[4:5], v[20:21]
	s_wait_loadcnt_dscnt 0x400
	v_mul_f64_e32 v[16:17], v[6:7], v[24:25]
	v_mul_f64_e32 v[24:25], v[8:9], v[24:25]
	v_add_f64_e32 v[10:11], v[12:13], v[10:11]
	v_add_f64_e32 v[12:13], v[127:128], v[133:134]
	v_fma_f64 v[34:35], v[4:5], v[18:19], v[129:130]
	v_fma_f64 v[18:19], v[2:3], v[18:19], -v[20:21]
	v_fma_f64 v[8:9], v[8:9], v[22:23], v[16:17]
	v_fma_f64 v[6:7], v[6:7], v[22:23], -v[24:25]
	v_add_f64_e32 v[14:15], v[10:11], v[14:15]
	v_add_f64_e32 v[20:21], v[12:13], v[36:37]
	ds_load_b128 v[2:5], v1 offset:1232
	ds_load_b128 v[10:13], v1 offset:1248
	s_wait_loadcnt_dscnt 0x301
	v_mul_f64_e32 v[36:37], v[2:3], v[28:29]
	v_mul_f64_e32 v[28:29], v[4:5], v[28:29]
	v_add_f64_e32 v[14:15], v[14:15], v[18:19]
	v_add_f64_e32 v[16:17], v[20:21], v[34:35]
	s_wait_loadcnt_dscnt 0x200
	v_mul_f64_e32 v[18:19], v[10:11], v[32:33]
	v_mul_f64_e32 v[20:21], v[12:13], v[32:33]
	v_fma_f64 v[22:23], v[4:5], v[26:27], v[36:37]
	v_fma_f64 v[24:25], v[2:3], v[26:27], -v[28:29]
	ds_load_b128 v[2:5], v1 offset:1264
	v_add_f64_e32 v[6:7], v[14:15], v[6:7]
	v_add_f64_e32 v[8:9], v[16:17], v[8:9]
	v_fma_f64 v[12:13], v[12:13], v[30:31], v[18:19]
	v_fma_f64 v[10:11], v[10:11], v[30:31], -v[20:21]
	s_wait_loadcnt_dscnt 0x100
	v_mul_f64_e32 v[14:15], v[2:3], v[40:41]
	v_mul_f64_e32 v[16:17], v[4:5], v[40:41]
	v_add_f64_e32 v[6:7], v[6:7], v[24:25]
	v_add_f64_e32 v[8:9], v[8:9], v[22:23]
	s_delay_alu instid0(VALU_DEP_4) | instskip(NEXT) | instid1(VALU_DEP_4)
	v_fma_f64 v[4:5], v[4:5], v[38:39], v[14:15]
	v_fma_f64 v[2:3], v[2:3], v[38:39], -v[16:17]
	s_delay_alu instid0(VALU_DEP_4) | instskip(NEXT) | instid1(VALU_DEP_4)
	v_add_f64_e32 v[6:7], v[6:7], v[10:11]
	v_add_f64_e32 v[8:9], v[8:9], v[12:13]
	s_delay_alu instid0(VALU_DEP_2) | instskip(NEXT) | instid1(VALU_DEP_2)
	v_add_f64_e32 v[2:3], v[6:7], v[2:3]
	v_add_f64_e32 v[4:5], v[8:9], v[4:5]
	s_wait_loadcnt 0x0
	s_delay_alu instid0(VALU_DEP_2) | instskip(NEXT) | instid1(VALU_DEP_2)
	v_add_f64_e64 v[2:3], v[42:43], -v[2:3]
	v_add_f64_e64 v[4:5], v[44:45], -v[4:5]
	scratch_store_b128 off, v[2:5], off offset:496
	v_cmpx_lt_u32_e32 29, v0
	s_cbranch_execz .LBB39_195
; %bb.194:
	scratch_load_b128 v[5:8], off, s11
	v_dual_mov_b32 v2, v1 :: v_dual_mov_b32 v3, v1
	v_mov_b32_e32 v4, v1
	scratch_store_b128 off, v[1:4], off offset:480
	s_wait_loadcnt 0x0
	ds_store_b128 v126, v[5:8]
.LBB39_195:
	s_wait_alu 0xfffe
	s_or_b32 exec_lo, exec_lo, s0
	s_wait_storecnt_dscnt 0x0
	s_barrier_signal -1
	s_barrier_wait -1
	global_inv scope:SCOPE_SE
	s_clause 0x7
	scratch_load_b128 v[2:5], off, off offset:496
	scratch_load_b128 v[6:9], off, off offset:512
	;; [unrolled: 1-line block ×8, first 2 shown]
	ds_load_b128 v[34:37], v1 offset:1120
	ds_load_b128 v[42:45], v1 offset:1136
	s_clause 0x1
	scratch_load_b128 v[38:41], off, off offset:624
	scratch_load_b128 v[127:130], off, off offset:640
	s_mov_b32 s0, exec_lo
	s_wait_loadcnt_dscnt 0x901
	v_mul_f64_e32 v[131:132], v[36:37], v[4:5]
	v_mul_f64_e32 v[4:5], v[34:35], v[4:5]
	s_wait_loadcnt_dscnt 0x800
	v_mul_f64_e32 v[133:134], v[42:43], v[8:9]
	v_mul_f64_e32 v[8:9], v[44:45], v[8:9]
	s_delay_alu instid0(VALU_DEP_4) | instskip(NEXT) | instid1(VALU_DEP_4)
	v_fma_f64 v[34:35], v[34:35], v[2:3], -v[131:132]
	v_fma_f64 v[36:37], v[36:37], v[2:3], v[4:5]
	ds_load_b128 v[2:5], v1 offset:1152
	v_fma_f64 v[44:45], v[44:45], v[6:7], v[133:134]
	v_fma_f64 v[42:43], v[42:43], v[6:7], -v[8:9]
	ds_load_b128 v[6:9], v1 offset:1168
	s_wait_loadcnt_dscnt 0x701
	v_mul_f64_e32 v[131:132], v[2:3], v[12:13]
	v_mul_f64_e32 v[12:13], v[4:5], v[12:13]
	s_wait_loadcnt_dscnt 0x600
	v_mul_f64_e32 v[133:134], v[6:7], v[16:17]
	v_mul_f64_e32 v[16:17], v[8:9], v[16:17]
	v_add_f64_e32 v[34:35], 0, v[34:35]
	v_add_f64_e32 v[36:37], 0, v[36:37]
	v_fma_f64 v[131:132], v[4:5], v[10:11], v[131:132]
	v_fma_f64 v[135:136], v[2:3], v[10:11], -v[12:13]
	ds_load_b128 v[2:5], v1 offset:1184
	scratch_load_b128 v[10:13], off, off offset:480
	v_add_f64_e32 v[34:35], v[34:35], v[42:43]
	v_add_f64_e32 v[36:37], v[36:37], v[44:45]
	v_fma_f64 v[44:45], v[8:9], v[14:15], v[133:134]
	v_fma_f64 v[14:15], v[6:7], v[14:15], -v[16:17]
	ds_load_b128 v[6:9], v1 offset:1200
	s_wait_loadcnt_dscnt 0x601
	v_mul_f64_e32 v[42:43], v[2:3], v[20:21]
	v_mul_f64_e32 v[20:21], v[4:5], v[20:21]
	v_add_f64_e32 v[16:17], v[34:35], v[135:136]
	v_add_f64_e32 v[34:35], v[36:37], v[131:132]
	s_wait_loadcnt_dscnt 0x500
	v_mul_f64_e32 v[36:37], v[6:7], v[24:25]
	v_mul_f64_e32 v[24:25], v[8:9], v[24:25]
	v_fma_f64 v[42:43], v[4:5], v[18:19], v[42:43]
	v_fma_f64 v[18:19], v[2:3], v[18:19], -v[20:21]
	ds_load_b128 v[2:5], v1 offset:1216
	v_add_f64_e32 v[14:15], v[16:17], v[14:15]
	v_add_f64_e32 v[16:17], v[34:35], v[44:45]
	v_fma_f64 v[34:35], v[8:9], v[22:23], v[36:37]
	v_fma_f64 v[22:23], v[6:7], v[22:23], -v[24:25]
	ds_load_b128 v[6:9], v1 offset:1232
	s_wait_loadcnt_dscnt 0x401
	v_mul_f64_e32 v[20:21], v[2:3], v[28:29]
	v_mul_f64_e32 v[28:29], v[4:5], v[28:29]
	s_wait_loadcnt_dscnt 0x300
	v_mul_f64_e32 v[24:25], v[8:9], v[32:33]
	v_add_f64_e32 v[14:15], v[14:15], v[18:19]
	v_add_f64_e32 v[16:17], v[16:17], v[42:43]
	v_mul_f64_e32 v[18:19], v[6:7], v[32:33]
	v_fma_f64 v[20:21], v[4:5], v[26:27], v[20:21]
	v_fma_f64 v[26:27], v[2:3], v[26:27], -v[28:29]
	ds_load_b128 v[2:5], v1 offset:1248
	v_fma_f64 v[24:25], v[6:7], v[30:31], -v[24:25]
	v_add_f64_e32 v[14:15], v[14:15], v[22:23]
	v_add_f64_e32 v[16:17], v[16:17], v[34:35]
	v_fma_f64 v[18:19], v[8:9], v[30:31], v[18:19]
	ds_load_b128 v[6:9], v1 offset:1264
	s_wait_loadcnt_dscnt 0x201
	v_mul_f64_e32 v[22:23], v[2:3], v[40:41]
	v_mul_f64_e32 v[28:29], v[4:5], v[40:41]
	v_add_f64_e32 v[14:15], v[14:15], v[26:27]
	v_add_f64_e32 v[16:17], v[16:17], v[20:21]
	s_wait_loadcnt_dscnt 0x100
	v_mul_f64_e32 v[20:21], v[6:7], v[129:130]
	v_mul_f64_e32 v[26:27], v[8:9], v[129:130]
	v_fma_f64 v[4:5], v[4:5], v[38:39], v[22:23]
	v_fma_f64 v[1:2], v[2:3], v[38:39], -v[28:29]
	v_add_f64_e32 v[14:15], v[14:15], v[24:25]
	v_add_f64_e32 v[16:17], v[16:17], v[18:19]
	v_fma_f64 v[8:9], v[8:9], v[127:128], v[20:21]
	v_fma_f64 v[6:7], v[6:7], v[127:128], -v[26:27]
	s_delay_alu instid0(VALU_DEP_4) | instskip(NEXT) | instid1(VALU_DEP_4)
	v_add_f64_e32 v[1:2], v[14:15], v[1:2]
	v_add_f64_e32 v[3:4], v[16:17], v[4:5]
	s_delay_alu instid0(VALU_DEP_2) | instskip(NEXT) | instid1(VALU_DEP_2)
	v_add_f64_e32 v[1:2], v[1:2], v[6:7]
	v_add_f64_e32 v[3:4], v[3:4], v[8:9]
	s_wait_loadcnt 0x0
	s_delay_alu instid0(VALU_DEP_2) | instskip(NEXT) | instid1(VALU_DEP_2)
	v_add_f64_e64 v[1:2], v[10:11], -v[1:2]
	v_add_f64_e64 v[3:4], v[12:13], -v[3:4]
	scratch_store_b128 off, v[1:4], off offset:480
	v_cmpx_lt_u32_e32 28, v0
	s_cbranch_execz .LBB39_197
; %bb.196:
	scratch_load_b128 v[1:4], off, s14
	v_mov_b32_e32 v5, 0
	s_delay_alu instid0(VALU_DEP_1)
	v_dual_mov_b32 v6, v5 :: v_dual_mov_b32 v7, v5
	v_mov_b32_e32 v8, v5
	scratch_store_b128 off, v[5:8], off offset:464
	s_wait_loadcnt 0x0
	ds_store_b128 v126, v[1:4]
.LBB39_197:
	s_wait_alu 0xfffe
	s_or_b32 exec_lo, exec_lo, s0
	s_wait_storecnt_dscnt 0x0
	s_barrier_signal -1
	s_barrier_wait -1
	global_inv scope:SCOPE_SE
	s_clause 0x7
	scratch_load_b128 v[2:5], off, off offset:480
	scratch_load_b128 v[6:9], off, off offset:496
	;; [unrolled: 1-line block ×8, first 2 shown]
	v_mov_b32_e32 v1, 0
	s_clause 0x1
	scratch_load_b128 v[38:41], off, off offset:608
	scratch_load_b128 v[127:130], off, off offset:624
	s_mov_b32 s0, exec_lo
	ds_load_b128 v[34:37], v1 offset:1104
	ds_load_b128 v[42:45], v1 offset:1120
	s_wait_loadcnt_dscnt 0x901
	v_mul_f64_e32 v[131:132], v[36:37], v[4:5]
	v_mul_f64_e32 v[4:5], v[34:35], v[4:5]
	s_wait_loadcnt_dscnt 0x800
	v_mul_f64_e32 v[133:134], v[42:43], v[8:9]
	v_mul_f64_e32 v[8:9], v[44:45], v[8:9]
	s_delay_alu instid0(VALU_DEP_4) | instskip(NEXT) | instid1(VALU_DEP_4)
	v_fma_f64 v[131:132], v[34:35], v[2:3], -v[131:132]
	v_fma_f64 v[135:136], v[36:37], v[2:3], v[4:5]
	ds_load_b128 v[2:5], v1 offset:1136
	scratch_load_b128 v[34:37], off, off offset:640
	v_fma_f64 v[44:45], v[44:45], v[6:7], v[133:134]
	v_fma_f64 v[42:43], v[42:43], v[6:7], -v[8:9]
	ds_load_b128 v[6:9], v1 offset:1152
	s_wait_loadcnt_dscnt 0x801
	v_mul_f64_e32 v[137:138], v[2:3], v[12:13]
	v_mul_f64_e32 v[12:13], v[4:5], v[12:13]
	v_add_f64_e32 v[131:132], 0, v[131:132]
	v_add_f64_e32 v[133:134], 0, v[135:136]
	s_wait_loadcnt_dscnt 0x700
	v_mul_f64_e32 v[135:136], v[6:7], v[16:17]
	v_mul_f64_e32 v[16:17], v[8:9], v[16:17]
	v_fma_f64 v[137:138], v[4:5], v[10:11], v[137:138]
	v_fma_f64 v[10:11], v[2:3], v[10:11], -v[12:13]
	ds_load_b128 v[2:5], v1 offset:1168
	v_add_f64_e32 v[12:13], v[131:132], v[42:43]
	v_add_f64_e32 v[42:43], v[133:134], v[44:45]
	v_fma_f64 v[131:132], v[8:9], v[14:15], v[135:136]
	v_fma_f64 v[14:15], v[6:7], v[14:15], -v[16:17]
	ds_load_b128 v[6:9], v1 offset:1184
	s_wait_loadcnt_dscnt 0x601
	v_mul_f64_e32 v[44:45], v[2:3], v[20:21]
	v_mul_f64_e32 v[20:21], v[4:5], v[20:21]
	s_wait_loadcnt_dscnt 0x500
	v_mul_f64_e32 v[133:134], v[6:7], v[24:25]
	v_mul_f64_e32 v[24:25], v[8:9], v[24:25]
	v_add_f64_e32 v[16:17], v[12:13], v[10:11]
	v_add_f64_e32 v[42:43], v[42:43], v[137:138]
	scratch_load_b128 v[10:13], off, off offset:464
	v_fma_f64 v[44:45], v[4:5], v[18:19], v[44:45]
	v_fma_f64 v[18:19], v[2:3], v[18:19], -v[20:21]
	ds_load_b128 v[2:5], v1 offset:1200
	v_add_f64_e32 v[14:15], v[16:17], v[14:15]
	v_add_f64_e32 v[16:17], v[42:43], v[131:132]
	v_fma_f64 v[42:43], v[8:9], v[22:23], v[133:134]
	v_fma_f64 v[22:23], v[6:7], v[22:23], -v[24:25]
	ds_load_b128 v[6:9], v1 offset:1216
	s_wait_loadcnt_dscnt 0x501
	v_mul_f64_e32 v[20:21], v[2:3], v[28:29]
	v_mul_f64_e32 v[28:29], v[4:5], v[28:29]
	s_wait_loadcnt_dscnt 0x400
	v_mul_f64_e32 v[24:25], v[8:9], v[32:33]
	v_add_f64_e32 v[14:15], v[14:15], v[18:19]
	v_add_f64_e32 v[16:17], v[16:17], v[44:45]
	v_mul_f64_e32 v[18:19], v[6:7], v[32:33]
	v_fma_f64 v[20:21], v[4:5], v[26:27], v[20:21]
	v_fma_f64 v[26:27], v[2:3], v[26:27], -v[28:29]
	ds_load_b128 v[2:5], v1 offset:1232
	v_fma_f64 v[24:25], v[6:7], v[30:31], -v[24:25]
	v_add_f64_e32 v[14:15], v[14:15], v[22:23]
	v_add_f64_e32 v[16:17], v[16:17], v[42:43]
	v_fma_f64 v[18:19], v[8:9], v[30:31], v[18:19]
	ds_load_b128 v[6:9], v1 offset:1248
	s_wait_loadcnt_dscnt 0x301
	v_mul_f64_e32 v[22:23], v[2:3], v[40:41]
	v_mul_f64_e32 v[28:29], v[4:5], v[40:41]
	v_add_f64_e32 v[14:15], v[14:15], v[26:27]
	v_add_f64_e32 v[16:17], v[16:17], v[20:21]
	s_wait_loadcnt_dscnt 0x200
	v_mul_f64_e32 v[20:21], v[6:7], v[129:130]
	v_mul_f64_e32 v[26:27], v[8:9], v[129:130]
	v_fma_f64 v[22:23], v[4:5], v[38:39], v[22:23]
	v_fma_f64 v[28:29], v[2:3], v[38:39], -v[28:29]
	ds_load_b128 v[2:5], v1 offset:1264
	v_add_f64_e32 v[14:15], v[14:15], v[24:25]
	v_add_f64_e32 v[16:17], v[16:17], v[18:19]
	v_fma_f64 v[8:9], v[8:9], v[127:128], v[20:21]
	v_fma_f64 v[6:7], v[6:7], v[127:128], -v[26:27]
	s_wait_loadcnt_dscnt 0x100
	v_mul_f64_e32 v[18:19], v[2:3], v[36:37]
	v_mul_f64_e32 v[24:25], v[4:5], v[36:37]
	v_add_f64_e32 v[14:15], v[14:15], v[28:29]
	v_add_f64_e32 v[16:17], v[16:17], v[22:23]
	s_delay_alu instid0(VALU_DEP_4) | instskip(NEXT) | instid1(VALU_DEP_4)
	v_fma_f64 v[4:5], v[4:5], v[34:35], v[18:19]
	v_fma_f64 v[2:3], v[2:3], v[34:35], -v[24:25]
	s_delay_alu instid0(VALU_DEP_4) | instskip(NEXT) | instid1(VALU_DEP_4)
	v_add_f64_e32 v[6:7], v[14:15], v[6:7]
	v_add_f64_e32 v[8:9], v[16:17], v[8:9]
	s_delay_alu instid0(VALU_DEP_2) | instskip(NEXT) | instid1(VALU_DEP_2)
	v_add_f64_e32 v[2:3], v[6:7], v[2:3]
	v_add_f64_e32 v[4:5], v[8:9], v[4:5]
	s_wait_loadcnt 0x0
	s_delay_alu instid0(VALU_DEP_2) | instskip(NEXT) | instid1(VALU_DEP_2)
	v_add_f64_e64 v[2:3], v[10:11], -v[2:3]
	v_add_f64_e64 v[4:5], v[12:13], -v[4:5]
	scratch_store_b128 off, v[2:5], off offset:464
	v_cmpx_lt_u32_e32 27, v0
	s_cbranch_execz .LBB39_199
; %bb.198:
	scratch_load_b128 v[5:8], off, s13
	v_dual_mov_b32 v2, v1 :: v_dual_mov_b32 v3, v1
	v_mov_b32_e32 v4, v1
	scratch_store_b128 off, v[1:4], off offset:448
	s_wait_loadcnt 0x0
	ds_store_b128 v126, v[5:8]
.LBB39_199:
	s_wait_alu 0xfffe
	s_or_b32 exec_lo, exec_lo, s0
	s_wait_storecnt_dscnt 0x0
	s_barrier_signal -1
	s_barrier_wait -1
	global_inv scope:SCOPE_SE
	s_clause 0x7
	scratch_load_b128 v[2:5], off, off offset:464
	scratch_load_b128 v[6:9], off, off offset:480
	;; [unrolled: 1-line block ×8, first 2 shown]
	ds_load_b128 v[34:37], v1 offset:1088
	ds_load_b128 v[42:45], v1 offset:1104
	s_clause 0x1
	scratch_load_b128 v[38:41], off, off offset:592
	scratch_load_b128 v[127:130], off, off offset:608
	s_mov_b32 s0, exec_lo
	s_wait_loadcnt_dscnt 0x901
	v_mul_f64_e32 v[131:132], v[36:37], v[4:5]
	v_mul_f64_e32 v[4:5], v[34:35], v[4:5]
	s_wait_loadcnt_dscnt 0x800
	v_mul_f64_e32 v[133:134], v[42:43], v[8:9]
	v_mul_f64_e32 v[8:9], v[44:45], v[8:9]
	s_delay_alu instid0(VALU_DEP_4) | instskip(NEXT) | instid1(VALU_DEP_4)
	v_fma_f64 v[131:132], v[34:35], v[2:3], -v[131:132]
	v_fma_f64 v[135:136], v[36:37], v[2:3], v[4:5]
	ds_load_b128 v[2:5], v1 offset:1120
	scratch_load_b128 v[34:37], off, off offset:624
	v_fma_f64 v[133:134], v[44:45], v[6:7], v[133:134]
	v_fma_f64 v[139:140], v[42:43], v[6:7], -v[8:9]
	ds_load_b128 v[6:9], v1 offset:1136
	scratch_load_b128 v[42:45], off, off offset:640
	s_wait_loadcnt_dscnt 0x901
	v_mul_f64_e32 v[137:138], v[2:3], v[12:13]
	v_mul_f64_e32 v[12:13], v[4:5], v[12:13]
	s_wait_loadcnt_dscnt 0x800
	v_mul_f64_e32 v[141:142], v[6:7], v[16:17]
	v_mul_f64_e32 v[16:17], v[8:9], v[16:17]
	v_add_f64_e32 v[131:132], 0, v[131:132]
	v_add_f64_e32 v[135:136], 0, v[135:136]
	v_fma_f64 v[137:138], v[4:5], v[10:11], v[137:138]
	v_fma_f64 v[10:11], v[2:3], v[10:11], -v[12:13]
	ds_load_b128 v[2:5], v1 offset:1152
	v_add_f64_e32 v[12:13], v[131:132], v[139:140]
	v_add_f64_e32 v[131:132], v[135:136], v[133:134]
	v_fma_f64 v[135:136], v[8:9], v[14:15], v[141:142]
	v_fma_f64 v[14:15], v[6:7], v[14:15], -v[16:17]
	ds_load_b128 v[6:9], v1 offset:1168
	s_wait_loadcnt_dscnt 0x701
	v_mul_f64_e32 v[133:134], v[2:3], v[20:21]
	v_mul_f64_e32 v[20:21], v[4:5], v[20:21]
	s_wait_loadcnt_dscnt 0x600
	v_mul_f64_e32 v[16:17], v[6:7], v[24:25]
	v_mul_f64_e32 v[24:25], v[8:9], v[24:25]
	v_add_f64_e32 v[10:11], v[12:13], v[10:11]
	v_add_f64_e32 v[12:13], v[131:132], v[137:138]
	v_fma_f64 v[131:132], v[4:5], v[18:19], v[133:134]
	v_fma_f64 v[18:19], v[2:3], v[18:19], -v[20:21]
	ds_load_b128 v[2:5], v1 offset:1184
	v_fma_f64 v[16:17], v[8:9], v[22:23], v[16:17]
	v_fma_f64 v[22:23], v[6:7], v[22:23], -v[24:25]
	ds_load_b128 v[6:9], v1 offset:1200
	s_wait_loadcnt_dscnt 0x501
	v_mul_f64_e32 v[133:134], v[2:3], v[28:29]
	v_mul_f64_e32 v[28:29], v[4:5], v[28:29]
	v_add_f64_e32 v[14:15], v[10:11], v[14:15]
	v_add_f64_e32 v[20:21], v[12:13], v[135:136]
	scratch_load_b128 v[10:13], off, off offset:448
	s_wait_loadcnt_dscnt 0x500
	v_mul_f64_e32 v[24:25], v[8:9], v[32:33]
	v_add_f64_e32 v[14:15], v[14:15], v[18:19]
	v_add_f64_e32 v[18:19], v[20:21], v[131:132]
	v_mul_f64_e32 v[20:21], v[6:7], v[32:33]
	v_fma_f64 v[32:33], v[4:5], v[26:27], v[133:134]
	v_fma_f64 v[26:27], v[2:3], v[26:27], -v[28:29]
	ds_load_b128 v[2:5], v1 offset:1216
	v_fma_f64 v[24:25], v[6:7], v[30:31], -v[24:25]
	v_add_f64_e32 v[14:15], v[14:15], v[22:23]
	v_add_f64_e32 v[16:17], v[18:19], v[16:17]
	v_fma_f64 v[20:21], v[8:9], v[30:31], v[20:21]
	ds_load_b128 v[6:9], v1 offset:1232
	s_wait_loadcnt_dscnt 0x401
	v_mul_f64_e32 v[18:19], v[2:3], v[40:41]
	v_mul_f64_e32 v[22:23], v[4:5], v[40:41]
	s_wait_loadcnt_dscnt 0x300
	v_mul_f64_e32 v[28:29], v[8:9], v[129:130]
	v_add_f64_e32 v[14:15], v[14:15], v[26:27]
	v_add_f64_e32 v[16:17], v[16:17], v[32:33]
	v_mul_f64_e32 v[26:27], v[6:7], v[129:130]
	v_fma_f64 v[18:19], v[4:5], v[38:39], v[18:19]
	v_fma_f64 v[22:23], v[2:3], v[38:39], -v[22:23]
	ds_load_b128 v[2:5], v1 offset:1248
	v_fma_f64 v[28:29], v[6:7], v[127:128], -v[28:29]
	v_add_f64_e32 v[14:15], v[14:15], v[24:25]
	v_add_f64_e32 v[16:17], v[16:17], v[20:21]
	v_fma_f64 v[26:27], v[8:9], v[127:128], v[26:27]
	ds_load_b128 v[6:9], v1 offset:1264
	s_wait_loadcnt_dscnt 0x201
	v_mul_f64_e32 v[20:21], v[2:3], v[36:37]
	v_mul_f64_e32 v[24:25], v[4:5], v[36:37]
	v_add_f64_e32 v[14:15], v[14:15], v[22:23]
	v_add_f64_e32 v[16:17], v[16:17], v[18:19]
	s_wait_loadcnt_dscnt 0x100
	v_mul_f64_e32 v[18:19], v[6:7], v[44:45]
	v_mul_f64_e32 v[22:23], v[8:9], v[44:45]
	v_fma_f64 v[4:5], v[4:5], v[34:35], v[20:21]
	v_fma_f64 v[1:2], v[2:3], v[34:35], -v[24:25]
	v_add_f64_e32 v[14:15], v[14:15], v[28:29]
	v_add_f64_e32 v[16:17], v[16:17], v[26:27]
	v_fma_f64 v[8:9], v[8:9], v[42:43], v[18:19]
	v_fma_f64 v[6:7], v[6:7], v[42:43], -v[22:23]
	s_delay_alu instid0(VALU_DEP_4) | instskip(NEXT) | instid1(VALU_DEP_4)
	v_add_f64_e32 v[1:2], v[14:15], v[1:2]
	v_add_f64_e32 v[3:4], v[16:17], v[4:5]
	s_delay_alu instid0(VALU_DEP_2) | instskip(NEXT) | instid1(VALU_DEP_2)
	v_add_f64_e32 v[1:2], v[1:2], v[6:7]
	v_add_f64_e32 v[3:4], v[3:4], v[8:9]
	s_wait_loadcnt 0x0
	s_delay_alu instid0(VALU_DEP_2) | instskip(NEXT) | instid1(VALU_DEP_2)
	v_add_f64_e64 v[1:2], v[10:11], -v[1:2]
	v_add_f64_e64 v[3:4], v[12:13], -v[3:4]
	scratch_store_b128 off, v[1:4], off offset:448
	v_cmpx_lt_u32_e32 26, v0
	s_cbranch_execz .LBB39_201
; %bb.200:
	scratch_load_b128 v[1:4], off, s19
	v_mov_b32_e32 v5, 0
	s_delay_alu instid0(VALU_DEP_1)
	v_dual_mov_b32 v6, v5 :: v_dual_mov_b32 v7, v5
	v_mov_b32_e32 v8, v5
	scratch_store_b128 off, v[5:8], off offset:432
	s_wait_loadcnt 0x0
	ds_store_b128 v126, v[1:4]
.LBB39_201:
	s_wait_alu 0xfffe
	s_or_b32 exec_lo, exec_lo, s0
	s_wait_storecnt_dscnt 0x0
	s_barrier_signal -1
	s_barrier_wait -1
	global_inv scope:SCOPE_SE
	s_clause 0x7
	scratch_load_b128 v[2:5], off, off offset:448
	scratch_load_b128 v[6:9], off, off offset:464
	scratch_load_b128 v[10:13], off, off offset:480
	scratch_load_b128 v[14:17], off, off offset:496
	scratch_load_b128 v[18:21], off, off offset:512
	scratch_load_b128 v[22:25], off, off offset:528
	scratch_load_b128 v[26:29], off, off offset:544
	scratch_load_b128 v[30:33], off, off offset:560
	v_mov_b32_e32 v1, 0
	s_mov_b32 s0, exec_lo
	ds_load_b128 v[34:37], v1 offset:1072
	s_clause 0x1
	scratch_load_b128 v[38:41], off, off offset:576
	scratch_load_b128 v[42:45], off, off offset:432
	ds_load_b128 v[127:130], v1 offset:1088
	scratch_load_b128 v[131:134], off, off offset:592
	s_wait_loadcnt_dscnt 0xa01
	v_mul_f64_e32 v[135:136], v[36:37], v[4:5]
	v_mul_f64_e32 v[4:5], v[34:35], v[4:5]
	s_delay_alu instid0(VALU_DEP_2) | instskip(NEXT) | instid1(VALU_DEP_2)
	v_fma_f64 v[141:142], v[34:35], v[2:3], -v[135:136]
	v_fma_f64 v[143:144], v[36:37], v[2:3], v[4:5]
	ds_load_b128 v[2:5], v1 offset:1104
	s_wait_loadcnt_dscnt 0x901
	v_mul_f64_e32 v[139:140], v[127:128], v[8:9]
	v_mul_f64_e32 v[8:9], v[129:130], v[8:9]
	scratch_load_b128 v[34:37], off, off offset:608
	ds_load_b128 v[135:138], v1 offset:1120
	s_wait_loadcnt_dscnt 0x901
	v_mul_f64_e32 v[145:146], v[2:3], v[12:13]
	v_mul_f64_e32 v[12:13], v[4:5], v[12:13]
	v_fma_f64 v[129:130], v[129:130], v[6:7], v[139:140]
	v_fma_f64 v[127:128], v[127:128], v[6:7], -v[8:9]
	v_add_f64_e32 v[139:140], 0, v[141:142]
	v_add_f64_e32 v[141:142], 0, v[143:144]
	scratch_load_b128 v[6:9], off, off offset:624
	v_fma_f64 v[145:146], v[4:5], v[10:11], v[145:146]
	v_fma_f64 v[147:148], v[2:3], v[10:11], -v[12:13]
	ds_load_b128 v[2:5], v1 offset:1136
	s_wait_loadcnt_dscnt 0x901
	v_mul_f64_e32 v[143:144], v[135:136], v[16:17]
	v_mul_f64_e32 v[16:17], v[137:138], v[16:17]
	scratch_load_b128 v[10:13], off, off offset:640
	v_add_f64_e32 v[139:140], v[139:140], v[127:128]
	v_add_f64_e32 v[141:142], v[141:142], v[129:130]
	s_wait_loadcnt_dscnt 0x900
	v_mul_f64_e32 v[149:150], v[2:3], v[20:21]
	v_mul_f64_e32 v[20:21], v[4:5], v[20:21]
	ds_load_b128 v[127:130], v1 offset:1152
	v_fma_f64 v[137:138], v[137:138], v[14:15], v[143:144]
	v_fma_f64 v[14:15], v[135:136], v[14:15], -v[16:17]
	v_add_f64_e32 v[16:17], v[139:140], v[147:148]
	v_add_f64_e32 v[135:136], v[141:142], v[145:146]
	s_wait_loadcnt_dscnt 0x800
	v_mul_f64_e32 v[139:140], v[127:128], v[24:25]
	v_mul_f64_e32 v[24:25], v[129:130], v[24:25]
	v_fma_f64 v[141:142], v[4:5], v[18:19], v[149:150]
	v_fma_f64 v[18:19], v[2:3], v[18:19], -v[20:21]
	v_add_f64_e32 v[20:21], v[16:17], v[14:15]
	v_add_f64_e32 v[135:136], v[135:136], v[137:138]
	ds_load_b128 v[2:5], v1 offset:1168
	ds_load_b128 v[14:17], v1 offset:1184
	v_fma_f64 v[129:130], v[129:130], v[22:23], v[139:140]
	v_fma_f64 v[22:23], v[127:128], v[22:23], -v[24:25]
	s_wait_loadcnt_dscnt 0x701
	v_mul_f64_e32 v[137:138], v[2:3], v[28:29]
	v_mul_f64_e32 v[28:29], v[4:5], v[28:29]
	s_wait_loadcnt_dscnt 0x600
	v_mul_f64_e32 v[24:25], v[14:15], v[32:33]
	v_mul_f64_e32 v[32:33], v[16:17], v[32:33]
	v_add_f64_e32 v[18:19], v[20:21], v[18:19]
	v_add_f64_e32 v[20:21], v[135:136], v[141:142]
	v_fma_f64 v[127:128], v[4:5], v[26:27], v[137:138]
	v_fma_f64 v[26:27], v[2:3], v[26:27], -v[28:29]
	v_fma_f64 v[16:17], v[16:17], v[30:31], v[24:25]
	v_fma_f64 v[14:15], v[14:15], v[30:31], -v[32:33]
	v_add_f64_e32 v[22:23], v[18:19], v[22:23]
	v_add_f64_e32 v[28:29], v[20:21], v[129:130]
	ds_load_b128 v[2:5], v1 offset:1200
	ds_load_b128 v[18:21], v1 offset:1216
	s_wait_loadcnt_dscnt 0x501
	v_mul_f64_e32 v[129:130], v[2:3], v[40:41]
	v_mul_f64_e32 v[40:41], v[4:5], v[40:41]
	v_add_f64_e32 v[22:23], v[22:23], v[26:27]
	v_add_f64_e32 v[24:25], v[28:29], v[127:128]
	s_wait_loadcnt_dscnt 0x300
	v_mul_f64_e32 v[26:27], v[18:19], v[133:134]
	v_mul_f64_e32 v[28:29], v[20:21], v[133:134]
	v_fma_f64 v[30:31], v[4:5], v[38:39], v[129:130]
	v_fma_f64 v[32:33], v[2:3], v[38:39], -v[40:41]
	v_add_f64_e32 v[22:23], v[22:23], v[14:15]
	v_add_f64_e32 v[24:25], v[24:25], v[16:17]
	ds_load_b128 v[2:5], v1 offset:1232
	ds_load_b128 v[14:17], v1 offset:1248
	v_fma_f64 v[20:21], v[20:21], v[131:132], v[26:27]
	v_fma_f64 v[18:19], v[18:19], v[131:132], -v[28:29]
	s_wait_loadcnt_dscnt 0x201
	v_mul_f64_e32 v[38:39], v[2:3], v[36:37]
	v_mul_f64_e32 v[36:37], v[4:5], v[36:37]
	v_add_f64_e32 v[22:23], v[22:23], v[32:33]
	v_add_f64_e32 v[24:25], v[24:25], v[30:31]
	s_wait_loadcnt_dscnt 0x100
	v_mul_f64_e32 v[26:27], v[14:15], v[8:9]
	v_mul_f64_e32 v[8:9], v[16:17], v[8:9]
	v_fma_f64 v[28:29], v[4:5], v[34:35], v[38:39]
	v_fma_f64 v[30:31], v[2:3], v[34:35], -v[36:37]
	ds_load_b128 v[2:5], v1 offset:1264
	v_add_f64_e32 v[18:19], v[22:23], v[18:19]
	v_add_f64_e32 v[20:21], v[24:25], v[20:21]
	s_wait_loadcnt_dscnt 0x0
	v_mul_f64_e32 v[22:23], v[2:3], v[12:13]
	v_mul_f64_e32 v[12:13], v[4:5], v[12:13]
	v_fma_f64 v[16:17], v[16:17], v[6:7], v[26:27]
	v_fma_f64 v[6:7], v[14:15], v[6:7], -v[8:9]
	v_add_f64_e32 v[8:9], v[18:19], v[30:31]
	v_add_f64_e32 v[14:15], v[20:21], v[28:29]
	v_fma_f64 v[4:5], v[4:5], v[10:11], v[22:23]
	v_fma_f64 v[2:3], v[2:3], v[10:11], -v[12:13]
	s_delay_alu instid0(VALU_DEP_4) | instskip(NEXT) | instid1(VALU_DEP_4)
	v_add_f64_e32 v[6:7], v[8:9], v[6:7]
	v_add_f64_e32 v[8:9], v[14:15], v[16:17]
	s_delay_alu instid0(VALU_DEP_2) | instskip(NEXT) | instid1(VALU_DEP_2)
	v_add_f64_e32 v[2:3], v[6:7], v[2:3]
	v_add_f64_e32 v[4:5], v[8:9], v[4:5]
	s_delay_alu instid0(VALU_DEP_2) | instskip(NEXT) | instid1(VALU_DEP_2)
	v_add_f64_e64 v[2:3], v[42:43], -v[2:3]
	v_add_f64_e64 v[4:5], v[44:45], -v[4:5]
	scratch_store_b128 off, v[2:5], off offset:432
	v_cmpx_lt_u32_e32 25, v0
	s_cbranch_execz .LBB39_203
; %bb.202:
	scratch_load_b128 v[5:8], off, s15
	v_dual_mov_b32 v2, v1 :: v_dual_mov_b32 v3, v1
	v_mov_b32_e32 v4, v1
	scratch_store_b128 off, v[1:4], off offset:416
	s_wait_loadcnt 0x0
	ds_store_b128 v126, v[5:8]
.LBB39_203:
	s_wait_alu 0xfffe
	s_or_b32 exec_lo, exec_lo, s0
	s_wait_storecnt_dscnt 0x0
	s_barrier_signal -1
	s_barrier_wait -1
	global_inv scope:SCOPE_SE
	s_clause 0x8
	scratch_load_b128 v[2:5], off, off offset:432
	scratch_load_b128 v[6:9], off, off offset:448
	;; [unrolled: 1-line block ×9, first 2 shown]
	ds_load_b128 v[38:41], v1 offset:1056
	ds_load_b128 v[42:45], v1 offset:1072
	s_clause 0x1
	scratch_load_b128 v[127:130], off, off offset:416
	scratch_load_b128 v[131:134], off, off offset:576
	s_mov_b32 s0, exec_lo
	s_wait_loadcnt_dscnt 0xa01
	v_mul_f64_e32 v[135:136], v[40:41], v[4:5]
	v_mul_f64_e32 v[4:5], v[38:39], v[4:5]
	s_wait_loadcnt_dscnt 0x900
	v_mul_f64_e32 v[139:140], v[42:43], v[8:9]
	v_mul_f64_e32 v[8:9], v[44:45], v[8:9]
	s_delay_alu instid0(VALU_DEP_4) | instskip(NEXT) | instid1(VALU_DEP_4)
	v_fma_f64 v[141:142], v[38:39], v[2:3], -v[135:136]
	v_fma_f64 v[143:144], v[40:41], v[2:3], v[4:5]
	ds_load_b128 v[2:5], v1 offset:1088
	ds_load_b128 v[135:138], v1 offset:1104
	scratch_load_b128 v[38:41], off, off offset:592
	v_fma_f64 v[44:45], v[44:45], v[6:7], v[139:140]
	v_fma_f64 v[42:43], v[42:43], v[6:7], -v[8:9]
	scratch_load_b128 v[6:9], off, off offset:608
	s_wait_loadcnt_dscnt 0xa01
	v_mul_f64_e32 v[145:146], v[2:3], v[12:13]
	v_mul_f64_e32 v[12:13], v[4:5], v[12:13]
	v_add_f64_e32 v[139:140], 0, v[141:142]
	v_add_f64_e32 v[141:142], 0, v[143:144]
	s_wait_loadcnt_dscnt 0x900
	v_mul_f64_e32 v[143:144], v[135:136], v[16:17]
	v_mul_f64_e32 v[16:17], v[137:138], v[16:17]
	v_fma_f64 v[145:146], v[4:5], v[10:11], v[145:146]
	v_fma_f64 v[147:148], v[2:3], v[10:11], -v[12:13]
	ds_load_b128 v[2:5], v1 offset:1120
	scratch_load_b128 v[10:13], off, off offset:624
	v_add_f64_e32 v[139:140], v[139:140], v[42:43]
	v_add_f64_e32 v[141:142], v[141:142], v[44:45]
	ds_load_b128 v[42:45], v1 offset:1136
	v_fma_f64 v[137:138], v[137:138], v[14:15], v[143:144]
	v_fma_f64 v[135:136], v[135:136], v[14:15], -v[16:17]
	scratch_load_b128 v[14:17], off, off offset:640
	s_wait_loadcnt_dscnt 0xa01
	v_mul_f64_e32 v[149:150], v[2:3], v[20:21]
	v_mul_f64_e32 v[20:21], v[4:5], v[20:21]
	s_wait_loadcnt_dscnt 0x900
	v_mul_f64_e32 v[143:144], v[42:43], v[24:25]
	v_mul_f64_e32 v[24:25], v[44:45], v[24:25]
	v_add_f64_e32 v[139:140], v[139:140], v[147:148]
	v_add_f64_e32 v[141:142], v[141:142], v[145:146]
	v_fma_f64 v[145:146], v[4:5], v[18:19], v[149:150]
	v_fma_f64 v[147:148], v[2:3], v[18:19], -v[20:21]
	ds_load_b128 v[2:5], v1 offset:1152
	ds_load_b128 v[18:21], v1 offset:1168
	v_fma_f64 v[44:45], v[44:45], v[22:23], v[143:144]
	v_fma_f64 v[22:23], v[42:43], v[22:23], -v[24:25]
	v_add_f64_e32 v[135:136], v[139:140], v[135:136]
	v_add_f64_e32 v[137:138], v[141:142], v[137:138]
	s_wait_loadcnt_dscnt 0x801
	v_mul_f64_e32 v[139:140], v[2:3], v[28:29]
	v_mul_f64_e32 v[28:29], v[4:5], v[28:29]
	s_delay_alu instid0(VALU_DEP_4) | instskip(NEXT) | instid1(VALU_DEP_4)
	v_add_f64_e32 v[24:25], v[135:136], v[147:148]
	v_add_f64_e32 v[42:43], v[137:138], v[145:146]
	s_wait_loadcnt_dscnt 0x700
	v_mul_f64_e32 v[135:136], v[18:19], v[32:33]
	v_mul_f64_e32 v[32:33], v[20:21], v[32:33]
	v_fma_f64 v[137:138], v[4:5], v[26:27], v[139:140]
	v_fma_f64 v[26:27], v[2:3], v[26:27], -v[28:29]
	v_add_f64_e32 v[28:29], v[24:25], v[22:23]
	v_add_f64_e32 v[42:43], v[42:43], v[44:45]
	ds_load_b128 v[2:5], v1 offset:1184
	ds_load_b128 v[22:25], v1 offset:1200
	v_fma_f64 v[20:21], v[20:21], v[30:31], v[135:136]
	v_fma_f64 v[18:19], v[18:19], v[30:31], -v[32:33]
	s_wait_loadcnt_dscnt 0x601
	v_mul_f64_e32 v[44:45], v[2:3], v[36:37]
	v_mul_f64_e32 v[36:37], v[4:5], v[36:37]
	s_wait_loadcnt_dscnt 0x400
	v_mul_f64_e32 v[30:31], v[22:23], v[133:134]
	v_mul_f64_e32 v[32:33], v[24:25], v[133:134]
	v_add_f64_e32 v[26:27], v[28:29], v[26:27]
	v_add_f64_e32 v[28:29], v[42:43], v[137:138]
	v_fma_f64 v[42:43], v[4:5], v[34:35], v[44:45]
	v_fma_f64 v[34:35], v[2:3], v[34:35], -v[36:37]
	v_fma_f64 v[24:25], v[24:25], v[131:132], v[30:31]
	v_fma_f64 v[22:23], v[22:23], v[131:132], -v[32:33]
	v_add_f64_e32 v[26:27], v[26:27], v[18:19]
	v_add_f64_e32 v[28:29], v[28:29], v[20:21]
	ds_load_b128 v[2:5], v1 offset:1216
	ds_load_b128 v[18:21], v1 offset:1232
	s_wait_loadcnt_dscnt 0x301
	v_mul_f64_e32 v[36:37], v[2:3], v[40:41]
	v_mul_f64_e32 v[40:41], v[4:5], v[40:41]
	s_wait_loadcnt_dscnt 0x200
	v_mul_f64_e32 v[30:31], v[18:19], v[8:9]
	v_mul_f64_e32 v[8:9], v[20:21], v[8:9]
	v_add_f64_e32 v[26:27], v[26:27], v[34:35]
	v_add_f64_e32 v[28:29], v[28:29], v[42:43]
	v_fma_f64 v[32:33], v[4:5], v[38:39], v[36:37]
	v_fma_f64 v[34:35], v[2:3], v[38:39], -v[40:41]
	v_fma_f64 v[20:21], v[20:21], v[6:7], v[30:31]
	v_fma_f64 v[6:7], v[18:19], v[6:7], -v[8:9]
	v_add_f64_e32 v[26:27], v[26:27], v[22:23]
	v_add_f64_e32 v[28:29], v[28:29], v[24:25]
	ds_load_b128 v[2:5], v1 offset:1248
	ds_load_b128 v[22:25], v1 offset:1264
	s_wait_loadcnt_dscnt 0x101
	v_mul_f64_e32 v[36:37], v[2:3], v[12:13]
	v_mul_f64_e32 v[12:13], v[4:5], v[12:13]
	v_add_f64_e32 v[8:9], v[26:27], v[34:35]
	v_add_f64_e32 v[18:19], v[28:29], v[32:33]
	s_wait_loadcnt_dscnt 0x0
	v_mul_f64_e32 v[26:27], v[22:23], v[16:17]
	v_mul_f64_e32 v[16:17], v[24:25], v[16:17]
	v_fma_f64 v[4:5], v[4:5], v[10:11], v[36:37]
	v_fma_f64 v[1:2], v[2:3], v[10:11], -v[12:13]
	v_add_f64_e32 v[6:7], v[8:9], v[6:7]
	v_add_f64_e32 v[8:9], v[18:19], v[20:21]
	v_fma_f64 v[10:11], v[24:25], v[14:15], v[26:27]
	v_fma_f64 v[12:13], v[22:23], v[14:15], -v[16:17]
	s_delay_alu instid0(VALU_DEP_4) | instskip(NEXT) | instid1(VALU_DEP_4)
	v_add_f64_e32 v[1:2], v[6:7], v[1:2]
	v_add_f64_e32 v[3:4], v[8:9], v[4:5]
	s_delay_alu instid0(VALU_DEP_2) | instskip(NEXT) | instid1(VALU_DEP_2)
	v_add_f64_e32 v[1:2], v[1:2], v[12:13]
	v_add_f64_e32 v[3:4], v[3:4], v[10:11]
	s_delay_alu instid0(VALU_DEP_2) | instskip(NEXT) | instid1(VALU_DEP_2)
	v_add_f64_e64 v[1:2], v[127:128], -v[1:2]
	v_add_f64_e64 v[3:4], v[129:130], -v[3:4]
	scratch_store_b128 off, v[1:4], off offset:416
	v_cmpx_lt_u32_e32 24, v0
	s_cbranch_execz .LBB39_205
; %bb.204:
	scratch_load_b128 v[1:4], off, s21
	v_mov_b32_e32 v5, 0
	s_delay_alu instid0(VALU_DEP_1)
	v_dual_mov_b32 v6, v5 :: v_dual_mov_b32 v7, v5
	v_mov_b32_e32 v8, v5
	scratch_store_b128 off, v[5:8], off offset:400
	s_wait_loadcnt 0x0
	ds_store_b128 v126, v[1:4]
.LBB39_205:
	s_wait_alu 0xfffe
	s_or_b32 exec_lo, exec_lo, s0
	s_wait_storecnt_dscnt 0x0
	s_barrier_signal -1
	s_barrier_wait -1
	global_inv scope:SCOPE_SE
	s_clause 0x7
	scratch_load_b128 v[2:5], off, off offset:416
	scratch_load_b128 v[6:9], off, off offset:432
	;; [unrolled: 1-line block ×8, first 2 shown]
	v_mov_b32_e32 v1, 0
	s_mov_b32 s0, exec_lo
	ds_load_b128 v[34:37], v1 offset:1040
	s_clause 0x1
	scratch_load_b128 v[38:41], off, off offset:544
	scratch_load_b128 v[42:45], off, off offset:400
	ds_load_b128 v[127:130], v1 offset:1056
	scratch_load_b128 v[131:134], off, off offset:560
	s_wait_loadcnt_dscnt 0xa01
	v_mul_f64_e32 v[135:136], v[36:37], v[4:5]
	v_mul_f64_e32 v[4:5], v[34:35], v[4:5]
	s_delay_alu instid0(VALU_DEP_2) | instskip(NEXT) | instid1(VALU_DEP_2)
	v_fma_f64 v[141:142], v[34:35], v[2:3], -v[135:136]
	v_fma_f64 v[143:144], v[36:37], v[2:3], v[4:5]
	ds_load_b128 v[2:5], v1 offset:1072
	s_wait_loadcnt_dscnt 0x901
	v_mul_f64_e32 v[139:140], v[127:128], v[8:9]
	v_mul_f64_e32 v[8:9], v[129:130], v[8:9]
	scratch_load_b128 v[34:37], off, off offset:576
	ds_load_b128 v[135:138], v1 offset:1088
	s_wait_loadcnt_dscnt 0x901
	v_mul_f64_e32 v[145:146], v[2:3], v[12:13]
	v_mul_f64_e32 v[12:13], v[4:5], v[12:13]
	v_fma_f64 v[129:130], v[129:130], v[6:7], v[139:140]
	v_fma_f64 v[127:128], v[127:128], v[6:7], -v[8:9]
	v_add_f64_e32 v[139:140], 0, v[141:142]
	v_add_f64_e32 v[141:142], 0, v[143:144]
	scratch_load_b128 v[6:9], off, off offset:592
	v_fma_f64 v[145:146], v[4:5], v[10:11], v[145:146]
	v_fma_f64 v[147:148], v[2:3], v[10:11], -v[12:13]
	ds_load_b128 v[2:5], v1 offset:1104
	s_wait_loadcnt_dscnt 0x901
	v_mul_f64_e32 v[143:144], v[135:136], v[16:17]
	v_mul_f64_e32 v[16:17], v[137:138], v[16:17]
	scratch_load_b128 v[10:13], off, off offset:608
	v_add_f64_e32 v[139:140], v[139:140], v[127:128]
	v_add_f64_e32 v[141:142], v[141:142], v[129:130]
	s_wait_loadcnt_dscnt 0x900
	v_mul_f64_e32 v[149:150], v[2:3], v[20:21]
	v_mul_f64_e32 v[20:21], v[4:5], v[20:21]
	ds_load_b128 v[127:130], v1 offset:1120
	v_fma_f64 v[137:138], v[137:138], v[14:15], v[143:144]
	v_fma_f64 v[135:136], v[135:136], v[14:15], -v[16:17]
	scratch_load_b128 v[14:17], off, off offset:624
	v_add_f64_e32 v[139:140], v[139:140], v[147:148]
	v_add_f64_e32 v[141:142], v[141:142], v[145:146]
	v_fma_f64 v[145:146], v[4:5], v[18:19], v[149:150]
	v_fma_f64 v[147:148], v[2:3], v[18:19], -v[20:21]
	ds_load_b128 v[2:5], v1 offset:1136
	s_wait_loadcnt_dscnt 0x901
	v_mul_f64_e32 v[143:144], v[127:128], v[24:25]
	v_mul_f64_e32 v[24:25], v[129:130], v[24:25]
	scratch_load_b128 v[18:21], off, off offset:640
	s_wait_loadcnt_dscnt 0x900
	v_mul_f64_e32 v[149:150], v[2:3], v[28:29]
	v_mul_f64_e32 v[28:29], v[4:5], v[28:29]
	v_add_f64_e32 v[139:140], v[139:140], v[135:136]
	v_add_f64_e32 v[141:142], v[141:142], v[137:138]
	ds_load_b128 v[135:138], v1 offset:1152
	v_fma_f64 v[129:130], v[129:130], v[22:23], v[143:144]
	v_fma_f64 v[22:23], v[127:128], v[22:23], -v[24:25]
	v_add_f64_e32 v[24:25], v[139:140], v[147:148]
	v_add_f64_e32 v[127:128], v[141:142], v[145:146]
	s_wait_loadcnt_dscnt 0x800
	v_mul_f64_e32 v[139:140], v[135:136], v[32:33]
	v_mul_f64_e32 v[32:33], v[137:138], v[32:33]
	v_fma_f64 v[141:142], v[4:5], v[26:27], v[149:150]
	v_fma_f64 v[26:27], v[2:3], v[26:27], -v[28:29]
	v_add_f64_e32 v[28:29], v[24:25], v[22:23]
	v_add_f64_e32 v[127:128], v[127:128], v[129:130]
	ds_load_b128 v[2:5], v1 offset:1168
	ds_load_b128 v[22:25], v1 offset:1184
	v_fma_f64 v[137:138], v[137:138], v[30:31], v[139:140]
	v_fma_f64 v[30:31], v[135:136], v[30:31], -v[32:33]
	s_wait_loadcnt_dscnt 0x701
	v_mul_f64_e32 v[129:130], v[2:3], v[40:41]
	v_mul_f64_e32 v[40:41], v[4:5], v[40:41]
	s_wait_loadcnt_dscnt 0x500
	v_mul_f64_e32 v[32:33], v[22:23], v[133:134]
	v_add_f64_e32 v[26:27], v[28:29], v[26:27]
	v_add_f64_e32 v[28:29], v[127:128], v[141:142]
	v_mul_f64_e32 v[127:128], v[24:25], v[133:134]
	v_fma_f64 v[129:130], v[4:5], v[38:39], v[129:130]
	v_fma_f64 v[38:39], v[2:3], v[38:39], -v[40:41]
	v_fma_f64 v[24:25], v[24:25], v[131:132], v[32:33]
	v_add_f64_e32 v[30:31], v[26:27], v[30:31]
	v_add_f64_e32 v[40:41], v[28:29], v[137:138]
	ds_load_b128 v[2:5], v1 offset:1200
	ds_load_b128 v[26:29], v1 offset:1216
	v_fma_f64 v[22:23], v[22:23], v[131:132], -v[127:128]
	s_wait_loadcnt_dscnt 0x401
	v_mul_f64_e32 v[133:134], v[2:3], v[36:37]
	v_mul_f64_e32 v[36:37], v[4:5], v[36:37]
	v_add_f64_e32 v[30:31], v[30:31], v[38:39]
	v_add_f64_e32 v[32:33], v[40:41], v[129:130]
	s_wait_loadcnt_dscnt 0x300
	v_mul_f64_e32 v[38:39], v[26:27], v[8:9]
	v_mul_f64_e32 v[8:9], v[28:29], v[8:9]
	v_fma_f64 v[40:41], v[4:5], v[34:35], v[133:134]
	v_fma_f64 v[34:35], v[2:3], v[34:35], -v[36:37]
	v_add_f64_e32 v[30:31], v[30:31], v[22:23]
	v_add_f64_e32 v[32:33], v[32:33], v[24:25]
	ds_load_b128 v[2:5], v1 offset:1232
	ds_load_b128 v[22:25], v1 offset:1248
	v_fma_f64 v[28:29], v[28:29], v[6:7], v[38:39]
	v_fma_f64 v[6:7], v[26:27], v[6:7], -v[8:9]
	s_wait_loadcnt_dscnt 0x201
	v_mul_f64_e32 v[36:37], v[2:3], v[12:13]
	v_mul_f64_e32 v[12:13], v[4:5], v[12:13]
	v_add_f64_e32 v[8:9], v[30:31], v[34:35]
	v_add_f64_e32 v[26:27], v[32:33], v[40:41]
	s_wait_loadcnt_dscnt 0x100
	v_mul_f64_e32 v[30:31], v[22:23], v[16:17]
	v_mul_f64_e32 v[16:17], v[24:25], v[16:17]
	v_fma_f64 v[32:33], v[4:5], v[10:11], v[36:37]
	v_fma_f64 v[10:11], v[2:3], v[10:11], -v[12:13]
	ds_load_b128 v[2:5], v1 offset:1264
	v_add_f64_e32 v[6:7], v[8:9], v[6:7]
	v_add_f64_e32 v[8:9], v[26:27], v[28:29]
	v_fma_f64 v[24:25], v[24:25], v[14:15], v[30:31]
	v_fma_f64 v[14:15], v[22:23], v[14:15], -v[16:17]
	s_wait_loadcnt_dscnt 0x0
	v_mul_f64_e32 v[12:13], v[2:3], v[20:21]
	v_mul_f64_e32 v[20:21], v[4:5], v[20:21]
	v_add_f64_e32 v[6:7], v[6:7], v[10:11]
	v_add_f64_e32 v[8:9], v[8:9], v[32:33]
	s_delay_alu instid0(VALU_DEP_4) | instskip(NEXT) | instid1(VALU_DEP_4)
	v_fma_f64 v[4:5], v[4:5], v[18:19], v[12:13]
	v_fma_f64 v[2:3], v[2:3], v[18:19], -v[20:21]
	s_delay_alu instid0(VALU_DEP_4) | instskip(NEXT) | instid1(VALU_DEP_4)
	v_add_f64_e32 v[6:7], v[6:7], v[14:15]
	v_add_f64_e32 v[8:9], v[8:9], v[24:25]
	s_delay_alu instid0(VALU_DEP_2) | instskip(NEXT) | instid1(VALU_DEP_2)
	v_add_f64_e32 v[2:3], v[6:7], v[2:3]
	v_add_f64_e32 v[4:5], v[8:9], v[4:5]
	s_delay_alu instid0(VALU_DEP_2) | instskip(NEXT) | instid1(VALU_DEP_2)
	v_add_f64_e64 v[2:3], v[42:43], -v[2:3]
	v_add_f64_e64 v[4:5], v[44:45], -v[4:5]
	scratch_store_b128 off, v[2:5], off offset:400
	v_cmpx_lt_u32_e32 23, v0
	s_cbranch_execz .LBB39_207
; %bb.206:
	scratch_load_b128 v[5:8], off, s20
	v_dual_mov_b32 v2, v1 :: v_dual_mov_b32 v3, v1
	v_mov_b32_e32 v4, v1
	scratch_store_b128 off, v[1:4], off offset:384
	s_wait_loadcnt 0x0
	ds_store_b128 v126, v[5:8]
.LBB39_207:
	s_wait_alu 0xfffe
	s_or_b32 exec_lo, exec_lo, s0
	s_wait_storecnt_dscnt 0x0
	s_barrier_signal -1
	s_barrier_wait -1
	global_inv scope:SCOPE_SE
	s_clause 0x8
	scratch_load_b128 v[2:5], off, off offset:400
	scratch_load_b128 v[6:9], off, off offset:416
	;; [unrolled: 1-line block ×9, first 2 shown]
	ds_load_b128 v[38:41], v1 offset:1024
	ds_load_b128 v[42:45], v1 offset:1040
	s_clause 0x1
	scratch_load_b128 v[127:130], off, off offset:384
	scratch_load_b128 v[131:134], off, off offset:544
	s_mov_b32 s0, exec_lo
	s_wait_loadcnt_dscnt 0xa01
	v_mul_f64_e32 v[135:136], v[40:41], v[4:5]
	v_mul_f64_e32 v[4:5], v[38:39], v[4:5]
	s_wait_loadcnt_dscnt 0x900
	v_mul_f64_e32 v[139:140], v[42:43], v[8:9]
	v_mul_f64_e32 v[8:9], v[44:45], v[8:9]
	s_delay_alu instid0(VALU_DEP_4) | instskip(NEXT) | instid1(VALU_DEP_4)
	v_fma_f64 v[141:142], v[38:39], v[2:3], -v[135:136]
	v_fma_f64 v[143:144], v[40:41], v[2:3], v[4:5]
	ds_load_b128 v[2:5], v1 offset:1056
	ds_load_b128 v[135:138], v1 offset:1072
	scratch_load_b128 v[38:41], off, off offset:560
	v_fma_f64 v[44:45], v[44:45], v[6:7], v[139:140]
	v_fma_f64 v[42:43], v[42:43], v[6:7], -v[8:9]
	scratch_load_b128 v[6:9], off, off offset:576
	s_wait_loadcnt_dscnt 0xa01
	v_mul_f64_e32 v[145:146], v[2:3], v[12:13]
	v_mul_f64_e32 v[12:13], v[4:5], v[12:13]
	v_add_f64_e32 v[139:140], 0, v[141:142]
	v_add_f64_e32 v[141:142], 0, v[143:144]
	s_wait_loadcnt_dscnt 0x900
	v_mul_f64_e32 v[143:144], v[135:136], v[16:17]
	v_mul_f64_e32 v[16:17], v[137:138], v[16:17]
	v_fma_f64 v[145:146], v[4:5], v[10:11], v[145:146]
	v_fma_f64 v[147:148], v[2:3], v[10:11], -v[12:13]
	ds_load_b128 v[2:5], v1 offset:1088
	scratch_load_b128 v[10:13], off, off offset:592
	v_add_f64_e32 v[139:140], v[139:140], v[42:43]
	v_add_f64_e32 v[141:142], v[141:142], v[44:45]
	ds_load_b128 v[42:45], v1 offset:1104
	v_fma_f64 v[137:138], v[137:138], v[14:15], v[143:144]
	v_fma_f64 v[135:136], v[135:136], v[14:15], -v[16:17]
	scratch_load_b128 v[14:17], off, off offset:608
	s_wait_loadcnt_dscnt 0xa01
	v_mul_f64_e32 v[149:150], v[2:3], v[20:21]
	v_mul_f64_e32 v[20:21], v[4:5], v[20:21]
	s_wait_loadcnt_dscnt 0x900
	v_mul_f64_e32 v[143:144], v[42:43], v[24:25]
	v_mul_f64_e32 v[24:25], v[44:45], v[24:25]
	v_add_f64_e32 v[139:140], v[139:140], v[147:148]
	v_add_f64_e32 v[141:142], v[141:142], v[145:146]
	v_fma_f64 v[145:146], v[4:5], v[18:19], v[149:150]
	v_fma_f64 v[147:148], v[2:3], v[18:19], -v[20:21]
	ds_load_b128 v[2:5], v1 offset:1120
	scratch_load_b128 v[18:21], off, off offset:624
	v_fma_f64 v[44:45], v[44:45], v[22:23], v[143:144]
	v_fma_f64 v[42:43], v[42:43], v[22:23], -v[24:25]
	scratch_load_b128 v[22:25], off, off offset:640
	v_add_f64_e32 v[139:140], v[139:140], v[135:136]
	v_add_f64_e32 v[141:142], v[141:142], v[137:138]
	ds_load_b128 v[135:138], v1 offset:1136
	s_wait_loadcnt_dscnt 0xa01
	v_mul_f64_e32 v[149:150], v[2:3], v[28:29]
	v_mul_f64_e32 v[28:29], v[4:5], v[28:29]
	s_wait_loadcnt_dscnt 0x900
	v_mul_f64_e32 v[143:144], v[135:136], v[32:33]
	v_mul_f64_e32 v[32:33], v[137:138], v[32:33]
	v_add_f64_e32 v[139:140], v[139:140], v[147:148]
	v_add_f64_e32 v[141:142], v[141:142], v[145:146]
	v_fma_f64 v[145:146], v[4:5], v[26:27], v[149:150]
	v_fma_f64 v[147:148], v[2:3], v[26:27], -v[28:29]
	ds_load_b128 v[2:5], v1 offset:1152
	ds_load_b128 v[26:29], v1 offset:1168
	v_fma_f64 v[137:138], v[137:138], v[30:31], v[143:144]
	v_fma_f64 v[30:31], v[135:136], v[30:31], -v[32:33]
	v_add_f64_e32 v[42:43], v[139:140], v[42:43]
	v_add_f64_e32 v[44:45], v[141:142], v[44:45]
	s_wait_loadcnt_dscnt 0x801
	v_mul_f64_e32 v[139:140], v[2:3], v[36:37]
	v_mul_f64_e32 v[36:37], v[4:5], v[36:37]
	s_delay_alu instid0(VALU_DEP_4) | instskip(NEXT) | instid1(VALU_DEP_4)
	v_add_f64_e32 v[32:33], v[42:43], v[147:148]
	v_add_f64_e32 v[42:43], v[44:45], v[145:146]
	s_wait_loadcnt_dscnt 0x600
	v_mul_f64_e32 v[44:45], v[26:27], v[133:134]
	v_mul_f64_e32 v[133:134], v[28:29], v[133:134]
	v_fma_f64 v[135:136], v[4:5], v[34:35], v[139:140]
	v_fma_f64 v[34:35], v[2:3], v[34:35], -v[36:37]
	v_add_f64_e32 v[36:37], v[32:33], v[30:31]
	v_add_f64_e32 v[42:43], v[42:43], v[137:138]
	ds_load_b128 v[2:5], v1 offset:1184
	ds_load_b128 v[30:33], v1 offset:1200
	v_fma_f64 v[28:29], v[28:29], v[131:132], v[44:45]
	v_fma_f64 v[26:27], v[26:27], v[131:132], -v[133:134]
	s_wait_loadcnt_dscnt 0x501
	v_mul_f64_e32 v[137:138], v[2:3], v[40:41]
	v_mul_f64_e32 v[40:41], v[4:5], v[40:41]
	v_add_f64_e32 v[34:35], v[36:37], v[34:35]
	v_add_f64_e32 v[36:37], v[42:43], v[135:136]
	s_wait_loadcnt_dscnt 0x400
	v_mul_f64_e32 v[42:43], v[30:31], v[8:9]
	v_mul_f64_e32 v[8:9], v[32:33], v[8:9]
	v_fma_f64 v[44:45], v[4:5], v[38:39], v[137:138]
	v_fma_f64 v[38:39], v[2:3], v[38:39], -v[40:41]
	v_add_f64_e32 v[34:35], v[34:35], v[26:27]
	v_add_f64_e32 v[36:37], v[36:37], v[28:29]
	ds_load_b128 v[2:5], v1 offset:1216
	ds_load_b128 v[26:29], v1 offset:1232
	v_fma_f64 v[32:33], v[32:33], v[6:7], v[42:43]
	v_fma_f64 v[6:7], v[30:31], v[6:7], -v[8:9]
	s_wait_loadcnt_dscnt 0x301
	v_mul_f64_e32 v[40:41], v[2:3], v[12:13]
	v_mul_f64_e32 v[12:13], v[4:5], v[12:13]
	v_add_f64_e32 v[8:9], v[34:35], v[38:39]
	v_add_f64_e32 v[30:31], v[36:37], v[44:45]
	s_wait_loadcnt_dscnt 0x200
	v_mul_f64_e32 v[34:35], v[26:27], v[16:17]
	v_mul_f64_e32 v[16:17], v[28:29], v[16:17]
	v_fma_f64 v[36:37], v[4:5], v[10:11], v[40:41]
	v_fma_f64 v[10:11], v[2:3], v[10:11], -v[12:13]
	v_add_f64_e32 v[12:13], v[8:9], v[6:7]
	v_add_f64_e32 v[30:31], v[30:31], v[32:33]
	ds_load_b128 v[2:5], v1 offset:1248
	ds_load_b128 v[6:9], v1 offset:1264
	v_fma_f64 v[28:29], v[28:29], v[14:15], v[34:35]
	v_fma_f64 v[14:15], v[26:27], v[14:15], -v[16:17]
	s_wait_loadcnt_dscnt 0x101
	v_mul_f64_e32 v[32:33], v[2:3], v[20:21]
	v_mul_f64_e32 v[20:21], v[4:5], v[20:21]
	s_wait_loadcnt_dscnt 0x0
	v_mul_f64_e32 v[16:17], v[6:7], v[24:25]
	v_mul_f64_e32 v[24:25], v[8:9], v[24:25]
	v_add_f64_e32 v[10:11], v[12:13], v[10:11]
	v_add_f64_e32 v[12:13], v[30:31], v[36:37]
	v_fma_f64 v[4:5], v[4:5], v[18:19], v[32:33]
	v_fma_f64 v[1:2], v[2:3], v[18:19], -v[20:21]
	v_fma_f64 v[8:9], v[8:9], v[22:23], v[16:17]
	v_fma_f64 v[6:7], v[6:7], v[22:23], -v[24:25]
	v_add_f64_e32 v[10:11], v[10:11], v[14:15]
	v_add_f64_e32 v[12:13], v[12:13], v[28:29]
	s_delay_alu instid0(VALU_DEP_2) | instskip(NEXT) | instid1(VALU_DEP_2)
	v_add_f64_e32 v[1:2], v[10:11], v[1:2]
	v_add_f64_e32 v[3:4], v[12:13], v[4:5]
	s_delay_alu instid0(VALU_DEP_2) | instskip(NEXT) | instid1(VALU_DEP_2)
	;; [unrolled: 3-line block ×3, first 2 shown]
	v_add_f64_e64 v[1:2], v[127:128], -v[1:2]
	v_add_f64_e64 v[3:4], v[129:130], -v[3:4]
	scratch_store_b128 off, v[1:4], off offset:384
	v_cmpx_lt_u32_e32 22, v0
	s_cbranch_execz .LBB39_209
; %bb.208:
	scratch_load_b128 v[1:4], off, s23
	v_mov_b32_e32 v5, 0
	s_delay_alu instid0(VALU_DEP_1)
	v_dual_mov_b32 v6, v5 :: v_dual_mov_b32 v7, v5
	v_mov_b32_e32 v8, v5
	scratch_store_b128 off, v[5:8], off offset:368
	s_wait_loadcnt 0x0
	ds_store_b128 v126, v[1:4]
.LBB39_209:
	s_wait_alu 0xfffe
	s_or_b32 exec_lo, exec_lo, s0
	s_wait_storecnt_dscnt 0x0
	s_barrier_signal -1
	s_barrier_wait -1
	global_inv scope:SCOPE_SE
	s_clause 0x7
	scratch_load_b128 v[2:5], off, off offset:384
	scratch_load_b128 v[6:9], off, off offset:400
	;; [unrolled: 1-line block ×8, first 2 shown]
	v_mov_b32_e32 v1, 0
	s_mov_b32 s0, exec_lo
	ds_load_b128 v[34:37], v1 offset:1008
	s_clause 0x1
	scratch_load_b128 v[38:41], off, off offset:512
	scratch_load_b128 v[42:45], off, off offset:368
	ds_load_b128 v[127:130], v1 offset:1024
	scratch_load_b128 v[131:134], off, off offset:528
	s_wait_loadcnt_dscnt 0xa01
	v_mul_f64_e32 v[135:136], v[36:37], v[4:5]
	v_mul_f64_e32 v[4:5], v[34:35], v[4:5]
	s_delay_alu instid0(VALU_DEP_2) | instskip(NEXT) | instid1(VALU_DEP_2)
	v_fma_f64 v[141:142], v[34:35], v[2:3], -v[135:136]
	v_fma_f64 v[143:144], v[36:37], v[2:3], v[4:5]
	ds_load_b128 v[2:5], v1 offset:1040
	s_wait_loadcnt_dscnt 0x901
	v_mul_f64_e32 v[139:140], v[127:128], v[8:9]
	v_mul_f64_e32 v[8:9], v[129:130], v[8:9]
	scratch_load_b128 v[34:37], off, off offset:544
	ds_load_b128 v[135:138], v1 offset:1056
	s_wait_loadcnt_dscnt 0x901
	v_mul_f64_e32 v[145:146], v[2:3], v[12:13]
	v_mul_f64_e32 v[12:13], v[4:5], v[12:13]
	v_fma_f64 v[129:130], v[129:130], v[6:7], v[139:140]
	v_fma_f64 v[127:128], v[127:128], v[6:7], -v[8:9]
	v_add_f64_e32 v[139:140], 0, v[141:142]
	v_add_f64_e32 v[141:142], 0, v[143:144]
	scratch_load_b128 v[6:9], off, off offset:560
	v_fma_f64 v[145:146], v[4:5], v[10:11], v[145:146]
	v_fma_f64 v[147:148], v[2:3], v[10:11], -v[12:13]
	ds_load_b128 v[2:5], v1 offset:1072
	s_wait_loadcnt_dscnt 0x901
	v_mul_f64_e32 v[143:144], v[135:136], v[16:17]
	v_mul_f64_e32 v[16:17], v[137:138], v[16:17]
	scratch_load_b128 v[10:13], off, off offset:576
	v_add_f64_e32 v[139:140], v[139:140], v[127:128]
	v_add_f64_e32 v[141:142], v[141:142], v[129:130]
	s_wait_loadcnt_dscnt 0x900
	v_mul_f64_e32 v[149:150], v[2:3], v[20:21]
	v_mul_f64_e32 v[20:21], v[4:5], v[20:21]
	ds_load_b128 v[127:130], v1 offset:1088
	v_fma_f64 v[137:138], v[137:138], v[14:15], v[143:144]
	v_fma_f64 v[135:136], v[135:136], v[14:15], -v[16:17]
	scratch_load_b128 v[14:17], off, off offset:592
	v_add_f64_e32 v[139:140], v[139:140], v[147:148]
	v_add_f64_e32 v[141:142], v[141:142], v[145:146]
	v_fma_f64 v[145:146], v[4:5], v[18:19], v[149:150]
	v_fma_f64 v[147:148], v[2:3], v[18:19], -v[20:21]
	ds_load_b128 v[2:5], v1 offset:1104
	s_wait_loadcnt_dscnt 0x901
	v_mul_f64_e32 v[143:144], v[127:128], v[24:25]
	v_mul_f64_e32 v[24:25], v[129:130], v[24:25]
	scratch_load_b128 v[18:21], off, off offset:608
	s_wait_loadcnt_dscnt 0x900
	v_mul_f64_e32 v[149:150], v[2:3], v[28:29]
	v_mul_f64_e32 v[28:29], v[4:5], v[28:29]
	v_add_f64_e32 v[139:140], v[139:140], v[135:136]
	v_add_f64_e32 v[141:142], v[141:142], v[137:138]
	ds_load_b128 v[135:138], v1 offset:1120
	v_fma_f64 v[129:130], v[129:130], v[22:23], v[143:144]
	v_fma_f64 v[127:128], v[127:128], v[22:23], -v[24:25]
	scratch_load_b128 v[22:25], off, off offset:624
	v_add_f64_e32 v[139:140], v[139:140], v[147:148]
	v_add_f64_e32 v[141:142], v[141:142], v[145:146]
	v_fma_f64 v[145:146], v[4:5], v[26:27], v[149:150]
	v_fma_f64 v[147:148], v[2:3], v[26:27], -v[28:29]
	ds_load_b128 v[2:5], v1 offset:1136
	s_wait_loadcnt_dscnt 0x901
	v_mul_f64_e32 v[143:144], v[135:136], v[32:33]
	v_mul_f64_e32 v[32:33], v[137:138], v[32:33]
	scratch_load_b128 v[26:29], off, off offset:640
	s_wait_loadcnt_dscnt 0x900
	v_mul_f64_e32 v[149:150], v[2:3], v[40:41]
	v_mul_f64_e32 v[40:41], v[4:5], v[40:41]
	v_add_f64_e32 v[139:140], v[139:140], v[127:128]
	v_add_f64_e32 v[141:142], v[141:142], v[129:130]
	ds_load_b128 v[127:130], v1 offset:1152
	v_fma_f64 v[137:138], v[137:138], v[30:31], v[143:144]
	v_fma_f64 v[30:31], v[135:136], v[30:31], -v[32:33]
	v_add_f64_e32 v[32:33], v[139:140], v[147:148]
	v_add_f64_e32 v[135:136], v[141:142], v[145:146]
	s_wait_loadcnt_dscnt 0x700
	v_mul_f64_e32 v[139:140], v[127:128], v[133:134]
	v_mul_f64_e32 v[133:134], v[129:130], v[133:134]
	v_fma_f64 v[141:142], v[4:5], v[38:39], v[149:150]
	v_fma_f64 v[38:39], v[2:3], v[38:39], -v[40:41]
	v_add_f64_e32 v[40:41], v[32:33], v[30:31]
	v_add_f64_e32 v[135:136], v[135:136], v[137:138]
	ds_load_b128 v[2:5], v1 offset:1168
	ds_load_b128 v[30:33], v1 offset:1184
	v_fma_f64 v[129:130], v[129:130], v[131:132], v[139:140]
	v_fma_f64 v[127:128], v[127:128], v[131:132], -v[133:134]
	s_wait_loadcnt_dscnt 0x601
	v_mul_f64_e32 v[137:138], v[2:3], v[36:37]
	v_mul_f64_e32 v[36:37], v[4:5], v[36:37]
	v_add_f64_e32 v[38:39], v[40:41], v[38:39]
	v_add_f64_e32 v[40:41], v[135:136], v[141:142]
	s_wait_loadcnt_dscnt 0x500
	v_mul_f64_e32 v[131:132], v[30:31], v[8:9]
	v_mul_f64_e32 v[8:9], v[32:33], v[8:9]
	v_fma_f64 v[133:134], v[4:5], v[34:35], v[137:138]
	v_fma_f64 v[135:136], v[2:3], v[34:35], -v[36:37]
	ds_load_b128 v[2:5], v1 offset:1200
	ds_load_b128 v[34:37], v1 offset:1216
	v_add_f64_e32 v[38:39], v[38:39], v[127:128]
	v_add_f64_e32 v[40:41], v[40:41], v[129:130]
	s_wait_loadcnt_dscnt 0x401
	v_mul_f64_e32 v[127:128], v[2:3], v[12:13]
	v_mul_f64_e32 v[12:13], v[4:5], v[12:13]
	v_fma_f64 v[32:33], v[32:33], v[6:7], v[131:132]
	v_fma_f64 v[6:7], v[30:31], v[6:7], -v[8:9]
	v_add_f64_e32 v[8:9], v[38:39], v[135:136]
	v_add_f64_e32 v[30:31], v[40:41], v[133:134]
	s_wait_loadcnt_dscnt 0x300
	v_mul_f64_e32 v[38:39], v[34:35], v[16:17]
	v_mul_f64_e32 v[16:17], v[36:37], v[16:17]
	v_fma_f64 v[40:41], v[4:5], v[10:11], v[127:128]
	v_fma_f64 v[10:11], v[2:3], v[10:11], -v[12:13]
	v_add_f64_e32 v[12:13], v[8:9], v[6:7]
	v_add_f64_e32 v[30:31], v[30:31], v[32:33]
	ds_load_b128 v[2:5], v1 offset:1232
	ds_load_b128 v[6:9], v1 offset:1248
	v_fma_f64 v[36:37], v[36:37], v[14:15], v[38:39]
	v_fma_f64 v[14:15], v[34:35], v[14:15], -v[16:17]
	s_wait_loadcnt_dscnt 0x201
	v_mul_f64_e32 v[32:33], v[2:3], v[20:21]
	v_mul_f64_e32 v[20:21], v[4:5], v[20:21]
	s_wait_loadcnt_dscnt 0x100
	v_mul_f64_e32 v[16:17], v[6:7], v[24:25]
	v_mul_f64_e32 v[24:25], v[8:9], v[24:25]
	v_add_f64_e32 v[10:11], v[12:13], v[10:11]
	v_add_f64_e32 v[12:13], v[30:31], v[40:41]
	v_fma_f64 v[30:31], v[4:5], v[18:19], v[32:33]
	v_fma_f64 v[18:19], v[2:3], v[18:19], -v[20:21]
	ds_load_b128 v[2:5], v1 offset:1264
	v_fma_f64 v[8:9], v[8:9], v[22:23], v[16:17]
	v_fma_f64 v[6:7], v[6:7], v[22:23], -v[24:25]
	v_add_f64_e32 v[10:11], v[10:11], v[14:15]
	v_add_f64_e32 v[12:13], v[12:13], v[36:37]
	s_wait_loadcnt_dscnt 0x0
	v_mul_f64_e32 v[14:15], v[2:3], v[28:29]
	v_mul_f64_e32 v[20:21], v[4:5], v[28:29]
	s_delay_alu instid0(VALU_DEP_4) | instskip(NEXT) | instid1(VALU_DEP_4)
	v_add_f64_e32 v[10:11], v[10:11], v[18:19]
	v_add_f64_e32 v[12:13], v[12:13], v[30:31]
	s_delay_alu instid0(VALU_DEP_4) | instskip(NEXT) | instid1(VALU_DEP_4)
	v_fma_f64 v[4:5], v[4:5], v[26:27], v[14:15]
	v_fma_f64 v[2:3], v[2:3], v[26:27], -v[20:21]
	s_delay_alu instid0(VALU_DEP_4) | instskip(NEXT) | instid1(VALU_DEP_4)
	v_add_f64_e32 v[6:7], v[10:11], v[6:7]
	v_add_f64_e32 v[8:9], v[12:13], v[8:9]
	s_delay_alu instid0(VALU_DEP_2) | instskip(NEXT) | instid1(VALU_DEP_2)
	v_add_f64_e32 v[2:3], v[6:7], v[2:3]
	v_add_f64_e32 v[4:5], v[8:9], v[4:5]
	s_delay_alu instid0(VALU_DEP_2) | instskip(NEXT) | instid1(VALU_DEP_2)
	v_add_f64_e64 v[2:3], v[42:43], -v[2:3]
	v_add_f64_e64 v[4:5], v[44:45], -v[4:5]
	scratch_store_b128 off, v[2:5], off offset:368
	v_cmpx_lt_u32_e32 21, v0
	s_cbranch_execz .LBB39_211
; %bb.210:
	scratch_load_b128 v[5:8], off, s22
	v_dual_mov_b32 v2, v1 :: v_dual_mov_b32 v3, v1
	v_mov_b32_e32 v4, v1
	scratch_store_b128 off, v[1:4], off offset:352
	s_wait_loadcnt 0x0
	ds_store_b128 v126, v[5:8]
.LBB39_211:
	s_wait_alu 0xfffe
	s_or_b32 exec_lo, exec_lo, s0
	s_wait_storecnt_dscnt 0x0
	s_barrier_signal -1
	s_barrier_wait -1
	global_inv scope:SCOPE_SE
	s_clause 0x8
	scratch_load_b128 v[2:5], off, off offset:368
	scratch_load_b128 v[6:9], off, off offset:384
	scratch_load_b128 v[10:13], off, off offset:400
	scratch_load_b128 v[14:17], off, off offset:416
	scratch_load_b128 v[18:21], off, off offset:432
	scratch_load_b128 v[22:25], off, off offset:448
	scratch_load_b128 v[26:29], off, off offset:464
	scratch_load_b128 v[30:33], off, off offset:480
	scratch_load_b128 v[34:37], off, off offset:496
	ds_load_b128 v[38:41], v1 offset:992
	ds_load_b128 v[42:45], v1 offset:1008
	s_clause 0x1
	scratch_load_b128 v[127:130], off, off offset:352
	scratch_load_b128 v[131:134], off, off offset:512
	s_mov_b32 s0, exec_lo
	s_wait_loadcnt_dscnt 0xa01
	v_mul_f64_e32 v[135:136], v[40:41], v[4:5]
	v_mul_f64_e32 v[4:5], v[38:39], v[4:5]
	s_wait_loadcnt_dscnt 0x900
	v_mul_f64_e32 v[139:140], v[42:43], v[8:9]
	v_mul_f64_e32 v[8:9], v[44:45], v[8:9]
	s_delay_alu instid0(VALU_DEP_4) | instskip(NEXT) | instid1(VALU_DEP_4)
	v_fma_f64 v[141:142], v[38:39], v[2:3], -v[135:136]
	v_fma_f64 v[143:144], v[40:41], v[2:3], v[4:5]
	ds_load_b128 v[2:5], v1 offset:1024
	ds_load_b128 v[135:138], v1 offset:1040
	scratch_load_b128 v[38:41], off, off offset:528
	v_fma_f64 v[44:45], v[44:45], v[6:7], v[139:140]
	v_fma_f64 v[42:43], v[42:43], v[6:7], -v[8:9]
	scratch_load_b128 v[6:9], off, off offset:544
	s_wait_loadcnt_dscnt 0xa01
	v_mul_f64_e32 v[145:146], v[2:3], v[12:13]
	v_mul_f64_e32 v[12:13], v[4:5], v[12:13]
	v_add_f64_e32 v[139:140], 0, v[141:142]
	v_add_f64_e32 v[141:142], 0, v[143:144]
	s_wait_loadcnt_dscnt 0x900
	v_mul_f64_e32 v[143:144], v[135:136], v[16:17]
	v_mul_f64_e32 v[16:17], v[137:138], v[16:17]
	v_fma_f64 v[145:146], v[4:5], v[10:11], v[145:146]
	v_fma_f64 v[147:148], v[2:3], v[10:11], -v[12:13]
	ds_load_b128 v[2:5], v1 offset:1056
	scratch_load_b128 v[10:13], off, off offset:560
	v_add_f64_e32 v[139:140], v[139:140], v[42:43]
	v_add_f64_e32 v[141:142], v[141:142], v[44:45]
	ds_load_b128 v[42:45], v1 offset:1072
	v_fma_f64 v[137:138], v[137:138], v[14:15], v[143:144]
	v_fma_f64 v[135:136], v[135:136], v[14:15], -v[16:17]
	scratch_load_b128 v[14:17], off, off offset:576
	s_wait_loadcnt_dscnt 0xa01
	v_mul_f64_e32 v[149:150], v[2:3], v[20:21]
	v_mul_f64_e32 v[20:21], v[4:5], v[20:21]
	s_wait_loadcnt_dscnt 0x900
	v_mul_f64_e32 v[143:144], v[42:43], v[24:25]
	v_mul_f64_e32 v[24:25], v[44:45], v[24:25]
	v_add_f64_e32 v[139:140], v[139:140], v[147:148]
	v_add_f64_e32 v[141:142], v[141:142], v[145:146]
	v_fma_f64 v[145:146], v[4:5], v[18:19], v[149:150]
	v_fma_f64 v[147:148], v[2:3], v[18:19], -v[20:21]
	ds_load_b128 v[2:5], v1 offset:1088
	scratch_load_b128 v[18:21], off, off offset:592
	v_fma_f64 v[44:45], v[44:45], v[22:23], v[143:144]
	v_fma_f64 v[42:43], v[42:43], v[22:23], -v[24:25]
	scratch_load_b128 v[22:25], off, off offset:608
	v_add_f64_e32 v[139:140], v[139:140], v[135:136]
	v_add_f64_e32 v[141:142], v[141:142], v[137:138]
	ds_load_b128 v[135:138], v1 offset:1104
	s_wait_loadcnt_dscnt 0xa01
	v_mul_f64_e32 v[149:150], v[2:3], v[28:29]
	v_mul_f64_e32 v[28:29], v[4:5], v[28:29]
	s_wait_loadcnt_dscnt 0x900
	v_mul_f64_e32 v[143:144], v[135:136], v[32:33]
	v_mul_f64_e32 v[32:33], v[137:138], v[32:33]
	v_add_f64_e32 v[139:140], v[139:140], v[147:148]
	v_add_f64_e32 v[141:142], v[141:142], v[145:146]
	v_fma_f64 v[145:146], v[4:5], v[26:27], v[149:150]
	v_fma_f64 v[147:148], v[2:3], v[26:27], -v[28:29]
	ds_load_b128 v[2:5], v1 offset:1120
	scratch_load_b128 v[26:29], off, off offset:624
	v_fma_f64 v[137:138], v[137:138], v[30:31], v[143:144]
	v_fma_f64 v[135:136], v[135:136], v[30:31], -v[32:33]
	scratch_load_b128 v[30:33], off, off offset:640
	v_add_f64_e32 v[139:140], v[139:140], v[42:43]
	v_add_f64_e32 v[141:142], v[141:142], v[44:45]
	ds_load_b128 v[42:45], v1 offset:1136
	s_wait_loadcnt_dscnt 0xa01
	v_mul_f64_e32 v[149:150], v[2:3], v[36:37]
	v_mul_f64_e32 v[36:37], v[4:5], v[36:37]
	s_wait_loadcnt_dscnt 0x800
	v_mul_f64_e32 v[143:144], v[42:43], v[133:134]
	v_mul_f64_e32 v[133:134], v[44:45], v[133:134]
	v_add_f64_e32 v[139:140], v[139:140], v[147:148]
	v_add_f64_e32 v[141:142], v[141:142], v[145:146]
	v_fma_f64 v[145:146], v[4:5], v[34:35], v[149:150]
	v_fma_f64 v[147:148], v[2:3], v[34:35], -v[36:37]
	ds_load_b128 v[2:5], v1 offset:1152
	ds_load_b128 v[34:37], v1 offset:1168
	v_fma_f64 v[44:45], v[44:45], v[131:132], v[143:144]
	v_fma_f64 v[42:43], v[42:43], v[131:132], -v[133:134]
	v_add_f64_e32 v[135:136], v[139:140], v[135:136]
	v_add_f64_e32 v[137:138], v[141:142], v[137:138]
	s_wait_loadcnt_dscnt 0x701
	v_mul_f64_e32 v[139:140], v[2:3], v[40:41]
	v_mul_f64_e32 v[40:41], v[4:5], v[40:41]
	s_delay_alu instid0(VALU_DEP_4) | instskip(NEXT) | instid1(VALU_DEP_4)
	v_add_f64_e32 v[131:132], v[135:136], v[147:148]
	v_add_f64_e32 v[133:134], v[137:138], v[145:146]
	s_wait_loadcnt_dscnt 0x600
	v_mul_f64_e32 v[135:136], v[34:35], v[8:9]
	v_mul_f64_e32 v[8:9], v[36:37], v[8:9]
	v_fma_f64 v[137:138], v[4:5], v[38:39], v[139:140]
	v_fma_f64 v[139:140], v[2:3], v[38:39], -v[40:41]
	ds_load_b128 v[2:5], v1 offset:1184
	ds_load_b128 v[38:41], v1 offset:1200
	v_add_f64_e32 v[42:43], v[131:132], v[42:43]
	v_add_f64_e32 v[44:45], v[133:134], v[44:45]
	v_fma_f64 v[36:37], v[36:37], v[6:7], v[135:136]
	s_wait_loadcnt_dscnt 0x501
	v_mul_f64_e32 v[131:132], v[2:3], v[12:13]
	v_mul_f64_e32 v[12:13], v[4:5], v[12:13]
	v_fma_f64 v[6:7], v[34:35], v[6:7], -v[8:9]
	v_add_f64_e32 v[8:9], v[42:43], v[139:140]
	v_add_f64_e32 v[34:35], v[44:45], v[137:138]
	s_wait_loadcnt_dscnt 0x400
	v_mul_f64_e32 v[42:43], v[38:39], v[16:17]
	v_mul_f64_e32 v[16:17], v[40:41], v[16:17]
	v_fma_f64 v[44:45], v[4:5], v[10:11], v[131:132]
	v_fma_f64 v[10:11], v[2:3], v[10:11], -v[12:13]
	v_add_f64_e32 v[12:13], v[8:9], v[6:7]
	v_add_f64_e32 v[34:35], v[34:35], v[36:37]
	ds_load_b128 v[2:5], v1 offset:1216
	ds_load_b128 v[6:9], v1 offset:1232
	v_fma_f64 v[40:41], v[40:41], v[14:15], v[42:43]
	v_fma_f64 v[14:15], v[38:39], v[14:15], -v[16:17]
	s_wait_loadcnt_dscnt 0x301
	v_mul_f64_e32 v[36:37], v[2:3], v[20:21]
	v_mul_f64_e32 v[20:21], v[4:5], v[20:21]
	s_wait_loadcnt_dscnt 0x200
	v_mul_f64_e32 v[16:17], v[6:7], v[24:25]
	v_mul_f64_e32 v[24:25], v[8:9], v[24:25]
	v_add_f64_e32 v[10:11], v[12:13], v[10:11]
	v_add_f64_e32 v[12:13], v[34:35], v[44:45]
	v_fma_f64 v[34:35], v[4:5], v[18:19], v[36:37]
	v_fma_f64 v[18:19], v[2:3], v[18:19], -v[20:21]
	v_fma_f64 v[8:9], v[8:9], v[22:23], v[16:17]
	v_fma_f64 v[6:7], v[6:7], v[22:23], -v[24:25]
	v_add_f64_e32 v[14:15], v[10:11], v[14:15]
	v_add_f64_e32 v[20:21], v[12:13], v[40:41]
	ds_load_b128 v[2:5], v1 offset:1248
	ds_load_b128 v[10:13], v1 offset:1264
	s_wait_loadcnt_dscnt 0x101
	v_mul_f64_e32 v[36:37], v[2:3], v[28:29]
	v_mul_f64_e32 v[28:29], v[4:5], v[28:29]
	v_add_f64_e32 v[14:15], v[14:15], v[18:19]
	v_add_f64_e32 v[16:17], v[20:21], v[34:35]
	s_wait_loadcnt_dscnt 0x0
	v_mul_f64_e32 v[18:19], v[10:11], v[32:33]
	v_mul_f64_e32 v[20:21], v[12:13], v[32:33]
	v_fma_f64 v[4:5], v[4:5], v[26:27], v[36:37]
	v_fma_f64 v[1:2], v[2:3], v[26:27], -v[28:29]
	v_add_f64_e32 v[6:7], v[14:15], v[6:7]
	v_add_f64_e32 v[8:9], v[16:17], v[8:9]
	v_fma_f64 v[12:13], v[12:13], v[30:31], v[18:19]
	v_fma_f64 v[10:11], v[10:11], v[30:31], -v[20:21]
	s_delay_alu instid0(VALU_DEP_4) | instskip(NEXT) | instid1(VALU_DEP_4)
	v_add_f64_e32 v[1:2], v[6:7], v[1:2]
	v_add_f64_e32 v[3:4], v[8:9], v[4:5]
	s_delay_alu instid0(VALU_DEP_2) | instskip(NEXT) | instid1(VALU_DEP_2)
	v_add_f64_e32 v[1:2], v[1:2], v[10:11]
	v_add_f64_e32 v[3:4], v[3:4], v[12:13]
	s_delay_alu instid0(VALU_DEP_2) | instskip(NEXT) | instid1(VALU_DEP_2)
	v_add_f64_e64 v[1:2], v[127:128], -v[1:2]
	v_add_f64_e64 v[3:4], v[129:130], -v[3:4]
	scratch_store_b128 off, v[1:4], off offset:352
	v_cmpx_lt_u32_e32 20, v0
	s_cbranch_execz .LBB39_213
; %bb.212:
	scratch_load_b128 v[1:4], off, s25
	v_mov_b32_e32 v5, 0
	s_delay_alu instid0(VALU_DEP_1)
	v_dual_mov_b32 v6, v5 :: v_dual_mov_b32 v7, v5
	v_mov_b32_e32 v8, v5
	scratch_store_b128 off, v[5:8], off offset:336
	s_wait_loadcnt 0x0
	ds_store_b128 v126, v[1:4]
.LBB39_213:
	s_wait_alu 0xfffe
	s_or_b32 exec_lo, exec_lo, s0
	s_wait_storecnt_dscnt 0x0
	s_barrier_signal -1
	s_barrier_wait -1
	global_inv scope:SCOPE_SE
	s_clause 0x7
	scratch_load_b128 v[2:5], off, off offset:352
	scratch_load_b128 v[6:9], off, off offset:368
	;; [unrolled: 1-line block ×8, first 2 shown]
	v_mov_b32_e32 v1, 0
	s_mov_b32 s0, exec_lo
	ds_load_b128 v[34:37], v1 offset:976
	s_clause 0x1
	scratch_load_b128 v[38:41], off, off offset:480
	scratch_load_b128 v[42:45], off, off offset:336
	ds_load_b128 v[127:130], v1 offset:992
	scratch_load_b128 v[131:134], off, off offset:496
	s_wait_loadcnt_dscnt 0xa01
	v_mul_f64_e32 v[135:136], v[36:37], v[4:5]
	v_mul_f64_e32 v[4:5], v[34:35], v[4:5]
	s_delay_alu instid0(VALU_DEP_2) | instskip(NEXT) | instid1(VALU_DEP_2)
	v_fma_f64 v[141:142], v[34:35], v[2:3], -v[135:136]
	v_fma_f64 v[143:144], v[36:37], v[2:3], v[4:5]
	ds_load_b128 v[2:5], v1 offset:1008
	s_wait_loadcnt_dscnt 0x901
	v_mul_f64_e32 v[139:140], v[127:128], v[8:9]
	v_mul_f64_e32 v[8:9], v[129:130], v[8:9]
	scratch_load_b128 v[34:37], off, off offset:512
	ds_load_b128 v[135:138], v1 offset:1024
	s_wait_loadcnt_dscnt 0x901
	v_mul_f64_e32 v[145:146], v[2:3], v[12:13]
	v_mul_f64_e32 v[12:13], v[4:5], v[12:13]
	v_fma_f64 v[129:130], v[129:130], v[6:7], v[139:140]
	v_fma_f64 v[127:128], v[127:128], v[6:7], -v[8:9]
	v_add_f64_e32 v[139:140], 0, v[141:142]
	v_add_f64_e32 v[141:142], 0, v[143:144]
	scratch_load_b128 v[6:9], off, off offset:528
	v_fma_f64 v[145:146], v[4:5], v[10:11], v[145:146]
	v_fma_f64 v[147:148], v[2:3], v[10:11], -v[12:13]
	ds_load_b128 v[2:5], v1 offset:1040
	s_wait_loadcnt_dscnt 0x901
	v_mul_f64_e32 v[143:144], v[135:136], v[16:17]
	v_mul_f64_e32 v[16:17], v[137:138], v[16:17]
	scratch_load_b128 v[10:13], off, off offset:544
	v_add_f64_e32 v[139:140], v[139:140], v[127:128]
	v_add_f64_e32 v[141:142], v[141:142], v[129:130]
	s_wait_loadcnt_dscnt 0x900
	v_mul_f64_e32 v[149:150], v[2:3], v[20:21]
	v_mul_f64_e32 v[20:21], v[4:5], v[20:21]
	ds_load_b128 v[127:130], v1 offset:1056
	v_fma_f64 v[137:138], v[137:138], v[14:15], v[143:144]
	v_fma_f64 v[135:136], v[135:136], v[14:15], -v[16:17]
	scratch_load_b128 v[14:17], off, off offset:560
	v_add_f64_e32 v[139:140], v[139:140], v[147:148]
	v_add_f64_e32 v[141:142], v[141:142], v[145:146]
	v_fma_f64 v[145:146], v[4:5], v[18:19], v[149:150]
	v_fma_f64 v[147:148], v[2:3], v[18:19], -v[20:21]
	ds_load_b128 v[2:5], v1 offset:1072
	s_wait_loadcnt_dscnt 0x901
	v_mul_f64_e32 v[143:144], v[127:128], v[24:25]
	v_mul_f64_e32 v[24:25], v[129:130], v[24:25]
	scratch_load_b128 v[18:21], off, off offset:576
	s_wait_loadcnt_dscnt 0x900
	v_mul_f64_e32 v[149:150], v[2:3], v[28:29]
	v_mul_f64_e32 v[28:29], v[4:5], v[28:29]
	v_add_f64_e32 v[139:140], v[139:140], v[135:136]
	v_add_f64_e32 v[141:142], v[141:142], v[137:138]
	ds_load_b128 v[135:138], v1 offset:1088
	v_fma_f64 v[129:130], v[129:130], v[22:23], v[143:144]
	v_fma_f64 v[127:128], v[127:128], v[22:23], -v[24:25]
	scratch_load_b128 v[22:25], off, off offset:592
	v_add_f64_e32 v[139:140], v[139:140], v[147:148]
	v_add_f64_e32 v[141:142], v[141:142], v[145:146]
	v_fma_f64 v[145:146], v[4:5], v[26:27], v[149:150]
	v_fma_f64 v[147:148], v[2:3], v[26:27], -v[28:29]
	ds_load_b128 v[2:5], v1 offset:1104
	s_wait_loadcnt_dscnt 0x901
	v_mul_f64_e32 v[143:144], v[135:136], v[32:33]
	v_mul_f64_e32 v[32:33], v[137:138], v[32:33]
	scratch_load_b128 v[26:29], off, off offset:608
	s_wait_loadcnt_dscnt 0x900
	v_mul_f64_e32 v[149:150], v[2:3], v[40:41]
	v_mul_f64_e32 v[40:41], v[4:5], v[40:41]
	v_add_f64_e32 v[139:140], v[139:140], v[127:128]
	v_add_f64_e32 v[141:142], v[141:142], v[129:130]
	ds_load_b128 v[127:130], v1 offset:1120
	v_fma_f64 v[137:138], v[137:138], v[30:31], v[143:144]
	v_fma_f64 v[135:136], v[135:136], v[30:31], -v[32:33]
	scratch_load_b128 v[30:33], off, off offset:624
	v_add_f64_e32 v[139:140], v[139:140], v[147:148]
	v_add_f64_e32 v[141:142], v[141:142], v[145:146]
	v_fma_f64 v[147:148], v[4:5], v[38:39], v[149:150]
	v_fma_f64 v[149:150], v[2:3], v[38:39], -v[40:41]
	ds_load_b128 v[2:5], v1 offset:1136
	s_wait_loadcnt_dscnt 0x801
	v_mul_f64_e32 v[143:144], v[127:128], v[133:134]
	v_mul_f64_e32 v[145:146], v[129:130], v[133:134]
	scratch_load_b128 v[38:41], off, off offset:640
	v_add_f64_e32 v[139:140], v[139:140], v[135:136]
	v_add_f64_e32 v[137:138], v[141:142], v[137:138]
	ds_load_b128 v[133:136], v1 offset:1152
	v_fma_f64 v[129:130], v[129:130], v[131:132], v[143:144]
	v_fma_f64 v[127:128], v[127:128], v[131:132], -v[145:146]
	s_wait_loadcnt_dscnt 0x801
	v_mul_f64_e32 v[141:142], v[2:3], v[36:37]
	v_mul_f64_e32 v[36:37], v[4:5], v[36:37]
	v_add_f64_e32 v[131:132], v[139:140], v[149:150]
	v_add_f64_e32 v[137:138], v[137:138], v[147:148]
	s_delay_alu instid0(VALU_DEP_4) | instskip(NEXT) | instid1(VALU_DEP_4)
	v_fma_f64 v[141:142], v[4:5], v[34:35], v[141:142]
	v_fma_f64 v[143:144], v[2:3], v[34:35], -v[36:37]
	s_wait_loadcnt_dscnt 0x700
	v_mul_f64_e32 v[139:140], v[133:134], v[8:9]
	v_mul_f64_e32 v[8:9], v[135:136], v[8:9]
	ds_load_b128 v[2:5], v1 offset:1168
	ds_load_b128 v[34:37], v1 offset:1184
	v_add_f64_e32 v[127:128], v[131:132], v[127:128]
	v_add_f64_e32 v[129:130], v[137:138], v[129:130]
	s_wait_loadcnt_dscnt 0x601
	v_mul_f64_e32 v[131:132], v[2:3], v[12:13]
	v_mul_f64_e32 v[12:13], v[4:5], v[12:13]
	v_fma_f64 v[135:136], v[135:136], v[6:7], v[139:140]
	v_fma_f64 v[6:7], v[133:134], v[6:7], -v[8:9]
	v_add_f64_e32 v[8:9], v[127:128], v[143:144]
	v_add_f64_e32 v[127:128], v[129:130], v[141:142]
	s_wait_loadcnt_dscnt 0x500
	v_mul_f64_e32 v[129:130], v[34:35], v[16:17]
	v_mul_f64_e32 v[16:17], v[36:37], v[16:17]
	v_fma_f64 v[131:132], v[4:5], v[10:11], v[131:132]
	v_fma_f64 v[10:11], v[2:3], v[10:11], -v[12:13]
	v_add_f64_e32 v[12:13], v[8:9], v[6:7]
	v_add_f64_e32 v[127:128], v[127:128], v[135:136]
	ds_load_b128 v[2:5], v1 offset:1200
	ds_load_b128 v[6:9], v1 offset:1216
	v_fma_f64 v[36:37], v[36:37], v[14:15], v[129:130]
	v_fma_f64 v[14:15], v[34:35], v[14:15], -v[16:17]
	s_wait_loadcnt_dscnt 0x401
	v_mul_f64_e32 v[133:134], v[2:3], v[20:21]
	v_mul_f64_e32 v[20:21], v[4:5], v[20:21]
	s_wait_loadcnt_dscnt 0x300
	v_mul_f64_e32 v[16:17], v[6:7], v[24:25]
	v_mul_f64_e32 v[24:25], v[8:9], v[24:25]
	v_add_f64_e32 v[10:11], v[12:13], v[10:11]
	v_add_f64_e32 v[12:13], v[127:128], v[131:132]
	v_fma_f64 v[34:35], v[4:5], v[18:19], v[133:134]
	v_fma_f64 v[18:19], v[2:3], v[18:19], -v[20:21]
	v_fma_f64 v[8:9], v[8:9], v[22:23], v[16:17]
	v_fma_f64 v[6:7], v[6:7], v[22:23], -v[24:25]
	v_add_f64_e32 v[14:15], v[10:11], v[14:15]
	v_add_f64_e32 v[20:21], v[12:13], v[36:37]
	ds_load_b128 v[2:5], v1 offset:1232
	ds_load_b128 v[10:13], v1 offset:1248
	s_wait_loadcnt_dscnt 0x201
	v_mul_f64_e32 v[36:37], v[2:3], v[28:29]
	v_mul_f64_e32 v[28:29], v[4:5], v[28:29]
	v_add_f64_e32 v[14:15], v[14:15], v[18:19]
	v_add_f64_e32 v[16:17], v[20:21], v[34:35]
	s_wait_loadcnt_dscnt 0x100
	v_mul_f64_e32 v[18:19], v[10:11], v[32:33]
	v_mul_f64_e32 v[20:21], v[12:13], v[32:33]
	v_fma_f64 v[22:23], v[4:5], v[26:27], v[36:37]
	v_fma_f64 v[24:25], v[2:3], v[26:27], -v[28:29]
	ds_load_b128 v[2:5], v1 offset:1264
	v_add_f64_e32 v[6:7], v[14:15], v[6:7]
	v_add_f64_e32 v[8:9], v[16:17], v[8:9]
	v_fma_f64 v[12:13], v[12:13], v[30:31], v[18:19]
	v_fma_f64 v[10:11], v[10:11], v[30:31], -v[20:21]
	s_wait_loadcnt_dscnt 0x0
	v_mul_f64_e32 v[14:15], v[2:3], v[40:41]
	v_mul_f64_e32 v[16:17], v[4:5], v[40:41]
	v_add_f64_e32 v[6:7], v[6:7], v[24:25]
	v_add_f64_e32 v[8:9], v[8:9], v[22:23]
	s_delay_alu instid0(VALU_DEP_4) | instskip(NEXT) | instid1(VALU_DEP_4)
	v_fma_f64 v[4:5], v[4:5], v[38:39], v[14:15]
	v_fma_f64 v[2:3], v[2:3], v[38:39], -v[16:17]
	s_delay_alu instid0(VALU_DEP_4) | instskip(NEXT) | instid1(VALU_DEP_4)
	v_add_f64_e32 v[6:7], v[6:7], v[10:11]
	v_add_f64_e32 v[8:9], v[8:9], v[12:13]
	s_delay_alu instid0(VALU_DEP_2) | instskip(NEXT) | instid1(VALU_DEP_2)
	v_add_f64_e32 v[2:3], v[6:7], v[2:3]
	v_add_f64_e32 v[4:5], v[8:9], v[4:5]
	s_delay_alu instid0(VALU_DEP_2) | instskip(NEXT) | instid1(VALU_DEP_2)
	v_add_f64_e64 v[2:3], v[42:43], -v[2:3]
	v_add_f64_e64 v[4:5], v[44:45], -v[4:5]
	scratch_store_b128 off, v[2:5], off offset:336
	v_cmpx_lt_u32_e32 19, v0
	s_cbranch_execz .LBB39_215
; %bb.214:
	scratch_load_b128 v[5:8], off, s24
	v_dual_mov_b32 v2, v1 :: v_dual_mov_b32 v3, v1
	v_mov_b32_e32 v4, v1
	scratch_store_b128 off, v[1:4], off offset:320
	s_wait_loadcnt 0x0
	ds_store_b128 v126, v[5:8]
.LBB39_215:
	s_wait_alu 0xfffe
	s_or_b32 exec_lo, exec_lo, s0
	s_wait_storecnt_dscnt 0x0
	s_barrier_signal -1
	s_barrier_wait -1
	global_inv scope:SCOPE_SE
	s_clause 0x8
	scratch_load_b128 v[2:5], off, off offset:336
	scratch_load_b128 v[6:9], off, off offset:352
	;; [unrolled: 1-line block ×9, first 2 shown]
	ds_load_b128 v[38:41], v1 offset:960
	ds_load_b128 v[42:45], v1 offset:976
	s_clause 0x1
	scratch_load_b128 v[127:130], off, off offset:320
	scratch_load_b128 v[131:134], off, off offset:480
	s_mov_b32 s0, exec_lo
	s_wait_loadcnt_dscnt 0xa01
	v_mul_f64_e32 v[135:136], v[40:41], v[4:5]
	v_mul_f64_e32 v[4:5], v[38:39], v[4:5]
	s_wait_loadcnt_dscnt 0x900
	v_mul_f64_e32 v[139:140], v[42:43], v[8:9]
	v_mul_f64_e32 v[8:9], v[44:45], v[8:9]
	s_delay_alu instid0(VALU_DEP_4) | instskip(NEXT) | instid1(VALU_DEP_4)
	v_fma_f64 v[141:142], v[38:39], v[2:3], -v[135:136]
	v_fma_f64 v[143:144], v[40:41], v[2:3], v[4:5]
	ds_load_b128 v[2:5], v1 offset:992
	ds_load_b128 v[135:138], v1 offset:1008
	scratch_load_b128 v[38:41], off, off offset:496
	v_fma_f64 v[44:45], v[44:45], v[6:7], v[139:140]
	v_fma_f64 v[42:43], v[42:43], v[6:7], -v[8:9]
	scratch_load_b128 v[6:9], off, off offset:512
	s_wait_loadcnt_dscnt 0xa01
	v_mul_f64_e32 v[145:146], v[2:3], v[12:13]
	v_mul_f64_e32 v[12:13], v[4:5], v[12:13]
	v_add_f64_e32 v[139:140], 0, v[141:142]
	v_add_f64_e32 v[141:142], 0, v[143:144]
	s_wait_loadcnt_dscnt 0x900
	v_mul_f64_e32 v[143:144], v[135:136], v[16:17]
	v_mul_f64_e32 v[16:17], v[137:138], v[16:17]
	v_fma_f64 v[145:146], v[4:5], v[10:11], v[145:146]
	v_fma_f64 v[147:148], v[2:3], v[10:11], -v[12:13]
	ds_load_b128 v[2:5], v1 offset:1024
	scratch_load_b128 v[10:13], off, off offset:528
	v_add_f64_e32 v[139:140], v[139:140], v[42:43]
	v_add_f64_e32 v[141:142], v[141:142], v[44:45]
	ds_load_b128 v[42:45], v1 offset:1040
	v_fma_f64 v[137:138], v[137:138], v[14:15], v[143:144]
	v_fma_f64 v[135:136], v[135:136], v[14:15], -v[16:17]
	scratch_load_b128 v[14:17], off, off offset:544
	s_wait_loadcnt_dscnt 0xa01
	v_mul_f64_e32 v[149:150], v[2:3], v[20:21]
	v_mul_f64_e32 v[20:21], v[4:5], v[20:21]
	s_wait_loadcnt_dscnt 0x900
	v_mul_f64_e32 v[143:144], v[42:43], v[24:25]
	v_mul_f64_e32 v[24:25], v[44:45], v[24:25]
	v_add_f64_e32 v[139:140], v[139:140], v[147:148]
	v_add_f64_e32 v[141:142], v[141:142], v[145:146]
	v_fma_f64 v[145:146], v[4:5], v[18:19], v[149:150]
	v_fma_f64 v[147:148], v[2:3], v[18:19], -v[20:21]
	ds_load_b128 v[2:5], v1 offset:1056
	scratch_load_b128 v[18:21], off, off offset:560
	v_fma_f64 v[44:45], v[44:45], v[22:23], v[143:144]
	v_fma_f64 v[42:43], v[42:43], v[22:23], -v[24:25]
	scratch_load_b128 v[22:25], off, off offset:576
	v_add_f64_e32 v[139:140], v[139:140], v[135:136]
	v_add_f64_e32 v[141:142], v[141:142], v[137:138]
	ds_load_b128 v[135:138], v1 offset:1072
	s_wait_loadcnt_dscnt 0xa01
	v_mul_f64_e32 v[149:150], v[2:3], v[28:29]
	v_mul_f64_e32 v[28:29], v[4:5], v[28:29]
	s_wait_loadcnt_dscnt 0x900
	v_mul_f64_e32 v[143:144], v[135:136], v[32:33]
	v_mul_f64_e32 v[32:33], v[137:138], v[32:33]
	v_add_f64_e32 v[139:140], v[139:140], v[147:148]
	v_add_f64_e32 v[141:142], v[141:142], v[145:146]
	v_fma_f64 v[145:146], v[4:5], v[26:27], v[149:150]
	v_fma_f64 v[147:148], v[2:3], v[26:27], -v[28:29]
	ds_load_b128 v[2:5], v1 offset:1088
	scratch_load_b128 v[26:29], off, off offset:592
	v_fma_f64 v[137:138], v[137:138], v[30:31], v[143:144]
	v_fma_f64 v[135:136], v[135:136], v[30:31], -v[32:33]
	scratch_load_b128 v[30:33], off, off offset:608
	v_add_f64_e32 v[139:140], v[139:140], v[42:43]
	v_add_f64_e32 v[141:142], v[141:142], v[44:45]
	ds_load_b128 v[42:45], v1 offset:1104
	s_wait_loadcnt_dscnt 0xa01
	v_mul_f64_e32 v[149:150], v[2:3], v[36:37]
	v_mul_f64_e32 v[36:37], v[4:5], v[36:37]
	s_wait_loadcnt_dscnt 0x800
	v_mul_f64_e32 v[143:144], v[42:43], v[133:134]
	v_add_f64_e32 v[139:140], v[139:140], v[147:148]
	v_add_f64_e32 v[141:142], v[141:142], v[145:146]
	v_mul_f64_e32 v[145:146], v[44:45], v[133:134]
	v_fma_f64 v[147:148], v[4:5], v[34:35], v[149:150]
	v_fma_f64 v[149:150], v[2:3], v[34:35], -v[36:37]
	ds_load_b128 v[2:5], v1 offset:1120
	scratch_load_b128 v[34:37], off, off offset:624
	v_fma_f64 v[44:45], v[44:45], v[131:132], v[143:144]
	v_add_f64_e32 v[139:140], v[139:140], v[135:136]
	v_add_f64_e32 v[137:138], v[141:142], v[137:138]
	ds_load_b128 v[133:136], v1 offset:1136
	v_fma_f64 v[131:132], v[42:43], v[131:132], -v[145:146]
	s_wait_loadcnt_dscnt 0x801
	v_mul_f64_e32 v[141:142], v[2:3], v[40:41]
	v_mul_f64_e32 v[151:152], v[4:5], v[40:41]
	scratch_load_b128 v[40:43], off, off offset:640
	s_wait_loadcnt_dscnt 0x800
	v_mul_f64_e32 v[143:144], v[133:134], v[8:9]
	v_mul_f64_e32 v[8:9], v[135:136], v[8:9]
	v_add_f64_e32 v[139:140], v[139:140], v[149:150]
	v_add_f64_e32 v[137:138], v[137:138], v[147:148]
	v_fma_f64 v[141:142], v[4:5], v[38:39], v[141:142]
	v_fma_f64 v[38:39], v[2:3], v[38:39], -v[151:152]
	v_fma_f64 v[135:136], v[135:136], v[6:7], v[143:144]
	v_fma_f64 v[6:7], v[133:134], v[6:7], -v[8:9]
	v_add_f64_e32 v[131:132], v[139:140], v[131:132]
	v_add_f64_e32 v[44:45], v[137:138], v[44:45]
	ds_load_b128 v[2:5], v1 offset:1152
	ds_load_b128 v[137:140], v1 offset:1168
	s_wait_loadcnt_dscnt 0x701
	v_mul_f64_e32 v[145:146], v[2:3], v[12:13]
	v_mul_f64_e32 v[12:13], v[4:5], v[12:13]
	v_add_f64_e32 v[8:9], v[131:132], v[38:39]
	v_add_f64_e32 v[38:39], v[44:45], v[141:142]
	s_wait_loadcnt_dscnt 0x600
	v_mul_f64_e32 v[44:45], v[137:138], v[16:17]
	v_mul_f64_e32 v[16:17], v[139:140], v[16:17]
	v_fma_f64 v[131:132], v[4:5], v[10:11], v[145:146]
	v_fma_f64 v[10:11], v[2:3], v[10:11], -v[12:13]
	v_add_f64_e32 v[12:13], v[8:9], v[6:7]
	v_add_f64_e32 v[38:39], v[38:39], v[135:136]
	ds_load_b128 v[2:5], v1 offset:1184
	ds_load_b128 v[6:9], v1 offset:1200
	v_fma_f64 v[44:45], v[139:140], v[14:15], v[44:45]
	v_fma_f64 v[14:15], v[137:138], v[14:15], -v[16:17]
	s_wait_loadcnt_dscnt 0x501
	v_mul_f64_e32 v[133:134], v[2:3], v[20:21]
	v_mul_f64_e32 v[20:21], v[4:5], v[20:21]
	s_wait_loadcnt_dscnt 0x400
	v_mul_f64_e32 v[16:17], v[6:7], v[24:25]
	v_mul_f64_e32 v[24:25], v[8:9], v[24:25]
	v_add_f64_e32 v[10:11], v[12:13], v[10:11]
	v_add_f64_e32 v[12:13], v[38:39], v[131:132]
	v_fma_f64 v[38:39], v[4:5], v[18:19], v[133:134]
	v_fma_f64 v[18:19], v[2:3], v[18:19], -v[20:21]
	v_fma_f64 v[8:9], v[8:9], v[22:23], v[16:17]
	v_fma_f64 v[6:7], v[6:7], v[22:23], -v[24:25]
	v_add_f64_e32 v[14:15], v[10:11], v[14:15]
	v_add_f64_e32 v[20:21], v[12:13], v[44:45]
	ds_load_b128 v[2:5], v1 offset:1216
	ds_load_b128 v[10:13], v1 offset:1232
	s_wait_loadcnt_dscnt 0x301
	v_mul_f64_e32 v[44:45], v[2:3], v[28:29]
	v_mul_f64_e32 v[28:29], v[4:5], v[28:29]
	v_add_f64_e32 v[14:15], v[14:15], v[18:19]
	v_add_f64_e32 v[16:17], v[20:21], v[38:39]
	s_wait_loadcnt_dscnt 0x200
	v_mul_f64_e32 v[18:19], v[10:11], v[32:33]
	v_mul_f64_e32 v[20:21], v[12:13], v[32:33]
	v_fma_f64 v[22:23], v[4:5], v[26:27], v[44:45]
	v_fma_f64 v[24:25], v[2:3], v[26:27], -v[28:29]
	v_add_f64_e32 v[14:15], v[14:15], v[6:7]
	v_add_f64_e32 v[16:17], v[16:17], v[8:9]
	ds_load_b128 v[2:5], v1 offset:1248
	ds_load_b128 v[6:9], v1 offset:1264
	v_fma_f64 v[12:13], v[12:13], v[30:31], v[18:19]
	v_fma_f64 v[10:11], v[10:11], v[30:31], -v[20:21]
	s_wait_loadcnt_dscnt 0x101
	v_mul_f64_e32 v[26:27], v[2:3], v[36:37]
	v_mul_f64_e32 v[28:29], v[4:5], v[36:37]
	s_wait_loadcnt_dscnt 0x0
	v_mul_f64_e32 v[18:19], v[6:7], v[42:43]
	v_add_f64_e32 v[14:15], v[14:15], v[24:25]
	v_add_f64_e32 v[16:17], v[16:17], v[22:23]
	v_mul_f64_e32 v[20:21], v[8:9], v[42:43]
	v_fma_f64 v[4:5], v[4:5], v[34:35], v[26:27]
	v_fma_f64 v[1:2], v[2:3], v[34:35], -v[28:29]
	v_fma_f64 v[8:9], v[8:9], v[40:41], v[18:19]
	v_add_f64_e32 v[10:11], v[14:15], v[10:11]
	v_add_f64_e32 v[12:13], v[16:17], v[12:13]
	v_fma_f64 v[6:7], v[6:7], v[40:41], -v[20:21]
	s_delay_alu instid0(VALU_DEP_3) | instskip(NEXT) | instid1(VALU_DEP_3)
	v_add_f64_e32 v[1:2], v[10:11], v[1:2]
	v_add_f64_e32 v[3:4], v[12:13], v[4:5]
	s_delay_alu instid0(VALU_DEP_2) | instskip(NEXT) | instid1(VALU_DEP_2)
	v_add_f64_e32 v[1:2], v[1:2], v[6:7]
	v_add_f64_e32 v[3:4], v[3:4], v[8:9]
	s_delay_alu instid0(VALU_DEP_2) | instskip(NEXT) | instid1(VALU_DEP_2)
	v_add_f64_e64 v[1:2], v[127:128], -v[1:2]
	v_add_f64_e64 v[3:4], v[129:130], -v[3:4]
	scratch_store_b128 off, v[1:4], off offset:320
	v_cmpx_lt_u32_e32 18, v0
	s_cbranch_execz .LBB39_217
; %bb.216:
	scratch_load_b128 v[1:4], off, s34
	v_mov_b32_e32 v5, 0
	s_delay_alu instid0(VALU_DEP_1)
	v_dual_mov_b32 v6, v5 :: v_dual_mov_b32 v7, v5
	v_mov_b32_e32 v8, v5
	scratch_store_b128 off, v[5:8], off offset:304
	s_wait_loadcnt 0x0
	ds_store_b128 v126, v[1:4]
.LBB39_217:
	s_wait_alu 0xfffe
	s_or_b32 exec_lo, exec_lo, s0
	s_wait_storecnt_dscnt 0x0
	s_barrier_signal -1
	s_barrier_wait -1
	global_inv scope:SCOPE_SE
	s_clause 0x7
	scratch_load_b128 v[2:5], off, off offset:320
	scratch_load_b128 v[6:9], off, off offset:336
	;; [unrolled: 1-line block ×8, first 2 shown]
	v_mov_b32_e32 v1, 0
	s_mov_b32 s0, exec_lo
	ds_load_b128 v[34:37], v1 offset:944
	s_clause 0x1
	scratch_load_b128 v[38:41], off, off offset:448
	scratch_load_b128 v[42:45], off, off offset:304
	ds_load_b128 v[127:130], v1 offset:960
	scratch_load_b128 v[131:134], off, off offset:464
	s_wait_loadcnt_dscnt 0xa01
	v_mul_f64_e32 v[135:136], v[36:37], v[4:5]
	v_mul_f64_e32 v[4:5], v[34:35], v[4:5]
	s_delay_alu instid0(VALU_DEP_2) | instskip(NEXT) | instid1(VALU_DEP_2)
	v_fma_f64 v[141:142], v[34:35], v[2:3], -v[135:136]
	v_fma_f64 v[143:144], v[36:37], v[2:3], v[4:5]
	ds_load_b128 v[2:5], v1 offset:976
	s_wait_loadcnt_dscnt 0x901
	v_mul_f64_e32 v[139:140], v[127:128], v[8:9]
	v_mul_f64_e32 v[8:9], v[129:130], v[8:9]
	scratch_load_b128 v[34:37], off, off offset:480
	ds_load_b128 v[135:138], v1 offset:992
	s_wait_loadcnt_dscnt 0x901
	v_mul_f64_e32 v[145:146], v[2:3], v[12:13]
	v_mul_f64_e32 v[12:13], v[4:5], v[12:13]
	v_fma_f64 v[129:130], v[129:130], v[6:7], v[139:140]
	v_fma_f64 v[127:128], v[127:128], v[6:7], -v[8:9]
	v_add_f64_e32 v[139:140], 0, v[141:142]
	v_add_f64_e32 v[141:142], 0, v[143:144]
	scratch_load_b128 v[6:9], off, off offset:496
	v_fma_f64 v[145:146], v[4:5], v[10:11], v[145:146]
	v_fma_f64 v[147:148], v[2:3], v[10:11], -v[12:13]
	ds_load_b128 v[2:5], v1 offset:1008
	s_wait_loadcnt_dscnt 0x901
	v_mul_f64_e32 v[143:144], v[135:136], v[16:17]
	v_mul_f64_e32 v[16:17], v[137:138], v[16:17]
	scratch_load_b128 v[10:13], off, off offset:512
	v_add_f64_e32 v[139:140], v[139:140], v[127:128]
	v_add_f64_e32 v[141:142], v[141:142], v[129:130]
	s_wait_loadcnt_dscnt 0x900
	v_mul_f64_e32 v[149:150], v[2:3], v[20:21]
	v_mul_f64_e32 v[20:21], v[4:5], v[20:21]
	ds_load_b128 v[127:130], v1 offset:1024
	v_fma_f64 v[137:138], v[137:138], v[14:15], v[143:144]
	v_fma_f64 v[135:136], v[135:136], v[14:15], -v[16:17]
	scratch_load_b128 v[14:17], off, off offset:528
	v_add_f64_e32 v[139:140], v[139:140], v[147:148]
	v_add_f64_e32 v[141:142], v[141:142], v[145:146]
	v_fma_f64 v[145:146], v[4:5], v[18:19], v[149:150]
	v_fma_f64 v[147:148], v[2:3], v[18:19], -v[20:21]
	ds_load_b128 v[2:5], v1 offset:1040
	s_wait_loadcnt_dscnt 0x901
	v_mul_f64_e32 v[143:144], v[127:128], v[24:25]
	v_mul_f64_e32 v[24:25], v[129:130], v[24:25]
	scratch_load_b128 v[18:21], off, off offset:544
	s_wait_loadcnt_dscnt 0x900
	v_mul_f64_e32 v[149:150], v[2:3], v[28:29]
	v_mul_f64_e32 v[28:29], v[4:5], v[28:29]
	v_add_f64_e32 v[139:140], v[139:140], v[135:136]
	v_add_f64_e32 v[141:142], v[141:142], v[137:138]
	ds_load_b128 v[135:138], v1 offset:1056
	v_fma_f64 v[129:130], v[129:130], v[22:23], v[143:144]
	v_fma_f64 v[127:128], v[127:128], v[22:23], -v[24:25]
	scratch_load_b128 v[22:25], off, off offset:560
	v_add_f64_e32 v[139:140], v[139:140], v[147:148]
	v_add_f64_e32 v[141:142], v[141:142], v[145:146]
	v_fma_f64 v[145:146], v[4:5], v[26:27], v[149:150]
	v_fma_f64 v[147:148], v[2:3], v[26:27], -v[28:29]
	ds_load_b128 v[2:5], v1 offset:1072
	s_wait_loadcnt_dscnt 0x901
	v_mul_f64_e32 v[143:144], v[135:136], v[32:33]
	v_mul_f64_e32 v[32:33], v[137:138], v[32:33]
	scratch_load_b128 v[26:29], off, off offset:576
	s_wait_loadcnt_dscnt 0x900
	v_mul_f64_e32 v[149:150], v[2:3], v[40:41]
	v_mul_f64_e32 v[40:41], v[4:5], v[40:41]
	v_add_f64_e32 v[139:140], v[139:140], v[127:128]
	v_add_f64_e32 v[141:142], v[141:142], v[129:130]
	ds_load_b128 v[127:130], v1 offset:1088
	v_fma_f64 v[137:138], v[137:138], v[30:31], v[143:144]
	v_fma_f64 v[135:136], v[135:136], v[30:31], -v[32:33]
	scratch_load_b128 v[30:33], off, off offset:592
	v_add_f64_e32 v[139:140], v[139:140], v[147:148]
	v_add_f64_e32 v[141:142], v[141:142], v[145:146]
	v_fma_f64 v[147:148], v[4:5], v[38:39], v[149:150]
	v_fma_f64 v[149:150], v[2:3], v[38:39], -v[40:41]
	ds_load_b128 v[2:5], v1 offset:1104
	s_wait_loadcnt_dscnt 0x801
	v_mul_f64_e32 v[143:144], v[127:128], v[133:134]
	v_mul_f64_e32 v[145:146], v[129:130], v[133:134]
	scratch_load_b128 v[38:41], off, off offset:608
	v_add_f64_e32 v[139:140], v[139:140], v[135:136]
	v_add_f64_e32 v[137:138], v[141:142], v[137:138]
	ds_load_b128 v[133:136], v1 offset:1120
	v_fma_f64 v[143:144], v[129:130], v[131:132], v[143:144]
	v_fma_f64 v[131:132], v[127:128], v[131:132], -v[145:146]
	scratch_load_b128 v[127:130], off, off offset:624
	s_wait_loadcnt_dscnt 0x901
	v_mul_f64_e32 v[141:142], v[2:3], v[36:37]
	v_mul_f64_e32 v[36:37], v[4:5], v[36:37]
	v_add_f64_e32 v[139:140], v[139:140], v[149:150]
	v_add_f64_e32 v[137:138], v[137:138], v[147:148]
	s_delay_alu instid0(VALU_DEP_4) | instskip(NEXT) | instid1(VALU_DEP_4)
	v_fma_f64 v[141:142], v[4:5], v[34:35], v[141:142]
	v_fma_f64 v[147:148], v[2:3], v[34:35], -v[36:37]
	ds_load_b128 v[2:5], v1 offset:1136
	s_wait_loadcnt_dscnt 0x801
	v_mul_f64_e32 v[145:146], v[133:134], v[8:9]
	v_mul_f64_e32 v[8:9], v[135:136], v[8:9]
	scratch_load_b128 v[34:37], off, off offset:640
	s_wait_loadcnt_dscnt 0x800
	v_mul_f64_e32 v[149:150], v[2:3], v[12:13]
	v_add_f64_e32 v[131:132], v[139:140], v[131:132]
	v_add_f64_e32 v[143:144], v[137:138], v[143:144]
	v_mul_f64_e32 v[12:13], v[4:5], v[12:13]
	ds_load_b128 v[137:140], v1 offset:1152
	v_fma_f64 v[135:136], v[135:136], v[6:7], v[145:146]
	v_fma_f64 v[6:7], v[133:134], v[6:7], -v[8:9]
	s_wait_loadcnt_dscnt 0x700
	v_mul_f64_e32 v[133:134], v[137:138], v[16:17]
	v_add_f64_e32 v[8:9], v[131:132], v[147:148]
	v_add_f64_e32 v[131:132], v[143:144], v[141:142]
	v_mul_f64_e32 v[16:17], v[139:140], v[16:17]
	v_fma_f64 v[141:142], v[4:5], v[10:11], v[149:150]
	v_fma_f64 v[10:11], v[2:3], v[10:11], -v[12:13]
	v_fma_f64 v[133:134], v[139:140], v[14:15], v[133:134]
	v_add_f64_e32 v[12:13], v[8:9], v[6:7]
	v_add_f64_e32 v[131:132], v[131:132], v[135:136]
	ds_load_b128 v[2:5], v1 offset:1168
	ds_load_b128 v[6:9], v1 offset:1184
	v_fma_f64 v[14:15], v[137:138], v[14:15], -v[16:17]
	s_wait_loadcnt_dscnt 0x601
	v_mul_f64_e32 v[135:136], v[2:3], v[20:21]
	v_mul_f64_e32 v[20:21], v[4:5], v[20:21]
	s_wait_loadcnt_dscnt 0x500
	v_mul_f64_e32 v[16:17], v[6:7], v[24:25]
	v_mul_f64_e32 v[24:25], v[8:9], v[24:25]
	v_add_f64_e32 v[10:11], v[12:13], v[10:11]
	v_add_f64_e32 v[12:13], v[131:132], v[141:142]
	v_fma_f64 v[131:132], v[4:5], v[18:19], v[135:136]
	v_fma_f64 v[18:19], v[2:3], v[18:19], -v[20:21]
	v_fma_f64 v[8:9], v[8:9], v[22:23], v[16:17]
	v_fma_f64 v[6:7], v[6:7], v[22:23], -v[24:25]
	v_add_f64_e32 v[14:15], v[10:11], v[14:15]
	v_add_f64_e32 v[20:21], v[12:13], v[133:134]
	ds_load_b128 v[2:5], v1 offset:1200
	ds_load_b128 v[10:13], v1 offset:1216
	s_wait_loadcnt_dscnt 0x401
	v_mul_f64_e32 v[133:134], v[2:3], v[28:29]
	v_mul_f64_e32 v[28:29], v[4:5], v[28:29]
	v_add_f64_e32 v[14:15], v[14:15], v[18:19]
	v_add_f64_e32 v[16:17], v[20:21], v[131:132]
	s_wait_loadcnt_dscnt 0x300
	v_mul_f64_e32 v[18:19], v[10:11], v[32:33]
	v_mul_f64_e32 v[20:21], v[12:13], v[32:33]
	v_fma_f64 v[22:23], v[4:5], v[26:27], v[133:134]
	v_fma_f64 v[24:25], v[2:3], v[26:27], -v[28:29]
	v_add_f64_e32 v[14:15], v[14:15], v[6:7]
	v_add_f64_e32 v[16:17], v[16:17], v[8:9]
	ds_load_b128 v[2:5], v1 offset:1232
	ds_load_b128 v[6:9], v1 offset:1248
	v_fma_f64 v[12:13], v[12:13], v[30:31], v[18:19]
	v_fma_f64 v[10:11], v[10:11], v[30:31], -v[20:21]
	s_wait_loadcnt_dscnt 0x201
	v_mul_f64_e32 v[26:27], v[2:3], v[40:41]
	v_mul_f64_e32 v[28:29], v[4:5], v[40:41]
	s_wait_loadcnt_dscnt 0x100
	v_mul_f64_e32 v[18:19], v[6:7], v[129:130]
	v_mul_f64_e32 v[20:21], v[8:9], v[129:130]
	v_add_f64_e32 v[14:15], v[14:15], v[24:25]
	v_add_f64_e32 v[16:17], v[16:17], v[22:23]
	v_fma_f64 v[22:23], v[4:5], v[38:39], v[26:27]
	v_fma_f64 v[24:25], v[2:3], v[38:39], -v[28:29]
	ds_load_b128 v[2:5], v1 offset:1264
	v_fma_f64 v[8:9], v[8:9], v[127:128], v[18:19]
	v_fma_f64 v[6:7], v[6:7], v[127:128], -v[20:21]
	v_add_f64_e32 v[10:11], v[14:15], v[10:11]
	v_add_f64_e32 v[12:13], v[16:17], v[12:13]
	s_wait_loadcnt_dscnt 0x0
	v_mul_f64_e32 v[14:15], v[2:3], v[36:37]
	v_mul_f64_e32 v[16:17], v[4:5], v[36:37]
	s_delay_alu instid0(VALU_DEP_4) | instskip(NEXT) | instid1(VALU_DEP_4)
	v_add_f64_e32 v[10:11], v[10:11], v[24:25]
	v_add_f64_e32 v[12:13], v[12:13], v[22:23]
	s_delay_alu instid0(VALU_DEP_4) | instskip(NEXT) | instid1(VALU_DEP_4)
	v_fma_f64 v[4:5], v[4:5], v[34:35], v[14:15]
	v_fma_f64 v[2:3], v[2:3], v[34:35], -v[16:17]
	s_delay_alu instid0(VALU_DEP_4) | instskip(NEXT) | instid1(VALU_DEP_4)
	v_add_f64_e32 v[6:7], v[10:11], v[6:7]
	v_add_f64_e32 v[8:9], v[12:13], v[8:9]
	s_delay_alu instid0(VALU_DEP_2) | instskip(NEXT) | instid1(VALU_DEP_2)
	v_add_f64_e32 v[2:3], v[6:7], v[2:3]
	v_add_f64_e32 v[4:5], v[8:9], v[4:5]
	s_delay_alu instid0(VALU_DEP_2) | instskip(NEXT) | instid1(VALU_DEP_2)
	v_add_f64_e64 v[2:3], v[42:43], -v[2:3]
	v_add_f64_e64 v[4:5], v[44:45], -v[4:5]
	scratch_store_b128 off, v[2:5], off offset:304
	v_cmpx_lt_u32_e32 17, v0
	s_cbranch_execz .LBB39_219
; %bb.218:
	scratch_load_b128 v[5:8], off, s36
	v_dual_mov_b32 v2, v1 :: v_dual_mov_b32 v3, v1
	v_mov_b32_e32 v4, v1
	scratch_store_b128 off, v[1:4], off offset:288
	s_wait_loadcnt 0x0
	ds_store_b128 v126, v[5:8]
.LBB39_219:
	s_wait_alu 0xfffe
	s_or_b32 exec_lo, exec_lo, s0
	s_wait_storecnt_dscnt 0x0
	s_barrier_signal -1
	s_barrier_wait -1
	global_inv scope:SCOPE_SE
	s_clause 0x8
	scratch_load_b128 v[2:5], off, off offset:304
	scratch_load_b128 v[6:9], off, off offset:320
	;; [unrolled: 1-line block ×9, first 2 shown]
	ds_load_b128 v[38:41], v1 offset:928
	ds_load_b128 v[42:45], v1 offset:944
	s_clause 0x1
	scratch_load_b128 v[127:130], off, off offset:288
	scratch_load_b128 v[131:134], off, off offset:448
	s_mov_b32 s0, exec_lo
	s_wait_loadcnt_dscnt 0xa01
	v_mul_f64_e32 v[135:136], v[40:41], v[4:5]
	v_mul_f64_e32 v[4:5], v[38:39], v[4:5]
	s_wait_loadcnt_dscnt 0x900
	v_mul_f64_e32 v[139:140], v[42:43], v[8:9]
	v_mul_f64_e32 v[8:9], v[44:45], v[8:9]
	s_delay_alu instid0(VALU_DEP_4) | instskip(NEXT) | instid1(VALU_DEP_4)
	v_fma_f64 v[141:142], v[38:39], v[2:3], -v[135:136]
	v_fma_f64 v[143:144], v[40:41], v[2:3], v[4:5]
	ds_load_b128 v[2:5], v1 offset:960
	ds_load_b128 v[135:138], v1 offset:976
	scratch_load_b128 v[38:41], off, off offset:464
	v_fma_f64 v[44:45], v[44:45], v[6:7], v[139:140]
	v_fma_f64 v[42:43], v[42:43], v[6:7], -v[8:9]
	scratch_load_b128 v[6:9], off, off offset:480
	s_wait_loadcnt_dscnt 0xa01
	v_mul_f64_e32 v[145:146], v[2:3], v[12:13]
	v_mul_f64_e32 v[12:13], v[4:5], v[12:13]
	v_add_f64_e32 v[139:140], 0, v[141:142]
	v_add_f64_e32 v[141:142], 0, v[143:144]
	s_wait_loadcnt_dscnt 0x900
	v_mul_f64_e32 v[143:144], v[135:136], v[16:17]
	v_mul_f64_e32 v[16:17], v[137:138], v[16:17]
	v_fma_f64 v[145:146], v[4:5], v[10:11], v[145:146]
	v_fma_f64 v[147:148], v[2:3], v[10:11], -v[12:13]
	ds_load_b128 v[2:5], v1 offset:992
	scratch_load_b128 v[10:13], off, off offset:496
	v_add_f64_e32 v[139:140], v[139:140], v[42:43]
	v_add_f64_e32 v[141:142], v[141:142], v[44:45]
	ds_load_b128 v[42:45], v1 offset:1008
	v_fma_f64 v[137:138], v[137:138], v[14:15], v[143:144]
	v_fma_f64 v[135:136], v[135:136], v[14:15], -v[16:17]
	scratch_load_b128 v[14:17], off, off offset:512
	s_wait_loadcnt_dscnt 0xa01
	v_mul_f64_e32 v[149:150], v[2:3], v[20:21]
	v_mul_f64_e32 v[20:21], v[4:5], v[20:21]
	s_wait_loadcnt_dscnt 0x900
	v_mul_f64_e32 v[143:144], v[42:43], v[24:25]
	v_mul_f64_e32 v[24:25], v[44:45], v[24:25]
	v_add_f64_e32 v[139:140], v[139:140], v[147:148]
	v_add_f64_e32 v[141:142], v[141:142], v[145:146]
	v_fma_f64 v[145:146], v[4:5], v[18:19], v[149:150]
	v_fma_f64 v[147:148], v[2:3], v[18:19], -v[20:21]
	ds_load_b128 v[2:5], v1 offset:1024
	scratch_load_b128 v[18:21], off, off offset:528
	v_fma_f64 v[44:45], v[44:45], v[22:23], v[143:144]
	v_fma_f64 v[42:43], v[42:43], v[22:23], -v[24:25]
	scratch_load_b128 v[22:25], off, off offset:544
	v_add_f64_e32 v[139:140], v[139:140], v[135:136]
	v_add_f64_e32 v[141:142], v[141:142], v[137:138]
	ds_load_b128 v[135:138], v1 offset:1040
	s_wait_loadcnt_dscnt 0xa01
	v_mul_f64_e32 v[149:150], v[2:3], v[28:29]
	v_mul_f64_e32 v[28:29], v[4:5], v[28:29]
	s_wait_loadcnt_dscnt 0x900
	v_mul_f64_e32 v[143:144], v[135:136], v[32:33]
	v_mul_f64_e32 v[32:33], v[137:138], v[32:33]
	v_add_f64_e32 v[139:140], v[139:140], v[147:148]
	v_add_f64_e32 v[141:142], v[141:142], v[145:146]
	v_fma_f64 v[145:146], v[4:5], v[26:27], v[149:150]
	v_fma_f64 v[147:148], v[2:3], v[26:27], -v[28:29]
	ds_load_b128 v[2:5], v1 offset:1056
	scratch_load_b128 v[26:29], off, off offset:560
	v_fma_f64 v[137:138], v[137:138], v[30:31], v[143:144]
	v_fma_f64 v[135:136], v[135:136], v[30:31], -v[32:33]
	scratch_load_b128 v[30:33], off, off offset:576
	v_add_f64_e32 v[139:140], v[139:140], v[42:43]
	v_add_f64_e32 v[141:142], v[141:142], v[44:45]
	ds_load_b128 v[42:45], v1 offset:1072
	s_wait_loadcnt_dscnt 0xa01
	v_mul_f64_e32 v[149:150], v[2:3], v[36:37]
	v_mul_f64_e32 v[36:37], v[4:5], v[36:37]
	s_wait_loadcnt_dscnt 0x800
	v_mul_f64_e32 v[143:144], v[42:43], v[133:134]
	v_add_f64_e32 v[139:140], v[139:140], v[147:148]
	v_add_f64_e32 v[141:142], v[141:142], v[145:146]
	v_mul_f64_e32 v[145:146], v[44:45], v[133:134]
	v_fma_f64 v[147:148], v[4:5], v[34:35], v[149:150]
	v_fma_f64 v[149:150], v[2:3], v[34:35], -v[36:37]
	ds_load_b128 v[2:5], v1 offset:1088
	scratch_load_b128 v[34:37], off, off offset:592
	v_fma_f64 v[44:45], v[44:45], v[131:132], v[143:144]
	v_add_f64_e32 v[139:140], v[139:140], v[135:136]
	v_add_f64_e32 v[137:138], v[141:142], v[137:138]
	ds_load_b128 v[133:136], v1 offset:1104
	v_fma_f64 v[131:132], v[42:43], v[131:132], -v[145:146]
	s_wait_loadcnt_dscnt 0x801
	v_mul_f64_e32 v[141:142], v[2:3], v[40:41]
	v_mul_f64_e32 v[151:152], v[4:5], v[40:41]
	scratch_load_b128 v[40:43], off, off offset:608
	s_wait_loadcnt_dscnt 0x800
	v_mul_f64_e32 v[145:146], v[133:134], v[8:9]
	v_mul_f64_e32 v[8:9], v[135:136], v[8:9]
	v_add_f64_e32 v[139:140], v[139:140], v[149:150]
	v_add_f64_e32 v[137:138], v[137:138], v[147:148]
	v_fma_f64 v[147:148], v[4:5], v[38:39], v[141:142]
	v_fma_f64 v[38:39], v[2:3], v[38:39], -v[151:152]
	ds_load_b128 v[2:5], v1 offset:1120
	ds_load_b128 v[141:144], v1 offset:1136
	v_fma_f64 v[135:136], v[135:136], v[6:7], v[145:146]
	v_fma_f64 v[133:134], v[133:134], v[6:7], -v[8:9]
	scratch_load_b128 v[6:9], off, off offset:640
	v_add_f64_e32 v[131:132], v[139:140], v[131:132]
	v_add_f64_e32 v[44:45], v[137:138], v[44:45]
	scratch_load_b128 v[137:140], off, off offset:624
	s_wait_loadcnt_dscnt 0x901
	v_mul_f64_e32 v[149:150], v[2:3], v[12:13]
	v_mul_f64_e32 v[12:13], v[4:5], v[12:13]
	v_add_f64_e32 v[38:39], v[131:132], v[38:39]
	v_add_f64_e32 v[44:45], v[44:45], v[147:148]
	s_wait_loadcnt_dscnt 0x800
	v_mul_f64_e32 v[131:132], v[141:142], v[16:17]
	v_mul_f64_e32 v[16:17], v[143:144], v[16:17]
	v_fma_f64 v[145:146], v[4:5], v[10:11], v[149:150]
	v_fma_f64 v[147:148], v[2:3], v[10:11], -v[12:13]
	ds_load_b128 v[2:5], v1 offset:1152
	ds_load_b128 v[10:13], v1 offset:1168
	v_add_f64_e32 v[38:39], v[38:39], v[133:134]
	v_add_f64_e32 v[44:45], v[44:45], v[135:136]
	s_wait_loadcnt_dscnt 0x701
	v_mul_f64_e32 v[133:134], v[2:3], v[20:21]
	v_mul_f64_e32 v[20:21], v[4:5], v[20:21]
	v_fma_f64 v[131:132], v[143:144], v[14:15], v[131:132]
	v_fma_f64 v[14:15], v[141:142], v[14:15], -v[16:17]
	v_add_f64_e32 v[16:17], v[38:39], v[147:148]
	v_add_f64_e32 v[38:39], v[44:45], v[145:146]
	s_wait_loadcnt_dscnt 0x600
	v_mul_f64_e32 v[44:45], v[10:11], v[24:25]
	v_mul_f64_e32 v[24:25], v[12:13], v[24:25]
	v_fma_f64 v[133:134], v[4:5], v[18:19], v[133:134]
	v_fma_f64 v[18:19], v[2:3], v[18:19], -v[20:21]
	v_add_f64_e32 v[20:21], v[16:17], v[14:15]
	v_add_f64_e32 v[38:39], v[38:39], v[131:132]
	ds_load_b128 v[2:5], v1 offset:1184
	ds_load_b128 v[14:17], v1 offset:1200
	v_fma_f64 v[12:13], v[12:13], v[22:23], v[44:45]
	v_fma_f64 v[10:11], v[10:11], v[22:23], -v[24:25]
	s_wait_loadcnt_dscnt 0x501
	v_mul_f64_e32 v[131:132], v[2:3], v[28:29]
	v_mul_f64_e32 v[28:29], v[4:5], v[28:29]
	s_wait_loadcnt_dscnt 0x400
	v_mul_f64_e32 v[22:23], v[14:15], v[32:33]
	v_mul_f64_e32 v[24:25], v[16:17], v[32:33]
	v_add_f64_e32 v[18:19], v[20:21], v[18:19]
	v_add_f64_e32 v[20:21], v[38:39], v[133:134]
	v_fma_f64 v[32:33], v[4:5], v[26:27], v[131:132]
	v_fma_f64 v[26:27], v[2:3], v[26:27], -v[28:29]
	v_fma_f64 v[16:17], v[16:17], v[30:31], v[22:23]
	v_fma_f64 v[14:15], v[14:15], v[30:31], -v[24:25]
	v_add_f64_e32 v[18:19], v[18:19], v[10:11]
	v_add_f64_e32 v[20:21], v[20:21], v[12:13]
	ds_load_b128 v[2:5], v1 offset:1216
	ds_load_b128 v[10:13], v1 offset:1232
	s_wait_loadcnt_dscnt 0x301
	v_mul_f64_e32 v[28:29], v[2:3], v[36:37]
	v_mul_f64_e32 v[36:37], v[4:5], v[36:37]
	s_wait_loadcnt_dscnt 0x200
	v_mul_f64_e32 v[22:23], v[10:11], v[42:43]
	v_add_f64_e32 v[18:19], v[18:19], v[26:27]
	v_add_f64_e32 v[20:21], v[20:21], v[32:33]
	v_mul_f64_e32 v[24:25], v[12:13], v[42:43]
	v_fma_f64 v[26:27], v[4:5], v[34:35], v[28:29]
	v_fma_f64 v[28:29], v[2:3], v[34:35], -v[36:37]
	v_fma_f64 v[12:13], v[12:13], v[40:41], v[22:23]
	v_add_f64_e32 v[18:19], v[18:19], v[14:15]
	v_add_f64_e32 v[20:21], v[20:21], v[16:17]
	ds_load_b128 v[2:5], v1 offset:1248
	ds_load_b128 v[14:17], v1 offset:1264
	v_fma_f64 v[10:11], v[10:11], v[40:41], -v[24:25]
	s_wait_loadcnt_dscnt 0x1
	v_mul_f64_e32 v[30:31], v[2:3], v[139:140]
	v_mul_f64_e32 v[32:33], v[4:5], v[139:140]
	s_wait_dscnt 0x0
	v_mul_f64_e32 v[22:23], v[14:15], v[8:9]
	v_mul_f64_e32 v[8:9], v[16:17], v[8:9]
	v_add_f64_e32 v[18:19], v[18:19], v[28:29]
	v_add_f64_e32 v[20:21], v[20:21], v[26:27]
	v_fma_f64 v[4:5], v[4:5], v[137:138], v[30:31]
	v_fma_f64 v[1:2], v[2:3], v[137:138], -v[32:33]
	v_fma_f64 v[16:17], v[16:17], v[6:7], v[22:23]
	v_fma_f64 v[6:7], v[14:15], v[6:7], -v[8:9]
	v_add_f64_e32 v[10:11], v[18:19], v[10:11]
	v_add_f64_e32 v[12:13], v[20:21], v[12:13]
	s_delay_alu instid0(VALU_DEP_2) | instskip(NEXT) | instid1(VALU_DEP_2)
	v_add_f64_e32 v[1:2], v[10:11], v[1:2]
	v_add_f64_e32 v[3:4], v[12:13], v[4:5]
	s_delay_alu instid0(VALU_DEP_2) | instskip(NEXT) | instid1(VALU_DEP_2)
	;; [unrolled: 3-line block ×3, first 2 shown]
	v_add_f64_e64 v[1:2], v[127:128], -v[1:2]
	v_add_f64_e64 v[3:4], v[129:130], -v[3:4]
	scratch_store_b128 off, v[1:4], off offset:288
	v_cmpx_lt_u32_e32 16, v0
	s_cbranch_execz .LBB39_221
; %bb.220:
	scratch_load_b128 v[1:4], off, s37
	v_mov_b32_e32 v5, 0
	s_delay_alu instid0(VALU_DEP_1)
	v_dual_mov_b32 v6, v5 :: v_dual_mov_b32 v7, v5
	v_mov_b32_e32 v8, v5
	scratch_store_b128 off, v[5:8], off offset:272
	s_wait_loadcnt 0x0
	ds_store_b128 v126, v[1:4]
.LBB39_221:
	s_wait_alu 0xfffe
	s_or_b32 exec_lo, exec_lo, s0
	s_wait_storecnt_dscnt 0x0
	s_barrier_signal -1
	s_barrier_wait -1
	global_inv scope:SCOPE_SE
	s_clause 0x7
	scratch_load_b128 v[2:5], off, off offset:288
	scratch_load_b128 v[6:9], off, off offset:304
	;; [unrolled: 1-line block ×8, first 2 shown]
	v_mov_b32_e32 v1, 0
	s_mov_b32 s0, exec_lo
	ds_load_b128 v[34:37], v1 offset:912
	s_clause 0x1
	scratch_load_b128 v[38:41], off, off offset:416
	scratch_load_b128 v[42:45], off, off offset:272
	ds_load_b128 v[127:130], v1 offset:928
	scratch_load_b128 v[131:134], off, off offset:432
	s_wait_loadcnt_dscnt 0xa01
	v_mul_f64_e32 v[135:136], v[36:37], v[4:5]
	v_mul_f64_e32 v[4:5], v[34:35], v[4:5]
	s_delay_alu instid0(VALU_DEP_2) | instskip(NEXT) | instid1(VALU_DEP_2)
	v_fma_f64 v[141:142], v[34:35], v[2:3], -v[135:136]
	v_fma_f64 v[143:144], v[36:37], v[2:3], v[4:5]
	ds_load_b128 v[2:5], v1 offset:944
	s_wait_loadcnt_dscnt 0x901
	v_mul_f64_e32 v[139:140], v[127:128], v[8:9]
	v_mul_f64_e32 v[8:9], v[129:130], v[8:9]
	scratch_load_b128 v[34:37], off, off offset:448
	ds_load_b128 v[135:138], v1 offset:960
	s_wait_loadcnt_dscnt 0x901
	v_mul_f64_e32 v[145:146], v[2:3], v[12:13]
	v_mul_f64_e32 v[12:13], v[4:5], v[12:13]
	v_fma_f64 v[129:130], v[129:130], v[6:7], v[139:140]
	v_fma_f64 v[127:128], v[127:128], v[6:7], -v[8:9]
	v_add_f64_e32 v[139:140], 0, v[141:142]
	v_add_f64_e32 v[141:142], 0, v[143:144]
	scratch_load_b128 v[6:9], off, off offset:464
	v_fma_f64 v[145:146], v[4:5], v[10:11], v[145:146]
	v_fma_f64 v[147:148], v[2:3], v[10:11], -v[12:13]
	ds_load_b128 v[2:5], v1 offset:976
	s_wait_loadcnt_dscnt 0x901
	v_mul_f64_e32 v[143:144], v[135:136], v[16:17]
	v_mul_f64_e32 v[16:17], v[137:138], v[16:17]
	scratch_load_b128 v[10:13], off, off offset:480
	v_add_f64_e32 v[139:140], v[139:140], v[127:128]
	v_add_f64_e32 v[141:142], v[141:142], v[129:130]
	s_wait_loadcnt_dscnt 0x900
	v_mul_f64_e32 v[149:150], v[2:3], v[20:21]
	v_mul_f64_e32 v[20:21], v[4:5], v[20:21]
	ds_load_b128 v[127:130], v1 offset:992
	v_fma_f64 v[137:138], v[137:138], v[14:15], v[143:144]
	v_fma_f64 v[135:136], v[135:136], v[14:15], -v[16:17]
	scratch_load_b128 v[14:17], off, off offset:496
	v_add_f64_e32 v[139:140], v[139:140], v[147:148]
	v_add_f64_e32 v[141:142], v[141:142], v[145:146]
	v_fma_f64 v[145:146], v[4:5], v[18:19], v[149:150]
	v_fma_f64 v[147:148], v[2:3], v[18:19], -v[20:21]
	ds_load_b128 v[2:5], v1 offset:1008
	s_wait_loadcnt_dscnt 0x901
	v_mul_f64_e32 v[143:144], v[127:128], v[24:25]
	v_mul_f64_e32 v[24:25], v[129:130], v[24:25]
	scratch_load_b128 v[18:21], off, off offset:512
	s_wait_loadcnt_dscnt 0x900
	v_mul_f64_e32 v[149:150], v[2:3], v[28:29]
	v_mul_f64_e32 v[28:29], v[4:5], v[28:29]
	v_add_f64_e32 v[139:140], v[139:140], v[135:136]
	v_add_f64_e32 v[141:142], v[141:142], v[137:138]
	ds_load_b128 v[135:138], v1 offset:1024
	v_fma_f64 v[129:130], v[129:130], v[22:23], v[143:144]
	v_fma_f64 v[127:128], v[127:128], v[22:23], -v[24:25]
	scratch_load_b128 v[22:25], off, off offset:528
	v_add_f64_e32 v[139:140], v[139:140], v[147:148]
	v_add_f64_e32 v[141:142], v[141:142], v[145:146]
	v_fma_f64 v[145:146], v[4:5], v[26:27], v[149:150]
	v_fma_f64 v[147:148], v[2:3], v[26:27], -v[28:29]
	ds_load_b128 v[2:5], v1 offset:1040
	s_wait_loadcnt_dscnt 0x901
	v_mul_f64_e32 v[143:144], v[135:136], v[32:33]
	v_mul_f64_e32 v[32:33], v[137:138], v[32:33]
	scratch_load_b128 v[26:29], off, off offset:544
	s_wait_loadcnt_dscnt 0x900
	v_mul_f64_e32 v[149:150], v[2:3], v[40:41]
	v_mul_f64_e32 v[40:41], v[4:5], v[40:41]
	v_add_f64_e32 v[139:140], v[139:140], v[127:128]
	v_add_f64_e32 v[141:142], v[141:142], v[129:130]
	ds_load_b128 v[127:130], v1 offset:1056
	v_fma_f64 v[137:138], v[137:138], v[30:31], v[143:144]
	v_fma_f64 v[135:136], v[135:136], v[30:31], -v[32:33]
	scratch_load_b128 v[30:33], off, off offset:560
	v_add_f64_e32 v[139:140], v[139:140], v[147:148]
	v_add_f64_e32 v[141:142], v[141:142], v[145:146]
	v_fma_f64 v[147:148], v[4:5], v[38:39], v[149:150]
	v_fma_f64 v[149:150], v[2:3], v[38:39], -v[40:41]
	ds_load_b128 v[2:5], v1 offset:1072
	s_wait_loadcnt_dscnt 0x801
	v_mul_f64_e32 v[143:144], v[127:128], v[133:134]
	v_mul_f64_e32 v[145:146], v[129:130], v[133:134]
	scratch_load_b128 v[38:41], off, off offset:576
	v_add_f64_e32 v[139:140], v[139:140], v[135:136]
	v_add_f64_e32 v[137:138], v[141:142], v[137:138]
	ds_load_b128 v[133:136], v1 offset:1088
	v_fma_f64 v[143:144], v[129:130], v[131:132], v[143:144]
	v_fma_f64 v[131:132], v[127:128], v[131:132], -v[145:146]
	scratch_load_b128 v[127:130], off, off offset:592
	s_wait_loadcnt_dscnt 0x901
	v_mul_f64_e32 v[141:142], v[2:3], v[36:37]
	v_mul_f64_e32 v[36:37], v[4:5], v[36:37]
	v_add_f64_e32 v[139:140], v[139:140], v[149:150]
	v_add_f64_e32 v[137:138], v[137:138], v[147:148]
	s_delay_alu instid0(VALU_DEP_4) | instskip(NEXT) | instid1(VALU_DEP_4)
	v_fma_f64 v[141:142], v[4:5], v[34:35], v[141:142]
	v_fma_f64 v[147:148], v[2:3], v[34:35], -v[36:37]
	ds_load_b128 v[2:5], v1 offset:1104
	s_wait_loadcnt_dscnt 0x801
	v_mul_f64_e32 v[145:146], v[133:134], v[8:9]
	v_mul_f64_e32 v[8:9], v[135:136], v[8:9]
	scratch_load_b128 v[34:37], off, off offset:608
	s_wait_loadcnt_dscnt 0x800
	v_mul_f64_e32 v[149:150], v[2:3], v[12:13]
	v_add_f64_e32 v[131:132], v[139:140], v[131:132]
	v_add_f64_e32 v[143:144], v[137:138], v[143:144]
	v_mul_f64_e32 v[12:13], v[4:5], v[12:13]
	ds_load_b128 v[137:140], v1 offset:1120
	v_fma_f64 v[135:136], v[135:136], v[6:7], v[145:146]
	v_fma_f64 v[133:134], v[133:134], v[6:7], -v[8:9]
	scratch_load_b128 v[6:9], off, off offset:624
	v_fma_f64 v[145:146], v[4:5], v[10:11], v[149:150]
	v_add_f64_e32 v[131:132], v[131:132], v[147:148]
	v_add_f64_e32 v[141:142], v[143:144], v[141:142]
	v_fma_f64 v[147:148], v[2:3], v[10:11], -v[12:13]
	ds_load_b128 v[2:5], v1 offset:1136
	s_wait_loadcnt_dscnt 0x801
	v_mul_f64_e32 v[143:144], v[137:138], v[16:17]
	v_mul_f64_e32 v[16:17], v[139:140], v[16:17]
	scratch_load_b128 v[10:13], off, off offset:640
	v_add_f64_e32 v[149:150], v[131:132], v[133:134]
	v_add_f64_e32 v[135:136], v[141:142], v[135:136]
	s_wait_loadcnt_dscnt 0x800
	v_mul_f64_e32 v[141:142], v[2:3], v[20:21]
	v_mul_f64_e32 v[20:21], v[4:5], v[20:21]
	v_fma_f64 v[139:140], v[139:140], v[14:15], v[143:144]
	v_fma_f64 v[14:15], v[137:138], v[14:15], -v[16:17]
	ds_load_b128 v[131:134], v1 offset:1152
	s_wait_loadcnt_dscnt 0x700
	v_mul_f64_e32 v[137:138], v[131:132], v[24:25]
	v_mul_f64_e32 v[24:25], v[133:134], v[24:25]
	v_add_f64_e32 v[16:17], v[149:150], v[147:148]
	v_add_f64_e32 v[135:136], v[135:136], v[145:146]
	v_fma_f64 v[141:142], v[4:5], v[18:19], v[141:142]
	v_fma_f64 v[18:19], v[2:3], v[18:19], -v[20:21]
	v_fma_f64 v[133:134], v[133:134], v[22:23], v[137:138]
	v_fma_f64 v[22:23], v[131:132], v[22:23], -v[24:25]
	v_add_f64_e32 v[20:21], v[16:17], v[14:15]
	v_add_f64_e32 v[135:136], v[135:136], v[139:140]
	ds_load_b128 v[2:5], v1 offset:1168
	ds_load_b128 v[14:17], v1 offset:1184
	s_wait_loadcnt_dscnt 0x601
	v_mul_f64_e32 v[139:140], v[2:3], v[28:29]
	v_mul_f64_e32 v[28:29], v[4:5], v[28:29]
	s_wait_loadcnt_dscnt 0x500
	v_mul_f64_e32 v[24:25], v[14:15], v[32:33]
	v_mul_f64_e32 v[32:33], v[16:17], v[32:33]
	v_add_f64_e32 v[18:19], v[20:21], v[18:19]
	v_add_f64_e32 v[20:21], v[135:136], v[141:142]
	v_fma_f64 v[131:132], v[4:5], v[26:27], v[139:140]
	v_fma_f64 v[26:27], v[2:3], v[26:27], -v[28:29]
	v_fma_f64 v[16:17], v[16:17], v[30:31], v[24:25]
	v_fma_f64 v[14:15], v[14:15], v[30:31], -v[32:33]
	v_add_f64_e32 v[22:23], v[18:19], v[22:23]
	v_add_f64_e32 v[28:29], v[20:21], v[133:134]
	ds_load_b128 v[2:5], v1 offset:1200
	ds_load_b128 v[18:21], v1 offset:1216
	s_wait_loadcnt_dscnt 0x401
	v_mul_f64_e32 v[133:134], v[2:3], v[40:41]
	v_mul_f64_e32 v[40:41], v[4:5], v[40:41]
	v_add_f64_e32 v[22:23], v[22:23], v[26:27]
	v_add_f64_e32 v[24:25], v[28:29], v[131:132]
	s_wait_loadcnt_dscnt 0x300
	v_mul_f64_e32 v[26:27], v[18:19], v[129:130]
	v_mul_f64_e32 v[28:29], v[20:21], v[129:130]
	v_fma_f64 v[30:31], v[4:5], v[38:39], v[133:134]
	v_fma_f64 v[32:33], v[2:3], v[38:39], -v[40:41]
	v_add_f64_e32 v[22:23], v[22:23], v[14:15]
	v_add_f64_e32 v[24:25], v[24:25], v[16:17]
	ds_load_b128 v[2:5], v1 offset:1232
	ds_load_b128 v[14:17], v1 offset:1248
	v_fma_f64 v[20:21], v[20:21], v[127:128], v[26:27]
	v_fma_f64 v[18:19], v[18:19], v[127:128], -v[28:29]
	s_wait_loadcnt_dscnt 0x201
	v_mul_f64_e32 v[38:39], v[2:3], v[36:37]
	v_mul_f64_e32 v[36:37], v[4:5], v[36:37]
	s_wait_loadcnt_dscnt 0x100
	v_mul_f64_e32 v[26:27], v[14:15], v[8:9]
	v_mul_f64_e32 v[8:9], v[16:17], v[8:9]
	v_add_f64_e32 v[22:23], v[22:23], v[32:33]
	v_add_f64_e32 v[24:25], v[24:25], v[30:31]
	v_fma_f64 v[28:29], v[4:5], v[34:35], v[38:39]
	v_fma_f64 v[30:31], v[2:3], v[34:35], -v[36:37]
	ds_load_b128 v[2:5], v1 offset:1264
	v_fma_f64 v[16:17], v[16:17], v[6:7], v[26:27]
	v_fma_f64 v[6:7], v[14:15], v[6:7], -v[8:9]
	v_add_f64_e32 v[18:19], v[22:23], v[18:19]
	v_add_f64_e32 v[20:21], v[24:25], v[20:21]
	s_wait_loadcnt_dscnt 0x0
	v_mul_f64_e32 v[22:23], v[2:3], v[12:13]
	v_mul_f64_e32 v[12:13], v[4:5], v[12:13]
	s_delay_alu instid0(VALU_DEP_4) | instskip(NEXT) | instid1(VALU_DEP_4)
	v_add_f64_e32 v[8:9], v[18:19], v[30:31]
	v_add_f64_e32 v[14:15], v[20:21], v[28:29]
	s_delay_alu instid0(VALU_DEP_4) | instskip(NEXT) | instid1(VALU_DEP_4)
	v_fma_f64 v[4:5], v[4:5], v[10:11], v[22:23]
	v_fma_f64 v[2:3], v[2:3], v[10:11], -v[12:13]
	s_delay_alu instid0(VALU_DEP_4) | instskip(NEXT) | instid1(VALU_DEP_4)
	v_add_f64_e32 v[6:7], v[8:9], v[6:7]
	v_add_f64_e32 v[8:9], v[14:15], v[16:17]
	s_delay_alu instid0(VALU_DEP_2) | instskip(NEXT) | instid1(VALU_DEP_2)
	v_add_f64_e32 v[2:3], v[6:7], v[2:3]
	v_add_f64_e32 v[4:5], v[8:9], v[4:5]
	s_delay_alu instid0(VALU_DEP_2) | instskip(NEXT) | instid1(VALU_DEP_2)
	v_add_f64_e64 v[2:3], v[42:43], -v[2:3]
	v_add_f64_e64 v[4:5], v[44:45], -v[4:5]
	scratch_store_b128 off, v[2:5], off offset:272
	v_cmpx_lt_u32_e32 15, v0
	s_cbranch_execz .LBB39_223
; %bb.222:
	scratch_load_b128 v[5:8], off, s38
	v_dual_mov_b32 v2, v1 :: v_dual_mov_b32 v3, v1
	v_mov_b32_e32 v4, v1
	scratch_store_b128 off, v[1:4], off offset:256
	s_wait_loadcnt 0x0
	ds_store_b128 v126, v[5:8]
.LBB39_223:
	s_wait_alu 0xfffe
	s_or_b32 exec_lo, exec_lo, s0
	s_wait_storecnt_dscnt 0x0
	s_barrier_signal -1
	s_barrier_wait -1
	global_inv scope:SCOPE_SE
	s_clause 0x8
	scratch_load_b128 v[2:5], off, off offset:272
	scratch_load_b128 v[6:9], off, off offset:288
	;; [unrolled: 1-line block ×9, first 2 shown]
	ds_load_b128 v[38:41], v1 offset:896
	ds_load_b128 v[42:45], v1 offset:912
	s_clause 0x1
	scratch_load_b128 v[127:130], off, off offset:256
	scratch_load_b128 v[131:134], off, off offset:416
	s_mov_b32 s0, exec_lo
	s_wait_loadcnt_dscnt 0xa01
	v_mul_f64_e32 v[135:136], v[40:41], v[4:5]
	v_mul_f64_e32 v[4:5], v[38:39], v[4:5]
	s_wait_loadcnt_dscnt 0x900
	v_mul_f64_e32 v[139:140], v[42:43], v[8:9]
	v_mul_f64_e32 v[8:9], v[44:45], v[8:9]
	s_delay_alu instid0(VALU_DEP_4) | instskip(NEXT) | instid1(VALU_DEP_4)
	v_fma_f64 v[141:142], v[38:39], v[2:3], -v[135:136]
	v_fma_f64 v[143:144], v[40:41], v[2:3], v[4:5]
	ds_load_b128 v[2:5], v1 offset:928
	ds_load_b128 v[135:138], v1 offset:944
	scratch_load_b128 v[38:41], off, off offset:432
	v_fma_f64 v[44:45], v[44:45], v[6:7], v[139:140]
	v_fma_f64 v[42:43], v[42:43], v[6:7], -v[8:9]
	scratch_load_b128 v[6:9], off, off offset:448
	s_wait_loadcnt_dscnt 0xa01
	v_mul_f64_e32 v[145:146], v[2:3], v[12:13]
	v_mul_f64_e32 v[12:13], v[4:5], v[12:13]
	v_add_f64_e32 v[139:140], 0, v[141:142]
	v_add_f64_e32 v[141:142], 0, v[143:144]
	s_wait_loadcnt_dscnt 0x900
	v_mul_f64_e32 v[143:144], v[135:136], v[16:17]
	v_mul_f64_e32 v[16:17], v[137:138], v[16:17]
	v_fma_f64 v[145:146], v[4:5], v[10:11], v[145:146]
	v_fma_f64 v[147:148], v[2:3], v[10:11], -v[12:13]
	ds_load_b128 v[2:5], v1 offset:960
	scratch_load_b128 v[10:13], off, off offset:464
	v_add_f64_e32 v[139:140], v[139:140], v[42:43]
	v_add_f64_e32 v[141:142], v[141:142], v[44:45]
	ds_load_b128 v[42:45], v1 offset:976
	v_fma_f64 v[137:138], v[137:138], v[14:15], v[143:144]
	v_fma_f64 v[135:136], v[135:136], v[14:15], -v[16:17]
	scratch_load_b128 v[14:17], off, off offset:480
	s_wait_loadcnt_dscnt 0xa01
	v_mul_f64_e32 v[149:150], v[2:3], v[20:21]
	v_mul_f64_e32 v[20:21], v[4:5], v[20:21]
	s_wait_loadcnt_dscnt 0x900
	v_mul_f64_e32 v[143:144], v[42:43], v[24:25]
	v_mul_f64_e32 v[24:25], v[44:45], v[24:25]
	v_add_f64_e32 v[139:140], v[139:140], v[147:148]
	v_add_f64_e32 v[141:142], v[141:142], v[145:146]
	v_fma_f64 v[145:146], v[4:5], v[18:19], v[149:150]
	v_fma_f64 v[147:148], v[2:3], v[18:19], -v[20:21]
	ds_load_b128 v[2:5], v1 offset:992
	scratch_load_b128 v[18:21], off, off offset:496
	v_fma_f64 v[44:45], v[44:45], v[22:23], v[143:144]
	v_fma_f64 v[42:43], v[42:43], v[22:23], -v[24:25]
	scratch_load_b128 v[22:25], off, off offset:512
	v_add_f64_e32 v[139:140], v[139:140], v[135:136]
	v_add_f64_e32 v[141:142], v[141:142], v[137:138]
	ds_load_b128 v[135:138], v1 offset:1008
	s_wait_loadcnt_dscnt 0xa01
	v_mul_f64_e32 v[149:150], v[2:3], v[28:29]
	v_mul_f64_e32 v[28:29], v[4:5], v[28:29]
	s_wait_loadcnt_dscnt 0x900
	v_mul_f64_e32 v[143:144], v[135:136], v[32:33]
	v_mul_f64_e32 v[32:33], v[137:138], v[32:33]
	v_add_f64_e32 v[139:140], v[139:140], v[147:148]
	v_add_f64_e32 v[141:142], v[141:142], v[145:146]
	v_fma_f64 v[145:146], v[4:5], v[26:27], v[149:150]
	v_fma_f64 v[147:148], v[2:3], v[26:27], -v[28:29]
	ds_load_b128 v[2:5], v1 offset:1024
	scratch_load_b128 v[26:29], off, off offset:528
	v_fma_f64 v[137:138], v[137:138], v[30:31], v[143:144]
	v_fma_f64 v[135:136], v[135:136], v[30:31], -v[32:33]
	scratch_load_b128 v[30:33], off, off offset:544
	v_add_f64_e32 v[139:140], v[139:140], v[42:43]
	v_add_f64_e32 v[141:142], v[141:142], v[44:45]
	ds_load_b128 v[42:45], v1 offset:1040
	s_wait_loadcnt_dscnt 0xa01
	v_mul_f64_e32 v[149:150], v[2:3], v[36:37]
	v_mul_f64_e32 v[36:37], v[4:5], v[36:37]
	s_wait_loadcnt_dscnt 0x800
	v_mul_f64_e32 v[143:144], v[42:43], v[133:134]
	v_add_f64_e32 v[139:140], v[139:140], v[147:148]
	v_add_f64_e32 v[141:142], v[141:142], v[145:146]
	v_mul_f64_e32 v[145:146], v[44:45], v[133:134]
	v_fma_f64 v[147:148], v[4:5], v[34:35], v[149:150]
	v_fma_f64 v[149:150], v[2:3], v[34:35], -v[36:37]
	ds_load_b128 v[2:5], v1 offset:1056
	scratch_load_b128 v[34:37], off, off offset:560
	v_fma_f64 v[44:45], v[44:45], v[131:132], v[143:144]
	v_add_f64_e32 v[139:140], v[139:140], v[135:136]
	v_add_f64_e32 v[137:138], v[141:142], v[137:138]
	ds_load_b128 v[133:136], v1 offset:1072
	v_fma_f64 v[131:132], v[42:43], v[131:132], -v[145:146]
	s_wait_loadcnt_dscnt 0x801
	v_mul_f64_e32 v[141:142], v[2:3], v[40:41]
	v_mul_f64_e32 v[151:152], v[4:5], v[40:41]
	scratch_load_b128 v[40:43], off, off offset:576
	s_wait_loadcnt_dscnt 0x800
	v_mul_f64_e32 v[145:146], v[133:134], v[8:9]
	v_mul_f64_e32 v[8:9], v[135:136], v[8:9]
	v_add_f64_e32 v[139:140], v[139:140], v[149:150]
	v_add_f64_e32 v[137:138], v[137:138], v[147:148]
	v_fma_f64 v[147:148], v[4:5], v[38:39], v[141:142]
	v_fma_f64 v[38:39], v[2:3], v[38:39], -v[151:152]
	ds_load_b128 v[2:5], v1 offset:1088
	ds_load_b128 v[141:144], v1 offset:1104
	v_fma_f64 v[135:136], v[135:136], v[6:7], v[145:146]
	v_fma_f64 v[133:134], v[133:134], v[6:7], -v[8:9]
	scratch_load_b128 v[6:9], off, off offset:608
	v_add_f64_e32 v[131:132], v[139:140], v[131:132]
	v_add_f64_e32 v[44:45], v[137:138], v[44:45]
	scratch_load_b128 v[137:140], off, off offset:592
	s_wait_loadcnt_dscnt 0x901
	v_mul_f64_e32 v[149:150], v[2:3], v[12:13]
	v_mul_f64_e32 v[12:13], v[4:5], v[12:13]
	s_wait_loadcnt_dscnt 0x800
	v_mul_f64_e32 v[145:146], v[141:142], v[16:17]
	v_mul_f64_e32 v[16:17], v[143:144], v[16:17]
	v_add_f64_e32 v[38:39], v[131:132], v[38:39]
	v_add_f64_e32 v[44:45], v[44:45], v[147:148]
	v_fma_f64 v[147:148], v[4:5], v[10:11], v[149:150]
	v_fma_f64 v[149:150], v[2:3], v[10:11], -v[12:13]
	ds_load_b128 v[2:5], v1 offset:1120
	scratch_load_b128 v[10:13], off, off offset:624
	v_fma_f64 v[143:144], v[143:144], v[14:15], v[145:146]
	v_fma_f64 v[141:142], v[141:142], v[14:15], -v[16:17]
	scratch_load_b128 v[14:17], off, off offset:640
	v_add_f64_e32 v[38:39], v[38:39], v[133:134]
	v_add_f64_e32 v[44:45], v[44:45], v[135:136]
	ds_load_b128 v[131:134], v1 offset:1136
	s_wait_loadcnt_dscnt 0x901
	v_mul_f64_e32 v[135:136], v[2:3], v[20:21]
	v_mul_f64_e32 v[20:21], v[4:5], v[20:21]
	s_wait_loadcnt_dscnt 0x800
	v_mul_f64_e32 v[145:146], v[131:132], v[24:25]
	v_mul_f64_e32 v[24:25], v[133:134], v[24:25]
	v_add_f64_e32 v[38:39], v[38:39], v[149:150]
	v_add_f64_e32 v[44:45], v[44:45], v[147:148]
	v_fma_f64 v[135:136], v[4:5], v[18:19], v[135:136]
	v_fma_f64 v[147:148], v[2:3], v[18:19], -v[20:21]
	ds_load_b128 v[2:5], v1 offset:1152
	ds_load_b128 v[18:21], v1 offset:1168
	v_fma_f64 v[133:134], v[133:134], v[22:23], v[145:146]
	v_fma_f64 v[22:23], v[131:132], v[22:23], -v[24:25]
	v_add_f64_e32 v[38:39], v[38:39], v[141:142]
	v_add_f64_e32 v[44:45], v[44:45], v[143:144]
	s_wait_loadcnt_dscnt 0x701
	v_mul_f64_e32 v[141:142], v[2:3], v[28:29]
	v_mul_f64_e32 v[28:29], v[4:5], v[28:29]
	s_delay_alu instid0(VALU_DEP_4) | instskip(NEXT) | instid1(VALU_DEP_4)
	v_add_f64_e32 v[24:25], v[38:39], v[147:148]
	v_add_f64_e32 v[38:39], v[44:45], v[135:136]
	s_wait_loadcnt_dscnt 0x600
	v_mul_f64_e32 v[44:45], v[18:19], v[32:33]
	v_mul_f64_e32 v[32:33], v[20:21], v[32:33]
	v_fma_f64 v[131:132], v[4:5], v[26:27], v[141:142]
	v_fma_f64 v[26:27], v[2:3], v[26:27], -v[28:29]
	v_add_f64_e32 v[28:29], v[24:25], v[22:23]
	v_add_f64_e32 v[38:39], v[38:39], v[133:134]
	ds_load_b128 v[2:5], v1 offset:1184
	ds_load_b128 v[22:25], v1 offset:1200
	v_fma_f64 v[20:21], v[20:21], v[30:31], v[44:45]
	v_fma_f64 v[18:19], v[18:19], v[30:31], -v[32:33]
	s_wait_loadcnt_dscnt 0x501
	v_mul_f64_e32 v[133:134], v[2:3], v[36:37]
	v_mul_f64_e32 v[36:37], v[4:5], v[36:37]
	s_wait_loadcnt_dscnt 0x400
	v_mul_f64_e32 v[30:31], v[22:23], v[42:43]
	v_add_f64_e32 v[26:27], v[28:29], v[26:27]
	v_add_f64_e32 v[28:29], v[38:39], v[131:132]
	v_mul_f64_e32 v[32:33], v[24:25], v[42:43]
	v_fma_f64 v[38:39], v[4:5], v[34:35], v[133:134]
	v_fma_f64 v[34:35], v[2:3], v[34:35], -v[36:37]
	v_fma_f64 v[24:25], v[24:25], v[40:41], v[30:31]
	v_add_f64_e32 v[26:27], v[26:27], v[18:19]
	v_add_f64_e32 v[28:29], v[28:29], v[20:21]
	ds_load_b128 v[2:5], v1 offset:1216
	ds_load_b128 v[18:21], v1 offset:1232
	v_fma_f64 v[22:23], v[22:23], v[40:41], -v[32:33]
	s_wait_loadcnt_dscnt 0x201
	v_mul_f64_e32 v[36:37], v[2:3], v[139:140]
	v_mul_f64_e32 v[42:43], v[4:5], v[139:140]
	s_wait_dscnt 0x0
	v_mul_f64_e32 v[30:31], v[18:19], v[8:9]
	v_mul_f64_e32 v[8:9], v[20:21], v[8:9]
	v_add_f64_e32 v[26:27], v[26:27], v[34:35]
	v_add_f64_e32 v[28:29], v[28:29], v[38:39]
	v_fma_f64 v[32:33], v[4:5], v[137:138], v[36:37]
	v_fma_f64 v[34:35], v[2:3], v[137:138], -v[42:43]
	v_fma_f64 v[20:21], v[20:21], v[6:7], v[30:31]
	v_fma_f64 v[6:7], v[18:19], v[6:7], -v[8:9]
	v_add_f64_e32 v[26:27], v[26:27], v[22:23]
	v_add_f64_e32 v[28:29], v[28:29], v[24:25]
	ds_load_b128 v[2:5], v1 offset:1248
	ds_load_b128 v[22:25], v1 offset:1264
	s_wait_loadcnt_dscnt 0x101
	v_mul_f64_e32 v[36:37], v[2:3], v[12:13]
	v_mul_f64_e32 v[12:13], v[4:5], v[12:13]
	v_add_f64_e32 v[8:9], v[26:27], v[34:35]
	v_add_f64_e32 v[18:19], v[28:29], v[32:33]
	s_wait_loadcnt_dscnt 0x0
	v_mul_f64_e32 v[26:27], v[22:23], v[16:17]
	v_mul_f64_e32 v[16:17], v[24:25], v[16:17]
	v_fma_f64 v[4:5], v[4:5], v[10:11], v[36:37]
	v_fma_f64 v[1:2], v[2:3], v[10:11], -v[12:13]
	v_add_f64_e32 v[6:7], v[8:9], v[6:7]
	v_add_f64_e32 v[8:9], v[18:19], v[20:21]
	v_fma_f64 v[10:11], v[24:25], v[14:15], v[26:27]
	v_fma_f64 v[12:13], v[22:23], v[14:15], -v[16:17]
	s_delay_alu instid0(VALU_DEP_4) | instskip(NEXT) | instid1(VALU_DEP_4)
	v_add_f64_e32 v[1:2], v[6:7], v[1:2]
	v_add_f64_e32 v[3:4], v[8:9], v[4:5]
	s_delay_alu instid0(VALU_DEP_2) | instskip(NEXT) | instid1(VALU_DEP_2)
	v_add_f64_e32 v[1:2], v[1:2], v[12:13]
	v_add_f64_e32 v[3:4], v[3:4], v[10:11]
	s_delay_alu instid0(VALU_DEP_2) | instskip(NEXT) | instid1(VALU_DEP_2)
	v_add_f64_e64 v[1:2], v[127:128], -v[1:2]
	v_add_f64_e64 v[3:4], v[129:130], -v[3:4]
	scratch_store_b128 off, v[1:4], off offset:256
	v_cmpx_lt_u32_e32 14, v0
	s_cbranch_execz .LBB39_225
; %bb.224:
	scratch_load_b128 v[1:4], off, s39
	v_mov_b32_e32 v5, 0
	s_delay_alu instid0(VALU_DEP_1)
	v_dual_mov_b32 v6, v5 :: v_dual_mov_b32 v7, v5
	v_mov_b32_e32 v8, v5
	scratch_store_b128 off, v[5:8], off offset:240
	s_wait_loadcnt 0x0
	ds_store_b128 v126, v[1:4]
.LBB39_225:
	s_wait_alu 0xfffe
	s_or_b32 exec_lo, exec_lo, s0
	s_wait_storecnt_dscnt 0x0
	s_barrier_signal -1
	s_barrier_wait -1
	global_inv scope:SCOPE_SE
	s_clause 0x7
	scratch_load_b128 v[2:5], off, off offset:256
	scratch_load_b128 v[6:9], off, off offset:272
	;; [unrolled: 1-line block ×8, first 2 shown]
	v_mov_b32_e32 v1, 0
	s_mov_b32 s0, exec_lo
	ds_load_b128 v[34:37], v1 offset:880
	s_clause 0x1
	scratch_load_b128 v[38:41], off, off offset:384
	scratch_load_b128 v[42:45], off, off offset:240
	ds_load_b128 v[127:130], v1 offset:896
	scratch_load_b128 v[131:134], off, off offset:400
	s_wait_loadcnt_dscnt 0xa01
	v_mul_f64_e32 v[135:136], v[36:37], v[4:5]
	v_mul_f64_e32 v[4:5], v[34:35], v[4:5]
	s_delay_alu instid0(VALU_DEP_2) | instskip(NEXT) | instid1(VALU_DEP_2)
	v_fma_f64 v[141:142], v[34:35], v[2:3], -v[135:136]
	v_fma_f64 v[143:144], v[36:37], v[2:3], v[4:5]
	ds_load_b128 v[2:5], v1 offset:912
	s_wait_loadcnt_dscnt 0x901
	v_mul_f64_e32 v[139:140], v[127:128], v[8:9]
	v_mul_f64_e32 v[8:9], v[129:130], v[8:9]
	scratch_load_b128 v[34:37], off, off offset:416
	ds_load_b128 v[135:138], v1 offset:928
	s_wait_loadcnt_dscnt 0x901
	v_mul_f64_e32 v[145:146], v[2:3], v[12:13]
	v_mul_f64_e32 v[12:13], v[4:5], v[12:13]
	v_fma_f64 v[129:130], v[129:130], v[6:7], v[139:140]
	v_fma_f64 v[127:128], v[127:128], v[6:7], -v[8:9]
	v_add_f64_e32 v[139:140], 0, v[141:142]
	v_add_f64_e32 v[141:142], 0, v[143:144]
	scratch_load_b128 v[6:9], off, off offset:432
	v_fma_f64 v[145:146], v[4:5], v[10:11], v[145:146]
	v_fma_f64 v[147:148], v[2:3], v[10:11], -v[12:13]
	ds_load_b128 v[2:5], v1 offset:944
	s_wait_loadcnt_dscnt 0x901
	v_mul_f64_e32 v[143:144], v[135:136], v[16:17]
	v_mul_f64_e32 v[16:17], v[137:138], v[16:17]
	scratch_load_b128 v[10:13], off, off offset:448
	v_add_f64_e32 v[139:140], v[139:140], v[127:128]
	v_add_f64_e32 v[141:142], v[141:142], v[129:130]
	s_wait_loadcnt_dscnt 0x900
	v_mul_f64_e32 v[149:150], v[2:3], v[20:21]
	v_mul_f64_e32 v[20:21], v[4:5], v[20:21]
	ds_load_b128 v[127:130], v1 offset:960
	v_fma_f64 v[137:138], v[137:138], v[14:15], v[143:144]
	v_fma_f64 v[135:136], v[135:136], v[14:15], -v[16:17]
	scratch_load_b128 v[14:17], off, off offset:464
	v_add_f64_e32 v[139:140], v[139:140], v[147:148]
	v_add_f64_e32 v[141:142], v[141:142], v[145:146]
	v_fma_f64 v[145:146], v[4:5], v[18:19], v[149:150]
	v_fma_f64 v[147:148], v[2:3], v[18:19], -v[20:21]
	ds_load_b128 v[2:5], v1 offset:976
	s_wait_loadcnt_dscnt 0x901
	v_mul_f64_e32 v[143:144], v[127:128], v[24:25]
	v_mul_f64_e32 v[24:25], v[129:130], v[24:25]
	scratch_load_b128 v[18:21], off, off offset:480
	s_wait_loadcnt_dscnt 0x900
	v_mul_f64_e32 v[149:150], v[2:3], v[28:29]
	v_mul_f64_e32 v[28:29], v[4:5], v[28:29]
	v_add_f64_e32 v[139:140], v[139:140], v[135:136]
	v_add_f64_e32 v[141:142], v[141:142], v[137:138]
	ds_load_b128 v[135:138], v1 offset:992
	v_fma_f64 v[129:130], v[129:130], v[22:23], v[143:144]
	v_fma_f64 v[127:128], v[127:128], v[22:23], -v[24:25]
	scratch_load_b128 v[22:25], off, off offset:496
	v_add_f64_e32 v[139:140], v[139:140], v[147:148]
	v_add_f64_e32 v[141:142], v[141:142], v[145:146]
	v_fma_f64 v[145:146], v[4:5], v[26:27], v[149:150]
	v_fma_f64 v[147:148], v[2:3], v[26:27], -v[28:29]
	ds_load_b128 v[2:5], v1 offset:1008
	s_wait_loadcnt_dscnt 0x901
	v_mul_f64_e32 v[143:144], v[135:136], v[32:33]
	v_mul_f64_e32 v[32:33], v[137:138], v[32:33]
	scratch_load_b128 v[26:29], off, off offset:512
	s_wait_loadcnt_dscnt 0x900
	v_mul_f64_e32 v[149:150], v[2:3], v[40:41]
	v_mul_f64_e32 v[40:41], v[4:5], v[40:41]
	v_add_f64_e32 v[139:140], v[139:140], v[127:128]
	v_add_f64_e32 v[141:142], v[141:142], v[129:130]
	ds_load_b128 v[127:130], v1 offset:1024
	v_fma_f64 v[137:138], v[137:138], v[30:31], v[143:144]
	v_fma_f64 v[135:136], v[135:136], v[30:31], -v[32:33]
	scratch_load_b128 v[30:33], off, off offset:528
	v_add_f64_e32 v[139:140], v[139:140], v[147:148]
	v_add_f64_e32 v[141:142], v[141:142], v[145:146]
	v_fma_f64 v[147:148], v[4:5], v[38:39], v[149:150]
	v_fma_f64 v[149:150], v[2:3], v[38:39], -v[40:41]
	ds_load_b128 v[2:5], v1 offset:1040
	s_wait_loadcnt_dscnt 0x801
	v_mul_f64_e32 v[143:144], v[127:128], v[133:134]
	v_mul_f64_e32 v[145:146], v[129:130], v[133:134]
	scratch_load_b128 v[38:41], off, off offset:544
	v_add_f64_e32 v[139:140], v[139:140], v[135:136]
	v_add_f64_e32 v[137:138], v[141:142], v[137:138]
	ds_load_b128 v[133:136], v1 offset:1056
	v_fma_f64 v[143:144], v[129:130], v[131:132], v[143:144]
	v_fma_f64 v[131:132], v[127:128], v[131:132], -v[145:146]
	scratch_load_b128 v[127:130], off, off offset:560
	s_wait_loadcnt_dscnt 0x901
	v_mul_f64_e32 v[141:142], v[2:3], v[36:37]
	v_mul_f64_e32 v[36:37], v[4:5], v[36:37]
	v_add_f64_e32 v[139:140], v[139:140], v[149:150]
	v_add_f64_e32 v[137:138], v[137:138], v[147:148]
	s_delay_alu instid0(VALU_DEP_4) | instskip(NEXT) | instid1(VALU_DEP_4)
	v_fma_f64 v[141:142], v[4:5], v[34:35], v[141:142]
	v_fma_f64 v[147:148], v[2:3], v[34:35], -v[36:37]
	ds_load_b128 v[2:5], v1 offset:1072
	s_wait_loadcnt_dscnt 0x801
	v_mul_f64_e32 v[145:146], v[133:134], v[8:9]
	v_mul_f64_e32 v[8:9], v[135:136], v[8:9]
	scratch_load_b128 v[34:37], off, off offset:576
	s_wait_loadcnt_dscnt 0x800
	v_mul_f64_e32 v[149:150], v[2:3], v[12:13]
	v_add_f64_e32 v[131:132], v[139:140], v[131:132]
	v_add_f64_e32 v[143:144], v[137:138], v[143:144]
	v_mul_f64_e32 v[12:13], v[4:5], v[12:13]
	ds_load_b128 v[137:140], v1 offset:1088
	v_fma_f64 v[135:136], v[135:136], v[6:7], v[145:146]
	v_fma_f64 v[133:134], v[133:134], v[6:7], -v[8:9]
	scratch_load_b128 v[6:9], off, off offset:592
	v_fma_f64 v[145:146], v[4:5], v[10:11], v[149:150]
	v_add_f64_e32 v[131:132], v[131:132], v[147:148]
	v_add_f64_e32 v[141:142], v[143:144], v[141:142]
	v_fma_f64 v[147:148], v[2:3], v[10:11], -v[12:13]
	ds_load_b128 v[2:5], v1 offset:1104
	s_wait_loadcnt_dscnt 0x801
	v_mul_f64_e32 v[143:144], v[137:138], v[16:17]
	v_mul_f64_e32 v[16:17], v[139:140], v[16:17]
	scratch_load_b128 v[10:13], off, off offset:608
	v_add_f64_e32 v[149:150], v[131:132], v[133:134]
	v_add_f64_e32 v[135:136], v[141:142], v[135:136]
	s_wait_loadcnt_dscnt 0x800
	v_mul_f64_e32 v[141:142], v[2:3], v[20:21]
	v_mul_f64_e32 v[20:21], v[4:5], v[20:21]
	v_fma_f64 v[139:140], v[139:140], v[14:15], v[143:144]
	v_fma_f64 v[137:138], v[137:138], v[14:15], -v[16:17]
	ds_load_b128 v[131:134], v1 offset:1120
	scratch_load_b128 v[14:17], off, off offset:624
	v_add_f64_e32 v[143:144], v[149:150], v[147:148]
	v_add_f64_e32 v[135:136], v[135:136], v[145:146]
	v_fma_f64 v[141:142], v[4:5], v[18:19], v[141:142]
	v_fma_f64 v[147:148], v[2:3], v[18:19], -v[20:21]
	ds_load_b128 v[2:5], v1 offset:1136
	s_wait_loadcnt_dscnt 0x801
	v_mul_f64_e32 v[145:146], v[131:132], v[24:25]
	v_mul_f64_e32 v[24:25], v[133:134], v[24:25]
	scratch_load_b128 v[18:21], off, off offset:640
	s_wait_loadcnt_dscnt 0x800
	v_mul_f64_e32 v[149:150], v[2:3], v[28:29]
	v_mul_f64_e32 v[28:29], v[4:5], v[28:29]
	v_add_f64_e32 v[143:144], v[143:144], v[137:138]
	v_add_f64_e32 v[139:140], v[135:136], v[139:140]
	ds_load_b128 v[135:138], v1 offset:1152
	v_fma_f64 v[133:134], v[133:134], v[22:23], v[145:146]
	v_fma_f64 v[22:23], v[131:132], v[22:23], -v[24:25]
	v_add_f64_e32 v[24:25], v[143:144], v[147:148]
	v_add_f64_e32 v[131:132], v[139:140], v[141:142]
	s_wait_loadcnt_dscnt 0x700
	v_mul_f64_e32 v[139:140], v[135:136], v[32:33]
	v_mul_f64_e32 v[32:33], v[137:138], v[32:33]
	v_fma_f64 v[141:142], v[4:5], v[26:27], v[149:150]
	v_fma_f64 v[26:27], v[2:3], v[26:27], -v[28:29]
	v_add_f64_e32 v[28:29], v[24:25], v[22:23]
	v_add_f64_e32 v[131:132], v[131:132], v[133:134]
	ds_load_b128 v[2:5], v1 offset:1168
	ds_load_b128 v[22:25], v1 offset:1184
	v_fma_f64 v[137:138], v[137:138], v[30:31], v[139:140]
	v_fma_f64 v[30:31], v[135:136], v[30:31], -v[32:33]
	s_wait_loadcnt_dscnt 0x601
	v_mul_f64_e32 v[133:134], v[2:3], v[40:41]
	v_mul_f64_e32 v[40:41], v[4:5], v[40:41]
	s_wait_loadcnt_dscnt 0x500
	v_mul_f64_e32 v[32:33], v[22:23], v[129:130]
	v_mul_f64_e32 v[129:130], v[24:25], v[129:130]
	v_add_f64_e32 v[26:27], v[28:29], v[26:27]
	v_add_f64_e32 v[28:29], v[131:132], v[141:142]
	v_fma_f64 v[131:132], v[4:5], v[38:39], v[133:134]
	v_fma_f64 v[38:39], v[2:3], v[38:39], -v[40:41]
	v_fma_f64 v[24:25], v[24:25], v[127:128], v[32:33]
	v_fma_f64 v[22:23], v[22:23], v[127:128], -v[129:130]
	v_add_f64_e32 v[30:31], v[26:27], v[30:31]
	v_add_f64_e32 v[40:41], v[28:29], v[137:138]
	ds_load_b128 v[2:5], v1 offset:1200
	ds_load_b128 v[26:29], v1 offset:1216
	s_wait_loadcnt_dscnt 0x401
	v_mul_f64_e32 v[133:134], v[2:3], v[36:37]
	v_mul_f64_e32 v[36:37], v[4:5], v[36:37]
	v_add_f64_e32 v[30:31], v[30:31], v[38:39]
	v_add_f64_e32 v[32:33], v[40:41], v[131:132]
	s_wait_loadcnt_dscnt 0x300
	v_mul_f64_e32 v[38:39], v[26:27], v[8:9]
	v_mul_f64_e32 v[8:9], v[28:29], v[8:9]
	v_fma_f64 v[40:41], v[4:5], v[34:35], v[133:134]
	v_fma_f64 v[34:35], v[2:3], v[34:35], -v[36:37]
	v_add_f64_e32 v[30:31], v[30:31], v[22:23]
	v_add_f64_e32 v[32:33], v[32:33], v[24:25]
	ds_load_b128 v[2:5], v1 offset:1232
	ds_load_b128 v[22:25], v1 offset:1248
	v_fma_f64 v[28:29], v[28:29], v[6:7], v[38:39]
	v_fma_f64 v[6:7], v[26:27], v[6:7], -v[8:9]
	s_wait_loadcnt_dscnt 0x201
	v_mul_f64_e32 v[36:37], v[2:3], v[12:13]
	v_mul_f64_e32 v[12:13], v[4:5], v[12:13]
	v_add_f64_e32 v[8:9], v[30:31], v[34:35]
	v_add_f64_e32 v[26:27], v[32:33], v[40:41]
	s_wait_loadcnt_dscnt 0x100
	v_mul_f64_e32 v[30:31], v[22:23], v[16:17]
	v_mul_f64_e32 v[16:17], v[24:25], v[16:17]
	v_fma_f64 v[32:33], v[4:5], v[10:11], v[36:37]
	v_fma_f64 v[10:11], v[2:3], v[10:11], -v[12:13]
	ds_load_b128 v[2:5], v1 offset:1264
	v_add_f64_e32 v[6:7], v[8:9], v[6:7]
	v_add_f64_e32 v[8:9], v[26:27], v[28:29]
	v_fma_f64 v[24:25], v[24:25], v[14:15], v[30:31]
	v_fma_f64 v[14:15], v[22:23], v[14:15], -v[16:17]
	s_wait_loadcnt_dscnt 0x0
	v_mul_f64_e32 v[12:13], v[2:3], v[20:21]
	v_mul_f64_e32 v[20:21], v[4:5], v[20:21]
	v_add_f64_e32 v[6:7], v[6:7], v[10:11]
	v_add_f64_e32 v[8:9], v[8:9], v[32:33]
	s_delay_alu instid0(VALU_DEP_4) | instskip(NEXT) | instid1(VALU_DEP_4)
	v_fma_f64 v[4:5], v[4:5], v[18:19], v[12:13]
	v_fma_f64 v[2:3], v[2:3], v[18:19], -v[20:21]
	s_delay_alu instid0(VALU_DEP_4) | instskip(NEXT) | instid1(VALU_DEP_4)
	v_add_f64_e32 v[6:7], v[6:7], v[14:15]
	v_add_f64_e32 v[8:9], v[8:9], v[24:25]
	s_delay_alu instid0(VALU_DEP_2) | instskip(NEXT) | instid1(VALU_DEP_2)
	v_add_f64_e32 v[2:3], v[6:7], v[2:3]
	v_add_f64_e32 v[4:5], v[8:9], v[4:5]
	s_delay_alu instid0(VALU_DEP_2) | instskip(NEXT) | instid1(VALU_DEP_2)
	v_add_f64_e64 v[2:3], v[42:43], -v[2:3]
	v_add_f64_e64 v[4:5], v[44:45], -v[4:5]
	scratch_store_b128 off, v[2:5], off offset:240
	v_cmpx_lt_u32_e32 13, v0
	s_cbranch_execz .LBB39_227
; %bb.226:
	scratch_load_b128 v[5:8], off, s40
	v_dual_mov_b32 v2, v1 :: v_dual_mov_b32 v3, v1
	v_mov_b32_e32 v4, v1
	scratch_store_b128 off, v[1:4], off offset:224
	s_wait_loadcnt 0x0
	ds_store_b128 v126, v[5:8]
.LBB39_227:
	s_wait_alu 0xfffe
	s_or_b32 exec_lo, exec_lo, s0
	s_wait_storecnt_dscnt 0x0
	s_barrier_signal -1
	s_barrier_wait -1
	global_inv scope:SCOPE_SE
	s_clause 0x8
	scratch_load_b128 v[2:5], off, off offset:240
	scratch_load_b128 v[6:9], off, off offset:256
	;; [unrolled: 1-line block ×9, first 2 shown]
	ds_load_b128 v[38:41], v1 offset:864
	ds_load_b128 v[42:45], v1 offset:880
	s_clause 0x1
	scratch_load_b128 v[127:130], off, off offset:224
	scratch_load_b128 v[131:134], off, off offset:384
	s_mov_b32 s0, exec_lo
	s_wait_loadcnt_dscnt 0xa01
	v_mul_f64_e32 v[135:136], v[40:41], v[4:5]
	v_mul_f64_e32 v[4:5], v[38:39], v[4:5]
	s_wait_loadcnt_dscnt 0x900
	v_mul_f64_e32 v[139:140], v[42:43], v[8:9]
	v_mul_f64_e32 v[8:9], v[44:45], v[8:9]
	s_delay_alu instid0(VALU_DEP_4) | instskip(NEXT) | instid1(VALU_DEP_4)
	v_fma_f64 v[141:142], v[38:39], v[2:3], -v[135:136]
	v_fma_f64 v[143:144], v[40:41], v[2:3], v[4:5]
	ds_load_b128 v[2:5], v1 offset:896
	ds_load_b128 v[135:138], v1 offset:912
	scratch_load_b128 v[38:41], off, off offset:400
	v_fma_f64 v[44:45], v[44:45], v[6:7], v[139:140]
	v_fma_f64 v[42:43], v[42:43], v[6:7], -v[8:9]
	scratch_load_b128 v[6:9], off, off offset:416
	s_wait_loadcnt_dscnt 0xa01
	v_mul_f64_e32 v[145:146], v[2:3], v[12:13]
	v_mul_f64_e32 v[12:13], v[4:5], v[12:13]
	v_add_f64_e32 v[139:140], 0, v[141:142]
	v_add_f64_e32 v[141:142], 0, v[143:144]
	s_wait_loadcnt_dscnt 0x900
	v_mul_f64_e32 v[143:144], v[135:136], v[16:17]
	v_mul_f64_e32 v[16:17], v[137:138], v[16:17]
	v_fma_f64 v[145:146], v[4:5], v[10:11], v[145:146]
	v_fma_f64 v[147:148], v[2:3], v[10:11], -v[12:13]
	ds_load_b128 v[2:5], v1 offset:928
	scratch_load_b128 v[10:13], off, off offset:432
	v_add_f64_e32 v[139:140], v[139:140], v[42:43]
	v_add_f64_e32 v[141:142], v[141:142], v[44:45]
	ds_load_b128 v[42:45], v1 offset:944
	v_fma_f64 v[137:138], v[137:138], v[14:15], v[143:144]
	v_fma_f64 v[135:136], v[135:136], v[14:15], -v[16:17]
	scratch_load_b128 v[14:17], off, off offset:448
	s_wait_loadcnt_dscnt 0xa01
	v_mul_f64_e32 v[149:150], v[2:3], v[20:21]
	v_mul_f64_e32 v[20:21], v[4:5], v[20:21]
	s_wait_loadcnt_dscnt 0x900
	v_mul_f64_e32 v[143:144], v[42:43], v[24:25]
	v_mul_f64_e32 v[24:25], v[44:45], v[24:25]
	v_add_f64_e32 v[139:140], v[139:140], v[147:148]
	v_add_f64_e32 v[141:142], v[141:142], v[145:146]
	v_fma_f64 v[145:146], v[4:5], v[18:19], v[149:150]
	v_fma_f64 v[147:148], v[2:3], v[18:19], -v[20:21]
	ds_load_b128 v[2:5], v1 offset:960
	scratch_load_b128 v[18:21], off, off offset:464
	v_fma_f64 v[44:45], v[44:45], v[22:23], v[143:144]
	v_fma_f64 v[42:43], v[42:43], v[22:23], -v[24:25]
	scratch_load_b128 v[22:25], off, off offset:480
	v_add_f64_e32 v[139:140], v[139:140], v[135:136]
	v_add_f64_e32 v[141:142], v[141:142], v[137:138]
	ds_load_b128 v[135:138], v1 offset:976
	s_wait_loadcnt_dscnt 0xa01
	v_mul_f64_e32 v[149:150], v[2:3], v[28:29]
	v_mul_f64_e32 v[28:29], v[4:5], v[28:29]
	s_wait_loadcnt_dscnt 0x900
	v_mul_f64_e32 v[143:144], v[135:136], v[32:33]
	v_mul_f64_e32 v[32:33], v[137:138], v[32:33]
	v_add_f64_e32 v[139:140], v[139:140], v[147:148]
	v_add_f64_e32 v[141:142], v[141:142], v[145:146]
	v_fma_f64 v[145:146], v[4:5], v[26:27], v[149:150]
	v_fma_f64 v[147:148], v[2:3], v[26:27], -v[28:29]
	ds_load_b128 v[2:5], v1 offset:992
	scratch_load_b128 v[26:29], off, off offset:496
	v_fma_f64 v[137:138], v[137:138], v[30:31], v[143:144]
	v_fma_f64 v[135:136], v[135:136], v[30:31], -v[32:33]
	scratch_load_b128 v[30:33], off, off offset:512
	v_add_f64_e32 v[139:140], v[139:140], v[42:43]
	v_add_f64_e32 v[141:142], v[141:142], v[44:45]
	ds_load_b128 v[42:45], v1 offset:1008
	s_wait_loadcnt_dscnt 0xa01
	v_mul_f64_e32 v[149:150], v[2:3], v[36:37]
	v_mul_f64_e32 v[36:37], v[4:5], v[36:37]
	s_wait_loadcnt_dscnt 0x800
	v_mul_f64_e32 v[143:144], v[42:43], v[133:134]
	v_add_f64_e32 v[139:140], v[139:140], v[147:148]
	v_add_f64_e32 v[141:142], v[141:142], v[145:146]
	v_mul_f64_e32 v[145:146], v[44:45], v[133:134]
	v_fma_f64 v[147:148], v[4:5], v[34:35], v[149:150]
	v_fma_f64 v[149:150], v[2:3], v[34:35], -v[36:37]
	ds_load_b128 v[2:5], v1 offset:1024
	scratch_load_b128 v[34:37], off, off offset:528
	v_fma_f64 v[44:45], v[44:45], v[131:132], v[143:144]
	v_add_f64_e32 v[139:140], v[139:140], v[135:136]
	v_add_f64_e32 v[137:138], v[141:142], v[137:138]
	ds_load_b128 v[133:136], v1 offset:1040
	v_fma_f64 v[131:132], v[42:43], v[131:132], -v[145:146]
	s_wait_loadcnt_dscnt 0x801
	v_mul_f64_e32 v[141:142], v[2:3], v[40:41]
	v_mul_f64_e32 v[151:152], v[4:5], v[40:41]
	scratch_load_b128 v[40:43], off, off offset:544
	s_wait_loadcnt_dscnt 0x800
	v_mul_f64_e32 v[145:146], v[133:134], v[8:9]
	v_mul_f64_e32 v[8:9], v[135:136], v[8:9]
	v_add_f64_e32 v[139:140], v[139:140], v[149:150]
	v_add_f64_e32 v[137:138], v[137:138], v[147:148]
	v_fma_f64 v[147:148], v[4:5], v[38:39], v[141:142]
	v_fma_f64 v[38:39], v[2:3], v[38:39], -v[151:152]
	ds_load_b128 v[2:5], v1 offset:1056
	ds_load_b128 v[141:144], v1 offset:1072
	v_fma_f64 v[135:136], v[135:136], v[6:7], v[145:146]
	v_fma_f64 v[133:134], v[133:134], v[6:7], -v[8:9]
	scratch_load_b128 v[6:9], off, off offset:576
	v_add_f64_e32 v[131:132], v[139:140], v[131:132]
	v_add_f64_e32 v[44:45], v[137:138], v[44:45]
	scratch_load_b128 v[137:140], off, off offset:560
	s_wait_loadcnt_dscnt 0x901
	v_mul_f64_e32 v[149:150], v[2:3], v[12:13]
	v_mul_f64_e32 v[12:13], v[4:5], v[12:13]
	s_wait_loadcnt_dscnt 0x800
	v_mul_f64_e32 v[145:146], v[141:142], v[16:17]
	v_mul_f64_e32 v[16:17], v[143:144], v[16:17]
	v_add_f64_e32 v[38:39], v[131:132], v[38:39]
	v_add_f64_e32 v[44:45], v[44:45], v[147:148]
	v_fma_f64 v[147:148], v[4:5], v[10:11], v[149:150]
	v_fma_f64 v[149:150], v[2:3], v[10:11], -v[12:13]
	ds_load_b128 v[2:5], v1 offset:1088
	scratch_load_b128 v[10:13], off, off offset:592
	v_fma_f64 v[143:144], v[143:144], v[14:15], v[145:146]
	v_fma_f64 v[141:142], v[141:142], v[14:15], -v[16:17]
	scratch_load_b128 v[14:17], off, off offset:608
	v_add_f64_e32 v[38:39], v[38:39], v[133:134]
	v_add_f64_e32 v[44:45], v[44:45], v[135:136]
	ds_load_b128 v[131:134], v1 offset:1104
	s_wait_loadcnt_dscnt 0x901
	v_mul_f64_e32 v[135:136], v[2:3], v[20:21]
	v_mul_f64_e32 v[20:21], v[4:5], v[20:21]
	s_wait_loadcnt_dscnt 0x800
	v_mul_f64_e32 v[145:146], v[131:132], v[24:25]
	v_mul_f64_e32 v[24:25], v[133:134], v[24:25]
	v_add_f64_e32 v[38:39], v[38:39], v[149:150]
	v_add_f64_e32 v[44:45], v[44:45], v[147:148]
	v_fma_f64 v[135:136], v[4:5], v[18:19], v[135:136]
	v_fma_f64 v[147:148], v[2:3], v[18:19], -v[20:21]
	ds_load_b128 v[2:5], v1 offset:1120
	scratch_load_b128 v[18:21], off, off offset:624
	v_fma_f64 v[133:134], v[133:134], v[22:23], v[145:146]
	v_fma_f64 v[131:132], v[131:132], v[22:23], -v[24:25]
	scratch_load_b128 v[22:25], off, off offset:640
	v_add_f64_e32 v[38:39], v[38:39], v[141:142]
	v_add_f64_e32 v[44:45], v[44:45], v[143:144]
	ds_load_b128 v[141:144], v1 offset:1136
	s_wait_loadcnt_dscnt 0x901
	v_mul_f64_e32 v[149:150], v[2:3], v[28:29]
	v_mul_f64_e32 v[28:29], v[4:5], v[28:29]
	v_add_f64_e32 v[38:39], v[38:39], v[147:148]
	v_add_f64_e32 v[44:45], v[44:45], v[135:136]
	s_wait_loadcnt_dscnt 0x800
	v_mul_f64_e32 v[135:136], v[141:142], v[32:33]
	v_mul_f64_e32 v[32:33], v[143:144], v[32:33]
	v_fma_f64 v[145:146], v[4:5], v[26:27], v[149:150]
	v_fma_f64 v[147:148], v[2:3], v[26:27], -v[28:29]
	ds_load_b128 v[2:5], v1 offset:1152
	ds_load_b128 v[26:29], v1 offset:1168
	v_add_f64_e32 v[38:39], v[38:39], v[131:132]
	v_add_f64_e32 v[44:45], v[44:45], v[133:134]
	s_wait_loadcnt_dscnt 0x701
	v_mul_f64_e32 v[131:132], v[2:3], v[36:37]
	v_mul_f64_e32 v[36:37], v[4:5], v[36:37]
	v_fma_f64 v[133:134], v[143:144], v[30:31], v[135:136]
	v_fma_f64 v[30:31], v[141:142], v[30:31], -v[32:33]
	v_add_f64_e32 v[32:33], v[38:39], v[147:148]
	v_add_f64_e32 v[38:39], v[44:45], v[145:146]
	s_wait_loadcnt_dscnt 0x600
	v_mul_f64_e32 v[44:45], v[26:27], v[42:43]
	v_mul_f64_e32 v[42:43], v[28:29], v[42:43]
	v_fma_f64 v[131:132], v[4:5], v[34:35], v[131:132]
	v_fma_f64 v[34:35], v[2:3], v[34:35], -v[36:37]
	v_add_f64_e32 v[36:37], v[32:33], v[30:31]
	v_add_f64_e32 v[38:39], v[38:39], v[133:134]
	ds_load_b128 v[2:5], v1 offset:1184
	ds_load_b128 v[30:33], v1 offset:1200
	v_fma_f64 v[28:29], v[28:29], v[40:41], v[44:45]
	v_fma_f64 v[26:27], v[26:27], v[40:41], -v[42:43]
	s_wait_loadcnt_dscnt 0x401
	v_mul_f64_e32 v[133:134], v[2:3], v[139:140]
	v_mul_f64_e32 v[135:136], v[4:5], v[139:140]
	v_add_f64_e32 v[34:35], v[36:37], v[34:35]
	v_add_f64_e32 v[36:37], v[38:39], v[131:132]
	s_wait_dscnt 0x0
	v_mul_f64_e32 v[38:39], v[30:31], v[8:9]
	v_mul_f64_e32 v[8:9], v[32:33], v[8:9]
	v_fma_f64 v[40:41], v[4:5], v[137:138], v[133:134]
	v_fma_f64 v[42:43], v[2:3], v[137:138], -v[135:136]
	v_add_f64_e32 v[34:35], v[34:35], v[26:27]
	v_add_f64_e32 v[36:37], v[36:37], v[28:29]
	ds_load_b128 v[2:5], v1 offset:1216
	ds_load_b128 v[26:29], v1 offset:1232
	v_fma_f64 v[32:33], v[32:33], v[6:7], v[38:39]
	v_fma_f64 v[6:7], v[30:31], v[6:7], -v[8:9]
	s_wait_loadcnt_dscnt 0x301
	v_mul_f64_e32 v[44:45], v[2:3], v[12:13]
	v_mul_f64_e32 v[12:13], v[4:5], v[12:13]
	v_add_f64_e32 v[8:9], v[34:35], v[42:43]
	v_add_f64_e32 v[30:31], v[36:37], v[40:41]
	s_wait_loadcnt_dscnt 0x200
	v_mul_f64_e32 v[34:35], v[26:27], v[16:17]
	v_mul_f64_e32 v[16:17], v[28:29], v[16:17]
	v_fma_f64 v[36:37], v[4:5], v[10:11], v[44:45]
	v_fma_f64 v[10:11], v[2:3], v[10:11], -v[12:13]
	v_add_f64_e32 v[12:13], v[8:9], v[6:7]
	v_add_f64_e32 v[30:31], v[30:31], v[32:33]
	ds_load_b128 v[2:5], v1 offset:1248
	ds_load_b128 v[6:9], v1 offset:1264
	v_fma_f64 v[28:29], v[28:29], v[14:15], v[34:35]
	v_fma_f64 v[14:15], v[26:27], v[14:15], -v[16:17]
	s_wait_loadcnt_dscnt 0x101
	v_mul_f64_e32 v[32:33], v[2:3], v[20:21]
	v_mul_f64_e32 v[20:21], v[4:5], v[20:21]
	s_wait_loadcnt_dscnt 0x0
	v_mul_f64_e32 v[16:17], v[6:7], v[24:25]
	v_mul_f64_e32 v[24:25], v[8:9], v[24:25]
	v_add_f64_e32 v[10:11], v[12:13], v[10:11]
	v_add_f64_e32 v[12:13], v[30:31], v[36:37]
	v_fma_f64 v[4:5], v[4:5], v[18:19], v[32:33]
	v_fma_f64 v[1:2], v[2:3], v[18:19], -v[20:21]
	v_fma_f64 v[8:9], v[8:9], v[22:23], v[16:17]
	v_fma_f64 v[6:7], v[6:7], v[22:23], -v[24:25]
	v_add_f64_e32 v[10:11], v[10:11], v[14:15]
	v_add_f64_e32 v[12:13], v[12:13], v[28:29]
	s_delay_alu instid0(VALU_DEP_2) | instskip(NEXT) | instid1(VALU_DEP_2)
	v_add_f64_e32 v[1:2], v[10:11], v[1:2]
	v_add_f64_e32 v[3:4], v[12:13], v[4:5]
	s_delay_alu instid0(VALU_DEP_2) | instskip(NEXT) | instid1(VALU_DEP_2)
	;; [unrolled: 3-line block ×3, first 2 shown]
	v_add_f64_e64 v[1:2], v[127:128], -v[1:2]
	v_add_f64_e64 v[3:4], v[129:130], -v[3:4]
	scratch_store_b128 off, v[1:4], off offset:224
	v_cmpx_lt_u32_e32 12, v0
	s_cbranch_execz .LBB39_229
; %bb.228:
	scratch_load_b128 v[1:4], off, s41
	v_mov_b32_e32 v5, 0
	s_delay_alu instid0(VALU_DEP_1)
	v_dual_mov_b32 v6, v5 :: v_dual_mov_b32 v7, v5
	v_mov_b32_e32 v8, v5
	scratch_store_b128 off, v[5:8], off offset:208
	s_wait_loadcnt 0x0
	ds_store_b128 v126, v[1:4]
.LBB39_229:
	s_wait_alu 0xfffe
	s_or_b32 exec_lo, exec_lo, s0
	s_wait_storecnt_dscnt 0x0
	s_barrier_signal -1
	s_barrier_wait -1
	global_inv scope:SCOPE_SE
	s_clause 0x7
	scratch_load_b128 v[2:5], off, off offset:224
	scratch_load_b128 v[6:9], off, off offset:240
	;; [unrolled: 1-line block ×8, first 2 shown]
	v_mov_b32_e32 v1, 0
	s_mov_b32 s0, exec_lo
	ds_load_b128 v[34:37], v1 offset:848
	s_clause 0x1
	scratch_load_b128 v[38:41], off, off offset:352
	scratch_load_b128 v[42:45], off, off offset:208
	ds_load_b128 v[127:130], v1 offset:864
	scratch_load_b128 v[131:134], off, off offset:368
	s_wait_loadcnt_dscnt 0xa01
	v_mul_f64_e32 v[135:136], v[36:37], v[4:5]
	v_mul_f64_e32 v[4:5], v[34:35], v[4:5]
	s_delay_alu instid0(VALU_DEP_2) | instskip(NEXT) | instid1(VALU_DEP_2)
	v_fma_f64 v[141:142], v[34:35], v[2:3], -v[135:136]
	v_fma_f64 v[143:144], v[36:37], v[2:3], v[4:5]
	ds_load_b128 v[2:5], v1 offset:880
	s_wait_loadcnt_dscnt 0x901
	v_mul_f64_e32 v[139:140], v[127:128], v[8:9]
	v_mul_f64_e32 v[8:9], v[129:130], v[8:9]
	scratch_load_b128 v[34:37], off, off offset:384
	ds_load_b128 v[135:138], v1 offset:896
	s_wait_loadcnt_dscnt 0x901
	v_mul_f64_e32 v[145:146], v[2:3], v[12:13]
	v_mul_f64_e32 v[12:13], v[4:5], v[12:13]
	v_fma_f64 v[129:130], v[129:130], v[6:7], v[139:140]
	v_fma_f64 v[127:128], v[127:128], v[6:7], -v[8:9]
	v_add_f64_e32 v[139:140], 0, v[141:142]
	v_add_f64_e32 v[141:142], 0, v[143:144]
	scratch_load_b128 v[6:9], off, off offset:400
	v_fma_f64 v[145:146], v[4:5], v[10:11], v[145:146]
	v_fma_f64 v[147:148], v[2:3], v[10:11], -v[12:13]
	ds_load_b128 v[2:5], v1 offset:912
	s_wait_loadcnt_dscnt 0x901
	v_mul_f64_e32 v[143:144], v[135:136], v[16:17]
	v_mul_f64_e32 v[16:17], v[137:138], v[16:17]
	scratch_load_b128 v[10:13], off, off offset:416
	v_add_f64_e32 v[139:140], v[139:140], v[127:128]
	v_add_f64_e32 v[141:142], v[141:142], v[129:130]
	s_wait_loadcnt_dscnt 0x900
	v_mul_f64_e32 v[149:150], v[2:3], v[20:21]
	v_mul_f64_e32 v[20:21], v[4:5], v[20:21]
	ds_load_b128 v[127:130], v1 offset:928
	v_fma_f64 v[137:138], v[137:138], v[14:15], v[143:144]
	v_fma_f64 v[135:136], v[135:136], v[14:15], -v[16:17]
	scratch_load_b128 v[14:17], off, off offset:432
	v_add_f64_e32 v[139:140], v[139:140], v[147:148]
	v_add_f64_e32 v[141:142], v[141:142], v[145:146]
	v_fma_f64 v[145:146], v[4:5], v[18:19], v[149:150]
	v_fma_f64 v[147:148], v[2:3], v[18:19], -v[20:21]
	ds_load_b128 v[2:5], v1 offset:944
	s_wait_loadcnt_dscnt 0x901
	v_mul_f64_e32 v[143:144], v[127:128], v[24:25]
	v_mul_f64_e32 v[24:25], v[129:130], v[24:25]
	scratch_load_b128 v[18:21], off, off offset:448
	s_wait_loadcnt_dscnt 0x900
	v_mul_f64_e32 v[149:150], v[2:3], v[28:29]
	v_mul_f64_e32 v[28:29], v[4:5], v[28:29]
	v_add_f64_e32 v[139:140], v[139:140], v[135:136]
	v_add_f64_e32 v[141:142], v[141:142], v[137:138]
	ds_load_b128 v[135:138], v1 offset:960
	v_fma_f64 v[129:130], v[129:130], v[22:23], v[143:144]
	v_fma_f64 v[127:128], v[127:128], v[22:23], -v[24:25]
	scratch_load_b128 v[22:25], off, off offset:464
	v_add_f64_e32 v[139:140], v[139:140], v[147:148]
	v_add_f64_e32 v[141:142], v[141:142], v[145:146]
	v_fma_f64 v[145:146], v[4:5], v[26:27], v[149:150]
	v_fma_f64 v[147:148], v[2:3], v[26:27], -v[28:29]
	ds_load_b128 v[2:5], v1 offset:976
	s_wait_loadcnt_dscnt 0x901
	v_mul_f64_e32 v[143:144], v[135:136], v[32:33]
	v_mul_f64_e32 v[32:33], v[137:138], v[32:33]
	scratch_load_b128 v[26:29], off, off offset:480
	s_wait_loadcnt_dscnt 0x900
	v_mul_f64_e32 v[149:150], v[2:3], v[40:41]
	v_mul_f64_e32 v[40:41], v[4:5], v[40:41]
	v_add_f64_e32 v[139:140], v[139:140], v[127:128]
	v_add_f64_e32 v[141:142], v[141:142], v[129:130]
	ds_load_b128 v[127:130], v1 offset:992
	v_fma_f64 v[137:138], v[137:138], v[30:31], v[143:144]
	v_fma_f64 v[135:136], v[135:136], v[30:31], -v[32:33]
	scratch_load_b128 v[30:33], off, off offset:496
	v_add_f64_e32 v[139:140], v[139:140], v[147:148]
	v_add_f64_e32 v[141:142], v[141:142], v[145:146]
	v_fma_f64 v[147:148], v[4:5], v[38:39], v[149:150]
	v_fma_f64 v[149:150], v[2:3], v[38:39], -v[40:41]
	ds_load_b128 v[2:5], v1 offset:1008
	s_wait_loadcnt_dscnt 0x801
	v_mul_f64_e32 v[143:144], v[127:128], v[133:134]
	v_mul_f64_e32 v[145:146], v[129:130], v[133:134]
	scratch_load_b128 v[38:41], off, off offset:512
	v_add_f64_e32 v[139:140], v[139:140], v[135:136]
	v_add_f64_e32 v[137:138], v[141:142], v[137:138]
	ds_load_b128 v[133:136], v1 offset:1024
	v_fma_f64 v[143:144], v[129:130], v[131:132], v[143:144]
	v_fma_f64 v[131:132], v[127:128], v[131:132], -v[145:146]
	scratch_load_b128 v[127:130], off, off offset:528
	s_wait_loadcnt_dscnt 0x901
	v_mul_f64_e32 v[141:142], v[2:3], v[36:37]
	v_mul_f64_e32 v[36:37], v[4:5], v[36:37]
	v_add_f64_e32 v[139:140], v[139:140], v[149:150]
	v_add_f64_e32 v[137:138], v[137:138], v[147:148]
	s_delay_alu instid0(VALU_DEP_4) | instskip(NEXT) | instid1(VALU_DEP_4)
	v_fma_f64 v[141:142], v[4:5], v[34:35], v[141:142]
	v_fma_f64 v[147:148], v[2:3], v[34:35], -v[36:37]
	ds_load_b128 v[2:5], v1 offset:1040
	s_wait_loadcnt_dscnt 0x801
	v_mul_f64_e32 v[145:146], v[133:134], v[8:9]
	v_mul_f64_e32 v[8:9], v[135:136], v[8:9]
	scratch_load_b128 v[34:37], off, off offset:544
	s_wait_loadcnt_dscnt 0x800
	v_mul_f64_e32 v[149:150], v[2:3], v[12:13]
	v_add_f64_e32 v[131:132], v[139:140], v[131:132]
	v_add_f64_e32 v[143:144], v[137:138], v[143:144]
	v_mul_f64_e32 v[12:13], v[4:5], v[12:13]
	ds_load_b128 v[137:140], v1 offset:1056
	v_fma_f64 v[135:136], v[135:136], v[6:7], v[145:146]
	v_fma_f64 v[133:134], v[133:134], v[6:7], -v[8:9]
	scratch_load_b128 v[6:9], off, off offset:560
	v_fma_f64 v[145:146], v[4:5], v[10:11], v[149:150]
	v_add_f64_e32 v[131:132], v[131:132], v[147:148]
	v_add_f64_e32 v[141:142], v[143:144], v[141:142]
	v_fma_f64 v[147:148], v[2:3], v[10:11], -v[12:13]
	ds_load_b128 v[2:5], v1 offset:1072
	s_wait_loadcnt_dscnt 0x801
	v_mul_f64_e32 v[143:144], v[137:138], v[16:17]
	v_mul_f64_e32 v[16:17], v[139:140], v[16:17]
	scratch_load_b128 v[10:13], off, off offset:576
	v_add_f64_e32 v[149:150], v[131:132], v[133:134]
	v_add_f64_e32 v[135:136], v[141:142], v[135:136]
	s_wait_loadcnt_dscnt 0x800
	v_mul_f64_e32 v[141:142], v[2:3], v[20:21]
	v_mul_f64_e32 v[20:21], v[4:5], v[20:21]
	v_fma_f64 v[139:140], v[139:140], v[14:15], v[143:144]
	v_fma_f64 v[137:138], v[137:138], v[14:15], -v[16:17]
	ds_load_b128 v[131:134], v1 offset:1088
	scratch_load_b128 v[14:17], off, off offset:592
	v_add_f64_e32 v[143:144], v[149:150], v[147:148]
	v_add_f64_e32 v[135:136], v[135:136], v[145:146]
	v_fma_f64 v[141:142], v[4:5], v[18:19], v[141:142]
	v_fma_f64 v[147:148], v[2:3], v[18:19], -v[20:21]
	ds_load_b128 v[2:5], v1 offset:1104
	s_wait_loadcnt_dscnt 0x801
	v_mul_f64_e32 v[145:146], v[131:132], v[24:25]
	v_mul_f64_e32 v[24:25], v[133:134], v[24:25]
	scratch_load_b128 v[18:21], off, off offset:608
	s_wait_loadcnt_dscnt 0x800
	v_mul_f64_e32 v[149:150], v[2:3], v[28:29]
	v_mul_f64_e32 v[28:29], v[4:5], v[28:29]
	v_add_f64_e32 v[143:144], v[143:144], v[137:138]
	v_add_f64_e32 v[139:140], v[135:136], v[139:140]
	ds_load_b128 v[135:138], v1 offset:1120
	v_fma_f64 v[133:134], v[133:134], v[22:23], v[145:146]
	v_fma_f64 v[131:132], v[131:132], v[22:23], -v[24:25]
	scratch_load_b128 v[22:25], off, off offset:624
	v_fma_f64 v[145:146], v[4:5], v[26:27], v[149:150]
	v_add_f64_e32 v[143:144], v[143:144], v[147:148]
	v_add_f64_e32 v[139:140], v[139:140], v[141:142]
	v_fma_f64 v[147:148], v[2:3], v[26:27], -v[28:29]
	ds_load_b128 v[2:5], v1 offset:1136
	s_wait_loadcnt_dscnt 0x801
	v_mul_f64_e32 v[141:142], v[135:136], v[32:33]
	v_mul_f64_e32 v[32:33], v[137:138], v[32:33]
	scratch_load_b128 v[26:29], off, off offset:640
	s_wait_loadcnt_dscnt 0x800
	v_mul_f64_e32 v[149:150], v[2:3], v[40:41]
	v_mul_f64_e32 v[40:41], v[4:5], v[40:41]
	v_add_f64_e32 v[143:144], v[143:144], v[131:132]
	v_add_f64_e32 v[139:140], v[139:140], v[133:134]
	ds_load_b128 v[131:134], v1 offset:1152
	v_fma_f64 v[137:138], v[137:138], v[30:31], v[141:142]
	v_fma_f64 v[30:31], v[135:136], v[30:31], -v[32:33]
	v_fma_f64 v[141:142], v[4:5], v[38:39], v[149:150]
	v_fma_f64 v[38:39], v[2:3], v[38:39], -v[40:41]
	v_add_f64_e32 v[32:33], v[143:144], v[147:148]
	v_add_f64_e32 v[135:136], v[139:140], v[145:146]
	s_wait_loadcnt_dscnt 0x700
	v_mul_f64_e32 v[139:140], v[131:132], v[129:130]
	v_mul_f64_e32 v[129:130], v[133:134], v[129:130]
	s_delay_alu instid0(VALU_DEP_4) | instskip(NEXT) | instid1(VALU_DEP_4)
	v_add_f64_e32 v[40:41], v[32:33], v[30:31]
	v_add_f64_e32 v[135:136], v[135:136], v[137:138]
	ds_load_b128 v[2:5], v1 offset:1168
	ds_load_b128 v[30:33], v1 offset:1184
	v_fma_f64 v[133:134], v[133:134], v[127:128], v[139:140]
	v_fma_f64 v[127:128], v[131:132], v[127:128], -v[129:130]
	s_wait_loadcnt_dscnt 0x601
	v_mul_f64_e32 v[137:138], v[2:3], v[36:37]
	v_mul_f64_e32 v[36:37], v[4:5], v[36:37]
	s_wait_loadcnt_dscnt 0x500
	v_mul_f64_e32 v[129:130], v[30:31], v[8:9]
	v_mul_f64_e32 v[8:9], v[32:33], v[8:9]
	v_add_f64_e32 v[38:39], v[40:41], v[38:39]
	v_add_f64_e32 v[40:41], v[135:136], v[141:142]
	v_fma_f64 v[131:132], v[4:5], v[34:35], v[137:138]
	v_fma_f64 v[135:136], v[2:3], v[34:35], -v[36:37]
	ds_load_b128 v[2:5], v1 offset:1200
	ds_load_b128 v[34:37], v1 offset:1216
	v_fma_f64 v[32:33], v[32:33], v[6:7], v[129:130]
	v_fma_f64 v[6:7], v[30:31], v[6:7], -v[8:9]
	v_add_f64_e32 v[38:39], v[38:39], v[127:128]
	v_add_f64_e32 v[40:41], v[40:41], v[133:134]
	s_wait_loadcnt_dscnt 0x401
	v_mul_f64_e32 v[127:128], v[2:3], v[12:13]
	v_mul_f64_e32 v[12:13], v[4:5], v[12:13]
	s_delay_alu instid0(VALU_DEP_4) | instskip(NEXT) | instid1(VALU_DEP_4)
	v_add_f64_e32 v[8:9], v[38:39], v[135:136]
	v_add_f64_e32 v[30:31], v[40:41], v[131:132]
	s_wait_loadcnt_dscnt 0x300
	v_mul_f64_e32 v[38:39], v[34:35], v[16:17]
	v_mul_f64_e32 v[16:17], v[36:37], v[16:17]
	v_fma_f64 v[40:41], v[4:5], v[10:11], v[127:128]
	v_fma_f64 v[10:11], v[2:3], v[10:11], -v[12:13]
	v_add_f64_e32 v[12:13], v[8:9], v[6:7]
	v_add_f64_e32 v[30:31], v[30:31], v[32:33]
	ds_load_b128 v[2:5], v1 offset:1232
	ds_load_b128 v[6:9], v1 offset:1248
	v_fma_f64 v[36:37], v[36:37], v[14:15], v[38:39]
	v_fma_f64 v[14:15], v[34:35], v[14:15], -v[16:17]
	s_wait_loadcnt_dscnt 0x201
	v_mul_f64_e32 v[32:33], v[2:3], v[20:21]
	v_mul_f64_e32 v[20:21], v[4:5], v[20:21]
	s_wait_loadcnt_dscnt 0x100
	v_mul_f64_e32 v[16:17], v[6:7], v[24:25]
	v_mul_f64_e32 v[24:25], v[8:9], v[24:25]
	v_add_f64_e32 v[10:11], v[12:13], v[10:11]
	v_add_f64_e32 v[12:13], v[30:31], v[40:41]
	v_fma_f64 v[30:31], v[4:5], v[18:19], v[32:33]
	v_fma_f64 v[18:19], v[2:3], v[18:19], -v[20:21]
	ds_load_b128 v[2:5], v1 offset:1264
	v_fma_f64 v[8:9], v[8:9], v[22:23], v[16:17]
	v_fma_f64 v[6:7], v[6:7], v[22:23], -v[24:25]
	v_add_f64_e32 v[10:11], v[10:11], v[14:15]
	v_add_f64_e32 v[12:13], v[12:13], v[36:37]
	s_wait_loadcnt_dscnt 0x0
	v_mul_f64_e32 v[14:15], v[2:3], v[28:29]
	v_mul_f64_e32 v[20:21], v[4:5], v[28:29]
	s_delay_alu instid0(VALU_DEP_4) | instskip(NEXT) | instid1(VALU_DEP_4)
	v_add_f64_e32 v[10:11], v[10:11], v[18:19]
	v_add_f64_e32 v[12:13], v[12:13], v[30:31]
	s_delay_alu instid0(VALU_DEP_4) | instskip(NEXT) | instid1(VALU_DEP_4)
	v_fma_f64 v[4:5], v[4:5], v[26:27], v[14:15]
	v_fma_f64 v[2:3], v[2:3], v[26:27], -v[20:21]
	s_delay_alu instid0(VALU_DEP_4) | instskip(NEXT) | instid1(VALU_DEP_4)
	v_add_f64_e32 v[6:7], v[10:11], v[6:7]
	v_add_f64_e32 v[8:9], v[12:13], v[8:9]
	s_delay_alu instid0(VALU_DEP_2) | instskip(NEXT) | instid1(VALU_DEP_2)
	v_add_f64_e32 v[2:3], v[6:7], v[2:3]
	v_add_f64_e32 v[4:5], v[8:9], v[4:5]
	s_delay_alu instid0(VALU_DEP_2) | instskip(NEXT) | instid1(VALU_DEP_2)
	v_add_f64_e64 v[2:3], v[42:43], -v[2:3]
	v_add_f64_e64 v[4:5], v[44:45], -v[4:5]
	scratch_store_b128 off, v[2:5], off offset:208
	v_cmpx_lt_u32_e32 11, v0
	s_cbranch_execz .LBB39_231
; %bb.230:
	scratch_load_b128 v[5:8], off, s42
	v_dual_mov_b32 v2, v1 :: v_dual_mov_b32 v3, v1
	v_mov_b32_e32 v4, v1
	scratch_store_b128 off, v[1:4], off offset:192
	s_wait_loadcnt 0x0
	ds_store_b128 v126, v[5:8]
.LBB39_231:
	s_wait_alu 0xfffe
	s_or_b32 exec_lo, exec_lo, s0
	s_wait_storecnt_dscnt 0x0
	s_barrier_signal -1
	s_barrier_wait -1
	global_inv scope:SCOPE_SE
	s_clause 0x8
	scratch_load_b128 v[2:5], off, off offset:208
	scratch_load_b128 v[6:9], off, off offset:224
	;; [unrolled: 1-line block ×9, first 2 shown]
	ds_load_b128 v[38:41], v1 offset:832
	ds_load_b128 v[42:45], v1 offset:848
	s_clause 0x1
	scratch_load_b128 v[127:130], off, off offset:192
	scratch_load_b128 v[131:134], off, off offset:352
	s_mov_b32 s0, exec_lo
	s_wait_loadcnt_dscnt 0xa01
	v_mul_f64_e32 v[135:136], v[40:41], v[4:5]
	v_mul_f64_e32 v[4:5], v[38:39], v[4:5]
	s_wait_loadcnt_dscnt 0x900
	v_mul_f64_e32 v[139:140], v[42:43], v[8:9]
	v_mul_f64_e32 v[8:9], v[44:45], v[8:9]
	s_delay_alu instid0(VALU_DEP_4) | instskip(NEXT) | instid1(VALU_DEP_4)
	v_fma_f64 v[141:142], v[38:39], v[2:3], -v[135:136]
	v_fma_f64 v[143:144], v[40:41], v[2:3], v[4:5]
	ds_load_b128 v[2:5], v1 offset:864
	ds_load_b128 v[135:138], v1 offset:880
	scratch_load_b128 v[38:41], off, off offset:368
	v_fma_f64 v[44:45], v[44:45], v[6:7], v[139:140]
	v_fma_f64 v[42:43], v[42:43], v[6:7], -v[8:9]
	scratch_load_b128 v[6:9], off, off offset:384
	s_wait_loadcnt_dscnt 0xa01
	v_mul_f64_e32 v[145:146], v[2:3], v[12:13]
	v_mul_f64_e32 v[12:13], v[4:5], v[12:13]
	v_add_f64_e32 v[139:140], 0, v[141:142]
	v_add_f64_e32 v[141:142], 0, v[143:144]
	s_wait_loadcnt_dscnt 0x900
	v_mul_f64_e32 v[143:144], v[135:136], v[16:17]
	v_mul_f64_e32 v[16:17], v[137:138], v[16:17]
	v_fma_f64 v[145:146], v[4:5], v[10:11], v[145:146]
	v_fma_f64 v[147:148], v[2:3], v[10:11], -v[12:13]
	ds_load_b128 v[2:5], v1 offset:896
	scratch_load_b128 v[10:13], off, off offset:400
	v_add_f64_e32 v[139:140], v[139:140], v[42:43]
	v_add_f64_e32 v[141:142], v[141:142], v[44:45]
	ds_load_b128 v[42:45], v1 offset:912
	v_fma_f64 v[137:138], v[137:138], v[14:15], v[143:144]
	v_fma_f64 v[135:136], v[135:136], v[14:15], -v[16:17]
	scratch_load_b128 v[14:17], off, off offset:416
	s_wait_loadcnt_dscnt 0xa01
	v_mul_f64_e32 v[149:150], v[2:3], v[20:21]
	v_mul_f64_e32 v[20:21], v[4:5], v[20:21]
	s_wait_loadcnt_dscnt 0x900
	v_mul_f64_e32 v[143:144], v[42:43], v[24:25]
	v_mul_f64_e32 v[24:25], v[44:45], v[24:25]
	v_add_f64_e32 v[139:140], v[139:140], v[147:148]
	v_add_f64_e32 v[141:142], v[141:142], v[145:146]
	v_fma_f64 v[145:146], v[4:5], v[18:19], v[149:150]
	v_fma_f64 v[147:148], v[2:3], v[18:19], -v[20:21]
	ds_load_b128 v[2:5], v1 offset:928
	scratch_load_b128 v[18:21], off, off offset:432
	v_fma_f64 v[44:45], v[44:45], v[22:23], v[143:144]
	v_fma_f64 v[42:43], v[42:43], v[22:23], -v[24:25]
	scratch_load_b128 v[22:25], off, off offset:448
	v_add_f64_e32 v[139:140], v[139:140], v[135:136]
	v_add_f64_e32 v[141:142], v[141:142], v[137:138]
	ds_load_b128 v[135:138], v1 offset:944
	s_wait_loadcnt_dscnt 0xa01
	v_mul_f64_e32 v[149:150], v[2:3], v[28:29]
	v_mul_f64_e32 v[28:29], v[4:5], v[28:29]
	s_wait_loadcnt_dscnt 0x900
	v_mul_f64_e32 v[143:144], v[135:136], v[32:33]
	v_mul_f64_e32 v[32:33], v[137:138], v[32:33]
	v_add_f64_e32 v[139:140], v[139:140], v[147:148]
	v_add_f64_e32 v[141:142], v[141:142], v[145:146]
	v_fma_f64 v[145:146], v[4:5], v[26:27], v[149:150]
	v_fma_f64 v[147:148], v[2:3], v[26:27], -v[28:29]
	ds_load_b128 v[2:5], v1 offset:960
	scratch_load_b128 v[26:29], off, off offset:464
	v_fma_f64 v[137:138], v[137:138], v[30:31], v[143:144]
	v_fma_f64 v[135:136], v[135:136], v[30:31], -v[32:33]
	scratch_load_b128 v[30:33], off, off offset:480
	v_add_f64_e32 v[139:140], v[139:140], v[42:43]
	v_add_f64_e32 v[141:142], v[141:142], v[44:45]
	ds_load_b128 v[42:45], v1 offset:976
	s_wait_loadcnt_dscnt 0xa01
	v_mul_f64_e32 v[149:150], v[2:3], v[36:37]
	v_mul_f64_e32 v[36:37], v[4:5], v[36:37]
	s_wait_loadcnt_dscnt 0x800
	v_mul_f64_e32 v[143:144], v[42:43], v[133:134]
	v_add_f64_e32 v[139:140], v[139:140], v[147:148]
	v_add_f64_e32 v[141:142], v[141:142], v[145:146]
	v_mul_f64_e32 v[145:146], v[44:45], v[133:134]
	v_fma_f64 v[147:148], v[4:5], v[34:35], v[149:150]
	v_fma_f64 v[149:150], v[2:3], v[34:35], -v[36:37]
	ds_load_b128 v[2:5], v1 offset:992
	scratch_load_b128 v[34:37], off, off offset:496
	v_fma_f64 v[44:45], v[44:45], v[131:132], v[143:144]
	v_add_f64_e32 v[139:140], v[139:140], v[135:136]
	v_add_f64_e32 v[137:138], v[141:142], v[137:138]
	ds_load_b128 v[133:136], v1 offset:1008
	v_fma_f64 v[131:132], v[42:43], v[131:132], -v[145:146]
	s_wait_loadcnt_dscnt 0x801
	v_mul_f64_e32 v[141:142], v[2:3], v[40:41]
	v_mul_f64_e32 v[151:152], v[4:5], v[40:41]
	scratch_load_b128 v[40:43], off, off offset:512
	s_wait_loadcnt_dscnt 0x800
	v_mul_f64_e32 v[145:146], v[133:134], v[8:9]
	v_mul_f64_e32 v[8:9], v[135:136], v[8:9]
	v_add_f64_e32 v[139:140], v[139:140], v[149:150]
	v_add_f64_e32 v[137:138], v[137:138], v[147:148]
	v_fma_f64 v[147:148], v[4:5], v[38:39], v[141:142]
	v_fma_f64 v[38:39], v[2:3], v[38:39], -v[151:152]
	ds_load_b128 v[2:5], v1 offset:1024
	ds_load_b128 v[141:144], v1 offset:1040
	v_fma_f64 v[135:136], v[135:136], v[6:7], v[145:146]
	v_fma_f64 v[133:134], v[133:134], v[6:7], -v[8:9]
	scratch_load_b128 v[6:9], off, off offset:544
	v_add_f64_e32 v[131:132], v[139:140], v[131:132]
	v_add_f64_e32 v[44:45], v[137:138], v[44:45]
	scratch_load_b128 v[137:140], off, off offset:528
	s_wait_loadcnt_dscnt 0x901
	v_mul_f64_e32 v[149:150], v[2:3], v[12:13]
	v_mul_f64_e32 v[12:13], v[4:5], v[12:13]
	s_wait_loadcnt_dscnt 0x800
	v_mul_f64_e32 v[145:146], v[141:142], v[16:17]
	v_mul_f64_e32 v[16:17], v[143:144], v[16:17]
	v_add_f64_e32 v[38:39], v[131:132], v[38:39]
	v_add_f64_e32 v[44:45], v[44:45], v[147:148]
	v_fma_f64 v[147:148], v[4:5], v[10:11], v[149:150]
	v_fma_f64 v[149:150], v[2:3], v[10:11], -v[12:13]
	ds_load_b128 v[2:5], v1 offset:1056
	scratch_load_b128 v[10:13], off, off offset:560
	v_fma_f64 v[143:144], v[143:144], v[14:15], v[145:146]
	v_fma_f64 v[141:142], v[141:142], v[14:15], -v[16:17]
	scratch_load_b128 v[14:17], off, off offset:576
	v_add_f64_e32 v[38:39], v[38:39], v[133:134]
	v_add_f64_e32 v[44:45], v[44:45], v[135:136]
	ds_load_b128 v[131:134], v1 offset:1072
	s_wait_loadcnt_dscnt 0x901
	v_mul_f64_e32 v[135:136], v[2:3], v[20:21]
	v_mul_f64_e32 v[20:21], v[4:5], v[20:21]
	s_wait_loadcnt_dscnt 0x800
	v_mul_f64_e32 v[145:146], v[131:132], v[24:25]
	v_mul_f64_e32 v[24:25], v[133:134], v[24:25]
	v_add_f64_e32 v[38:39], v[38:39], v[149:150]
	v_add_f64_e32 v[44:45], v[44:45], v[147:148]
	v_fma_f64 v[135:136], v[4:5], v[18:19], v[135:136]
	v_fma_f64 v[147:148], v[2:3], v[18:19], -v[20:21]
	ds_load_b128 v[2:5], v1 offset:1088
	scratch_load_b128 v[18:21], off, off offset:592
	v_fma_f64 v[133:134], v[133:134], v[22:23], v[145:146]
	v_fma_f64 v[131:132], v[131:132], v[22:23], -v[24:25]
	scratch_load_b128 v[22:25], off, off offset:608
	v_add_f64_e32 v[38:39], v[38:39], v[141:142]
	v_add_f64_e32 v[44:45], v[44:45], v[143:144]
	ds_load_b128 v[141:144], v1 offset:1104
	s_wait_loadcnt_dscnt 0x901
	v_mul_f64_e32 v[149:150], v[2:3], v[28:29]
	v_mul_f64_e32 v[28:29], v[4:5], v[28:29]
	v_add_f64_e32 v[38:39], v[38:39], v[147:148]
	v_add_f64_e32 v[44:45], v[44:45], v[135:136]
	s_wait_loadcnt_dscnt 0x800
	v_mul_f64_e32 v[135:136], v[141:142], v[32:33]
	v_mul_f64_e32 v[32:33], v[143:144], v[32:33]
	v_fma_f64 v[145:146], v[4:5], v[26:27], v[149:150]
	v_fma_f64 v[147:148], v[2:3], v[26:27], -v[28:29]
	ds_load_b128 v[2:5], v1 offset:1120
	scratch_load_b128 v[26:29], off, off offset:624
	v_add_f64_e32 v[38:39], v[38:39], v[131:132]
	v_add_f64_e32 v[44:45], v[44:45], v[133:134]
	ds_load_b128 v[131:134], v1 offset:1136
	s_wait_loadcnt_dscnt 0x801
	v_mul_f64_e32 v[149:150], v[2:3], v[36:37]
	v_mul_f64_e32 v[36:37], v[4:5], v[36:37]
	v_fma_f64 v[135:136], v[143:144], v[30:31], v[135:136]
	v_fma_f64 v[141:142], v[141:142], v[30:31], -v[32:33]
	scratch_load_b128 v[30:33], off, off offset:640
	s_wait_loadcnt_dscnt 0x800
	v_mul_f64_e32 v[143:144], v[131:132], v[42:43]
	v_add_f64_e32 v[38:39], v[38:39], v[147:148]
	v_add_f64_e32 v[44:45], v[44:45], v[145:146]
	v_mul_f64_e32 v[42:43], v[133:134], v[42:43]
	v_fma_f64 v[145:146], v[4:5], v[34:35], v[149:150]
	v_fma_f64 v[147:148], v[2:3], v[34:35], -v[36:37]
	ds_load_b128 v[2:5], v1 offset:1152
	ds_load_b128 v[34:37], v1 offset:1168
	v_fma_f64 v[133:134], v[133:134], v[40:41], v[143:144]
	v_add_f64_e32 v[38:39], v[38:39], v[141:142]
	v_add_f64_e32 v[44:45], v[44:45], v[135:136]
	v_fma_f64 v[40:41], v[131:132], v[40:41], -v[42:43]
	s_wait_loadcnt_dscnt 0x601
	v_mul_f64_e32 v[135:136], v[2:3], v[139:140]
	v_mul_f64_e32 v[139:140], v[4:5], v[139:140]
	v_add_f64_e32 v[38:39], v[38:39], v[147:148]
	v_add_f64_e32 v[42:43], v[44:45], v[145:146]
	s_wait_dscnt 0x0
	v_mul_f64_e32 v[44:45], v[34:35], v[8:9]
	v_mul_f64_e32 v[8:9], v[36:37], v[8:9]
	v_fma_f64 v[131:132], v[4:5], v[137:138], v[135:136]
	v_fma_f64 v[135:136], v[2:3], v[137:138], -v[139:140]
	v_add_f64_e32 v[137:138], v[38:39], v[40:41]
	v_add_f64_e32 v[42:43], v[42:43], v[133:134]
	ds_load_b128 v[2:5], v1 offset:1184
	ds_load_b128 v[38:41], v1 offset:1200
	v_fma_f64 v[36:37], v[36:37], v[6:7], v[44:45]
	v_fma_f64 v[6:7], v[34:35], v[6:7], -v[8:9]
	s_wait_loadcnt_dscnt 0x501
	v_mul_f64_e32 v[133:134], v[2:3], v[12:13]
	v_mul_f64_e32 v[12:13], v[4:5], v[12:13]
	v_add_f64_e32 v[8:9], v[137:138], v[135:136]
	v_add_f64_e32 v[34:35], v[42:43], v[131:132]
	s_wait_loadcnt_dscnt 0x400
	v_mul_f64_e32 v[42:43], v[38:39], v[16:17]
	v_mul_f64_e32 v[16:17], v[40:41], v[16:17]
	v_fma_f64 v[44:45], v[4:5], v[10:11], v[133:134]
	v_fma_f64 v[10:11], v[2:3], v[10:11], -v[12:13]
	v_add_f64_e32 v[12:13], v[8:9], v[6:7]
	v_add_f64_e32 v[34:35], v[34:35], v[36:37]
	ds_load_b128 v[2:5], v1 offset:1216
	ds_load_b128 v[6:9], v1 offset:1232
	v_fma_f64 v[40:41], v[40:41], v[14:15], v[42:43]
	v_fma_f64 v[14:15], v[38:39], v[14:15], -v[16:17]
	s_wait_loadcnt_dscnt 0x301
	v_mul_f64_e32 v[36:37], v[2:3], v[20:21]
	v_mul_f64_e32 v[20:21], v[4:5], v[20:21]
	s_wait_loadcnt_dscnt 0x200
	v_mul_f64_e32 v[16:17], v[6:7], v[24:25]
	v_mul_f64_e32 v[24:25], v[8:9], v[24:25]
	v_add_f64_e32 v[10:11], v[12:13], v[10:11]
	v_add_f64_e32 v[12:13], v[34:35], v[44:45]
	v_fma_f64 v[34:35], v[4:5], v[18:19], v[36:37]
	v_fma_f64 v[18:19], v[2:3], v[18:19], -v[20:21]
	v_fma_f64 v[8:9], v[8:9], v[22:23], v[16:17]
	v_fma_f64 v[6:7], v[6:7], v[22:23], -v[24:25]
	v_add_f64_e32 v[14:15], v[10:11], v[14:15]
	v_add_f64_e32 v[20:21], v[12:13], v[40:41]
	ds_load_b128 v[2:5], v1 offset:1248
	ds_load_b128 v[10:13], v1 offset:1264
	s_wait_loadcnt_dscnt 0x101
	v_mul_f64_e32 v[36:37], v[2:3], v[28:29]
	v_mul_f64_e32 v[28:29], v[4:5], v[28:29]
	v_add_f64_e32 v[14:15], v[14:15], v[18:19]
	v_add_f64_e32 v[16:17], v[20:21], v[34:35]
	s_wait_loadcnt_dscnt 0x0
	v_mul_f64_e32 v[18:19], v[10:11], v[32:33]
	v_mul_f64_e32 v[20:21], v[12:13], v[32:33]
	v_fma_f64 v[4:5], v[4:5], v[26:27], v[36:37]
	v_fma_f64 v[1:2], v[2:3], v[26:27], -v[28:29]
	v_add_f64_e32 v[6:7], v[14:15], v[6:7]
	v_add_f64_e32 v[8:9], v[16:17], v[8:9]
	v_fma_f64 v[12:13], v[12:13], v[30:31], v[18:19]
	v_fma_f64 v[10:11], v[10:11], v[30:31], -v[20:21]
	s_delay_alu instid0(VALU_DEP_4) | instskip(NEXT) | instid1(VALU_DEP_4)
	v_add_f64_e32 v[1:2], v[6:7], v[1:2]
	v_add_f64_e32 v[3:4], v[8:9], v[4:5]
	s_delay_alu instid0(VALU_DEP_2) | instskip(NEXT) | instid1(VALU_DEP_2)
	v_add_f64_e32 v[1:2], v[1:2], v[10:11]
	v_add_f64_e32 v[3:4], v[3:4], v[12:13]
	s_delay_alu instid0(VALU_DEP_2) | instskip(NEXT) | instid1(VALU_DEP_2)
	v_add_f64_e64 v[1:2], v[127:128], -v[1:2]
	v_add_f64_e64 v[3:4], v[129:130], -v[3:4]
	scratch_store_b128 off, v[1:4], off offset:192
	v_cmpx_lt_u32_e32 10, v0
	s_cbranch_execz .LBB39_233
; %bb.232:
	scratch_load_b128 v[1:4], off, s43
	v_mov_b32_e32 v5, 0
	s_delay_alu instid0(VALU_DEP_1)
	v_dual_mov_b32 v6, v5 :: v_dual_mov_b32 v7, v5
	v_mov_b32_e32 v8, v5
	scratch_store_b128 off, v[5:8], off offset:176
	s_wait_loadcnt 0x0
	ds_store_b128 v126, v[1:4]
.LBB39_233:
	s_wait_alu 0xfffe
	s_or_b32 exec_lo, exec_lo, s0
	s_wait_storecnt_dscnt 0x0
	s_barrier_signal -1
	s_barrier_wait -1
	global_inv scope:SCOPE_SE
	s_clause 0x7
	scratch_load_b128 v[2:5], off, off offset:192
	scratch_load_b128 v[6:9], off, off offset:208
	;; [unrolled: 1-line block ×8, first 2 shown]
	v_mov_b32_e32 v1, 0
	s_mov_b32 s0, exec_lo
	ds_load_b128 v[34:37], v1 offset:816
	s_clause 0x1
	scratch_load_b128 v[38:41], off, off offset:320
	scratch_load_b128 v[42:45], off, off offset:176
	ds_load_b128 v[127:130], v1 offset:832
	scratch_load_b128 v[131:134], off, off offset:336
	s_wait_loadcnt_dscnt 0xa01
	v_mul_f64_e32 v[135:136], v[36:37], v[4:5]
	v_mul_f64_e32 v[4:5], v[34:35], v[4:5]
	s_delay_alu instid0(VALU_DEP_2) | instskip(NEXT) | instid1(VALU_DEP_2)
	v_fma_f64 v[141:142], v[34:35], v[2:3], -v[135:136]
	v_fma_f64 v[143:144], v[36:37], v[2:3], v[4:5]
	ds_load_b128 v[2:5], v1 offset:848
	s_wait_loadcnt_dscnt 0x901
	v_mul_f64_e32 v[139:140], v[127:128], v[8:9]
	v_mul_f64_e32 v[8:9], v[129:130], v[8:9]
	scratch_load_b128 v[34:37], off, off offset:352
	ds_load_b128 v[135:138], v1 offset:864
	s_wait_loadcnt_dscnt 0x901
	v_mul_f64_e32 v[145:146], v[2:3], v[12:13]
	v_mul_f64_e32 v[12:13], v[4:5], v[12:13]
	v_fma_f64 v[129:130], v[129:130], v[6:7], v[139:140]
	v_fma_f64 v[127:128], v[127:128], v[6:7], -v[8:9]
	v_add_f64_e32 v[139:140], 0, v[141:142]
	v_add_f64_e32 v[141:142], 0, v[143:144]
	scratch_load_b128 v[6:9], off, off offset:368
	v_fma_f64 v[145:146], v[4:5], v[10:11], v[145:146]
	v_fma_f64 v[147:148], v[2:3], v[10:11], -v[12:13]
	ds_load_b128 v[2:5], v1 offset:880
	s_wait_loadcnt_dscnt 0x901
	v_mul_f64_e32 v[143:144], v[135:136], v[16:17]
	v_mul_f64_e32 v[16:17], v[137:138], v[16:17]
	scratch_load_b128 v[10:13], off, off offset:384
	v_add_f64_e32 v[139:140], v[139:140], v[127:128]
	v_add_f64_e32 v[141:142], v[141:142], v[129:130]
	s_wait_loadcnt_dscnt 0x900
	v_mul_f64_e32 v[149:150], v[2:3], v[20:21]
	v_mul_f64_e32 v[20:21], v[4:5], v[20:21]
	ds_load_b128 v[127:130], v1 offset:896
	v_fma_f64 v[137:138], v[137:138], v[14:15], v[143:144]
	v_fma_f64 v[135:136], v[135:136], v[14:15], -v[16:17]
	scratch_load_b128 v[14:17], off, off offset:400
	v_add_f64_e32 v[139:140], v[139:140], v[147:148]
	v_add_f64_e32 v[141:142], v[141:142], v[145:146]
	v_fma_f64 v[145:146], v[4:5], v[18:19], v[149:150]
	v_fma_f64 v[147:148], v[2:3], v[18:19], -v[20:21]
	ds_load_b128 v[2:5], v1 offset:912
	s_wait_loadcnt_dscnt 0x901
	v_mul_f64_e32 v[143:144], v[127:128], v[24:25]
	v_mul_f64_e32 v[24:25], v[129:130], v[24:25]
	scratch_load_b128 v[18:21], off, off offset:416
	s_wait_loadcnt_dscnt 0x900
	v_mul_f64_e32 v[149:150], v[2:3], v[28:29]
	v_mul_f64_e32 v[28:29], v[4:5], v[28:29]
	v_add_f64_e32 v[139:140], v[139:140], v[135:136]
	v_add_f64_e32 v[141:142], v[141:142], v[137:138]
	ds_load_b128 v[135:138], v1 offset:928
	v_fma_f64 v[129:130], v[129:130], v[22:23], v[143:144]
	v_fma_f64 v[127:128], v[127:128], v[22:23], -v[24:25]
	scratch_load_b128 v[22:25], off, off offset:432
	v_add_f64_e32 v[139:140], v[139:140], v[147:148]
	v_add_f64_e32 v[141:142], v[141:142], v[145:146]
	v_fma_f64 v[145:146], v[4:5], v[26:27], v[149:150]
	v_fma_f64 v[147:148], v[2:3], v[26:27], -v[28:29]
	ds_load_b128 v[2:5], v1 offset:944
	s_wait_loadcnt_dscnt 0x901
	v_mul_f64_e32 v[143:144], v[135:136], v[32:33]
	v_mul_f64_e32 v[32:33], v[137:138], v[32:33]
	scratch_load_b128 v[26:29], off, off offset:448
	s_wait_loadcnt_dscnt 0x900
	v_mul_f64_e32 v[149:150], v[2:3], v[40:41]
	v_mul_f64_e32 v[40:41], v[4:5], v[40:41]
	v_add_f64_e32 v[139:140], v[139:140], v[127:128]
	v_add_f64_e32 v[141:142], v[141:142], v[129:130]
	ds_load_b128 v[127:130], v1 offset:960
	v_fma_f64 v[137:138], v[137:138], v[30:31], v[143:144]
	v_fma_f64 v[135:136], v[135:136], v[30:31], -v[32:33]
	scratch_load_b128 v[30:33], off, off offset:464
	v_add_f64_e32 v[139:140], v[139:140], v[147:148]
	v_add_f64_e32 v[141:142], v[141:142], v[145:146]
	v_fma_f64 v[147:148], v[4:5], v[38:39], v[149:150]
	v_fma_f64 v[149:150], v[2:3], v[38:39], -v[40:41]
	ds_load_b128 v[2:5], v1 offset:976
	s_wait_loadcnt_dscnt 0x801
	v_mul_f64_e32 v[143:144], v[127:128], v[133:134]
	v_mul_f64_e32 v[145:146], v[129:130], v[133:134]
	scratch_load_b128 v[38:41], off, off offset:480
	v_add_f64_e32 v[139:140], v[139:140], v[135:136]
	v_add_f64_e32 v[137:138], v[141:142], v[137:138]
	ds_load_b128 v[133:136], v1 offset:992
	v_fma_f64 v[143:144], v[129:130], v[131:132], v[143:144]
	v_fma_f64 v[131:132], v[127:128], v[131:132], -v[145:146]
	scratch_load_b128 v[127:130], off, off offset:496
	s_wait_loadcnt_dscnt 0x901
	v_mul_f64_e32 v[141:142], v[2:3], v[36:37]
	v_mul_f64_e32 v[36:37], v[4:5], v[36:37]
	v_add_f64_e32 v[139:140], v[139:140], v[149:150]
	v_add_f64_e32 v[137:138], v[137:138], v[147:148]
	s_delay_alu instid0(VALU_DEP_4) | instskip(NEXT) | instid1(VALU_DEP_4)
	v_fma_f64 v[141:142], v[4:5], v[34:35], v[141:142]
	v_fma_f64 v[147:148], v[2:3], v[34:35], -v[36:37]
	ds_load_b128 v[2:5], v1 offset:1008
	s_wait_loadcnt_dscnt 0x801
	v_mul_f64_e32 v[145:146], v[133:134], v[8:9]
	v_mul_f64_e32 v[8:9], v[135:136], v[8:9]
	scratch_load_b128 v[34:37], off, off offset:512
	s_wait_loadcnt_dscnt 0x800
	v_mul_f64_e32 v[149:150], v[2:3], v[12:13]
	v_add_f64_e32 v[131:132], v[139:140], v[131:132]
	v_add_f64_e32 v[143:144], v[137:138], v[143:144]
	v_mul_f64_e32 v[12:13], v[4:5], v[12:13]
	ds_load_b128 v[137:140], v1 offset:1024
	v_fma_f64 v[135:136], v[135:136], v[6:7], v[145:146]
	v_fma_f64 v[133:134], v[133:134], v[6:7], -v[8:9]
	scratch_load_b128 v[6:9], off, off offset:528
	v_fma_f64 v[145:146], v[4:5], v[10:11], v[149:150]
	v_add_f64_e32 v[131:132], v[131:132], v[147:148]
	v_add_f64_e32 v[141:142], v[143:144], v[141:142]
	v_fma_f64 v[147:148], v[2:3], v[10:11], -v[12:13]
	ds_load_b128 v[2:5], v1 offset:1040
	s_wait_loadcnt_dscnt 0x801
	v_mul_f64_e32 v[143:144], v[137:138], v[16:17]
	v_mul_f64_e32 v[16:17], v[139:140], v[16:17]
	scratch_load_b128 v[10:13], off, off offset:544
	v_add_f64_e32 v[149:150], v[131:132], v[133:134]
	v_add_f64_e32 v[135:136], v[141:142], v[135:136]
	s_wait_loadcnt_dscnt 0x800
	v_mul_f64_e32 v[141:142], v[2:3], v[20:21]
	v_mul_f64_e32 v[20:21], v[4:5], v[20:21]
	v_fma_f64 v[139:140], v[139:140], v[14:15], v[143:144]
	v_fma_f64 v[137:138], v[137:138], v[14:15], -v[16:17]
	ds_load_b128 v[131:134], v1 offset:1056
	scratch_load_b128 v[14:17], off, off offset:560
	v_add_f64_e32 v[143:144], v[149:150], v[147:148]
	v_add_f64_e32 v[135:136], v[135:136], v[145:146]
	v_fma_f64 v[141:142], v[4:5], v[18:19], v[141:142]
	v_fma_f64 v[147:148], v[2:3], v[18:19], -v[20:21]
	ds_load_b128 v[2:5], v1 offset:1072
	s_wait_loadcnt_dscnt 0x801
	v_mul_f64_e32 v[145:146], v[131:132], v[24:25]
	v_mul_f64_e32 v[24:25], v[133:134], v[24:25]
	scratch_load_b128 v[18:21], off, off offset:576
	s_wait_loadcnt_dscnt 0x800
	v_mul_f64_e32 v[149:150], v[2:3], v[28:29]
	v_mul_f64_e32 v[28:29], v[4:5], v[28:29]
	v_add_f64_e32 v[143:144], v[143:144], v[137:138]
	v_add_f64_e32 v[139:140], v[135:136], v[139:140]
	ds_load_b128 v[135:138], v1 offset:1088
	v_fma_f64 v[133:134], v[133:134], v[22:23], v[145:146]
	v_fma_f64 v[131:132], v[131:132], v[22:23], -v[24:25]
	scratch_load_b128 v[22:25], off, off offset:592
	v_fma_f64 v[145:146], v[4:5], v[26:27], v[149:150]
	v_add_f64_e32 v[143:144], v[143:144], v[147:148]
	v_add_f64_e32 v[139:140], v[139:140], v[141:142]
	v_fma_f64 v[147:148], v[2:3], v[26:27], -v[28:29]
	ds_load_b128 v[2:5], v1 offset:1104
	s_wait_loadcnt_dscnt 0x801
	v_mul_f64_e32 v[141:142], v[135:136], v[32:33]
	v_mul_f64_e32 v[32:33], v[137:138], v[32:33]
	scratch_load_b128 v[26:29], off, off offset:608
	s_wait_loadcnt_dscnt 0x800
	v_mul_f64_e32 v[149:150], v[2:3], v[40:41]
	v_mul_f64_e32 v[40:41], v[4:5], v[40:41]
	v_add_f64_e32 v[143:144], v[143:144], v[131:132]
	v_add_f64_e32 v[139:140], v[139:140], v[133:134]
	ds_load_b128 v[131:134], v1 offset:1120
	v_fma_f64 v[137:138], v[137:138], v[30:31], v[141:142]
	v_fma_f64 v[135:136], v[135:136], v[30:31], -v[32:33]
	scratch_load_b128 v[30:33], off, off offset:624
	v_add_f64_e32 v[141:142], v[143:144], v[147:148]
	v_add_f64_e32 v[139:140], v[139:140], v[145:146]
	v_fma_f64 v[145:146], v[4:5], v[38:39], v[149:150]
	v_fma_f64 v[147:148], v[2:3], v[38:39], -v[40:41]
	ds_load_b128 v[2:5], v1 offset:1136
	s_wait_loadcnt_dscnt 0x801
	v_mul_f64_e32 v[143:144], v[131:132], v[129:130]
	v_mul_f64_e32 v[129:130], v[133:134], v[129:130]
	scratch_load_b128 v[38:41], off, off offset:640
	s_wait_loadcnt_dscnt 0x800
	v_mul_f64_e32 v[149:150], v[2:3], v[36:37]
	v_mul_f64_e32 v[36:37], v[4:5], v[36:37]
	v_add_f64_e32 v[141:142], v[141:142], v[135:136]
	v_add_f64_e32 v[139:140], v[139:140], v[137:138]
	ds_load_b128 v[135:138], v1 offset:1152
	v_fma_f64 v[133:134], v[133:134], v[127:128], v[143:144]
	v_fma_f64 v[127:128], v[131:132], v[127:128], -v[129:130]
	v_fma_f64 v[143:144], v[2:3], v[34:35], -v[36:37]
	v_add_f64_e32 v[129:130], v[141:142], v[147:148]
	v_add_f64_e32 v[131:132], v[139:140], v[145:146]
	s_wait_loadcnt_dscnt 0x700
	v_mul_f64_e32 v[139:140], v[135:136], v[8:9]
	v_mul_f64_e32 v[8:9], v[137:138], v[8:9]
	v_fma_f64 v[141:142], v[4:5], v[34:35], v[149:150]
	ds_load_b128 v[2:5], v1 offset:1168
	ds_load_b128 v[34:37], v1 offset:1184
	v_add_f64_e32 v[127:128], v[129:130], v[127:128]
	v_add_f64_e32 v[129:130], v[131:132], v[133:134]
	s_wait_loadcnt_dscnt 0x601
	v_mul_f64_e32 v[131:132], v[2:3], v[12:13]
	v_mul_f64_e32 v[12:13], v[4:5], v[12:13]
	v_fma_f64 v[133:134], v[137:138], v[6:7], v[139:140]
	v_fma_f64 v[6:7], v[135:136], v[6:7], -v[8:9]
	v_add_f64_e32 v[8:9], v[127:128], v[143:144]
	v_add_f64_e32 v[127:128], v[129:130], v[141:142]
	s_wait_loadcnt_dscnt 0x500
	v_mul_f64_e32 v[129:130], v[34:35], v[16:17]
	v_mul_f64_e32 v[16:17], v[36:37], v[16:17]
	v_fma_f64 v[131:132], v[4:5], v[10:11], v[131:132]
	v_fma_f64 v[10:11], v[2:3], v[10:11], -v[12:13]
	v_add_f64_e32 v[12:13], v[8:9], v[6:7]
	v_add_f64_e32 v[127:128], v[127:128], v[133:134]
	ds_load_b128 v[2:5], v1 offset:1200
	ds_load_b128 v[6:9], v1 offset:1216
	v_fma_f64 v[36:37], v[36:37], v[14:15], v[129:130]
	v_fma_f64 v[14:15], v[34:35], v[14:15], -v[16:17]
	s_wait_loadcnt_dscnt 0x401
	v_mul_f64_e32 v[133:134], v[2:3], v[20:21]
	v_mul_f64_e32 v[20:21], v[4:5], v[20:21]
	s_wait_loadcnt_dscnt 0x300
	v_mul_f64_e32 v[16:17], v[6:7], v[24:25]
	v_mul_f64_e32 v[24:25], v[8:9], v[24:25]
	v_add_f64_e32 v[10:11], v[12:13], v[10:11]
	v_add_f64_e32 v[12:13], v[127:128], v[131:132]
	v_fma_f64 v[34:35], v[4:5], v[18:19], v[133:134]
	v_fma_f64 v[18:19], v[2:3], v[18:19], -v[20:21]
	v_fma_f64 v[8:9], v[8:9], v[22:23], v[16:17]
	v_fma_f64 v[6:7], v[6:7], v[22:23], -v[24:25]
	v_add_f64_e32 v[14:15], v[10:11], v[14:15]
	v_add_f64_e32 v[20:21], v[12:13], v[36:37]
	ds_load_b128 v[2:5], v1 offset:1232
	ds_load_b128 v[10:13], v1 offset:1248
	s_wait_loadcnt_dscnt 0x201
	v_mul_f64_e32 v[36:37], v[2:3], v[28:29]
	v_mul_f64_e32 v[28:29], v[4:5], v[28:29]
	v_add_f64_e32 v[14:15], v[14:15], v[18:19]
	v_add_f64_e32 v[16:17], v[20:21], v[34:35]
	s_wait_loadcnt_dscnt 0x100
	v_mul_f64_e32 v[18:19], v[10:11], v[32:33]
	v_mul_f64_e32 v[20:21], v[12:13], v[32:33]
	v_fma_f64 v[22:23], v[4:5], v[26:27], v[36:37]
	v_fma_f64 v[24:25], v[2:3], v[26:27], -v[28:29]
	ds_load_b128 v[2:5], v1 offset:1264
	v_add_f64_e32 v[6:7], v[14:15], v[6:7]
	v_add_f64_e32 v[8:9], v[16:17], v[8:9]
	v_fma_f64 v[12:13], v[12:13], v[30:31], v[18:19]
	v_fma_f64 v[10:11], v[10:11], v[30:31], -v[20:21]
	s_wait_loadcnt_dscnt 0x0
	v_mul_f64_e32 v[14:15], v[2:3], v[40:41]
	v_mul_f64_e32 v[16:17], v[4:5], v[40:41]
	v_add_f64_e32 v[6:7], v[6:7], v[24:25]
	v_add_f64_e32 v[8:9], v[8:9], v[22:23]
	s_delay_alu instid0(VALU_DEP_4) | instskip(NEXT) | instid1(VALU_DEP_4)
	v_fma_f64 v[4:5], v[4:5], v[38:39], v[14:15]
	v_fma_f64 v[2:3], v[2:3], v[38:39], -v[16:17]
	s_delay_alu instid0(VALU_DEP_4) | instskip(NEXT) | instid1(VALU_DEP_4)
	v_add_f64_e32 v[6:7], v[6:7], v[10:11]
	v_add_f64_e32 v[8:9], v[8:9], v[12:13]
	s_delay_alu instid0(VALU_DEP_2) | instskip(NEXT) | instid1(VALU_DEP_2)
	v_add_f64_e32 v[2:3], v[6:7], v[2:3]
	v_add_f64_e32 v[4:5], v[8:9], v[4:5]
	s_delay_alu instid0(VALU_DEP_2) | instskip(NEXT) | instid1(VALU_DEP_2)
	v_add_f64_e64 v[2:3], v[42:43], -v[2:3]
	v_add_f64_e64 v[4:5], v[44:45], -v[4:5]
	scratch_store_b128 off, v[2:5], off offset:176
	v_cmpx_lt_u32_e32 9, v0
	s_cbranch_execz .LBB39_235
; %bb.234:
	scratch_load_b128 v[5:8], off, s44
	v_dual_mov_b32 v2, v1 :: v_dual_mov_b32 v3, v1
	v_mov_b32_e32 v4, v1
	scratch_store_b128 off, v[1:4], off offset:160
	s_wait_loadcnt 0x0
	ds_store_b128 v126, v[5:8]
.LBB39_235:
	s_wait_alu 0xfffe
	s_or_b32 exec_lo, exec_lo, s0
	s_wait_storecnt_dscnt 0x0
	s_barrier_signal -1
	s_barrier_wait -1
	global_inv scope:SCOPE_SE
	s_clause 0x8
	scratch_load_b128 v[2:5], off, off offset:176
	scratch_load_b128 v[6:9], off, off offset:192
	;; [unrolled: 1-line block ×9, first 2 shown]
	ds_load_b128 v[38:41], v1 offset:800
	ds_load_b128 v[42:45], v1 offset:816
	s_clause 0x1
	scratch_load_b128 v[127:130], off, off offset:160
	scratch_load_b128 v[131:134], off, off offset:320
	s_mov_b32 s0, exec_lo
	s_wait_loadcnt_dscnt 0xa01
	v_mul_f64_e32 v[135:136], v[40:41], v[4:5]
	v_mul_f64_e32 v[4:5], v[38:39], v[4:5]
	s_wait_loadcnt_dscnt 0x900
	v_mul_f64_e32 v[139:140], v[42:43], v[8:9]
	v_mul_f64_e32 v[8:9], v[44:45], v[8:9]
	s_delay_alu instid0(VALU_DEP_4) | instskip(NEXT) | instid1(VALU_DEP_4)
	v_fma_f64 v[141:142], v[38:39], v[2:3], -v[135:136]
	v_fma_f64 v[143:144], v[40:41], v[2:3], v[4:5]
	ds_load_b128 v[2:5], v1 offset:832
	ds_load_b128 v[135:138], v1 offset:848
	scratch_load_b128 v[38:41], off, off offset:336
	v_fma_f64 v[44:45], v[44:45], v[6:7], v[139:140]
	v_fma_f64 v[42:43], v[42:43], v[6:7], -v[8:9]
	scratch_load_b128 v[6:9], off, off offset:352
	s_wait_loadcnt_dscnt 0xa01
	v_mul_f64_e32 v[145:146], v[2:3], v[12:13]
	v_mul_f64_e32 v[12:13], v[4:5], v[12:13]
	v_add_f64_e32 v[139:140], 0, v[141:142]
	v_add_f64_e32 v[141:142], 0, v[143:144]
	s_wait_loadcnt_dscnt 0x900
	v_mul_f64_e32 v[143:144], v[135:136], v[16:17]
	v_mul_f64_e32 v[16:17], v[137:138], v[16:17]
	v_fma_f64 v[145:146], v[4:5], v[10:11], v[145:146]
	v_fma_f64 v[147:148], v[2:3], v[10:11], -v[12:13]
	ds_load_b128 v[2:5], v1 offset:864
	scratch_load_b128 v[10:13], off, off offset:368
	v_add_f64_e32 v[139:140], v[139:140], v[42:43]
	v_add_f64_e32 v[141:142], v[141:142], v[44:45]
	ds_load_b128 v[42:45], v1 offset:880
	v_fma_f64 v[137:138], v[137:138], v[14:15], v[143:144]
	v_fma_f64 v[135:136], v[135:136], v[14:15], -v[16:17]
	scratch_load_b128 v[14:17], off, off offset:384
	s_wait_loadcnt_dscnt 0xa01
	v_mul_f64_e32 v[149:150], v[2:3], v[20:21]
	v_mul_f64_e32 v[20:21], v[4:5], v[20:21]
	s_wait_loadcnt_dscnt 0x900
	v_mul_f64_e32 v[143:144], v[42:43], v[24:25]
	v_mul_f64_e32 v[24:25], v[44:45], v[24:25]
	v_add_f64_e32 v[139:140], v[139:140], v[147:148]
	v_add_f64_e32 v[141:142], v[141:142], v[145:146]
	v_fma_f64 v[145:146], v[4:5], v[18:19], v[149:150]
	v_fma_f64 v[147:148], v[2:3], v[18:19], -v[20:21]
	ds_load_b128 v[2:5], v1 offset:896
	scratch_load_b128 v[18:21], off, off offset:400
	v_fma_f64 v[44:45], v[44:45], v[22:23], v[143:144]
	v_fma_f64 v[42:43], v[42:43], v[22:23], -v[24:25]
	scratch_load_b128 v[22:25], off, off offset:416
	v_add_f64_e32 v[139:140], v[139:140], v[135:136]
	v_add_f64_e32 v[141:142], v[141:142], v[137:138]
	ds_load_b128 v[135:138], v1 offset:912
	s_wait_loadcnt_dscnt 0xa01
	v_mul_f64_e32 v[149:150], v[2:3], v[28:29]
	v_mul_f64_e32 v[28:29], v[4:5], v[28:29]
	s_wait_loadcnt_dscnt 0x900
	v_mul_f64_e32 v[143:144], v[135:136], v[32:33]
	v_mul_f64_e32 v[32:33], v[137:138], v[32:33]
	v_add_f64_e32 v[139:140], v[139:140], v[147:148]
	v_add_f64_e32 v[141:142], v[141:142], v[145:146]
	v_fma_f64 v[145:146], v[4:5], v[26:27], v[149:150]
	v_fma_f64 v[147:148], v[2:3], v[26:27], -v[28:29]
	ds_load_b128 v[2:5], v1 offset:928
	scratch_load_b128 v[26:29], off, off offset:432
	v_fma_f64 v[137:138], v[137:138], v[30:31], v[143:144]
	v_fma_f64 v[135:136], v[135:136], v[30:31], -v[32:33]
	scratch_load_b128 v[30:33], off, off offset:448
	v_add_f64_e32 v[139:140], v[139:140], v[42:43]
	v_add_f64_e32 v[141:142], v[141:142], v[44:45]
	ds_load_b128 v[42:45], v1 offset:944
	s_wait_loadcnt_dscnt 0xa01
	v_mul_f64_e32 v[149:150], v[2:3], v[36:37]
	v_mul_f64_e32 v[36:37], v[4:5], v[36:37]
	s_wait_loadcnt_dscnt 0x800
	v_mul_f64_e32 v[143:144], v[42:43], v[133:134]
	v_add_f64_e32 v[139:140], v[139:140], v[147:148]
	v_add_f64_e32 v[141:142], v[141:142], v[145:146]
	v_mul_f64_e32 v[145:146], v[44:45], v[133:134]
	v_fma_f64 v[147:148], v[4:5], v[34:35], v[149:150]
	v_fma_f64 v[149:150], v[2:3], v[34:35], -v[36:37]
	ds_load_b128 v[2:5], v1 offset:960
	scratch_load_b128 v[34:37], off, off offset:464
	v_fma_f64 v[44:45], v[44:45], v[131:132], v[143:144]
	v_add_f64_e32 v[139:140], v[139:140], v[135:136]
	v_add_f64_e32 v[137:138], v[141:142], v[137:138]
	ds_load_b128 v[133:136], v1 offset:976
	v_fma_f64 v[131:132], v[42:43], v[131:132], -v[145:146]
	s_wait_loadcnt_dscnt 0x801
	v_mul_f64_e32 v[141:142], v[2:3], v[40:41]
	v_mul_f64_e32 v[151:152], v[4:5], v[40:41]
	scratch_load_b128 v[40:43], off, off offset:480
	s_wait_loadcnt_dscnt 0x800
	v_mul_f64_e32 v[145:146], v[133:134], v[8:9]
	v_mul_f64_e32 v[8:9], v[135:136], v[8:9]
	v_add_f64_e32 v[139:140], v[139:140], v[149:150]
	v_add_f64_e32 v[137:138], v[137:138], v[147:148]
	v_fma_f64 v[147:148], v[4:5], v[38:39], v[141:142]
	v_fma_f64 v[38:39], v[2:3], v[38:39], -v[151:152]
	ds_load_b128 v[2:5], v1 offset:992
	ds_load_b128 v[141:144], v1 offset:1008
	v_fma_f64 v[135:136], v[135:136], v[6:7], v[145:146]
	v_fma_f64 v[133:134], v[133:134], v[6:7], -v[8:9]
	scratch_load_b128 v[6:9], off, off offset:512
	v_add_f64_e32 v[131:132], v[139:140], v[131:132]
	v_add_f64_e32 v[44:45], v[137:138], v[44:45]
	scratch_load_b128 v[137:140], off, off offset:496
	s_wait_loadcnt_dscnt 0x901
	v_mul_f64_e32 v[149:150], v[2:3], v[12:13]
	v_mul_f64_e32 v[12:13], v[4:5], v[12:13]
	s_wait_loadcnt_dscnt 0x800
	v_mul_f64_e32 v[145:146], v[141:142], v[16:17]
	v_mul_f64_e32 v[16:17], v[143:144], v[16:17]
	v_add_f64_e32 v[38:39], v[131:132], v[38:39]
	v_add_f64_e32 v[44:45], v[44:45], v[147:148]
	v_fma_f64 v[147:148], v[4:5], v[10:11], v[149:150]
	v_fma_f64 v[149:150], v[2:3], v[10:11], -v[12:13]
	ds_load_b128 v[2:5], v1 offset:1024
	scratch_load_b128 v[10:13], off, off offset:528
	v_fma_f64 v[143:144], v[143:144], v[14:15], v[145:146]
	v_fma_f64 v[141:142], v[141:142], v[14:15], -v[16:17]
	scratch_load_b128 v[14:17], off, off offset:544
	v_add_f64_e32 v[38:39], v[38:39], v[133:134]
	v_add_f64_e32 v[44:45], v[44:45], v[135:136]
	ds_load_b128 v[131:134], v1 offset:1040
	s_wait_loadcnt_dscnt 0x901
	v_mul_f64_e32 v[135:136], v[2:3], v[20:21]
	v_mul_f64_e32 v[20:21], v[4:5], v[20:21]
	s_wait_loadcnt_dscnt 0x800
	v_mul_f64_e32 v[145:146], v[131:132], v[24:25]
	v_mul_f64_e32 v[24:25], v[133:134], v[24:25]
	v_add_f64_e32 v[38:39], v[38:39], v[149:150]
	v_add_f64_e32 v[44:45], v[44:45], v[147:148]
	v_fma_f64 v[135:136], v[4:5], v[18:19], v[135:136]
	v_fma_f64 v[147:148], v[2:3], v[18:19], -v[20:21]
	ds_load_b128 v[2:5], v1 offset:1056
	scratch_load_b128 v[18:21], off, off offset:560
	v_fma_f64 v[133:134], v[133:134], v[22:23], v[145:146]
	v_fma_f64 v[131:132], v[131:132], v[22:23], -v[24:25]
	scratch_load_b128 v[22:25], off, off offset:576
	v_add_f64_e32 v[38:39], v[38:39], v[141:142]
	v_add_f64_e32 v[44:45], v[44:45], v[143:144]
	ds_load_b128 v[141:144], v1 offset:1072
	s_wait_loadcnt_dscnt 0x901
	v_mul_f64_e32 v[149:150], v[2:3], v[28:29]
	v_mul_f64_e32 v[28:29], v[4:5], v[28:29]
	v_add_f64_e32 v[38:39], v[38:39], v[147:148]
	v_add_f64_e32 v[44:45], v[44:45], v[135:136]
	s_wait_loadcnt_dscnt 0x800
	v_mul_f64_e32 v[135:136], v[141:142], v[32:33]
	v_mul_f64_e32 v[32:33], v[143:144], v[32:33]
	v_fma_f64 v[145:146], v[4:5], v[26:27], v[149:150]
	v_fma_f64 v[147:148], v[2:3], v[26:27], -v[28:29]
	ds_load_b128 v[2:5], v1 offset:1088
	scratch_load_b128 v[26:29], off, off offset:592
	v_add_f64_e32 v[38:39], v[38:39], v[131:132]
	v_add_f64_e32 v[44:45], v[44:45], v[133:134]
	ds_load_b128 v[131:134], v1 offset:1104
	s_wait_loadcnt_dscnt 0x801
	v_mul_f64_e32 v[149:150], v[2:3], v[36:37]
	v_mul_f64_e32 v[36:37], v[4:5], v[36:37]
	v_fma_f64 v[135:136], v[143:144], v[30:31], v[135:136]
	v_fma_f64 v[141:142], v[141:142], v[30:31], -v[32:33]
	scratch_load_b128 v[30:33], off, off offset:608
	s_wait_loadcnt_dscnt 0x800
	v_mul_f64_e32 v[143:144], v[131:132], v[42:43]
	v_add_f64_e32 v[38:39], v[38:39], v[147:148]
	v_add_f64_e32 v[44:45], v[44:45], v[145:146]
	v_mul_f64_e32 v[145:146], v[133:134], v[42:43]
	v_fma_f64 v[147:148], v[4:5], v[34:35], v[149:150]
	v_fma_f64 v[149:150], v[2:3], v[34:35], -v[36:37]
	ds_load_b128 v[2:5], v1 offset:1120
	scratch_load_b128 v[34:37], off, off offset:624
	v_fma_f64 v[133:134], v[133:134], v[40:41], v[143:144]
	v_add_f64_e32 v[38:39], v[38:39], v[141:142]
	v_add_f64_e32 v[135:136], v[44:45], v[135:136]
	ds_load_b128 v[42:45], v1 offset:1136
	v_fma_f64 v[131:132], v[131:132], v[40:41], -v[145:146]
	s_wait_loadcnt_dscnt 0x701
	v_mul_f64_e32 v[141:142], v[2:3], v[139:140]
	v_mul_f64_e32 v[139:140], v[4:5], v[139:140]
	s_wait_dscnt 0x0
	v_mul_f64_e32 v[145:146], v[42:43], v[8:9]
	v_mul_f64_e32 v[8:9], v[44:45], v[8:9]
	v_add_f64_e32 v[143:144], v[38:39], v[149:150]
	v_add_f64_e32 v[135:136], v[135:136], v[147:148]
	scratch_load_b128 v[38:41], off, off offset:640
	v_fma_f64 v[141:142], v[4:5], v[137:138], v[141:142]
	v_fma_f64 v[137:138], v[2:3], v[137:138], -v[139:140]
	v_fma_f64 v[44:45], v[44:45], v[6:7], v[145:146]
	v_fma_f64 v[6:7], v[42:43], v[6:7], -v[8:9]
	v_add_f64_e32 v[139:140], v[143:144], v[131:132]
	v_add_f64_e32 v[135:136], v[135:136], v[133:134]
	ds_load_b128 v[2:5], v1 offset:1152
	ds_load_b128 v[131:134], v1 offset:1168
	s_wait_loadcnt_dscnt 0x701
	v_mul_f64_e32 v[143:144], v[2:3], v[12:13]
	v_mul_f64_e32 v[12:13], v[4:5], v[12:13]
	v_add_f64_e32 v[8:9], v[139:140], v[137:138]
	v_add_f64_e32 v[42:43], v[135:136], v[141:142]
	s_wait_loadcnt_dscnt 0x600
	v_mul_f64_e32 v[135:136], v[131:132], v[16:17]
	v_mul_f64_e32 v[16:17], v[133:134], v[16:17]
	v_fma_f64 v[137:138], v[4:5], v[10:11], v[143:144]
	v_fma_f64 v[10:11], v[2:3], v[10:11], -v[12:13]
	v_add_f64_e32 v[12:13], v[8:9], v[6:7]
	v_add_f64_e32 v[42:43], v[42:43], v[44:45]
	ds_load_b128 v[2:5], v1 offset:1184
	ds_load_b128 v[6:9], v1 offset:1200
	v_fma_f64 v[133:134], v[133:134], v[14:15], v[135:136]
	v_fma_f64 v[14:15], v[131:132], v[14:15], -v[16:17]
	s_wait_loadcnt_dscnt 0x501
	v_mul_f64_e32 v[44:45], v[2:3], v[20:21]
	v_mul_f64_e32 v[20:21], v[4:5], v[20:21]
	s_wait_loadcnt_dscnt 0x400
	v_mul_f64_e32 v[16:17], v[6:7], v[24:25]
	v_mul_f64_e32 v[24:25], v[8:9], v[24:25]
	v_add_f64_e32 v[10:11], v[12:13], v[10:11]
	v_add_f64_e32 v[12:13], v[42:43], v[137:138]
	v_fma_f64 v[42:43], v[4:5], v[18:19], v[44:45]
	v_fma_f64 v[18:19], v[2:3], v[18:19], -v[20:21]
	v_fma_f64 v[8:9], v[8:9], v[22:23], v[16:17]
	v_fma_f64 v[6:7], v[6:7], v[22:23], -v[24:25]
	v_add_f64_e32 v[14:15], v[10:11], v[14:15]
	v_add_f64_e32 v[20:21], v[12:13], v[133:134]
	ds_load_b128 v[2:5], v1 offset:1216
	ds_load_b128 v[10:13], v1 offset:1232
	s_wait_loadcnt_dscnt 0x301
	v_mul_f64_e32 v[44:45], v[2:3], v[28:29]
	v_mul_f64_e32 v[28:29], v[4:5], v[28:29]
	v_add_f64_e32 v[14:15], v[14:15], v[18:19]
	v_add_f64_e32 v[16:17], v[20:21], v[42:43]
	s_wait_loadcnt_dscnt 0x200
	v_mul_f64_e32 v[18:19], v[10:11], v[32:33]
	v_mul_f64_e32 v[20:21], v[12:13], v[32:33]
	v_fma_f64 v[22:23], v[4:5], v[26:27], v[44:45]
	v_fma_f64 v[24:25], v[2:3], v[26:27], -v[28:29]
	v_add_f64_e32 v[14:15], v[14:15], v[6:7]
	v_add_f64_e32 v[16:17], v[16:17], v[8:9]
	ds_load_b128 v[2:5], v1 offset:1248
	ds_load_b128 v[6:9], v1 offset:1264
	v_fma_f64 v[12:13], v[12:13], v[30:31], v[18:19]
	v_fma_f64 v[10:11], v[10:11], v[30:31], -v[20:21]
	s_wait_loadcnt_dscnt 0x101
	v_mul_f64_e32 v[26:27], v[2:3], v[36:37]
	v_mul_f64_e32 v[28:29], v[4:5], v[36:37]
	v_add_f64_e32 v[14:15], v[14:15], v[24:25]
	v_add_f64_e32 v[16:17], v[16:17], v[22:23]
	s_wait_loadcnt_dscnt 0x0
	v_mul_f64_e32 v[18:19], v[6:7], v[40:41]
	v_mul_f64_e32 v[20:21], v[8:9], v[40:41]
	v_fma_f64 v[4:5], v[4:5], v[34:35], v[26:27]
	v_fma_f64 v[1:2], v[2:3], v[34:35], -v[28:29]
	v_add_f64_e32 v[10:11], v[14:15], v[10:11]
	v_add_f64_e32 v[12:13], v[16:17], v[12:13]
	v_fma_f64 v[8:9], v[8:9], v[38:39], v[18:19]
	v_fma_f64 v[6:7], v[6:7], v[38:39], -v[20:21]
	s_delay_alu instid0(VALU_DEP_4) | instskip(NEXT) | instid1(VALU_DEP_4)
	v_add_f64_e32 v[1:2], v[10:11], v[1:2]
	v_add_f64_e32 v[3:4], v[12:13], v[4:5]
	s_delay_alu instid0(VALU_DEP_2) | instskip(NEXT) | instid1(VALU_DEP_2)
	v_add_f64_e32 v[1:2], v[1:2], v[6:7]
	v_add_f64_e32 v[3:4], v[3:4], v[8:9]
	s_delay_alu instid0(VALU_DEP_2) | instskip(NEXT) | instid1(VALU_DEP_2)
	v_add_f64_e64 v[1:2], v[127:128], -v[1:2]
	v_add_f64_e64 v[3:4], v[129:130], -v[3:4]
	scratch_store_b128 off, v[1:4], off offset:160
	v_cmpx_lt_u32_e32 8, v0
	s_cbranch_execz .LBB39_237
; %bb.236:
	scratch_load_b128 v[1:4], off, s45
	v_mov_b32_e32 v5, 0
	s_delay_alu instid0(VALU_DEP_1)
	v_dual_mov_b32 v6, v5 :: v_dual_mov_b32 v7, v5
	v_mov_b32_e32 v8, v5
	scratch_store_b128 off, v[5:8], off offset:144
	s_wait_loadcnt 0x0
	ds_store_b128 v126, v[1:4]
.LBB39_237:
	s_wait_alu 0xfffe
	s_or_b32 exec_lo, exec_lo, s0
	s_wait_storecnt_dscnt 0x0
	s_barrier_signal -1
	s_barrier_wait -1
	global_inv scope:SCOPE_SE
	s_clause 0x7
	scratch_load_b128 v[2:5], off, off offset:160
	scratch_load_b128 v[6:9], off, off offset:176
	;; [unrolled: 1-line block ×8, first 2 shown]
	v_mov_b32_e32 v1, 0
	s_mov_b32 s0, exec_lo
	ds_load_b128 v[34:37], v1 offset:784
	s_clause 0x1
	scratch_load_b128 v[38:41], off, off offset:288
	scratch_load_b128 v[42:45], off, off offset:144
	ds_load_b128 v[127:130], v1 offset:800
	scratch_load_b128 v[131:134], off, off offset:304
	s_wait_loadcnt_dscnt 0xa01
	v_mul_f64_e32 v[135:136], v[36:37], v[4:5]
	v_mul_f64_e32 v[4:5], v[34:35], v[4:5]
	s_delay_alu instid0(VALU_DEP_2) | instskip(NEXT) | instid1(VALU_DEP_2)
	v_fma_f64 v[141:142], v[34:35], v[2:3], -v[135:136]
	v_fma_f64 v[143:144], v[36:37], v[2:3], v[4:5]
	ds_load_b128 v[2:5], v1 offset:816
	s_wait_loadcnt_dscnt 0x901
	v_mul_f64_e32 v[139:140], v[127:128], v[8:9]
	v_mul_f64_e32 v[8:9], v[129:130], v[8:9]
	scratch_load_b128 v[34:37], off, off offset:320
	ds_load_b128 v[135:138], v1 offset:832
	s_wait_loadcnt_dscnt 0x901
	v_mul_f64_e32 v[145:146], v[2:3], v[12:13]
	v_mul_f64_e32 v[12:13], v[4:5], v[12:13]
	v_fma_f64 v[129:130], v[129:130], v[6:7], v[139:140]
	v_fma_f64 v[127:128], v[127:128], v[6:7], -v[8:9]
	v_add_f64_e32 v[139:140], 0, v[141:142]
	v_add_f64_e32 v[141:142], 0, v[143:144]
	scratch_load_b128 v[6:9], off, off offset:336
	v_fma_f64 v[145:146], v[4:5], v[10:11], v[145:146]
	v_fma_f64 v[147:148], v[2:3], v[10:11], -v[12:13]
	ds_load_b128 v[2:5], v1 offset:848
	s_wait_loadcnt_dscnt 0x901
	v_mul_f64_e32 v[143:144], v[135:136], v[16:17]
	v_mul_f64_e32 v[16:17], v[137:138], v[16:17]
	scratch_load_b128 v[10:13], off, off offset:352
	v_add_f64_e32 v[139:140], v[139:140], v[127:128]
	v_add_f64_e32 v[141:142], v[141:142], v[129:130]
	s_wait_loadcnt_dscnt 0x900
	v_mul_f64_e32 v[149:150], v[2:3], v[20:21]
	v_mul_f64_e32 v[20:21], v[4:5], v[20:21]
	ds_load_b128 v[127:130], v1 offset:864
	v_fma_f64 v[137:138], v[137:138], v[14:15], v[143:144]
	v_fma_f64 v[135:136], v[135:136], v[14:15], -v[16:17]
	scratch_load_b128 v[14:17], off, off offset:368
	v_add_f64_e32 v[139:140], v[139:140], v[147:148]
	v_add_f64_e32 v[141:142], v[141:142], v[145:146]
	v_fma_f64 v[145:146], v[4:5], v[18:19], v[149:150]
	v_fma_f64 v[147:148], v[2:3], v[18:19], -v[20:21]
	ds_load_b128 v[2:5], v1 offset:880
	s_wait_loadcnt_dscnt 0x901
	v_mul_f64_e32 v[143:144], v[127:128], v[24:25]
	v_mul_f64_e32 v[24:25], v[129:130], v[24:25]
	scratch_load_b128 v[18:21], off, off offset:384
	s_wait_loadcnt_dscnt 0x900
	v_mul_f64_e32 v[149:150], v[2:3], v[28:29]
	v_mul_f64_e32 v[28:29], v[4:5], v[28:29]
	v_add_f64_e32 v[139:140], v[139:140], v[135:136]
	v_add_f64_e32 v[141:142], v[141:142], v[137:138]
	ds_load_b128 v[135:138], v1 offset:896
	v_fma_f64 v[129:130], v[129:130], v[22:23], v[143:144]
	v_fma_f64 v[127:128], v[127:128], v[22:23], -v[24:25]
	scratch_load_b128 v[22:25], off, off offset:400
	v_add_f64_e32 v[139:140], v[139:140], v[147:148]
	v_add_f64_e32 v[141:142], v[141:142], v[145:146]
	v_fma_f64 v[145:146], v[4:5], v[26:27], v[149:150]
	v_fma_f64 v[147:148], v[2:3], v[26:27], -v[28:29]
	ds_load_b128 v[2:5], v1 offset:912
	s_wait_loadcnt_dscnt 0x901
	v_mul_f64_e32 v[143:144], v[135:136], v[32:33]
	v_mul_f64_e32 v[32:33], v[137:138], v[32:33]
	scratch_load_b128 v[26:29], off, off offset:416
	s_wait_loadcnt_dscnt 0x900
	v_mul_f64_e32 v[149:150], v[2:3], v[40:41]
	v_mul_f64_e32 v[40:41], v[4:5], v[40:41]
	v_add_f64_e32 v[139:140], v[139:140], v[127:128]
	v_add_f64_e32 v[141:142], v[141:142], v[129:130]
	ds_load_b128 v[127:130], v1 offset:928
	v_fma_f64 v[137:138], v[137:138], v[30:31], v[143:144]
	v_fma_f64 v[135:136], v[135:136], v[30:31], -v[32:33]
	scratch_load_b128 v[30:33], off, off offset:432
	v_add_f64_e32 v[139:140], v[139:140], v[147:148]
	v_add_f64_e32 v[141:142], v[141:142], v[145:146]
	v_fma_f64 v[147:148], v[4:5], v[38:39], v[149:150]
	v_fma_f64 v[149:150], v[2:3], v[38:39], -v[40:41]
	ds_load_b128 v[2:5], v1 offset:944
	s_wait_loadcnt_dscnt 0x801
	v_mul_f64_e32 v[143:144], v[127:128], v[133:134]
	v_mul_f64_e32 v[145:146], v[129:130], v[133:134]
	scratch_load_b128 v[38:41], off, off offset:448
	v_add_f64_e32 v[139:140], v[139:140], v[135:136]
	v_add_f64_e32 v[137:138], v[141:142], v[137:138]
	ds_load_b128 v[133:136], v1 offset:960
	v_fma_f64 v[143:144], v[129:130], v[131:132], v[143:144]
	v_fma_f64 v[131:132], v[127:128], v[131:132], -v[145:146]
	scratch_load_b128 v[127:130], off, off offset:464
	s_wait_loadcnt_dscnt 0x901
	v_mul_f64_e32 v[141:142], v[2:3], v[36:37]
	v_mul_f64_e32 v[36:37], v[4:5], v[36:37]
	v_add_f64_e32 v[139:140], v[139:140], v[149:150]
	v_add_f64_e32 v[137:138], v[137:138], v[147:148]
	s_delay_alu instid0(VALU_DEP_4) | instskip(NEXT) | instid1(VALU_DEP_4)
	v_fma_f64 v[141:142], v[4:5], v[34:35], v[141:142]
	v_fma_f64 v[147:148], v[2:3], v[34:35], -v[36:37]
	ds_load_b128 v[2:5], v1 offset:976
	s_wait_loadcnt_dscnt 0x801
	v_mul_f64_e32 v[145:146], v[133:134], v[8:9]
	v_mul_f64_e32 v[8:9], v[135:136], v[8:9]
	scratch_load_b128 v[34:37], off, off offset:480
	s_wait_loadcnt_dscnt 0x800
	v_mul_f64_e32 v[149:150], v[2:3], v[12:13]
	v_add_f64_e32 v[131:132], v[139:140], v[131:132]
	v_add_f64_e32 v[143:144], v[137:138], v[143:144]
	v_mul_f64_e32 v[12:13], v[4:5], v[12:13]
	ds_load_b128 v[137:140], v1 offset:992
	v_fma_f64 v[135:136], v[135:136], v[6:7], v[145:146]
	v_fma_f64 v[133:134], v[133:134], v[6:7], -v[8:9]
	scratch_load_b128 v[6:9], off, off offset:496
	v_fma_f64 v[145:146], v[4:5], v[10:11], v[149:150]
	v_add_f64_e32 v[131:132], v[131:132], v[147:148]
	v_add_f64_e32 v[141:142], v[143:144], v[141:142]
	v_fma_f64 v[147:148], v[2:3], v[10:11], -v[12:13]
	ds_load_b128 v[2:5], v1 offset:1008
	s_wait_loadcnt_dscnt 0x801
	v_mul_f64_e32 v[143:144], v[137:138], v[16:17]
	v_mul_f64_e32 v[16:17], v[139:140], v[16:17]
	scratch_load_b128 v[10:13], off, off offset:512
	v_add_f64_e32 v[149:150], v[131:132], v[133:134]
	v_add_f64_e32 v[135:136], v[141:142], v[135:136]
	s_wait_loadcnt_dscnt 0x800
	v_mul_f64_e32 v[141:142], v[2:3], v[20:21]
	v_mul_f64_e32 v[20:21], v[4:5], v[20:21]
	v_fma_f64 v[139:140], v[139:140], v[14:15], v[143:144]
	v_fma_f64 v[137:138], v[137:138], v[14:15], -v[16:17]
	ds_load_b128 v[131:134], v1 offset:1024
	scratch_load_b128 v[14:17], off, off offset:528
	v_add_f64_e32 v[143:144], v[149:150], v[147:148]
	v_add_f64_e32 v[135:136], v[135:136], v[145:146]
	v_fma_f64 v[141:142], v[4:5], v[18:19], v[141:142]
	v_fma_f64 v[147:148], v[2:3], v[18:19], -v[20:21]
	ds_load_b128 v[2:5], v1 offset:1040
	s_wait_loadcnt_dscnt 0x801
	v_mul_f64_e32 v[145:146], v[131:132], v[24:25]
	v_mul_f64_e32 v[24:25], v[133:134], v[24:25]
	scratch_load_b128 v[18:21], off, off offset:544
	s_wait_loadcnt_dscnt 0x800
	v_mul_f64_e32 v[149:150], v[2:3], v[28:29]
	v_mul_f64_e32 v[28:29], v[4:5], v[28:29]
	v_add_f64_e32 v[143:144], v[143:144], v[137:138]
	v_add_f64_e32 v[139:140], v[135:136], v[139:140]
	ds_load_b128 v[135:138], v1 offset:1056
	v_fma_f64 v[133:134], v[133:134], v[22:23], v[145:146]
	v_fma_f64 v[131:132], v[131:132], v[22:23], -v[24:25]
	scratch_load_b128 v[22:25], off, off offset:560
	v_fma_f64 v[145:146], v[4:5], v[26:27], v[149:150]
	v_add_f64_e32 v[143:144], v[143:144], v[147:148]
	v_add_f64_e32 v[139:140], v[139:140], v[141:142]
	v_fma_f64 v[147:148], v[2:3], v[26:27], -v[28:29]
	ds_load_b128 v[2:5], v1 offset:1072
	s_wait_loadcnt_dscnt 0x801
	v_mul_f64_e32 v[141:142], v[135:136], v[32:33]
	v_mul_f64_e32 v[32:33], v[137:138], v[32:33]
	scratch_load_b128 v[26:29], off, off offset:576
	s_wait_loadcnt_dscnt 0x800
	v_mul_f64_e32 v[149:150], v[2:3], v[40:41]
	v_mul_f64_e32 v[40:41], v[4:5], v[40:41]
	v_add_f64_e32 v[143:144], v[143:144], v[131:132]
	v_add_f64_e32 v[139:140], v[139:140], v[133:134]
	ds_load_b128 v[131:134], v1 offset:1088
	v_fma_f64 v[137:138], v[137:138], v[30:31], v[141:142]
	v_fma_f64 v[135:136], v[135:136], v[30:31], -v[32:33]
	scratch_load_b128 v[30:33], off, off offset:592
	v_add_f64_e32 v[141:142], v[143:144], v[147:148]
	v_add_f64_e32 v[139:140], v[139:140], v[145:146]
	v_fma_f64 v[145:146], v[4:5], v[38:39], v[149:150]
	v_fma_f64 v[147:148], v[2:3], v[38:39], -v[40:41]
	ds_load_b128 v[2:5], v1 offset:1104
	s_wait_loadcnt_dscnt 0x801
	v_mul_f64_e32 v[143:144], v[131:132], v[129:130]
	v_mul_f64_e32 v[129:130], v[133:134], v[129:130]
	scratch_load_b128 v[38:41], off, off offset:608
	s_wait_loadcnt_dscnt 0x800
	v_mul_f64_e32 v[149:150], v[2:3], v[36:37]
	v_mul_f64_e32 v[36:37], v[4:5], v[36:37]
	v_add_f64_e32 v[141:142], v[141:142], v[135:136]
	v_add_f64_e32 v[139:140], v[139:140], v[137:138]
	ds_load_b128 v[135:138], v1 offset:1120
	v_fma_f64 v[133:134], v[133:134], v[127:128], v[143:144]
	v_fma_f64 v[131:132], v[131:132], v[127:128], -v[129:130]
	scratch_load_b128 v[127:130], off, off offset:624
	v_add_f64_e32 v[141:142], v[141:142], v[147:148]
	v_add_f64_e32 v[139:140], v[139:140], v[145:146]
	v_fma_f64 v[145:146], v[4:5], v[34:35], v[149:150]
	v_fma_f64 v[147:148], v[2:3], v[34:35], -v[36:37]
	ds_load_b128 v[2:5], v1 offset:1136
	s_wait_loadcnt_dscnt 0x801
	v_mul_f64_e32 v[143:144], v[135:136], v[8:9]
	v_mul_f64_e32 v[8:9], v[137:138], v[8:9]
	scratch_load_b128 v[34:37], off, off offset:640
	s_wait_loadcnt_dscnt 0x800
	v_mul_f64_e32 v[149:150], v[2:3], v[12:13]
	v_mul_f64_e32 v[12:13], v[4:5], v[12:13]
	v_add_f64_e32 v[141:142], v[141:142], v[131:132]
	v_add_f64_e32 v[139:140], v[139:140], v[133:134]
	ds_load_b128 v[131:134], v1 offset:1152
	v_fma_f64 v[137:138], v[137:138], v[6:7], v[143:144]
	v_fma_f64 v[6:7], v[135:136], v[6:7], -v[8:9]
	v_add_f64_e32 v[8:9], v[141:142], v[147:148]
	v_add_f64_e32 v[135:136], v[139:140], v[145:146]
	s_wait_loadcnt_dscnt 0x700
	v_mul_f64_e32 v[139:140], v[131:132], v[16:17]
	v_mul_f64_e32 v[16:17], v[133:134], v[16:17]
	v_fma_f64 v[141:142], v[4:5], v[10:11], v[149:150]
	v_fma_f64 v[10:11], v[2:3], v[10:11], -v[12:13]
	v_add_f64_e32 v[12:13], v[8:9], v[6:7]
	v_add_f64_e32 v[135:136], v[135:136], v[137:138]
	ds_load_b128 v[2:5], v1 offset:1168
	ds_load_b128 v[6:9], v1 offset:1184
	v_fma_f64 v[133:134], v[133:134], v[14:15], v[139:140]
	v_fma_f64 v[14:15], v[131:132], v[14:15], -v[16:17]
	s_wait_loadcnt_dscnt 0x601
	v_mul_f64_e32 v[137:138], v[2:3], v[20:21]
	v_mul_f64_e32 v[20:21], v[4:5], v[20:21]
	s_wait_loadcnt_dscnt 0x500
	v_mul_f64_e32 v[16:17], v[6:7], v[24:25]
	v_mul_f64_e32 v[24:25], v[8:9], v[24:25]
	v_add_f64_e32 v[10:11], v[12:13], v[10:11]
	v_add_f64_e32 v[12:13], v[135:136], v[141:142]
	v_fma_f64 v[131:132], v[4:5], v[18:19], v[137:138]
	v_fma_f64 v[18:19], v[2:3], v[18:19], -v[20:21]
	v_fma_f64 v[8:9], v[8:9], v[22:23], v[16:17]
	v_fma_f64 v[6:7], v[6:7], v[22:23], -v[24:25]
	v_add_f64_e32 v[14:15], v[10:11], v[14:15]
	v_add_f64_e32 v[20:21], v[12:13], v[133:134]
	ds_load_b128 v[2:5], v1 offset:1200
	ds_load_b128 v[10:13], v1 offset:1216
	s_wait_loadcnt_dscnt 0x401
	v_mul_f64_e32 v[133:134], v[2:3], v[28:29]
	v_mul_f64_e32 v[28:29], v[4:5], v[28:29]
	v_add_f64_e32 v[14:15], v[14:15], v[18:19]
	v_add_f64_e32 v[16:17], v[20:21], v[131:132]
	s_wait_loadcnt_dscnt 0x300
	v_mul_f64_e32 v[18:19], v[10:11], v[32:33]
	v_mul_f64_e32 v[20:21], v[12:13], v[32:33]
	v_fma_f64 v[22:23], v[4:5], v[26:27], v[133:134]
	v_fma_f64 v[24:25], v[2:3], v[26:27], -v[28:29]
	v_add_f64_e32 v[14:15], v[14:15], v[6:7]
	v_add_f64_e32 v[16:17], v[16:17], v[8:9]
	ds_load_b128 v[2:5], v1 offset:1232
	ds_load_b128 v[6:9], v1 offset:1248
	v_fma_f64 v[12:13], v[12:13], v[30:31], v[18:19]
	v_fma_f64 v[10:11], v[10:11], v[30:31], -v[20:21]
	s_wait_loadcnt_dscnt 0x201
	v_mul_f64_e32 v[26:27], v[2:3], v[40:41]
	v_mul_f64_e32 v[28:29], v[4:5], v[40:41]
	s_wait_loadcnt_dscnt 0x100
	v_mul_f64_e32 v[18:19], v[6:7], v[129:130]
	v_mul_f64_e32 v[20:21], v[8:9], v[129:130]
	v_add_f64_e32 v[14:15], v[14:15], v[24:25]
	v_add_f64_e32 v[16:17], v[16:17], v[22:23]
	v_fma_f64 v[22:23], v[4:5], v[38:39], v[26:27]
	v_fma_f64 v[24:25], v[2:3], v[38:39], -v[28:29]
	ds_load_b128 v[2:5], v1 offset:1264
	v_fma_f64 v[8:9], v[8:9], v[127:128], v[18:19]
	v_fma_f64 v[6:7], v[6:7], v[127:128], -v[20:21]
	v_add_f64_e32 v[10:11], v[14:15], v[10:11]
	v_add_f64_e32 v[12:13], v[16:17], v[12:13]
	s_wait_loadcnt_dscnt 0x0
	v_mul_f64_e32 v[14:15], v[2:3], v[36:37]
	v_mul_f64_e32 v[16:17], v[4:5], v[36:37]
	s_delay_alu instid0(VALU_DEP_4) | instskip(NEXT) | instid1(VALU_DEP_4)
	v_add_f64_e32 v[10:11], v[10:11], v[24:25]
	v_add_f64_e32 v[12:13], v[12:13], v[22:23]
	s_delay_alu instid0(VALU_DEP_4) | instskip(NEXT) | instid1(VALU_DEP_4)
	v_fma_f64 v[4:5], v[4:5], v[34:35], v[14:15]
	v_fma_f64 v[2:3], v[2:3], v[34:35], -v[16:17]
	s_delay_alu instid0(VALU_DEP_4) | instskip(NEXT) | instid1(VALU_DEP_4)
	v_add_f64_e32 v[6:7], v[10:11], v[6:7]
	v_add_f64_e32 v[8:9], v[12:13], v[8:9]
	s_delay_alu instid0(VALU_DEP_2) | instskip(NEXT) | instid1(VALU_DEP_2)
	v_add_f64_e32 v[2:3], v[6:7], v[2:3]
	v_add_f64_e32 v[4:5], v[8:9], v[4:5]
	s_delay_alu instid0(VALU_DEP_2) | instskip(NEXT) | instid1(VALU_DEP_2)
	v_add_f64_e64 v[2:3], v[42:43], -v[2:3]
	v_add_f64_e64 v[4:5], v[44:45], -v[4:5]
	scratch_store_b128 off, v[2:5], off offset:144
	v_cmpx_lt_u32_e32 7, v0
	s_cbranch_execz .LBB39_239
; %bb.238:
	scratch_load_b128 v[5:8], off, s46
	v_dual_mov_b32 v2, v1 :: v_dual_mov_b32 v3, v1
	v_mov_b32_e32 v4, v1
	scratch_store_b128 off, v[1:4], off offset:128
	s_wait_loadcnt 0x0
	ds_store_b128 v126, v[5:8]
.LBB39_239:
	s_wait_alu 0xfffe
	s_or_b32 exec_lo, exec_lo, s0
	s_wait_storecnt_dscnt 0x0
	s_barrier_signal -1
	s_barrier_wait -1
	global_inv scope:SCOPE_SE
	s_clause 0x8
	scratch_load_b128 v[2:5], off, off offset:144
	scratch_load_b128 v[6:9], off, off offset:160
	scratch_load_b128 v[10:13], off, off offset:176
	scratch_load_b128 v[14:17], off, off offset:192
	scratch_load_b128 v[18:21], off, off offset:208
	scratch_load_b128 v[22:25], off, off offset:224
	scratch_load_b128 v[26:29], off, off offset:240
	scratch_load_b128 v[30:33], off, off offset:256
	scratch_load_b128 v[34:37], off, off offset:272
	ds_load_b128 v[38:41], v1 offset:768
	ds_load_b128 v[42:45], v1 offset:784
	s_clause 0x1
	scratch_load_b128 v[127:130], off, off offset:128
	scratch_load_b128 v[131:134], off, off offset:288
	s_mov_b32 s0, exec_lo
	s_wait_loadcnt_dscnt 0xa01
	v_mul_f64_e32 v[135:136], v[40:41], v[4:5]
	v_mul_f64_e32 v[4:5], v[38:39], v[4:5]
	s_wait_loadcnt_dscnt 0x900
	v_mul_f64_e32 v[139:140], v[42:43], v[8:9]
	v_mul_f64_e32 v[8:9], v[44:45], v[8:9]
	s_delay_alu instid0(VALU_DEP_4) | instskip(NEXT) | instid1(VALU_DEP_4)
	v_fma_f64 v[141:142], v[38:39], v[2:3], -v[135:136]
	v_fma_f64 v[143:144], v[40:41], v[2:3], v[4:5]
	ds_load_b128 v[2:5], v1 offset:800
	ds_load_b128 v[135:138], v1 offset:816
	scratch_load_b128 v[38:41], off, off offset:304
	v_fma_f64 v[44:45], v[44:45], v[6:7], v[139:140]
	v_fma_f64 v[42:43], v[42:43], v[6:7], -v[8:9]
	scratch_load_b128 v[6:9], off, off offset:320
	s_wait_loadcnt_dscnt 0xa01
	v_mul_f64_e32 v[145:146], v[2:3], v[12:13]
	v_mul_f64_e32 v[12:13], v[4:5], v[12:13]
	v_add_f64_e32 v[139:140], 0, v[141:142]
	v_add_f64_e32 v[141:142], 0, v[143:144]
	s_wait_loadcnt_dscnt 0x900
	v_mul_f64_e32 v[143:144], v[135:136], v[16:17]
	v_mul_f64_e32 v[16:17], v[137:138], v[16:17]
	v_fma_f64 v[145:146], v[4:5], v[10:11], v[145:146]
	v_fma_f64 v[147:148], v[2:3], v[10:11], -v[12:13]
	ds_load_b128 v[2:5], v1 offset:832
	scratch_load_b128 v[10:13], off, off offset:336
	v_add_f64_e32 v[139:140], v[139:140], v[42:43]
	v_add_f64_e32 v[141:142], v[141:142], v[44:45]
	ds_load_b128 v[42:45], v1 offset:848
	v_fma_f64 v[137:138], v[137:138], v[14:15], v[143:144]
	v_fma_f64 v[135:136], v[135:136], v[14:15], -v[16:17]
	scratch_load_b128 v[14:17], off, off offset:352
	s_wait_loadcnt_dscnt 0xa01
	v_mul_f64_e32 v[149:150], v[2:3], v[20:21]
	v_mul_f64_e32 v[20:21], v[4:5], v[20:21]
	s_wait_loadcnt_dscnt 0x900
	v_mul_f64_e32 v[143:144], v[42:43], v[24:25]
	v_mul_f64_e32 v[24:25], v[44:45], v[24:25]
	v_add_f64_e32 v[139:140], v[139:140], v[147:148]
	v_add_f64_e32 v[141:142], v[141:142], v[145:146]
	v_fma_f64 v[145:146], v[4:5], v[18:19], v[149:150]
	v_fma_f64 v[147:148], v[2:3], v[18:19], -v[20:21]
	ds_load_b128 v[2:5], v1 offset:864
	scratch_load_b128 v[18:21], off, off offset:368
	v_fma_f64 v[44:45], v[44:45], v[22:23], v[143:144]
	v_fma_f64 v[42:43], v[42:43], v[22:23], -v[24:25]
	scratch_load_b128 v[22:25], off, off offset:384
	v_add_f64_e32 v[139:140], v[139:140], v[135:136]
	v_add_f64_e32 v[141:142], v[141:142], v[137:138]
	ds_load_b128 v[135:138], v1 offset:880
	s_wait_loadcnt_dscnt 0xa01
	v_mul_f64_e32 v[149:150], v[2:3], v[28:29]
	v_mul_f64_e32 v[28:29], v[4:5], v[28:29]
	s_wait_loadcnt_dscnt 0x900
	v_mul_f64_e32 v[143:144], v[135:136], v[32:33]
	v_mul_f64_e32 v[32:33], v[137:138], v[32:33]
	v_add_f64_e32 v[139:140], v[139:140], v[147:148]
	v_add_f64_e32 v[141:142], v[141:142], v[145:146]
	v_fma_f64 v[145:146], v[4:5], v[26:27], v[149:150]
	v_fma_f64 v[147:148], v[2:3], v[26:27], -v[28:29]
	ds_load_b128 v[2:5], v1 offset:896
	scratch_load_b128 v[26:29], off, off offset:400
	v_fma_f64 v[137:138], v[137:138], v[30:31], v[143:144]
	v_fma_f64 v[135:136], v[135:136], v[30:31], -v[32:33]
	scratch_load_b128 v[30:33], off, off offset:416
	v_add_f64_e32 v[139:140], v[139:140], v[42:43]
	v_add_f64_e32 v[141:142], v[141:142], v[44:45]
	ds_load_b128 v[42:45], v1 offset:912
	s_wait_loadcnt_dscnt 0xa01
	v_mul_f64_e32 v[149:150], v[2:3], v[36:37]
	v_mul_f64_e32 v[36:37], v[4:5], v[36:37]
	s_wait_loadcnt_dscnt 0x800
	v_mul_f64_e32 v[143:144], v[42:43], v[133:134]
	v_add_f64_e32 v[139:140], v[139:140], v[147:148]
	v_add_f64_e32 v[141:142], v[141:142], v[145:146]
	v_mul_f64_e32 v[145:146], v[44:45], v[133:134]
	v_fma_f64 v[147:148], v[4:5], v[34:35], v[149:150]
	v_fma_f64 v[149:150], v[2:3], v[34:35], -v[36:37]
	ds_load_b128 v[2:5], v1 offset:928
	scratch_load_b128 v[34:37], off, off offset:432
	v_fma_f64 v[44:45], v[44:45], v[131:132], v[143:144]
	v_add_f64_e32 v[139:140], v[139:140], v[135:136]
	v_add_f64_e32 v[137:138], v[141:142], v[137:138]
	ds_load_b128 v[133:136], v1 offset:944
	v_fma_f64 v[131:132], v[42:43], v[131:132], -v[145:146]
	s_wait_loadcnt_dscnt 0x801
	v_mul_f64_e32 v[141:142], v[2:3], v[40:41]
	v_mul_f64_e32 v[151:152], v[4:5], v[40:41]
	scratch_load_b128 v[40:43], off, off offset:448
	s_wait_loadcnt_dscnt 0x800
	v_mul_f64_e32 v[145:146], v[133:134], v[8:9]
	v_mul_f64_e32 v[8:9], v[135:136], v[8:9]
	v_add_f64_e32 v[139:140], v[139:140], v[149:150]
	v_add_f64_e32 v[137:138], v[137:138], v[147:148]
	v_fma_f64 v[147:148], v[4:5], v[38:39], v[141:142]
	v_fma_f64 v[38:39], v[2:3], v[38:39], -v[151:152]
	ds_load_b128 v[2:5], v1 offset:960
	ds_load_b128 v[141:144], v1 offset:976
	v_fma_f64 v[135:136], v[135:136], v[6:7], v[145:146]
	v_fma_f64 v[133:134], v[133:134], v[6:7], -v[8:9]
	scratch_load_b128 v[6:9], off, off offset:480
	v_add_f64_e32 v[131:132], v[139:140], v[131:132]
	v_add_f64_e32 v[44:45], v[137:138], v[44:45]
	scratch_load_b128 v[137:140], off, off offset:464
	s_wait_loadcnt_dscnt 0x901
	v_mul_f64_e32 v[149:150], v[2:3], v[12:13]
	v_mul_f64_e32 v[12:13], v[4:5], v[12:13]
	s_wait_loadcnt_dscnt 0x800
	v_mul_f64_e32 v[145:146], v[141:142], v[16:17]
	v_mul_f64_e32 v[16:17], v[143:144], v[16:17]
	v_add_f64_e32 v[38:39], v[131:132], v[38:39]
	v_add_f64_e32 v[44:45], v[44:45], v[147:148]
	v_fma_f64 v[147:148], v[4:5], v[10:11], v[149:150]
	v_fma_f64 v[149:150], v[2:3], v[10:11], -v[12:13]
	ds_load_b128 v[2:5], v1 offset:992
	scratch_load_b128 v[10:13], off, off offset:496
	v_fma_f64 v[143:144], v[143:144], v[14:15], v[145:146]
	v_fma_f64 v[141:142], v[141:142], v[14:15], -v[16:17]
	scratch_load_b128 v[14:17], off, off offset:512
	v_add_f64_e32 v[38:39], v[38:39], v[133:134]
	v_add_f64_e32 v[44:45], v[44:45], v[135:136]
	ds_load_b128 v[131:134], v1 offset:1008
	s_wait_loadcnt_dscnt 0x901
	v_mul_f64_e32 v[135:136], v[2:3], v[20:21]
	v_mul_f64_e32 v[20:21], v[4:5], v[20:21]
	s_wait_loadcnt_dscnt 0x800
	v_mul_f64_e32 v[145:146], v[131:132], v[24:25]
	v_mul_f64_e32 v[24:25], v[133:134], v[24:25]
	v_add_f64_e32 v[38:39], v[38:39], v[149:150]
	v_add_f64_e32 v[44:45], v[44:45], v[147:148]
	v_fma_f64 v[135:136], v[4:5], v[18:19], v[135:136]
	v_fma_f64 v[147:148], v[2:3], v[18:19], -v[20:21]
	ds_load_b128 v[2:5], v1 offset:1024
	scratch_load_b128 v[18:21], off, off offset:528
	v_fma_f64 v[133:134], v[133:134], v[22:23], v[145:146]
	v_fma_f64 v[131:132], v[131:132], v[22:23], -v[24:25]
	scratch_load_b128 v[22:25], off, off offset:544
	v_add_f64_e32 v[38:39], v[38:39], v[141:142]
	v_add_f64_e32 v[44:45], v[44:45], v[143:144]
	ds_load_b128 v[141:144], v1 offset:1040
	s_wait_loadcnt_dscnt 0x901
	v_mul_f64_e32 v[149:150], v[2:3], v[28:29]
	v_mul_f64_e32 v[28:29], v[4:5], v[28:29]
	v_add_f64_e32 v[38:39], v[38:39], v[147:148]
	v_add_f64_e32 v[44:45], v[44:45], v[135:136]
	s_wait_loadcnt_dscnt 0x800
	v_mul_f64_e32 v[135:136], v[141:142], v[32:33]
	v_mul_f64_e32 v[32:33], v[143:144], v[32:33]
	v_fma_f64 v[145:146], v[4:5], v[26:27], v[149:150]
	v_fma_f64 v[147:148], v[2:3], v[26:27], -v[28:29]
	ds_load_b128 v[2:5], v1 offset:1056
	scratch_load_b128 v[26:29], off, off offset:560
	v_add_f64_e32 v[38:39], v[38:39], v[131:132]
	v_add_f64_e32 v[44:45], v[44:45], v[133:134]
	ds_load_b128 v[131:134], v1 offset:1072
	s_wait_loadcnt_dscnt 0x801
	v_mul_f64_e32 v[149:150], v[2:3], v[36:37]
	v_mul_f64_e32 v[36:37], v[4:5], v[36:37]
	v_fma_f64 v[135:136], v[143:144], v[30:31], v[135:136]
	v_fma_f64 v[141:142], v[141:142], v[30:31], -v[32:33]
	scratch_load_b128 v[30:33], off, off offset:576
	s_wait_loadcnt_dscnt 0x800
	v_mul_f64_e32 v[143:144], v[131:132], v[42:43]
	v_add_f64_e32 v[38:39], v[38:39], v[147:148]
	v_add_f64_e32 v[44:45], v[44:45], v[145:146]
	v_mul_f64_e32 v[145:146], v[133:134], v[42:43]
	v_fma_f64 v[147:148], v[4:5], v[34:35], v[149:150]
	v_fma_f64 v[149:150], v[2:3], v[34:35], -v[36:37]
	ds_load_b128 v[2:5], v1 offset:1088
	scratch_load_b128 v[34:37], off, off offset:592
	v_fma_f64 v[133:134], v[133:134], v[40:41], v[143:144]
	v_add_f64_e32 v[38:39], v[38:39], v[141:142]
	v_add_f64_e32 v[135:136], v[44:45], v[135:136]
	ds_load_b128 v[42:45], v1 offset:1104
	v_fma_f64 v[131:132], v[131:132], v[40:41], -v[145:146]
	s_wait_loadcnt_dscnt 0x701
	v_mul_f64_e32 v[141:142], v[2:3], v[139:140]
	v_mul_f64_e32 v[139:140], v[4:5], v[139:140]
	s_wait_dscnt 0x0
	v_mul_f64_e32 v[145:146], v[42:43], v[8:9]
	v_mul_f64_e32 v[8:9], v[44:45], v[8:9]
	v_add_f64_e32 v[143:144], v[38:39], v[149:150]
	v_add_f64_e32 v[135:136], v[135:136], v[147:148]
	scratch_load_b128 v[38:41], off, off offset:608
	v_fma_f64 v[141:142], v[4:5], v[137:138], v[141:142]
	v_fma_f64 v[139:140], v[2:3], v[137:138], -v[139:140]
	ds_load_b128 v[2:5], v1 offset:1120
	v_fma_f64 v[44:45], v[44:45], v[6:7], v[145:146]
	v_fma_f64 v[42:43], v[42:43], v[6:7], -v[8:9]
	scratch_load_b128 v[6:9], off, off offset:640
	v_add_f64_e32 v[143:144], v[143:144], v[131:132]
	v_add_f64_e32 v[147:148], v[135:136], v[133:134]
	scratch_load_b128 v[131:134], off, off offset:624
	ds_load_b128 v[135:138], v1 offset:1136
	s_wait_loadcnt_dscnt 0x901
	v_mul_f64_e32 v[149:150], v[2:3], v[12:13]
	v_mul_f64_e32 v[12:13], v[4:5], v[12:13]
	v_add_f64_e32 v[139:140], v[143:144], v[139:140]
	v_add_f64_e32 v[141:142], v[147:148], v[141:142]
	s_wait_loadcnt_dscnt 0x800
	v_mul_f64_e32 v[143:144], v[135:136], v[16:17]
	v_mul_f64_e32 v[16:17], v[137:138], v[16:17]
	v_fma_f64 v[145:146], v[4:5], v[10:11], v[149:150]
	v_fma_f64 v[147:148], v[2:3], v[10:11], -v[12:13]
	ds_load_b128 v[2:5], v1 offset:1152
	ds_load_b128 v[10:13], v1 offset:1168
	v_add_f64_e32 v[42:43], v[139:140], v[42:43]
	v_add_f64_e32 v[44:45], v[141:142], v[44:45]
	s_wait_loadcnt_dscnt 0x701
	v_mul_f64_e32 v[139:140], v[2:3], v[20:21]
	v_mul_f64_e32 v[20:21], v[4:5], v[20:21]
	v_fma_f64 v[137:138], v[137:138], v[14:15], v[143:144]
	v_fma_f64 v[14:15], v[135:136], v[14:15], -v[16:17]
	v_add_f64_e32 v[16:17], v[42:43], v[147:148]
	v_add_f64_e32 v[42:43], v[44:45], v[145:146]
	s_wait_loadcnt_dscnt 0x600
	v_mul_f64_e32 v[44:45], v[10:11], v[24:25]
	v_mul_f64_e32 v[24:25], v[12:13], v[24:25]
	v_fma_f64 v[135:136], v[4:5], v[18:19], v[139:140]
	v_fma_f64 v[18:19], v[2:3], v[18:19], -v[20:21]
	v_add_f64_e32 v[20:21], v[16:17], v[14:15]
	v_add_f64_e32 v[42:43], v[42:43], v[137:138]
	ds_load_b128 v[2:5], v1 offset:1184
	ds_load_b128 v[14:17], v1 offset:1200
	v_fma_f64 v[12:13], v[12:13], v[22:23], v[44:45]
	v_fma_f64 v[10:11], v[10:11], v[22:23], -v[24:25]
	s_wait_loadcnt_dscnt 0x501
	v_mul_f64_e32 v[137:138], v[2:3], v[28:29]
	v_mul_f64_e32 v[28:29], v[4:5], v[28:29]
	s_wait_loadcnt_dscnt 0x400
	v_mul_f64_e32 v[22:23], v[14:15], v[32:33]
	v_mul_f64_e32 v[24:25], v[16:17], v[32:33]
	v_add_f64_e32 v[18:19], v[20:21], v[18:19]
	v_add_f64_e32 v[20:21], v[42:43], v[135:136]
	v_fma_f64 v[32:33], v[4:5], v[26:27], v[137:138]
	v_fma_f64 v[26:27], v[2:3], v[26:27], -v[28:29]
	v_fma_f64 v[16:17], v[16:17], v[30:31], v[22:23]
	v_fma_f64 v[14:15], v[14:15], v[30:31], -v[24:25]
	v_add_f64_e32 v[18:19], v[18:19], v[10:11]
	v_add_f64_e32 v[20:21], v[20:21], v[12:13]
	ds_load_b128 v[2:5], v1 offset:1216
	ds_load_b128 v[10:13], v1 offset:1232
	s_wait_loadcnt_dscnt 0x301
	v_mul_f64_e32 v[28:29], v[2:3], v[36:37]
	v_mul_f64_e32 v[36:37], v[4:5], v[36:37]
	v_add_f64_e32 v[18:19], v[18:19], v[26:27]
	v_add_f64_e32 v[20:21], v[20:21], v[32:33]
	s_wait_loadcnt_dscnt 0x200
	v_mul_f64_e32 v[22:23], v[10:11], v[40:41]
	v_mul_f64_e32 v[24:25], v[12:13], v[40:41]
	v_fma_f64 v[26:27], v[4:5], v[34:35], v[28:29]
	v_fma_f64 v[28:29], v[2:3], v[34:35], -v[36:37]
	v_add_f64_e32 v[18:19], v[18:19], v[14:15]
	v_add_f64_e32 v[20:21], v[20:21], v[16:17]
	ds_load_b128 v[2:5], v1 offset:1248
	ds_load_b128 v[14:17], v1 offset:1264
	v_fma_f64 v[12:13], v[12:13], v[38:39], v[22:23]
	v_fma_f64 v[10:11], v[10:11], v[38:39], -v[24:25]
	s_wait_loadcnt_dscnt 0x1
	v_mul_f64_e32 v[30:31], v[2:3], v[133:134]
	v_mul_f64_e32 v[32:33], v[4:5], v[133:134]
	s_wait_dscnt 0x0
	v_mul_f64_e32 v[22:23], v[14:15], v[8:9]
	v_mul_f64_e32 v[8:9], v[16:17], v[8:9]
	v_add_f64_e32 v[18:19], v[18:19], v[28:29]
	v_add_f64_e32 v[20:21], v[20:21], v[26:27]
	v_fma_f64 v[4:5], v[4:5], v[131:132], v[30:31]
	v_fma_f64 v[1:2], v[2:3], v[131:132], -v[32:33]
	v_fma_f64 v[16:17], v[16:17], v[6:7], v[22:23]
	v_fma_f64 v[6:7], v[14:15], v[6:7], -v[8:9]
	v_add_f64_e32 v[10:11], v[18:19], v[10:11]
	v_add_f64_e32 v[12:13], v[20:21], v[12:13]
	s_delay_alu instid0(VALU_DEP_2) | instskip(NEXT) | instid1(VALU_DEP_2)
	v_add_f64_e32 v[1:2], v[10:11], v[1:2]
	v_add_f64_e32 v[3:4], v[12:13], v[4:5]
	s_delay_alu instid0(VALU_DEP_2) | instskip(NEXT) | instid1(VALU_DEP_2)
	;; [unrolled: 3-line block ×3, first 2 shown]
	v_add_f64_e64 v[1:2], v[127:128], -v[1:2]
	v_add_f64_e64 v[3:4], v[129:130], -v[3:4]
	scratch_store_b128 off, v[1:4], off offset:128
	v_cmpx_lt_u32_e32 6, v0
	s_cbranch_execz .LBB39_241
; %bb.240:
	scratch_load_b128 v[1:4], off, s47
	v_mov_b32_e32 v5, 0
	s_delay_alu instid0(VALU_DEP_1)
	v_dual_mov_b32 v6, v5 :: v_dual_mov_b32 v7, v5
	v_mov_b32_e32 v8, v5
	scratch_store_b128 off, v[5:8], off offset:112
	s_wait_loadcnt 0x0
	ds_store_b128 v126, v[1:4]
.LBB39_241:
	s_wait_alu 0xfffe
	s_or_b32 exec_lo, exec_lo, s0
	s_wait_storecnt_dscnt 0x0
	s_barrier_signal -1
	s_barrier_wait -1
	global_inv scope:SCOPE_SE
	s_clause 0x7
	scratch_load_b128 v[2:5], off, off offset:128
	scratch_load_b128 v[6:9], off, off offset:144
	;; [unrolled: 1-line block ×8, first 2 shown]
	v_mov_b32_e32 v1, 0
	s_mov_b32 s0, exec_lo
	ds_load_b128 v[34:37], v1 offset:752
	s_clause 0x1
	scratch_load_b128 v[38:41], off, off offset:256
	scratch_load_b128 v[42:45], off, off offset:112
	ds_load_b128 v[127:130], v1 offset:768
	scratch_load_b128 v[131:134], off, off offset:272
	s_wait_loadcnt_dscnt 0xa01
	v_mul_f64_e32 v[135:136], v[36:37], v[4:5]
	v_mul_f64_e32 v[4:5], v[34:35], v[4:5]
	s_delay_alu instid0(VALU_DEP_2) | instskip(NEXT) | instid1(VALU_DEP_2)
	v_fma_f64 v[141:142], v[34:35], v[2:3], -v[135:136]
	v_fma_f64 v[143:144], v[36:37], v[2:3], v[4:5]
	ds_load_b128 v[2:5], v1 offset:784
	s_wait_loadcnt_dscnt 0x901
	v_mul_f64_e32 v[139:140], v[127:128], v[8:9]
	v_mul_f64_e32 v[8:9], v[129:130], v[8:9]
	scratch_load_b128 v[34:37], off, off offset:288
	ds_load_b128 v[135:138], v1 offset:800
	s_wait_loadcnt_dscnt 0x901
	v_mul_f64_e32 v[145:146], v[2:3], v[12:13]
	v_mul_f64_e32 v[12:13], v[4:5], v[12:13]
	v_fma_f64 v[129:130], v[129:130], v[6:7], v[139:140]
	v_fma_f64 v[127:128], v[127:128], v[6:7], -v[8:9]
	v_add_f64_e32 v[139:140], 0, v[141:142]
	v_add_f64_e32 v[141:142], 0, v[143:144]
	scratch_load_b128 v[6:9], off, off offset:304
	v_fma_f64 v[145:146], v[4:5], v[10:11], v[145:146]
	v_fma_f64 v[147:148], v[2:3], v[10:11], -v[12:13]
	ds_load_b128 v[2:5], v1 offset:816
	s_wait_loadcnt_dscnt 0x901
	v_mul_f64_e32 v[143:144], v[135:136], v[16:17]
	v_mul_f64_e32 v[16:17], v[137:138], v[16:17]
	scratch_load_b128 v[10:13], off, off offset:320
	v_add_f64_e32 v[139:140], v[139:140], v[127:128]
	v_add_f64_e32 v[141:142], v[141:142], v[129:130]
	s_wait_loadcnt_dscnt 0x900
	v_mul_f64_e32 v[149:150], v[2:3], v[20:21]
	v_mul_f64_e32 v[20:21], v[4:5], v[20:21]
	ds_load_b128 v[127:130], v1 offset:832
	v_fma_f64 v[137:138], v[137:138], v[14:15], v[143:144]
	v_fma_f64 v[135:136], v[135:136], v[14:15], -v[16:17]
	scratch_load_b128 v[14:17], off, off offset:336
	v_add_f64_e32 v[139:140], v[139:140], v[147:148]
	v_add_f64_e32 v[141:142], v[141:142], v[145:146]
	v_fma_f64 v[145:146], v[4:5], v[18:19], v[149:150]
	v_fma_f64 v[147:148], v[2:3], v[18:19], -v[20:21]
	ds_load_b128 v[2:5], v1 offset:848
	s_wait_loadcnt_dscnt 0x901
	v_mul_f64_e32 v[143:144], v[127:128], v[24:25]
	v_mul_f64_e32 v[24:25], v[129:130], v[24:25]
	scratch_load_b128 v[18:21], off, off offset:352
	s_wait_loadcnt_dscnt 0x900
	v_mul_f64_e32 v[149:150], v[2:3], v[28:29]
	v_mul_f64_e32 v[28:29], v[4:5], v[28:29]
	v_add_f64_e32 v[139:140], v[139:140], v[135:136]
	v_add_f64_e32 v[141:142], v[141:142], v[137:138]
	ds_load_b128 v[135:138], v1 offset:864
	v_fma_f64 v[129:130], v[129:130], v[22:23], v[143:144]
	v_fma_f64 v[127:128], v[127:128], v[22:23], -v[24:25]
	scratch_load_b128 v[22:25], off, off offset:368
	v_add_f64_e32 v[139:140], v[139:140], v[147:148]
	v_add_f64_e32 v[141:142], v[141:142], v[145:146]
	v_fma_f64 v[145:146], v[4:5], v[26:27], v[149:150]
	v_fma_f64 v[147:148], v[2:3], v[26:27], -v[28:29]
	ds_load_b128 v[2:5], v1 offset:880
	s_wait_loadcnt_dscnt 0x901
	v_mul_f64_e32 v[143:144], v[135:136], v[32:33]
	v_mul_f64_e32 v[32:33], v[137:138], v[32:33]
	scratch_load_b128 v[26:29], off, off offset:384
	s_wait_loadcnt_dscnt 0x900
	v_mul_f64_e32 v[149:150], v[2:3], v[40:41]
	v_mul_f64_e32 v[40:41], v[4:5], v[40:41]
	v_add_f64_e32 v[139:140], v[139:140], v[127:128]
	v_add_f64_e32 v[141:142], v[141:142], v[129:130]
	ds_load_b128 v[127:130], v1 offset:896
	v_fma_f64 v[137:138], v[137:138], v[30:31], v[143:144]
	v_fma_f64 v[135:136], v[135:136], v[30:31], -v[32:33]
	scratch_load_b128 v[30:33], off, off offset:400
	v_add_f64_e32 v[139:140], v[139:140], v[147:148]
	v_add_f64_e32 v[141:142], v[141:142], v[145:146]
	v_fma_f64 v[147:148], v[4:5], v[38:39], v[149:150]
	v_fma_f64 v[149:150], v[2:3], v[38:39], -v[40:41]
	ds_load_b128 v[2:5], v1 offset:912
	s_wait_loadcnt_dscnt 0x801
	v_mul_f64_e32 v[143:144], v[127:128], v[133:134]
	v_mul_f64_e32 v[145:146], v[129:130], v[133:134]
	scratch_load_b128 v[38:41], off, off offset:416
	v_add_f64_e32 v[139:140], v[139:140], v[135:136]
	v_add_f64_e32 v[137:138], v[141:142], v[137:138]
	ds_load_b128 v[133:136], v1 offset:928
	v_fma_f64 v[143:144], v[129:130], v[131:132], v[143:144]
	v_fma_f64 v[131:132], v[127:128], v[131:132], -v[145:146]
	scratch_load_b128 v[127:130], off, off offset:432
	s_wait_loadcnt_dscnt 0x901
	v_mul_f64_e32 v[141:142], v[2:3], v[36:37]
	v_mul_f64_e32 v[36:37], v[4:5], v[36:37]
	v_add_f64_e32 v[139:140], v[139:140], v[149:150]
	v_add_f64_e32 v[137:138], v[137:138], v[147:148]
	s_delay_alu instid0(VALU_DEP_4) | instskip(NEXT) | instid1(VALU_DEP_4)
	v_fma_f64 v[141:142], v[4:5], v[34:35], v[141:142]
	v_fma_f64 v[147:148], v[2:3], v[34:35], -v[36:37]
	ds_load_b128 v[2:5], v1 offset:944
	s_wait_loadcnt_dscnt 0x801
	v_mul_f64_e32 v[145:146], v[133:134], v[8:9]
	v_mul_f64_e32 v[8:9], v[135:136], v[8:9]
	scratch_load_b128 v[34:37], off, off offset:448
	s_wait_loadcnt_dscnt 0x800
	v_mul_f64_e32 v[149:150], v[2:3], v[12:13]
	v_add_f64_e32 v[131:132], v[139:140], v[131:132]
	v_add_f64_e32 v[143:144], v[137:138], v[143:144]
	v_mul_f64_e32 v[12:13], v[4:5], v[12:13]
	ds_load_b128 v[137:140], v1 offset:960
	v_fma_f64 v[135:136], v[135:136], v[6:7], v[145:146]
	v_fma_f64 v[133:134], v[133:134], v[6:7], -v[8:9]
	scratch_load_b128 v[6:9], off, off offset:464
	v_fma_f64 v[145:146], v[4:5], v[10:11], v[149:150]
	v_add_f64_e32 v[131:132], v[131:132], v[147:148]
	v_add_f64_e32 v[141:142], v[143:144], v[141:142]
	v_fma_f64 v[147:148], v[2:3], v[10:11], -v[12:13]
	ds_load_b128 v[2:5], v1 offset:976
	s_wait_loadcnt_dscnt 0x801
	v_mul_f64_e32 v[143:144], v[137:138], v[16:17]
	v_mul_f64_e32 v[16:17], v[139:140], v[16:17]
	scratch_load_b128 v[10:13], off, off offset:480
	v_add_f64_e32 v[149:150], v[131:132], v[133:134]
	v_add_f64_e32 v[135:136], v[141:142], v[135:136]
	s_wait_loadcnt_dscnt 0x800
	v_mul_f64_e32 v[141:142], v[2:3], v[20:21]
	v_mul_f64_e32 v[20:21], v[4:5], v[20:21]
	v_fma_f64 v[139:140], v[139:140], v[14:15], v[143:144]
	v_fma_f64 v[137:138], v[137:138], v[14:15], -v[16:17]
	ds_load_b128 v[131:134], v1 offset:992
	scratch_load_b128 v[14:17], off, off offset:496
	v_add_f64_e32 v[143:144], v[149:150], v[147:148]
	v_add_f64_e32 v[135:136], v[135:136], v[145:146]
	v_fma_f64 v[141:142], v[4:5], v[18:19], v[141:142]
	v_fma_f64 v[147:148], v[2:3], v[18:19], -v[20:21]
	ds_load_b128 v[2:5], v1 offset:1008
	s_wait_loadcnt_dscnt 0x801
	v_mul_f64_e32 v[145:146], v[131:132], v[24:25]
	v_mul_f64_e32 v[24:25], v[133:134], v[24:25]
	scratch_load_b128 v[18:21], off, off offset:512
	s_wait_loadcnt_dscnt 0x800
	v_mul_f64_e32 v[149:150], v[2:3], v[28:29]
	v_mul_f64_e32 v[28:29], v[4:5], v[28:29]
	v_add_f64_e32 v[143:144], v[143:144], v[137:138]
	v_add_f64_e32 v[139:140], v[135:136], v[139:140]
	ds_load_b128 v[135:138], v1 offset:1024
	v_fma_f64 v[133:134], v[133:134], v[22:23], v[145:146]
	v_fma_f64 v[131:132], v[131:132], v[22:23], -v[24:25]
	scratch_load_b128 v[22:25], off, off offset:528
	v_fma_f64 v[145:146], v[4:5], v[26:27], v[149:150]
	v_add_f64_e32 v[143:144], v[143:144], v[147:148]
	v_add_f64_e32 v[139:140], v[139:140], v[141:142]
	v_fma_f64 v[147:148], v[2:3], v[26:27], -v[28:29]
	ds_load_b128 v[2:5], v1 offset:1040
	s_wait_loadcnt_dscnt 0x801
	v_mul_f64_e32 v[141:142], v[135:136], v[32:33]
	v_mul_f64_e32 v[32:33], v[137:138], v[32:33]
	scratch_load_b128 v[26:29], off, off offset:544
	s_wait_loadcnt_dscnt 0x800
	v_mul_f64_e32 v[149:150], v[2:3], v[40:41]
	v_mul_f64_e32 v[40:41], v[4:5], v[40:41]
	v_add_f64_e32 v[143:144], v[143:144], v[131:132]
	v_add_f64_e32 v[139:140], v[139:140], v[133:134]
	ds_load_b128 v[131:134], v1 offset:1056
	v_fma_f64 v[137:138], v[137:138], v[30:31], v[141:142]
	v_fma_f64 v[135:136], v[135:136], v[30:31], -v[32:33]
	scratch_load_b128 v[30:33], off, off offset:560
	v_add_f64_e32 v[141:142], v[143:144], v[147:148]
	v_add_f64_e32 v[139:140], v[139:140], v[145:146]
	v_fma_f64 v[145:146], v[4:5], v[38:39], v[149:150]
	v_fma_f64 v[147:148], v[2:3], v[38:39], -v[40:41]
	ds_load_b128 v[2:5], v1 offset:1072
	s_wait_loadcnt_dscnt 0x801
	v_mul_f64_e32 v[143:144], v[131:132], v[129:130]
	v_mul_f64_e32 v[129:130], v[133:134], v[129:130]
	scratch_load_b128 v[38:41], off, off offset:576
	s_wait_loadcnt_dscnt 0x800
	v_mul_f64_e32 v[149:150], v[2:3], v[36:37]
	v_mul_f64_e32 v[36:37], v[4:5], v[36:37]
	v_add_f64_e32 v[141:142], v[141:142], v[135:136]
	v_add_f64_e32 v[139:140], v[139:140], v[137:138]
	ds_load_b128 v[135:138], v1 offset:1088
	v_fma_f64 v[133:134], v[133:134], v[127:128], v[143:144]
	v_fma_f64 v[131:132], v[131:132], v[127:128], -v[129:130]
	scratch_load_b128 v[127:130], off, off offset:592
	v_add_f64_e32 v[141:142], v[141:142], v[147:148]
	v_add_f64_e32 v[139:140], v[139:140], v[145:146]
	v_fma_f64 v[145:146], v[4:5], v[34:35], v[149:150]
	v_fma_f64 v[147:148], v[2:3], v[34:35], -v[36:37]
	ds_load_b128 v[2:5], v1 offset:1104
	s_wait_loadcnt_dscnt 0x801
	v_mul_f64_e32 v[143:144], v[135:136], v[8:9]
	v_mul_f64_e32 v[8:9], v[137:138], v[8:9]
	scratch_load_b128 v[34:37], off, off offset:608
	s_wait_loadcnt_dscnt 0x800
	v_mul_f64_e32 v[149:150], v[2:3], v[12:13]
	v_mul_f64_e32 v[12:13], v[4:5], v[12:13]
	v_add_f64_e32 v[141:142], v[141:142], v[131:132]
	v_add_f64_e32 v[139:140], v[139:140], v[133:134]
	ds_load_b128 v[131:134], v1 offset:1120
	v_fma_f64 v[137:138], v[137:138], v[6:7], v[143:144]
	v_fma_f64 v[135:136], v[135:136], v[6:7], -v[8:9]
	scratch_load_b128 v[6:9], off, off offset:624
	v_add_f64_e32 v[141:142], v[141:142], v[147:148]
	v_add_f64_e32 v[139:140], v[139:140], v[145:146]
	v_fma_f64 v[145:146], v[4:5], v[10:11], v[149:150]
	v_fma_f64 v[147:148], v[2:3], v[10:11], -v[12:13]
	ds_load_b128 v[2:5], v1 offset:1136
	s_wait_loadcnt_dscnt 0x801
	v_mul_f64_e32 v[143:144], v[131:132], v[16:17]
	v_mul_f64_e32 v[16:17], v[133:134], v[16:17]
	scratch_load_b128 v[10:13], off, off offset:640
	s_wait_loadcnt_dscnt 0x800
	v_mul_f64_e32 v[149:150], v[2:3], v[20:21]
	v_mul_f64_e32 v[20:21], v[4:5], v[20:21]
	v_add_f64_e32 v[141:142], v[141:142], v[135:136]
	v_add_f64_e32 v[139:140], v[139:140], v[137:138]
	ds_load_b128 v[135:138], v1 offset:1152
	v_fma_f64 v[133:134], v[133:134], v[14:15], v[143:144]
	v_fma_f64 v[14:15], v[131:132], v[14:15], -v[16:17]
	v_add_f64_e32 v[16:17], v[141:142], v[147:148]
	v_add_f64_e32 v[131:132], v[139:140], v[145:146]
	s_wait_loadcnt_dscnt 0x700
	v_mul_f64_e32 v[139:140], v[135:136], v[24:25]
	v_mul_f64_e32 v[24:25], v[137:138], v[24:25]
	v_fma_f64 v[141:142], v[4:5], v[18:19], v[149:150]
	v_fma_f64 v[18:19], v[2:3], v[18:19], -v[20:21]
	v_add_f64_e32 v[20:21], v[16:17], v[14:15]
	v_add_f64_e32 v[131:132], v[131:132], v[133:134]
	ds_load_b128 v[2:5], v1 offset:1168
	ds_load_b128 v[14:17], v1 offset:1184
	v_fma_f64 v[137:138], v[137:138], v[22:23], v[139:140]
	v_fma_f64 v[22:23], v[135:136], v[22:23], -v[24:25]
	s_wait_loadcnt_dscnt 0x601
	v_mul_f64_e32 v[133:134], v[2:3], v[28:29]
	v_mul_f64_e32 v[28:29], v[4:5], v[28:29]
	s_wait_loadcnt_dscnt 0x500
	v_mul_f64_e32 v[24:25], v[14:15], v[32:33]
	v_mul_f64_e32 v[32:33], v[16:17], v[32:33]
	v_add_f64_e32 v[18:19], v[20:21], v[18:19]
	v_add_f64_e32 v[20:21], v[131:132], v[141:142]
	v_fma_f64 v[131:132], v[4:5], v[26:27], v[133:134]
	v_fma_f64 v[26:27], v[2:3], v[26:27], -v[28:29]
	v_fma_f64 v[16:17], v[16:17], v[30:31], v[24:25]
	v_fma_f64 v[14:15], v[14:15], v[30:31], -v[32:33]
	v_add_f64_e32 v[22:23], v[18:19], v[22:23]
	v_add_f64_e32 v[28:29], v[20:21], v[137:138]
	ds_load_b128 v[2:5], v1 offset:1200
	ds_load_b128 v[18:21], v1 offset:1216
	s_wait_loadcnt_dscnt 0x401
	v_mul_f64_e32 v[133:134], v[2:3], v[40:41]
	v_mul_f64_e32 v[40:41], v[4:5], v[40:41]
	v_add_f64_e32 v[22:23], v[22:23], v[26:27]
	v_add_f64_e32 v[24:25], v[28:29], v[131:132]
	s_wait_loadcnt_dscnt 0x300
	v_mul_f64_e32 v[26:27], v[18:19], v[129:130]
	v_mul_f64_e32 v[28:29], v[20:21], v[129:130]
	v_fma_f64 v[30:31], v[4:5], v[38:39], v[133:134]
	v_fma_f64 v[32:33], v[2:3], v[38:39], -v[40:41]
	v_add_f64_e32 v[22:23], v[22:23], v[14:15]
	v_add_f64_e32 v[24:25], v[24:25], v[16:17]
	ds_load_b128 v[2:5], v1 offset:1232
	ds_load_b128 v[14:17], v1 offset:1248
	v_fma_f64 v[20:21], v[20:21], v[127:128], v[26:27]
	v_fma_f64 v[18:19], v[18:19], v[127:128], -v[28:29]
	s_wait_loadcnt_dscnt 0x201
	v_mul_f64_e32 v[38:39], v[2:3], v[36:37]
	v_mul_f64_e32 v[36:37], v[4:5], v[36:37]
	s_wait_loadcnt_dscnt 0x100
	v_mul_f64_e32 v[26:27], v[14:15], v[8:9]
	v_mul_f64_e32 v[8:9], v[16:17], v[8:9]
	v_add_f64_e32 v[22:23], v[22:23], v[32:33]
	v_add_f64_e32 v[24:25], v[24:25], v[30:31]
	v_fma_f64 v[28:29], v[4:5], v[34:35], v[38:39]
	v_fma_f64 v[30:31], v[2:3], v[34:35], -v[36:37]
	ds_load_b128 v[2:5], v1 offset:1264
	v_fma_f64 v[16:17], v[16:17], v[6:7], v[26:27]
	v_fma_f64 v[6:7], v[14:15], v[6:7], -v[8:9]
	v_add_f64_e32 v[18:19], v[22:23], v[18:19]
	v_add_f64_e32 v[20:21], v[24:25], v[20:21]
	s_wait_loadcnt_dscnt 0x0
	v_mul_f64_e32 v[22:23], v[2:3], v[12:13]
	v_mul_f64_e32 v[12:13], v[4:5], v[12:13]
	s_delay_alu instid0(VALU_DEP_4) | instskip(NEXT) | instid1(VALU_DEP_4)
	v_add_f64_e32 v[8:9], v[18:19], v[30:31]
	v_add_f64_e32 v[14:15], v[20:21], v[28:29]
	s_delay_alu instid0(VALU_DEP_4) | instskip(NEXT) | instid1(VALU_DEP_4)
	v_fma_f64 v[4:5], v[4:5], v[10:11], v[22:23]
	v_fma_f64 v[2:3], v[2:3], v[10:11], -v[12:13]
	s_delay_alu instid0(VALU_DEP_4) | instskip(NEXT) | instid1(VALU_DEP_4)
	v_add_f64_e32 v[6:7], v[8:9], v[6:7]
	v_add_f64_e32 v[8:9], v[14:15], v[16:17]
	s_delay_alu instid0(VALU_DEP_2) | instskip(NEXT) | instid1(VALU_DEP_2)
	v_add_f64_e32 v[2:3], v[6:7], v[2:3]
	v_add_f64_e32 v[4:5], v[8:9], v[4:5]
	s_delay_alu instid0(VALU_DEP_2) | instskip(NEXT) | instid1(VALU_DEP_2)
	v_add_f64_e64 v[2:3], v[42:43], -v[2:3]
	v_add_f64_e64 v[4:5], v[44:45], -v[4:5]
	scratch_store_b128 off, v[2:5], off offset:112
	v_cmpx_lt_u32_e32 5, v0
	s_cbranch_execz .LBB39_243
; %bb.242:
	scratch_load_b128 v[5:8], off, s48
	v_dual_mov_b32 v2, v1 :: v_dual_mov_b32 v3, v1
	v_mov_b32_e32 v4, v1
	scratch_store_b128 off, v[1:4], off offset:96
	s_wait_loadcnt 0x0
	ds_store_b128 v126, v[5:8]
.LBB39_243:
	s_wait_alu 0xfffe
	s_or_b32 exec_lo, exec_lo, s0
	s_wait_storecnt_dscnt 0x0
	s_barrier_signal -1
	s_barrier_wait -1
	global_inv scope:SCOPE_SE
	s_clause 0x8
	scratch_load_b128 v[2:5], off, off offset:112
	scratch_load_b128 v[6:9], off, off offset:128
	;; [unrolled: 1-line block ×9, first 2 shown]
	ds_load_b128 v[38:41], v1 offset:736
	ds_load_b128 v[42:45], v1 offset:752
	s_clause 0x1
	scratch_load_b128 v[127:130], off, off offset:96
	scratch_load_b128 v[131:134], off, off offset:256
	s_mov_b32 s0, exec_lo
	s_wait_loadcnt_dscnt 0xa01
	v_mul_f64_e32 v[135:136], v[40:41], v[4:5]
	v_mul_f64_e32 v[4:5], v[38:39], v[4:5]
	s_wait_loadcnt_dscnt 0x900
	v_mul_f64_e32 v[139:140], v[42:43], v[8:9]
	v_mul_f64_e32 v[8:9], v[44:45], v[8:9]
	s_delay_alu instid0(VALU_DEP_4) | instskip(NEXT) | instid1(VALU_DEP_4)
	v_fma_f64 v[141:142], v[38:39], v[2:3], -v[135:136]
	v_fma_f64 v[143:144], v[40:41], v[2:3], v[4:5]
	ds_load_b128 v[2:5], v1 offset:768
	ds_load_b128 v[135:138], v1 offset:784
	scratch_load_b128 v[38:41], off, off offset:272
	v_fma_f64 v[44:45], v[44:45], v[6:7], v[139:140]
	v_fma_f64 v[42:43], v[42:43], v[6:7], -v[8:9]
	scratch_load_b128 v[6:9], off, off offset:288
	s_wait_loadcnt_dscnt 0xa01
	v_mul_f64_e32 v[145:146], v[2:3], v[12:13]
	v_mul_f64_e32 v[12:13], v[4:5], v[12:13]
	v_add_f64_e32 v[139:140], 0, v[141:142]
	v_add_f64_e32 v[141:142], 0, v[143:144]
	s_wait_loadcnt_dscnt 0x900
	v_mul_f64_e32 v[143:144], v[135:136], v[16:17]
	v_mul_f64_e32 v[16:17], v[137:138], v[16:17]
	v_fma_f64 v[145:146], v[4:5], v[10:11], v[145:146]
	v_fma_f64 v[147:148], v[2:3], v[10:11], -v[12:13]
	ds_load_b128 v[2:5], v1 offset:800
	scratch_load_b128 v[10:13], off, off offset:304
	v_add_f64_e32 v[139:140], v[139:140], v[42:43]
	v_add_f64_e32 v[141:142], v[141:142], v[44:45]
	ds_load_b128 v[42:45], v1 offset:816
	v_fma_f64 v[137:138], v[137:138], v[14:15], v[143:144]
	v_fma_f64 v[135:136], v[135:136], v[14:15], -v[16:17]
	scratch_load_b128 v[14:17], off, off offset:320
	s_wait_loadcnt_dscnt 0xa01
	v_mul_f64_e32 v[149:150], v[2:3], v[20:21]
	v_mul_f64_e32 v[20:21], v[4:5], v[20:21]
	s_wait_loadcnt_dscnt 0x900
	v_mul_f64_e32 v[143:144], v[42:43], v[24:25]
	v_mul_f64_e32 v[24:25], v[44:45], v[24:25]
	v_add_f64_e32 v[139:140], v[139:140], v[147:148]
	v_add_f64_e32 v[141:142], v[141:142], v[145:146]
	v_fma_f64 v[145:146], v[4:5], v[18:19], v[149:150]
	v_fma_f64 v[147:148], v[2:3], v[18:19], -v[20:21]
	ds_load_b128 v[2:5], v1 offset:832
	scratch_load_b128 v[18:21], off, off offset:336
	v_fma_f64 v[44:45], v[44:45], v[22:23], v[143:144]
	v_fma_f64 v[42:43], v[42:43], v[22:23], -v[24:25]
	scratch_load_b128 v[22:25], off, off offset:352
	v_add_f64_e32 v[139:140], v[139:140], v[135:136]
	v_add_f64_e32 v[141:142], v[141:142], v[137:138]
	ds_load_b128 v[135:138], v1 offset:848
	s_wait_loadcnt_dscnt 0xa01
	v_mul_f64_e32 v[149:150], v[2:3], v[28:29]
	v_mul_f64_e32 v[28:29], v[4:5], v[28:29]
	s_wait_loadcnt_dscnt 0x900
	v_mul_f64_e32 v[143:144], v[135:136], v[32:33]
	v_mul_f64_e32 v[32:33], v[137:138], v[32:33]
	v_add_f64_e32 v[139:140], v[139:140], v[147:148]
	v_add_f64_e32 v[141:142], v[141:142], v[145:146]
	v_fma_f64 v[145:146], v[4:5], v[26:27], v[149:150]
	v_fma_f64 v[147:148], v[2:3], v[26:27], -v[28:29]
	ds_load_b128 v[2:5], v1 offset:864
	scratch_load_b128 v[26:29], off, off offset:368
	v_fma_f64 v[137:138], v[137:138], v[30:31], v[143:144]
	v_fma_f64 v[135:136], v[135:136], v[30:31], -v[32:33]
	scratch_load_b128 v[30:33], off, off offset:384
	v_add_f64_e32 v[139:140], v[139:140], v[42:43]
	v_add_f64_e32 v[141:142], v[141:142], v[44:45]
	ds_load_b128 v[42:45], v1 offset:880
	s_wait_loadcnt_dscnt 0xa01
	v_mul_f64_e32 v[149:150], v[2:3], v[36:37]
	v_mul_f64_e32 v[36:37], v[4:5], v[36:37]
	s_wait_loadcnt_dscnt 0x800
	v_mul_f64_e32 v[143:144], v[42:43], v[133:134]
	v_add_f64_e32 v[139:140], v[139:140], v[147:148]
	v_add_f64_e32 v[141:142], v[141:142], v[145:146]
	v_mul_f64_e32 v[145:146], v[44:45], v[133:134]
	v_fma_f64 v[147:148], v[4:5], v[34:35], v[149:150]
	v_fma_f64 v[149:150], v[2:3], v[34:35], -v[36:37]
	ds_load_b128 v[2:5], v1 offset:896
	scratch_load_b128 v[34:37], off, off offset:400
	v_fma_f64 v[44:45], v[44:45], v[131:132], v[143:144]
	v_add_f64_e32 v[139:140], v[139:140], v[135:136]
	v_add_f64_e32 v[137:138], v[141:142], v[137:138]
	ds_load_b128 v[133:136], v1 offset:912
	v_fma_f64 v[131:132], v[42:43], v[131:132], -v[145:146]
	s_wait_loadcnt_dscnt 0x801
	v_mul_f64_e32 v[141:142], v[2:3], v[40:41]
	v_mul_f64_e32 v[151:152], v[4:5], v[40:41]
	scratch_load_b128 v[40:43], off, off offset:416
	s_wait_loadcnt_dscnt 0x800
	v_mul_f64_e32 v[145:146], v[133:134], v[8:9]
	v_mul_f64_e32 v[8:9], v[135:136], v[8:9]
	v_add_f64_e32 v[139:140], v[139:140], v[149:150]
	v_add_f64_e32 v[137:138], v[137:138], v[147:148]
	v_fma_f64 v[147:148], v[4:5], v[38:39], v[141:142]
	v_fma_f64 v[38:39], v[2:3], v[38:39], -v[151:152]
	ds_load_b128 v[2:5], v1 offset:928
	ds_load_b128 v[141:144], v1 offset:944
	v_fma_f64 v[135:136], v[135:136], v[6:7], v[145:146]
	v_fma_f64 v[133:134], v[133:134], v[6:7], -v[8:9]
	scratch_load_b128 v[6:9], off, off offset:448
	v_add_f64_e32 v[131:132], v[139:140], v[131:132]
	v_add_f64_e32 v[44:45], v[137:138], v[44:45]
	scratch_load_b128 v[137:140], off, off offset:432
	s_wait_loadcnt_dscnt 0x901
	v_mul_f64_e32 v[149:150], v[2:3], v[12:13]
	v_mul_f64_e32 v[12:13], v[4:5], v[12:13]
	s_wait_loadcnt_dscnt 0x800
	v_mul_f64_e32 v[145:146], v[141:142], v[16:17]
	v_mul_f64_e32 v[16:17], v[143:144], v[16:17]
	v_add_f64_e32 v[38:39], v[131:132], v[38:39]
	v_add_f64_e32 v[44:45], v[44:45], v[147:148]
	v_fma_f64 v[147:148], v[4:5], v[10:11], v[149:150]
	v_fma_f64 v[149:150], v[2:3], v[10:11], -v[12:13]
	ds_load_b128 v[2:5], v1 offset:960
	scratch_load_b128 v[10:13], off, off offset:464
	v_fma_f64 v[143:144], v[143:144], v[14:15], v[145:146]
	v_fma_f64 v[141:142], v[141:142], v[14:15], -v[16:17]
	scratch_load_b128 v[14:17], off, off offset:480
	v_add_f64_e32 v[38:39], v[38:39], v[133:134]
	v_add_f64_e32 v[44:45], v[44:45], v[135:136]
	ds_load_b128 v[131:134], v1 offset:976
	s_wait_loadcnt_dscnt 0x901
	v_mul_f64_e32 v[135:136], v[2:3], v[20:21]
	v_mul_f64_e32 v[20:21], v[4:5], v[20:21]
	s_wait_loadcnt_dscnt 0x800
	v_mul_f64_e32 v[145:146], v[131:132], v[24:25]
	v_mul_f64_e32 v[24:25], v[133:134], v[24:25]
	v_add_f64_e32 v[38:39], v[38:39], v[149:150]
	v_add_f64_e32 v[44:45], v[44:45], v[147:148]
	v_fma_f64 v[135:136], v[4:5], v[18:19], v[135:136]
	v_fma_f64 v[147:148], v[2:3], v[18:19], -v[20:21]
	ds_load_b128 v[2:5], v1 offset:992
	scratch_load_b128 v[18:21], off, off offset:496
	v_fma_f64 v[133:134], v[133:134], v[22:23], v[145:146]
	v_fma_f64 v[131:132], v[131:132], v[22:23], -v[24:25]
	scratch_load_b128 v[22:25], off, off offset:512
	v_add_f64_e32 v[38:39], v[38:39], v[141:142]
	v_add_f64_e32 v[44:45], v[44:45], v[143:144]
	ds_load_b128 v[141:144], v1 offset:1008
	s_wait_loadcnt_dscnt 0x901
	v_mul_f64_e32 v[149:150], v[2:3], v[28:29]
	v_mul_f64_e32 v[28:29], v[4:5], v[28:29]
	v_add_f64_e32 v[38:39], v[38:39], v[147:148]
	v_add_f64_e32 v[44:45], v[44:45], v[135:136]
	s_wait_loadcnt_dscnt 0x800
	v_mul_f64_e32 v[135:136], v[141:142], v[32:33]
	v_mul_f64_e32 v[32:33], v[143:144], v[32:33]
	v_fma_f64 v[145:146], v[4:5], v[26:27], v[149:150]
	v_fma_f64 v[147:148], v[2:3], v[26:27], -v[28:29]
	ds_load_b128 v[2:5], v1 offset:1024
	scratch_load_b128 v[26:29], off, off offset:528
	v_add_f64_e32 v[38:39], v[38:39], v[131:132]
	v_add_f64_e32 v[44:45], v[44:45], v[133:134]
	ds_load_b128 v[131:134], v1 offset:1040
	s_wait_loadcnt_dscnt 0x801
	v_mul_f64_e32 v[149:150], v[2:3], v[36:37]
	v_mul_f64_e32 v[36:37], v[4:5], v[36:37]
	v_fma_f64 v[135:136], v[143:144], v[30:31], v[135:136]
	v_fma_f64 v[141:142], v[141:142], v[30:31], -v[32:33]
	scratch_load_b128 v[30:33], off, off offset:544
	s_wait_loadcnt_dscnt 0x800
	v_mul_f64_e32 v[143:144], v[131:132], v[42:43]
	v_add_f64_e32 v[38:39], v[38:39], v[147:148]
	v_add_f64_e32 v[44:45], v[44:45], v[145:146]
	v_mul_f64_e32 v[145:146], v[133:134], v[42:43]
	v_fma_f64 v[147:148], v[4:5], v[34:35], v[149:150]
	v_fma_f64 v[149:150], v[2:3], v[34:35], -v[36:37]
	ds_load_b128 v[2:5], v1 offset:1056
	scratch_load_b128 v[34:37], off, off offset:560
	v_fma_f64 v[133:134], v[133:134], v[40:41], v[143:144]
	v_add_f64_e32 v[38:39], v[38:39], v[141:142]
	v_add_f64_e32 v[135:136], v[44:45], v[135:136]
	ds_load_b128 v[42:45], v1 offset:1072
	v_fma_f64 v[131:132], v[131:132], v[40:41], -v[145:146]
	s_wait_loadcnt_dscnt 0x701
	v_mul_f64_e32 v[141:142], v[2:3], v[139:140]
	v_mul_f64_e32 v[139:140], v[4:5], v[139:140]
	s_wait_dscnt 0x0
	v_mul_f64_e32 v[145:146], v[42:43], v[8:9]
	v_mul_f64_e32 v[8:9], v[44:45], v[8:9]
	v_add_f64_e32 v[143:144], v[38:39], v[149:150]
	v_add_f64_e32 v[135:136], v[135:136], v[147:148]
	scratch_load_b128 v[38:41], off, off offset:576
	v_fma_f64 v[141:142], v[4:5], v[137:138], v[141:142]
	v_fma_f64 v[139:140], v[2:3], v[137:138], -v[139:140]
	ds_load_b128 v[2:5], v1 offset:1088
	v_fma_f64 v[44:45], v[44:45], v[6:7], v[145:146]
	v_fma_f64 v[42:43], v[42:43], v[6:7], -v[8:9]
	scratch_load_b128 v[6:9], off, off offset:608
	v_add_f64_e32 v[143:144], v[143:144], v[131:132]
	v_add_f64_e32 v[147:148], v[135:136], v[133:134]
	scratch_load_b128 v[131:134], off, off offset:592
	ds_load_b128 v[135:138], v1 offset:1104
	s_wait_loadcnt_dscnt 0x901
	v_mul_f64_e32 v[149:150], v[2:3], v[12:13]
	v_mul_f64_e32 v[12:13], v[4:5], v[12:13]
	v_add_f64_e32 v[139:140], v[143:144], v[139:140]
	v_add_f64_e32 v[141:142], v[147:148], v[141:142]
	s_wait_loadcnt_dscnt 0x800
	v_mul_f64_e32 v[143:144], v[135:136], v[16:17]
	v_mul_f64_e32 v[16:17], v[137:138], v[16:17]
	v_fma_f64 v[145:146], v[4:5], v[10:11], v[149:150]
	v_fma_f64 v[147:148], v[2:3], v[10:11], -v[12:13]
	ds_load_b128 v[2:5], v1 offset:1120
	scratch_load_b128 v[10:13], off, off offset:624
	v_add_f64_e32 v[139:140], v[139:140], v[42:43]
	v_add_f64_e32 v[141:142], v[141:142], v[44:45]
	ds_load_b128 v[42:45], v1 offset:1136
	s_wait_loadcnt_dscnt 0x801
	v_mul_f64_e32 v[149:150], v[2:3], v[20:21]
	v_mul_f64_e32 v[20:21], v[4:5], v[20:21]
	v_fma_f64 v[137:138], v[137:138], v[14:15], v[143:144]
	v_fma_f64 v[135:136], v[135:136], v[14:15], -v[16:17]
	scratch_load_b128 v[14:17], off, off offset:640
	s_wait_loadcnt_dscnt 0x800
	v_mul_f64_e32 v[143:144], v[42:43], v[24:25]
	v_mul_f64_e32 v[24:25], v[44:45], v[24:25]
	v_add_f64_e32 v[139:140], v[139:140], v[147:148]
	v_add_f64_e32 v[141:142], v[141:142], v[145:146]
	v_fma_f64 v[145:146], v[4:5], v[18:19], v[149:150]
	v_fma_f64 v[147:148], v[2:3], v[18:19], -v[20:21]
	ds_load_b128 v[2:5], v1 offset:1152
	ds_load_b128 v[18:21], v1 offset:1168
	v_fma_f64 v[44:45], v[44:45], v[22:23], v[143:144]
	v_fma_f64 v[22:23], v[42:43], v[22:23], -v[24:25]
	v_add_f64_e32 v[135:136], v[139:140], v[135:136]
	v_add_f64_e32 v[137:138], v[141:142], v[137:138]
	s_wait_loadcnt_dscnt 0x701
	v_mul_f64_e32 v[139:140], v[2:3], v[28:29]
	v_mul_f64_e32 v[28:29], v[4:5], v[28:29]
	s_delay_alu instid0(VALU_DEP_4) | instskip(NEXT) | instid1(VALU_DEP_4)
	v_add_f64_e32 v[24:25], v[135:136], v[147:148]
	v_add_f64_e32 v[42:43], v[137:138], v[145:146]
	s_wait_loadcnt_dscnt 0x600
	v_mul_f64_e32 v[135:136], v[18:19], v[32:33]
	v_mul_f64_e32 v[32:33], v[20:21], v[32:33]
	v_fma_f64 v[137:138], v[4:5], v[26:27], v[139:140]
	v_fma_f64 v[26:27], v[2:3], v[26:27], -v[28:29]
	v_add_f64_e32 v[28:29], v[24:25], v[22:23]
	v_add_f64_e32 v[42:43], v[42:43], v[44:45]
	ds_load_b128 v[2:5], v1 offset:1184
	ds_load_b128 v[22:25], v1 offset:1200
	v_fma_f64 v[20:21], v[20:21], v[30:31], v[135:136]
	v_fma_f64 v[18:19], v[18:19], v[30:31], -v[32:33]
	s_wait_loadcnt_dscnt 0x501
	v_mul_f64_e32 v[44:45], v[2:3], v[36:37]
	v_mul_f64_e32 v[36:37], v[4:5], v[36:37]
	v_add_f64_e32 v[26:27], v[28:29], v[26:27]
	v_add_f64_e32 v[28:29], v[42:43], v[137:138]
	s_wait_loadcnt_dscnt 0x400
	v_mul_f64_e32 v[30:31], v[22:23], v[40:41]
	v_mul_f64_e32 v[32:33], v[24:25], v[40:41]
	v_fma_f64 v[40:41], v[4:5], v[34:35], v[44:45]
	v_fma_f64 v[34:35], v[2:3], v[34:35], -v[36:37]
	v_add_f64_e32 v[26:27], v[26:27], v[18:19]
	v_add_f64_e32 v[28:29], v[28:29], v[20:21]
	ds_load_b128 v[2:5], v1 offset:1216
	ds_load_b128 v[18:21], v1 offset:1232
	v_fma_f64 v[24:25], v[24:25], v[38:39], v[30:31]
	v_fma_f64 v[22:23], v[22:23], v[38:39], -v[32:33]
	s_wait_loadcnt_dscnt 0x201
	v_mul_f64_e32 v[36:37], v[2:3], v[133:134]
	v_mul_f64_e32 v[42:43], v[4:5], v[133:134]
	s_wait_dscnt 0x0
	v_mul_f64_e32 v[30:31], v[18:19], v[8:9]
	v_mul_f64_e32 v[8:9], v[20:21], v[8:9]
	v_add_f64_e32 v[26:27], v[26:27], v[34:35]
	v_add_f64_e32 v[28:29], v[28:29], v[40:41]
	v_fma_f64 v[32:33], v[4:5], v[131:132], v[36:37]
	v_fma_f64 v[34:35], v[2:3], v[131:132], -v[42:43]
	v_fma_f64 v[20:21], v[20:21], v[6:7], v[30:31]
	v_fma_f64 v[6:7], v[18:19], v[6:7], -v[8:9]
	v_add_f64_e32 v[26:27], v[26:27], v[22:23]
	v_add_f64_e32 v[28:29], v[28:29], v[24:25]
	ds_load_b128 v[2:5], v1 offset:1248
	ds_load_b128 v[22:25], v1 offset:1264
	s_wait_loadcnt_dscnt 0x101
	v_mul_f64_e32 v[36:37], v[2:3], v[12:13]
	v_mul_f64_e32 v[12:13], v[4:5], v[12:13]
	v_add_f64_e32 v[8:9], v[26:27], v[34:35]
	v_add_f64_e32 v[18:19], v[28:29], v[32:33]
	s_wait_loadcnt_dscnt 0x0
	v_mul_f64_e32 v[26:27], v[22:23], v[16:17]
	v_mul_f64_e32 v[16:17], v[24:25], v[16:17]
	v_fma_f64 v[4:5], v[4:5], v[10:11], v[36:37]
	v_fma_f64 v[1:2], v[2:3], v[10:11], -v[12:13]
	v_add_f64_e32 v[6:7], v[8:9], v[6:7]
	v_add_f64_e32 v[8:9], v[18:19], v[20:21]
	v_fma_f64 v[10:11], v[24:25], v[14:15], v[26:27]
	v_fma_f64 v[12:13], v[22:23], v[14:15], -v[16:17]
	s_delay_alu instid0(VALU_DEP_4) | instskip(NEXT) | instid1(VALU_DEP_4)
	v_add_f64_e32 v[1:2], v[6:7], v[1:2]
	v_add_f64_e32 v[3:4], v[8:9], v[4:5]
	s_delay_alu instid0(VALU_DEP_2) | instskip(NEXT) | instid1(VALU_DEP_2)
	v_add_f64_e32 v[1:2], v[1:2], v[12:13]
	v_add_f64_e32 v[3:4], v[3:4], v[10:11]
	s_delay_alu instid0(VALU_DEP_2) | instskip(NEXT) | instid1(VALU_DEP_2)
	v_add_f64_e64 v[1:2], v[127:128], -v[1:2]
	v_add_f64_e64 v[3:4], v[129:130], -v[3:4]
	scratch_store_b128 off, v[1:4], off offset:96
	v_cmpx_lt_u32_e32 4, v0
	s_cbranch_execz .LBB39_245
; %bb.244:
	scratch_load_b128 v[1:4], off, s29
	v_mov_b32_e32 v5, 0
	s_delay_alu instid0(VALU_DEP_1)
	v_dual_mov_b32 v6, v5 :: v_dual_mov_b32 v7, v5
	v_mov_b32_e32 v8, v5
	scratch_store_b128 off, v[5:8], off offset:80
	s_wait_loadcnt 0x0
	ds_store_b128 v126, v[1:4]
.LBB39_245:
	s_wait_alu 0xfffe
	s_or_b32 exec_lo, exec_lo, s0
	s_wait_storecnt_dscnt 0x0
	s_barrier_signal -1
	s_barrier_wait -1
	global_inv scope:SCOPE_SE
	s_clause 0x7
	scratch_load_b128 v[2:5], off, off offset:96
	scratch_load_b128 v[6:9], off, off offset:112
	scratch_load_b128 v[10:13], off, off offset:128
	scratch_load_b128 v[14:17], off, off offset:144
	scratch_load_b128 v[18:21], off, off offset:160
	scratch_load_b128 v[22:25], off, off offset:176
	scratch_load_b128 v[26:29], off, off offset:192
	scratch_load_b128 v[30:33], off, off offset:208
	v_mov_b32_e32 v1, 0
	s_mov_b32 s0, exec_lo
	ds_load_b128 v[38:41], v1 offset:720
	s_clause 0x1
	scratch_load_b128 v[34:37], off, off offset:224
	scratch_load_b128 v[42:45], off, off offset:80
	ds_load_b128 v[127:130], v1 offset:736
	scratch_load_b128 v[131:134], off, off offset:240
	s_wait_loadcnt_dscnt 0xa01
	v_mul_f64_e32 v[135:136], v[40:41], v[4:5]
	v_mul_f64_e32 v[4:5], v[38:39], v[4:5]
	s_delay_alu instid0(VALU_DEP_2) | instskip(NEXT) | instid1(VALU_DEP_2)
	v_fma_f64 v[141:142], v[38:39], v[2:3], -v[135:136]
	v_fma_f64 v[143:144], v[40:41], v[2:3], v[4:5]
	ds_load_b128 v[2:5], v1 offset:752
	s_wait_loadcnt_dscnt 0x901
	v_mul_f64_e32 v[139:140], v[127:128], v[8:9]
	v_mul_f64_e32 v[8:9], v[129:130], v[8:9]
	scratch_load_b128 v[38:41], off, off offset:256
	ds_load_b128 v[135:138], v1 offset:768
	s_wait_loadcnt_dscnt 0x901
	v_mul_f64_e32 v[145:146], v[2:3], v[12:13]
	v_mul_f64_e32 v[12:13], v[4:5], v[12:13]
	v_fma_f64 v[129:130], v[129:130], v[6:7], v[139:140]
	v_fma_f64 v[127:128], v[127:128], v[6:7], -v[8:9]
	v_add_f64_e32 v[139:140], 0, v[141:142]
	v_add_f64_e32 v[141:142], 0, v[143:144]
	scratch_load_b128 v[6:9], off, off offset:272
	v_fma_f64 v[145:146], v[4:5], v[10:11], v[145:146]
	v_fma_f64 v[147:148], v[2:3], v[10:11], -v[12:13]
	ds_load_b128 v[2:5], v1 offset:784
	s_wait_loadcnt_dscnt 0x901
	v_mul_f64_e32 v[143:144], v[135:136], v[16:17]
	v_mul_f64_e32 v[16:17], v[137:138], v[16:17]
	scratch_load_b128 v[10:13], off, off offset:288
	v_add_f64_e32 v[139:140], v[139:140], v[127:128]
	v_add_f64_e32 v[141:142], v[141:142], v[129:130]
	s_wait_loadcnt_dscnt 0x900
	v_mul_f64_e32 v[149:150], v[2:3], v[20:21]
	v_mul_f64_e32 v[20:21], v[4:5], v[20:21]
	ds_load_b128 v[127:130], v1 offset:800
	v_fma_f64 v[137:138], v[137:138], v[14:15], v[143:144]
	v_fma_f64 v[135:136], v[135:136], v[14:15], -v[16:17]
	scratch_load_b128 v[14:17], off, off offset:304
	v_add_f64_e32 v[139:140], v[139:140], v[147:148]
	v_add_f64_e32 v[141:142], v[141:142], v[145:146]
	v_fma_f64 v[145:146], v[4:5], v[18:19], v[149:150]
	v_fma_f64 v[147:148], v[2:3], v[18:19], -v[20:21]
	ds_load_b128 v[2:5], v1 offset:816
	s_wait_loadcnt_dscnt 0x901
	v_mul_f64_e32 v[143:144], v[127:128], v[24:25]
	v_mul_f64_e32 v[24:25], v[129:130], v[24:25]
	scratch_load_b128 v[18:21], off, off offset:320
	s_wait_loadcnt_dscnt 0x900
	v_mul_f64_e32 v[149:150], v[2:3], v[28:29]
	v_mul_f64_e32 v[28:29], v[4:5], v[28:29]
	v_add_f64_e32 v[139:140], v[139:140], v[135:136]
	v_add_f64_e32 v[141:142], v[141:142], v[137:138]
	ds_load_b128 v[135:138], v1 offset:832
	v_fma_f64 v[129:130], v[129:130], v[22:23], v[143:144]
	v_fma_f64 v[127:128], v[127:128], v[22:23], -v[24:25]
	scratch_load_b128 v[22:25], off, off offset:336
	v_add_f64_e32 v[139:140], v[139:140], v[147:148]
	v_add_f64_e32 v[141:142], v[141:142], v[145:146]
	v_fma_f64 v[145:146], v[4:5], v[26:27], v[149:150]
	v_fma_f64 v[147:148], v[2:3], v[26:27], -v[28:29]
	ds_load_b128 v[2:5], v1 offset:848
	s_wait_loadcnt_dscnt 0x901
	v_mul_f64_e32 v[143:144], v[135:136], v[32:33]
	v_mul_f64_e32 v[32:33], v[137:138], v[32:33]
	scratch_load_b128 v[26:29], off, off offset:352
	s_wait_loadcnt_dscnt 0x900
	v_mul_f64_e32 v[149:150], v[2:3], v[36:37]
	v_mul_f64_e32 v[36:37], v[4:5], v[36:37]
	v_add_f64_e32 v[139:140], v[139:140], v[127:128]
	v_add_f64_e32 v[141:142], v[141:142], v[129:130]
	ds_load_b128 v[127:130], v1 offset:864
	v_fma_f64 v[137:138], v[137:138], v[30:31], v[143:144]
	v_fma_f64 v[135:136], v[135:136], v[30:31], -v[32:33]
	scratch_load_b128 v[30:33], off, off offset:368
	v_add_f64_e32 v[139:140], v[139:140], v[147:148]
	v_add_f64_e32 v[141:142], v[141:142], v[145:146]
	v_fma_f64 v[147:148], v[4:5], v[34:35], v[149:150]
	v_fma_f64 v[149:150], v[2:3], v[34:35], -v[36:37]
	ds_load_b128 v[2:5], v1 offset:880
	s_wait_loadcnt_dscnt 0x801
	v_mul_f64_e32 v[143:144], v[127:128], v[133:134]
	v_mul_f64_e32 v[145:146], v[129:130], v[133:134]
	scratch_load_b128 v[34:37], off, off offset:384
	v_add_f64_e32 v[139:140], v[139:140], v[135:136]
	v_add_f64_e32 v[137:138], v[141:142], v[137:138]
	ds_load_b128 v[133:136], v1 offset:896
	v_fma_f64 v[143:144], v[129:130], v[131:132], v[143:144]
	v_fma_f64 v[131:132], v[127:128], v[131:132], -v[145:146]
	scratch_load_b128 v[127:130], off, off offset:400
	s_wait_loadcnt_dscnt 0x901
	v_mul_f64_e32 v[141:142], v[2:3], v[40:41]
	v_mul_f64_e32 v[40:41], v[4:5], v[40:41]
	v_add_f64_e32 v[139:140], v[139:140], v[149:150]
	v_add_f64_e32 v[137:138], v[137:138], v[147:148]
	s_delay_alu instid0(VALU_DEP_4) | instskip(NEXT) | instid1(VALU_DEP_4)
	v_fma_f64 v[141:142], v[4:5], v[38:39], v[141:142]
	v_fma_f64 v[147:148], v[2:3], v[38:39], -v[40:41]
	ds_load_b128 v[2:5], v1 offset:912
	s_wait_loadcnt_dscnt 0x801
	v_mul_f64_e32 v[145:146], v[133:134], v[8:9]
	v_mul_f64_e32 v[8:9], v[135:136], v[8:9]
	scratch_load_b128 v[38:41], off, off offset:416
	s_wait_loadcnt_dscnt 0x800
	v_mul_f64_e32 v[149:150], v[2:3], v[12:13]
	v_add_f64_e32 v[131:132], v[139:140], v[131:132]
	v_add_f64_e32 v[143:144], v[137:138], v[143:144]
	v_mul_f64_e32 v[12:13], v[4:5], v[12:13]
	ds_load_b128 v[137:140], v1 offset:928
	v_fma_f64 v[135:136], v[135:136], v[6:7], v[145:146]
	v_fma_f64 v[133:134], v[133:134], v[6:7], -v[8:9]
	scratch_load_b128 v[6:9], off, off offset:432
	v_fma_f64 v[145:146], v[4:5], v[10:11], v[149:150]
	v_add_f64_e32 v[131:132], v[131:132], v[147:148]
	v_add_f64_e32 v[141:142], v[143:144], v[141:142]
	v_fma_f64 v[147:148], v[2:3], v[10:11], -v[12:13]
	ds_load_b128 v[2:5], v1 offset:944
	s_wait_loadcnt_dscnt 0x801
	v_mul_f64_e32 v[143:144], v[137:138], v[16:17]
	v_mul_f64_e32 v[16:17], v[139:140], v[16:17]
	scratch_load_b128 v[10:13], off, off offset:448
	v_add_f64_e32 v[149:150], v[131:132], v[133:134]
	v_add_f64_e32 v[135:136], v[141:142], v[135:136]
	s_wait_loadcnt_dscnt 0x800
	v_mul_f64_e32 v[141:142], v[2:3], v[20:21]
	v_mul_f64_e32 v[20:21], v[4:5], v[20:21]
	v_fma_f64 v[139:140], v[139:140], v[14:15], v[143:144]
	v_fma_f64 v[137:138], v[137:138], v[14:15], -v[16:17]
	ds_load_b128 v[131:134], v1 offset:960
	scratch_load_b128 v[14:17], off, off offset:464
	v_add_f64_e32 v[143:144], v[149:150], v[147:148]
	v_add_f64_e32 v[135:136], v[135:136], v[145:146]
	v_fma_f64 v[141:142], v[4:5], v[18:19], v[141:142]
	v_fma_f64 v[147:148], v[2:3], v[18:19], -v[20:21]
	ds_load_b128 v[2:5], v1 offset:976
	s_wait_loadcnt_dscnt 0x801
	v_mul_f64_e32 v[145:146], v[131:132], v[24:25]
	v_mul_f64_e32 v[24:25], v[133:134], v[24:25]
	scratch_load_b128 v[18:21], off, off offset:480
	s_wait_loadcnt_dscnt 0x800
	v_mul_f64_e32 v[149:150], v[2:3], v[28:29]
	v_mul_f64_e32 v[28:29], v[4:5], v[28:29]
	v_add_f64_e32 v[143:144], v[143:144], v[137:138]
	v_add_f64_e32 v[139:140], v[135:136], v[139:140]
	ds_load_b128 v[135:138], v1 offset:992
	v_fma_f64 v[133:134], v[133:134], v[22:23], v[145:146]
	v_fma_f64 v[131:132], v[131:132], v[22:23], -v[24:25]
	scratch_load_b128 v[22:25], off, off offset:496
	v_fma_f64 v[145:146], v[4:5], v[26:27], v[149:150]
	v_add_f64_e32 v[143:144], v[143:144], v[147:148]
	v_add_f64_e32 v[139:140], v[139:140], v[141:142]
	v_fma_f64 v[147:148], v[2:3], v[26:27], -v[28:29]
	ds_load_b128 v[2:5], v1 offset:1008
	s_wait_loadcnt_dscnt 0x801
	v_mul_f64_e32 v[141:142], v[135:136], v[32:33]
	v_mul_f64_e32 v[32:33], v[137:138], v[32:33]
	scratch_load_b128 v[26:29], off, off offset:512
	s_wait_loadcnt_dscnt 0x800
	v_mul_f64_e32 v[149:150], v[2:3], v[36:37]
	v_mul_f64_e32 v[36:37], v[4:5], v[36:37]
	v_add_f64_e32 v[143:144], v[143:144], v[131:132]
	v_add_f64_e32 v[139:140], v[139:140], v[133:134]
	ds_load_b128 v[131:134], v1 offset:1024
	v_fma_f64 v[137:138], v[137:138], v[30:31], v[141:142]
	v_fma_f64 v[135:136], v[135:136], v[30:31], -v[32:33]
	scratch_load_b128 v[30:33], off, off offset:528
	v_add_f64_e32 v[141:142], v[143:144], v[147:148]
	v_add_f64_e32 v[139:140], v[139:140], v[145:146]
	v_fma_f64 v[145:146], v[4:5], v[34:35], v[149:150]
	v_fma_f64 v[147:148], v[2:3], v[34:35], -v[36:37]
	ds_load_b128 v[2:5], v1 offset:1040
	s_wait_loadcnt_dscnt 0x801
	v_mul_f64_e32 v[143:144], v[131:132], v[129:130]
	v_mul_f64_e32 v[129:130], v[133:134], v[129:130]
	scratch_load_b128 v[34:37], off, off offset:544
	s_wait_loadcnt_dscnt 0x800
	v_mul_f64_e32 v[149:150], v[2:3], v[40:41]
	v_mul_f64_e32 v[40:41], v[4:5], v[40:41]
	v_add_f64_e32 v[141:142], v[141:142], v[135:136]
	v_add_f64_e32 v[139:140], v[139:140], v[137:138]
	ds_load_b128 v[135:138], v1 offset:1056
	v_fma_f64 v[133:134], v[133:134], v[127:128], v[143:144]
	v_fma_f64 v[131:132], v[131:132], v[127:128], -v[129:130]
	scratch_load_b128 v[127:130], off, off offset:560
	v_add_f64_e32 v[141:142], v[141:142], v[147:148]
	v_add_f64_e32 v[139:140], v[139:140], v[145:146]
	v_fma_f64 v[145:146], v[4:5], v[38:39], v[149:150]
	;; [unrolled: 18-line block ×4, first 2 shown]
	v_fma_f64 v[147:148], v[2:3], v[18:19], -v[20:21]
	ds_load_b128 v[2:5], v1 offset:1136
	s_wait_loadcnt_dscnt 0x801
	v_mul_f64_e32 v[143:144], v[135:136], v[24:25]
	v_mul_f64_e32 v[24:25], v[137:138], v[24:25]
	scratch_load_b128 v[18:21], off, off offset:640
	s_wait_loadcnt_dscnt 0x800
	v_mul_f64_e32 v[149:150], v[2:3], v[28:29]
	v_mul_f64_e32 v[28:29], v[4:5], v[28:29]
	v_add_f64_e32 v[141:142], v[141:142], v[131:132]
	v_add_f64_e32 v[139:140], v[139:140], v[133:134]
	ds_load_b128 v[131:134], v1 offset:1152
	v_fma_f64 v[137:138], v[137:138], v[22:23], v[143:144]
	v_fma_f64 v[22:23], v[135:136], v[22:23], -v[24:25]
	v_add_f64_e32 v[24:25], v[141:142], v[147:148]
	v_add_f64_e32 v[135:136], v[139:140], v[145:146]
	s_wait_loadcnt_dscnt 0x700
	v_mul_f64_e32 v[139:140], v[131:132], v[32:33]
	v_mul_f64_e32 v[32:33], v[133:134], v[32:33]
	v_fma_f64 v[141:142], v[4:5], v[26:27], v[149:150]
	v_fma_f64 v[26:27], v[2:3], v[26:27], -v[28:29]
	v_add_f64_e32 v[28:29], v[24:25], v[22:23]
	v_add_f64_e32 v[135:136], v[135:136], v[137:138]
	ds_load_b128 v[2:5], v1 offset:1168
	ds_load_b128 v[22:25], v1 offset:1184
	v_fma_f64 v[133:134], v[133:134], v[30:31], v[139:140]
	v_fma_f64 v[30:31], v[131:132], v[30:31], -v[32:33]
	s_wait_loadcnt_dscnt 0x601
	v_mul_f64_e32 v[137:138], v[2:3], v[36:37]
	v_mul_f64_e32 v[36:37], v[4:5], v[36:37]
	s_wait_loadcnt_dscnt 0x500
	v_mul_f64_e32 v[32:33], v[22:23], v[129:130]
	v_mul_f64_e32 v[129:130], v[24:25], v[129:130]
	v_add_f64_e32 v[26:27], v[28:29], v[26:27]
	v_add_f64_e32 v[28:29], v[135:136], v[141:142]
	v_fma_f64 v[131:132], v[4:5], v[34:35], v[137:138]
	v_fma_f64 v[34:35], v[2:3], v[34:35], -v[36:37]
	v_fma_f64 v[24:25], v[24:25], v[127:128], v[32:33]
	v_fma_f64 v[22:23], v[22:23], v[127:128], -v[129:130]
	v_add_f64_e32 v[30:31], v[26:27], v[30:31]
	v_add_f64_e32 v[36:37], v[28:29], v[133:134]
	ds_load_b128 v[2:5], v1 offset:1200
	ds_load_b128 v[26:29], v1 offset:1216
	s_wait_loadcnt_dscnt 0x401
	v_mul_f64_e32 v[133:134], v[2:3], v[40:41]
	v_mul_f64_e32 v[40:41], v[4:5], v[40:41]
	v_add_f64_e32 v[30:31], v[30:31], v[34:35]
	v_add_f64_e32 v[32:33], v[36:37], v[131:132]
	s_wait_loadcnt_dscnt 0x300
	v_mul_f64_e32 v[34:35], v[26:27], v[8:9]
	v_mul_f64_e32 v[8:9], v[28:29], v[8:9]
	v_fma_f64 v[36:37], v[4:5], v[38:39], v[133:134]
	v_fma_f64 v[38:39], v[2:3], v[38:39], -v[40:41]
	v_add_f64_e32 v[30:31], v[30:31], v[22:23]
	v_add_f64_e32 v[32:33], v[32:33], v[24:25]
	ds_load_b128 v[2:5], v1 offset:1232
	ds_load_b128 v[22:25], v1 offset:1248
	v_fma_f64 v[28:29], v[28:29], v[6:7], v[34:35]
	v_fma_f64 v[6:7], v[26:27], v[6:7], -v[8:9]
	s_wait_loadcnt_dscnt 0x201
	v_mul_f64_e32 v[40:41], v[2:3], v[12:13]
	v_mul_f64_e32 v[12:13], v[4:5], v[12:13]
	v_add_f64_e32 v[8:9], v[30:31], v[38:39]
	v_add_f64_e32 v[26:27], v[32:33], v[36:37]
	s_wait_loadcnt_dscnt 0x100
	v_mul_f64_e32 v[30:31], v[22:23], v[16:17]
	v_mul_f64_e32 v[16:17], v[24:25], v[16:17]
	v_fma_f64 v[32:33], v[4:5], v[10:11], v[40:41]
	v_fma_f64 v[10:11], v[2:3], v[10:11], -v[12:13]
	ds_load_b128 v[2:5], v1 offset:1264
	v_add_f64_e32 v[6:7], v[8:9], v[6:7]
	v_add_f64_e32 v[8:9], v[26:27], v[28:29]
	v_fma_f64 v[24:25], v[24:25], v[14:15], v[30:31]
	v_fma_f64 v[14:15], v[22:23], v[14:15], -v[16:17]
	s_wait_loadcnt_dscnt 0x0
	v_mul_f64_e32 v[12:13], v[2:3], v[20:21]
	v_mul_f64_e32 v[20:21], v[4:5], v[20:21]
	v_add_f64_e32 v[6:7], v[6:7], v[10:11]
	v_add_f64_e32 v[8:9], v[8:9], v[32:33]
	s_delay_alu instid0(VALU_DEP_4) | instskip(NEXT) | instid1(VALU_DEP_4)
	v_fma_f64 v[4:5], v[4:5], v[18:19], v[12:13]
	v_fma_f64 v[2:3], v[2:3], v[18:19], -v[20:21]
	s_delay_alu instid0(VALU_DEP_4) | instskip(NEXT) | instid1(VALU_DEP_4)
	v_add_f64_e32 v[6:7], v[6:7], v[14:15]
	v_add_f64_e32 v[8:9], v[8:9], v[24:25]
	s_delay_alu instid0(VALU_DEP_2) | instskip(NEXT) | instid1(VALU_DEP_2)
	v_add_f64_e32 v[2:3], v[6:7], v[2:3]
	v_add_f64_e32 v[4:5], v[8:9], v[4:5]
	s_delay_alu instid0(VALU_DEP_2) | instskip(NEXT) | instid1(VALU_DEP_2)
	v_add_f64_e64 v[2:3], v[42:43], -v[2:3]
	v_add_f64_e64 v[4:5], v[44:45], -v[4:5]
	scratch_store_b128 off, v[2:5], off offset:80
	v_cmpx_lt_u32_e32 3, v0
	s_cbranch_execz .LBB39_247
; %bb.246:
	scratch_load_b128 v[5:8], off, s30
	v_dual_mov_b32 v2, v1 :: v_dual_mov_b32 v3, v1
	v_mov_b32_e32 v4, v1
	scratch_store_b128 off, v[1:4], off offset:64
	s_wait_loadcnt 0x0
	ds_store_b128 v126, v[5:8]
.LBB39_247:
	s_wait_alu 0xfffe
	s_or_b32 exec_lo, exec_lo, s0
	s_wait_storecnt_dscnt 0x0
	s_barrier_signal -1
	s_barrier_wait -1
	global_inv scope:SCOPE_SE
	s_clause 0x8
	scratch_load_b128 v[2:5], off, off offset:80
	scratch_load_b128 v[6:9], off, off offset:96
	;; [unrolled: 1-line block ×9, first 2 shown]
	ds_load_b128 v[38:41], v1 offset:704
	ds_load_b128 v[42:45], v1 offset:720
	s_clause 0x1
	scratch_load_b128 v[127:130], off, off offset:64
	scratch_load_b128 v[131:134], off, off offset:224
	s_mov_b32 s0, exec_lo
	s_wait_loadcnt_dscnt 0xa01
	v_mul_f64_e32 v[135:136], v[40:41], v[4:5]
	v_mul_f64_e32 v[4:5], v[38:39], v[4:5]
	s_wait_loadcnt_dscnt 0x900
	v_mul_f64_e32 v[139:140], v[42:43], v[8:9]
	v_mul_f64_e32 v[8:9], v[44:45], v[8:9]
	s_delay_alu instid0(VALU_DEP_4) | instskip(NEXT) | instid1(VALU_DEP_4)
	v_fma_f64 v[141:142], v[38:39], v[2:3], -v[135:136]
	v_fma_f64 v[143:144], v[40:41], v[2:3], v[4:5]
	ds_load_b128 v[2:5], v1 offset:736
	ds_load_b128 v[135:138], v1 offset:752
	scratch_load_b128 v[38:41], off, off offset:240
	v_fma_f64 v[44:45], v[44:45], v[6:7], v[139:140]
	v_fma_f64 v[42:43], v[42:43], v[6:7], -v[8:9]
	scratch_load_b128 v[6:9], off, off offset:256
	s_wait_loadcnt_dscnt 0xa01
	v_mul_f64_e32 v[145:146], v[2:3], v[12:13]
	v_mul_f64_e32 v[12:13], v[4:5], v[12:13]
	v_add_f64_e32 v[139:140], 0, v[141:142]
	v_add_f64_e32 v[141:142], 0, v[143:144]
	s_wait_loadcnt_dscnt 0x900
	v_mul_f64_e32 v[143:144], v[135:136], v[16:17]
	v_mul_f64_e32 v[16:17], v[137:138], v[16:17]
	v_fma_f64 v[145:146], v[4:5], v[10:11], v[145:146]
	v_fma_f64 v[147:148], v[2:3], v[10:11], -v[12:13]
	ds_load_b128 v[2:5], v1 offset:768
	scratch_load_b128 v[10:13], off, off offset:272
	v_add_f64_e32 v[139:140], v[139:140], v[42:43]
	v_add_f64_e32 v[141:142], v[141:142], v[44:45]
	ds_load_b128 v[42:45], v1 offset:784
	v_fma_f64 v[137:138], v[137:138], v[14:15], v[143:144]
	v_fma_f64 v[135:136], v[135:136], v[14:15], -v[16:17]
	scratch_load_b128 v[14:17], off, off offset:288
	s_wait_loadcnt_dscnt 0xa01
	v_mul_f64_e32 v[149:150], v[2:3], v[20:21]
	v_mul_f64_e32 v[20:21], v[4:5], v[20:21]
	s_wait_loadcnt_dscnt 0x900
	v_mul_f64_e32 v[143:144], v[42:43], v[24:25]
	v_mul_f64_e32 v[24:25], v[44:45], v[24:25]
	v_add_f64_e32 v[139:140], v[139:140], v[147:148]
	v_add_f64_e32 v[141:142], v[141:142], v[145:146]
	v_fma_f64 v[145:146], v[4:5], v[18:19], v[149:150]
	v_fma_f64 v[147:148], v[2:3], v[18:19], -v[20:21]
	ds_load_b128 v[2:5], v1 offset:800
	scratch_load_b128 v[18:21], off, off offset:304
	v_fma_f64 v[44:45], v[44:45], v[22:23], v[143:144]
	v_fma_f64 v[42:43], v[42:43], v[22:23], -v[24:25]
	scratch_load_b128 v[22:25], off, off offset:320
	v_add_f64_e32 v[139:140], v[139:140], v[135:136]
	v_add_f64_e32 v[141:142], v[141:142], v[137:138]
	ds_load_b128 v[135:138], v1 offset:816
	s_wait_loadcnt_dscnt 0xa01
	v_mul_f64_e32 v[149:150], v[2:3], v[28:29]
	v_mul_f64_e32 v[28:29], v[4:5], v[28:29]
	s_wait_loadcnt_dscnt 0x900
	v_mul_f64_e32 v[143:144], v[135:136], v[32:33]
	v_mul_f64_e32 v[32:33], v[137:138], v[32:33]
	v_add_f64_e32 v[139:140], v[139:140], v[147:148]
	v_add_f64_e32 v[141:142], v[141:142], v[145:146]
	v_fma_f64 v[145:146], v[4:5], v[26:27], v[149:150]
	v_fma_f64 v[147:148], v[2:3], v[26:27], -v[28:29]
	ds_load_b128 v[2:5], v1 offset:832
	scratch_load_b128 v[26:29], off, off offset:336
	v_fma_f64 v[137:138], v[137:138], v[30:31], v[143:144]
	v_fma_f64 v[135:136], v[135:136], v[30:31], -v[32:33]
	scratch_load_b128 v[30:33], off, off offset:352
	v_add_f64_e32 v[139:140], v[139:140], v[42:43]
	v_add_f64_e32 v[141:142], v[141:142], v[44:45]
	ds_load_b128 v[42:45], v1 offset:848
	s_wait_loadcnt_dscnt 0xa01
	v_mul_f64_e32 v[149:150], v[2:3], v[36:37]
	v_mul_f64_e32 v[36:37], v[4:5], v[36:37]
	s_wait_loadcnt_dscnt 0x800
	v_mul_f64_e32 v[143:144], v[42:43], v[133:134]
	v_add_f64_e32 v[139:140], v[139:140], v[147:148]
	v_add_f64_e32 v[141:142], v[141:142], v[145:146]
	v_mul_f64_e32 v[145:146], v[44:45], v[133:134]
	v_fma_f64 v[147:148], v[4:5], v[34:35], v[149:150]
	v_fma_f64 v[149:150], v[2:3], v[34:35], -v[36:37]
	ds_load_b128 v[2:5], v1 offset:864
	scratch_load_b128 v[34:37], off, off offset:368
	v_fma_f64 v[44:45], v[44:45], v[131:132], v[143:144]
	v_add_f64_e32 v[139:140], v[139:140], v[135:136]
	v_add_f64_e32 v[137:138], v[141:142], v[137:138]
	ds_load_b128 v[133:136], v1 offset:880
	v_fma_f64 v[131:132], v[42:43], v[131:132], -v[145:146]
	s_wait_loadcnt_dscnt 0x801
	v_mul_f64_e32 v[141:142], v[2:3], v[40:41]
	v_mul_f64_e32 v[151:152], v[4:5], v[40:41]
	scratch_load_b128 v[40:43], off, off offset:384
	s_wait_loadcnt_dscnt 0x800
	v_mul_f64_e32 v[145:146], v[133:134], v[8:9]
	v_mul_f64_e32 v[8:9], v[135:136], v[8:9]
	v_add_f64_e32 v[139:140], v[139:140], v[149:150]
	v_add_f64_e32 v[137:138], v[137:138], v[147:148]
	v_fma_f64 v[147:148], v[4:5], v[38:39], v[141:142]
	v_fma_f64 v[38:39], v[2:3], v[38:39], -v[151:152]
	ds_load_b128 v[2:5], v1 offset:896
	ds_load_b128 v[141:144], v1 offset:912
	v_fma_f64 v[135:136], v[135:136], v[6:7], v[145:146]
	v_fma_f64 v[133:134], v[133:134], v[6:7], -v[8:9]
	scratch_load_b128 v[6:9], off, off offset:416
	v_add_f64_e32 v[131:132], v[139:140], v[131:132]
	v_add_f64_e32 v[44:45], v[137:138], v[44:45]
	scratch_load_b128 v[137:140], off, off offset:400
	s_wait_loadcnt_dscnt 0x901
	v_mul_f64_e32 v[149:150], v[2:3], v[12:13]
	v_mul_f64_e32 v[12:13], v[4:5], v[12:13]
	s_wait_loadcnt_dscnt 0x800
	v_mul_f64_e32 v[145:146], v[141:142], v[16:17]
	v_mul_f64_e32 v[16:17], v[143:144], v[16:17]
	v_add_f64_e32 v[38:39], v[131:132], v[38:39]
	v_add_f64_e32 v[44:45], v[44:45], v[147:148]
	v_fma_f64 v[147:148], v[4:5], v[10:11], v[149:150]
	v_fma_f64 v[149:150], v[2:3], v[10:11], -v[12:13]
	ds_load_b128 v[2:5], v1 offset:928
	scratch_load_b128 v[10:13], off, off offset:432
	v_fma_f64 v[143:144], v[143:144], v[14:15], v[145:146]
	v_fma_f64 v[141:142], v[141:142], v[14:15], -v[16:17]
	scratch_load_b128 v[14:17], off, off offset:448
	v_add_f64_e32 v[38:39], v[38:39], v[133:134]
	v_add_f64_e32 v[44:45], v[44:45], v[135:136]
	ds_load_b128 v[131:134], v1 offset:944
	s_wait_loadcnt_dscnt 0x901
	v_mul_f64_e32 v[135:136], v[2:3], v[20:21]
	v_mul_f64_e32 v[20:21], v[4:5], v[20:21]
	s_wait_loadcnt_dscnt 0x800
	v_mul_f64_e32 v[145:146], v[131:132], v[24:25]
	v_mul_f64_e32 v[24:25], v[133:134], v[24:25]
	v_add_f64_e32 v[38:39], v[38:39], v[149:150]
	v_add_f64_e32 v[44:45], v[44:45], v[147:148]
	v_fma_f64 v[135:136], v[4:5], v[18:19], v[135:136]
	v_fma_f64 v[147:148], v[2:3], v[18:19], -v[20:21]
	ds_load_b128 v[2:5], v1 offset:960
	scratch_load_b128 v[18:21], off, off offset:464
	v_fma_f64 v[133:134], v[133:134], v[22:23], v[145:146]
	v_fma_f64 v[131:132], v[131:132], v[22:23], -v[24:25]
	scratch_load_b128 v[22:25], off, off offset:480
	v_add_f64_e32 v[38:39], v[38:39], v[141:142]
	v_add_f64_e32 v[44:45], v[44:45], v[143:144]
	ds_load_b128 v[141:144], v1 offset:976
	s_wait_loadcnt_dscnt 0x901
	v_mul_f64_e32 v[149:150], v[2:3], v[28:29]
	v_mul_f64_e32 v[28:29], v[4:5], v[28:29]
	v_add_f64_e32 v[38:39], v[38:39], v[147:148]
	v_add_f64_e32 v[44:45], v[44:45], v[135:136]
	s_wait_loadcnt_dscnt 0x800
	v_mul_f64_e32 v[135:136], v[141:142], v[32:33]
	v_mul_f64_e32 v[32:33], v[143:144], v[32:33]
	v_fma_f64 v[145:146], v[4:5], v[26:27], v[149:150]
	v_fma_f64 v[147:148], v[2:3], v[26:27], -v[28:29]
	ds_load_b128 v[2:5], v1 offset:992
	scratch_load_b128 v[26:29], off, off offset:496
	v_add_f64_e32 v[38:39], v[38:39], v[131:132]
	v_add_f64_e32 v[44:45], v[44:45], v[133:134]
	ds_load_b128 v[131:134], v1 offset:1008
	s_wait_loadcnt_dscnt 0x801
	v_mul_f64_e32 v[149:150], v[2:3], v[36:37]
	v_mul_f64_e32 v[36:37], v[4:5], v[36:37]
	v_fma_f64 v[135:136], v[143:144], v[30:31], v[135:136]
	v_fma_f64 v[141:142], v[141:142], v[30:31], -v[32:33]
	scratch_load_b128 v[30:33], off, off offset:512
	s_wait_loadcnt_dscnt 0x800
	v_mul_f64_e32 v[143:144], v[131:132], v[42:43]
	v_add_f64_e32 v[38:39], v[38:39], v[147:148]
	v_add_f64_e32 v[44:45], v[44:45], v[145:146]
	v_mul_f64_e32 v[145:146], v[133:134], v[42:43]
	v_fma_f64 v[147:148], v[4:5], v[34:35], v[149:150]
	v_fma_f64 v[149:150], v[2:3], v[34:35], -v[36:37]
	ds_load_b128 v[2:5], v1 offset:1024
	scratch_load_b128 v[34:37], off, off offset:528
	v_fma_f64 v[133:134], v[133:134], v[40:41], v[143:144]
	v_add_f64_e32 v[38:39], v[38:39], v[141:142]
	v_add_f64_e32 v[135:136], v[44:45], v[135:136]
	ds_load_b128 v[42:45], v1 offset:1040
	v_fma_f64 v[131:132], v[131:132], v[40:41], -v[145:146]
	s_wait_loadcnt_dscnt 0x701
	v_mul_f64_e32 v[141:142], v[2:3], v[139:140]
	v_mul_f64_e32 v[139:140], v[4:5], v[139:140]
	s_wait_dscnt 0x0
	v_mul_f64_e32 v[145:146], v[42:43], v[8:9]
	v_mul_f64_e32 v[8:9], v[44:45], v[8:9]
	v_add_f64_e32 v[143:144], v[38:39], v[149:150]
	v_add_f64_e32 v[135:136], v[135:136], v[147:148]
	scratch_load_b128 v[38:41], off, off offset:544
	v_fma_f64 v[141:142], v[4:5], v[137:138], v[141:142]
	v_fma_f64 v[139:140], v[2:3], v[137:138], -v[139:140]
	ds_load_b128 v[2:5], v1 offset:1056
	v_fma_f64 v[44:45], v[44:45], v[6:7], v[145:146]
	v_fma_f64 v[42:43], v[42:43], v[6:7], -v[8:9]
	scratch_load_b128 v[6:9], off, off offset:576
	v_add_f64_e32 v[143:144], v[143:144], v[131:132]
	v_add_f64_e32 v[147:148], v[135:136], v[133:134]
	scratch_load_b128 v[131:134], off, off offset:560
	ds_load_b128 v[135:138], v1 offset:1072
	s_wait_loadcnt_dscnt 0x901
	v_mul_f64_e32 v[149:150], v[2:3], v[12:13]
	v_mul_f64_e32 v[12:13], v[4:5], v[12:13]
	v_add_f64_e32 v[139:140], v[143:144], v[139:140]
	v_add_f64_e32 v[141:142], v[147:148], v[141:142]
	s_wait_loadcnt_dscnt 0x800
	v_mul_f64_e32 v[143:144], v[135:136], v[16:17]
	v_mul_f64_e32 v[16:17], v[137:138], v[16:17]
	v_fma_f64 v[145:146], v[4:5], v[10:11], v[149:150]
	v_fma_f64 v[147:148], v[2:3], v[10:11], -v[12:13]
	ds_load_b128 v[2:5], v1 offset:1088
	scratch_load_b128 v[10:13], off, off offset:592
	v_add_f64_e32 v[139:140], v[139:140], v[42:43]
	v_add_f64_e32 v[141:142], v[141:142], v[44:45]
	ds_load_b128 v[42:45], v1 offset:1104
	s_wait_loadcnt_dscnt 0x801
	v_mul_f64_e32 v[149:150], v[2:3], v[20:21]
	v_mul_f64_e32 v[20:21], v[4:5], v[20:21]
	v_fma_f64 v[137:138], v[137:138], v[14:15], v[143:144]
	v_fma_f64 v[135:136], v[135:136], v[14:15], -v[16:17]
	scratch_load_b128 v[14:17], off, off offset:608
	s_wait_loadcnt_dscnt 0x800
	v_mul_f64_e32 v[143:144], v[42:43], v[24:25]
	v_mul_f64_e32 v[24:25], v[44:45], v[24:25]
	v_add_f64_e32 v[139:140], v[139:140], v[147:148]
	v_add_f64_e32 v[141:142], v[141:142], v[145:146]
	v_fma_f64 v[145:146], v[4:5], v[18:19], v[149:150]
	v_fma_f64 v[147:148], v[2:3], v[18:19], -v[20:21]
	ds_load_b128 v[2:5], v1 offset:1120
	scratch_load_b128 v[18:21], off, off offset:624
	v_fma_f64 v[44:45], v[44:45], v[22:23], v[143:144]
	v_fma_f64 v[42:43], v[42:43], v[22:23], -v[24:25]
	scratch_load_b128 v[22:25], off, off offset:640
	v_add_f64_e32 v[139:140], v[139:140], v[135:136]
	v_add_f64_e32 v[141:142], v[141:142], v[137:138]
	ds_load_b128 v[135:138], v1 offset:1136
	s_wait_loadcnt_dscnt 0x901
	v_mul_f64_e32 v[149:150], v[2:3], v[28:29]
	v_mul_f64_e32 v[28:29], v[4:5], v[28:29]
	s_wait_loadcnt_dscnt 0x800
	v_mul_f64_e32 v[143:144], v[135:136], v[32:33]
	v_mul_f64_e32 v[32:33], v[137:138], v[32:33]
	v_add_f64_e32 v[139:140], v[139:140], v[147:148]
	v_add_f64_e32 v[141:142], v[141:142], v[145:146]
	v_fma_f64 v[145:146], v[4:5], v[26:27], v[149:150]
	v_fma_f64 v[147:148], v[2:3], v[26:27], -v[28:29]
	ds_load_b128 v[2:5], v1 offset:1152
	ds_load_b128 v[26:29], v1 offset:1168
	v_fma_f64 v[137:138], v[137:138], v[30:31], v[143:144]
	v_fma_f64 v[30:31], v[135:136], v[30:31], -v[32:33]
	v_add_f64_e32 v[42:43], v[139:140], v[42:43]
	v_add_f64_e32 v[44:45], v[141:142], v[44:45]
	s_wait_loadcnt_dscnt 0x701
	v_mul_f64_e32 v[139:140], v[2:3], v[36:37]
	v_mul_f64_e32 v[36:37], v[4:5], v[36:37]
	s_delay_alu instid0(VALU_DEP_4) | instskip(NEXT) | instid1(VALU_DEP_4)
	v_add_f64_e32 v[32:33], v[42:43], v[147:148]
	v_add_f64_e32 v[42:43], v[44:45], v[145:146]
	s_delay_alu instid0(VALU_DEP_4) | instskip(NEXT) | instid1(VALU_DEP_4)
	v_fma_f64 v[135:136], v[4:5], v[34:35], v[139:140]
	v_fma_f64 v[34:35], v[2:3], v[34:35], -v[36:37]
	s_wait_loadcnt_dscnt 0x600
	v_mul_f64_e32 v[44:45], v[26:27], v[40:41]
	v_mul_f64_e32 v[40:41], v[28:29], v[40:41]
	v_add_f64_e32 v[36:37], v[32:33], v[30:31]
	v_add_f64_e32 v[42:43], v[42:43], v[137:138]
	ds_load_b128 v[2:5], v1 offset:1184
	ds_load_b128 v[30:33], v1 offset:1200
	v_fma_f64 v[28:29], v[28:29], v[38:39], v[44:45]
	v_fma_f64 v[26:27], v[26:27], v[38:39], -v[40:41]
	s_wait_loadcnt_dscnt 0x401
	v_mul_f64_e32 v[137:138], v[2:3], v[133:134]
	v_mul_f64_e32 v[133:134], v[4:5], v[133:134]
	s_wait_dscnt 0x0
	v_mul_f64_e32 v[38:39], v[30:31], v[8:9]
	v_mul_f64_e32 v[8:9], v[32:33], v[8:9]
	v_add_f64_e32 v[34:35], v[36:37], v[34:35]
	v_add_f64_e32 v[36:37], v[42:43], v[135:136]
	v_fma_f64 v[40:41], v[4:5], v[131:132], v[137:138]
	v_fma_f64 v[42:43], v[2:3], v[131:132], -v[133:134]
	v_fma_f64 v[32:33], v[32:33], v[6:7], v[38:39]
	v_fma_f64 v[6:7], v[30:31], v[6:7], -v[8:9]
	v_add_f64_e32 v[34:35], v[34:35], v[26:27]
	v_add_f64_e32 v[36:37], v[36:37], v[28:29]
	ds_load_b128 v[2:5], v1 offset:1216
	ds_load_b128 v[26:29], v1 offset:1232
	s_wait_loadcnt_dscnt 0x301
	v_mul_f64_e32 v[44:45], v[2:3], v[12:13]
	v_mul_f64_e32 v[12:13], v[4:5], v[12:13]
	v_add_f64_e32 v[8:9], v[34:35], v[42:43]
	v_add_f64_e32 v[30:31], v[36:37], v[40:41]
	s_wait_loadcnt_dscnt 0x200
	v_mul_f64_e32 v[34:35], v[26:27], v[16:17]
	v_mul_f64_e32 v[16:17], v[28:29], v[16:17]
	v_fma_f64 v[36:37], v[4:5], v[10:11], v[44:45]
	v_fma_f64 v[10:11], v[2:3], v[10:11], -v[12:13]
	v_add_f64_e32 v[12:13], v[8:9], v[6:7]
	v_add_f64_e32 v[30:31], v[30:31], v[32:33]
	ds_load_b128 v[2:5], v1 offset:1248
	ds_load_b128 v[6:9], v1 offset:1264
	v_fma_f64 v[28:29], v[28:29], v[14:15], v[34:35]
	v_fma_f64 v[14:15], v[26:27], v[14:15], -v[16:17]
	s_wait_loadcnt_dscnt 0x101
	v_mul_f64_e32 v[32:33], v[2:3], v[20:21]
	v_mul_f64_e32 v[20:21], v[4:5], v[20:21]
	s_wait_loadcnt_dscnt 0x0
	v_mul_f64_e32 v[16:17], v[6:7], v[24:25]
	v_mul_f64_e32 v[24:25], v[8:9], v[24:25]
	v_add_f64_e32 v[10:11], v[12:13], v[10:11]
	v_add_f64_e32 v[12:13], v[30:31], v[36:37]
	v_fma_f64 v[4:5], v[4:5], v[18:19], v[32:33]
	v_fma_f64 v[1:2], v[2:3], v[18:19], -v[20:21]
	v_fma_f64 v[8:9], v[8:9], v[22:23], v[16:17]
	v_fma_f64 v[6:7], v[6:7], v[22:23], -v[24:25]
	v_add_f64_e32 v[10:11], v[10:11], v[14:15]
	v_add_f64_e32 v[12:13], v[12:13], v[28:29]
	s_delay_alu instid0(VALU_DEP_2) | instskip(NEXT) | instid1(VALU_DEP_2)
	v_add_f64_e32 v[1:2], v[10:11], v[1:2]
	v_add_f64_e32 v[3:4], v[12:13], v[4:5]
	s_delay_alu instid0(VALU_DEP_2) | instskip(NEXT) | instid1(VALU_DEP_2)
	v_add_f64_e32 v[1:2], v[1:2], v[6:7]
	v_add_f64_e32 v[3:4], v[3:4], v[8:9]
	s_delay_alu instid0(VALU_DEP_2) | instskip(NEXT) | instid1(VALU_DEP_2)
	v_add_f64_e64 v[1:2], v[127:128], -v[1:2]
	v_add_f64_e64 v[3:4], v[129:130], -v[3:4]
	scratch_store_b128 off, v[1:4], off offset:64
	v_cmpx_lt_u32_e32 2, v0
	s_cbranch_execz .LBB39_249
; %bb.248:
	scratch_load_b128 v[1:4], off, s31
	v_mov_b32_e32 v5, 0
	s_delay_alu instid0(VALU_DEP_1)
	v_dual_mov_b32 v6, v5 :: v_dual_mov_b32 v7, v5
	v_mov_b32_e32 v8, v5
	scratch_store_b128 off, v[5:8], off offset:48
	s_wait_loadcnt 0x0
	ds_store_b128 v126, v[1:4]
.LBB39_249:
	s_wait_alu 0xfffe
	s_or_b32 exec_lo, exec_lo, s0
	s_wait_storecnt_dscnt 0x0
	s_barrier_signal -1
	s_barrier_wait -1
	global_inv scope:SCOPE_SE
	s_clause 0x7
	scratch_load_b128 v[2:5], off, off offset:64
	scratch_load_b128 v[6:9], off, off offset:80
	;; [unrolled: 1-line block ×8, first 2 shown]
	v_mov_b32_e32 v1, 0
	s_mov_b32 s0, exec_lo
	ds_load_b128 v[38:41], v1 offset:688
	s_clause 0x1
	scratch_load_b128 v[34:37], off, off offset:192
	scratch_load_b128 v[42:45], off, off offset:48
	ds_load_b128 v[127:130], v1 offset:704
	scratch_load_b128 v[131:134], off, off offset:208
	s_wait_loadcnt_dscnt 0xa01
	v_mul_f64_e32 v[135:136], v[40:41], v[4:5]
	v_mul_f64_e32 v[4:5], v[38:39], v[4:5]
	s_delay_alu instid0(VALU_DEP_2) | instskip(NEXT) | instid1(VALU_DEP_2)
	v_fma_f64 v[141:142], v[38:39], v[2:3], -v[135:136]
	v_fma_f64 v[143:144], v[40:41], v[2:3], v[4:5]
	ds_load_b128 v[2:5], v1 offset:720
	s_wait_loadcnt_dscnt 0x901
	v_mul_f64_e32 v[139:140], v[127:128], v[8:9]
	v_mul_f64_e32 v[8:9], v[129:130], v[8:9]
	scratch_load_b128 v[38:41], off, off offset:224
	ds_load_b128 v[135:138], v1 offset:736
	s_wait_loadcnt_dscnt 0x901
	v_mul_f64_e32 v[145:146], v[2:3], v[12:13]
	v_mul_f64_e32 v[12:13], v[4:5], v[12:13]
	v_fma_f64 v[129:130], v[129:130], v[6:7], v[139:140]
	v_fma_f64 v[127:128], v[127:128], v[6:7], -v[8:9]
	v_add_f64_e32 v[139:140], 0, v[141:142]
	v_add_f64_e32 v[141:142], 0, v[143:144]
	scratch_load_b128 v[6:9], off, off offset:240
	v_fma_f64 v[145:146], v[4:5], v[10:11], v[145:146]
	v_fma_f64 v[147:148], v[2:3], v[10:11], -v[12:13]
	ds_load_b128 v[2:5], v1 offset:752
	s_wait_loadcnt_dscnt 0x901
	v_mul_f64_e32 v[143:144], v[135:136], v[16:17]
	v_mul_f64_e32 v[16:17], v[137:138], v[16:17]
	scratch_load_b128 v[10:13], off, off offset:256
	v_add_f64_e32 v[139:140], v[139:140], v[127:128]
	v_add_f64_e32 v[141:142], v[141:142], v[129:130]
	s_wait_loadcnt_dscnt 0x900
	v_mul_f64_e32 v[149:150], v[2:3], v[20:21]
	v_mul_f64_e32 v[20:21], v[4:5], v[20:21]
	ds_load_b128 v[127:130], v1 offset:768
	v_fma_f64 v[137:138], v[137:138], v[14:15], v[143:144]
	v_fma_f64 v[135:136], v[135:136], v[14:15], -v[16:17]
	scratch_load_b128 v[14:17], off, off offset:272
	v_add_f64_e32 v[139:140], v[139:140], v[147:148]
	v_add_f64_e32 v[141:142], v[141:142], v[145:146]
	v_fma_f64 v[145:146], v[4:5], v[18:19], v[149:150]
	v_fma_f64 v[147:148], v[2:3], v[18:19], -v[20:21]
	ds_load_b128 v[2:5], v1 offset:784
	s_wait_loadcnt_dscnt 0x901
	v_mul_f64_e32 v[143:144], v[127:128], v[24:25]
	v_mul_f64_e32 v[24:25], v[129:130], v[24:25]
	scratch_load_b128 v[18:21], off, off offset:288
	s_wait_loadcnt_dscnt 0x900
	v_mul_f64_e32 v[149:150], v[2:3], v[28:29]
	v_mul_f64_e32 v[28:29], v[4:5], v[28:29]
	v_add_f64_e32 v[139:140], v[139:140], v[135:136]
	v_add_f64_e32 v[141:142], v[141:142], v[137:138]
	ds_load_b128 v[135:138], v1 offset:800
	v_fma_f64 v[129:130], v[129:130], v[22:23], v[143:144]
	v_fma_f64 v[127:128], v[127:128], v[22:23], -v[24:25]
	scratch_load_b128 v[22:25], off, off offset:304
	v_add_f64_e32 v[139:140], v[139:140], v[147:148]
	v_add_f64_e32 v[141:142], v[141:142], v[145:146]
	v_fma_f64 v[145:146], v[4:5], v[26:27], v[149:150]
	v_fma_f64 v[147:148], v[2:3], v[26:27], -v[28:29]
	ds_load_b128 v[2:5], v1 offset:816
	s_wait_loadcnt_dscnt 0x901
	v_mul_f64_e32 v[143:144], v[135:136], v[32:33]
	v_mul_f64_e32 v[32:33], v[137:138], v[32:33]
	scratch_load_b128 v[26:29], off, off offset:320
	s_wait_loadcnt_dscnt 0x900
	v_mul_f64_e32 v[149:150], v[2:3], v[36:37]
	v_mul_f64_e32 v[36:37], v[4:5], v[36:37]
	v_add_f64_e32 v[139:140], v[139:140], v[127:128]
	v_add_f64_e32 v[141:142], v[141:142], v[129:130]
	ds_load_b128 v[127:130], v1 offset:832
	v_fma_f64 v[137:138], v[137:138], v[30:31], v[143:144]
	v_fma_f64 v[135:136], v[135:136], v[30:31], -v[32:33]
	scratch_load_b128 v[30:33], off, off offset:336
	v_add_f64_e32 v[139:140], v[139:140], v[147:148]
	v_add_f64_e32 v[141:142], v[141:142], v[145:146]
	v_fma_f64 v[147:148], v[4:5], v[34:35], v[149:150]
	v_fma_f64 v[149:150], v[2:3], v[34:35], -v[36:37]
	ds_load_b128 v[2:5], v1 offset:848
	s_wait_loadcnt_dscnt 0x801
	v_mul_f64_e32 v[143:144], v[127:128], v[133:134]
	v_mul_f64_e32 v[145:146], v[129:130], v[133:134]
	scratch_load_b128 v[34:37], off, off offset:352
	v_add_f64_e32 v[139:140], v[139:140], v[135:136]
	v_add_f64_e32 v[137:138], v[141:142], v[137:138]
	ds_load_b128 v[133:136], v1 offset:864
	v_fma_f64 v[143:144], v[129:130], v[131:132], v[143:144]
	v_fma_f64 v[131:132], v[127:128], v[131:132], -v[145:146]
	scratch_load_b128 v[127:130], off, off offset:368
	s_wait_loadcnt_dscnt 0x901
	v_mul_f64_e32 v[141:142], v[2:3], v[40:41]
	v_mul_f64_e32 v[40:41], v[4:5], v[40:41]
	v_add_f64_e32 v[139:140], v[139:140], v[149:150]
	v_add_f64_e32 v[137:138], v[137:138], v[147:148]
	s_delay_alu instid0(VALU_DEP_4) | instskip(NEXT) | instid1(VALU_DEP_4)
	v_fma_f64 v[141:142], v[4:5], v[38:39], v[141:142]
	v_fma_f64 v[147:148], v[2:3], v[38:39], -v[40:41]
	ds_load_b128 v[2:5], v1 offset:880
	s_wait_loadcnt_dscnt 0x801
	v_mul_f64_e32 v[145:146], v[133:134], v[8:9]
	v_mul_f64_e32 v[8:9], v[135:136], v[8:9]
	scratch_load_b128 v[38:41], off, off offset:384
	s_wait_loadcnt_dscnt 0x800
	v_mul_f64_e32 v[149:150], v[2:3], v[12:13]
	v_add_f64_e32 v[131:132], v[139:140], v[131:132]
	v_add_f64_e32 v[143:144], v[137:138], v[143:144]
	v_mul_f64_e32 v[12:13], v[4:5], v[12:13]
	ds_load_b128 v[137:140], v1 offset:896
	v_fma_f64 v[135:136], v[135:136], v[6:7], v[145:146]
	v_fma_f64 v[133:134], v[133:134], v[6:7], -v[8:9]
	scratch_load_b128 v[6:9], off, off offset:400
	v_fma_f64 v[145:146], v[4:5], v[10:11], v[149:150]
	v_add_f64_e32 v[131:132], v[131:132], v[147:148]
	v_add_f64_e32 v[141:142], v[143:144], v[141:142]
	v_fma_f64 v[147:148], v[2:3], v[10:11], -v[12:13]
	ds_load_b128 v[2:5], v1 offset:912
	s_wait_loadcnt_dscnt 0x801
	v_mul_f64_e32 v[143:144], v[137:138], v[16:17]
	v_mul_f64_e32 v[16:17], v[139:140], v[16:17]
	scratch_load_b128 v[10:13], off, off offset:416
	v_add_f64_e32 v[149:150], v[131:132], v[133:134]
	v_add_f64_e32 v[135:136], v[141:142], v[135:136]
	s_wait_loadcnt_dscnt 0x800
	v_mul_f64_e32 v[141:142], v[2:3], v[20:21]
	v_mul_f64_e32 v[20:21], v[4:5], v[20:21]
	v_fma_f64 v[139:140], v[139:140], v[14:15], v[143:144]
	v_fma_f64 v[137:138], v[137:138], v[14:15], -v[16:17]
	ds_load_b128 v[131:134], v1 offset:928
	scratch_load_b128 v[14:17], off, off offset:432
	v_add_f64_e32 v[143:144], v[149:150], v[147:148]
	v_add_f64_e32 v[135:136], v[135:136], v[145:146]
	v_fma_f64 v[141:142], v[4:5], v[18:19], v[141:142]
	v_fma_f64 v[147:148], v[2:3], v[18:19], -v[20:21]
	ds_load_b128 v[2:5], v1 offset:944
	s_wait_loadcnt_dscnt 0x801
	v_mul_f64_e32 v[145:146], v[131:132], v[24:25]
	v_mul_f64_e32 v[24:25], v[133:134], v[24:25]
	scratch_load_b128 v[18:21], off, off offset:448
	s_wait_loadcnt_dscnt 0x800
	v_mul_f64_e32 v[149:150], v[2:3], v[28:29]
	v_mul_f64_e32 v[28:29], v[4:5], v[28:29]
	v_add_f64_e32 v[143:144], v[143:144], v[137:138]
	v_add_f64_e32 v[139:140], v[135:136], v[139:140]
	ds_load_b128 v[135:138], v1 offset:960
	v_fma_f64 v[133:134], v[133:134], v[22:23], v[145:146]
	v_fma_f64 v[131:132], v[131:132], v[22:23], -v[24:25]
	scratch_load_b128 v[22:25], off, off offset:464
	v_fma_f64 v[145:146], v[4:5], v[26:27], v[149:150]
	v_add_f64_e32 v[143:144], v[143:144], v[147:148]
	v_add_f64_e32 v[139:140], v[139:140], v[141:142]
	v_fma_f64 v[147:148], v[2:3], v[26:27], -v[28:29]
	ds_load_b128 v[2:5], v1 offset:976
	s_wait_loadcnt_dscnt 0x801
	v_mul_f64_e32 v[141:142], v[135:136], v[32:33]
	v_mul_f64_e32 v[32:33], v[137:138], v[32:33]
	scratch_load_b128 v[26:29], off, off offset:480
	s_wait_loadcnt_dscnt 0x800
	v_mul_f64_e32 v[149:150], v[2:3], v[36:37]
	v_mul_f64_e32 v[36:37], v[4:5], v[36:37]
	v_add_f64_e32 v[143:144], v[143:144], v[131:132]
	v_add_f64_e32 v[139:140], v[139:140], v[133:134]
	ds_load_b128 v[131:134], v1 offset:992
	v_fma_f64 v[137:138], v[137:138], v[30:31], v[141:142]
	v_fma_f64 v[135:136], v[135:136], v[30:31], -v[32:33]
	scratch_load_b128 v[30:33], off, off offset:496
	v_add_f64_e32 v[141:142], v[143:144], v[147:148]
	v_add_f64_e32 v[139:140], v[139:140], v[145:146]
	v_fma_f64 v[145:146], v[4:5], v[34:35], v[149:150]
	v_fma_f64 v[147:148], v[2:3], v[34:35], -v[36:37]
	ds_load_b128 v[2:5], v1 offset:1008
	s_wait_loadcnt_dscnt 0x801
	v_mul_f64_e32 v[143:144], v[131:132], v[129:130]
	v_mul_f64_e32 v[129:130], v[133:134], v[129:130]
	scratch_load_b128 v[34:37], off, off offset:512
	s_wait_loadcnt_dscnt 0x800
	v_mul_f64_e32 v[149:150], v[2:3], v[40:41]
	v_mul_f64_e32 v[40:41], v[4:5], v[40:41]
	v_add_f64_e32 v[141:142], v[141:142], v[135:136]
	v_add_f64_e32 v[139:140], v[139:140], v[137:138]
	ds_load_b128 v[135:138], v1 offset:1024
	v_fma_f64 v[133:134], v[133:134], v[127:128], v[143:144]
	v_fma_f64 v[131:132], v[131:132], v[127:128], -v[129:130]
	scratch_load_b128 v[127:130], off, off offset:528
	v_add_f64_e32 v[141:142], v[141:142], v[147:148]
	v_add_f64_e32 v[139:140], v[139:140], v[145:146]
	v_fma_f64 v[145:146], v[4:5], v[38:39], v[149:150]
	;; [unrolled: 18-line block ×5, first 2 shown]
	v_fma_f64 v[147:148], v[2:3], v[26:27], -v[28:29]
	ds_load_b128 v[2:5], v1 offset:1136
	s_wait_loadcnt_dscnt 0x801
	v_mul_f64_e32 v[143:144], v[131:132], v[32:33]
	v_mul_f64_e32 v[32:33], v[133:134], v[32:33]
	scratch_load_b128 v[26:29], off, off offset:640
	s_wait_loadcnt_dscnt 0x800
	v_mul_f64_e32 v[149:150], v[2:3], v[36:37]
	v_mul_f64_e32 v[36:37], v[4:5], v[36:37]
	v_add_f64_e32 v[141:142], v[141:142], v[135:136]
	v_add_f64_e32 v[139:140], v[139:140], v[137:138]
	ds_load_b128 v[135:138], v1 offset:1152
	v_fma_f64 v[133:134], v[133:134], v[30:31], v[143:144]
	v_fma_f64 v[30:31], v[131:132], v[30:31], -v[32:33]
	v_add_f64_e32 v[32:33], v[141:142], v[147:148]
	v_add_f64_e32 v[131:132], v[139:140], v[145:146]
	s_wait_loadcnt_dscnt 0x700
	v_mul_f64_e32 v[139:140], v[135:136], v[129:130]
	v_mul_f64_e32 v[129:130], v[137:138], v[129:130]
	v_fma_f64 v[141:142], v[4:5], v[34:35], v[149:150]
	v_fma_f64 v[34:35], v[2:3], v[34:35], -v[36:37]
	v_add_f64_e32 v[36:37], v[32:33], v[30:31]
	v_add_f64_e32 v[131:132], v[131:132], v[133:134]
	ds_load_b128 v[2:5], v1 offset:1168
	ds_load_b128 v[30:33], v1 offset:1184
	v_fma_f64 v[137:138], v[137:138], v[127:128], v[139:140]
	v_fma_f64 v[127:128], v[135:136], v[127:128], -v[129:130]
	s_wait_loadcnt_dscnt 0x601
	v_mul_f64_e32 v[133:134], v[2:3], v[40:41]
	v_mul_f64_e32 v[40:41], v[4:5], v[40:41]
	s_wait_loadcnt_dscnt 0x500
	v_mul_f64_e32 v[129:130], v[30:31], v[8:9]
	v_mul_f64_e32 v[8:9], v[32:33], v[8:9]
	v_add_f64_e32 v[34:35], v[36:37], v[34:35]
	v_add_f64_e32 v[36:37], v[131:132], v[141:142]
	v_fma_f64 v[131:132], v[4:5], v[38:39], v[133:134]
	v_fma_f64 v[38:39], v[2:3], v[38:39], -v[40:41]
	v_fma_f64 v[32:33], v[32:33], v[6:7], v[129:130]
	v_fma_f64 v[6:7], v[30:31], v[6:7], -v[8:9]
	v_add_f64_e32 v[40:41], v[34:35], v[127:128]
	v_add_f64_e32 v[127:128], v[36:37], v[137:138]
	ds_load_b128 v[2:5], v1 offset:1200
	ds_load_b128 v[34:37], v1 offset:1216
	s_wait_loadcnt_dscnt 0x401
	v_mul_f64_e32 v[133:134], v[2:3], v[12:13]
	v_mul_f64_e32 v[12:13], v[4:5], v[12:13]
	v_add_f64_e32 v[8:9], v[40:41], v[38:39]
	v_add_f64_e32 v[30:31], v[127:128], v[131:132]
	s_wait_loadcnt_dscnt 0x300
	v_mul_f64_e32 v[38:39], v[34:35], v[16:17]
	v_mul_f64_e32 v[16:17], v[36:37], v[16:17]
	v_fma_f64 v[40:41], v[4:5], v[10:11], v[133:134]
	v_fma_f64 v[10:11], v[2:3], v[10:11], -v[12:13]
	v_add_f64_e32 v[12:13], v[8:9], v[6:7]
	v_add_f64_e32 v[30:31], v[30:31], v[32:33]
	ds_load_b128 v[2:5], v1 offset:1232
	ds_load_b128 v[6:9], v1 offset:1248
	v_fma_f64 v[36:37], v[36:37], v[14:15], v[38:39]
	v_fma_f64 v[14:15], v[34:35], v[14:15], -v[16:17]
	s_wait_loadcnt_dscnt 0x201
	v_mul_f64_e32 v[32:33], v[2:3], v[20:21]
	v_mul_f64_e32 v[20:21], v[4:5], v[20:21]
	s_wait_loadcnt_dscnt 0x100
	v_mul_f64_e32 v[16:17], v[6:7], v[24:25]
	v_mul_f64_e32 v[24:25], v[8:9], v[24:25]
	v_add_f64_e32 v[10:11], v[12:13], v[10:11]
	v_add_f64_e32 v[12:13], v[30:31], v[40:41]
	v_fma_f64 v[30:31], v[4:5], v[18:19], v[32:33]
	v_fma_f64 v[18:19], v[2:3], v[18:19], -v[20:21]
	ds_load_b128 v[2:5], v1 offset:1264
	v_fma_f64 v[8:9], v[8:9], v[22:23], v[16:17]
	v_fma_f64 v[6:7], v[6:7], v[22:23], -v[24:25]
	v_add_f64_e32 v[10:11], v[10:11], v[14:15]
	v_add_f64_e32 v[12:13], v[12:13], v[36:37]
	s_wait_loadcnt_dscnt 0x0
	v_mul_f64_e32 v[14:15], v[2:3], v[28:29]
	v_mul_f64_e32 v[20:21], v[4:5], v[28:29]
	s_delay_alu instid0(VALU_DEP_4) | instskip(NEXT) | instid1(VALU_DEP_4)
	v_add_f64_e32 v[10:11], v[10:11], v[18:19]
	v_add_f64_e32 v[12:13], v[12:13], v[30:31]
	s_delay_alu instid0(VALU_DEP_4) | instskip(NEXT) | instid1(VALU_DEP_4)
	v_fma_f64 v[4:5], v[4:5], v[26:27], v[14:15]
	v_fma_f64 v[2:3], v[2:3], v[26:27], -v[20:21]
	s_delay_alu instid0(VALU_DEP_4) | instskip(NEXT) | instid1(VALU_DEP_4)
	v_add_f64_e32 v[6:7], v[10:11], v[6:7]
	v_add_f64_e32 v[8:9], v[12:13], v[8:9]
	s_delay_alu instid0(VALU_DEP_2) | instskip(NEXT) | instid1(VALU_DEP_2)
	v_add_f64_e32 v[2:3], v[6:7], v[2:3]
	v_add_f64_e32 v[4:5], v[8:9], v[4:5]
	s_delay_alu instid0(VALU_DEP_2) | instskip(NEXT) | instid1(VALU_DEP_2)
	v_add_f64_e64 v[2:3], v[42:43], -v[2:3]
	v_add_f64_e64 v[4:5], v[44:45], -v[4:5]
	scratch_store_b128 off, v[2:5], off offset:48
	v_cmpx_lt_u32_e32 1, v0
	s_cbranch_execz .LBB39_251
; %bb.250:
	scratch_load_b128 v[5:8], off, s33
	v_dual_mov_b32 v2, v1 :: v_dual_mov_b32 v3, v1
	v_mov_b32_e32 v4, v1
	scratch_store_b128 off, v[1:4], off offset:32
	s_wait_loadcnt 0x0
	ds_store_b128 v126, v[5:8]
.LBB39_251:
	s_wait_alu 0xfffe
	s_or_b32 exec_lo, exec_lo, s0
	s_wait_storecnt_dscnt 0x0
	s_barrier_signal -1
	s_barrier_wait -1
	global_inv scope:SCOPE_SE
	s_clause 0x8
	scratch_load_b128 v[2:5], off, off offset:48
	scratch_load_b128 v[6:9], off, off offset:64
	;; [unrolled: 1-line block ×9, first 2 shown]
	ds_load_b128 v[42:45], v1 offset:672
	ds_load_b128 v[38:41], v1 offset:688
	s_clause 0x1
	scratch_load_b128 v[127:130], off, off offset:32
	scratch_load_b128 v[131:134], off, off offset:192
	s_mov_b32 s0, exec_lo
	s_wait_loadcnt_dscnt 0xa01
	v_mul_f64_e32 v[135:136], v[44:45], v[4:5]
	v_mul_f64_e32 v[4:5], v[42:43], v[4:5]
	s_wait_loadcnt_dscnt 0x900
	v_mul_f64_e32 v[139:140], v[38:39], v[8:9]
	v_mul_f64_e32 v[8:9], v[40:41], v[8:9]
	s_delay_alu instid0(VALU_DEP_4) | instskip(NEXT) | instid1(VALU_DEP_4)
	v_fma_f64 v[141:142], v[42:43], v[2:3], -v[135:136]
	v_fma_f64 v[143:144], v[44:45], v[2:3], v[4:5]
	ds_load_b128 v[2:5], v1 offset:704
	ds_load_b128 v[135:138], v1 offset:720
	scratch_load_b128 v[42:45], off, off offset:208
	v_fma_f64 v[40:41], v[40:41], v[6:7], v[139:140]
	v_fma_f64 v[38:39], v[38:39], v[6:7], -v[8:9]
	scratch_load_b128 v[6:9], off, off offset:224
	s_wait_loadcnt_dscnt 0xa01
	v_mul_f64_e32 v[145:146], v[2:3], v[12:13]
	v_mul_f64_e32 v[12:13], v[4:5], v[12:13]
	v_add_f64_e32 v[139:140], 0, v[141:142]
	v_add_f64_e32 v[141:142], 0, v[143:144]
	s_wait_loadcnt_dscnt 0x900
	v_mul_f64_e32 v[143:144], v[135:136], v[16:17]
	v_mul_f64_e32 v[16:17], v[137:138], v[16:17]
	v_fma_f64 v[145:146], v[4:5], v[10:11], v[145:146]
	v_fma_f64 v[147:148], v[2:3], v[10:11], -v[12:13]
	ds_load_b128 v[2:5], v1 offset:736
	scratch_load_b128 v[10:13], off, off offset:240
	v_add_f64_e32 v[139:140], v[139:140], v[38:39]
	v_add_f64_e32 v[141:142], v[141:142], v[40:41]
	ds_load_b128 v[38:41], v1 offset:752
	v_fma_f64 v[137:138], v[137:138], v[14:15], v[143:144]
	v_fma_f64 v[135:136], v[135:136], v[14:15], -v[16:17]
	scratch_load_b128 v[14:17], off, off offset:256
	s_wait_loadcnt_dscnt 0xa01
	v_mul_f64_e32 v[149:150], v[2:3], v[20:21]
	v_mul_f64_e32 v[20:21], v[4:5], v[20:21]
	s_wait_loadcnt_dscnt 0x900
	v_mul_f64_e32 v[143:144], v[38:39], v[24:25]
	v_mul_f64_e32 v[24:25], v[40:41], v[24:25]
	v_add_f64_e32 v[139:140], v[139:140], v[147:148]
	v_add_f64_e32 v[141:142], v[141:142], v[145:146]
	v_fma_f64 v[145:146], v[4:5], v[18:19], v[149:150]
	v_fma_f64 v[147:148], v[2:3], v[18:19], -v[20:21]
	ds_load_b128 v[2:5], v1 offset:768
	scratch_load_b128 v[18:21], off, off offset:272
	v_fma_f64 v[40:41], v[40:41], v[22:23], v[143:144]
	v_fma_f64 v[38:39], v[38:39], v[22:23], -v[24:25]
	scratch_load_b128 v[22:25], off, off offset:288
	v_add_f64_e32 v[139:140], v[139:140], v[135:136]
	v_add_f64_e32 v[141:142], v[141:142], v[137:138]
	ds_load_b128 v[135:138], v1 offset:784
	s_wait_loadcnt_dscnt 0xa01
	v_mul_f64_e32 v[149:150], v[2:3], v[28:29]
	v_mul_f64_e32 v[28:29], v[4:5], v[28:29]
	s_wait_loadcnt_dscnt 0x900
	v_mul_f64_e32 v[143:144], v[135:136], v[32:33]
	v_mul_f64_e32 v[32:33], v[137:138], v[32:33]
	v_add_f64_e32 v[139:140], v[139:140], v[147:148]
	v_add_f64_e32 v[141:142], v[141:142], v[145:146]
	v_fma_f64 v[145:146], v[4:5], v[26:27], v[149:150]
	v_fma_f64 v[147:148], v[2:3], v[26:27], -v[28:29]
	ds_load_b128 v[2:5], v1 offset:800
	scratch_load_b128 v[26:29], off, off offset:304
	v_fma_f64 v[137:138], v[137:138], v[30:31], v[143:144]
	v_fma_f64 v[135:136], v[135:136], v[30:31], -v[32:33]
	scratch_load_b128 v[30:33], off, off offset:320
	v_add_f64_e32 v[139:140], v[139:140], v[38:39]
	v_add_f64_e32 v[141:142], v[141:142], v[40:41]
	ds_load_b128 v[38:41], v1 offset:816
	s_wait_loadcnt_dscnt 0xa01
	v_mul_f64_e32 v[149:150], v[2:3], v[36:37]
	v_mul_f64_e32 v[36:37], v[4:5], v[36:37]
	s_wait_loadcnt_dscnt 0x800
	v_mul_f64_e32 v[143:144], v[38:39], v[133:134]
	v_add_f64_e32 v[139:140], v[139:140], v[147:148]
	v_add_f64_e32 v[141:142], v[141:142], v[145:146]
	v_mul_f64_e32 v[145:146], v[40:41], v[133:134]
	v_fma_f64 v[147:148], v[4:5], v[34:35], v[149:150]
	v_fma_f64 v[149:150], v[2:3], v[34:35], -v[36:37]
	ds_load_b128 v[2:5], v1 offset:832
	scratch_load_b128 v[34:37], off, off offset:336
	v_fma_f64 v[143:144], v[40:41], v[131:132], v[143:144]
	v_add_f64_e32 v[139:140], v[139:140], v[135:136]
	v_add_f64_e32 v[137:138], v[141:142], v[137:138]
	ds_load_b128 v[133:136], v1 offset:848
	v_fma_f64 v[131:132], v[38:39], v[131:132], -v[145:146]
	scratch_load_b128 v[38:41], off, off offset:352
	s_wait_loadcnt_dscnt 0x901
	v_mul_f64_e32 v[141:142], v[2:3], v[44:45]
	v_mul_f64_e32 v[44:45], v[4:5], v[44:45]
	s_wait_loadcnt_dscnt 0x800
	v_mul_f64_e32 v[145:146], v[133:134], v[8:9]
	v_mul_f64_e32 v[8:9], v[135:136], v[8:9]
	v_add_f64_e32 v[139:140], v[139:140], v[149:150]
	v_add_f64_e32 v[137:138], v[137:138], v[147:148]
	v_fma_f64 v[141:142], v[4:5], v[42:43], v[141:142]
	v_fma_f64 v[147:148], v[2:3], v[42:43], -v[44:45]
	ds_load_b128 v[2:5], v1 offset:864
	scratch_load_b128 v[42:45], off, off offset:368
	v_fma_f64 v[135:136], v[135:136], v[6:7], v[145:146]
	v_fma_f64 v[133:134], v[133:134], v[6:7], -v[8:9]
	scratch_load_b128 v[6:9], off, off offset:384
	v_add_f64_e32 v[131:132], v[139:140], v[131:132]
	v_add_f64_e32 v[143:144], v[137:138], v[143:144]
	ds_load_b128 v[137:140], v1 offset:880
	s_wait_loadcnt_dscnt 0x901
	v_mul_f64_e32 v[149:150], v[2:3], v[12:13]
	v_mul_f64_e32 v[12:13], v[4:5], v[12:13]
	v_add_f64_e32 v[131:132], v[131:132], v[147:148]
	v_add_f64_e32 v[141:142], v[143:144], v[141:142]
	s_wait_loadcnt_dscnt 0x800
	v_mul_f64_e32 v[143:144], v[137:138], v[16:17]
	v_mul_f64_e32 v[16:17], v[139:140], v[16:17]
	v_fma_f64 v[145:146], v[4:5], v[10:11], v[149:150]
	v_fma_f64 v[147:148], v[2:3], v[10:11], -v[12:13]
	ds_load_b128 v[2:5], v1 offset:896
	scratch_load_b128 v[10:13], off, off offset:400
	v_add_f64_e32 v[149:150], v[131:132], v[133:134]
	v_add_f64_e32 v[135:136], v[141:142], v[135:136]
	ds_load_b128 v[131:134], v1 offset:912
	s_wait_loadcnt_dscnt 0x801
	v_mul_f64_e32 v[141:142], v[2:3], v[20:21]
	v_mul_f64_e32 v[20:21], v[4:5], v[20:21]
	v_fma_f64 v[139:140], v[139:140], v[14:15], v[143:144]
	v_fma_f64 v[137:138], v[137:138], v[14:15], -v[16:17]
	scratch_load_b128 v[14:17], off, off offset:416
	v_add_f64_e32 v[143:144], v[149:150], v[147:148]
	v_add_f64_e32 v[135:136], v[135:136], v[145:146]
	s_wait_loadcnt_dscnt 0x800
	v_mul_f64_e32 v[145:146], v[131:132], v[24:25]
	v_mul_f64_e32 v[24:25], v[133:134], v[24:25]
	v_fma_f64 v[141:142], v[4:5], v[18:19], v[141:142]
	v_fma_f64 v[147:148], v[2:3], v[18:19], -v[20:21]
	ds_load_b128 v[2:5], v1 offset:928
	scratch_load_b128 v[18:21], off, off offset:432
	v_add_f64_e32 v[143:144], v[143:144], v[137:138]
	v_add_f64_e32 v[139:140], v[135:136], v[139:140]
	ds_load_b128 v[135:138], v1 offset:944
	s_wait_loadcnt_dscnt 0x801
	v_mul_f64_e32 v[149:150], v[2:3], v[28:29]
	v_mul_f64_e32 v[28:29], v[4:5], v[28:29]
	v_fma_f64 v[133:134], v[133:134], v[22:23], v[145:146]
	v_fma_f64 v[131:132], v[131:132], v[22:23], -v[24:25]
	scratch_load_b128 v[22:25], off, off offset:448
	;; [unrolled: 18-line block ×4, first 2 shown]
	s_wait_loadcnt_dscnt 0x800
	v_mul_f64_e32 v[143:144], v[135:136], v[8:9]
	v_mul_f64_e32 v[8:9], v[137:138], v[8:9]
	v_add_f64_e32 v[141:142], v[141:142], v[147:148]
	v_add_f64_e32 v[139:140], v[139:140], v[145:146]
	v_fma_f64 v[145:146], v[4:5], v[42:43], v[149:150]
	v_fma_f64 v[147:148], v[2:3], v[42:43], -v[44:45]
	ds_load_b128 v[2:5], v1 offset:1024
	scratch_load_b128 v[42:45], off, off offset:528
	v_fma_f64 v[137:138], v[137:138], v[6:7], v[143:144]
	v_fma_f64 v[135:136], v[135:136], v[6:7], -v[8:9]
	scratch_load_b128 v[6:9], off, off offset:544
	v_add_f64_e32 v[141:142], v[141:142], v[131:132]
	v_add_f64_e32 v[139:140], v[139:140], v[133:134]
	ds_load_b128 v[131:134], v1 offset:1040
	s_wait_loadcnt_dscnt 0x901
	v_mul_f64_e32 v[149:150], v[2:3], v[12:13]
	v_mul_f64_e32 v[12:13], v[4:5], v[12:13]
	s_wait_loadcnt_dscnt 0x800
	v_mul_f64_e32 v[143:144], v[131:132], v[16:17]
	v_mul_f64_e32 v[16:17], v[133:134], v[16:17]
	v_add_f64_e32 v[141:142], v[141:142], v[147:148]
	v_add_f64_e32 v[139:140], v[139:140], v[145:146]
	v_fma_f64 v[145:146], v[4:5], v[10:11], v[149:150]
	v_fma_f64 v[147:148], v[2:3], v[10:11], -v[12:13]
	ds_load_b128 v[2:5], v1 offset:1056
	scratch_load_b128 v[10:13], off, off offset:560
	v_fma_f64 v[133:134], v[133:134], v[14:15], v[143:144]
	v_fma_f64 v[131:132], v[131:132], v[14:15], -v[16:17]
	scratch_load_b128 v[14:17], off, off offset:576
	v_add_f64_e32 v[141:142], v[141:142], v[135:136]
	v_add_f64_e32 v[139:140], v[139:140], v[137:138]
	ds_load_b128 v[135:138], v1 offset:1072
	s_wait_loadcnt_dscnt 0x901
	v_mul_f64_e32 v[149:150], v[2:3], v[20:21]
	v_mul_f64_e32 v[20:21], v[4:5], v[20:21]
	;; [unrolled: 18-line block ×4, first 2 shown]
	s_wait_loadcnt_dscnt 0x800
	v_mul_f64_e32 v[143:144], v[135:136], v[40:41]
	v_mul_f64_e32 v[40:41], v[137:138], v[40:41]
	v_add_f64_e32 v[141:142], v[141:142], v[147:148]
	v_add_f64_e32 v[139:140], v[139:140], v[145:146]
	v_fma_f64 v[145:146], v[4:5], v[34:35], v[149:150]
	v_fma_f64 v[147:148], v[2:3], v[34:35], -v[36:37]
	ds_load_b128 v[2:5], v1 offset:1152
	ds_load_b128 v[34:37], v1 offset:1168
	v_fma_f64 v[137:138], v[137:138], v[38:39], v[143:144]
	v_fma_f64 v[38:39], v[135:136], v[38:39], -v[40:41]
	v_add_f64_e32 v[131:132], v[141:142], v[131:132]
	v_add_f64_e32 v[133:134], v[139:140], v[133:134]
	s_wait_loadcnt_dscnt 0x701
	v_mul_f64_e32 v[139:140], v[2:3], v[44:45]
	v_mul_f64_e32 v[44:45], v[4:5], v[44:45]
	s_delay_alu instid0(VALU_DEP_4) | instskip(NEXT) | instid1(VALU_DEP_4)
	v_add_f64_e32 v[40:41], v[131:132], v[147:148]
	v_add_f64_e32 v[131:132], v[133:134], v[145:146]
	s_wait_loadcnt_dscnt 0x600
	v_mul_f64_e32 v[133:134], v[34:35], v[8:9]
	v_mul_f64_e32 v[8:9], v[36:37], v[8:9]
	v_fma_f64 v[135:136], v[4:5], v[42:43], v[139:140]
	v_fma_f64 v[42:43], v[2:3], v[42:43], -v[44:45]
	v_add_f64_e32 v[44:45], v[40:41], v[38:39]
	v_add_f64_e32 v[131:132], v[131:132], v[137:138]
	ds_load_b128 v[2:5], v1 offset:1184
	ds_load_b128 v[38:41], v1 offset:1200
	v_fma_f64 v[36:37], v[36:37], v[6:7], v[133:134]
	v_fma_f64 v[6:7], v[34:35], v[6:7], -v[8:9]
	s_wait_loadcnt_dscnt 0x501
	v_mul_f64_e32 v[137:138], v[2:3], v[12:13]
	v_mul_f64_e32 v[12:13], v[4:5], v[12:13]
	v_add_f64_e32 v[8:9], v[44:45], v[42:43]
	v_add_f64_e32 v[34:35], v[131:132], v[135:136]
	s_wait_loadcnt_dscnt 0x400
	v_mul_f64_e32 v[42:43], v[38:39], v[16:17]
	v_mul_f64_e32 v[16:17], v[40:41], v[16:17]
	v_fma_f64 v[44:45], v[4:5], v[10:11], v[137:138]
	v_fma_f64 v[10:11], v[2:3], v[10:11], -v[12:13]
	v_add_f64_e32 v[12:13], v[8:9], v[6:7]
	v_add_f64_e32 v[34:35], v[34:35], v[36:37]
	ds_load_b128 v[2:5], v1 offset:1216
	ds_load_b128 v[6:9], v1 offset:1232
	v_fma_f64 v[40:41], v[40:41], v[14:15], v[42:43]
	v_fma_f64 v[14:15], v[38:39], v[14:15], -v[16:17]
	s_wait_loadcnt_dscnt 0x301
	v_mul_f64_e32 v[36:37], v[2:3], v[20:21]
	v_mul_f64_e32 v[20:21], v[4:5], v[20:21]
	s_wait_loadcnt_dscnt 0x200
	v_mul_f64_e32 v[16:17], v[6:7], v[24:25]
	v_mul_f64_e32 v[24:25], v[8:9], v[24:25]
	v_add_f64_e32 v[10:11], v[12:13], v[10:11]
	v_add_f64_e32 v[12:13], v[34:35], v[44:45]
	v_fma_f64 v[34:35], v[4:5], v[18:19], v[36:37]
	v_fma_f64 v[18:19], v[2:3], v[18:19], -v[20:21]
	v_fma_f64 v[8:9], v[8:9], v[22:23], v[16:17]
	v_fma_f64 v[6:7], v[6:7], v[22:23], -v[24:25]
	v_add_f64_e32 v[14:15], v[10:11], v[14:15]
	v_add_f64_e32 v[20:21], v[12:13], v[40:41]
	ds_load_b128 v[2:5], v1 offset:1248
	ds_load_b128 v[10:13], v1 offset:1264
	s_wait_loadcnt_dscnt 0x101
	v_mul_f64_e32 v[36:37], v[2:3], v[28:29]
	v_mul_f64_e32 v[28:29], v[4:5], v[28:29]
	v_add_f64_e32 v[14:15], v[14:15], v[18:19]
	v_add_f64_e32 v[16:17], v[20:21], v[34:35]
	s_wait_loadcnt_dscnt 0x0
	v_mul_f64_e32 v[18:19], v[10:11], v[32:33]
	v_mul_f64_e32 v[20:21], v[12:13], v[32:33]
	v_fma_f64 v[4:5], v[4:5], v[26:27], v[36:37]
	v_fma_f64 v[1:2], v[2:3], v[26:27], -v[28:29]
	v_add_f64_e32 v[6:7], v[14:15], v[6:7]
	v_add_f64_e32 v[8:9], v[16:17], v[8:9]
	v_fma_f64 v[12:13], v[12:13], v[30:31], v[18:19]
	v_fma_f64 v[10:11], v[10:11], v[30:31], -v[20:21]
	s_delay_alu instid0(VALU_DEP_4) | instskip(NEXT) | instid1(VALU_DEP_4)
	v_add_f64_e32 v[1:2], v[6:7], v[1:2]
	v_add_f64_e32 v[3:4], v[8:9], v[4:5]
	s_delay_alu instid0(VALU_DEP_2) | instskip(NEXT) | instid1(VALU_DEP_2)
	v_add_f64_e32 v[1:2], v[1:2], v[10:11]
	v_add_f64_e32 v[3:4], v[3:4], v[12:13]
	s_delay_alu instid0(VALU_DEP_2) | instskip(NEXT) | instid1(VALU_DEP_2)
	v_add_f64_e64 v[1:2], v[127:128], -v[1:2]
	v_add_f64_e64 v[3:4], v[129:130], -v[3:4]
	scratch_store_b128 off, v[1:4], off offset:32
	v_cmpx_ne_u32_e32 0, v0
	s_cbranch_execz .LBB39_253
; %bb.252:
	scratch_load_b128 v[0:3], off, off offset:16
	v_mov_b32_e32 v4, 0
	s_delay_alu instid0(VALU_DEP_1)
	v_dual_mov_b32 v5, v4 :: v_dual_mov_b32 v6, v4
	v_mov_b32_e32 v7, v4
	scratch_store_b128 off, v[4:7], off offset:16
	s_wait_loadcnt 0x0
	ds_store_b128 v126, v[0:3]
.LBB39_253:
	s_wait_alu 0xfffe
	s_or_b32 exec_lo, exec_lo, s0
	s_wait_storecnt_dscnt 0x0
	s_barrier_signal -1
	s_barrier_wait -1
	global_inv scope:SCOPE_SE
	s_clause 0x7
	scratch_load_b128 v[0:3], off, off offset:32
	scratch_load_b128 v[4:7], off, off offset:48
	;; [unrolled: 1-line block ×8, first 2 shown]
	v_mov_b32_e32 v40, 0
	s_and_b32 vcc_lo, exec_lo, s18
	ds_load_b128 v[36:39], v40 offset:656
	s_clause 0x1
	scratch_load_b128 v[32:35], off, off offset:160
	scratch_load_b128 v[41:44], off, off offset:16
	ds_load_b128 v[126:129], v40 offset:672
	scratch_load_b128 v[130:133], off, off offset:176
	s_wait_loadcnt_dscnt 0xa01
	v_mul_f64_e32 v[134:135], v[38:39], v[2:3]
	v_mul_f64_e32 v[2:3], v[36:37], v[2:3]
	s_delay_alu instid0(VALU_DEP_2) | instskip(NEXT) | instid1(VALU_DEP_2)
	v_fma_f64 v[140:141], v[36:37], v[0:1], -v[134:135]
	v_fma_f64 v[142:143], v[38:39], v[0:1], v[2:3]
	ds_load_b128 v[0:3], v40 offset:688
	s_wait_loadcnt_dscnt 0x901
	v_mul_f64_e32 v[138:139], v[126:127], v[6:7]
	v_mul_f64_e32 v[6:7], v[128:129], v[6:7]
	scratch_load_b128 v[36:39], off, off offset:192
	ds_load_b128 v[134:137], v40 offset:704
	s_wait_loadcnt_dscnt 0x901
	v_mul_f64_e32 v[144:145], v[0:1], v[10:11]
	v_mul_f64_e32 v[10:11], v[2:3], v[10:11]
	v_fma_f64 v[128:129], v[128:129], v[4:5], v[138:139]
	v_fma_f64 v[126:127], v[126:127], v[4:5], -v[6:7]
	v_add_f64_e32 v[138:139], 0, v[140:141]
	v_add_f64_e32 v[140:141], 0, v[142:143]
	scratch_load_b128 v[4:7], off, off offset:208
	v_fma_f64 v[144:145], v[2:3], v[8:9], v[144:145]
	v_fma_f64 v[146:147], v[0:1], v[8:9], -v[10:11]
	ds_load_b128 v[0:3], v40 offset:720
	s_wait_loadcnt_dscnt 0x901
	v_mul_f64_e32 v[142:143], v[134:135], v[14:15]
	v_mul_f64_e32 v[14:15], v[136:137], v[14:15]
	scratch_load_b128 v[8:11], off, off offset:224
	v_add_f64_e32 v[138:139], v[138:139], v[126:127]
	v_add_f64_e32 v[140:141], v[140:141], v[128:129]
	s_wait_loadcnt_dscnt 0x900
	v_mul_f64_e32 v[148:149], v[0:1], v[18:19]
	v_mul_f64_e32 v[18:19], v[2:3], v[18:19]
	ds_load_b128 v[126:129], v40 offset:736
	v_fma_f64 v[136:137], v[136:137], v[12:13], v[142:143]
	v_fma_f64 v[134:135], v[134:135], v[12:13], -v[14:15]
	scratch_load_b128 v[12:15], off, off offset:240
	v_add_f64_e32 v[138:139], v[138:139], v[146:147]
	v_add_f64_e32 v[140:141], v[140:141], v[144:145]
	v_fma_f64 v[144:145], v[2:3], v[16:17], v[148:149]
	v_fma_f64 v[146:147], v[0:1], v[16:17], -v[18:19]
	ds_load_b128 v[0:3], v40 offset:752
	s_wait_loadcnt_dscnt 0x901
	v_mul_f64_e32 v[142:143], v[126:127], v[22:23]
	v_mul_f64_e32 v[22:23], v[128:129], v[22:23]
	scratch_load_b128 v[16:19], off, off offset:256
	s_wait_loadcnt_dscnt 0x900
	v_mul_f64_e32 v[148:149], v[0:1], v[26:27]
	v_mul_f64_e32 v[26:27], v[2:3], v[26:27]
	v_add_f64_e32 v[138:139], v[138:139], v[134:135]
	v_add_f64_e32 v[140:141], v[140:141], v[136:137]
	ds_load_b128 v[134:137], v40 offset:768
	v_fma_f64 v[128:129], v[128:129], v[20:21], v[142:143]
	v_fma_f64 v[126:127], v[126:127], v[20:21], -v[22:23]
	scratch_load_b128 v[20:23], off, off offset:272
	v_add_f64_e32 v[138:139], v[138:139], v[146:147]
	v_add_f64_e32 v[140:141], v[140:141], v[144:145]
	v_fma_f64 v[144:145], v[2:3], v[24:25], v[148:149]
	v_fma_f64 v[146:147], v[0:1], v[24:25], -v[26:27]
	ds_load_b128 v[0:3], v40 offset:784
	s_wait_loadcnt_dscnt 0x901
	v_mul_f64_e32 v[142:143], v[134:135], v[30:31]
	v_mul_f64_e32 v[30:31], v[136:137], v[30:31]
	scratch_load_b128 v[24:27], off, off offset:288
	s_wait_loadcnt_dscnt 0x900
	v_mul_f64_e32 v[148:149], v[0:1], v[34:35]
	v_mul_f64_e32 v[34:35], v[2:3], v[34:35]
	v_add_f64_e32 v[138:139], v[138:139], v[126:127]
	v_add_f64_e32 v[140:141], v[140:141], v[128:129]
	ds_load_b128 v[126:129], v40 offset:800
	v_fma_f64 v[136:137], v[136:137], v[28:29], v[142:143]
	v_fma_f64 v[134:135], v[134:135], v[28:29], -v[30:31]
	scratch_load_b128 v[28:31], off, off offset:304
	v_add_f64_e32 v[138:139], v[138:139], v[146:147]
	v_add_f64_e32 v[140:141], v[140:141], v[144:145]
	v_fma_f64 v[146:147], v[2:3], v[32:33], v[148:149]
	v_fma_f64 v[148:149], v[0:1], v[32:33], -v[34:35]
	ds_load_b128 v[0:3], v40 offset:816
	s_wait_loadcnt_dscnt 0x801
	v_mul_f64_e32 v[142:143], v[126:127], v[132:133]
	v_mul_f64_e32 v[144:145], v[128:129], v[132:133]
	scratch_load_b128 v[32:35], off, off offset:320
	v_add_f64_e32 v[138:139], v[138:139], v[134:135]
	v_add_f64_e32 v[136:137], v[140:141], v[136:137]
	ds_load_b128 v[132:135], v40 offset:832
	v_fma_f64 v[142:143], v[128:129], v[130:131], v[142:143]
	v_fma_f64 v[130:131], v[126:127], v[130:131], -v[144:145]
	scratch_load_b128 v[126:129], off, off offset:336
	s_wait_loadcnt_dscnt 0x901
	v_mul_f64_e32 v[140:141], v[0:1], v[38:39]
	v_mul_f64_e32 v[38:39], v[2:3], v[38:39]
	v_add_f64_e32 v[138:139], v[138:139], v[148:149]
	v_add_f64_e32 v[136:137], v[136:137], v[146:147]
	s_delay_alu instid0(VALU_DEP_4) | instskip(NEXT) | instid1(VALU_DEP_4)
	v_fma_f64 v[140:141], v[2:3], v[36:37], v[140:141]
	v_fma_f64 v[146:147], v[0:1], v[36:37], -v[38:39]
	ds_load_b128 v[0:3], v40 offset:848
	s_wait_loadcnt_dscnt 0x801
	v_mul_f64_e32 v[144:145], v[132:133], v[6:7]
	v_mul_f64_e32 v[6:7], v[134:135], v[6:7]
	scratch_load_b128 v[36:39], off, off offset:352
	s_wait_loadcnt_dscnt 0x800
	v_mul_f64_e32 v[148:149], v[0:1], v[10:11]
	v_add_f64_e32 v[130:131], v[138:139], v[130:131]
	v_add_f64_e32 v[142:143], v[136:137], v[142:143]
	v_mul_f64_e32 v[10:11], v[2:3], v[10:11]
	ds_load_b128 v[136:139], v40 offset:864
	v_fma_f64 v[134:135], v[134:135], v[4:5], v[144:145]
	v_fma_f64 v[132:133], v[132:133], v[4:5], -v[6:7]
	scratch_load_b128 v[4:7], off, off offset:368
	v_fma_f64 v[144:145], v[2:3], v[8:9], v[148:149]
	v_add_f64_e32 v[130:131], v[130:131], v[146:147]
	v_add_f64_e32 v[140:141], v[142:143], v[140:141]
	v_fma_f64 v[146:147], v[0:1], v[8:9], -v[10:11]
	ds_load_b128 v[0:3], v40 offset:880
	s_wait_loadcnt_dscnt 0x801
	v_mul_f64_e32 v[142:143], v[136:137], v[14:15]
	v_mul_f64_e32 v[14:15], v[138:139], v[14:15]
	scratch_load_b128 v[8:11], off, off offset:384
	v_add_f64_e32 v[148:149], v[130:131], v[132:133]
	v_add_f64_e32 v[134:135], v[140:141], v[134:135]
	s_wait_loadcnt_dscnt 0x800
	v_mul_f64_e32 v[140:141], v[0:1], v[18:19]
	v_mul_f64_e32 v[18:19], v[2:3], v[18:19]
	v_fma_f64 v[138:139], v[138:139], v[12:13], v[142:143]
	v_fma_f64 v[136:137], v[136:137], v[12:13], -v[14:15]
	ds_load_b128 v[130:133], v40 offset:896
	scratch_load_b128 v[12:15], off, off offset:400
	v_add_f64_e32 v[142:143], v[148:149], v[146:147]
	v_add_f64_e32 v[134:135], v[134:135], v[144:145]
	v_fma_f64 v[140:141], v[2:3], v[16:17], v[140:141]
	v_fma_f64 v[146:147], v[0:1], v[16:17], -v[18:19]
	ds_load_b128 v[0:3], v40 offset:912
	s_wait_loadcnt_dscnt 0x801
	v_mul_f64_e32 v[144:145], v[130:131], v[22:23]
	v_mul_f64_e32 v[22:23], v[132:133], v[22:23]
	scratch_load_b128 v[16:19], off, off offset:416
	s_wait_loadcnt_dscnt 0x800
	v_mul_f64_e32 v[148:149], v[0:1], v[26:27]
	v_mul_f64_e32 v[26:27], v[2:3], v[26:27]
	v_add_f64_e32 v[142:143], v[142:143], v[136:137]
	v_add_f64_e32 v[138:139], v[134:135], v[138:139]
	ds_load_b128 v[134:137], v40 offset:928
	v_fma_f64 v[132:133], v[132:133], v[20:21], v[144:145]
	v_fma_f64 v[130:131], v[130:131], v[20:21], -v[22:23]
	scratch_load_b128 v[20:23], off, off offset:432
	v_fma_f64 v[144:145], v[2:3], v[24:25], v[148:149]
	v_add_f64_e32 v[142:143], v[142:143], v[146:147]
	v_add_f64_e32 v[138:139], v[138:139], v[140:141]
	v_fma_f64 v[146:147], v[0:1], v[24:25], -v[26:27]
	ds_load_b128 v[0:3], v40 offset:944
	s_wait_loadcnt_dscnt 0x801
	v_mul_f64_e32 v[140:141], v[134:135], v[30:31]
	v_mul_f64_e32 v[30:31], v[136:137], v[30:31]
	scratch_load_b128 v[24:27], off, off offset:448
	s_wait_loadcnt_dscnt 0x800
	v_mul_f64_e32 v[148:149], v[0:1], v[34:35]
	v_mul_f64_e32 v[34:35], v[2:3], v[34:35]
	v_add_f64_e32 v[142:143], v[142:143], v[130:131]
	v_add_f64_e32 v[138:139], v[138:139], v[132:133]
	ds_load_b128 v[130:133], v40 offset:960
	v_fma_f64 v[136:137], v[136:137], v[28:29], v[140:141]
	v_fma_f64 v[134:135], v[134:135], v[28:29], -v[30:31]
	scratch_load_b128 v[28:31], off, off offset:464
	v_add_f64_e32 v[140:141], v[142:143], v[146:147]
	v_add_f64_e32 v[138:139], v[138:139], v[144:145]
	v_fma_f64 v[144:145], v[2:3], v[32:33], v[148:149]
	v_fma_f64 v[146:147], v[0:1], v[32:33], -v[34:35]
	ds_load_b128 v[0:3], v40 offset:976
	s_wait_loadcnt_dscnt 0x801
	v_mul_f64_e32 v[142:143], v[130:131], v[128:129]
	v_mul_f64_e32 v[128:129], v[132:133], v[128:129]
	scratch_load_b128 v[32:35], off, off offset:480
	s_wait_loadcnt_dscnt 0x800
	v_mul_f64_e32 v[148:149], v[0:1], v[38:39]
	v_mul_f64_e32 v[38:39], v[2:3], v[38:39]
	v_add_f64_e32 v[140:141], v[140:141], v[134:135]
	v_add_f64_e32 v[138:139], v[138:139], v[136:137]
	ds_load_b128 v[134:137], v40 offset:992
	v_fma_f64 v[132:133], v[132:133], v[126:127], v[142:143]
	v_fma_f64 v[130:131], v[130:131], v[126:127], -v[128:129]
	scratch_load_b128 v[126:129], off, off offset:496
	v_add_f64_e32 v[140:141], v[140:141], v[146:147]
	v_add_f64_e32 v[138:139], v[138:139], v[144:145]
	v_fma_f64 v[144:145], v[2:3], v[36:37], v[148:149]
	;; [unrolled: 18-line block ×6, first 2 shown]
	v_fma_f64 v[148:149], v[0:1], v[32:33], -v[34:35]
	ds_load_b128 v[0:3], v40 offset:1136
	s_wait_loadcnt_dscnt 0x801
	v_mul_f64_e32 v[142:143], v[134:135], v[128:129]
	v_mul_f64_e32 v[144:145], v[136:137], v[128:129]
	scratch_load_b128 v[32:35], off, off offset:640
	v_add_f64_e32 v[140:141], v[140:141], v[130:131]
	v_add_f64_e32 v[132:133], v[138:139], v[132:133]
	s_wait_loadcnt_dscnt 0x800
	v_mul_f64_e32 v[138:139], v[0:1], v[38:39]
	v_mul_f64_e32 v[38:39], v[2:3], v[38:39]
	ds_load_b128 v[128:131], v40 offset:1152
	v_fma_f64 v[136:137], v[136:137], v[126:127], v[142:143]
	v_fma_f64 v[126:127], v[134:135], v[126:127], -v[144:145]
	v_add_f64_e32 v[134:135], v[140:141], v[148:149]
	v_add_f64_e32 v[132:133], v[132:133], v[146:147]
	s_wait_loadcnt_dscnt 0x700
	v_mul_f64_e32 v[140:141], v[128:129], v[6:7]
	v_mul_f64_e32 v[6:7], v[130:131], v[6:7]
	v_fma_f64 v[138:139], v[2:3], v[36:37], v[138:139]
	v_fma_f64 v[142:143], v[0:1], v[36:37], -v[38:39]
	ds_load_b128 v[0:3], v40 offset:1168
	ds_load_b128 v[36:39], v40 offset:1184
	v_add_f64_e32 v[126:127], v[134:135], v[126:127]
	v_add_f64_e32 v[132:133], v[132:133], v[136:137]
	s_wait_loadcnt_dscnt 0x601
	v_mul_f64_e32 v[134:135], v[0:1], v[10:11]
	v_mul_f64_e32 v[10:11], v[2:3], v[10:11]
	v_fma_f64 v[130:131], v[130:131], v[4:5], v[140:141]
	v_fma_f64 v[4:5], v[128:129], v[4:5], -v[6:7]
	s_wait_loadcnt_dscnt 0x500
	v_mul_f64_e32 v[128:129], v[36:37], v[14:15]
	v_mul_f64_e32 v[14:15], v[38:39], v[14:15]
	v_add_f64_e32 v[6:7], v[126:127], v[142:143]
	v_add_f64_e32 v[126:127], v[132:133], v[138:139]
	v_fma_f64 v[132:133], v[2:3], v[8:9], v[134:135]
	v_fma_f64 v[8:9], v[0:1], v[8:9], -v[10:11]
	v_fma_f64 v[38:39], v[38:39], v[12:13], v[128:129]
	v_fma_f64 v[12:13], v[36:37], v[12:13], -v[14:15]
	v_add_f64_e32 v[10:11], v[6:7], v[4:5]
	v_add_f64_e32 v[126:127], v[126:127], v[130:131]
	ds_load_b128 v[0:3], v40 offset:1200
	ds_load_b128 v[4:7], v40 offset:1216
	s_wait_loadcnt_dscnt 0x401
	v_mul_f64_e32 v[130:131], v[0:1], v[18:19]
	v_mul_f64_e32 v[18:19], v[2:3], v[18:19]
	s_wait_loadcnt_dscnt 0x300
	v_mul_f64_e32 v[14:15], v[4:5], v[22:23]
	v_mul_f64_e32 v[22:23], v[6:7], v[22:23]
	v_add_f64_e32 v[8:9], v[10:11], v[8:9]
	v_add_f64_e32 v[10:11], v[126:127], v[132:133]
	v_fma_f64 v[36:37], v[2:3], v[16:17], v[130:131]
	v_fma_f64 v[16:17], v[0:1], v[16:17], -v[18:19]
	v_fma_f64 v[6:7], v[6:7], v[20:21], v[14:15]
	v_fma_f64 v[4:5], v[4:5], v[20:21], -v[22:23]
	v_add_f64_e32 v[12:13], v[8:9], v[12:13]
	v_add_f64_e32 v[18:19], v[10:11], v[38:39]
	ds_load_b128 v[0:3], v40 offset:1232
	ds_load_b128 v[8:11], v40 offset:1248
	s_wait_loadcnt_dscnt 0x201
	v_mul_f64_e32 v[38:39], v[0:1], v[26:27]
	v_mul_f64_e32 v[26:27], v[2:3], v[26:27]
	v_add_f64_e32 v[12:13], v[12:13], v[16:17]
	v_add_f64_e32 v[14:15], v[18:19], v[36:37]
	s_wait_loadcnt_dscnt 0x100
	v_mul_f64_e32 v[16:17], v[8:9], v[30:31]
	v_mul_f64_e32 v[18:19], v[10:11], v[30:31]
	v_fma_f64 v[20:21], v[2:3], v[24:25], v[38:39]
	v_fma_f64 v[22:23], v[0:1], v[24:25], -v[26:27]
	ds_load_b128 v[0:3], v40 offset:1264
	v_add_f64_e32 v[4:5], v[12:13], v[4:5]
	v_add_f64_e32 v[6:7], v[14:15], v[6:7]
	v_fma_f64 v[10:11], v[10:11], v[28:29], v[16:17]
	v_fma_f64 v[8:9], v[8:9], v[28:29], -v[18:19]
	s_wait_loadcnt_dscnt 0x0
	v_mul_f64_e32 v[12:13], v[0:1], v[34:35]
	v_mul_f64_e32 v[14:15], v[2:3], v[34:35]
	v_add_f64_e32 v[4:5], v[4:5], v[22:23]
	v_add_f64_e32 v[6:7], v[6:7], v[20:21]
	s_delay_alu instid0(VALU_DEP_4) | instskip(NEXT) | instid1(VALU_DEP_4)
	v_fma_f64 v[2:3], v[2:3], v[32:33], v[12:13]
	v_fma_f64 v[0:1], v[0:1], v[32:33], -v[14:15]
	s_delay_alu instid0(VALU_DEP_4) | instskip(NEXT) | instid1(VALU_DEP_4)
	v_add_f64_e32 v[4:5], v[4:5], v[8:9]
	v_add_f64_e32 v[6:7], v[6:7], v[10:11]
	s_delay_alu instid0(VALU_DEP_2) | instskip(NEXT) | instid1(VALU_DEP_2)
	v_add_f64_e32 v[0:1], v[4:5], v[0:1]
	v_add_f64_e32 v[2:3], v[6:7], v[2:3]
	s_delay_alu instid0(VALU_DEP_2) | instskip(NEXT) | instid1(VALU_DEP_2)
	v_add_f64_e64 v[0:1], v[41:42], -v[0:1]
	v_add_f64_e64 v[2:3], v[43:44], -v[2:3]
	scratch_store_b128 off, v[0:3], off offset:16
	s_wait_alu 0xfffe
	s_cbranch_vccz .LBB39_332
; %bb.254:
	global_load_b32 v0, v40, s[2:3] offset:152
	s_wait_loadcnt 0x0
	v_cmp_ne_u32_e32 vcc_lo, 39, v0
	s_cbranch_vccz .LBB39_256
; %bb.255:
	v_lshlrev_b32_e32 v0, 4, v0
	s_delay_alu instid0(VALU_DEP_1)
	v_add_nc_u32_e32 v8, 16, v0
	s_clause 0x1
	scratch_load_b128 v[0:3], v8, off offset:-16
	scratch_load_b128 v[4:7], off, s28
	s_wait_loadcnt 0x1
	scratch_store_b128 off, v[0:3], s28
	s_wait_loadcnt 0x0
	scratch_store_b128 v8, v[4:7], off offset:-16
.LBB39_256:
	v_mov_b32_e32 v0, 0
	global_load_b32 v1, v0, s[2:3] offset:148
	s_wait_loadcnt 0x0
	v_cmp_eq_u32_e32 vcc_lo, 38, v1
	s_cbranch_vccnz .LBB39_258
; %bb.257:
	v_lshlrev_b32_e32 v1, 4, v1
	s_delay_alu instid0(VALU_DEP_1)
	v_add_nc_u32_e32 v9, 16, v1
	s_clause 0x1
	scratch_load_b128 v[1:4], v9, off offset:-16
	scratch_load_b128 v[5:8], off, s26
	s_wait_loadcnt 0x1
	scratch_store_b128 off, v[1:4], s26
	s_wait_loadcnt 0x0
	scratch_store_b128 v9, v[5:8], off offset:-16
.LBB39_258:
	global_load_b32 v0, v0, s[2:3] offset:144
	s_wait_loadcnt 0x0
	v_cmp_eq_u32_e32 vcc_lo, 37, v0
	s_cbranch_vccnz .LBB39_260
; %bb.259:
	v_lshlrev_b32_e32 v0, 4, v0
	s_delay_alu instid0(VALU_DEP_1)
	v_add_nc_u32_e32 v8, 16, v0
	s_clause 0x1
	scratch_load_b128 v[0:3], v8, off offset:-16
	scratch_load_b128 v[4:7], off, s27
	s_wait_loadcnt 0x1
	scratch_store_b128 off, v[0:3], s27
	s_wait_loadcnt 0x0
	scratch_store_b128 v8, v[4:7], off offset:-16
.LBB39_260:
	v_mov_b32_e32 v0, 0
	global_load_b32 v1, v0, s[2:3] offset:140
	s_wait_loadcnt 0x0
	v_cmp_eq_u32_e32 vcc_lo, 36, v1
	s_cbranch_vccnz .LBB39_262
; %bb.261:
	v_lshlrev_b32_e32 v1, 4, v1
	s_delay_alu instid0(VALU_DEP_1)
	v_add_nc_u32_e32 v9, 16, v1
	s_clause 0x1
	scratch_load_b128 v[1:4], v9, off offset:-16
	scratch_load_b128 v[5:8], off, s4
	s_wait_loadcnt 0x1
	scratch_store_b128 off, v[1:4], s4
	s_wait_loadcnt 0x0
	scratch_store_b128 v9, v[5:8], off offset:-16
.LBB39_262:
	global_load_b32 v0, v0, s[2:3] offset:136
	s_wait_loadcnt 0x0
	v_cmp_eq_u32_e32 vcc_lo, 35, v0
	s_cbranch_vccnz .LBB39_264
; %bb.263:
	v_lshlrev_b32_e32 v0, 4, v0
	s_delay_alu instid0(VALU_DEP_1)
	v_add_nc_u32_e32 v8, 16, v0
	s_clause 0x1
	scratch_load_b128 v[0:3], v8, off offset:-16
	scratch_load_b128 v[4:7], off, s8
	s_wait_loadcnt 0x1
	scratch_store_b128 off, v[0:3], s8
	s_wait_loadcnt 0x0
	scratch_store_b128 v8, v[4:7], off offset:-16
.LBB39_264:
	;; [unrolled: 33-line block ×18, first 2 shown]
	v_mov_b32_e32 v0, 0
	global_load_b32 v1, v0, s[2:3] offset:4
	s_wait_loadcnt 0x0
	v_cmp_eq_u32_e32 vcc_lo, 2, v1
	s_cbranch_vccnz .LBB39_330
; %bb.329:
	v_lshlrev_b32_e32 v1, 4, v1
	s_delay_alu instid0(VALU_DEP_1)
	v_add_nc_u32_e32 v9, 16, v1
	s_clause 0x1
	scratch_load_b128 v[1:4], v9, off offset:-16
	scratch_load_b128 v[5:8], off, s33
	s_wait_loadcnt 0x1
	scratch_store_b128 off, v[1:4], s33
	s_wait_loadcnt 0x0
	scratch_store_b128 v9, v[5:8], off offset:-16
.LBB39_330:
	global_load_b32 v0, v0, s[2:3]
	s_wait_loadcnt 0x0
	v_cmp_eq_u32_e32 vcc_lo, 1, v0
	s_cbranch_vccnz .LBB39_332
; %bb.331:
	v_lshlrev_b32_e32 v0, 4, v0
	s_delay_alu instid0(VALU_DEP_1)
	v_add_nc_u32_e32 v8, 16, v0
	scratch_load_b128 v[0:3], v8, off offset:-16
	scratch_load_b128 v[4:7], off, off offset:16
	s_wait_loadcnt 0x1
	scratch_store_b128 off, v[0:3], off offset:16
	s_wait_loadcnt 0x0
	scratch_store_b128 v8, v[4:7], off offset:-16
.LBB39_332:
	scratch_load_b128 v[0:3], off, off offset:16
	s_clause 0x12
	scratch_load_b128 v[4:7], off, s33
	scratch_load_b128 v[8:11], off, s31
	;; [unrolled: 1-line block ×19, first 2 shown]
	s_wait_loadcnt 0x13
	global_store_b128 v[46:47], v[0:3], off
	s_clause 0x1
	scratch_load_b128 v[0:3], off, s24
	scratch_load_b128 v[44:47], off, s25
	s_wait_loadcnt 0x14
	global_store_b128 v[48:49], v[4:7], off
	s_clause 0x1
	scratch_load_b128 v[4:7], off, s22
	scratch_load_b128 v[162:165], off, s23
	s_wait_loadcnt 0x15
	global_store_b128 v[50:51], v[8:11], off
	s_wait_loadcnt 0x14
	global_store_b128 v[52:53], v[12:15], off
	s_clause 0x1
	scratch_load_b128 v[8:11], off, s20
	scratch_load_b128 v[12:15], off, s21
	s_wait_loadcnt 0x15
	global_store_b128 v[54:55], v[16:19], off
	s_clause 0x1
	scratch_load_b128 v[16:19], off, s15
	scratch_load_b128 v[48:51], off, s19
	s_wait_loadcnt 0x16
	global_store_b128 v[56:57], v[20:23], off
	s_clause 0x1
	scratch_load_b128 v[20:23], off, s13
	scratch_load_b128 v[52:55], off, s14
	s_wait_loadcnt 0x17
	global_store_b128 v[58:59], v[24:27], off
	s_wait_loadcnt 0x16
	global_store_b128 v[60:61], v[28:31], off
	s_clause 0x1
	scratch_load_b128 v[24:27], off, s11
	scratch_load_b128 v[28:31], off, s12
	;; [unrolled: 17-line block ×3, first 2 shown]
	s_wait_loadcnt 0x19
	global_store_b128 v[70:71], v[130:133], off
	s_clause 0x1
	scratch_load_b128 v[68:71], off, s26
	scratch_load_b128 v[126:129], off, s28
	s_wait_loadcnt 0x1a
	global_store_b128 v[72:73], v[134:137], off
	s_wait_loadcnt 0x19
	global_store_b128 v[74:75], v[138:141], off
	;; [unrolled: 2-line block ×25, first 2 shown]
	s_wait_loadcnt 0x0
	s_clause 0x1
	global_store_b128 v[122:123], v[126:129], off
	global_store_b128 v[124:125], v[158:161], off
	s_nop 0
	s_sendmsg sendmsg(MSG_DEALLOC_VGPRS)
	s_endpgm
	.section	.rodata,"a",@progbits
	.p2align	6, 0x0
	.amdhsa_kernel _ZN9rocsolver6v33100L18getri_kernel_smallILi40E19rocblas_complex_numIdEPS3_EEvT1_iilPiilS6_bb
		.amdhsa_group_segment_fixed_size 1288
		.amdhsa_private_segment_fixed_size 672
		.amdhsa_kernarg_size 60
		.amdhsa_user_sgpr_count 2
		.amdhsa_user_sgpr_dispatch_ptr 0
		.amdhsa_user_sgpr_queue_ptr 0
		.amdhsa_user_sgpr_kernarg_segment_ptr 1
		.amdhsa_user_sgpr_dispatch_id 0
		.amdhsa_user_sgpr_private_segment_size 0
		.amdhsa_wavefront_size32 1
		.amdhsa_uses_dynamic_stack 0
		.amdhsa_enable_private_segment 1
		.amdhsa_system_sgpr_workgroup_id_x 1
		.amdhsa_system_sgpr_workgroup_id_y 0
		.amdhsa_system_sgpr_workgroup_id_z 0
		.amdhsa_system_sgpr_workgroup_info 0
		.amdhsa_system_vgpr_workitem_id 0
		.amdhsa_next_free_vgpr 172
		.amdhsa_next_free_sgpr 61
		.amdhsa_reserve_vcc 1
		.amdhsa_float_round_mode_32 0
		.amdhsa_float_round_mode_16_64 0
		.amdhsa_float_denorm_mode_32 3
		.amdhsa_float_denorm_mode_16_64 3
		.amdhsa_fp16_overflow 0
		.amdhsa_workgroup_processor_mode 1
		.amdhsa_memory_ordered 1
		.amdhsa_forward_progress 1
		.amdhsa_inst_pref_size 255
		.amdhsa_round_robin_scheduling 0
		.amdhsa_exception_fp_ieee_invalid_op 0
		.amdhsa_exception_fp_denorm_src 0
		.amdhsa_exception_fp_ieee_div_zero 0
		.amdhsa_exception_fp_ieee_overflow 0
		.amdhsa_exception_fp_ieee_underflow 0
		.amdhsa_exception_fp_ieee_inexact 0
		.amdhsa_exception_int_div_zero 0
	.end_amdhsa_kernel
	.section	.text._ZN9rocsolver6v33100L18getri_kernel_smallILi40E19rocblas_complex_numIdEPS3_EEvT1_iilPiilS6_bb,"axG",@progbits,_ZN9rocsolver6v33100L18getri_kernel_smallILi40E19rocblas_complex_numIdEPS3_EEvT1_iilPiilS6_bb,comdat
.Lfunc_end39:
	.size	_ZN9rocsolver6v33100L18getri_kernel_smallILi40E19rocblas_complex_numIdEPS3_EEvT1_iilPiilS6_bb, .Lfunc_end39-_ZN9rocsolver6v33100L18getri_kernel_smallILi40E19rocblas_complex_numIdEPS3_EEvT1_iilPiilS6_bb
                                        ; -- End function
	.set _ZN9rocsolver6v33100L18getri_kernel_smallILi40E19rocblas_complex_numIdEPS3_EEvT1_iilPiilS6_bb.num_vgpr, 172
	.set _ZN9rocsolver6v33100L18getri_kernel_smallILi40E19rocblas_complex_numIdEPS3_EEvT1_iilPiilS6_bb.num_agpr, 0
	.set _ZN9rocsolver6v33100L18getri_kernel_smallILi40E19rocblas_complex_numIdEPS3_EEvT1_iilPiilS6_bb.numbered_sgpr, 61
	.set _ZN9rocsolver6v33100L18getri_kernel_smallILi40E19rocblas_complex_numIdEPS3_EEvT1_iilPiilS6_bb.num_named_barrier, 0
	.set _ZN9rocsolver6v33100L18getri_kernel_smallILi40E19rocblas_complex_numIdEPS3_EEvT1_iilPiilS6_bb.private_seg_size, 672
	.set _ZN9rocsolver6v33100L18getri_kernel_smallILi40E19rocblas_complex_numIdEPS3_EEvT1_iilPiilS6_bb.uses_vcc, 1
	.set _ZN9rocsolver6v33100L18getri_kernel_smallILi40E19rocblas_complex_numIdEPS3_EEvT1_iilPiilS6_bb.uses_flat_scratch, 1
	.set _ZN9rocsolver6v33100L18getri_kernel_smallILi40E19rocblas_complex_numIdEPS3_EEvT1_iilPiilS6_bb.has_dyn_sized_stack, 0
	.set _ZN9rocsolver6v33100L18getri_kernel_smallILi40E19rocblas_complex_numIdEPS3_EEvT1_iilPiilS6_bb.has_recursion, 0
	.set _ZN9rocsolver6v33100L18getri_kernel_smallILi40E19rocblas_complex_numIdEPS3_EEvT1_iilPiilS6_bb.has_indirect_call, 0
	.section	.AMDGPU.csdata,"",@progbits
; Kernel info:
; codeLenInByte = 70640
; TotalNumSgprs: 63
; NumVgprs: 172
; ScratchSize: 672
; MemoryBound: 0
; FloatMode: 240
; IeeeMode: 1
; LDSByteSize: 1288 bytes/workgroup (compile time only)
; SGPRBlocks: 0
; VGPRBlocks: 21
; NumSGPRsForWavesPerEU: 63
; NumVGPRsForWavesPerEU: 172
; Occupancy: 8
; WaveLimiterHint : 1
; COMPUTE_PGM_RSRC2:SCRATCH_EN: 1
; COMPUTE_PGM_RSRC2:USER_SGPR: 2
; COMPUTE_PGM_RSRC2:TRAP_HANDLER: 0
; COMPUTE_PGM_RSRC2:TGID_X_EN: 1
; COMPUTE_PGM_RSRC2:TGID_Y_EN: 0
; COMPUTE_PGM_RSRC2:TGID_Z_EN: 0
; COMPUTE_PGM_RSRC2:TIDIG_COMP_CNT: 0
	.section	.text._ZN9rocsolver6v33100L18getri_kernel_smallILi41E19rocblas_complex_numIdEPS3_EEvT1_iilPiilS6_bb,"axG",@progbits,_ZN9rocsolver6v33100L18getri_kernel_smallILi41E19rocblas_complex_numIdEPS3_EEvT1_iilPiilS6_bb,comdat
	.globl	_ZN9rocsolver6v33100L18getri_kernel_smallILi41E19rocblas_complex_numIdEPS3_EEvT1_iilPiilS6_bb ; -- Begin function _ZN9rocsolver6v33100L18getri_kernel_smallILi41E19rocblas_complex_numIdEPS3_EEvT1_iilPiilS6_bb
	.p2align	8
	.type	_ZN9rocsolver6v33100L18getri_kernel_smallILi41E19rocblas_complex_numIdEPS3_EEvT1_iilPiilS6_bb,@function
_ZN9rocsolver6v33100L18getri_kernel_smallILi41E19rocblas_complex_numIdEPS3_EEvT1_iilPiilS6_bb: ; @_ZN9rocsolver6v33100L18getri_kernel_smallILi41E19rocblas_complex_numIdEPS3_EEvT1_iilPiilS6_bb
; %bb.0:
	s_mov_b32 s2, exec_lo
	v_cmpx_gt_u32_e32 41, v0
	s_cbranch_execz .LBB40_178
; %bb.1:
	s_clause 0x2
	s_load_b32 s2, s[0:1], 0x38
	s_load_b128 s[12:15], s[0:1], 0x10
	s_load_b128 s[4:7], s[0:1], 0x28
	s_mov_b32 s16, ttmp9
	s_wait_kmcnt 0x0
	s_bitcmp1_b32 s2, 8
	s_cselect_b32 s18, -1, 0
	s_bfe_u32 s2, s2, 0x10008
	s_ashr_i32 s17, ttmp9, 31
	s_cmp_eq_u32 s2, 0
                                        ; implicit-def: $sgpr2_sgpr3
	s_cbranch_scc1 .LBB40_3
; %bb.2:
	s_load_b32 s2, s[0:1], 0x20
	s_mul_u64 s[4:5], s[4:5], s[16:17]
	s_delay_alu instid0(SALU_CYCLE_1) | instskip(NEXT) | instid1(SALU_CYCLE_1)
	s_lshl_b64 s[4:5], s[4:5], 2
	s_add_nc_u64 s[4:5], s[14:15], s[4:5]
	s_wait_kmcnt 0x0
	s_ashr_i32 s3, s2, 31
	s_delay_alu instid0(SALU_CYCLE_1) | instskip(NEXT) | instid1(SALU_CYCLE_1)
	s_lshl_b64 s[2:3], s[2:3], 2
	s_add_nc_u64 s[2:3], s[4:5], s[2:3]
.LBB40_3:
	s_clause 0x1
	s_load_b128 s[8:11], s[0:1], 0x0
	s_load_b32 s50, s[0:1], 0x38
	s_mul_u64 s[0:1], s[12:13], s[16:17]
	v_lshlrev_b32_e32 v15, 4, v0
	s_lshl_b64 s[0:1], s[0:1], 4
	s_movk_i32 s21, 0xf0
	s_movk_i32 s14, 0xb0
	;; [unrolled: 1-line block ×15, first 2 shown]
	s_wait_kmcnt 0x0
	s_ashr_i32 s5, s10, 31
	s_mov_b32 s4, s10
	s_add_nc_u64 s[0:1], s[8:9], s[0:1]
	s_lshl_b64 s[4:5], s[4:5], 4
	v_add3_u32 v5, s11, s11, v0
	s_add_nc_u64 s[0:1], s[0:1], s[4:5]
	s_ashr_i32 s5, s11, 31
	global_load_b128 v[1:4], v15, s[0:1]
	v_add_co_u32 v46, s8, s0, v15
	v_add_nc_u32_e32 v7, s11, v5
	v_ashrrev_i32_e32 v6, 31, v5
	s_mov_b32 s4, s11
	v_add_co_ci_u32_e64 v47, null, s1, 0, s8
	s_delay_alu instid0(VALU_DEP_3)
	v_add_nc_u32_e32 v9, s11, v7
	v_ashrrev_i32_e32 v8, 31, v7
	v_lshlrev_b64_e32 v[5:6], 4, v[5:6]
	s_lshl_b64 s[4:5], s[4:5], 4
	s_movk_i32 s9, 0x90
	v_add_nc_u32_e32 v11, s11, v9
	v_ashrrev_i32_e32 v10, 31, v9
	v_lshlrev_b64_e32 v[7:8], 4, v[7:8]
	v_add_co_u32 v48, vcc_lo, v46, s4
	s_delay_alu instid0(VALU_DEP_4) | instskip(SKIP_3) | instid1(VALU_DEP_4)
	v_add_nc_u32_e32 v13, s11, v11
	v_ashrrev_i32_e32 v12, 31, v11
	v_lshlrev_b64_e32 v[9:10], 4, v[9:10]
	v_add_co_ci_u32_e64 v49, null, s5, v47, vcc_lo
	v_add_nc_u32_e32 v24, s11, v13
	v_ashrrev_i32_e32 v14, 31, v13
	v_add_co_u32 v50, vcc_lo, s0, v5
	v_lshlrev_b64_e32 v[11:12], 4, v[11:12]
	s_delay_alu instid0(VALU_DEP_4) | instskip(SKIP_3) | instid1(VALU_DEP_3)
	v_add_nc_u32_e32 v26, s11, v24
	s_wait_alu 0xfffd
	v_add_co_ci_u32_e64 v51, null, s1, v6, vcc_lo
	v_add_co_u32 v52, vcc_lo, s0, v7
	v_add_nc_u32_e32 v32, s11, v26
	v_lshlrev_b64_e32 v[13:14], 4, v[13:14]
	v_ashrrev_i32_e32 v25, 31, v24
	s_wait_alu 0xfffd
	v_add_co_ci_u32_e64 v53, null, s1, v8, vcc_lo
	v_add_nc_u32_e32 v34, s11, v32
	v_add_co_u32 v54, vcc_lo, s0, v9
	v_ashrrev_i32_e32 v27, 31, v26
	s_wait_alu 0xfffd
	v_add_co_ci_u32_e64 v55, null, s1, v10, vcc_lo
	v_add_nc_u32_e32 v40, s11, v34
	v_add_co_u32 v56, vcc_lo, s0, v11
	s_wait_alu 0xfffd
	v_add_co_ci_u32_e64 v57, null, s1, v12, vcc_lo
	v_lshlrev_b64_e32 v[24:25], 4, v[24:25]
	v_add_co_u32 v58, vcc_lo, s0, v13
	v_add_nc_u32_e32 v42, s11, v40
	s_wait_alu 0xfffd
	v_add_co_ci_u32_e64 v59, null, s1, v14, vcc_lo
	v_lshlrev_b64_e32 v[13:14], 4, v[26:27]
	v_ashrrev_i32_e32 v33, 31, v32
	v_ashrrev_i32_e32 v35, 31, v34
	v_add_nc_u32_e32 v44, s11, v42
	v_add_co_u32 v60, vcc_lo, s0, v24
	s_wait_alu 0xfffd
	v_add_co_ci_u32_e64 v61, null, s1, v25, vcc_lo
	v_lshlrev_b64_e32 v[32:33], 4, v[32:33]
	v_add_co_u32 v62, vcc_lo, s0, v13
	s_wait_alu 0xfffd
	v_add_co_ci_u32_e64 v63, null, s1, v14, vcc_lo
	v_lshlrev_b64_e32 v[13:14], 4, v[34:35]
	v_add_nc_u32_e32 v72, s11, v44
	v_ashrrev_i32_e32 v41, 31, v40
	v_ashrrev_i32_e32 v43, 31, v42
	v_add_co_u32 v64, vcc_lo, s0, v32
	s_delay_alu instid0(VALU_DEP_4)
	v_add_nc_u32_e32 v74, s11, v72
	s_wait_alu 0xfffd
	v_add_co_ci_u32_e64 v65, null, s1, v33, vcc_lo
	v_lshlrev_b64_e32 v[40:41], 4, v[40:41]
	v_add_co_u32 v66, vcc_lo, s0, v13
	s_wait_alu 0xfffd
	v_add_co_ci_u32_e64 v67, null, s1, v14, vcc_lo
	v_lshlrev_b64_e32 v[13:14], 4, v[42:43]
	v_ashrrev_i32_e32 v45, 31, v44
	v_add_nc_u32_e32 v76, s11, v74
	v_ashrrev_i32_e32 v73, 31, v72
	v_add_co_u32 v68, vcc_lo, s0, v40
	s_wait_alu 0xfffd
	v_add_co_ci_u32_e64 v69, null, s1, v41, vcc_lo
	v_lshlrev_b64_e32 v[44:45], 4, v[44:45]
	v_add_co_u32 v70, vcc_lo, s0, v13
	v_add_nc_u32_e32 v78, s11, v76
	s_wait_alu 0xfffd
	v_add_co_ci_u32_e64 v71, null, s1, v14, vcc_lo
	v_lshlrev_b64_e32 v[13:14], 4, v[72:73]
	v_ashrrev_i32_e32 v75, 31, v74
	v_ashrrev_i32_e32 v77, 31, v76
	v_add_co_u32 v72, vcc_lo, s0, v44
	v_add_nc_u32_e32 v80, s11, v78
	s_wait_alu 0xfffd
	v_add_co_ci_u32_e64 v73, null, s1, v45, vcc_lo
	v_lshlrev_b64_e32 v[44:45], 4, v[74:75]
	v_add_co_u32 v74, vcc_lo, s0, v13
	s_wait_alu 0xfffd
	v_add_co_ci_u32_e64 v75, null, s1, v14, vcc_lo
	v_lshlrev_b64_e32 v[13:14], 4, v[76:77]
	v_ashrrev_i32_e32 v79, 31, v78
	v_add_nc_u32_e32 v82, s11, v80
	v_ashrrev_i32_e32 v81, 31, v80
	v_add_co_u32 v76, vcc_lo, s0, v44
	s_wait_alu 0xfffd
	v_add_co_ci_u32_e64 v77, null, s1, v45, vcc_lo
	v_lshlrev_b64_e32 v[44:45], 4, v[78:79]
	v_add_co_u32 v78, vcc_lo, s0, v13
	v_add_nc_u32_e32 v84, s11, v82
	s_wait_alu 0xfffd
	v_add_co_ci_u32_e64 v79, null, s1, v14, vcc_lo
	v_lshlrev_b64_e32 v[13:14], 4, v[80:81]
	v_ashrrev_i32_e32 v83, 31, v82
	v_ashrrev_i32_e32 v85, 31, v84
	v_add_co_u32 v80, vcc_lo, s0, v44
	v_add_nc_u32_e32 v86, s11, v84
	s_wait_alu 0xfffd
	v_add_co_ci_u32_e64 v81, null, s1, v45, vcc_lo
	v_lshlrev_b64_e32 v[44:45], 4, v[82:83]
	v_add_co_u32 v82, vcc_lo, s0, v13
	s_wait_alu 0xfffd
	v_add_co_ci_u32_e64 v83, null, s1, v14, vcc_lo
	v_lshlrev_b64_e32 v[13:14], 4, v[84:85]
	v_ashrrev_i32_e32 v87, 31, v86
	v_add_co_u32 v84, vcc_lo, s0, v44
	s_clause 0x3
	global_load_b128 v[5:8], v[48:49], off
	global_load_b128 v[16:19], v[50:51], off
	;; [unrolled: 1-line block ×4, first 2 shown]
	v_add_nc_u32_e32 v88, s11, v86
	s_wait_alu 0xfffd
	v_add_co_ci_u32_e64 v85, null, s1, v45, vcc_lo
	v_lshlrev_b64_e32 v[44:45], 4, v[86:87]
	v_add_co_u32 v86, vcc_lo, s0, v13
	s_clause 0x3
	global_load_b128 v[24:27], v[56:57], off
	global_load_b128 v[28:31], v[58:59], off
	;; [unrolled: 1-line block ×4, first 2 shown]
	s_wait_alu 0xfffd
	v_add_co_ci_u32_e64 v87, null, s1, v14, vcc_lo
	s_clause 0xa
	global_load_b128 v[40:43], v[64:65], off
	global_load_b128 v[128:131], v[66:67], off
	;; [unrolled: 1-line block ×11, first 2 shown]
	v_add_nc_u32_e32 v90, s11, v88
	v_ashrrev_i32_e32 v89, 31, v88
	s_movk_i32 s4, 0x70
	s_movk_i32 s5, 0x80
	;; [unrolled: 1-line block ×3, first 2 shown]
	v_add_nc_u32_e32 v92, s11, v90
	v_lshlrev_b64_e32 v[13:14], 4, v[88:89]
	v_ashrrev_i32_e32 v91, 31, v90
	v_add_co_u32 v88, vcc_lo, s0, v44
	s_delay_alu instid0(VALU_DEP_4)
	v_add_nc_u32_e32 v94, s11, v92
	v_ashrrev_i32_e32 v93, 31, v92
	s_wait_alu 0xfffd
	v_add_co_ci_u32_e64 v89, null, s1, v45, vcc_lo
	v_lshlrev_b64_e32 v[44:45], 4, v[90:91]
	v_add_nc_u32_e32 v96, s11, v94
	v_add_co_u32 v90, vcc_lo, s0, v13
	s_wait_alu 0xfffd
	v_add_co_ci_u32_e64 v91, null, s1, v14, vcc_lo
	s_delay_alu instid0(VALU_DEP_3)
	v_add_nc_u32_e32 v98, s11, v96
	v_lshlrev_b64_e32 v[13:14], 4, v[92:93]
	v_ashrrev_i32_e32 v95, 31, v94
	v_ashrrev_i32_e32 v97, 31, v96
	v_add_co_u32 v92, vcc_lo, s0, v44
	v_add_nc_u32_e32 v100, s11, v98
	s_wait_alu 0xfffd
	v_add_co_ci_u32_e64 v93, null, s1, v45, vcc_lo
	v_lshlrev_b64_e32 v[44:45], 4, v[94:95]
	v_add_co_u32 v94, vcc_lo, s0, v13
	v_add_nc_u32_e32 v102, s11, v100
	s_wait_alu 0xfffd
	v_add_co_ci_u32_e64 v95, null, s1, v14, vcc_lo
	v_lshlrev_b64_e32 v[13:14], 4, v[96:97]
	v_ashrrev_i32_e32 v99, 31, v98
	v_add_nc_u32_e32 v104, s11, v102
	v_ashrrev_i32_e32 v101, 31, v100
	v_add_co_u32 v96, vcc_lo, s0, v44
	s_wait_alu 0xfffd
	v_add_co_ci_u32_e64 v97, null, s1, v45, vcc_lo
	v_add_nc_u32_e32 v106, s11, v104
	v_lshlrev_b64_e32 v[44:45], 4, v[98:99]
	v_add_co_u32 v98, vcc_lo, s0, v13
	s_wait_alu 0xfffd
	v_add_co_ci_u32_e64 v99, null, s1, v14, vcc_lo
	v_add_nc_u32_e32 v108, s11, v106
	v_lshlrev_b64_e32 v[13:14], 4, v[100:101]
	v_ashrrev_i32_e32 v103, 31, v102
	v_ashrrev_i32_e32 v105, 31, v104
	v_add_co_u32 v100, vcc_lo, s0, v44
	v_add_nc_u32_e32 v110, s11, v108
	s_wait_alu 0xfffd
	v_add_co_ci_u32_e64 v101, null, s1, v45, vcc_lo
	v_lshlrev_b64_e32 v[44:45], 4, v[102:103]
	v_add_co_u32 v102, vcc_lo, s0, v13
	s_wait_alu 0xfffd
	v_add_co_ci_u32_e64 v103, null, s1, v14, vcc_lo
	v_lshlrev_b64_e32 v[13:14], 4, v[104:105]
	v_add_nc_u32_e32 v112, s11, v110
	v_ashrrev_i32_e32 v107, 31, v106
	v_ashrrev_i32_e32 v109, 31, v108
	v_add_co_u32 v104, vcc_lo, s0, v44
	s_delay_alu instid0(VALU_DEP_4)
	v_add_nc_u32_e32 v114, s11, v112
	s_wait_alu 0xfffd
	v_add_co_ci_u32_e64 v105, null, s1, v45, vcc_lo
	v_lshlrev_b64_e32 v[44:45], 4, v[106:107]
	v_add_co_u32 v106, vcc_lo, s0, v13
	s_wait_alu 0xfffd
	v_add_co_ci_u32_e64 v107, null, s1, v14, vcc_lo
	v_lshlrev_b64_e32 v[13:14], 4, v[108:109]
	v_ashrrev_i32_e32 v111, 31, v110
	v_add_nc_u32_e32 v116, s11, v114
	v_ashrrev_i32_e32 v113, 31, v112
	v_add_co_u32 v108, vcc_lo, s0, v44
	s_wait_alu 0xfffd
	v_add_co_ci_u32_e64 v109, null, s1, v45, vcc_lo
	v_lshlrev_b64_e32 v[44:45], 4, v[110:111]
	v_add_co_u32 v110, vcc_lo, s0, v13
	v_add_nc_u32_e32 v118, s11, v116
	s_wait_alu 0xfffd
	v_add_co_ci_u32_e64 v111, null, s1, v14, vcc_lo
	v_lshlrev_b64_e32 v[13:14], 4, v[112:113]
	v_ashrrev_i32_e32 v115, 31, v114
	v_ashrrev_i32_e32 v117, 31, v116
	v_add_co_u32 v112, vcc_lo, s0, v44
	v_add_nc_u32_e32 v120, s11, v118
	s_wait_alu 0xfffd
	v_add_co_ci_u32_e64 v113, null, s1, v45, vcc_lo
	v_lshlrev_b64_e32 v[44:45], 4, v[114:115]
	v_add_co_u32 v114, vcc_lo, s0, v13
	s_wait_alu 0xfffd
	v_add_co_ci_u32_e64 v115, null, s1, v14, vcc_lo
	v_lshlrev_b64_e32 v[13:14], 4, v[116:117]
	v_ashrrev_i32_e32 v119, 31, v118
	v_add_nc_u32_e32 v122, s11, v120
	v_ashrrev_i32_e32 v121, 31, v120
	v_add_co_u32 v116, vcc_lo, s0, v44
	s_wait_alu 0xfffd
	v_add_co_ci_u32_e64 v117, null, s1, v45, vcc_lo
	v_lshlrev_b64_e32 v[44:45], 4, v[118:119]
	v_add_co_u32 v118, vcc_lo, s0, v13
	v_add_nc_u32_e32 v124, s11, v122
	s_wait_alu 0xfffd
	v_add_co_ci_u32_e64 v119, null, s1, v14, vcc_lo
	v_lshlrev_b64_e32 v[13:14], 4, v[120:121]
	v_ashrrev_i32_e32 v123, 31, v122
	v_ashrrev_i32_e32 v125, 31, v124
	v_add_co_u32 v120, vcc_lo, s0, v44
	s_wait_alu 0xfffd
	v_add_co_ci_u32_e64 v121, null, s1, v45, vcc_lo
	v_lshlrev_b64_e32 v[44:45], 4, v[122:123]
	v_add_co_u32 v122, vcc_lo, s0, v13
	s_wait_alu 0xfffd
	v_add_co_ci_u32_e64 v123, null, s1, v14, vcc_lo
	v_lshlrev_b64_e32 v[13:14], 4, v[124:125]
	s_delay_alu instid0(VALU_DEP_4)
	v_add_co_u32 v124, vcc_lo, s0, v44
	s_wait_alu 0xfffd
	v_add_co_ci_u32_e64 v125, null, s1, v45, vcc_lo
	s_movk_i32 s11, 0xa0
	v_add_co_u32 v126, vcc_lo, s0, v13
	s_wait_alu 0xfffd
	v_add_co_ci_u32_e64 v127, null, s1, v14, vcc_lo
	s_movk_i32 s0, 0x50
	s_movk_i32 s1, 0x60
	s_wait_alu 0xfffe
	s_add_co_i32 s49, s0, 16
	s_movk_i32 s0, 0x260
	s_movk_i32 s53, 0x1b0
	;; [unrolled: 1-line block ×12, first 2 shown]
	s_add_co_i32 s48, s1, 16
	s_add_co_i32 s39, s21, 16
	s_movk_i32 s1, 0x270
	s_wait_alu 0xfffe
	s_add_co_i32 s21, s0, 16
	s_movk_i32 s0, 0x280
	s_add_co_i32 s47, s4, 16
	s_add_co_i32 s46, s5, 16
	s_wait_loadcnt 0x13
	scratch_store_b128 off, v[1:4], off offset:16
	global_load_b128 v[1:4], v[86:87], off
	s_add_co_i32 s45, s9, 16
	s_add_co_i32 s44, s11, 16
	;; [unrolled: 1-line block ×14, first 2 shown]
	s_wait_loadcnt 0x13
	scratch_store_b128 off, v[5:8], off offset:32
	s_wait_loadcnt 0x12
	scratch_store_b128 off, v[16:19], off offset:48
	s_clause 0x1
	global_load_b128 v[5:8], v[88:89], off
	global_load_b128 v[16:19], v[90:91], off
	s_wait_loadcnt 0x13
	scratch_store_b128 off, v[9:12], off offset:64
	s_wait_loadcnt 0x12
	scratch_store_b128 off, v[20:23], off offset:80
	s_clause 0x1
	global_load_b128 v[9:12], v[92:93], off
	global_load_b128 v[20:23], v[94:95], off
	;; [unrolled: 7-line block ×9, first 2 shown]
	s_wait_loadcnt 0x13
	scratch_store_b128 off, v[164:167], off offset:320
	global_load_b128 v[164:167], v[124:125], off
	s_add_co_i32 s27, s30, 16
	s_add_co_i32 s24, s51, 16
	s_add_co_i32 s23, s52, 16
	s_add_co_i32 s19, s53, 16
	s_add_co_i32 s14, s54, 16
	s_add_co_i32 s11, s55, 16
	s_add_co_i32 s9, s56, 16
	s_add_co_i32 s5, s57, 16
	s_add_co_i32 s4, s58, 16
	s_add_co_i32 s30, s59, 16
	s_add_co_i32 s28, s60, 16
	s_add_co_i32 s26, s61, 16
	s_add_co_i32 s25, s62, 16
	s_add_co_i32 s20, s63, 16
	s_add_co_i32 s15, s1, 16
	s_wait_alu 0xfffe
	s_add_co_i32 s22, s0, 16
	s_mov_b32 s13, 32
	s_mov_b32 s12, 48
	;; [unrolled: 1-line block ×3, first 2 shown]
	s_movk_i32 s8, 0x50
	s_bitcmp0_b32 s50, 0
	s_mov_b32 s1, -1
	s_wait_loadcnt 0x13
	scratch_store_b128 off, v[1:4], off offset:336
	global_load_b128 v[1:4], v[126:127], off
	s_wait_loadcnt 0x13
	scratch_store_b128 off, v[5:8], off offset:352
	s_wait_loadcnt 0x12
	scratch_store_b128 off, v[16:19], off offset:368
	s_wait_loadcnt 0x11
	scratch_store_b128 off, v[9:12], off offset:384
	s_wait_loadcnt 0x10
	scratch_store_b128 off, v[20:23], off offset:400
	s_wait_loadcnt 0xf
	scratch_store_b128 off, v[24:27], off offset:416
	s_wait_loadcnt 0xe
	scratch_store_b128 off, v[28:31], off offset:432
	s_wait_loadcnt 0xd
	scratch_store_b128 off, v[32:35], off offset:448
	s_wait_loadcnt 0xc
	scratch_store_b128 off, v[36:39], off offset:464
	s_wait_loadcnt 0xb
	scratch_store_b128 off, v[40:43], off offset:480
	s_wait_loadcnt 0xa
	scratch_store_b128 off, v[128:131], off offset:496
	s_wait_loadcnt 0x9
	scratch_store_b128 off, v[132:135], off offset:512
	s_wait_loadcnt 0x8
	scratch_store_b128 off, v[136:139], off offset:528
	s_wait_loadcnt 0x7
	scratch_store_b128 off, v[140:143], off offset:544
	s_wait_loadcnt 0x6
	scratch_store_b128 off, v[144:147], off offset:560
	s_wait_loadcnt 0x5
	scratch_store_b128 off, v[148:151], off offset:576
	s_wait_loadcnt 0x4
	scratch_store_b128 off, v[152:155], off offset:592
	s_wait_loadcnt 0x3
	scratch_store_b128 off, v[156:159], off offset:608
	s_wait_loadcnt 0x2
	scratch_store_b128 off, v[160:163], off offset:624
	s_wait_loadcnt 0x1
	scratch_store_b128 off, v[164:167], off offset:640
	s_wait_loadcnt 0x0
	scratch_store_b128 off, v[1:4], off offset:656
	s_cbranch_scc1 .LBB40_176
; %bb.4:
	v_cmp_eq_u32_e64 s0, 0, v0
	s_and_saveexec_b32 s1, s0
; %bb.5:
	v_mov_b32_e32 v1, 0
	ds_store_b32 v1, v1 offset:1312
; %bb.6:
	s_wait_alu 0xfffe
	s_or_b32 exec_lo, exec_lo, s1
	s_wait_storecnt_dscnt 0x0
	s_barrier_signal -1
	s_barrier_wait -1
	global_inv scope:SCOPE_SE
	scratch_load_b128 v[1:4], v15, off offset:16
	s_wait_loadcnt 0x0
	v_cmp_eq_f64_e32 vcc_lo, 0, v[1:2]
	v_cmp_eq_f64_e64 s1, 0, v[3:4]
	s_and_b32 s1, vcc_lo, s1
	s_wait_alu 0xfffe
	s_and_saveexec_b32 s50, s1
	s_cbranch_execz .LBB40_10
; %bb.7:
	v_mov_b32_e32 v1, 0
	s_mov_b32 s51, 0
	ds_load_b32 v2, v1 offset:1312
	s_wait_dscnt 0x0
	v_readfirstlane_b32 s1, v2
	v_add_nc_u32_e32 v2, 1, v0
	s_cmp_eq_u32 s1, 0
	s_delay_alu instid0(VALU_DEP_1) | instskip(SKIP_1) | instid1(SALU_CYCLE_1)
	v_cmp_gt_i32_e32 vcc_lo, s1, v2
	s_cselect_b32 s52, -1, 0
	s_or_b32 s52, s52, vcc_lo
	s_delay_alu instid0(SALU_CYCLE_1)
	s_and_b32 exec_lo, exec_lo, s52
	s_cbranch_execz .LBB40_10
; %bb.8:
	v_mov_b32_e32 v3, s1
.LBB40_9:                               ; =>This Inner Loop Header: Depth=1
	ds_cmpstore_rtn_b32 v3, v1, v2, v3 offset:1312
	s_wait_dscnt 0x0
	v_cmp_ne_u32_e32 vcc_lo, 0, v3
	v_cmp_le_i32_e64 s1, v3, v2
	s_and_b32 s1, vcc_lo, s1
	s_wait_alu 0xfffe
	s_and_b32 s1, exec_lo, s1
	s_wait_alu 0xfffe
	s_or_b32 s51, s1, s51
	s_delay_alu instid0(SALU_CYCLE_1)
	s_and_not1_b32 exec_lo, exec_lo, s51
	s_cbranch_execnz .LBB40_9
.LBB40_10:
	s_or_b32 exec_lo, exec_lo, s50
	v_mov_b32_e32 v1, 0
	s_barrier_signal -1
	s_barrier_wait -1
	global_inv scope:SCOPE_SE
	ds_load_b32 v2, v1 offset:1312
	s_and_saveexec_b32 s1, s0
	s_cbranch_execz .LBB40_12
; %bb.11:
	s_lshl_b64 s[50:51], s[16:17], 2
	s_delay_alu instid0(SALU_CYCLE_1)
	s_add_nc_u64 s[50:51], s[6:7], s[50:51]
	s_wait_dscnt 0x0
	global_store_b32 v1, v2, s[50:51]
.LBB40_12:
	s_wait_alu 0xfffe
	s_or_b32 exec_lo, exec_lo, s1
	s_wait_dscnt 0x0
	v_cmp_ne_u32_e32 vcc_lo, 0, v2
	s_mov_b32 s1, 0
	s_cbranch_vccnz .LBB40_176
; %bb.13:
	v_add_nc_u32_e32 v13, 16, v15
                                        ; implicit-def: $vgpr1_vgpr2
                                        ; implicit-def: $vgpr9_vgpr10
	scratch_load_b128 v[5:8], v13, off
	s_wait_loadcnt 0x0
	v_cmp_ngt_f64_e64 s1, |v[5:6]|, |v[7:8]|
	s_wait_alu 0xfffe
	s_and_saveexec_b32 s50, s1
	s_delay_alu instid0(SALU_CYCLE_1)
	s_xor_b32 s1, exec_lo, s50
	s_cbranch_execz .LBB40_15
; %bb.14:
	v_div_scale_f64 v[1:2], null, v[7:8], v[7:8], v[5:6]
	v_div_scale_f64 v[11:12], vcc_lo, v[5:6], v[7:8], v[5:6]
	s_delay_alu instid0(VALU_DEP_2) | instskip(NEXT) | instid1(TRANS32_DEP_1)
	v_rcp_f64_e32 v[3:4], v[1:2]
	v_fma_f64 v[9:10], -v[1:2], v[3:4], 1.0
	s_delay_alu instid0(VALU_DEP_1) | instskip(NEXT) | instid1(VALU_DEP_1)
	v_fma_f64 v[3:4], v[3:4], v[9:10], v[3:4]
	v_fma_f64 v[9:10], -v[1:2], v[3:4], 1.0
	s_delay_alu instid0(VALU_DEP_1) | instskip(NEXT) | instid1(VALU_DEP_1)
	v_fma_f64 v[3:4], v[3:4], v[9:10], v[3:4]
	v_mul_f64_e32 v[9:10], v[11:12], v[3:4]
	s_delay_alu instid0(VALU_DEP_1) | instskip(SKIP_1) | instid1(VALU_DEP_1)
	v_fma_f64 v[1:2], -v[1:2], v[9:10], v[11:12]
	s_wait_alu 0xfffd
	v_div_fmas_f64 v[1:2], v[1:2], v[3:4], v[9:10]
	s_delay_alu instid0(VALU_DEP_1) | instskip(NEXT) | instid1(VALU_DEP_1)
	v_div_fixup_f64 v[1:2], v[1:2], v[7:8], v[5:6]
	v_fma_f64 v[3:4], v[5:6], v[1:2], v[7:8]
	s_delay_alu instid0(VALU_DEP_1) | instskip(SKIP_1) | instid1(VALU_DEP_2)
	v_div_scale_f64 v[5:6], null, v[3:4], v[3:4], 1.0
	v_div_scale_f64 v[11:12], vcc_lo, 1.0, v[3:4], 1.0
	v_rcp_f64_e32 v[7:8], v[5:6]
	s_delay_alu instid0(TRANS32_DEP_1) | instskip(NEXT) | instid1(VALU_DEP_1)
	v_fma_f64 v[9:10], -v[5:6], v[7:8], 1.0
	v_fma_f64 v[7:8], v[7:8], v[9:10], v[7:8]
	s_delay_alu instid0(VALU_DEP_1) | instskip(NEXT) | instid1(VALU_DEP_1)
	v_fma_f64 v[9:10], -v[5:6], v[7:8], 1.0
	v_fma_f64 v[7:8], v[7:8], v[9:10], v[7:8]
	s_delay_alu instid0(VALU_DEP_1) | instskip(NEXT) | instid1(VALU_DEP_1)
	v_mul_f64_e32 v[9:10], v[11:12], v[7:8]
	v_fma_f64 v[5:6], -v[5:6], v[9:10], v[11:12]
	s_wait_alu 0xfffd
	s_delay_alu instid0(VALU_DEP_1) | instskip(NEXT) | instid1(VALU_DEP_1)
	v_div_fmas_f64 v[5:6], v[5:6], v[7:8], v[9:10]
	v_div_fixup_f64 v[3:4], v[5:6], v[3:4], 1.0
                                        ; implicit-def: $vgpr5_vgpr6
	s_delay_alu instid0(VALU_DEP_1) | instskip(SKIP_1) | instid1(VALU_DEP_2)
	v_mul_f64_e32 v[1:2], v[1:2], v[3:4]
	v_xor_b32_e32 v4, 0x80000000, v4
	v_xor_b32_e32 v10, 0x80000000, v2
	s_delay_alu instid0(VALU_DEP_3)
	v_mov_b32_e32 v9, v1
.LBB40_15:
	s_wait_alu 0xfffe
	s_and_not1_saveexec_b32 s1, s1
	s_cbranch_execz .LBB40_17
; %bb.16:
	v_div_scale_f64 v[1:2], null, v[5:6], v[5:6], v[7:8]
	v_div_scale_f64 v[11:12], vcc_lo, v[7:8], v[5:6], v[7:8]
	s_delay_alu instid0(VALU_DEP_2) | instskip(NEXT) | instid1(TRANS32_DEP_1)
	v_rcp_f64_e32 v[3:4], v[1:2]
	v_fma_f64 v[9:10], -v[1:2], v[3:4], 1.0
	s_delay_alu instid0(VALU_DEP_1) | instskip(NEXT) | instid1(VALU_DEP_1)
	v_fma_f64 v[3:4], v[3:4], v[9:10], v[3:4]
	v_fma_f64 v[9:10], -v[1:2], v[3:4], 1.0
	s_delay_alu instid0(VALU_DEP_1) | instskip(NEXT) | instid1(VALU_DEP_1)
	v_fma_f64 v[3:4], v[3:4], v[9:10], v[3:4]
	v_mul_f64_e32 v[9:10], v[11:12], v[3:4]
	s_delay_alu instid0(VALU_DEP_1) | instskip(SKIP_1) | instid1(VALU_DEP_1)
	v_fma_f64 v[1:2], -v[1:2], v[9:10], v[11:12]
	s_wait_alu 0xfffd
	v_div_fmas_f64 v[1:2], v[1:2], v[3:4], v[9:10]
	s_delay_alu instid0(VALU_DEP_1) | instskip(NEXT) | instid1(VALU_DEP_1)
	v_div_fixup_f64 v[3:4], v[1:2], v[5:6], v[7:8]
	v_fma_f64 v[1:2], v[7:8], v[3:4], v[5:6]
	s_delay_alu instid0(VALU_DEP_1) | instskip(NEXT) | instid1(VALU_DEP_1)
	v_div_scale_f64 v[5:6], null, v[1:2], v[1:2], 1.0
	v_rcp_f64_e32 v[7:8], v[5:6]
	s_delay_alu instid0(TRANS32_DEP_1) | instskip(NEXT) | instid1(VALU_DEP_1)
	v_fma_f64 v[9:10], -v[5:6], v[7:8], 1.0
	v_fma_f64 v[7:8], v[7:8], v[9:10], v[7:8]
	s_delay_alu instid0(VALU_DEP_1) | instskip(NEXT) | instid1(VALU_DEP_1)
	v_fma_f64 v[9:10], -v[5:6], v[7:8], 1.0
	v_fma_f64 v[7:8], v[7:8], v[9:10], v[7:8]
	v_div_scale_f64 v[9:10], vcc_lo, 1.0, v[1:2], 1.0
	s_delay_alu instid0(VALU_DEP_1) | instskip(NEXT) | instid1(VALU_DEP_1)
	v_mul_f64_e32 v[11:12], v[9:10], v[7:8]
	v_fma_f64 v[5:6], -v[5:6], v[11:12], v[9:10]
	s_wait_alu 0xfffd
	s_delay_alu instid0(VALU_DEP_1) | instskip(NEXT) | instid1(VALU_DEP_1)
	v_div_fmas_f64 v[5:6], v[5:6], v[7:8], v[11:12]
	v_div_fixup_f64 v[1:2], v[5:6], v[1:2], 1.0
	s_delay_alu instid0(VALU_DEP_1)
	v_mul_f64_e64 v[3:4], v[3:4], -v[1:2]
	v_xor_b32_e32 v10, 0x80000000, v2
	v_mov_b32_e32 v9, v1
.LBB40_17:
	s_wait_alu 0xfffe
	s_or_b32 exec_lo, exec_lo, s1
	scratch_store_b128 v13, v[1:4], off
	scratch_load_b128 v[16:19], off, s13
	v_xor_b32_e32 v12, 0x80000000, v4
	v_mov_b32_e32 v11, v3
	v_add_nc_u32_e32 v5, 0x290, v15
	ds_store_b128 v15, v[9:12]
	s_wait_loadcnt 0x0
	ds_store_b128 v15, v[16:19] offset:656
	s_wait_storecnt_dscnt 0x0
	s_barrier_signal -1
	s_barrier_wait -1
	global_inv scope:SCOPE_SE
	s_and_saveexec_b32 s1, s0
	s_cbranch_execz .LBB40_19
; %bb.18:
	scratch_load_b128 v[1:4], v13, off
	ds_load_b128 v[6:9], v5
	v_mov_b32_e32 v10, 0
	ds_load_b128 v[16:19], v10 offset:16
	s_wait_loadcnt_dscnt 0x1
	v_mul_f64_e32 v[10:11], v[6:7], v[3:4]
	v_mul_f64_e32 v[3:4], v[8:9], v[3:4]
	s_delay_alu instid0(VALU_DEP_2) | instskip(NEXT) | instid1(VALU_DEP_2)
	v_fma_f64 v[8:9], v[8:9], v[1:2], v[10:11]
	v_fma_f64 v[1:2], v[6:7], v[1:2], -v[3:4]
	s_delay_alu instid0(VALU_DEP_2) | instskip(NEXT) | instid1(VALU_DEP_2)
	v_add_f64_e32 v[3:4], 0, v[8:9]
	v_add_f64_e32 v[1:2], 0, v[1:2]
	s_wait_dscnt 0x0
	s_delay_alu instid0(VALU_DEP_2) | instskip(NEXT) | instid1(VALU_DEP_2)
	v_mul_f64_e32 v[6:7], v[3:4], v[18:19]
	v_mul_f64_e32 v[8:9], v[1:2], v[18:19]
	s_delay_alu instid0(VALU_DEP_2) | instskip(NEXT) | instid1(VALU_DEP_2)
	v_fma_f64 v[1:2], v[1:2], v[16:17], -v[6:7]
	v_fma_f64 v[3:4], v[3:4], v[16:17], v[8:9]
	scratch_store_b128 off, v[1:4], off offset:32
.LBB40_19:
	s_wait_alu 0xfffe
	s_or_b32 exec_lo, exec_lo, s1
	s_wait_loadcnt 0x0
	s_wait_storecnt 0x0
	s_barrier_signal -1
	s_barrier_wait -1
	global_inv scope:SCOPE_SE
	scratch_load_b128 v[1:4], off, s12
	s_mov_b32 s1, exec_lo
	s_wait_loadcnt 0x0
	ds_store_b128 v5, v[1:4]
	s_wait_dscnt 0x0
	s_barrier_signal -1
	s_barrier_wait -1
	global_inv scope:SCOPE_SE
	v_cmpx_gt_u32_e32 2, v0
	s_cbranch_execz .LBB40_23
; %bb.20:
	scratch_load_b128 v[1:4], v13, off
	ds_load_b128 v[6:9], v5
	s_wait_loadcnt_dscnt 0x0
	v_mul_f64_e32 v[10:11], v[8:9], v[3:4]
	v_mul_f64_e32 v[3:4], v[6:7], v[3:4]
	s_delay_alu instid0(VALU_DEP_2) | instskip(NEXT) | instid1(VALU_DEP_2)
	v_fma_f64 v[6:7], v[6:7], v[1:2], -v[10:11]
	v_fma_f64 v[3:4], v[8:9], v[1:2], v[3:4]
	s_delay_alu instid0(VALU_DEP_2) | instskip(NEXT) | instid1(VALU_DEP_2)
	v_add_f64_e32 v[1:2], 0, v[6:7]
	v_add_f64_e32 v[3:4], 0, v[3:4]
	s_and_saveexec_b32 s50, s0
	s_cbranch_execz .LBB40_22
; %bb.21:
	scratch_load_b128 v[6:9], off, off offset:32
	v_mov_b32_e32 v10, 0
	ds_load_b128 v[16:19], v10 offset:672
	s_wait_loadcnt_dscnt 0x0
	v_mul_f64_e32 v[10:11], v[16:17], v[8:9]
	v_mul_f64_e32 v[8:9], v[18:19], v[8:9]
	s_delay_alu instid0(VALU_DEP_2) | instskip(NEXT) | instid1(VALU_DEP_2)
	v_fma_f64 v[10:11], v[18:19], v[6:7], v[10:11]
	v_fma_f64 v[6:7], v[16:17], v[6:7], -v[8:9]
	s_delay_alu instid0(VALU_DEP_2) | instskip(NEXT) | instid1(VALU_DEP_2)
	v_add_f64_e32 v[3:4], v[3:4], v[10:11]
	v_add_f64_e32 v[1:2], v[1:2], v[6:7]
.LBB40_22:
	s_or_b32 exec_lo, exec_lo, s50
	v_mov_b32_e32 v6, 0
	ds_load_b128 v[6:9], v6 offset:32
	s_wait_dscnt 0x0
	v_mul_f64_e32 v[10:11], v[3:4], v[8:9]
	v_mul_f64_e32 v[8:9], v[1:2], v[8:9]
	s_delay_alu instid0(VALU_DEP_2) | instskip(NEXT) | instid1(VALU_DEP_2)
	v_fma_f64 v[1:2], v[1:2], v[6:7], -v[10:11]
	v_fma_f64 v[3:4], v[3:4], v[6:7], v[8:9]
	scratch_store_b128 off, v[1:4], off offset:48
.LBB40_23:
	s_wait_alu 0xfffe
	s_or_b32 exec_lo, exec_lo, s1
	s_wait_loadcnt 0x0
	s_wait_storecnt 0x0
	s_barrier_signal -1
	s_barrier_wait -1
	global_inv scope:SCOPE_SE
	scratch_load_b128 v[1:4], off, s10
	v_add_nc_u32_e32 v6, -1, v0
	s_mov_b32 s0, exec_lo
	s_wait_loadcnt 0x0
	ds_store_b128 v5, v[1:4]
	s_wait_dscnt 0x0
	s_barrier_signal -1
	s_barrier_wait -1
	global_inv scope:SCOPE_SE
	v_cmpx_gt_u32_e32 3, v0
	s_cbranch_execz .LBB40_27
; %bb.24:
	v_dual_mov_b32 v1, 0 :: v_dual_add_nc_u32 v8, 0x290, v15
	v_mov_b32_e32 v3, 0
	v_dual_mov_b32 v2, 0 :: v_dual_add_nc_u32 v7, -1, v0
	v_mov_b32_e32 v4, 0
	v_or_b32_e32 v9, 8, v13
	s_mov_b32 s1, 0
.LBB40_25:                              ; =>This Inner Loop Header: Depth=1
	scratch_load_b128 v[16:19], v9, off offset:-8
	ds_load_b128 v[20:23], v8
	v_add_nc_u32_e32 v7, 1, v7
	v_add_nc_u32_e32 v8, 16, v8
	v_add_nc_u32_e32 v9, 16, v9
	s_delay_alu instid0(VALU_DEP_3)
	v_cmp_lt_u32_e32 vcc_lo, 1, v7
	s_wait_alu 0xfffe
	s_or_b32 s1, vcc_lo, s1
	s_wait_loadcnt_dscnt 0x0
	v_mul_f64_e32 v[10:11], v[22:23], v[18:19]
	v_mul_f64_e32 v[18:19], v[20:21], v[18:19]
	s_delay_alu instid0(VALU_DEP_2) | instskip(NEXT) | instid1(VALU_DEP_2)
	v_fma_f64 v[10:11], v[20:21], v[16:17], -v[10:11]
	v_fma_f64 v[16:17], v[22:23], v[16:17], v[18:19]
	s_delay_alu instid0(VALU_DEP_2) | instskip(NEXT) | instid1(VALU_DEP_2)
	v_add_f64_e32 v[3:4], v[3:4], v[10:11]
	v_add_f64_e32 v[1:2], v[1:2], v[16:17]
	s_wait_alu 0xfffe
	s_and_not1_b32 exec_lo, exec_lo, s1
	s_cbranch_execnz .LBB40_25
; %bb.26:
	s_or_b32 exec_lo, exec_lo, s1
	v_mov_b32_e32 v7, 0
	ds_load_b128 v[7:10], v7 offset:48
	s_wait_dscnt 0x0
	v_mul_f64_e32 v[11:12], v[1:2], v[9:10]
	v_mul_f64_e32 v[16:17], v[3:4], v[9:10]
	s_delay_alu instid0(VALU_DEP_2) | instskip(NEXT) | instid1(VALU_DEP_2)
	v_fma_f64 v[9:10], v[3:4], v[7:8], -v[11:12]
	v_fma_f64 v[11:12], v[1:2], v[7:8], v[16:17]
	scratch_store_b128 off, v[9:12], off offset:64
.LBB40_27:
	s_wait_alu 0xfffe
	s_or_b32 exec_lo, exec_lo, s0
	s_wait_loadcnt 0x0
	s_wait_storecnt 0x0
	s_barrier_signal -1
	s_barrier_wait -1
	global_inv scope:SCOPE_SE
	scratch_load_b128 v[1:4], off, s8
	s_mov_b32 s0, exec_lo
	s_wait_loadcnt 0x0
	ds_store_b128 v5, v[1:4]
	s_wait_dscnt 0x0
	s_barrier_signal -1
	s_barrier_wait -1
	global_inv scope:SCOPE_SE
	v_cmpx_gt_u32_e32 4, v0
	s_cbranch_execz .LBB40_31
; %bb.28:
	v_dual_mov_b32 v1, 0 :: v_dual_add_nc_u32 v8, 0x290, v15
	v_mov_b32_e32 v3, 0
	v_dual_mov_b32 v2, 0 :: v_dual_add_nc_u32 v7, -1, v0
	v_mov_b32_e32 v4, 0
	v_or_b32_e32 v9, 8, v13
	s_mov_b32 s1, 0
.LBB40_29:                              ; =>This Inner Loop Header: Depth=1
	scratch_load_b128 v[16:19], v9, off offset:-8
	ds_load_b128 v[20:23], v8
	v_add_nc_u32_e32 v7, 1, v7
	v_add_nc_u32_e32 v8, 16, v8
	v_add_nc_u32_e32 v9, 16, v9
	s_delay_alu instid0(VALU_DEP_3)
	v_cmp_lt_u32_e32 vcc_lo, 2, v7
	s_wait_alu 0xfffe
	s_or_b32 s1, vcc_lo, s1
	s_wait_loadcnt_dscnt 0x0
	v_mul_f64_e32 v[10:11], v[22:23], v[18:19]
	v_mul_f64_e32 v[18:19], v[20:21], v[18:19]
	s_delay_alu instid0(VALU_DEP_2) | instskip(NEXT) | instid1(VALU_DEP_2)
	v_fma_f64 v[10:11], v[20:21], v[16:17], -v[10:11]
	v_fma_f64 v[16:17], v[22:23], v[16:17], v[18:19]
	s_delay_alu instid0(VALU_DEP_2) | instskip(NEXT) | instid1(VALU_DEP_2)
	v_add_f64_e32 v[3:4], v[3:4], v[10:11]
	v_add_f64_e32 v[1:2], v[1:2], v[16:17]
	s_wait_alu 0xfffe
	s_and_not1_b32 exec_lo, exec_lo, s1
	s_cbranch_execnz .LBB40_29
; %bb.30:
	s_or_b32 exec_lo, exec_lo, s1
	v_mov_b32_e32 v7, 0
	ds_load_b128 v[7:10], v7 offset:64
	s_wait_dscnt 0x0
	v_mul_f64_e32 v[11:12], v[1:2], v[9:10]
	v_mul_f64_e32 v[16:17], v[3:4], v[9:10]
	s_delay_alu instid0(VALU_DEP_2) | instskip(NEXT) | instid1(VALU_DEP_2)
	v_fma_f64 v[9:10], v[3:4], v[7:8], -v[11:12]
	v_fma_f64 v[11:12], v[1:2], v[7:8], v[16:17]
	scratch_store_b128 off, v[9:12], off offset:80
.LBB40_31:
	s_wait_alu 0xfffe
	s_or_b32 exec_lo, exec_lo, s0
	s_wait_loadcnt 0x0
	s_wait_storecnt 0x0
	s_barrier_signal -1
	s_barrier_wait -1
	global_inv scope:SCOPE_SE
	scratch_load_b128 v[1:4], off, s49
	;; [unrolled: 58-line block ×19, first 2 shown]
	s_mov_b32 s0, exec_lo
	s_wait_loadcnt 0x0
	ds_store_b128 v5, v[1:4]
	s_wait_dscnt 0x0
	s_barrier_signal -1
	s_barrier_wait -1
	global_inv scope:SCOPE_SE
	v_cmpx_gt_u32_e32 22, v0
	s_cbranch_execz .LBB40_103
; %bb.100:
	v_dual_mov_b32 v1, 0 :: v_dual_add_nc_u32 v8, 0x290, v15
	v_mov_b32_e32 v3, 0
	v_dual_mov_b32 v2, 0 :: v_dual_add_nc_u32 v7, -1, v0
	v_mov_b32_e32 v4, 0
	v_or_b32_e32 v9, 8, v13
	s_mov_b32 s1, 0
.LBB40_101:                             ; =>This Inner Loop Header: Depth=1
	scratch_load_b128 v[16:19], v9, off offset:-8
	ds_load_b128 v[20:23], v8
	v_add_nc_u32_e32 v7, 1, v7
	v_add_nc_u32_e32 v8, 16, v8
	v_add_nc_u32_e32 v9, 16, v9
	s_delay_alu instid0(VALU_DEP_3)
	v_cmp_lt_u32_e32 vcc_lo, 20, v7
	s_wait_alu 0xfffe
	s_or_b32 s1, vcc_lo, s1
	s_wait_loadcnt_dscnt 0x0
	v_mul_f64_e32 v[10:11], v[22:23], v[18:19]
	v_mul_f64_e32 v[18:19], v[20:21], v[18:19]
	s_delay_alu instid0(VALU_DEP_2) | instskip(NEXT) | instid1(VALU_DEP_2)
	v_fma_f64 v[10:11], v[20:21], v[16:17], -v[10:11]
	v_fma_f64 v[16:17], v[22:23], v[16:17], v[18:19]
	s_delay_alu instid0(VALU_DEP_2) | instskip(NEXT) | instid1(VALU_DEP_2)
	v_add_f64_e32 v[3:4], v[3:4], v[10:11]
	v_add_f64_e32 v[1:2], v[1:2], v[16:17]
	s_wait_alu 0xfffe
	s_and_not1_b32 exec_lo, exec_lo, s1
	s_cbranch_execnz .LBB40_101
; %bb.102:
	s_or_b32 exec_lo, exec_lo, s1
	v_mov_b32_e32 v7, 0
	ds_load_b128 v[7:10], v7 offset:352
	s_wait_dscnt 0x0
	v_mul_f64_e32 v[11:12], v[1:2], v[9:10]
	v_mul_f64_e32 v[16:17], v[3:4], v[9:10]
	s_delay_alu instid0(VALU_DEP_2) | instskip(NEXT) | instid1(VALU_DEP_2)
	v_fma_f64 v[9:10], v[3:4], v[7:8], -v[11:12]
	v_fma_f64 v[11:12], v[1:2], v[7:8], v[16:17]
	scratch_store_b128 off, v[9:12], off offset:368
.LBB40_103:
	s_wait_alu 0xfffe
	s_or_b32 exec_lo, exec_lo, s0
	s_wait_loadcnt 0x0
	s_wait_storecnt 0x0
	s_barrier_signal -1
	s_barrier_wait -1
	global_inv scope:SCOPE_SE
	scratch_load_b128 v[1:4], off, s29
	s_mov_b32 s0, exec_lo
	s_wait_loadcnt 0x0
	ds_store_b128 v5, v[1:4]
	s_wait_dscnt 0x0
	s_barrier_signal -1
	s_barrier_wait -1
	global_inv scope:SCOPE_SE
	v_cmpx_gt_u32_e32 23, v0
	s_cbranch_execz .LBB40_107
; %bb.104:
	v_dual_mov_b32 v1, 0 :: v_dual_add_nc_u32 v8, 0x290, v15
	v_mov_b32_e32 v3, 0
	v_dual_mov_b32 v2, 0 :: v_dual_add_nc_u32 v7, -1, v0
	v_mov_b32_e32 v4, 0
	v_or_b32_e32 v9, 8, v13
	s_mov_b32 s1, 0
.LBB40_105:                             ; =>This Inner Loop Header: Depth=1
	scratch_load_b128 v[16:19], v9, off offset:-8
	ds_load_b128 v[20:23], v8
	v_add_nc_u32_e32 v7, 1, v7
	v_add_nc_u32_e32 v8, 16, v8
	v_add_nc_u32_e32 v9, 16, v9
	s_delay_alu instid0(VALU_DEP_3)
	v_cmp_lt_u32_e32 vcc_lo, 21, v7
	s_wait_alu 0xfffe
	s_or_b32 s1, vcc_lo, s1
	s_wait_loadcnt_dscnt 0x0
	v_mul_f64_e32 v[10:11], v[22:23], v[18:19]
	v_mul_f64_e32 v[18:19], v[20:21], v[18:19]
	s_delay_alu instid0(VALU_DEP_2) | instskip(NEXT) | instid1(VALU_DEP_2)
	v_fma_f64 v[10:11], v[20:21], v[16:17], -v[10:11]
	v_fma_f64 v[16:17], v[22:23], v[16:17], v[18:19]
	s_delay_alu instid0(VALU_DEP_2) | instskip(NEXT) | instid1(VALU_DEP_2)
	v_add_f64_e32 v[3:4], v[3:4], v[10:11]
	v_add_f64_e32 v[1:2], v[1:2], v[16:17]
	s_wait_alu 0xfffe
	s_and_not1_b32 exec_lo, exec_lo, s1
	s_cbranch_execnz .LBB40_105
; %bb.106:
	s_or_b32 exec_lo, exec_lo, s1
	v_mov_b32_e32 v7, 0
	ds_load_b128 v[7:10], v7 offset:368
	s_wait_dscnt 0x0
	v_mul_f64_e32 v[11:12], v[1:2], v[9:10]
	v_mul_f64_e32 v[16:17], v[3:4], v[9:10]
	s_delay_alu instid0(VALU_DEP_2) | instskip(NEXT) | instid1(VALU_DEP_2)
	v_fma_f64 v[9:10], v[3:4], v[7:8], -v[11:12]
	v_fma_f64 v[11:12], v[1:2], v[7:8], v[16:17]
	scratch_store_b128 off, v[9:12], off offset:384
.LBB40_107:
	s_wait_alu 0xfffe
	s_or_b32 exec_lo, exec_lo, s0
	s_wait_loadcnt 0x0
	s_wait_storecnt 0x0
	s_barrier_signal -1
	s_barrier_wait -1
	global_inv scope:SCOPE_SE
	scratch_load_b128 v[1:4], off, s27
	;; [unrolled: 58-line block ×18, first 2 shown]
	s_mov_b32 s0, exec_lo
	s_wait_loadcnt 0x0
	ds_store_b128 v5, v[1:4]
	s_wait_dscnt 0x0
	s_barrier_signal -1
	s_barrier_wait -1
	global_inv scope:SCOPE_SE
	v_cmpx_ne_u32_e32 40, v0
	s_cbranch_execz .LBB40_175
; %bb.172:
	v_mov_b32_e32 v1, 0
	v_dual_mov_b32 v2, 0 :: v_dual_mov_b32 v3, 0
	v_mov_b32_e32 v4, 0
	v_or_b32_e32 v7, 8, v13
	s_mov_b32 s1, 0
.LBB40_173:                             ; =>This Inner Loop Header: Depth=1
	scratch_load_b128 v[8:11], v7, off offset:-8
	ds_load_b128 v[12:15], v5
	v_add_nc_u32_e32 v6, 1, v6
	v_add_nc_u32_e32 v5, 16, v5
	;; [unrolled: 1-line block ×3, first 2 shown]
	s_delay_alu instid0(VALU_DEP_3)
	v_cmp_lt_u32_e32 vcc_lo, 38, v6
	s_wait_alu 0xfffe
	s_or_b32 s1, vcc_lo, s1
	s_wait_loadcnt_dscnt 0x0
	v_mul_f64_e32 v[16:17], v[14:15], v[10:11]
	v_mul_f64_e32 v[10:11], v[12:13], v[10:11]
	s_delay_alu instid0(VALU_DEP_2) | instskip(NEXT) | instid1(VALU_DEP_2)
	v_fma_f64 v[12:13], v[12:13], v[8:9], -v[16:17]
	v_fma_f64 v[8:9], v[14:15], v[8:9], v[10:11]
	s_delay_alu instid0(VALU_DEP_2) | instskip(NEXT) | instid1(VALU_DEP_2)
	v_add_f64_e32 v[3:4], v[3:4], v[12:13]
	v_add_f64_e32 v[1:2], v[1:2], v[8:9]
	s_wait_alu 0xfffe
	s_and_not1_b32 exec_lo, exec_lo, s1
	s_cbranch_execnz .LBB40_173
; %bb.174:
	s_or_b32 exec_lo, exec_lo, s1
	v_mov_b32_e32 v5, 0
	ds_load_b128 v[5:8], v5 offset:640
	s_wait_dscnt 0x0
	v_mul_f64_e32 v[9:10], v[1:2], v[7:8]
	v_mul_f64_e32 v[7:8], v[3:4], v[7:8]
	s_delay_alu instid0(VALU_DEP_2) | instskip(NEXT) | instid1(VALU_DEP_2)
	v_fma_f64 v[3:4], v[3:4], v[5:6], -v[9:10]
	v_fma_f64 v[5:6], v[1:2], v[5:6], v[7:8]
	scratch_store_b128 off, v[3:6], off offset:656
.LBB40_175:
	s_wait_alu 0xfffe
	s_or_b32 exec_lo, exec_lo, s0
	s_mov_b32 s1, -1
	s_wait_loadcnt 0x0
	s_wait_storecnt 0x0
	s_barrier_signal -1
	s_barrier_wait -1
	global_inv scope:SCOPE_SE
.LBB40_176:
	s_wait_alu 0xfffe
	s_and_b32 vcc_lo, exec_lo, s1
	s_wait_alu 0xfffe
	s_cbranch_vccz .LBB40_178
; %bb.177:
	v_mov_b32_e32 v1, 0
	s_lshl_b64 s[0:1], s[16:17], 2
	s_wait_alu 0xfffe
	s_add_nc_u64 s[0:1], s[6:7], s[0:1]
	global_load_b32 v1, v1, s[0:1]
	s_wait_loadcnt 0x0
	v_cmp_ne_u32_e32 vcc_lo, 0, v1
	s_cbranch_vccz .LBB40_179
.LBB40_178:
	s_nop 0
	s_sendmsg sendmsg(MSG_DEALLOC_VGPRS)
	s_endpgm
.LBB40_179:
	v_lshl_add_u32 v128, v0, 4, 0x290
	s_mov_b32 s0, exec_lo
	v_cmpx_eq_u32_e32 40, v0
	s_cbranch_execz .LBB40_181
; %bb.180:
	scratch_load_b128 v[1:4], off, s15
	v_mov_b32_e32 v5, 0
	s_delay_alu instid0(VALU_DEP_1)
	v_dual_mov_b32 v6, v5 :: v_dual_mov_b32 v7, v5
	v_mov_b32_e32 v8, v5
	scratch_store_b128 off, v[5:8], off offset:640
	s_wait_loadcnt 0x0
	ds_store_b128 v128, v[1:4]
.LBB40_181:
	s_wait_alu 0xfffe
	s_or_b32 exec_lo, exec_lo, s0
	s_wait_storecnt_dscnt 0x0
	s_barrier_signal -1
	s_barrier_wait -1
	global_inv scope:SCOPE_SE
	s_clause 0x1
	scratch_load_b128 v[2:5], off, off offset:656
	scratch_load_b128 v[6:9], off, off offset:640
	v_mov_b32_e32 v1, 0
	s_mov_b32 s0, exec_lo
	ds_load_b128 v[10:13], v1 offset:1296
	s_wait_loadcnt_dscnt 0x100
	v_mul_f64_e32 v[14:15], v[12:13], v[4:5]
	v_mul_f64_e32 v[4:5], v[10:11], v[4:5]
	s_delay_alu instid0(VALU_DEP_2) | instskip(NEXT) | instid1(VALU_DEP_2)
	v_fma_f64 v[10:11], v[10:11], v[2:3], -v[14:15]
	v_fma_f64 v[2:3], v[12:13], v[2:3], v[4:5]
	s_delay_alu instid0(VALU_DEP_2) | instskip(NEXT) | instid1(VALU_DEP_2)
	v_add_f64_e32 v[4:5], 0, v[10:11]
	v_add_f64_e32 v[10:11], 0, v[2:3]
	s_wait_loadcnt 0x0
	s_delay_alu instid0(VALU_DEP_2) | instskip(NEXT) | instid1(VALU_DEP_2)
	v_add_f64_e64 v[2:3], v[6:7], -v[4:5]
	v_add_f64_e64 v[4:5], v[8:9], -v[10:11]
	scratch_store_b128 off, v[2:5], off offset:640
	v_cmpx_lt_u32_e32 38, v0
	s_cbranch_execz .LBB40_183
; %bb.182:
	scratch_load_b128 v[5:8], off, s21
	v_dual_mov_b32 v2, v1 :: v_dual_mov_b32 v3, v1
	v_mov_b32_e32 v4, v1
	scratch_store_b128 off, v[1:4], off offset:624
	s_wait_loadcnt 0x0
	ds_store_b128 v128, v[5:8]
.LBB40_183:
	s_wait_alu 0xfffe
	s_or_b32 exec_lo, exec_lo, s0
	s_wait_storecnt_dscnt 0x0
	s_barrier_signal -1
	s_barrier_wait -1
	global_inv scope:SCOPE_SE
	s_clause 0x2
	scratch_load_b128 v[2:5], off, off offset:640
	scratch_load_b128 v[6:9], off, off offset:656
	;; [unrolled: 1-line block ×3, first 2 shown]
	ds_load_b128 v[14:17], v1 offset:1280
	ds_load_b128 v[18:21], v1 offset:1296
	s_mov_b32 s0, exec_lo
	s_wait_loadcnt_dscnt 0x201
	v_mul_f64_e32 v[22:23], v[16:17], v[4:5]
	v_mul_f64_e32 v[4:5], v[14:15], v[4:5]
	s_wait_loadcnt_dscnt 0x100
	v_mul_f64_e32 v[24:25], v[18:19], v[8:9]
	v_mul_f64_e32 v[8:9], v[20:21], v[8:9]
	s_delay_alu instid0(VALU_DEP_4) | instskip(NEXT) | instid1(VALU_DEP_4)
	v_fma_f64 v[14:15], v[14:15], v[2:3], -v[22:23]
	v_fma_f64 v[1:2], v[16:17], v[2:3], v[4:5]
	s_delay_alu instid0(VALU_DEP_4) | instskip(NEXT) | instid1(VALU_DEP_4)
	v_fma_f64 v[3:4], v[20:21], v[6:7], v[24:25]
	v_fma_f64 v[5:6], v[18:19], v[6:7], -v[8:9]
	s_delay_alu instid0(VALU_DEP_4) | instskip(NEXT) | instid1(VALU_DEP_4)
	v_add_f64_e32 v[7:8], 0, v[14:15]
	v_add_f64_e32 v[1:2], 0, v[1:2]
	s_delay_alu instid0(VALU_DEP_2) | instskip(NEXT) | instid1(VALU_DEP_2)
	v_add_f64_e32 v[5:6], v[7:8], v[5:6]
	v_add_f64_e32 v[3:4], v[1:2], v[3:4]
	s_wait_loadcnt 0x0
	s_delay_alu instid0(VALU_DEP_2) | instskip(NEXT) | instid1(VALU_DEP_2)
	v_add_f64_e64 v[1:2], v[10:11], -v[5:6]
	v_add_f64_e64 v[3:4], v[12:13], -v[3:4]
	scratch_store_b128 off, v[1:4], off offset:624
	v_cmpx_lt_u32_e32 37, v0
	s_cbranch_execz .LBB40_185
; %bb.184:
	scratch_load_b128 v[1:4], off, s20
	v_mov_b32_e32 v5, 0
	s_delay_alu instid0(VALU_DEP_1)
	v_dual_mov_b32 v6, v5 :: v_dual_mov_b32 v7, v5
	v_mov_b32_e32 v8, v5
	scratch_store_b128 off, v[5:8], off offset:608
	s_wait_loadcnt 0x0
	ds_store_b128 v128, v[1:4]
.LBB40_185:
	s_wait_alu 0xfffe
	s_or_b32 exec_lo, exec_lo, s0
	s_wait_storecnt_dscnt 0x0
	s_barrier_signal -1
	s_barrier_wait -1
	global_inv scope:SCOPE_SE
	s_clause 0x3
	scratch_load_b128 v[2:5], off, off offset:624
	scratch_load_b128 v[6:9], off, off offset:640
	;; [unrolled: 1-line block ×4, first 2 shown]
	v_mov_b32_e32 v1, 0
	ds_load_b128 v[18:21], v1 offset:1264
	ds_load_b128 v[22:25], v1 offset:1280
	s_mov_b32 s0, exec_lo
	s_wait_loadcnt_dscnt 0x301
	v_mul_f64_e32 v[26:27], v[20:21], v[4:5]
	v_mul_f64_e32 v[4:5], v[18:19], v[4:5]
	s_wait_loadcnt_dscnt 0x200
	v_mul_f64_e32 v[28:29], v[22:23], v[8:9]
	v_mul_f64_e32 v[8:9], v[24:25], v[8:9]
	s_delay_alu instid0(VALU_DEP_4) | instskip(NEXT) | instid1(VALU_DEP_4)
	v_fma_f64 v[18:19], v[18:19], v[2:3], -v[26:27]
	v_fma_f64 v[20:21], v[20:21], v[2:3], v[4:5]
	ds_load_b128 v[2:5], v1 offset:1296
	v_fma_f64 v[24:25], v[24:25], v[6:7], v[28:29]
	v_fma_f64 v[6:7], v[22:23], v[6:7], -v[8:9]
	s_wait_loadcnt_dscnt 0x100
	v_mul_f64_e32 v[26:27], v[2:3], v[12:13]
	v_mul_f64_e32 v[12:13], v[4:5], v[12:13]
	v_add_f64_e32 v[8:9], 0, v[18:19]
	v_add_f64_e32 v[18:19], 0, v[20:21]
	s_delay_alu instid0(VALU_DEP_4) | instskip(NEXT) | instid1(VALU_DEP_4)
	v_fma_f64 v[4:5], v[4:5], v[10:11], v[26:27]
	v_fma_f64 v[2:3], v[2:3], v[10:11], -v[12:13]
	s_delay_alu instid0(VALU_DEP_4) | instskip(NEXT) | instid1(VALU_DEP_4)
	v_add_f64_e32 v[6:7], v[8:9], v[6:7]
	v_add_f64_e32 v[8:9], v[18:19], v[24:25]
	s_delay_alu instid0(VALU_DEP_2) | instskip(NEXT) | instid1(VALU_DEP_2)
	v_add_f64_e32 v[2:3], v[6:7], v[2:3]
	v_add_f64_e32 v[4:5], v[8:9], v[4:5]
	s_wait_loadcnt 0x0
	s_delay_alu instid0(VALU_DEP_2) | instskip(NEXT) | instid1(VALU_DEP_2)
	v_add_f64_e64 v[2:3], v[14:15], -v[2:3]
	v_add_f64_e64 v[4:5], v[16:17], -v[4:5]
	scratch_store_b128 off, v[2:5], off offset:608
	v_cmpx_lt_u32_e32 36, v0
	s_cbranch_execz .LBB40_187
; %bb.186:
	scratch_load_b128 v[5:8], off, s25
	v_dual_mov_b32 v2, v1 :: v_dual_mov_b32 v3, v1
	v_mov_b32_e32 v4, v1
	scratch_store_b128 off, v[1:4], off offset:592
	s_wait_loadcnt 0x0
	ds_store_b128 v128, v[5:8]
.LBB40_187:
	s_wait_alu 0xfffe
	s_or_b32 exec_lo, exec_lo, s0
	s_wait_storecnt_dscnt 0x0
	s_barrier_signal -1
	s_barrier_wait -1
	global_inv scope:SCOPE_SE
	s_clause 0x4
	scratch_load_b128 v[2:5], off, off offset:608
	scratch_load_b128 v[6:9], off, off offset:624
	;; [unrolled: 1-line block ×5, first 2 shown]
	ds_load_b128 v[22:25], v1 offset:1248
	ds_load_b128 v[26:29], v1 offset:1264
	s_mov_b32 s0, exec_lo
	s_wait_loadcnt_dscnt 0x401
	v_mul_f64_e32 v[30:31], v[24:25], v[4:5]
	v_mul_f64_e32 v[4:5], v[22:23], v[4:5]
	s_wait_loadcnt_dscnt 0x300
	v_mul_f64_e32 v[32:33], v[26:27], v[8:9]
	v_mul_f64_e32 v[8:9], v[28:29], v[8:9]
	s_delay_alu instid0(VALU_DEP_4) | instskip(NEXT) | instid1(VALU_DEP_4)
	v_fma_f64 v[30:31], v[22:23], v[2:3], -v[30:31]
	v_fma_f64 v[34:35], v[24:25], v[2:3], v[4:5]
	ds_load_b128 v[2:5], v1 offset:1280
	ds_load_b128 v[22:25], v1 offset:1296
	v_fma_f64 v[28:29], v[28:29], v[6:7], v[32:33]
	v_fma_f64 v[6:7], v[26:27], v[6:7], -v[8:9]
	s_wait_loadcnt_dscnt 0x201
	v_mul_f64_e32 v[36:37], v[2:3], v[12:13]
	v_mul_f64_e32 v[12:13], v[4:5], v[12:13]
	v_add_f64_e32 v[8:9], 0, v[30:31]
	v_add_f64_e32 v[26:27], 0, v[34:35]
	s_wait_loadcnt_dscnt 0x100
	v_mul_f64_e32 v[30:31], v[22:23], v[16:17]
	v_mul_f64_e32 v[16:17], v[24:25], v[16:17]
	v_fma_f64 v[4:5], v[4:5], v[10:11], v[36:37]
	v_fma_f64 v[1:2], v[2:3], v[10:11], -v[12:13]
	v_add_f64_e32 v[6:7], v[8:9], v[6:7]
	v_add_f64_e32 v[8:9], v[26:27], v[28:29]
	v_fma_f64 v[10:11], v[24:25], v[14:15], v[30:31]
	v_fma_f64 v[12:13], v[22:23], v[14:15], -v[16:17]
	s_delay_alu instid0(VALU_DEP_4) | instskip(NEXT) | instid1(VALU_DEP_4)
	v_add_f64_e32 v[1:2], v[6:7], v[1:2]
	v_add_f64_e32 v[3:4], v[8:9], v[4:5]
	s_delay_alu instid0(VALU_DEP_2) | instskip(NEXT) | instid1(VALU_DEP_2)
	v_add_f64_e32 v[1:2], v[1:2], v[12:13]
	v_add_f64_e32 v[3:4], v[3:4], v[10:11]
	s_wait_loadcnt 0x0
	s_delay_alu instid0(VALU_DEP_2) | instskip(NEXT) | instid1(VALU_DEP_2)
	v_add_f64_e64 v[1:2], v[18:19], -v[1:2]
	v_add_f64_e64 v[3:4], v[20:21], -v[3:4]
	scratch_store_b128 off, v[1:4], off offset:592
	v_cmpx_lt_u32_e32 35, v0
	s_cbranch_execz .LBB40_189
; %bb.188:
	scratch_load_b128 v[1:4], off, s26
	v_mov_b32_e32 v5, 0
	s_delay_alu instid0(VALU_DEP_1)
	v_dual_mov_b32 v6, v5 :: v_dual_mov_b32 v7, v5
	v_mov_b32_e32 v8, v5
	scratch_store_b128 off, v[5:8], off offset:576
	s_wait_loadcnt 0x0
	ds_store_b128 v128, v[1:4]
.LBB40_189:
	s_wait_alu 0xfffe
	s_or_b32 exec_lo, exec_lo, s0
	s_wait_storecnt_dscnt 0x0
	s_barrier_signal -1
	s_barrier_wait -1
	global_inv scope:SCOPE_SE
	s_clause 0x5
	scratch_load_b128 v[2:5], off, off offset:592
	scratch_load_b128 v[6:9], off, off offset:608
	;; [unrolled: 1-line block ×6, first 2 shown]
	v_mov_b32_e32 v1, 0
	ds_load_b128 v[26:29], v1 offset:1232
	ds_load_b128 v[30:33], v1 offset:1248
	s_mov_b32 s0, exec_lo
	s_wait_loadcnt_dscnt 0x501
	v_mul_f64_e32 v[34:35], v[28:29], v[4:5]
	v_mul_f64_e32 v[4:5], v[26:27], v[4:5]
	s_wait_loadcnt_dscnt 0x400
	v_mul_f64_e32 v[36:37], v[30:31], v[8:9]
	v_mul_f64_e32 v[8:9], v[32:33], v[8:9]
	s_delay_alu instid0(VALU_DEP_4) | instskip(NEXT) | instid1(VALU_DEP_4)
	v_fma_f64 v[34:35], v[26:27], v[2:3], -v[34:35]
	v_fma_f64 v[38:39], v[28:29], v[2:3], v[4:5]
	ds_load_b128 v[2:5], v1 offset:1264
	ds_load_b128 v[26:29], v1 offset:1280
	v_fma_f64 v[32:33], v[32:33], v[6:7], v[36:37]
	v_fma_f64 v[6:7], v[30:31], v[6:7], -v[8:9]
	s_wait_loadcnt_dscnt 0x301
	v_mul_f64_e32 v[40:41], v[2:3], v[12:13]
	v_mul_f64_e32 v[12:13], v[4:5], v[12:13]
	v_add_f64_e32 v[8:9], 0, v[34:35]
	v_add_f64_e32 v[30:31], 0, v[38:39]
	s_wait_loadcnt_dscnt 0x200
	v_mul_f64_e32 v[34:35], v[26:27], v[16:17]
	v_mul_f64_e32 v[16:17], v[28:29], v[16:17]
	v_fma_f64 v[36:37], v[4:5], v[10:11], v[40:41]
	v_fma_f64 v[10:11], v[2:3], v[10:11], -v[12:13]
	ds_load_b128 v[2:5], v1 offset:1296
	v_add_f64_e32 v[6:7], v[8:9], v[6:7]
	v_add_f64_e32 v[8:9], v[30:31], v[32:33]
	v_fma_f64 v[28:29], v[28:29], v[14:15], v[34:35]
	v_fma_f64 v[14:15], v[26:27], v[14:15], -v[16:17]
	s_wait_loadcnt_dscnt 0x100
	v_mul_f64_e32 v[12:13], v[2:3], v[20:21]
	v_mul_f64_e32 v[20:21], v[4:5], v[20:21]
	v_add_f64_e32 v[6:7], v[6:7], v[10:11]
	v_add_f64_e32 v[8:9], v[8:9], v[36:37]
	s_delay_alu instid0(VALU_DEP_4) | instskip(NEXT) | instid1(VALU_DEP_4)
	v_fma_f64 v[4:5], v[4:5], v[18:19], v[12:13]
	v_fma_f64 v[2:3], v[2:3], v[18:19], -v[20:21]
	s_delay_alu instid0(VALU_DEP_4) | instskip(NEXT) | instid1(VALU_DEP_4)
	v_add_f64_e32 v[6:7], v[6:7], v[14:15]
	v_add_f64_e32 v[8:9], v[8:9], v[28:29]
	s_delay_alu instid0(VALU_DEP_2) | instskip(NEXT) | instid1(VALU_DEP_2)
	v_add_f64_e32 v[2:3], v[6:7], v[2:3]
	v_add_f64_e32 v[4:5], v[8:9], v[4:5]
	s_wait_loadcnt 0x0
	s_delay_alu instid0(VALU_DEP_2) | instskip(NEXT) | instid1(VALU_DEP_2)
	v_add_f64_e64 v[2:3], v[22:23], -v[2:3]
	v_add_f64_e64 v[4:5], v[24:25], -v[4:5]
	scratch_store_b128 off, v[2:5], off offset:576
	v_cmpx_lt_u32_e32 34, v0
	s_cbranch_execz .LBB40_191
; %bb.190:
	scratch_load_b128 v[5:8], off, s28
	v_dual_mov_b32 v2, v1 :: v_dual_mov_b32 v3, v1
	v_mov_b32_e32 v4, v1
	scratch_store_b128 off, v[1:4], off offset:560
	s_wait_loadcnt 0x0
	ds_store_b128 v128, v[5:8]
.LBB40_191:
	s_wait_alu 0xfffe
	s_or_b32 exec_lo, exec_lo, s0
	s_wait_storecnt_dscnt 0x0
	s_barrier_signal -1
	s_barrier_wait -1
	global_inv scope:SCOPE_SE
	s_clause 0x5
	scratch_load_b128 v[2:5], off, off offset:576
	scratch_load_b128 v[6:9], off, off offset:592
	;; [unrolled: 1-line block ×6, first 2 shown]
	ds_load_b128 v[26:29], v1 offset:1216
	ds_load_b128 v[34:37], v1 offset:1232
	scratch_load_b128 v[30:33], off, off offset:560
	s_mov_b32 s0, exec_lo
	s_wait_loadcnt_dscnt 0x601
	v_mul_f64_e32 v[38:39], v[28:29], v[4:5]
	v_mul_f64_e32 v[4:5], v[26:27], v[4:5]
	s_wait_loadcnt_dscnt 0x500
	v_mul_f64_e32 v[40:41], v[34:35], v[8:9]
	v_mul_f64_e32 v[8:9], v[36:37], v[8:9]
	s_delay_alu instid0(VALU_DEP_4) | instskip(NEXT) | instid1(VALU_DEP_4)
	v_fma_f64 v[38:39], v[26:27], v[2:3], -v[38:39]
	v_fma_f64 v[42:43], v[28:29], v[2:3], v[4:5]
	ds_load_b128 v[2:5], v1 offset:1248
	ds_load_b128 v[26:29], v1 offset:1264
	v_fma_f64 v[36:37], v[36:37], v[6:7], v[40:41]
	v_fma_f64 v[6:7], v[34:35], v[6:7], -v[8:9]
	s_wait_loadcnt_dscnt 0x401
	v_mul_f64_e32 v[44:45], v[2:3], v[12:13]
	v_mul_f64_e32 v[12:13], v[4:5], v[12:13]
	v_add_f64_e32 v[8:9], 0, v[38:39]
	v_add_f64_e32 v[34:35], 0, v[42:43]
	s_wait_loadcnt_dscnt 0x300
	v_mul_f64_e32 v[38:39], v[26:27], v[16:17]
	v_mul_f64_e32 v[16:17], v[28:29], v[16:17]
	v_fma_f64 v[40:41], v[4:5], v[10:11], v[44:45]
	v_fma_f64 v[10:11], v[2:3], v[10:11], -v[12:13]
	v_add_f64_e32 v[12:13], v[8:9], v[6:7]
	v_add_f64_e32 v[34:35], v[34:35], v[36:37]
	ds_load_b128 v[2:5], v1 offset:1280
	ds_load_b128 v[6:9], v1 offset:1296
	v_fma_f64 v[28:29], v[28:29], v[14:15], v[38:39]
	v_fma_f64 v[14:15], v[26:27], v[14:15], -v[16:17]
	s_wait_loadcnt_dscnt 0x201
	v_mul_f64_e32 v[36:37], v[2:3], v[20:21]
	v_mul_f64_e32 v[20:21], v[4:5], v[20:21]
	s_wait_loadcnt_dscnt 0x100
	v_mul_f64_e32 v[16:17], v[6:7], v[24:25]
	v_mul_f64_e32 v[24:25], v[8:9], v[24:25]
	v_add_f64_e32 v[10:11], v[12:13], v[10:11]
	v_add_f64_e32 v[12:13], v[34:35], v[40:41]
	v_fma_f64 v[4:5], v[4:5], v[18:19], v[36:37]
	v_fma_f64 v[1:2], v[2:3], v[18:19], -v[20:21]
	v_fma_f64 v[8:9], v[8:9], v[22:23], v[16:17]
	v_fma_f64 v[6:7], v[6:7], v[22:23], -v[24:25]
	v_add_f64_e32 v[10:11], v[10:11], v[14:15]
	v_add_f64_e32 v[12:13], v[12:13], v[28:29]
	s_delay_alu instid0(VALU_DEP_2) | instskip(NEXT) | instid1(VALU_DEP_2)
	v_add_f64_e32 v[1:2], v[10:11], v[1:2]
	v_add_f64_e32 v[3:4], v[12:13], v[4:5]
	s_delay_alu instid0(VALU_DEP_2) | instskip(NEXT) | instid1(VALU_DEP_2)
	v_add_f64_e32 v[1:2], v[1:2], v[6:7]
	v_add_f64_e32 v[3:4], v[3:4], v[8:9]
	s_wait_loadcnt 0x0
	s_delay_alu instid0(VALU_DEP_2) | instskip(NEXT) | instid1(VALU_DEP_2)
	v_add_f64_e64 v[1:2], v[30:31], -v[1:2]
	v_add_f64_e64 v[3:4], v[32:33], -v[3:4]
	scratch_store_b128 off, v[1:4], off offset:560
	v_cmpx_lt_u32_e32 33, v0
	s_cbranch_execz .LBB40_193
; %bb.192:
	scratch_load_b128 v[1:4], off, s30
	v_mov_b32_e32 v5, 0
	s_delay_alu instid0(VALU_DEP_1)
	v_dual_mov_b32 v6, v5 :: v_dual_mov_b32 v7, v5
	v_mov_b32_e32 v8, v5
	scratch_store_b128 off, v[5:8], off offset:544
	s_wait_loadcnt 0x0
	ds_store_b128 v128, v[1:4]
.LBB40_193:
	s_wait_alu 0xfffe
	s_or_b32 exec_lo, exec_lo, s0
	s_wait_storecnt_dscnt 0x0
	s_barrier_signal -1
	s_barrier_wait -1
	global_inv scope:SCOPE_SE
	s_clause 0x6
	scratch_load_b128 v[2:5], off, off offset:560
	scratch_load_b128 v[6:9], off, off offset:576
	;; [unrolled: 1-line block ×7, first 2 shown]
	v_mov_b32_e32 v1, 0
	scratch_load_b128 v[34:37], off, off offset:544
	s_mov_b32 s0, exec_lo
	ds_load_b128 v[30:33], v1 offset:1200
	ds_load_b128 v[38:41], v1 offset:1216
	s_wait_loadcnt_dscnt 0x701
	v_mul_f64_e32 v[42:43], v[32:33], v[4:5]
	v_mul_f64_e32 v[4:5], v[30:31], v[4:5]
	s_wait_loadcnt_dscnt 0x600
	v_mul_f64_e32 v[44:45], v[38:39], v[8:9]
	v_mul_f64_e32 v[8:9], v[40:41], v[8:9]
	s_delay_alu instid0(VALU_DEP_4) | instskip(NEXT) | instid1(VALU_DEP_4)
	v_fma_f64 v[42:43], v[30:31], v[2:3], -v[42:43]
	v_fma_f64 v[129:130], v[32:33], v[2:3], v[4:5]
	ds_load_b128 v[2:5], v1 offset:1232
	ds_load_b128 v[30:33], v1 offset:1248
	v_fma_f64 v[40:41], v[40:41], v[6:7], v[44:45]
	v_fma_f64 v[6:7], v[38:39], v[6:7], -v[8:9]
	s_wait_loadcnt_dscnt 0x501
	v_mul_f64_e32 v[131:132], v[2:3], v[12:13]
	v_mul_f64_e32 v[12:13], v[4:5], v[12:13]
	v_add_f64_e32 v[8:9], 0, v[42:43]
	v_add_f64_e32 v[38:39], 0, v[129:130]
	s_wait_loadcnt_dscnt 0x400
	v_mul_f64_e32 v[42:43], v[30:31], v[16:17]
	v_mul_f64_e32 v[16:17], v[32:33], v[16:17]
	v_fma_f64 v[44:45], v[4:5], v[10:11], v[131:132]
	v_fma_f64 v[10:11], v[2:3], v[10:11], -v[12:13]
	v_add_f64_e32 v[12:13], v[8:9], v[6:7]
	v_add_f64_e32 v[38:39], v[38:39], v[40:41]
	ds_load_b128 v[2:5], v1 offset:1264
	ds_load_b128 v[6:9], v1 offset:1280
	v_fma_f64 v[32:33], v[32:33], v[14:15], v[42:43]
	v_fma_f64 v[14:15], v[30:31], v[14:15], -v[16:17]
	s_wait_loadcnt_dscnt 0x301
	v_mul_f64_e32 v[40:41], v[2:3], v[20:21]
	v_mul_f64_e32 v[20:21], v[4:5], v[20:21]
	s_wait_loadcnt_dscnt 0x200
	v_mul_f64_e32 v[16:17], v[6:7], v[24:25]
	v_mul_f64_e32 v[24:25], v[8:9], v[24:25]
	v_add_f64_e32 v[10:11], v[12:13], v[10:11]
	v_add_f64_e32 v[12:13], v[38:39], v[44:45]
	v_fma_f64 v[30:31], v[4:5], v[18:19], v[40:41]
	v_fma_f64 v[18:19], v[2:3], v[18:19], -v[20:21]
	ds_load_b128 v[2:5], v1 offset:1296
	v_fma_f64 v[8:9], v[8:9], v[22:23], v[16:17]
	v_fma_f64 v[6:7], v[6:7], v[22:23], -v[24:25]
	v_add_f64_e32 v[10:11], v[10:11], v[14:15]
	v_add_f64_e32 v[12:13], v[12:13], v[32:33]
	s_wait_loadcnt_dscnt 0x100
	v_mul_f64_e32 v[14:15], v[2:3], v[28:29]
	v_mul_f64_e32 v[20:21], v[4:5], v[28:29]
	s_delay_alu instid0(VALU_DEP_4) | instskip(NEXT) | instid1(VALU_DEP_4)
	v_add_f64_e32 v[10:11], v[10:11], v[18:19]
	v_add_f64_e32 v[12:13], v[12:13], v[30:31]
	s_delay_alu instid0(VALU_DEP_4) | instskip(NEXT) | instid1(VALU_DEP_4)
	v_fma_f64 v[4:5], v[4:5], v[26:27], v[14:15]
	v_fma_f64 v[2:3], v[2:3], v[26:27], -v[20:21]
	s_delay_alu instid0(VALU_DEP_4) | instskip(NEXT) | instid1(VALU_DEP_4)
	v_add_f64_e32 v[6:7], v[10:11], v[6:7]
	v_add_f64_e32 v[8:9], v[12:13], v[8:9]
	s_delay_alu instid0(VALU_DEP_2) | instskip(NEXT) | instid1(VALU_DEP_2)
	v_add_f64_e32 v[2:3], v[6:7], v[2:3]
	v_add_f64_e32 v[4:5], v[8:9], v[4:5]
	s_wait_loadcnt 0x0
	s_delay_alu instid0(VALU_DEP_2) | instskip(NEXT) | instid1(VALU_DEP_2)
	v_add_f64_e64 v[2:3], v[34:35], -v[2:3]
	v_add_f64_e64 v[4:5], v[36:37], -v[4:5]
	scratch_store_b128 off, v[2:5], off offset:544
	v_cmpx_lt_u32_e32 32, v0
	s_cbranch_execz .LBB40_195
; %bb.194:
	scratch_load_b128 v[5:8], off, s4
	v_dual_mov_b32 v2, v1 :: v_dual_mov_b32 v3, v1
	v_mov_b32_e32 v4, v1
	scratch_store_b128 off, v[1:4], off offset:528
	s_wait_loadcnt 0x0
	ds_store_b128 v128, v[5:8]
.LBB40_195:
	s_wait_alu 0xfffe
	s_or_b32 exec_lo, exec_lo, s0
	s_wait_storecnt_dscnt 0x0
	s_barrier_signal -1
	s_barrier_wait -1
	global_inv scope:SCOPE_SE
	s_clause 0x7
	scratch_load_b128 v[2:5], off, off offset:544
	scratch_load_b128 v[6:9], off, off offset:560
	;; [unrolled: 1-line block ×8, first 2 shown]
	ds_load_b128 v[34:37], v1 offset:1184
	ds_load_b128 v[38:41], v1 offset:1200
	scratch_load_b128 v[42:45], off, off offset:528
	s_mov_b32 s0, exec_lo
	s_wait_loadcnt_dscnt 0x801
	v_mul_f64_e32 v[129:130], v[36:37], v[4:5]
	v_mul_f64_e32 v[4:5], v[34:35], v[4:5]
	s_wait_loadcnt_dscnt 0x700
	v_mul_f64_e32 v[131:132], v[38:39], v[8:9]
	v_mul_f64_e32 v[8:9], v[40:41], v[8:9]
	s_delay_alu instid0(VALU_DEP_4) | instskip(NEXT) | instid1(VALU_DEP_4)
	v_fma_f64 v[129:130], v[34:35], v[2:3], -v[129:130]
	v_fma_f64 v[133:134], v[36:37], v[2:3], v[4:5]
	ds_load_b128 v[2:5], v1 offset:1216
	ds_load_b128 v[34:37], v1 offset:1232
	v_fma_f64 v[40:41], v[40:41], v[6:7], v[131:132]
	v_fma_f64 v[6:7], v[38:39], v[6:7], -v[8:9]
	s_wait_loadcnt_dscnt 0x601
	v_mul_f64_e32 v[135:136], v[2:3], v[12:13]
	v_mul_f64_e32 v[12:13], v[4:5], v[12:13]
	v_add_f64_e32 v[8:9], 0, v[129:130]
	v_add_f64_e32 v[38:39], 0, v[133:134]
	s_wait_loadcnt_dscnt 0x500
	v_mul_f64_e32 v[129:130], v[34:35], v[16:17]
	v_mul_f64_e32 v[16:17], v[36:37], v[16:17]
	v_fma_f64 v[131:132], v[4:5], v[10:11], v[135:136]
	v_fma_f64 v[10:11], v[2:3], v[10:11], -v[12:13]
	v_add_f64_e32 v[12:13], v[8:9], v[6:7]
	v_add_f64_e32 v[38:39], v[38:39], v[40:41]
	ds_load_b128 v[2:5], v1 offset:1248
	ds_load_b128 v[6:9], v1 offset:1264
	v_fma_f64 v[36:37], v[36:37], v[14:15], v[129:130]
	v_fma_f64 v[14:15], v[34:35], v[14:15], -v[16:17]
	s_wait_loadcnt_dscnt 0x401
	v_mul_f64_e32 v[40:41], v[2:3], v[20:21]
	v_mul_f64_e32 v[20:21], v[4:5], v[20:21]
	s_wait_loadcnt_dscnt 0x300
	v_mul_f64_e32 v[16:17], v[6:7], v[24:25]
	v_mul_f64_e32 v[24:25], v[8:9], v[24:25]
	v_add_f64_e32 v[10:11], v[12:13], v[10:11]
	v_add_f64_e32 v[12:13], v[38:39], v[131:132]
	v_fma_f64 v[34:35], v[4:5], v[18:19], v[40:41]
	v_fma_f64 v[18:19], v[2:3], v[18:19], -v[20:21]
	v_fma_f64 v[8:9], v[8:9], v[22:23], v[16:17]
	v_fma_f64 v[6:7], v[6:7], v[22:23], -v[24:25]
	v_add_f64_e32 v[14:15], v[10:11], v[14:15]
	v_add_f64_e32 v[20:21], v[12:13], v[36:37]
	ds_load_b128 v[2:5], v1 offset:1280
	ds_load_b128 v[10:13], v1 offset:1296
	s_wait_loadcnt_dscnt 0x201
	v_mul_f64_e32 v[36:37], v[2:3], v[28:29]
	v_mul_f64_e32 v[28:29], v[4:5], v[28:29]
	v_add_f64_e32 v[14:15], v[14:15], v[18:19]
	v_add_f64_e32 v[16:17], v[20:21], v[34:35]
	s_wait_loadcnt_dscnt 0x100
	v_mul_f64_e32 v[18:19], v[10:11], v[32:33]
	v_mul_f64_e32 v[20:21], v[12:13], v[32:33]
	v_fma_f64 v[4:5], v[4:5], v[26:27], v[36:37]
	v_fma_f64 v[1:2], v[2:3], v[26:27], -v[28:29]
	v_add_f64_e32 v[6:7], v[14:15], v[6:7]
	v_add_f64_e32 v[8:9], v[16:17], v[8:9]
	v_fma_f64 v[12:13], v[12:13], v[30:31], v[18:19]
	v_fma_f64 v[10:11], v[10:11], v[30:31], -v[20:21]
	s_delay_alu instid0(VALU_DEP_4) | instskip(NEXT) | instid1(VALU_DEP_4)
	v_add_f64_e32 v[1:2], v[6:7], v[1:2]
	v_add_f64_e32 v[3:4], v[8:9], v[4:5]
	s_delay_alu instid0(VALU_DEP_2) | instskip(NEXT) | instid1(VALU_DEP_2)
	v_add_f64_e32 v[1:2], v[1:2], v[10:11]
	v_add_f64_e32 v[3:4], v[3:4], v[12:13]
	s_wait_loadcnt 0x0
	s_delay_alu instid0(VALU_DEP_2) | instskip(NEXT) | instid1(VALU_DEP_2)
	v_add_f64_e64 v[1:2], v[42:43], -v[1:2]
	v_add_f64_e64 v[3:4], v[44:45], -v[3:4]
	scratch_store_b128 off, v[1:4], off offset:528
	v_cmpx_lt_u32_e32 31, v0
	s_cbranch_execz .LBB40_197
; %bb.196:
	scratch_load_b128 v[1:4], off, s5
	v_mov_b32_e32 v5, 0
	s_delay_alu instid0(VALU_DEP_1)
	v_dual_mov_b32 v6, v5 :: v_dual_mov_b32 v7, v5
	v_mov_b32_e32 v8, v5
	scratch_store_b128 off, v[5:8], off offset:512
	s_wait_loadcnt 0x0
	ds_store_b128 v128, v[1:4]
.LBB40_197:
	s_wait_alu 0xfffe
	s_or_b32 exec_lo, exec_lo, s0
	s_wait_storecnt_dscnt 0x0
	s_barrier_signal -1
	s_barrier_wait -1
	global_inv scope:SCOPE_SE
	s_clause 0x7
	scratch_load_b128 v[2:5], off, off offset:528
	scratch_load_b128 v[6:9], off, off offset:544
	;; [unrolled: 1-line block ×8, first 2 shown]
	v_mov_b32_e32 v1, 0
	s_mov_b32 s0, exec_lo
	ds_load_b128 v[34:37], v1 offset:1168
	s_clause 0x1
	scratch_load_b128 v[38:41], off, off offset:656
	scratch_load_b128 v[42:45], off, off offset:512
	ds_load_b128 v[129:132], v1 offset:1184
	s_wait_loadcnt_dscnt 0x901
	v_mul_f64_e32 v[133:134], v[36:37], v[4:5]
	v_mul_f64_e32 v[4:5], v[34:35], v[4:5]
	s_wait_loadcnt_dscnt 0x800
	v_mul_f64_e32 v[135:136], v[129:130], v[8:9]
	v_mul_f64_e32 v[8:9], v[131:132], v[8:9]
	s_delay_alu instid0(VALU_DEP_4) | instskip(NEXT) | instid1(VALU_DEP_4)
	v_fma_f64 v[133:134], v[34:35], v[2:3], -v[133:134]
	v_fma_f64 v[137:138], v[36:37], v[2:3], v[4:5]
	ds_load_b128 v[2:5], v1 offset:1200
	ds_load_b128 v[34:37], v1 offset:1216
	v_fma_f64 v[131:132], v[131:132], v[6:7], v[135:136]
	v_fma_f64 v[6:7], v[129:130], v[6:7], -v[8:9]
	s_wait_loadcnt_dscnt 0x701
	v_mul_f64_e32 v[139:140], v[2:3], v[12:13]
	v_mul_f64_e32 v[12:13], v[4:5], v[12:13]
	v_add_f64_e32 v[8:9], 0, v[133:134]
	v_add_f64_e32 v[129:130], 0, v[137:138]
	s_wait_loadcnt_dscnt 0x600
	v_mul_f64_e32 v[133:134], v[34:35], v[16:17]
	v_mul_f64_e32 v[16:17], v[36:37], v[16:17]
	v_fma_f64 v[135:136], v[4:5], v[10:11], v[139:140]
	v_fma_f64 v[10:11], v[2:3], v[10:11], -v[12:13]
	v_add_f64_e32 v[12:13], v[8:9], v[6:7]
	v_add_f64_e32 v[129:130], v[129:130], v[131:132]
	ds_load_b128 v[2:5], v1 offset:1232
	ds_load_b128 v[6:9], v1 offset:1248
	v_fma_f64 v[36:37], v[36:37], v[14:15], v[133:134]
	v_fma_f64 v[14:15], v[34:35], v[14:15], -v[16:17]
	s_wait_loadcnt_dscnt 0x501
	v_mul_f64_e32 v[131:132], v[2:3], v[20:21]
	v_mul_f64_e32 v[20:21], v[4:5], v[20:21]
	s_wait_loadcnt_dscnt 0x400
	v_mul_f64_e32 v[16:17], v[6:7], v[24:25]
	v_mul_f64_e32 v[24:25], v[8:9], v[24:25]
	v_add_f64_e32 v[10:11], v[12:13], v[10:11]
	v_add_f64_e32 v[12:13], v[129:130], v[135:136]
	v_fma_f64 v[34:35], v[4:5], v[18:19], v[131:132]
	v_fma_f64 v[18:19], v[2:3], v[18:19], -v[20:21]
	v_fma_f64 v[8:9], v[8:9], v[22:23], v[16:17]
	v_fma_f64 v[6:7], v[6:7], v[22:23], -v[24:25]
	v_add_f64_e32 v[14:15], v[10:11], v[14:15]
	v_add_f64_e32 v[20:21], v[12:13], v[36:37]
	ds_load_b128 v[2:5], v1 offset:1264
	ds_load_b128 v[10:13], v1 offset:1280
	s_wait_loadcnt_dscnt 0x301
	v_mul_f64_e32 v[36:37], v[2:3], v[28:29]
	v_mul_f64_e32 v[28:29], v[4:5], v[28:29]
	v_add_f64_e32 v[14:15], v[14:15], v[18:19]
	v_add_f64_e32 v[16:17], v[20:21], v[34:35]
	s_wait_loadcnt_dscnt 0x200
	v_mul_f64_e32 v[18:19], v[10:11], v[32:33]
	v_mul_f64_e32 v[20:21], v[12:13], v[32:33]
	v_fma_f64 v[22:23], v[4:5], v[26:27], v[36:37]
	v_fma_f64 v[24:25], v[2:3], v[26:27], -v[28:29]
	ds_load_b128 v[2:5], v1 offset:1296
	v_add_f64_e32 v[6:7], v[14:15], v[6:7]
	v_add_f64_e32 v[8:9], v[16:17], v[8:9]
	v_fma_f64 v[12:13], v[12:13], v[30:31], v[18:19]
	v_fma_f64 v[10:11], v[10:11], v[30:31], -v[20:21]
	s_wait_loadcnt_dscnt 0x100
	v_mul_f64_e32 v[14:15], v[2:3], v[40:41]
	v_mul_f64_e32 v[16:17], v[4:5], v[40:41]
	v_add_f64_e32 v[6:7], v[6:7], v[24:25]
	v_add_f64_e32 v[8:9], v[8:9], v[22:23]
	s_delay_alu instid0(VALU_DEP_4) | instskip(NEXT) | instid1(VALU_DEP_4)
	v_fma_f64 v[4:5], v[4:5], v[38:39], v[14:15]
	v_fma_f64 v[2:3], v[2:3], v[38:39], -v[16:17]
	s_delay_alu instid0(VALU_DEP_4) | instskip(NEXT) | instid1(VALU_DEP_4)
	v_add_f64_e32 v[6:7], v[6:7], v[10:11]
	v_add_f64_e32 v[8:9], v[8:9], v[12:13]
	s_delay_alu instid0(VALU_DEP_2) | instskip(NEXT) | instid1(VALU_DEP_2)
	v_add_f64_e32 v[2:3], v[6:7], v[2:3]
	v_add_f64_e32 v[4:5], v[8:9], v[4:5]
	s_wait_loadcnt 0x0
	s_delay_alu instid0(VALU_DEP_2) | instskip(NEXT) | instid1(VALU_DEP_2)
	v_add_f64_e64 v[2:3], v[42:43], -v[2:3]
	v_add_f64_e64 v[4:5], v[44:45], -v[4:5]
	scratch_store_b128 off, v[2:5], off offset:512
	v_cmpx_lt_u32_e32 30, v0
	s_cbranch_execz .LBB40_199
; %bb.198:
	scratch_load_b128 v[5:8], off, s9
	v_dual_mov_b32 v2, v1 :: v_dual_mov_b32 v3, v1
	v_mov_b32_e32 v4, v1
	scratch_store_b128 off, v[1:4], off offset:496
	s_wait_loadcnt 0x0
	ds_store_b128 v128, v[5:8]
.LBB40_199:
	s_wait_alu 0xfffe
	s_or_b32 exec_lo, exec_lo, s0
	s_wait_storecnt_dscnt 0x0
	s_barrier_signal -1
	s_barrier_wait -1
	global_inv scope:SCOPE_SE
	s_clause 0x7
	scratch_load_b128 v[2:5], off, off offset:512
	scratch_load_b128 v[6:9], off, off offset:528
	;; [unrolled: 1-line block ×8, first 2 shown]
	ds_load_b128 v[34:37], v1 offset:1152
	ds_load_b128 v[42:45], v1 offset:1168
	s_clause 0x1
	scratch_load_b128 v[38:41], off, off offset:640
	scratch_load_b128 v[129:132], off, off offset:656
	s_mov_b32 s0, exec_lo
	s_wait_loadcnt_dscnt 0x901
	v_mul_f64_e32 v[133:134], v[36:37], v[4:5]
	v_mul_f64_e32 v[4:5], v[34:35], v[4:5]
	s_wait_loadcnt_dscnt 0x800
	v_mul_f64_e32 v[135:136], v[42:43], v[8:9]
	v_mul_f64_e32 v[8:9], v[44:45], v[8:9]
	s_delay_alu instid0(VALU_DEP_4) | instskip(NEXT) | instid1(VALU_DEP_4)
	v_fma_f64 v[34:35], v[34:35], v[2:3], -v[133:134]
	v_fma_f64 v[36:37], v[36:37], v[2:3], v[4:5]
	ds_load_b128 v[2:5], v1 offset:1184
	v_fma_f64 v[44:45], v[44:45], v[6:7], v[135:136]
	v_fma_f64 v[42:43], v[42:43], v[6:7], -v[8:9]
	ds_load_b128 v[6:9], v1 offset:1200
	s_wait_loadcnt_dscnt 0x701
	v_mul_f64_e32 v[133:134], v[2:3], v[12:13]
	v_mul_f64_e32 v[12:13], v[4:5], v[12:13]
	s_wait_loadcnt_dscnt 0x600
	v_mul_f64_e32 v[135:136], v[6:7], v[16:17]
	v_mul_f64_e32 v[16:17], v[8:9], v[16:17]
	v_add_f64_e32 v[34:35], 0, v[34:35]
	v_add_f64_e32 v[36:37], 0, v[36:37]
	v_fma_f64 v[133:134], v[4:5], v[10:11], v[133:134]
	v_fma_f64 v[137:138], v[2:3], v[10:11], -v[12:13]
	ds_load_b128 v[2:5], v1 offset:1216
	scratch_load_b128 v[10:13], off, off offset:496
	v_add_f64_e32 v[34:35], v[34:35], v[42:43]
	v_add_f64_e32 v[36:37], v[36:37], v[44:45]
	v_fma_f64 v[44:45], v[8:9], v[14:15], v[135:136]
	v_fma_f64 v[14:15], v[6:7], v[14:15], -v[16:17]
	ds_load_b128 v[6:9], v1 offset:1232
	s_wait_loadcnt_dscnt 0x601
	v_mul_f64_e32 v[42:43], v[2:3], v[20:21]
	v_mul_f64_e32 v[20:21], v[4:5], v[20:21]
	v_add_f64_e32 v[16:17], v[34:35], v[137:138]
	v_add_f64_e32 v[34:35], v[36:37], v[133:134]
	s_wait_loadcnt_dscnt 0x500
	v_mul_f64_e32 v[36:37], v[6:7], v[24:25]
	v_mul_f64_e32 v[24:25], v[8:9], v[24:25]
	v_fma_f64 v[42:43], v[4:5], v[18:19], v[42:43]
	v_fma_f64 v[18:19], v[2:3], v[18:19], -v[20:21]
	ds_load_b128 v[2:5], v1 offset:1248
	v_add_f64_e32 v[14:15], v[16:17], v[14:15]
	v_add_f64_e32 v[16:17], v[34:35], v[44:45]
	v_fma_f64 v[34:35], v[8:9], v[22:23], v[36:37]
	v_fma_f64 v[22:23], v[6:7], v[22:23], -v[24:25]
	ds_load_b128 v[6:9], v1 offset:1264
	s_wait_loadcnt_dscnt 0x401
	v_mul_f64_e32 v[20:21], v[2:3], v[28:29]
	v_mul_f64_e32 v[28:29], v[4:5], v[28:29]
	s_wait_loadcnt_dscnt 0x300
	v_mul_f64_e32 v[24:25], v[8:9], v[32:33]
	v_add_f64_e32 v[14:15], v[14:15], v[18:19]
	v_add_f64_e32 v[16:17], v[16:17], v[42:43]
	v_mul_f64_e32 v[18:19], v[6:7], v[32:33]
	v_fma_f64 v[20:21], v[4:5], v[26:27], v[20:21]
	v_fma_f64 v[26:27], v[2:3], v[26:27], -v[28:29]
	ds_load_b128 v[2:5], v1 offset:1280
	v_fma_f64 v[24:25], v[6:7], v[30:31], -v[24:25]
	v_add_f64_e32 v[14:15], v[14:15], v[22:23]
	v_add_f64_e32 v[16:17], v[16:17], v[34:35]
	v_fma_f64 v[18:19], v[8:9], v[30:31], v[18:19]
	ds_load_b128 v[6:9], v1 offset:1296
	s_wait_loadcnt_dscnt 0x201
	v_mul_f64_e32 v[22:23], v[2:3], v[40:41]
	v_mul_f64_e32 v[28:29], v[4:5], v[40:41]
	v_add_f64_e32 v[14:15], v[14:15], v[26:27]
	v_add_f64_e32 v[16:17], v[16:17], v[20:21]
	s_wait_loadcnt_dscnt 0x100
	v_mul_f64_e32 v[20:21], v[6:7], v[131:132]
	v_mul_f64_e32 v[26:27], v[8:9], v[131:132]
	v_fma_f64 v[4:5], v[4:5], v[38:39], v[22:23]
	v_fma_f64 v[1:2], v[2:3], v[38:39], -v[28:29]
	v_add_f64_e32 v[14:15], v[14:15], v[24:25]
	v_add_f64_e32 v[16:17], v[16:17], v[18:19]
	v_fma_f64 v[8:9], v[8:9], v[129:130], v[20:21]
	v_fma_f64 v[6:7], v[6:7], v[129:130], -v[26:27]
	s_delay_alu instid0(VALU_DEP_4) | instskip(NEXT) | instid1(VALU_DEP_4)
	v_add_f64_e32 v[1:2], v[14:15], v[1:2]
	v_add_f64_e32 v[3:4], v[16:17], v[4:5]
	s_delay_alu instid0(VALU_DEP_2) | instskip(NEXT) | instid1(VALU_DEP_2)
	v_add_f64_e32 v[1:2], v[1:2], v[6:7]
	v_add_f64_e32 v[3:4], v[3:4], v[8:9]
	s_wait_loadcnt 0x0
	s_delay_alu instid0(VALU_DEP_2) | instskip(NEXT) | instid1(VALU_DEP_2)
	v_add_f64_e64 v[1:2], v[10:11], -v[1:2]
	v_add_f64_e64 v[3:4], v[12:13], -v[3:4]
	scratch_store_b128 off, v[1:4], off offset:496
	v_cmpx_lt_u32_e32 29, v0
	s_cbranch_execz .LBB40_201
; %bb.200:
	scratch_load_b128 v[1:4], off, s11
	v_mov_b32_e32 v5, 0
	s_delay_alu instid0(VALU_DEP_1)
	v_dual_mov_b32 v6, v5 :: v_dual_mov_b32 v7, v5
	v_mov_b32_e32 v8, v5
	scratch_store_b128 off, v[5:8], off offset:480
	s_wait_loadcnt 0x0
	ds_store_b128 v128, v[1:4]
.LBB40_201:
	s_wait_alu 0xfffe
	s_or_b32 exec_lo, exec_lo, s0
	s_wait_storecnt_dscnt 0x0
	s_barrier_signal -1
	s_barrier_wait -1
	global_inv scope:SCOPE_SE
	s_clause 0x7
	scratch_load_b128 v[2:5], off, off offset:496
	scratch_load_b128 v[6:9], off, off offset:512
	;; [unrolled: 1-line block ×8, first 2 shown]
	v_mov_b32_e32 v1, 0
	s_clause 0x1
	scratch_load_b128 v[38:41], off, off offset:624
	scratch_load_b128 v[129:132], off, off offset:640
	s_mov_b32 s0, exec_lo
	ds_load_b128 v[34:37], v1 offset:1136
	ds_load_b128 v[42:45], v1 offset:1152
	s_wait_loadcnt_dscnt 0x901
	v_mul_f64_e32 v[133:134], v[36:37], v[4:5]
	v_mul_f64_e32 v[4:5], v[34:35], v[4:5]
	s_wait_loadcnt_dscnt 0x800
	v_mul_f64_e32 v[135:136], v[42:43], v[8:9]
	v_mul_f64_e32 v[8:9], v[44:45], v[8:9]
	s_delay_alu instid0(VALU_DEP_4) | instskip(NEXT) | instid1(VALU_DEP_4)
	v_fma_f64 v[133:134], v[34:35], v[2:3], -v[133:134]
	v_fma_f64 v[137:138], v[36:37], v[2:3], v[4:5]
	ds_load_b128 v[2:5], v1 offset:1168
	scratch_load_b128 v[34:37], off, off offset:656
	v_fma_f64 v[44:45], v[44:45], v[6:7], v[135:136]
	v_fma_f64 v[42:43], v[42:43], v[6:7], -v[8:9]
	ds_load_b128 v[6:9], v1 offset:1184
	s_wait_loadcnt_dscnt 0x801
	v_mul_f64_e32 v[139:140], v[2:3], v[12:13]
	v_mul_f64_e32 v[12:13], v[4:5], v[12:13]
	v_add_f64_e32 v[133:134], 0, v[133:134]
	v_add_f64_e32 v[135:136], 0, v[137:138]
	s_wait_loadcnt_dscnt 0x700
	v_mul_f64_e32 v[137:138], v[6:7], v[16:17]
	v_mul_f64_e32 v[16:17], v[8:9], v[16:17]
	v_fma_f64 v[139:140], v[4:5], v[10:11], v[139:140]
	v_fma_f64 v[10:11], v[2:3], v[10:11], -v[12:13]
	ds_load_b128 v[2:5], v1 offset:1200
	v_add_f64_e32 v[12:13], v[133:134], v[42:43]
	v_add_f64_e32 v[42:43], v[135:136], v[44:45]
	v_fma_f64 v[133:134], v[8:9], v[14:15], v[137:138]
	v_fma_f64 v[14:15], v[6:7], v[14:15], -v[16:17]
	ds_load_b128 v[6:9], v1 offset:1216
	s_wait_loadcnt_dscnt 0x601
	v_mul_f64_e32 v[44:45], v[2:3], v[20:21]
	v_mul_f64_e32 v[20:21], v[4:5], v[20:21]
	s_wait_loadcnt_dscnt 0x500
	v_mul_f64_e32 v[135:136], v[6:7], v[24:25]
	v_mul_f64_e32 v[24:25], v[8:9], v[24:25]
	v_add_f64_e32 v[16:17], v[12:13], v[10:11]
	v_add_f64_e32 v[42:43], v[42:43], v[139:140]
	scratch_load_b128 v[10:13], off, off offset:480
	v_fma_f64 v[44:45], v[4:5], v[18:19], v[44:45]
	v_fma_f64 v[18:19], v[2:3], v[18:19], -v[20:21]
	ds_load_b128 v[2:5], v1 offset:1232
	v_add_f64_e32 v[14:15], v[16:17], v[14:15]
	v_add_f64_e32 v[16:17], v[42:43], v[133:134]
	v_fma_f64 v[42:43], v[8:9], v[22:23], v[135:136]
	v_fma_f64 v[22:23], v[6:7], v[22:23], -v[24:25]
	ds_load_b128 v[6:9], v1 offset:1248
	s_wait_loadcnt_dscnt 0x501
	v_mul_f64_e32 v[20:21], v[2:3], v[28:29]
	v_mul_f64_e32 v[28:29], v[4:5], v[28:29]
	s_wait_loadcnt_dscnt 0x400
	v_mul_f64_e32 v[24:25], v[8:9], v[32:33]
	v_add_f64_e32 v[14:15], v[14:15], v[18:19]
	v_add_f64_e32 v[16:17], v[16:17], v[44:45]
	v_mul_f64_e32 v[18:19], v[6:7], v[32:33]
	v_fma_f64 v[20:21], v[4:5], v[26:27], v[20:21]
	v_fma_f64 v[26:27], v[2:3], v[26:27], -v[28:29]
	ds_load_b128 v[2:5], v1 offset:1264
	v_fma_f64 v[24:25], v[6:7], v[30:31], -v[24:25]
	v_add_f64_e32 v[14:15], v[14:15], v[22:23]
	v_add_f64_e32 v[16:17], v[16:17], v[42:43]
	v_fma_f64 v[18:19], v[8:9], v[30:31], v[18:19]
	ds_load_b128 v[6:9], v1 offset:1280
	s_wait_loadcnt_dscnt 0x301
	v_mul_f64_e32 v[22:23], v[2:3], v[40:41]
	v_mul_f64_e32 v[28:29], v[4:5], v[40:41]
	v_add_f64_e32 v[14:15], v[14:15], v[26:27]
	v_add_f64_e32 v[16:17], v[16:17], v[20:21]
	s_wait_loadcnt_dscnt 0x200
	v_mul_f64_e32 v[20:21], v[6:7], v[131:132]
	v_mul_f64_e32 v[26:27], v[8:9], v[131:132]
	v_fma_f64 v[22:23], v[4:5], v[38:39], v[22:23]
	v_fma_f64 v[28:29], v[2:3], v[38:39], -v[28:29]
	ds_load_b128 v[2:5], v1 offset:1296
	v_add_f64_e32 v[14:15], v[14:15], v[24:25]
	v_add_f64_e32 v[16:17], v[16:17], v[18:19]
	v_fma_f64 v[8:9], v[8:9], v[129:130], v[20:21]
	v_fma_f64 v[6:7], v[6:7], v[129:130], -v[26:27]
	s_wait_loadcnt_dscnt 0x100
	v_mul_f64_e32 v[18:19], v[2:3], v[36:37]
	v_mul_f64_e32 v[24:25], v[4:5], v[36:37]
	v_add_f64_e32 v[14:15], v[14:15], v[28:29]
	v_add_f64_e32 v[16:17], v[16:17], v[22:23]
	s_delay_alu instid0(VALU_DEP_4) | instskip(NEXT) | instid1(VALU_DEP_4)
	v_fma_f64 v[4:5], v[4:5], v[34:35], v[18:19]
	v_fma_f64 v[2:3], v[2:3], v[34:35], -v[24:25]
	s_delay_alu instid0(VALU_DEP_4) | instskip(NEXT) | instid1(VALU_DEP_4)
	v_add_f64_e32 v[6:7], v[14:15], v[6:7]
	v_add_f64_e32 v[8:9], v[16:17], v[8:9]
	s_delay_alu instid0(VALU_DEP_2) | instskip(NEXT) | instid1(VALU_DEP_2)
	v_add_f64_e32 v[2:3], v[6:7], v[2:3]
	v_add_f64_e32 v[4:5], v[8:9], v[4:5]
	s_wait_loadcnt 0x0
	s_delay_alu instid0(VALU_DEP_2) | instskip(NEXT) | instid1(VALU_DEP_2)
	v_add_f64_e64 v[2:3], v[10:11], -v[2:3]
	v_add_f64_e64 v[4:5], v[12:13], -v[4:5]
	scratch_store_b128 off, v[2:5], off offset:480
	v_cmpx_lt_u32_e32 28, v0
	s_cbranch_execz .LBB40_203
; %bb.202:
	scratch_load_b128 v[5:8], off, s14
	v_dual_mov_b32 v2, v1 :: v_dual_mov_b32 v3, v1
	v_mov_b32_e32 v4, v1
	scratch_store_b128 off, v[1:4], off offset:464
	s_wait_loadcnt 0x0
	ds_store_b128 v128, v[5:8]
.LBB40_203:
	s_wait_alu 0xfffe
	s_or_b32 exec_lo, exec_lo, s0
	s_wait_storecnt_dscnt 0x0
	s_barrier_signal -1
	s_barrier_wait -1
	global_inv scope:SCOPE_SE
	s_clause 0x7
	scratch_load_b128 v[2:5], off, off offset:480
	scratch_load_b128 v[6:9], off, off offset:496
	;; [unrolled: 1-line block ×8, first 2 shown]
	ds_load_b128 v[34:37], v1 offset:1120
	ds_load_b128 v[42:45], v1 offset:1136
	s_clause 0x1
	scratch_load_b128 v[38:41], off, off offset:608
	scratch_load_b128 v[129:132], off, off offset:624
	s_mov_b32 s0, exec_lo
	s_wait_loadcnt_dscnt 0x901
	v_mul_f64_e32 v[133:134], v[36:37], v[4:5]
	v_mul_f64_e32 v[4:5], v[34:35], v[4:5]
	s_wait_loadcnt_dscnt 0x800
	v_mul_f64_e32 v[135:136], v[42:43], v[8:9]
	v_mul_f64_e32 v[8:9], v[44:45], v[8:9]
	s_delay_alu instid0(VALU_DEP_4) | instskip(NEXT) | instid1(VALU_DEP_4)
	v_fma_f64 v[133:134], v[34:35], v[2:3], -v[133:134]
	v_fma_f64 v[137:138], v[36:37], v[2:3], v[4:5]
	ds_load_b128 v[2:5], v1 offset:1152
	scratch_load_b128 v[34:37], off, off offset:640
	v_fma_f64 v[135:136], v[44:45], v[6:7], v[135:136]
	v_fma_f64 v[141:142], v[42:43], v[6:7], -v[8:9]
	ds_load_b128 v[6:9], v1 offset:1168
	scratch_load_b128 v[42:45], off, off offset:656
	s_wait_loadcnt_dscnt 0x901
	v_mul_f64_e32 v[139:140], v[2:3], v[12:13]
	v_mul_f64_e32 v[12:13], v[4:5], v[12:13]
	s_wait_loadcnt_dscnt 0x800
	v_mul_f64_e32 v[143:144], v[6:7], v[16:17]
	v_mul_f64_e32 v[16:17], v[8:9], v[16:17]
	v_add_f64_e32 v[133:134], 0, v[133:134]
	v_add_f64_e32 v[137:138], 0, v[137:138]
	v_fma_f64 v[139:140], v[4:5], v[10:11], v[139:140]
	v_fma_f64 v[10:11], v[2:3], v[10:11], -v[12:13]
	ds_load_b128 v[2:5], v1 offset:1184
	v_add_f64_e32 v[12:13], v[133:134], v[141:142]
	v_add_f64_e32 v[133:134], v[137:138], v[135:136]
	v_fma_f64 v[137:138], v[8:9], v[14:15], v[143:144]
	v_fma_f64 v[14:15], v[6:7], v[14:15], -v[16:17]
	ds_load_b128 v[6:9], v1 offset:1200
	s_wait_loadcnt_dscnt 0x701
	v_mul_f64_e32 v[135:136], v[2:3], v[20:21]
	v_mul_f64_e32 v[20:21], v[4:5], v[20:21]
	s_wait_loadcnt_dscnt 0x600
	v_mul_f64_e32 v[16:17], v[6:7], v[24:25]
	v_mul_f64_e32 v[24:25], v[8:9], v[24:25]
	v_add_f64_e32 v[10:11], v[12:13], v[10:11]
	v_add_f64_e32 v[12:13], v[133:134], v[139:140]
	v_fma_f64 v[133:134], v[4:5], v[18:19], v[135:136]
	v_fma_f64 v[18:19], v[2:3], v[18:19], -v[20:21]
	ds_load_b128 v[2:5], v1 offset:1216
	v_fma_f64 v[16:17], v[8:9], v[22:23], v[16:17]
	v_fma_f64 v[22:23], v[6:7], v[22:23], -v[24:25]
	ds_load_b128 v[6:9], v1 offset:1232
	s_wait_loadcnt_dscnt 0x501
	v_mul_f64_e32 v[135:136], v[2:3], v[28:29]
	v_mul_f64_e32 v[28:29], v[4:5], v[28:29]
	v_add_f64_e32 v[14:15], v[10:11], v[14:15]
	v_add_f64_e32 v[20:21], v[12:13], v[137:138]
	scratch_load_b128 v[10:13], off, off offset:464
	s_wait_loadcnt_dscnt 0x500
	v_mul_f64_e32 v[24:25], v[8:9], v[32:33]
	v_add_f64_e32 v[14:15], v[14:15], v[18:19]
	v_add_f64_e32 v[18:19], v[20:21], v[133:134]
	v_mul_f64_e32 v[20:21], v[6:7], v[32:33]
	v_fma_f64 v[32:33], v[4:5], v[26:27], v[135:136]
	v_fma_f64 v[26:27], v[2:3], v[26:27], -v[28:29]
	ds_load_b128 v[2:5], v1 offset:1248
	v_fma_f64 v[24:25], v[6:7], v[30:31], -v[24:25]
	v_add_f64_e32 v[14:15], v[14:15], v[22:23]
	v_add_f64_e32 v[16:17], v[18:19], v[16:17]
	v_fma_f64 v[20:21], v[8:9], v[30:31], v[20:21]
	ds_load_b128 v[6:9], v1 offset:1264
	s_wait_loadcnt_dscnt 0x401
	v_mul_f64_e32 v[18:19], v[2:3], v[40:41]
	v_mul_f64_e32 v[22:23], v[4:5], v[40:41]
	s_wait_loadcnt_dscnt 0x300
	v_mul_f64_e32 v[28:29], v[8:9], v[131:132]
	v_add_f64_e32 v[14:15], v[14:15], v[26:27]
	v_add_f64_e32 v[16:17], v[16:17], v[32:33]
	v_mul_f64_e32 v[26:27], v[6:7], v[131:132]
	v_fma_f64 v[18:19], v[4:5], v[38:39], v[18:19]
	v_fma_f64 v[22:23], v[2:3], v[38:39], -v[22:23]
	ds_load_b128 v[2:5], v1 offset:1280
	v_fma_f64 v[28:29], v[6:7], v[129:130], -v[28:29]
	v_add_f64_e32 v[14:15], v[14:15], v[24:25]
	v_add_f64_e32 v[16:17], v[16:17], v[20:21]
	v_fma_f64 v[26:27], v[8:9], v[129:130], v[26:27]
	ds_load_b128 v[6:9], v1 offset:1296
	s_wait_loadcnt_dscnt 0x201
	v_mul_f64_e32 v[20:21], v[2:3], v[36:37]
	v_mul_f64_e32 v[24:25], v[4:5], v[36:37]
	v_add_f64_e32 v[14:15], v[14:15], v[22:23]
	v_add_f64_e32 v[16:17], v[16:17], v[18:19]
	s_wait_loadcnt_dscnt 0x100
	v_mul_f64_e32 v[18:19], v[6:7], v[44:45]
	v_mul_f64_e32 v[22:23], v[8:9], v[44:45]
	v_fma_f64 v[4:5], v[4:5], v[34:35], v[20:21]
	v_fma_f64 v[1:2], v[2:3], v[34:35], -v[24:25]
	v_add_f64_e32 v[14:15], v[14:15], v[28:29]
	v_add_f64_e32 v[16:17], v[16:17], v[26:27]
	v_fma_f64 v[8:9], v[8:9], v[42:43], v[18:19]
	v_fma_f64 v[6:7], v[6:7], v[42:43], -v[22:23]
	s_delay_alu instid0(VALU_DEP_4) | instskip(NEXT) | instid1(VALU_DEP_4)
	v_add_f64_e32 v[1:2], v[14:15], v[1:2]
	v_add_f64_e32 v[3:4], v[16:17], v[4:5]
	s_delay_alu instid0(VALU_DEP_2) | instskip(NEXT) | instid1(VALU_DEP_2)
	v_add_f64_e32 v[1:2], v[1:2], v[6:7]
	v_add_f64_e32 v[3:4], v[3:4], v[8:9]
	s_wait_loadcnt 0x0
	s_delay_alu instid0(VALU_DEP_2) | instskip(NEXT) | instid1(VALU_DEP_2)
	v_add_f64_e64 v[1:2], v[10:11], -v[1:2]
	v_add_f64_e64 v[3:4], v[12:13], -v[3:4]
	scratch_store_b128 off, v[1:4], off offset:464
	v_cmpx_lt_u32_e32 27, v0
	s_cbranch_execz .LBB40_205
; %bb.204:
	scratch_load_b128 v[1:4], off, s19
	v_mov_b32_e32 v5, 0
	s_delay_alu instid0(VALU_DEP_1)
	v_dual_mov_b32 v6, v5 :: v_dual_mov_b32 v7, v5
	v_mov_b32_e32 v8, v5
	scratch_store_b128 off, v[5:8], off offset:448
	s_wait_loadcnt 0x0
	ds_store_b128 v128, v[1:4]
.LBB40_205:
	s_wait_alu 0xfffe
	s_or_b32 exec_lo, exec_lo, s0
	s_wait_storecnt_dscnt 0x0
	s_barrier_signal -1
	s_barrier_wait -1
	global_inv scope:SCOPE_SE
	s_clause 0x7
	scratch_load_b128 v[2:5], off, off offset:464
	scratch_load_b128 v[6:9], off, off offset:480
	;; [unrolled: 1-line block ×8, first 2 shown]
	v_mov_b32_e32 v1, 0
	s_mov_b32 s0, exec_lo
	ds_load_b128 v[34:37], v1 offset:1104
	s_clause 0x1
	scratch_load_b128 v[38:41], off, off offset:592
	scratch_load_b128 v[42:45], off, off offset:448
	ds_load_b128 v[129:132], v1 offset:1120
	scratch_load_b128 v[133:136], off, off offset:608
	s_wait_loadcnt_dscnt 0xa01
	v_mul_f64_e32 v[137:138], v[36:37], v[4:5]
	v_mul_f64_e32 v[4:5], v[34:35], v[4:5]
	s_delay_alu instid0(VALU_DEP_2) | instskip(NEXT) | instid1(VALU_DEP_2)
	v_fma_f64 v[143:144], v[34:35], v[2:3], -v[137:138]
	v_fma_f64 v[145:146], v[36:37], v[2:3], v[4:5]
	ds_load_b128 v[2:5], v1 offset:1136
	s_wait_loadcnt_dscnt 0x901
	v_mul_f64_e32 v[141:142], v[129:130], v[8:9]
	v_mul_f64_e32 v[8:9], v[131:132], v[8:9]
	scratch_load_b128 v[34:37], off, off offset:624
	ds_load_b128 v[137:140], v1 offset:1152
	s_wait_loadcnt_dscnt 0x901
	v_mul_f64_e32 v[147:148], v[2:3], v[12:13]
	v_mul_f64_e32 v[12:13], v[4:5], v[12:13]
	v_fma_f64 v[131:132], v[131:132], v[6:7], v[141:142]
	v_fma_f64 v[129:130], v[129:130], v[6:7], -v[8:9]
	v_add_f64_e32 v[141:142], 0, v[143:144]
	v_add_f64_e32 v[143:144], 0, v[145:146]
	scratch_load_b128 v[6:9], off, off offset:640
	v_fma_f64 v[147:148], v[4:5], v[10:11], v[147:148]
	v_fma_f64 v[149:150], v[2:3], v[10:11], -v[12:13]
	ds_load_b128 v[2:5], v1 offset:1168
	s_wait_loadcnt_dscnt 0x901
	v_mul_f64_e32 v[145:146], v[137:138], v[16:17]
	v_mul_f64_e32 v[16:17], v[139:140], v[16:17]
	scratch_load_b128 v[10:13], off, off offset:656
	v_add_f64_e32 v[141:142], v[141:142], v[129:130]
	v_add_f64_e32 v[143:144], v[143:144], v[131:132]
	s_wait_loadcnt_dscnt 0x900
	v_mul_f64_e32 v[151:152], v[2:3], v[20:21]
	v_mul_f64_e32 v[20:21], v[4:5], v[20:21]
	ds_load_b128 v[129:132], v1 offset:1184
	v_fma_f64 v[139:140], v[139:140], v[14:15], v[145:146]
	v_fma_f64 v[14:15], v[137:138], v[14:15], -v[16:17]
	v_add_f64_e32 v[16:17], v[141:142], v[149:150]
	v_add_f64_e32 v[137:138], v[143:144], v[147:148]
	s_wait_loadcnt_dscnt 0x800
	v_mul_f64_e32 v[141:142], v[129:130], v[24:25]
	v_mul_f64_e32 v[24:25], v[131:132], v[24:25]
	v_fma_f64 v[143:144], v[4:5], v[18:19], v[151:152]
	v_fma_f64 v[18:19], v[2:3], v[18:19], -v[20:21]
	v_add_f64_e32 v[20:21], v[16:17], v[14:15]
	v_add_f64_e32 v[137:138], v[137:138], v[139:140]
	ds_load_b128 v[2:5], v1 offset:1200
	ds_load_b128 v[14:17], v1 offset:1216
	v_fma_f64 v[131:132], v[131:132], v[22:23], v[141:142]
	v_fma_f64 v[22:23], v[129:130], v[22:23], -v[24:25]
	s_wait_loadcnt_dscnt 0x701
	v_mul_f64_e32 v[139:140], v[2:3], v[28:29]
	v_mul_f64_e32 v[28:29], v[4:5], v[28:29]
	s_wait_loadcnt_dscnt 0x600
	v_mul_f64_e32 v[24:25], v[14:15], v[32:33]
	v_mul_f64_e32 v[32:33], v[16:17], v[32:33]
	v_add_f64_e32 v[18:19], v[20:21], v[18:19]
	v_add_f64_e32 v[20:21], v[137:138], v[143:144]
	v_fma_f64 v[129:130], v[4:5], v[26:27], v[139:140]
	v_fma_f64 v[26:27], v[2:3], v[26:27], -v[28:29]
	v_fma_f64 v[16:17], v[16:17], v[30:31], v[24:25]
	v_fma_f64 v[14:15], v[14:15], v[30:31], -v[32:33]
	v_add_f64_e32 v[22:23], v[18:19], v[22:23]
	v_add_f64_e32 v[28:29], v[20:21], v[131:132]
	ds_load_b128 v[2:5], v1 offset:1232
	ds_load_b128 v[18:21], v1 offset:1248
	s_wait_loadcnt_dscnt 0x501
	v_mul_f64_e32 v[131:132], v[2:3], v[40:41]
	v_mul_f64_e32 v[40:41], v[4:5], v[40:41]
	v_add_f64_e32 v[22:23], v[22:23], v[26:27]
	v_add_f64_e32 v[24:25], v[28:29], v[129:130]
	s_wait_loadcnt_dscnt 0x300
	v_mul_f64_e32 v[26:27], v[18:19], v[135:136]
	v_mul_f64_e32 v[28:29], v[20:21], v[135:136]
	v_fma_f64 v[30:31], v[4:5], v[38:39], v[131:132]
	v_fma_f64 v[32:33], v[2:3], v[38:39], -v[40:41]
	v_add_f64_e32 v[22:23], v[22:23], v[14:15]
	v_add_f64_e32 v[24:25], v[24:25], v[16:17]
	ds_load_b128 v[2:5], v1 offset:1264
	ds_load_b128 v[14:17], v1 offset:1280
	v_fma_f64 v[20:21], v[20:21], v[133:134], v[26:27]
	v_fma_f64 v[18:19], v[18:19], v[133:134], -v[28:29]
	s_wait_loadcnt_dscnt 0x201
	v_mul_f64_e32 v[38:39], v[2:3], v[36:37]
	v_mul_f64_e32 v[36:37], v[4:5], v[36:37]
	v_add_f64_e32 v[22:23], v[22:23], v[32:33]
	v_add_f64_e32 v[24:25], v[24:25], v[30:31]
	s_wait_loadcnt_dscnt 0x100
	v_mul_f64_e32 v[26:27], v[14:15], v[8:9]
	v_mul_f64_e32 v[8:9], v[16:17], v[8:9]
	v_fma_f64 v[28:29], v[4:5], v[34:35], v[38:39]
	v_fma_f64 v[30:31], v[2:3], v[34:35], -v[36:37]
	ds_load_b128 v[2:5], v1 offset:1296
	v_add_f64_e32 v[18:19], v[22:23], v[18:19]
	v_add_f64_e32 v[20:21], v[24:25], v[20:21]
	s_wait_loadcnt_dscnt 0x0
	v_mul_f64_e32 v[22:23], v[2:3], v[12:13]
	v_mul_f64_e32 v[12:13], v[4:5], v[12:13]
	v_fma_f64 v[16:17], v[16:17], v[6:7], v[26:27]
	v_fma_f64 v[6:7], v[14:15], v[6:7], -v[8:9]
	v_add_f64_e32 v[8:9], v[18:19], v[30:31]
	v_add_f64_e32 v[14:15], v[20:21], v[28:29]
	v_fma_f64 v[4:5], v[4:5], v[10:11], v[22:23]
	v_fma_f64 v[2:3], v[2:3], v[10:11], -v[12:13]
	s_delay_alu instid0(VALU_DEP_4) | instskip(NEXT) | instid1(VALU_DEP_4)
	v_add_f64_e32 v[6:7], v[8:9], v[6:7]
	v_add_f64_e32 v[8:9], v[14:15], v[16:17]
	s_delay_alu instid0(VALU_DEP_2) | instskip(NEXT) | instid1(VALU_DEP_2)
	v_add_f64_e32 v[2:3], v[6:7], v[2:3]
	v_add_f64_e32 v[4:5], v[8:9], v[4:5]
	s_delay_alu instid0(VALU_DEP_2) | instskip(NEXT) | instid1(VALU_DEP_2)
	v_add_f64_e64 v[2:3], v[42:43], -v[2:3]
	v_add_f64_e64 v[4:5], v[44:45], -v[4:5]
	scratch_store_b128 off, v[2:5], off offset:448
	v_cmpx_lt_u32_e32 26, v0
	s_cbranch_execz .LBB40_207
; %bb.206:
	scratch_load_b128 v[5:8], off, s23
	v_dual_mov_b32 v2, v1 :: v_dual_mov_b32 v3, v1
	v_mov_b32_e32 v4, v1
	scratch_store_b128 off, v[1:4], off offset:432
	s_wait_loadcnt 0x0
	ds_store_b128 v128, v[5:8]
.LBB40_207:
	s_wait_alu 0xfffe
	s_or_b32 exec_lo, exec_lo, s0
	s_wait_storecnt_dscnt 0x0
	s_barrier_signal -1
	s_barrier_wait -1
	global_inv scope:SCOPE_SE
	s_clause 0x8
	scratch_load_b128 v[2:5], off, off offset:448
	scratch_load_b128 v[6:9], off, off offset:464
	;; [unrolled: 1-line block ×9, first 2 shown]
	ds_load_b128 v[38:41], v1 offset:1088
	ds_load_b128 v[42:45], v1 offset:1104
	s_clause 0x1
	scratch_load_b128 v[129:132], off, off offset:432
	scratch_load_b128 v[133:136], off, off offset:592
	s_mov_b32 s0, exec_lo
	s_wait_loadcnt_dscnt 0xa01
	v_mul_f64_e32 v[137:138], v[40:41], v[4:5]
	v_mul_f64_e32 v[4:5], v[38:39], v[4:5]
	s_wait_loadcnt_dscnt 0x900
	v_mul_f64_e32 v[141:142], v[42:43], v[8:9]
	v_mul_f64_e32 v[8:9], v[44:45], v[8:9]
	s_delay_alu instid0(VALU_DEP_4) | instskip(NEXT) | instid1(VALU_DEP_4)
	v_fma_f64 v[143:144], v[38:39], v[2:3], -v[137:138]
	v_fma_f64 v[145:146], v[40:41], v[2:3], v[4:5]
	ds_load_b128 v[2:5], v1 offset:1120
	ds_load_b128 v[137:140], v1 offset:1136
	scratch_load_b128 v[38:41], off, off offset:608
	v_fma_f64 v[44:45], v[44:45], v[6:7], v[141:142]
	v_fma_f64 v[42:43], v[42:43], v[6:7], -v[8:9]
	scratch_load_b128 v[6:9], off, off offset:624
	s_wait_loadcnt_dscnt 0xa01
	v_mul_f64_e32 v[147:148], v[2:3], v[12:13]
	v_mul_f64_e32 v[12:13], v[4:5], v[12:13]
	v_add_f64_e32 v[141:142], 0, v[143:144]
	v_add_f64_e32 v[143:144], 0, v[145:146]
	s_wait_loadcnt_dscnt 0x900
	v_mul_f64_e32 v[145:146], v[137:138], v[16:17]
	v_mul_f64_e32 v[16:17], v[139:140], v[16:17]
	v_fma_f64 v[147:148], v[4:5], v[10:11], v[147:148]
	v_fma_f64 v[149:150], v[2:3], v[10:11], -v[12:13]
	ds_load_b128 v[2:5], v1 offset:1152
	scratch_load_b128 v[10:13], off, off offset:640
	v_add_f64_e32 v[141:142], v[141:142], v[42:43]
	v_add_f64_e32 v[143:144], v[143:144], v[44:45]
	ds_load_b128 v[42:45], v1 offset:1168
	v_fma_f64 v[139:140], v[139:140], v[14:15], v[145:146]
	v_fma_f64 v[137:138], v[137:138], v[14:15], -v[16:17]
	scratch_load_b128 v[14:17], off, off offset:656
	s_wait_loadcnt_dscnt 0xa01
	v_mul_f64_e32 v[151:152], v[2:3], v[20:21]
	v_mul_f64_e32 v[20:21], v[4:5], v[20:21]
	s_wait_loadcnt_dscnt 0x900
	v_mul_f64_e32 v[145:146], v[42:43], v[24:25]
	v_mul_f64_e32 v[24:25], v[44:45], v[24:25]
	v_add_f64_e32 v[141:142], v[141:142], v[149:150]
	v_add_f64_e32 v[143:144], v[143:144], v[147:148]
	v_fma_f64 v[147:148], v[4:5], v[18:19], v[151:152]
	v_fma_f64 v[149:150], v[2:3], v[18:19], -v[20:21]
	ds_load_b128 v[2:5], v1 offset:1184
	ds_load_b128 v[18:21], v1 offset:1200
	v_fma_f64 v[44:45], v[44:45], v[22:23], v[145:146]
	v_fma_f64 v[22:23], v[42:43], v[22:23], -v[24:25]
	v_add_f64_e32 v[137:138], v[141:142], v[137:138]
	v_add_f64_e32 v[139:140], v[143:144], v[139:140]
	s_wait_loadcnt_dscnt 0x801
	v_mul_f64_e32 v[141:142], v[2:3], v[28:29]
	v_mul_f64_e32 v[28:29], v[4:5], v[28:29]
	s_delay_alu instid0(VALU_DEP_4) | instskip(NEXT) | instid1(VALU_DEP_4)
	v_add_f64_e32 v[24:25], v[137:138], v[149:150]
	v_add_f64_e32 v[42:43], v[139:140], v[147:148]
	s_wait_loadcnt_dscnt 0x700
	v_mul_f64_e32 v[137:138], v[18:19], v[32:33]
	v_mul_f64_e32 v[32:33], v[20:21], v[32:33]
	v_fma_f64 v[139:140], v[4:5], v[26:27], v[141:142]
	v_fma_f64 v[26:27], v[2:3], v[26:27], -v[28:29]
	v_add_f64_e32 v[28:29], v[24:25], v[22:23]
	v_add_f64_e32 v[42:43], v[42:43], v[44:45]
	ds_load_b128 v[2:5], v1 offset:1216
	ds_load_b128 v[22:25], v1 offset:1232
	v_fma_f64 v[20:21], v[20:21], v[30:31], v[137:138]
	v_fma_f64 v[18:19], v[18:19], v[30:31], -v[32:33]
	s_wait_loadcnt_dscnt 0x601
	v_mul_f64_e32 v[44:45], v[2:3], v[36:37]
	v_mul_f64_e32 v[36:37], v[4:5], v[36:37]
	s_wait_loadcnt_dscnt 0x400
	v_mul_f64_e32 v[30:31], v[22:23], v[135:136]
	v_mul_f64_e32 v[32:33], v[24:25], v[135:136]
	v_add_f64_e32 v[26:27], v[28:29], v[26:27]
	v_add_f64_e32 v[28:29], v[42:43], v[139:140]
	v_fma_f64 v[42:43], v[4:5], v[34:35], v[44:45]
	v_fma_f64 v[34:35], v[2:3], v[34:35], -v[36:37]
	v_fma_f64 v[24:25], v[24:25], v[133:134], v[30:31]
	v_fma_f64 v[22:23], v[22:23], v[133:134], -v[32:33]
	v_add_f64_e32 v[26:27], v[26:27], v[18:19]
	v_add_f64_e32 v[28:29], v[28:29], v[20:21]
	ds_load_b128 v[2:5], v1 offset:1248
	ds_load_b128 v[18:21], v1 offset:1264
	s_wait_loadcnt_dscnt 0x301
	v_mul_f64_e32 v[36:37], v[2:3], v[40:41]
	v_mul_f64_e32 v[40:41], v[4:5], v[40:41]
	s_wait_loadcnt_dscnt 0x200
	v_mul_f64_e32 v[30:31], v[18:19], v[8:9]
	v_mul_f64_e32 v[8:9], v[20:21], v[8:9]
	v_add_f64_e32 v[26:27], v[26:27], v[34:35]
	v_add_f64_e32 v[28:29], v[28:29], v[42:43]
	v_fma_f64 v[32:33], v[4:5], v[38:39], v[36:37]
	v_fma_f64 v[34:35], v[2:3], v[38:39], -v[40:41]
	v_fma_f64 v[20:21], v[20:21], v[6:7], v[30:31]
	v_fma_f64 v[6:7], v[18:19], v[6:7], -v[8:9]
	v_add_f64_e32 v[26:27], v[26:27], v[22:23]
	v_add_f64_e32 v[28:29], v[28:29], v[24:25]
	ds_load_b128 v[2:5], v1 offset:1280
	ds_load_b128 v[22:25], v1 offset:1296
	s_wait_loadcnt_dscnt 0x101
	v_mul_f64_e32 v[36:37], v[2:3], v[12:13]
	v_mul_f64_e32 v[12:13], v[4:5], v[12:13]
	v_add_f64_e32 v[8:9], v[26:27], v[34:35]
	v_add_f64_e32 v[18:19], v[28:29], v[32:33]
	s_wait_loadcnt_dscnt 0x0
	v_mul_f64_e32 v[26:27], v[22:23], v[16:17]
	v_mul_f64_e32 v[16:17], v[24:25], v[16:17]
	v_fma_f64 v[4:5], v[4:5], v[10:11], v[36:37]
	v_fma_f64 v[1:2], v[2:3], v[10:11], -v[12:13]
	v_add_f64_e32 v[6:7], v[8:9], v[6:7]
	v_add_f64_e32 v[8:9], v[18:19], v[20:21]
	v_fma_f64 v[10:11], v[24:25], v[14:15], v[26:27]
	v_fma_f64 v[12:13], v[22:23], v[14:15], -v[16:17]
	s_delay_alu instid0(VALU_DEP_4) | instskip(NEXT) | instid1(VALU_DEP_4)
	v_add_f64_e32 v[1:2], v[6:7], v[1:2]
	v_add_f64_e32 v[3:4], v[8:9], v[4:5]
	s_delay_alu instid0(VALU_DEP_2) | instskip(NEXT) | instid1(VALU_DEP_2)
	v_add_f64_e32 v[1:2], v[1:2], v[12:13]
	v_add_f64_e32 v[3:4], v[3:4], v[10:11]
	s_delay_alu instid0(VALU_DEP_2) | instskip(NEXT) | instid1(VALU_DEP_2)
	v_add_f64_e64 v[1:2], v[129:130], -v[1:2]
	v_add_f64_e64 v[3:4], v[131:132], -v[3:4]
	scratch_store_b128 off, v[1:4], off offset:432
	v_cmpx_lt_u32_e32 25, v0
	s_cbranch_execz .LBB40_209
; %bb.208:
	scratch_load_b128 v[1:4], off, s24
	v_mov_b32_e32 v5, 0
	s_delay_alu instid0(VALU_DEP_1)
	v_dual_mov_b32 v6, v5 :: v_dual_mov_b32 v7, v5
	v_mov_b32_e32 v8, v5
	scratch_store_b128 off, v[5:8], off offset:416
	s_wait_loadcnt 0x0
	ds_store_b128 v128, v[1:4]
.LBB40_209:
	s_wait_alu 0xfffe
	s_or_b32 exec_lo, exec_lo, s0
	s_wait_storecnt_dscnt 0x0
	s_barrier_signal -1
	s_barrier_wait -1
	global_inv scope:SCOPE_SE
	s_clause 0x7
	scratch_load_b128 v[2:5], off, off offset:432
	scratch_load_b128 v[6:9], off, off offset:448
	;; [unrolled: 1-line block ×8, first 2 shown]
	v_mov_b32_e32 v1, 0
	s_mov_b32 s0, exec_lo
	ds_load_b128 v[34:37], v1 offset:1072
	s_clause 0x1
	scratch_load_b128 v[38:41], off, off offset:560
	scratch_load_b128 v[42:45], off, off offset:416
	ds_load_b128 v[129:132], v1 offset:1088
	scratch_load_b128 v[133:136], off, off offset:576
	s_wait_loadcnt_dscnt 0xa01
	v_mul_f64_e32 v[137:138], v[36:37], v[4:5]
	v_mul_f64_e32 v[4:5], v[34:35], v[4:5]
	s_delay_alu instid0(VALU_DEP_2) | instskip(NEXT) | instid1(VALU_DEP_2)
	v_fma_f64 v[143:144], v[34:35], v[2:3], -v[137:138]
	v_fma_f64 v[145:146], v[36:37], v[2:3], v[4:5]
	ds_load_b128 v[2:5], v1 offset:1104
	s_wait_loadcnt_dscnt 0x901
	v_mul_f64_e32 v[141:142], v[129:130], v[8:9]
	v_mul_f64_e32 v[8:9], v[131:132], v[8:9]
	scratch_load_b128 v[34:37], off, off offset:592
	ds_load_b128 v[137:140], v1 offset:1120
	s_wait_loadcnt_dscnt 0x901
	v_mul_f64_e32 v[147:148], v[2:3], v[12:13]
	v_mul_f64_e32 v[12:13], v[4:5], v[12:13]
	v_fma_f64 v[131:132], v[131:132], v[6:7], v[141:142]
	v_fma_f64 v[129:130], v[129:130], v[6:7], -v[8:9]
	v_add_f64_e32 v[141:142], 0, v[143:144]
	v_add_f64_e32 v[143:144], 0, v[145:146]
	scratch_load_b128 v[6:9], off, off offset:608
	v_fma_f64 v[147:148], v[4:5], v[10:11], v[147:148]
	v_fma_f64 v[149:150], v[2:3], v[10:11], -v[12:13]
	ds_load_b128 v[2:5], v1 offset:1136
	s_wait_loadcnt_dscnt 0x901
	v_mul_f64_e32 v[145:146], v[137:138], v[16:17]
	v_mul_f64_e32 v[16:17], v[139:140], v[16:17]
	scratch_load_b128 v[10:13], off, off offset:624
	v_add_f64_e32 v[141:142], v[141:142], v[129:130]
	v_add_f64_e32 v[143:144], v[143:144], v[131:132]
	s_wait_loadcnt_dscnt 0x900
	v_mul_f64_e32 v[151:152], v[2:3], v[20:21]
	v_mul_f64_e32 v[20:21], v[4:5], v[20:21]
	ds_load_b128 v[129:132], v1 offset:1152
	v_fma_f64 v[139:140], v[139:140], v[14:15], v[145:146]
	v_fma_f64 v[137:138], v[137:138], v[14:15], -v[16:17]
	scratch_load_b128 v[14:17], off, off offset:640
	v_add_f64_e32 v[141:142], v[141:142], v[149:150]
	v_add_f64_e32 v[143:144], v[143:144], v[147:148]
	v_fma_f64 v[147:148], v[4:5], v[18:19], v[151:152]
	v_fma_f64 v[149:150], v[2:3], v[18:19], -v[20:21]
	ds_load_b128 v[2:5], v1 offset:1168
	s_wait_loadcnt_dscnt 0x901
	v_mul_f64_e32 v[145:146], v[129:130], v[24:25]
	v_mul_f64_e32 v[24:25], v[131:132], v[24:25]
	scratch_load_b128 v[18:21], off, off offset:656
	s_wait_loadcnt_dscnt 0x900
	v_mul_f64_e32 v[151:152], v[2:3], v[28:29]
	v_mul_f64_e32 v[28:29], v[4:5], v[28:29]
	v_add_f64_e32 v[141:142], v[141:142], v[137:138]
	v_add_f64_e32 v[143:144], v[143:144], v[139:140]
	ds_load_b128 v[137:140], v1 offset:1184
	v_fma_f64 v[131:132], v[131:132], v[22:23], v[145:146]
	v_fma_f64 v[22:23], v[129:130], v[22:23], -v[24:25]
	v_add_f64_e32 v[24:25], v[141:142], v[149:150]
	v_add_f64_e32 v[129:130], v[143:144], v[147:148]
	s_wait_loadcnt_dscnt 0x800
	v_mul_f64_e32 v[141:142], v[137:138], v[32:33]
	v_mul_f64_e32 v[32:33], v[139:140], v[32:33]
	v_fma_f64 v[143:144], v[4:5], v[26:27], v[151:152]
	v_fma_f64 v[26:27], v[2:3], v[26:27], -v[28:29]
	v_add_f64_e32 v[28:29], v[24:25], v[22:23]
	v_add_f64_e32 v[129:130], v[129:130], v[131:132]
	ds_load_b128 v[2:5], v1 offset:1200
	ds_load_b128 v[22:25], v1 offset:1216
	v_fma_f64 v[139:140], v[139:140], v[30:31], v[141:142]
	v_fma_f64 v[30:31], v[137:138], v[30:31], -v[32:33]
	s_wait_loadcnt_dscnt 0x701
	v_mul_f64_e32 v[131:132], v[2:3], v[40:41]
	v_mul_f64_e32 v[40:41], v[4:5], v[40:41]
	s_wait_loadcnt_dscnt 0x500
	v_mul_f64_e32 v[32:33], v[22:23], v[135:136]
	v_add_f64_e32 v[26:27], v[28:29], v[26:27]
	v_add_f64_e32 v[28:29], v[129:130], v[143:144]
	v_mul_f64_e32 v[129:130], v[24:25], v[135:136]
	v_fma_f64 v[131:132], v[4:5], v[38:39], v[131:132]
	v_fma_f64 v[38:39], v[2:3], v[38:39], -v[40:41]
	v_fma_f64 v[24:25], v[24:25], v[133:134], v[32:33]
	v_add_f64_e32 v[30:31], v[26:27], v[30:31]
	v_add_f64_e32 v[40:41], v[28:29], v[139:140]
	ds_load_b128 v[2:5], v1 offset:1232
	ds_load_b128 v[26:29], v1 offset:1248
	v_fma_f64 v[22:23], v[22:23], v[133:134], -v[129:130]
	s_wait_loadcnt_dscnt 0x401
	v_mul_f64_e32 v[135:136], v[2:3], v[36:37]
	v_mul_f64_e32 v[36:37], v[4:5], v[36:37]
	v_add_f64_e32 v[30:31], v[30:31], v[38:39]
	v_add_f64_e32 v[32:33], v[40:41], v[131:132]
	s_wait_loadcnt_dscnt 0x300
	v_mul_f64_e32 v[38:39], v[26:27], v[8:9]
	v_mul_f64_e32 v[8:9], v[28:29], v[8:9]
	v_fma_f64 v[40:41], v[4:5], v[34:35], v[135:136]
	v_fma_f64 v[34:35], v[2:3], v[34:35], -v[36:37]
	v_add_f64_e32 v[30:31], v[30:31], v[22:23]
	v_add_f64_e32 v[32:33], v[32:33], v[24:25]
	ds_load_b128 v[2:5], v1 offset:1264
	ds_load_b128 v[22:25], v1 offset:1280
	v_fma_f64 v[28:29], v[28:29], v[6:7], v[38:39]
	v_fma_f64 v[6:7], v[26:27], v[6:7], -v[8:9]
	s_wait_loadcnt_dscnt 0x201
	v_mul_f64_e32 v[36:37], v[2:3], v[12:13]
	v_mul_f64_e32 v[12:13], v[4:5], v[12:13]
	v_add_f64_e32 v[8:9], v[30:31], v[34:35]
	v_add_f64_e32 v[26:27], v[32:33], v[40:41]
	s_wait_loadcnt_dscnt 0x100
	v_mul_f64_e32 v[30:31], v[22:23], v[16:17]
	v_mul_f64_e32 v[16:17], v[24:25], v[16:17]
	v_fma_f64 v[32:33], v[4:5], v[10:11], v[36:37]
	v_fma_f64 v[10:11], v[2:3], v[10:11], -v[12:13]
	ds_load_b128 v[2:5], v1 offset:1296
	v_add_f64_e32 v[6:7], v[8:9], v[6:7]
	v_add_f64_e32 v[8:9], v[26:27], v[28:29]
	v_fma_f64 v[24:25], v[24:25], v[14:15], v[30:31]
	v_fma_f64 v[14:15], v[22:23], v[14:15], -v[16:17]
	s_wait_loadcnt_dscnt 0x0
	v_mul_f64_e32 v[12:13], v[2:3], v[20:21]
	v_mul_f64_e32 v[20:21], v[4:5], v[20:21]
	v_add_f64_e32 v[6:7], v[6:7], v[10:11]
	v_add_f64_e32 v[8:9], v[8:9], v[32:33]
	s_delay_alu instid0(VALU_DEP_4) | instskip(NEXT) | instid1(VALU_DEP_4)
	v_fma_f64 v[4:5], v[4:5], v[18:19], v[12:13]
	v_fma_f64 v[2:3], v[2:3], v[18:19], -v[20:21]
	s_delay_alu instid0(VALU_DEP_4) | instskip(NEXT) | instid1(VALU_DEP_4)
	v_add_f64_e32 v[6:7], v[6:7], v[14:15]
	v_add_f64_e32 v[8:9], v[8:9], v[24:25]
	s_delay_alu instid0(VALU_DEP_2) | instskip(NEXT) | instid1(VALU_DEP_2)
	v_add_f64_e32 v[2:3], v[6:7], v[2:3]
	v_add_f64_e32 v[4:5], v[8:9], v[4:5]
	s_delay_alu instid0(VALU_DEP_2) | instskip(NEXT) | instid1(VALU_DEP_2)
	v_add_f64_e64 v[2:3], v[42:43], -v[2:3]
	v_add_f64_e64 v[4:5], v[44:45], -v[4:5]
	scratch_store_b128 off, v[2:5], off offset:416
	v_cmpx_lt_u32_e32 24, v0
	s_cbranch_execz .LBB40_211
; %bb.210:
	scratch_load_b128 v[5:8], off, s27
	v_dual_mov_b32 v2, v1 :: v_dual_mov_b32 v3, v1
	v_mov_b32_e32 v4, v1
	scratch_store_b128 off, v[1:4], off offset:400
	s_wait_loadcnt 0x0
	ds_store_b128 v128, v[5:8]
.LBB40_211:
	s_wait_alu 0xfffe
	s_or_b32 exec_lo, exec_lo, s0
	s_wait_storecnt_dscnt 0x0
	s_barrier_signal -1
	s_barrier_wait -1
	global_inv scope:SCOPE_SE
	s_clause 0x8
	scratch_load_b128 v[2:5], off, off offset:416
	scratch_load_b128 v[6:9], off, off offset:432
	;; [unrolled: 1-line block ×9, first 2 shown]
	ds_load_b128 v[38:41], v1 offset:1056
	ds_load_b128 v[42:45], v1 offset:1072
	s_clause 0x1
	scratch_load_b128 v[129:132], off, off offset:400
	scratch_load_b128 v[133:136], off, off offset:560
	s_mov_b32 s0, exec_lo
	s_wait_loadcnt_dscnt 0xa01
	v_mul_f64_e32 v[137:138], v[40:41], v[4:5]
	v_mul_f64_e32 v[4:5], v[38:39], v[4:5]
	s_wait_loadcnt_dscnt 0x900
	v_mul_f64_e32 v[141:142], v[42:43], v[8:9]
	v_mul_f64_e32 v[8:9], v[44:45], v[8:9]
	s_delay_alu instid0(VALU_DEP_4) | instskip(NEXT) | instid1(VALU_DEP_4)
	v_fma_f64 v[143:144], v[38:39], v[2:3], -v[137:138]
	v_fma_f64 v[145:146], v[40:41], v[2:3], v[4:5]
	ds_load_b128 v[2:5], v1 offset:1088
	ds_load_b128 v[137:140], v1 offset:1104
	scratch_load_b128 v[38:41], off, off offset:576
	v_fma_f64 v[44:45], v[44:45], v[6:7], v[141:142]
	v_fma_f64 v[42:43], v[42:43], v[6:7], -v[8:9]
	scratch_load_b128 v[6:9], off, off offset:592
	s_wait_loadcnt_dscnt 0xa01
	v_mul_f64_e32 v[147:148], v[2:3], v[12:13]
	v_mul_f64_e32 v[12:13], v[4:5], v[12:13]
	v_add_f64_e32 v[141:142], 0, v[143:144]
	v_add_f64_e32 v[143:144], 0, v[145:146]
	s_wait_loadcnt_dscnt 0x900
	v_mul_f64_e32 v[145:146], v[137:138], v[16:17]
	v_mul_f64_e32 v[16:17], v[139:140], v[16:17]
	v_fma_f64 v[147:148], v[4:5], v[10:11], v[147:148]
	v_fma_f64 v[149:150], v[2:3], v[10:11], -v[12:13]
	ds_load_b128 v[2:5], v1 offset:1120
	scratch_load_b128 v[10:13], off, off offset:608
	v_add_f64_e32 v[141:142], v[141:142], v[42:43]
	v_add_f64_e32 v[143:144], v[143:144], v[44:45]
	ds_load_b128 v[42:45], v1 offset:1136
	v_fma_f64 v[139:140], v[139:140], v[14:15], v[145:146]
	v_fma_f64 v[137:138], v[137:138], v[14:15], -v[16:17]
	scratch_load_b128 v[14:17], off, off offset:624
	s_wait_loadcnt_dscnt 0xa01
	v_mul_f64_e32 v[151:152], v[2:3], v[20:21]
	v_mul_f64_e32 v[20:21], v[4:5], v[20:21]
	s_wait_loadcnt_dscnt 0x900
	v_mul_f64_e32 v[145:146], v[42:43], v[24:25]
	v_mul_f64_e32 v[24:25], v[44:45], v[24:25]
	v_add_f64_e32 v[141:142], v[141:142], v[149:150]
	v_add_f64_e32 v[143:144], v[143:144], v[147:148]
	v_fma_f64 v[147:148], v[4:5], v[18:19], v[151:152]
	v_fma_f64 v[149:150], v[2:3], v[18:19], -v[20:21]
	ds_load_b128 v[2:5], v1 offset:1152
	scratch_load_b128 v[18:21], off, off offset:640
	v_fma_f64 v[44:45], v[44:45], v[22:23], v[145:146]
	v_fma_f64 v[42:43], v[42:43], v[22:23], -v[24:25]
	scratch_load_b128 v[22:25], off, off offset:656
	v_add_f64_e32 v[141:142], v[141:142], v[137:138]
	v_add_f64_e32 v[143:144], v[143:144], v[139:140]
	ds_load_b128 v[137:140], v1 offset:1168
	s_wait_loadcnt_dscnt 0xa01
	v_mul_f64_e32 v[151:152], v[2:3], v[28:29]
	v_mul_f64_e32 v[28:29], v[4:5], v[28:29]
	s_wait_loadcnt_dscnt 0x900
	v_mul_f64_e32 v[145:146], v[137:138], v[32:33]
	v_mul_f64_e32 v[32:33], v[139:140], v[32:33]
	v_add_f64_e32 v[141:142], v[141:142], v[149:150]
	v_add_f64_e32 v[143:144], v[143:144], v[147:148]
	v_fma_f64 v[147:148], v[4:5], v[26:27], v[151:152]
	v_fma_f64 v[149:150], v[2:3], v[26:27], -v[28:29]
	ds_load_b128 v[2:5], v1 offset:1184
	ds_load_b128 v[26:29], v1 offset:1200
	v_fma_f64 v[139:140], v[139:140], v[30:31], v[145:146]
	v_fma_f64 v[30:31], v[137:138], v[30:31], -v[32:33]
	v_add_f64_e32 v[42:43], v[141:142], v[42:43]
	v_add_f64_e32 v[44:45], v[143:144], v[44:45]
	s_wait_loadcnt_dscnt 0x801
	v_mul_f64_e32 v[141:142], v[2:3], v[36:37]
	v_mul_f64_e32 v[36:37], v[4:5], v[36:37]
	s_delay_alu instid0(VALU_DEP_4) | instskip(NEXT) | instid1(VALU_DEP_4)
	v_add_f64_e32 v[32:33], v[42:43], v[149:150]
	v_add_f64_e32 v[42:43], v[44:45], v[147:148]
	s_wait_loadcnt_dscnt 0x600
	v_mul_f64_e32 v[44:45], v[26:27], v[135:136]
	v_mul_f64_e32 v[135:136], v[28:29], v[135:136]
	v_fma_f64 v[137:138], v[4:5], v[34:35], v[141:142]
	v_fma_f64 v[34:35], v[2:3], v[34:35], -v[36:37]
	v_add_f64_e32 v[36:37], v[32:33], v[30:31]
	v_add_f64_e32 v[42:43], v[42:43], v[139:140]
	ds_load_b128 v[2:5], v1 offset:1216
	ds_load_b128 v[30:33], v1 offset:1232
	v_fma_f64 v[28:29], v[28:29], v[133:134], v[44:45]
	v_fma_f64 v[26:27], v[26:27], v[133:134], -v[135:136]
	s_wait_loadcnt_dscnt 0x501
	v_mul_f64_e32 v[139:140], v[2:3], v[40:41]
	v_mul_f64_e32 v[40:41], v[4:5], v[40:41]
	v_add_f64_e32 v[34:35], v[36:37], v[34:35]
	v_add_f64_e32 v[36:37], v[42:43], v[137:138]
	s_wait_loadcnt_dscnt 0x400
	v_mul_f64_e32 v[42:43], v[30:31], v[8:9]
	v_mul_f64_e32 v[8:9], v[32:33], v[8:9]
	v_fma_f64 v[44:45], v[4:5], v[38:39], v[139:140]
	v_fma_f64 v[38:39], v[2:3], v[38:39], -v[40:41]
	v_add_f64_e32 v[34:35], v[34:35], v[26:27]
	v_add_f64_e32 v[36:37], v[36:37], v[28:29]
	ds_load_b128 v[2:5], v1 offset:1248
	ds_load_b128 v[26:29], v1 offset:1264
	v_fma_f64 v[32:33], v[32:33], v[6:7], v[42:43]
	v_fma_f64 v[6:7], v[30:31], v[6:7], -v[8:9]
	s_wait_loadcnt_dscnt 0x301
	v_mul_f64_e32 v[40:41], v[2:3], v[12:13]
	v_mul_f64_e32 v[12:13], v[4:5], v[12:13]
	;; [unrolled: 16-line block ×3, first 2 shown]
	s_wait_loadcnt_dscnt 0x0
	v_mul_f64_e32 v[16:17], v[6:7], v[24:25]
	v_mul_f64_e32 v[24:25], v[8:9], v[24:25]
	v_add_f64_e32 v[10:11], v[12:13], v[10:11]
	v_add_f64_e32 v[12:13], v[30:31], v[36:37]
	v_fma_f64 v[4:5], v[4:5], v[18:19], v[32:33]
	v_fma_f64 v[1:2], v[2:3], v[18:19], -v[20:21]
	v_fma_f64 v[8:9], v[8:9], v[22:23], v[16:17]
	v_fma_f64 v[6:7], v[6:7], v[22:23], -v[24:25]
	v_add_f64_e32 v[10:11], v[10:11], v[14:15]
	v_add_f64_e32 v[12:13], v[12:13], v[28:29]
	s_delay_alu instid0(VALU_DEP_2) | instskip(NEXT) | instid1(VALU_DEP_2)
	v_add_f64_e32 v[1:2], v[10:11], v[1:2]
	v_add_f64_e32 v[3:4], v[12:13], v[4:5]
	s_delay_alu instid0(VALU_DEP_2) | instskip(NEXT) | instid1(VALU_DEP_2)
	;; [unrolled: 3-line block ×3, first 2 shown]
	v_add_f64_e64 v[1:2], v[129:130], -v[1:2]
	v_add_f64_e64 v[3:4], v[131:132], -v[3:4]
	scratch_store_b128 off, v[1:4], off offset:400
	v_cmpx_lt_u32_e32 23, v0
	s_cbranch_execz .LBB40_213
; %bb.212:
	scratch_load_b128 v[1:4], off, s29
	v_mov_b32_e32 v5, 0
	s_delay_alu instid0(VALU_DEP_1)
	v_dual_mov_b32 v6, v5 :: v_dual_mov_b32 v7, v5
	v_mov_b32_e32 v8, v5
	scratch_store_b128 off, v[5:8], off offset:384
	s_wait_loadcnt 0x0
	ds_store_b128 v128, v[1:4]
.LBB40_213:
	s_wait_alu 0xfffe
	s_or_b32 exec_lo, exec_lo, s0
	s_wait_storecnt_dscnt 0x0
	s_barrier_signal -1
	s_barrier_wait -1
	global_inv scope:SCOPE_SE
	s_clause 0x7
	scratch_load_b128 v[2:5], off, off offset:400
	scratch_load_b128 v[6:9], off, off offset:416
	;; [unrolled: 1-line block ×8, first 2 shown]
	v_mov_b32_e32 v1, 0
	s_mov_b32 s0, exec_lo
	ds_load_b128 v[34:37], v1 offset:1040
	s_clause 0x1
	scratch_load_b128 v[38:41], off, off offset:528
	scratch_load_b128 v[42:45], off, off offset:384
	ds_load_b128 v[129:132], v1 offset:1056
	scratch_load_b128 v[133:136], off, off offset:544
	s_wait_loadcnt_dscnt 0xa01
	v_mul_f64_e32 v[137:138], v[36:37], v[4:5]
	v_mul_f64_e32 v[4:5], v[34:35], v[4:5]
	s_delay_alu instid0(VALU_DEP_2) | instskip(NEXT) | instid1(VALU_DEP_2)
	v_fma_f64 v[143:144], v[34:35], v[2:3], -v[137:138]
	v_fma_f64 v[145:146], v[36:37], v[2:3], v[4:5]
	ds_load_b128 v[2:5], v1 offset:1072
	s_wait_loadcnt_dscnt 0x901
	v_mul_f64_e32 v[141:142], v[129:130], v[8:9]
	v_mul_f64_e32 v[8:9], v[131:132], v[8:9]
	scratch_load_b128 v[34:37], off, off offset:560
	ds_load_b128 v[137:140], v1 offset:1088
	s_wait_loadcnt_dscnt 0x901
	v_mul_f64_e32 v[147:148], v[2:3], v[12:13]
	v_mul_f64_e32 v[12:13], v[4:5], v[12:13]
	v_fma_f64 v[131:132], v[131:132], v[6:7], v[141:142]
	v_fma_f64 v[129:130], v[129:130], v[6:7], -v[8:9]
	v_add_f64_e32 v[141:142], 0, v[143:144]
	v_add_f64_e32 v[143:144], 0, v[145:146]
	scratch_load_b128 v[6:9], off, off offset:576
	v_fma_f64 v[147:148], v[4:5], v[10:11], v[147:148]
	v_fma_f64 v[149:150], v[2:3], v[10:11], -v[12:13]
	ds_load_b128 v[2:5], v1 offset:1104
	s_wait_loadcnt_dscnt 0x901
	v_mul_f64_e32 v[145:146], v[137:138], v[16:17]
	v_mul_f64_e32 v[16:17], v[139:140], v[16:17]
	scratch_load_b128 v[10:13], off, off offset:592
	v_add_f64_e32 v[141:142], v[141:142], v[129:130]
	v_add_f64_e32 v[143:144], v[143:144], v[131:132]
	s_wait_loadcnt_dscnt 0x900
	v_mul_f64_e32 v[151:152], v[2:3], v[20:21]
	v_mul_f64_e32 v[20:21], v[4:5], v[20:21]
	ds_load_b128 v[129:132], v1 offset:1120
	v_fma_f64 v[139:140], v[139:140], v[14:15], v[145:146]
	v_fma_f64 v[137:138], v[137:138], v[14:15], -v[16:17]
	scratch_load_b128 v[14:17], off, off offset:608
	v_add_f64_e32 v[141:142], v[141:142], v[149:150]
	v_add_f64_e32 v[143:144], v[143:144], v[147:148]
	v_fma_f64 v[147:148], v[4:5], v[18:19], v[151:152]
	v_fma_f64 v[149:150], v[2:3], v[18:19], -v[20:21]
	ds_load_b128 v[2:5], v1 offset:1136
	s_wait_loadcnt_dscnt 0x901
	v_mul_f64_e32 v[145:146], v[129:130], v[24:25]
	v_mul_f64_e32 v[24:25], v[131:132], v[24:25]
	scratch_load_b128 v[18:21], off, off offset:624
	s_wait_loadcnt_dscnt 0x900
	v_mul_f64_e32 v[151:152], v[2:3], v[28:29]
	v_mul_f64_e32 v[28:29], v[4:5], v[28:29]
	v_add_f64_e32 v[141:142], v[141:142], v[137:138]
	v_add_f64_e32 v[143:144], v[143:144], v[139:140]
	ds_load_b128 v[137:140], v1 offset:1152
	v_fma_f64 v[131:132], v[131:132], v[22:23], v[145:146]
	v_fma_f64 v[129:130], v[129:130], v[22:23], -v[24:25]
	scratch_load_b128 v[22:25], off, off offset:640
	v_add_f64_e32 v[141:142], v[141:142], v[149:150]
	v_add_f64_e32 v[143:144], v[143:144], v[147:148]
	v_fma_f64 v[147:148], v[4:5], v[26:27], v[151:152]
	v_fma_f64 v[149:150], v[2:3], v[26:27], -v[28:29]
	ds_load_b128 v[2:5], v1 offset:1168
	s_wait_loadcnt_dscnt 0x901
	v_mul_f64_e32 v[145:146], v[137:138], v[32:33]
	v_mul_f64_e32 v[32:33], v[139:140], v[32:33]
	scratch_load_b128 v[26:29], off, off offset:656
	s_wait_loadcnt_dscnt 0x900
	v_mul_f64_e32 v[151:152], v[2:3], v[40:41]
	v_mul_f64_e32 v[40:41], v[4:5], v[40:41]
	v_add_f64_e32 v[141:142], v[141:142], v[129:130]
	v_add_f64_e32 v[143:144], v[143:144], v[131:132]
	ds_load_b128 v[129:132], v1 offset:1184
	v_fma_f64 v[139:140], v[139:140], v[30:31], v[145:146]
	v_fma_f64 v[30:31], v[137:138], v[30:31], -v[32:33]
	v_add_f64_e32 v[32:33], v[141:142], v[149:150]
	v_add_f64_e32 v[137:138], v[143:144], v[147:148]
	s_wait_loadcnt_dscnt 0x700
	v_mul_f64_e32 v[141:142], v[129:130], v[135:136]
	v_mul_f64_e32 v[135:136], v[131:132], v[135:136]
	v_fma_f64 v[143:144], v[4:5], v[38:39], v[151:152]
	v_fma_f64 v[38:39], v[2:3], v[38:39], -v[40:41]
	v_add_f64_e32 v[40:41], v[32:33], v[30:31]
	v_add_f64_e32 v[137:138], v[137:138], v[139:140]
	ds_load_b128 v[2:5], v1 offset:1200
	ds_load_b128 v[30:33], v1 offset:1216
	v_fma_f64 v[131:132], v[131:132], v[133:134], v[141:142]
	v_fma_f64 v[129:130], v[129:130], v[133:134], -v[135:136]
	s_wait_loadcnt_dscnt 0x601
	v_mul_f64_e32 v[139:140], v[2:3], v[36:37]
	v_mul_f64_e32 v[36:37], v[4:5], v[36:37]
	v_add_f64_e32 v[38:39], v[40:41], v[38:39]
	v_add_f64_e32 v[40:41], v[137:138], v[143:144]
	s_wait_loadcnt_dscnt 0x500
	v_mul_f64_e32 v[133:134], v[30:31], v[8:9]
	v_mul_f64_e32 v[8:9], v[32:33], v[8:9]
	v_fma_f64 v[135:136], v[4:5], v[34:35], v[139:140]
	v_fma_f64 v[137:138], v[2:3], v[34:35], -v[36:37]
	ds_load_b128 v[2:5], v1 offset:1232
	ds_load_b128 v[34:37], v1 offset:1248
	v_add_f64_e32 v[38:39], v[38:39], v[129:130]
	v_add_f64_e32 v[40:41], v[40:41], v[131:132]
	s_wait_loadcnt_dscnt 0x401
	v_mul_f64_e32 v[129:130], v[2:3], v[12:13]
	v_mul_f64_e32 v[12:13], v[4:5], v[12:13]
	v_fma_f64 v[32:33], v[32:33], v[6:7], v[133:134]
	v_fma_f64 v[6:7], v[30:31], v[6:7], -v[8:9]
	v_add_f64_e32 v[8:9], v[38:39], v[137:138]
	v_add_f64_e32 v[30:31], v[40:41], v[135:136]
	s_wait_loadcnt_dscnt 0x300
	v_mul_f64_e32 v[38:39], v[34:35], v[16:17]
	v_mul_f64_e32 v[16:17], v[36:37], v[16:17]
	v_fma_f64 v[40:41], v[4:5], v[10:11], v[129:130]
	v_fma_f64 v[10:11], v[2:3], v[10:11], -v[12:13]
	v_add_f64_e32 v[12:13], v[8:9], v[6:7]
	v_add_f64_e32 v[30:31], v[30:31], v[32:33]
	ds_load_b128 v[2:5], v1 offset:1264
	ds_load_b128 v[6:9], v1 offset:1280
	v_fma_f64 v[36:37], v[36:37], v[14:15], v[38:39]
	v_fma_f64 v[14:15], v[34:35], v[14:15], -v[16:17]
	s_wait_loadcnt_dscnt 0x201
	v_mul_f64_e32 v[32:33], v[2:3], v[20:21]
	v_mul_f64_e32 v[20:21], v[4:5], v[20:21]
	s_wait_loadcnt_dscnt 0x100
	v_mul_f64_e32 v[16:17], v[6:7], v[24:25]
	v_mul_f64_e32 v[24:25], v[8:9], v[24:25]
	v_add_f64_e32 v[10:11], v[12:13], v[10:11]
	v_add_f64_e32 v[12:13], v[30:31], v[40:41]
	v_fma_f64 v[30:31], v[4:5], v[18:19], v[32:33]
	v_fma_f64 v[18:19], v[2:3], v[18:19], -v[20:21]
	ds_load_b128 v[2:5], v1 offset:1296
	v_fma_f64 v[8:9], v[8:9], v[22:23], v[16:17]
	v_fma_f64 v[6:7], v[6:7], v[22:23], -v[24:25]
	v_add_f64_e32 v[10:11], v[10:11], v[14:15]
	v_add_f64_e32 v[12:13], v[12:13], v[36:37]
	s_wait_loadcnt_dscnt 0x0
	v_mul_f64_e32 v[14:15], v[2:3], v[28:29]
	v_mul_f64_e32 v[20:21], v[4:5], v[28:29]
	s_delay_alu instid0(VALU_DEP_4) | instskip(NEXT) | instid1(VALU_DEP_4)
	v_add_f64_e32 v[10:11], v[10:11], v[18:19]
	v_add_f64_e32 v[12:13], v[12:13], v[30:31]
	s_delay_alu instid0(VALU_DEP_4) | instskip(NEXT) | instid1(VALU_DEP_4)
	v_fma_f64 v[4:5], v[4:5], v[26:27], v[14:15]
	v_fma_f64 v[2:3], v[2:3], v[26:27], -v[20:21]
	s_delay_alu instid0(VALU_DEP_4) | instskip(NEXT) | instid1(VALU_DEP_4)
	v_add_f64_e32 v[6:7], v[10:11], v[6:7]
	v_add_f64_e32 v[8:9], v[12:13], v[8:9]
	s_delay_alu instid0(VALU_DEP_2) | instskip(NEXT) | instid1(VALU_DEP_2)
	v_add_f64_e32 v[2:3], v[6:7], v[2:3]
	v_add_f64_e32 v[4:5], v[8:9], v[4:5]
	s_delay_alu instid0(VALU_DEP_2) | instskip(NEXT) | instid1(VALU_DEP_2)
	v_add_f64_e64 v[2:3], v[42:43], -v[2:3]
	v_add_f64_e64 v[4:5], v[44:45], -v[4:5]
	scratch_store_b128 off, v[2:5], off offset:384
	v_cmpx_lt_u32_e32 22, v0
	s_cbranch_execz .LBB40_215
; %bb.214:
	scratch_load_b128 v[5:8], off, s31
	v_dual_mov_b32 v2, v1 :: v_dual_mov_b32 v3, v1
	v_mov_b32_e32 v4, v1
	scratch_store_b128 off, v[1:4], off offset:368
	s_wait_loadcnt 0x0
	ds_store_b128 v128, v[5:8]
.LBB40_215:
	s_wait_alu 0xfffe
	s_or_b32 exec_lo, exec_lo, s0
	s_wait_storecnt_dscnt 0x0
	s_barrier_signal -1
	s_barrier_wait -1
	global_inv scope:SCOPE_SE
	s_clause 0x8
	scratch_load_b128 v[2:5], off, off offset:384
	scratch_load_b128 v[6:9], off, off offset:400
	;; [unrolled: 1-line block ×9, first 2 shown]
	ds_load_b128 v[38:41], v1 offset:1024
	ds_load_b128 v[42:45], v1 offset:1040
	s_clause 0x1
	scratch_load_b128 v[129:132], off, off offset:368
	scratch_load_b128 v[133:136], off, off offset:528
	s_mov_b32 s0, exec_lo
	s_wait_loadcnt_dscnt 0xa01
	v_mul_f64_e32 v[137:138], v[40:41], v[4:5]
	v_mul_f64_e32 v[4:5], v[38:39], v[4:5]
	s_wait_loadcnt_dscnt 0x900
	v_mul_f64_e32 v[141:142], v[42:43], v[8:9]
	v_mul_f64_e32 v[8:9], v[44:45], v[8:9]
	s_delay_alu instid0(VALU_DEP_4) | instskip(NEXT) | instid1(VALU_DEP_4)
	v_fma_f64 v[143:144], v[38:39], v[2:3], -v[137:138]
	v_fma_f64 v[145:146], v[40:41], v[2:3], v[4:5]
	ds_load_b128 v[2:5], v1 offset:1056
	ds_load_b128 v[137:140], v1 offset:1072
	scratch_load_b128 v[38:41], off, off offset:544
	v_fma_f64 v[44:45], v[44:45], v[6:7], v[141:142]
	v_fma_f64 v[42:43], v[42:43], v[6:7], -v[8:9]
	scratch_load_b128 v[6:9], off, off offset:560
	s_wait_loadcnt_dscnt 0xa01
	v_mul_f64_e32 v[147:148], v[2:3], v[12:13]
	v_mul_f64_e32 v[12:13], v[4:5], v[12:13]
	v_add_f64_e32 v[141:142], 0, v[143:144]
	v_add_f64_e32 v[143:144], 0, v[145:146]
	s_wait_loadcnt_dscnt 0x900
	v_mul_f64_e32 v[145:146], v[137:138], v[16:17]
	v_mul_f64_e32 v[16:17], v[139:140], v[16:17]
	v_fma_f64 v[147:148], v[4:5], v[10:11], v[147:148]
	v_fma_f64 v[149:150], v[2:3], v[10:11], -v[12:13]
	ds_load_b128 v[2:5], v1 offset:1088
	scratch_load_b128 v[10:13], off, off offset:576
	v_add_f64_e32 v[141:142], v[141:142], v[42:43]
	v_add_f64_e32 v[143:144], v[143:144], v[44:45]
	ds_load_b128 v[42:45], v1 offset:1104
	v_fma_f64 v[139:140], v[139:140], v[14:15], v[145:146]
	v_fma_f64 v[137:138], v[137:138], v[14:15], -v[16:17]
	scratch_load_b128 v[14:17], off, off offset:592
	s_wait_loadcnt_dscnt 0xa01
	v_mul_f64_e32 v[151:152], v[2:3], v[20:21]
	v_mul_f64_e32 v[20:21], v[4:5], v[20:21]
	s_wait_loadcnt_dscnt 0x900
	v_mul_f64_e32 v[145:146], v[42:43], v[24:25]
	v_mul_f64_e32 v[24:25], v[44:45], v[24:25]
	v_add_f64_e32 v[141:142], v[141:142], v[149:150]
	v_add_f64_e32 v[143:144], v[143:144], v[147:148]
	v_fma_f64 v[147:148], v[4:5], v[18:19], v[151:152]
	v_fma_f64 v[149:150], v[2:3], v[18:19], -v[20:21]
	ds_load_b128 v[2:5], v1 offset:1120
	scratch_load_b128 v[18:21], off, off offset:608
	v_fma_f64 v[44:45], v[44:45], v[22:23], v[145:146]
	v_fma_f64 v[42:43], v[42:43], v[22:23], -v[24:25]
	scratch_load_b128 v[22:25], off, off offset:624
	v_add_f64_e32 v[141:142], v[141:142], v[137:138]
	v_add_f64_e32 v[143:144], v[143:144], v[139:140]
	ds_load_b128 v[137:140], v1 offset:1136
	s_wait_loadcnt_dscnt 0xa01
	v_mul_f64_e32 v[151:152], v[2:3], v[28:29]
	v_mul_f64_e32 v[28:29], v[4:5], v[28:29]
	s_wait_loadcnt_dscnt 0x900
	v_mul_f64_e32 v[145:146], v[137:138], v[32:33]
	v_mul_f64_e32 v[32:33], v[139:140], v[32:33]
	v_add_f64_e32 v[141:142], v[141:142], v[149:150]
	v_add_f64_e32 v[143:144], v[143:144], v[147:148]
	v_fma_f64 v[147:148], v[4:5], v[26:27], v[151:152]
	v_fma_f64 v[149:150], v[2:3], v[26:27], -v[28:29]
	ds_load_b128 v[2:5], v1 offset:1152
	scratch_load_b128 v[26:29], off, off offset:640
	v_fma_f64 v[139:140], v[139:140], v[30:31], v[145:146]
	v_fma_f64 v[137:138], v[137:138], v[30:31], -v[32:33]
	scratch_load_b128 v[30:33], off, off offset:656
	v_add_f64_e32 v[141:142], v[141:142], v[42:43]
	v_add_f64_e32 v[143:144], v[143:144], v[44:45]
	ds_load_b128 v[42:45], v1 offset:1168
	s_wait_loadcnt_dscnt 0xa01
	v_mul_f64_e32 v[151:152], v[2:3], v[36:37]
	v_mul_f64_e32 v[36:37], v[4:5], v[36:37]
	s_wait_loadcnt_dscnt 0x800
	v_mul_f64_e32 v[145:146], v[42:43], v[135:136]
	v_mul_f64_e32 v[135:136], v[44:45], v[135:136]
	v_add_f64_e32 v[141:142], v[141:142], v[149:150]
	v_add_f64_e32 v[143:144], v[143:144], v[147:148]
	v_fma_f64 v[147:148], v[4:5], v[34:35], v[151:152]
	v_fma_f64 v[149:150], v[2:3], v[34:35], -v[36:37]
	ds_load_b128 v[2:5], v1 offset:1184
	ds_load_b128 v[34:37], v1 offset:1200
	v_fma_f64 v[44:45], v[44:45], v[133:134], v[145:146]
	v_fma_f64 v[42:43], v[42:43], v[133:134], -v[135:136]
	v_add_f64_e32 v[137:138], v[141:142], v[137:138]
	v_add_f64_e32 v[139:140], v[143:144], v[139:140]
	s_wait_loadcnt_dscnt 0x701
	v_mul_f64_e32 v[141:142], v[2:3], v[40:41]
	v_mul_f64_e32 v[40:41], v[4:5], v[40:41]
	s_delay_alu instid0(VALU_DEP_4) | instskip(NEXT) | instid1(VALU_DEP_4)
	v_add_f64_e32 v[133:134], v[137:138], v[149:150]
	v_add_f64_e32 v[135:136], v[139:140], v[147:148]
	s_wait_loadcnt_dscnt 0x600
	v_mul_f64_e32 v[137:138], v[34:35], v[8:9]
	v_mul_f64_e32 v[8:9], v[36:37], v[8:9]
	v_fma_f64 v[139:140], v[4:5], v[38:39], v[141:142]
	v_fma_f64 v[141:142], v[2:3], v[38:39], -v[40:41]
	ds_load_b128 v[2:5], v1 offset:1216
	ds_load_b128 v[38:41], v1 offset:1232
	v_add_f64_e32 v[42:43], v[133:134], v[42:43]
	v_add_f64_e32 v[44:45], v[135:136], v[44:45]
	v_fma_f64 v[36:37], v[36:37], v[6:7], v[137:138]
	s_wait_loadcnt_dscnt 0x501
	v_mul_f64_e32 v[133:134], v[2:3], v[12:13]
	v_mul_f64_e32 v[12:13], v[4:5], v[12:13]
	v_fma_f64 v[6:7], v[34:35], v[6:7], -v[8:9]
	v_add_f64_e32 v[8:9], v[42:43], v[141:142]
	v_add_f64_e32 v[34:35], v[44:45], v[139:140]
	s_wait_loadcnt_dscnt 0x400
	v_mul_f64_e32 v[42:43], v[38:39], v[16:17]
	v_mul_f64_e32 v[16:17], v[40:41], v[16:17]
	v_fma_f64 v[44:45], v[4:5], v[10:11], v[133:134]
	v_fma_f64 v[10:11], v[2:3], v[10:11], -v[12:13]
	v_add_f64_e32 v[12:13], v[8:9], v[6:7]
	v_add_f64_e32 v[34:35], v[34:35], v[36:37]
	ds_load_b128 v[2:5], v1 offset:1248
	ds_load_b128 v[6:9], v1 offset:1264
	v_fma_f64 v[40:41], v[40:41], v[14:15], v[42:43]
	v_fma_f64 v[14:15], v[38:39], v[14:15], -v[16:17]
	s_wait_loadcnt_dscnt 0x301
	v_mul_f64_e32 v[36:37], v[2:3], v[20:21]
	v_mul_f64_e32 v[20:21], v[4:5], v[20:21]
	s_wait_loadcnt_dscnt 0x200
	v_mul_f64_e32 v[16:17], v[6:7], v[24:25]
	v_mul_f64_e32 v[24:25], v[8:9], v[24:25]
	v_add_f64_e32 v[10:11], v[12:13], v[10:11]
	v_add_f64_e32 v[12:13], v[34:35], v[44:45]
	v_fma_f64 v[34:35], v[4:5], v[18:19], v[36:37]
	v_fma_f64 v[18:19], v[2:3], v[18:19], -v[20:21]
	v_fma_f64 v[8:9], v[8:9], v[22:23], v[16:17]
	v_fma_f64 v[6:7], v[6:7], v[22:23], -v[24:25]
	v_add_f64_e32 v[14:15], v[10:11], v[14:15]
	v_add_f64_e32 v[20:21], v[12:13], v[40:41]
	ds_load_b128 v[2:5], v1 offset:1280
	ds_load_b128 v[10:13], v1 offset:1296
	s_wait_loadcnt_dscnt 0x101
	v_mul_f64_e32 v[36:37], v[2:3], v[28:29]
	v_mul_f64_e32 v[28:29], v[4:5], v[28:29]
	v_add_f64_e32 v[14:15], v[14:15], v[18:19]
	v_add_f64_e32 v[16:17], v[20:21], v[34:35]
	s_wait_loadcnt_dscnt 0x0
	v_mul_f64_e32 v[18:19], v[10:11], v[32:33]
	v_mul_f64_e32 v[20:21], v[12:13], v[32:33]
	v_fma_f64 v[4:5], v[4:5], v[26:27], v[36:37]
	v_fma_f64 v[1:2], v[2:3], v[26:27], -v[28:29]
	v_add_f64_e32 v[6:7], v[14:15], v[6:7]
	v_add_f64_e32 v[8:9], v[16:17], v[8:9]
	v_fma_f64 v[12:13], v[12:13], v[30:31], v[18:19]
	v_fma_f64 v[10:11], v[10:11], v[30:31], -v[20:21]
	s_delay_alu instid0(VALU_DEP_4) | instskip(NEXT) | instid1(VALU_DEP_4)
	v_add_f64_e32 v[1:2], v[6:7], v[1:2]
	v_add_f64_e32 v[3:4], v[8:9], v[4:5]
	s_delay_alu instid0(VALU_DEP_2) | instskip(NEXT) | instid1(VALU_DEP_2)
	v_add_f64_e32 v[1:2], v[1:2], v[10:11]
	v_add_f64_e32 v[3:4], v[3:4], v[12:13]
	s_delay_alu instid0(VALU_DEP_2) | instskip(NEXT) | instid1(VALU_DEP_2)
	v_add_f64_e64 v[1:2], v[129:130], -v[1:2]
	v_add_f64_e64 v[3:4], v[131:132], -v[3:4]
	scratch_store_b128 off, v[1:4], off offset:368
	v_cmpx_lt_u32_e32 21, v0
	s_cbranch_execz .LBB40_217
; %bb.216:
	scratch_load_b128 v[1:4], off, s33
	v_mov_b32_e32 v5, 0
	s_delay_alu instid0(VALU_DEP_1)
	v_dual_mov_b32 v6, v5 :: v_dual_mov_b32 v7, v5
	v_mov_b32_e32 v8, v5
	scratch_store_b128 off, v[5:8], off offset:352
	s_wait_loadcnt 0x0
	ds_store_b128 v128, v[1:4]
.LBB40_217:
	s_wait_alu 0xfffe
	s_or_b32 exec_lo, exec_lo, s0
	s_wait_storecnt_dscnt 0x0
	s_barrier_signal -1
	s_barrier_wait -1
	global_inv scope:SCOPE_SE
	s_clause 0x7
	scratch_load_b128 v[2:5], off, off offset:368
	scratch_load_b128 v[6:9], off, off offset:384
	;; [unrolled: 1-line block ×8, first 2 shown]
	v_mov_b32_e32 v1, 0
	s_mov_b32 s0, exec_lo
	ds_load_b128 v[34:37], v1 offset:1008
	s_clause 0x1
	scratch_load_b128 v[38:41], off, off offset:496
	scratch_load_b128 v[42:45], off, off offset:352
	ds_load_b128 v[129:132], v1 offset:1024
	scratch_load_b128 v[133:136], off, off offset:512
	s_wait_loadcnt_dscnt 0xa01
	v_mul_f64_e32 v[137:138], v[36:37], v[4:5]
	v_mul_f64_e32 v[4:5], v[34:35], v[4:5]
	s_delay_alu instid0(VALU_DEP_2) | instskip(NEXT) | instid1(VALU_DEP_2)
	v_fma_f64 v[143:144], v[34:35], v[2:3], -v[137:138]
	v_fma_f64 v[145:146], v[36:37], v[2:3], v[4:5]
	ds_load_b128 v[2:5], v1 offset:1040
	s_wait_loadcnt_dscnt 0x901
	v_mul_f64_e32 v[141:142], v[129:130], v[8:9]
	v_mul_f64_e32 v[8:9], v[131:132], v[8:9]
	scratch_load_b128 v[34:37], off, off offset:528
	ds_load_b128 v[137:140], v1 offset:1056
	s_wait_loadcnt_dscnt 0x901
	v_mul_f64_e32 v[147:148], v[2:3], v[12:13]
	v_mul_f64_e32 v[12:13], v[4:5], v[12:13]
	v_fma_f64 v[131:132], v[131:132], v[6:7], v[141:142]
	v_fma_f64 v[129:130], v[129:130], v[6:7], -v[8:9]
	v_add_f64_e32 v[141:142], 0, v[143:144]
	v_add_f64_e32 v[143:144], 0, v[145:146]
	scratch_load_b128 v[6:9], off, off offset:544
	v_fma_f64 v[147:148], v[4:5], v[10:11], v[147:148]
	v_fma_f64 v[149:150], v[2:3], v[10:11], -v[12:13]
	ds_load_b128 v[2:5], v1 offset:1072
	s_wait_loadcnt_dscnt 0x901
	v_mul_f64_e32 v[145:146], v[137:138], v[16:17]
	v_mul_f64_e32 v[16:17], v[139:140], v[16:17]
	scratch_load_b128 v[10:13], off, off offset:560
	v_add_f64_e32 v[141:142], v[141:142], v[129:130]
	v_add_f64_e32 v[143:144], v[143:144], v[131:132]
	s_wait_loadcnt_dscnt 0x900
	v_mul_f64_e32 v[151:152], v[2:3], v[20:21]
	v_mul_f64_e32 v[20:21], v[4:5], v[20:21]
	ds_load_b128 v[129:132], v1 offset:1088
	v_fma_f64 v[139:140], v[139:140], v[14:15], v[145:146]
	v_fma_f64 v[137:138], v[137:138], v[14:15], -v[16:17]
	scratch_load_b128 v[14:17], off, off offset:576
	v_add_f64_e32 v[141:142], v[141:142], v[149:150]
	v_add_f64_e32 v[143:144], v[143:144], v[147:148]
	v_fma_f64 v[147:148], v[4:5], v[18:19], v[151:152]
	v_fma_f64 v[149:150], v[2:3], v[18:19], -v[20:21]
	ds_load_b128 v[2:5], v1 offset:1104
	s_wait_loadcnt_dscnt 0x901
	v_mul_f64_e32 v[145:146], v[129:130], v[24:25]
	v_mul_f64_e32 v[24:25], v[131:132], v[24:25]
	scratch_load_b128 v[18:21], off, off offset:592
	s_wait_loadcnt_dscnt 0x900
	v_mul_f64_e32 v[151:152], v[2:3], v[28:29]
	v_mul_f64_e32 v[28:29], v[4:5], v[28:29]
	v_add_f64_e32 v[141:142], v[141:142], v[137:138]
	v_add_f64_e32 v[143:144], v[143:144], v[139:140]
	ds_load_b128 v[137:140], v1 offset:1120
	v_fma_f64 v[131:132], v[131:132], v[22:23], v[145:146]
	v_fma_f64 v[129:130], v[129:130], v[22:23], -v[24:25]
	scratch_load_b128 v[22:25], off, off offset:608
	v_add_f64_e32 v[141:142], v[141:142], v[149:150]
	v_add_f64_e32 v[143:144], v[143:144], v[147:148]
	v_fma_f64 v[147:148], v[4:5], v[26:27], v[151:152]
	v_fma_f64 v[149:150], v[2:3], v[26:27], -v[28:29]
	ds_load_b128 v[2:5], v1 offset:1136
	s_wait_loadcnt_dscnt 0x901
	v_mul_f64_e32 v[145:146], v[137:138], v[32:33]
	v_mul_f64_e32 v[32:33], v[139:140], v[32:33]
	scratch_load_b128 v[26:29], off, off offset:624
	s_wait_loadcnt_dscnt 0x900
	v_mul_f64_e32 v[151:152], v[2:3], v[40:41]
	v_mul_f64_e32 v[40:41], v[4:5], v[40:41]
	v_add_f64_e32 v[141:142], v[141:142], v[129:130]
	v_add_f64_e32 v[143:144], v[143:144], v[131:132]
	ds_load_b128 v[129:132], v1 offset:1152
	v_fma_f64 v[139:140], v[139:140], v[30:31], v[145:146]
	v_fma_f64 v[137:138], v[137:138], v[30:31], -v[32:33]
	scratch_load_b128 v[30:33], off, off offset:640
	v_add_f64_e32 v[141:142], v[141:142], v[149:150]
	v_add_f64_e32 v[143:144], v[143:144], v[147:148]
	v_fma_f64 v[149:150], v[4:5], v[38:39], v[151:152]
	v_fma_f64 v[151:152], v[2:3], v[38:39], -v[40:41]
	ds_load_b128 v[2:5], v1 offset:1168
	s_wait_loadcnt_dscnt 0x801
	v_mul_f64_e32 v[145:146], v[129:130], v[135:136]
	v_mul_f64_e32 v[147:148], v[131:132], v[135:136]
	scratch_load_b128 v[38:41], off, off offset:656
	v_add_f64_e32 v[141:142], v[141:142], v[137:138]
	v_add_f64_e32 v[139:140], v[143:144], v[139:140]
	ds_load_b128 v[135:138], v1 offset:1184
	v_fma_f64 v[131:132], v[131:132], v[133:134], v[145:146]
	v_fma_f64 v[129:130], v[129:130], v[133:134], -v[147:148]
	s_wait_loadcnt_dscnt 0x801
	v_mul_f64_e32 v[143:144], v[2:3], v[36:37]
	v_mul_f64_e32 v[36:37], v[4:5], v[36:37]
	v_add_f64_e32 v[133:134], v[141:142], v[151:152]
	v_add_f64_e32 v[139:140], v[139:140], v[149:150]
	s_delay_alu instid0(VALU_DEP_4) | instskip(NEXT) | instid1(VALU_DEP_4)
	v_fma_f64 v[143:144], v[4:5], v[34:35], v[143:144]
	v_fma_f64 v[145:146], v[2:3], v[34:35], -v[36:37]
	s_wait_loadcnt_dscnt 0x700
	v_mul_f64_e32 v[141:142], v[135:136], v[8:9]
	v_mul_f64_e32 v[8:9], v[137:138], v[8:9]
	ds_load_b128 v[2:5], v1 offset:1200
	ds_load_b128 v[34:37], v1 offset:1216
	v_add_f64_e32 v[129:130], v[133:134], v[129:130]
	v_add_f64_e32 v[131:132], v[139:140], v[131:132]
	s_wait_loadcnt_dscnt 0x601
	v_mul_f64_e32 v[133:134], v[2:3], v[12:13]
	v_mul_f64_e32 v[12:13], v[4:5], v[12:13]
	v_fma_f64 v[137:138], v[137:138], v[6:7], v[141:142]
	v_fma_f64 v[6:7], v[135:136], v[6:7], -v[8:9]
	v_add_f64_e32 v[8:9], v[129:130], v[145:146]
	v_add_f64_e32 v[129:130], v[131:132], v[143:144]
	s_wait_loadcnt_dscnt 0x500
	v_mul_f64_e32 v[131:132], v[34:35], v[16:17]
	v_mul_f64_e32 v[16:17], v[36:37], v[16:17]
	v_fma_f64 v[133:134], v[4:5], v[10:11], v[133:134]
	v_fma_f64 v[10:11], v[2:3], v[10:11], -v[12:13]
	v_add_f64_e32 v[12:13], v[8:9], v[6:7]
	v_add_f64_e32 v[129:130], v[129:130], v[137:138]
	ds_load_b128 v[2:5], v1 offset:1232
	ds_load_b128 v[6:9], v1 offset:1248
	v_fma_f64 v[36:37], v[36:37], v[14:15], v[131:132]
	v_fma_f64 v[14:15], v[34:35], v[14:15], -v[16:17]
	s_wait_loadcnt_dscnt 0x401
	v_mul_f64_e32 v[135:136], v[2:3], v[20:21]
	v_mul_f64_e32 v[20:21], v[4:5], v[20:21]
	s_wait_loadcnt_dscnt 0x300
	v_mul_f64_e32 v[16:17], v[6:7], v[24:25]
	v_mul_f64_e32 v[24:25], v[8:9], v[24:25]
	v_add_f64_e32 v[10:11], v[12:13], v[10:11]
	v_add_f64_e32 v[12:13], v[129:130], v[133:134]
	v_fma_f64 v[34:35], v[4:5], v[18:19], v[135:136]
	v_fma_f64 v[18:19], v[2:3], v[18:19], -v[20:21]
	v_fma_f64 v[8:9], v[8:9], v[22:23], v[16:17]
	v_fma_f64 v[6:7], v[6:7], v[22:23], -v[24:25]
	v_add_f64_e32 v[14:15], v[10:11], v[14:15]
	v_add_f64_e32 v[20:21], v[12:13], v[36:37]
	ds_load_b128 v[2:5], v1 offset:1264
	ds_load_b128 v[10:13], v1 offset:1280
	s_wait_loadcnt_dscnt 0x201
	v_mul_f64_e32 v[36:37], v[2:3], v[28:29]
	v_mul_f64_e32 v[28:29], v[4:5], v[28:29]
	v_add_f64_e32 v[14:15], v[14:15], v[18:19]
	v_add_f64_e32 v[16:17], v[20:21], v[34:35]
	s_wait_loadcnt_dscnt 0x100
	v_mul_f64_e32 v[18:19], v[10:11], v[32:33]
	v_mul_f64_e32 v[20:21], v[12:13], v[32:33]
	v_fma_f64 v[22:23], v[4:5], v[26:27], v[36:37]
	v_fma_f64 v[24:25], v[2:3], v[26:27], -v[28:29]
	ds_load_b128 v[2:5], v1 offset:1296
	v_add_f64_e32 v[6:7], v[14:15], v[6:7]
	v_add_f64_e32 v[8:9], v[16:17], v[8:9]
	v_fma_f64 v[12:13], v[12:13], v[30:31], v[18:19]
	v_fma_f64 v[10:11], v[10:11], v[30:31], -v[20:21]
	s_wait_loadcnt_dscnt 0x0
	v_mul_f64_e32 v[14:15], v[2:3], v[40:41]
	v_mul_f64_e32 v[16:17], v[4:5], v[40:41]
	v_add_f64_e32 v[6:7], v[6:7], v[24:25]
	v_add_f64_e32 v[8:9], v[8:9], v[22:23]
	s_delay_alu instid0(VALU_DEP_4) | instskip(NEXT) | instid1(VALU_DEP_4)
	v_fma_f64 v[4:5], v[4:5], v[38:39], v[14:15]
	v_fma_f64 v[2:3], v[2:3], v[38:39], -v[16:17]
	s_delay_alu instid0(VALU_DEP_4) | instskip(NEXT) | instid1(VALU_DEP_4)
	v_add_f64_e32 v[6:7], v[6:7], v[10:11]
	v_add_f64_e32 v[8:9], v[8:9], v[12:13]
	s_delay_alu instid0(VALU_DEP_2) | instskip(NEXT) | instid1(VALU_DEP_2)
	v_add_f64_e32 v[2:3], v[6:7], v[2:3]
	v_add_f64_e32 v[4:5], v[8:9], v[4:5]
	s_delay_alu instid0(VALU_DEP_2) | instskip(NEXT) | instid1(VALU_DEP_2)
	v_add_f64_e64 v[2:3], v[42:43], -v[2:3]
	v_add_f64_e64 v[4:5], v[44:45], -v[4:5]
	scratch_store_b128 off, v[2:5], off offset:352
	v_cmpx_lt_u32_e32 20, v0
	s_cbranch_execz .LBB40_219
; %bb.218:
	scratch_load_b128 v[5:8], off, s34
	v_dual_mov_b32 v2, v1 :: v_dual_mov_b32 v3, v1
	v_mov_b32_e32 v4, v1
	scratch_store_b128 off, v[1:4], off offset:336
	s_wait_loadcnt 0x0
	ds_store_b128 v128, v[5:8]
.LBB40_219:
	s_wait_alu 0xfffe
	s_or_b32 exec_lo, exec_lo, s0
	s_wait_storecnt_dscnt 0x0
	s_barrier_signal -1
	s_barrier_wait -1
	global_inv scope:SCOPE_SE
	s_clause 0x8
	scratch_load_b128 v[2:5], off, off offset:352
	scratch_load_b128 v[6:9], off, off offset:368
	;; [unrolled: 1-line block ×9, first 2 shown]
	ds_load_b128 v[38:41], v1 offset:992
	ds_load_b128 v[42:45], v1 offset:1008
	s_clause 0x1
	scratch_load_b128 v[129:132], off, off offset:336
	scratch_load_b128 v[133:136], off, off offset:496
	s_mov_b32 s0, exec_lo
	s_wait_loadcnt_dscnt 0xa01
	v_mul_f64_e32 v[137:138], v[40:41], v[4:5]
	v_mul_f64_e32 v[4:5], v[38:39], v[4:5]
	s_wait_loadcnt_dscnt 0x900
	v_mul_f64_e32 v[141:142], v[42:43], v[8:9]
	v_mul_f64_e32 v[8:9], v[44:45], v[8:9]
	s_delay_alu instid0(VALU_DEP_4) | instskip(NEXT) | instid1(VALU_DEP_4)
	v_fma_f64 v[143:144], v[38:39], v[2:3], -v[137:138]
	v_fma_f64 v[145:146], v[40:41], v[2:3], v[4:5]
	ds_load_b128 v[2:5], v1 offset:1024
	ds_load_b128 v[137:140], v1 offset:1040
	scratch_load_b128 v[38:41], off, off offset:512
	v_fma_f64 v[44:45], v[44:45], v[6:7], v[141:142]
	v_fma_f64 v[42:43], v[42:43], v[6:7], -v[8:9]
	scratch_load_b128 v[6:9], off, off offset:528
	s_wait_loadcnt_dscnt 0xa01
	v_mul_f64_e32 v[147:148], v[2:3], v[12:13]
	v_mul_f64_e32 v[12:13], v[4:5], v[12:13]
	v_add_f64_e32 v[141:142], 0, v[143:144]
	v_add_f64_e32 v[143:144], 0, v[145:146]
	s_wait_loadcnt_dscnt 0x900
	v_mul_f64_e32 v[145:146], v[137:138], v[16:17]
	v_mul_f64_e32 v[16:17], v[139:140], v[16:17]
	v_fma_f64 v[147:148], v[4:5], v[10:11], v[147:148]
	v_fma_f64 v[149:150], v[2:3], v[10:11], -v[12:13]
	ds_load_b128 v[2:5], v1 offset:1056
	scratch_load_b128 v[10:13], off, off offset:544
	v_add_f64_e32 v[141:142], v[141:142], v[42:43]
	v_add_f64_e32 v[143:144], v[143:144], v[44:45]
	ds_load_b128 v[42:45], v1 offset:1072
	v_fma_f64 v[139:140], v[139:140], v[14:15], v[145:146]
	v_fma_f64 v[137:138], v[137:138], v[14:15], -v[16:17]
	scratch_load_b128 v[14:17], off, off offset:560
	s_wait_loadcnt_dscnt 0xa01
	v_mul_f64_e32 v[151:152], v[2:3], v[20:21]
	v_mul_f64_e32 v[20:21], v[4:5], v[20:21]
	s_wait_loadcnt_dscnt 0x900
	v_mul_f64_e32 v[145:146], v[42:43], v[24:25]
	v_mul_f64_e32 v[24:25], v[44:45], v[24:25]
	v_add_f64_e32 v[141:142], v[141:142], v[149:150]
	v_add_f64_e32 v[143:144], v[143:144], v[147:148]
	v_fma_f64 v[147:148], v[4:5], v[18:19], v[151:152]
	v_fma_f64 v[149:150], v[2:3], v[18:19], -v[20:21]
	ds_load_b128 v[2:5], v1 offset:1088
	scratch_load_b128 v[18:21], off, off offset:576
	v_fma_f64 v[44:45], v[44:45], v[22:23], v[145:146]
	v_fma_f64 v[42:43], v[42:43], v[22:23], -v[24:25]
	scratch_load_b128 v[22:25], off, off offset:592
	v_add_f64_e32 v[141:142], v[141:142], v[137:138]
	v_add_f64_e32 v[143:144], v[143:144], v[139:140]
	ds_load_b128 v[137:140], v1 offset:1104
	s_wait_loadcnt_dscnt 0xa01
	v_mul_f64_e32 v[151:152], v[2:3], v[28:29]
	v_mul_f64_e32 v[28:29], v[4:5], v[28:29]
	s_wait_loadcnt_dscnt 0x900
	v_mul_f64_e32 v[145:146], v[137:138], v[32:33]
	v_mul_f64_e32 v[32:33], v[139:140], v[32:33]
	v_add_f64_e32 v[141:142], v[141:142], v[149:150]
	v_add_f64_e32 v[143:144], v[143:144], v[147:148]
	v_fma_f64 v[147:148], v[4:5], v[26:27], v[151:152]
	v_fma_f64 v[149:150], v[2:3], v[26:27], -v[28:29]
	ds_load_b128 v[2:5], v1 offset:1120
	scratch_load_b128 v[26:29], off, off offset:608
	v_fma_f64 v[139:140], v[139:140], v[30:31], v[145:146]
	v_fma_f64 v[137:138], v[137:138], v[30:31], -v[32:33]
	scratch_load_b128 v[30:33], off, off offset:624
	v_add_f64_e32 v[141:142], v[141:142], v[42:43]
	v_add_f64_e32 v[143:144], v[143:144], v[44:45]
	ds_load_b128 v[42:45], v1 offset:1136
	s_wait_loadcnt_dscnt 0xa01
	v_mul_f64_e32 v[151:152], v[2:3], v[36:37]
	v_mul_f64_e32 v[36:37], v[4:5], v[36:37]
	s_wait_loadcnt_dscnt 0x800
	v_mul_f64_e32 v[145:146], v[42:43], v[135:136]
	v_add_f64_e32 v[141:142], v[141:142], v[149:150]
	v_add_f64_e32 v[143:144], v[143:144], v[147:148]
	v_mul_f64_e32 v[147:148], v[44:45], v[135:136]
	v_fma_f64 v[149:150], v[4:5], v[34:35], v[151:152]
	v_fma_f64 v[151:152], v[2:3], v[34:35], -v[36:37]
	ds_load_b128 v[2:5], v1 offset:1152
	scratch_load_b128 v[34:37], off, off offset:640
	v_fma_f64 v[44:45], v[44:45], v[133:134], v[145:146]
	v_add_f64_e32 v[141:142], v[141:142], v[137:138]
	v_add_f64_e32 v[139:140], v[143:144], v[139:140]
	ds_load_b128 v[135:138], v1 offset:1168
	v_fma_f64 v[133:134], v[42:43], v[133:134], -v[147:148]
	s_wait_loadcnt_dscnt 0x801
	v_mul_f64_e32 v[143:144], v[2:3], v[40:41]
	v_mul_f64_e32 v[153:154], v[4:5], v[40:41]
	scratch_load_b128 v[40:43], off, off offset:656
	s_wait_loadcnt_dscnt 0x800
	v_mul_f64_e32 v[145:146], v[135:136], v[8:9]
	v_mul_f64_e32 v[8:9], v[137:138], v[8:9]
	v_add_f64_e32 v[141:142], v[141:142], v[151:152]
	v_add_f64_e32 v[139:140], v[139:140], v[149:150]
	v_fma_f64 v[143:144], v[4:5], v[38:39], v[143:144]
	v_fma_f64 v[38:39], v[2:3], v[38:39], -v[153:154]
	v_fma_f64 v[137:138], v[137:138], v[6:7], v[145:146]
	v_fma_f64 v[6:7], v[135:136], v[6:7], -v[8:9]
	v_add_f64_e32 v[133:134], v[141:142], v[133:134]
	v_add_f64_e32 v[44:45], v[139:140], v[44:45]
	ds_load_b128 v[2:5], v1 offset:1184
	ds_load_b128 v[139:142], v1 offset:1200
	s_wait_loadcnt_dscnt 0x701
	v_mul_f64_e32 v[147:148], v[2:3], v[12:13]
	v_mul_f64_e32 v[12:13], v[4:5], v[12:13]
	v_add_f64_e32 v[8:9], v[133:134], v[38:39]
	v_add_f64_e32 v[38:39], v[44:45], v[143:144]
	s_wait_loadcnt_dscnt 0x600
	v_mul_f64_e32 v[44:45], v[139:140], v[16:17]
	v_mul_f64_e32 v[16:17], v[141:142], v[16:17]
	v_fma_f64 v[133:134], v[4:5], v[10:11], v[147:148]
	v_fma_f64 v[10:11], v[2:3], v[10:11], -v[12:13]
	v_add_f64_e32 v[12:13], v[8:9], v[6:7]
	v_add_f64_e32 v[38:39], v[38:39], v[137:138]
	ds_load_b128 v[2:5], v1 offset:1216
	ds_load_b128 v[6:9], v1 offset:1232
	v_fma_f64 v[44:45], v[141:142], v[14:15], v[44:45]
	v_fma_f64 v[14:15], v[139:140], v[14:15], -v[16:17]
	s_wait_loadcnt_dscnt 0x501
	v_mul_f64_e32 v[135:136], v[2:3], v[20:21]
	v_mul_f64_e32 v[20:21], v[4:5], v[20:21]
	s_wait_loadcnt_dscnt 0x400
	v_mul_f64_e32 v[16:17], v[6:7], v[24:25]
	v_mul_f64_e32 v[24:25], v[8:9], v[24:25]
	v_add_f64_e32 v[10:11], v[12:13], v[10:11]
	v_add_f64_e32 v[12:13], v[38:39], v[133:134]
	v_fma_f64 v[38:39], v[4:5], v[18:19], v[135:136]
	v_fma_f64 v[18:19], v[2:3], v[18:19], -v[20:21]
	v_fma_f64 v[8:9], v[8:9], v[22:23], v[16:17]
	v_fma_f64 v[6:7], v[6:7], v[22:23], -v[24:25]
	v_add_f64_e32 v[14:15], v[10:11], v[14:15]
	v_add_f64_e32 v[20:21], v[12:13], v[44:45]
	ds_load_b128 v[2:5], v1 offset:1248
	ds_load_b128 v[10:13], v1 offset:1264
	s_wait_loadcnt_dscnt 0x301
	v_mul_f64_e32 v[44:45], v[2:3], v[28:29]
	v_mul_f64_e32 v[28:29], v[4:5], v[28:29]
	v_add_f64_e32 v[14:15], v[14:15], v[18:19]
	v_add_f64_e32 v[16:17], v[20:21], v[38:39]
	s_wait_loadcnt_dscnt 0x200
	v_mul_f64_e32 v[18:19], v[10:11], v[32:33]
	v_mul_f64_e32 v[20:21], v[12:13], v[32:33]
	v_fma_f64 v[22:23], v[4:5], v[26:27], v[44:45]
	v_fma_f64 v[24:25], v[2:3], v[26:27], -v[28:29]
	v_add_f64_e32 v[14:15], v[14:15], v[6:7]
	v_add_f64_e32 v[16:17], v[16:17], v[8:9]
	ds_load_b128 v[2:5], v1 offset:1280
	ds_load_b128 v[6:9], v1 offset:1296
	v_fma_f64 v[12:13], v[12:13], v[30:31], v[18:19]
	v_fma_f64 v[10:11], v[10:11], v[30:31], -v[20:21]
	s_wait_loadcnt_dscnt 0x101
	v_mul_f64_e32 v[26:27], v[2:3], v[36:37]
	v_mul_f64_e32 v[28:29], v[4:5], v[36:37]
	s_wait_loadcnt_dscnt 0x0
	v_mul_f64_e32 v[18:19], v[6:7], v[42:43]
	v_add_f64_e32 v[14:15], v[14:15], v[24:25]
	v_add_f64_e32 v[16:17], v[16:17], v[22:23]
	v_mul_f64_e32 v[20:21], v[8:9], v[42:43]
	v_fma_f64 v[4:5], v[4:5], v[34:35], v[26:27]
	v_fma_f64 v[1:2], v[2:3], v[34:35], -v[28:29]
	v_fma_f64 v[8:9], v[8:9], v[40:41], v[18:19]
	v_add_f64_e32 v[10:11], v[14:15], v[10:11]
	v_add_f64_e32 v[12:13], v[16:17], v[12:13]
	v_fma_f64 v[6:7], v[6:7], v[40:41], -v[20:21]
	s_delay_alu instid0(VALU_DEP_3) | instskip(NEXT) | instid1(VALU_DEP_3)
	v_add_f64_e32 v[1:2], v[10:11], v[1:2]
	v_add_f64_e32 v[3:4], v[12:13], v[4:5]
	s_delay_alu instid0(VALU_DEP_2) | instskip(NEXT) | instid1(VALU_DEP_2)
	v_add_f64_e32 v[1:2], v[1:2], v[6:7]
	v_add_f64_e32 v[3:4], v[3:4], v[8:9]
	s_delay_alu instid0(VALU_DEP_2) | instskip(NEXT) | instid1(VALU_DEP_2)
	v_add_f64_e64 v[1:2], v[129:130], -v[1:2]
	v_add_f64_e64 v[3:4], v[131:132], -v[3:4]
	scratch_store_b128 off, v[1:4], off offset:336
	v_cmpx_lt_u32_e32 19, v0
	s_cbranch_execz .LBB40_221
; %bb.220:
	scratch_load_b128 v[1:4], off, s35
	v_mov_b32_e32 v5, 0
	s_delay_alu instid0(VALU_DEP_1)
	v_dual_mov_b32 v6, v5 :: v_dual_mov_b32 v7, v5
	v_mov_b32_e32 v8, v5
	scratch_store_b128 off, v[5:8], off offset:320
	s_wait_loadcnt 0x0
	ds_store_b128 v128, v[1:4]
.LBB40_221:
	s_wait_alu 0xfffe
	s_or_b32 exec_lo, exec_lo, s0
	s_wait_storecnt_dscnt 0x0
	s_barrier_signal -1
	s_barrier_wait -1
	global_inv scope:SCOPE_SE
	s_clause 0x7
	scratch_load_b128 v[2:5], off, off offset:336
	scratch_load_b128 v[6:9], off, off offset:352
	;; [unrolled: 1-line block ×8, first 2 shown]
	v_mov_b32_e32 v1, 0
	s_mov_b32 s0, exec_lo
	ds_load_b128 v[34:37], v1 offset:976
	s_clause 0x1
	scratch_load_b128 v[38:41], off, off offset:464
	scratch_load_b128 v[42:45], off, off offset:320
	ds_load_b128 v[129:132], v1 offset:992
	scratch_load_b128 v[133:136], off, off offset:480
	s_wait_loadcnt_dscnt 0xa01
	v_mul_f64_e32 v[137:138], v[36:37], v[4:5]
	v_mul_f64_e32 v[4:5], v[34:35], v[4:5]
	s_delay_alu instid0(VALU_DEP_2) | instskip(NEXT) | instid1(VALU_DEP_2)
	v_fma_f64 v[143:144], v[34:35], v[2:3], -v[137:138]
	v_fma_f64 v[145:146], v[36:37], v[2:3], v[4:5]
	ds_load_b128 v[2:5], v1 offset:1008
	s_wait_loadcnt_dscnt 0x901
	v_mul_f64_e32 v[141:142], v[129:130], v[8:9]
	v_mul_f64_e32 v[8:9], v[131:132], v[8:9]
	scratch_load_b128 v[34:37], off, off offset:496
	ds_load_b128 v[137:140], v1 offset:1024
	s_wait_loadcnt_dscnt 0x901
	v_mul_f64_e32 v[147:148], v[2:3], v[12:13]
	v_mul_f64_e32 v[12:13], v[4:5], v[12:13]
	v_fma_f64 v[131:132], v[131:132], v[6:7], v[141:142]
	v_fma_f64 v[129:130], v[129:130], v[6:7], -v[8:9]
	v_add_f64_e32 v[141:142], 0, v[143:144]
	v_add_f64_e32 v[143:144], 0, v[145:146]
	scratch_load_b128 v[6:9], off, off offset:512
	v_fma_f64 v[147:148], v[4:5], v[10:11], v[147:148]
	v_fma_f64 v[149:150], v[2:3], v[10:11], -v[12:13]
	ds_load_b128 v[2:5], v1 offset:1040
	s_wait_loadcnt_dscnt 0x901
	v_mul_f64_e32 v[145:146], v[137:138], v[16:17]
	v_mul_f64_e32 v[16:17], v[139:140], v[16:17]
	scratch_load_b128 v[10:13], off, off offset:528
	v_add_f64_e32 v[141:142], v[141:142], v[129:130]
	v_add_f64_e32 v[143:144], v[143:144], v[131:132]
	s_wait_loadcnt_dscnt 0x900
	v_mul_f64_e32 v[151:152], v[2:3], v[20:21]
	v_mul_f64_e32 v[20:21], v[4:5], v[20:21]
	ds_load_b128 v[129:132], v1 offset:1056
	v_fma_f64 v[139:140], v[139:140], v[14:15], v[145:146]
	v_fma_f64 v[137:138], v[137:138], v[14:15], -v[16:17]
	scratch_load_b128 v[14:17], off, off offset:544
	v_add_f64_e32 v[141:142], v[141:142], v[149:150]
	v_add_f64_e32 v[143:144], v[143:144], v[147:148]
	v_fma_f64 v[147:148], v[4:5], v[18:19], v[151:152]
	v_fma_f64 v[149:150], v[2:3], v[18:19], -v[20:21]
	ds_load_b128 v[2:5], v1 offset:1072
	s_wait_loadcnt_dscnt 0x901
	v_mul_f64_e32 v[145:146], v[129:130], v[24:25]
	v_mul_f64_e32 v[24:25], v[131:132], v[24:25]
	scratch_load_b128 v[18:21], off, off offset:560
	s_wait_loadcnt_dscnt 0x900
	v_mul_f64_e32 v[151:152], v[2:3], v[28:29]
	v_mul_f64_e32 v[28:29], v[4:5], v[28:29]
	v_add_f64_e32 v[141:142], v[141:142], v[137:138]
	v_add_f64_e32 v[143:144], v[143:144], v[139:140]
	ds_load_b128 v[137:140], v1 offset:1088
	v_fma_f64 v[131:132], v[131:132], v[22:23], v[145:146]
	v_fma_f64 v[129:130], v[129:130], v[22:23], -v[24:25]
	scratch_load_b128 v[22:25], off, off offset:576
	v_add_f64_e32 v[141:142], v[141:142], v[149:150]
	v_add_f64_e32 v[143:144], v[143:144], v[147:148]
	v_fma_f64 v[147:148], v[4:5], v[26:27], v[151:152]
	v_fma_f64 v[149:150], v[2:3], v[26:27], -v[28:29]
	ds_load_b128 v[2:5], v1 offset:1104
	s_wait_loadcnt_dscnt 0x901
	v_mul_f64_e32 v[145:146], v[137:138], v[32:33]
	v_mul_f64_e32 v[32:33], v[139:140], v[32:33]
	scratch_load_b128 v[26:29], off, off offset:592
	s_wait_loadcnt_dscnt 0x900
	v_mul_f64_e32 v[151:152], v[2:3], v[40:41]
	v_mul_f64_e32 v[40:41], v[4:5], v[40:41]
	v_add_f64_e32 v[141:142], v[141:142], v[129:130]
	v_add_f64_e32 v[143:144], v[143:144], v[131:132]
	ds_load_b128 v[129:132], v1 offset:1120
	v_fma_f64 v[139:140], v[139:140], v[30:31], v[145:146]
	v_fma_f64 v[137:138], v[137:138], v[30:31], -v[32:33]
	scratch_load_b128 v[30:33], off, off offset:608
	v_add_f64_e32 v[141:142], v[141:142], v[149:150]
	v_add_f64_e32 v[143:144], v[143:144], v[147:148]
	v_fma_f64 v[149:150], v[4:5], v[38:39], v[151:152]
	v_fma_f64 v[151:152], v[2:3], v[38:39], -v[40:41]
	ds_load_b128 v[2:5], v1 offset:1136
	s_wait_loadcnt_dscnt 0x801
	v_mul_f64_e32 v[145:146], v[129:130], v[135:136]
	v_mul_f64_e32 v[147:148], v[131:132], v[135:136]
	scratch_load_b128 v[38:41], off, off offset:624
	v_add_f64_e32 v[141:142], v[141:142], v[137:138]
	v_add_f64_e32 v[139:140], v[143:144], v[139:140]
	ds_load_b128 v[135:138], v1 offset:1152
	v_fma_f64 v[145:146], v[131:132], v[133:134], v[145:146]
	v_fma_f64 v[133:134], v[129:130], v[133:134], -v[147:148]
	scratch_load_b128 v[129:132], off, off offset:640
	s_wait_loadcnt_dscnt 0x901
	v_mul_f64_e32 v[143:144], v[2:3], v[36:37]
	v_mul_f64_e32 v[36:37], v[4:5], v[36:37]
	v_add_f64_e32 v[141:142], v[141:142], v[151:152]
	v_add_f64_e32 v[139:140], v[139:140], v[149:150]
	s_delay_alu instid0(VALU_DEP_4) | instskip(NEXT) | instid1(VALU_DEP_4)
	v_fma_f64 v[143:144], v[4:5], v[34:35], v[143:144]
	v_fma_f64 v[149:150], v[2:3], v[34:35], -v[36:37]
	ds_load_b128 v[2:5], v1 offset:1168
	s_wait_loadcnt_dscnt 0x801
	v_mul_f64_e32 v[147:148], v[135:136], v[8:9]
	v_mul_f64_e32 v[8:9], v[137:138], v[8:9]
	scratch_load_b128 v[34:37], off, off offset:656
	s_wait_loadcnt_dscnt 0x800
	v_mul_f64_e32 v[151:152], v[2:3], v[12:13]
	v_add_f64_e32 v[133:134], v[141:142], v[133:134]
	v_add_f64_e32 v[145:146], v[139:140], v[145:146]
	v_mul_f64_e32 v[12:13], v[4:5], v[12:13]
	ds_load_b128 v[139:142], v1 offset:1184
	v_fma_f64 v[137:138], v[137:138], v[6:7], v[147:148]
	v_fma_f64 v[6:7], v[135:136], v[6:7], -v[8:9]
	s_wait_loadcnt_dscnt 0x700
	v_mul_f64_e32 v[135:136], v[139:140], v[16:17]
	v_add_f64_e32 v[8:9], v[133:134], v[149:150]
	v_add_f64_e32 v[133:134], v[145:146], v[143:144]
	v_mul_f64_e32 v[16:17], v[141:142], v[16:17]
	v_fma_f64 v[143:144], v[4:5], v[10:11], v[151:152]
	v_fma_f64 v[10:11], v[2:3], v[10:11], -v[12:13]
	v_fma_f64 v[135:136], v[141:142], v[14:15], v[135:136]
	v_add_f64_e32 v[12:13], v[8:9], v[6:7]
	v_add_f64_e32 v[133:134], v[133:134], v[137:138]
	ds_load_b128 v[2:5], v1 offset:1200
	ds_load_b128 v[6:9], v1 offset:1216
	v_fma_f64 v[14:15], v[139:140], v[14:15], -v[16:17]
	s_wait_loadcnt_dscnt 0x601
	v_mul_f64_e32 v[137:138], v[2:3], v[20:21]
	v_mul_f64_e32 v[20:21], v[4:5], v[20:21]
	s_wait_loadcnt_dscnt 0x500
	v_mul_f64_e32 v[16:17], v[6:7], v[24:25]
	v_mul_f64_e32 v[24:25], v[8:9], v[24:25]
	v_add_f64_e32 v[10:11], v[12:13], v[10:11]
	v_add_f64_e32 v[12:13], v[133:134], v[143:144]
	v_fma_f64 v[133:134], v[4:5], v[18:19], v[137:138]
	v_fma_f64 v[18:19], v[2:3], v[18:19], -v[20:21]
	v_fma_f64 v[8:9], v[8:9], v[22:23], v[16:17]
	v_fma_f64 v[6:7], v[6:7], v[22:23], -v[24:25]
	v_add_f64_e32 v[14:15], v[10:11], v[14:15]
	v_add_f64_e32 v[20:21], v[12:13], v[135:136]
	ds_load_b128 v[2:5], v1 offset:1232
	ds_load_b128 v[10:13], v1 offset:1248
	s_wait_loadcnt_dscnt 0x401
	v_mul_f64_e32 v[135:136], v[2:3], v[28:29]
	v_mul_f64_e32 v[28:29], v[4:5], v[28:29]
	v_add_f64_e32 v[14:15], v[14:15], v[18:19]
	v_add_f64_e32 v[16:17], v[20:21], v[133:134]
	s_wait_loadcnt_dscnt 0x300
	v_mul_f64_e32 v[18:19], v[10:11], v[32:33]
	v_mul_f64_e32 v[20:21], v[12:13], v[32:33]
	v_fma_f64 v[22:23], v[4:5], v[26:27], v[135:136]
	v_fma_f64 v[24:25], v[2:3], v[26:27], -v[28:29]
	v_add_f64_e32 v[14:15], v[14:15], v[6:7]
	v_add_f64_e32 v[16:17], v[16:17], v[8:9]
	ds_load_b128 v[2:5], v1 offset:1264
	ds_load_b128 v[6:9], v1 offset:1280
	v_fma_f64 v[12:13], v[12:13], v[30:31], v[18:19]
	v_fma_f64 v[10:11], v[10:11], v[30:31], -v[20:21]
	s_wait_loadcnt_dscnt 0x201
	v_mul_f64_e32 v[26:27], v[2:3], v[40:41]
	v_mul_f64_e32 v[28:29], v[4:5], v[40:41]
	s_wait_loadcnt_dscnt 0x100
	v_mul_f64_e32 v[18:19], v[6:7], v[131:132]
	v_mul_f64_e32 v[20:21], v[8:9], v[131:132]
	v_add_f64_e32 v[14:15], v[14:15], v[24:25]
	v_add_f64_e32 v[16:17], v[16:17], v[22:23]
	v_fma_f64 v[22:23], v[4:5], v[38:39], v[26:27]
	v_fma_f64 v[24:25], v[2:3], v[38:39], -v[28:29]
	ds_load_b128 v[2:5], v1 offset:1296
	v_fma_f64 v[8:9], v[8:9], v[129:130], v[18:19]
	v_fma_f64 v[6:7], v[6:7], v[129:130], -v[20:21]
	v_add_f64_e32 v[10:11], v[14:15], v[10:11]
	v_add_f64_e32 v[12:13], v[16:17], v[12:13]
	s_wait_loadcnt_dscnt 0x0
	v_mul_f64_e32 v[14:15], v[2:3], v[36:37]
	v_mul_f64_e32 v[16:17], v[4:5], v[36:37]
	s_delay_alu instid0(VALU_DEP_4) | instskip(NEXT) | instid1(VALU_DEP_4)
	v_add_f64_e32 v[10:11], v[10:11], v[24:25]
	v_add_f64_e32 v[12:13], v[12:13], v[22:23]
	s_delay_alu instid0(VALU_DEP_4) | instskip(NEXT) | instid1(VALU_DEP_4)
	v_fma_f64 v[4:5], v[4:5], v[34:35], v[14:15]
	v_fma_f64 v[2:3], v[2:3], v[34:35], -v[16:17]
	s_delay_alu instid0(VALU_DEP_4) | instskip(NEXT) | instid1(VALU_DEP_4)
	v_add_f64_e32 v[6:7], v[10:11], v[6:7]
	v_add_f64_e32 v[8:9], v[12:13], v[8:9]
	s_delay_alu instid0(VALU_DEP_2) | instskip(NEXT) | instid1(VALU_DEP_2)
	v_add_f64_e32 v[2:3], v[6:7], v[2:3]
	v_add_f64_e32 v[4:5], v[8:9], v[4:5]
	s_delay_alu instid0(VALU_DEP_2) | instskip(NEXT) | instid1(VALU_DEP_2)
	v_add_f64_e64 v[2:3], v[42:43], -v[2:3]
	v_add_f64_e64 v[4:5], v[44:45], -v[4:5]
	scratch_store_b128 off, v[2:5], off offset:320
	v_cmpx_lt_u32_e32 18, v0
	s_cbranch_execz .LBB40_223
; %bb.222:
	scratch_load_b128 v[5:8], off, s36
	v_dual_mov_b32 v2, v1 :: v_dual_mov_b32 v3, v1
	v_mov_b32_e32 v4, v1
	scratch_store_b128 off, v[1:4], off offset:304
	s_wait_loadcnt 0x0
	ds_store_b128 v128, v[5:8]
.LBB40_223:
	s_wait_alu 0xfffe
	s_or_b32 exec_lo, exec_lo, s0
	s_wait_storecnt_dscnt 0x0
	s_barrier_signal -1
	s_barrier_wait -1
	global_inv scope:SCOPE_SE
	s_clause 0x8
	scratch_load_b128 v[2:5], off, off offset:320
	scratch_load_b128 v[6:9], off, off offset:336
	;; [unrolled: 1-line block ×9, first 2 shown]
	ds_load_b128 v[38:41], v1 offset:960
	ds_load_b128 v[42:45], v1 offset:976
	s_clause 0x1
	scratch_load_b128 v[129:132], off, off offset:304
	scratch_load_b128 v[133:136], off, off offset:464
	s_mov_b32 s0, exec_lo
	s_wait_loadcnt_dscnt 0xa01
	v_mul_f64_e32 v[137:138], v[40:41], v[4:5]
	v_mul_f64_e32 v[4:5], v[38:39], v[4:5]
	s_wait_loadcnt_dscnt 0x900
	v_mul_f64_e32 v[141:142], v[42:43], v[8:9]
	v_mul_f64_e32 v[8:9], v[44:45], v[8:9]
	s_delay_alu instid0(VALU_DEP_4) | instskip(NEXT) | instid1(VALU_DEP_4)
	v_fma_f64 v[143:144], v[38:39], v[2:3], -v[137:138]
	v_fma_f64 v[145:146], v[40:41], v[2:3], v[4:5]
	ds_load_b128 v[2:5], v1 offset:992
	ds_load_b128 v[137:140], v1 offset:1008
	scratch_load_b128 v[38:41], off, off offset:480
	v_fma_f64 v[44:45], v[44:45], v[6:7], v[141:142]
	v_fma_f64 v[42:43], v[42:43], v[6:7], -v[8:9]
	scratch_load_b128 v[6:9], off, off offset:496
	s_wait_loadcnt_dscnt 0xa01
	v_mul_f64_e32 v[147:148], v[2:3], v[12:13]
	v_mul_f64_e32 v[12:13], v[4:5], v[12:13]
	v_add_f64_e32 v[141:142], 0, v[143:144]
	v_add_f64_e32 v[143:144], 0, v[145:146]
	s_wait_loadcnt_dscnt 0x900
	v_mul_f64_e32 v[145:146], v[137:138], v[16:17]
	v_mul_f64_e32 v[16:17], v[139:140], v[16:17]
	v_fma_f64 v[147:148], v[4:5], v[10:11], v[147:148]
	v_fma_f64 v[149:150], v[2:3], v[10:11], -v[12:13]
	ds_load_b128 v[2:5], v1 offset:1024
	scratch_load_b128 v[10:13], off, off offset:512
	v_add_f64_e32 v[141:142], v[141:142], v[42:43]
	v_add_f64_e32 v[143:144], v[143:144], v[44:45]
	ds_load_b128 v[42:45], v1 offset:1040
	v_fma_f64 v[139:140], v[139:140], v[14:15], v[145:146]
	v_fma_f64 v[137:138], v[137:138], v[14:15], -v[16:17]
	scratch_load_b128 v[14:17], off, off offset:528
	s_wait_loadcnt_dscnt 0xa01
	v_mul_f64_e32 v[151:152], v[2:3], v[20:21]
	v_mul_f64_e32 v[20:21], v[4:5], v[20:21]
	s_wait_loadcnt_dscnt 0x900
	v_mul_f64_e32 v[145:146], v[42:43], v[24:25]
	v_mul_f64_e32 v[24:25], v[44:45], v[24:25]
	v_add_f64_e32 v[141:142], v[141:142], v[149:150]
	v_add_f64_e32 v[143:144], v[143:144], v[147:148]
	v_fma_f64 v[147:148], v[4:5], v[18:19], v[151:152]
	v_fma_f64 v[149:150], v[2:3], v[18:19], -v[20:21]
	ds_load_b128 v[2:5], v1 offset:1056
	scratch_load_b128 v[18:21], off, off offset:544
	v_fma_f64 v[44:45], v[44:45], v[22:23], v[145:146]
	v_fma_f64 v[42:43], v[42:43], v[22:23], -v[24:25]
	scratch_load_b128 v[22:25], off, off offset:560
	v_add_f64_e32 v[141:142], v[141:142], v[137:138]
	v_add_f64_e32 v[143:144], v[143:144], v[139:140]
	ds_load_b128 v[137:140], v1 offset:1072
	s_wait_loadcnt_dscnt 0xa01
	v_mul_f64_e32 v[151:152], v[2:3], v[28:29]
	v_mul_f64_e32 v[28:29], v[4:5], v[28:29]
	s_wait_loadcnt_dscnt 0x900
	v_mul_f64_e32 v[145:146], v[137:138], v[32:33]
	v_mul_f64_e32 v[32:33], v[139:140], v[32:33]
	v_add_f64_e32 v[141:142], v[141:142], v[149:150]
	v_add_f64_e32 v[143:144], v[143:144], v[147:148]
	v_fma_f64 v[147:148], v[4:5], v[26:27], v[151:152]
	v_fma_f64 v[149:150], v[2:3], v[26:27], -v[28:29]
	ds_load_b128 v[2:5], v1 offset:1088
	scratch_load_b128 v[26:29], off, off offset:576
	v_fma_f64 v[139:140], v[139:140], v[30:31], v[145:146]
	v_fma_f64 v[137:138], v[137:138], v[30:31], -v[32:33]
	scratch_load_b128 v[30:33], off, off offset:592
	v_add_f64_e32 v[141:142], v[141:142], v[42:43]
	v_add_f64_e32 v[143:144], v[143:144], v[44:45]
	ds_load_b128 v[42:45], v1 offset:1104
	s_wait_loadcnt_dscnt 0xa01
	v_mul_f64_e32 v[151:152], v[2:3], v[36:37]
	v_mul_f64_e32 v[36:37], v[4:5], v[36:37]
	s_wait_loadcnt_dscnt 0x800
	v_mul_f64_e32 v[145:146], v[42:43], v[135:136]
	v_add_f64_e32 v[141:142], v[141:142], v[149:150]
	v_add_f64_e32 v[143:144], v[143:144], v[147:148]
	v_mul_f64_e32 v[147:148], v[44:45], v[135:136]
	v_fma_f64 v[149:150], v[4:5], v[34:35], v[151:152]
	v_fma_f64 v[151:152], v[2:3], v[34:35], -v[36:37]
	ds_load_b128 v[2:5], v1 offset:1120
	scratch_load_b128 v[34:37], off, off offset:608
	v_fma_f64 v[44:45], v[44:45], v[133:134], v[145:146]
	v_add_f64_e32 v[141:142], v[141:142], v[137:138]
	v_add_f64_e32 v[139:140], v[143:144], v[139:140]
	ds_load_b128 v[135:138], v1 offset:1136
	v_fma_f64 v[133:134], v[42:43], v[133:134], -v[147:148]
	s_wait_loadcnt_dscnt 0x801
	v_mul_f64_e32 v[143:144], v[2:3], v[40:41]
	v_mul_f64_e32 v[153:154], v[4:5], v[40:41]
	scratch_load_b128 v[40:43], off, off offset:624
	s_wait_loadcnt_dscnt 0x800
	v_mul_f64_e32 v[147:148], v[135:136], v[8:9]
	v_mul_f64_e32 v[8:9], v[137:138], v[8:9]
	v_add_f64_e32 v[141:142], v[141:142], v[151:152]
	v_add_f64_e32 v[139:140], v[139:140], v[149:150]
	v_fma_f64 v[149:150], v[4:5], v[38:39], v[143:144]
	v_fma_f64 v[38:39], v[2:3], v[38:39], -v[153:154]
	ds_load_b128 v[2:5], v1 offset:1152
	ds_load_b128 v[143:146], v1 offset:1168
	v_fma_f64 v[137:138], v[137:138], v[6:7], v[147:148]
	v_fma_f64 v[135:136], v[135:136], v[6:7], -v[8:9]
	scratch_load_b128 v[6:9], off, off offset:656
	v_add_f64_e32 v[133:134], v[141:142], v[133:134]
	v_add_f64_e32 v[44:45], v[139:140], v[44:45]
	scratch_load_b128 v[139:142], off, off offset:640
	s_wait_loadcnt_dscnt 0x901
	v_mul_f64_e32 v[151:152], v[2:3], v[12:13]
	v_mul_f64_e32 v[12:13], v[4:5], v[12:13]
	v_add_f64_e32 v[38:39], v[133:134], v[38:39]
	v_add_f64_e32 v[44:45], v[44:45], v[149:150]
	s_wait_loadcnt_dscnt 0x800
	v_mul_f64_e32 v[133:134], v[143:144], v[16:17]
	v_mul_f64_e32 v[16:17], v[145:146], v[16:17]
	v_fma_f64 v[147:148], v[4:5], v[10:11], v[151:152]
	v_fma_f64 v[149:150], v[2:3], v[10:11], -v[12:13]
	ds_load_b128 v[2:5], v1 offset:1184
	ds_load_b128 v[10:13], v1 offset:1200
	v_add_f64_e32 v[38:39], v[38:39], v[135:136]
	v_add_f64_e32 v[44:45], v[44:45], v[137:138]
	s_wait_loadcnt_dscnt 0x701
	v_mul_f64_e32 v[135:136], v[2:3], v[20:21]
	v_mul_f64_e32 v[20:21], v[4:5], v[20:21]
	v_fma_f64 v[133:134], v[145:146], v[14:15], v[133:134]
	v_fma_f64 v[14:15], v[143:144], v[14:15], -v[16:17]
	v_add_f64_e32 v[16:17], v[38:39], v[149:150]
	v_add_f64_e32 v[38:39], v[44:45], v[147:148]
	s_wait_loadcnt_dscnt 0x600
	v_mul_f64_e32 v[44:45], v[10:11], v[24:25]
	v_mul_f64_e32 v[24:25], v[12:13], v[24:25]
	v_fma_f64 v[135:136], v[4:5], v[18:19], v[135:136]
	v_fma_f64 v[18:19], v[2:3], v[18:19], -v[20:21]
	v_add_f64_e32 v[20:21], v[16:17], v[14:15]
	v_add_f64_e32 v[38:39], v[38:39], v[133:134]
	ds_load_b128 v[2:5], v1 offset:1216
	ds_load_b128 v[14:17], v1 offset:1232
	v_fma_f64 v[12:13], v[12:13], v[22:23], v[44:45]
	v_fma_f64 v[10:11], v[10:11], v[22:23], -v[24:25]
	s_wait_loadcnt_dscnt 0x501
	v_mul_f64_e32 v[133:134], v[2:3], v[28:29]
	v_mul_f64_e32 v[28:29], v[4:5], v[28:29]
	s_wait_loadcnt_dscnt 0x400
	v_mul_f64_e32 v[22:23], v[14:15], v[32:33]
	v_mul_f64_e32 v[24:25], v[16:17], v[32:33]
	v_add_f64_e32 v[18:19], v[20:21], v[18:19]
	v_add_f64_e32 v[20:21], v[38:39], v[135:136]
	v_fma_f64 v[32:33], v[4:5], v[26:27], v[133:134]
	v_fma_f64 v[26:27], v[2:3], v[26:27], -v[28:29]
	v_fma_f64 v[16:17], v[16:17], v[30:31], v[22:23]
	v_fma_f64 v[14:15], v[14:15], v[30:31], -v[24:25]
	v_add_f64_e32 v[18:19], v[18:19], v[10:11]
	v_add_f64_e32 v[20:21], v[20:21], v[12:13]
	ds_load_b128 v[2:5], v1 offset:1248
	ds_load_b128 v[10:13], v1 offset:1264
	s_wait_loadcnt_dscnt 0x301
	v_mul_f64_e32 v[28:29], v[2:3], v[36:37]
	v_mul_f64_e32 v[36:37], v[4:5], v[36:37]
	s_wait_loadcnt_dscnt 0x200
	v_mul_f64_e32 v[22:23], v[10:11], v[42:43]
	v_add_f64_e32 v[18:19], v[18:19], v[26:27]
	v_add_f64_e32 v[20:21], v[20:21], v[32:33]
	v_mul_f64_e32 v[24:25], v[12:13], v[42:43]
	v_fma_f64 v[26:27], v[4:5], v[34:35], v[28:29]
	v_fma_f64 v[28:29], v[2:3], v[34:35], -v[36:37]
	v_fma_f64 v[12:13], v[12:13], v[40:41], v[22:23]
	v_add_f64_e32 v[18:19], v[18:19], v[14:15]
	v_add_f64_e32 v[20:21], v[20:21], v[16:17]
	ds_load_b128 v[2:5], v1 offset:1280
	ds_load_b128 v[14:17], v1 offset:1296
	v_fma_f64 v[10:11], v[10:11], v[40:41], -v[24:25]
	s_wait_loadcnt_dscnt 0x1
	v_mul_f64_e32 v[30:31], v[2:3], v[141:142]
	v_mul_f64_e32 v[32:33], v[4:5], v[141:142]
	s_wait_dscnt 0x0
	v_mul_f64_e32 v[22:23], v[14:15], v[8:9]
	v_mul_f64_e32 v[8:9], v[16:17], v[8:9]
	v_add_f64_e32 v[18:19], v[18:19], v[28:29]
	v_add_f64_e32 v[20:21], v[20:21], v[26:27]
	v_fma_f64 v[4:5], v[4:5], v[139:140], v[30:31]
	v_fma_f64 v[1:2], v[2:3], v[139:140], -v[32:33]
	v_fma_f64 v[16:17], v[16:17], v[6:7], v[22:23]
	v_fma_f64 v[6:7], v[14:15], v[6:7], -v[8:9]
	v_add_f64_e32 v[10:11], v[18:19], v[10:11]
	v_add_f64_e32 v[12:13], v[20:21], v[12:13]
	s_delay_alu instid0(VALU_DEP_2) | instskip(NEXT) | instid1(VALU_DEP_2)
	v_add_f64_e32 v[1:2], v[10:11], v[1:2]
	v_add_f64_e32 v[3:4], v[12:13], v[4:5]
	s_delay_alu instid0(VALU_DEP_2) | instskip(NEXT) | instid1(VALU_DEP_2)
	;; [unrolled: 3-line block ×3, first 2 shown]
	v_add_f64_e64 v[1:2], v[129:130], -v[1:2]
	v_add_f64_e64 v[3:4], v[131:132], -v[3:4]
	scratch_store_b128 off, v[1:4], off offset:304
	v_cmpx_lt_u32_e32 17, v0
	s_cbranch_execz .LBB40_225
; %bb.224:
	scratch_load_b128 v[1:4], off, s37
	v_mov_b32_e32 v5, 0
	s_delay_alu instid0(VALU_DEP_1)
	v_dual_mov_b32 v6, v5 :: v_dual_mov_b32 v7, v5
	v_mov_b32_e32 v8, v5
	scratch_store_b128 off, v[5:8], off offset:288
	s_wait_loadcnt 0x0
	ds_store_b128 v128, v[1:4]
.LBB40_225:
	s_wait_alu 0xfffe
	s_or_b32 exec_lo, exec_lo, s0
	s_wait_storecnt_dscnt 0x0
	s_barrier_signal -1
	s_barrier_wait -1
	global_inv scope:SCOPE_SE
	s_clause 0x7
	scratch_load_b128 v[2:5], off, off offset:304
	scratch_load_b128 v[6:9], off, off offset:320
	;; [unrolled: 1-line block ×8, first 2 shown]
	v_mov_b32_e32 v1, 0
	s_mov_b32 s0, exec_lo
	ds_load_b128 v[34:37], v1 offset:944
	s_clause 0x1
	scratch_load_b128 v[38:41], off, off offset:432
	scratch_load_b128 v[42:45], off, off offset:288
	ds_load_b128 v[129:132], v1 offset:960
	scratch_load_b128 v[133:136], off, off offset:448
	s_wait_loadcnt_dscnt 0xa01
	v_mul_f64_e32 v[137:138], v[36:37], v[4:5]
	v_mul_f64_e32 v[4:5], v[34:35], v[4:5]
	s_delay_alu instid0(VALU_DEP_2) | instskip(NEXT) | instid1(VALU_DEP_2)
	v_fma_f64 v[143:144], v[34:35], v[2:3], -v[137:138]
	v_fma_f64 v[145:146], v[36:37], v[2:3], v[4:5]
	ds_load_b128 v[2:5], v1 offset:976
	s_wait_loadcnt_dscnt 0x901
	v_mul_f64_e32 v[141:142], v[129:130], v[8:9]
	v_mul_f64_e32 v[8:9], v[131:132], v[8:9]
	scratch_load_b128 v[34:37], off, off offset:464
	ds_load_b128 v[137:140], v1 offset:992
	s_wait_loadcnt_dscnt 0x901
	v_mul_f64_e32 v[147:148], v[2:3], v[12:13]
	v_mul_f64_e32 v[12:13], v[4:5], v[12:13]
	v_fma_f64 v[131:132], v[131:132], v[6:7], v[141:142]
	v_fma_f64 v[129:130], v[129:130], v[6:7], -v[8:9]
	v_add_f64_e32 v[141:142], 0, v[143:144]
	v_add_f64_e32 v[143:144], 0, v[145:146]
	scratch_load_b128 v[6:9], off, off offset:480
	v_fma_f64 v[147:148], v[4:5], v[10:11], v[147:148]
	v_fma_f64 v[149:150], v[2:3], v[10:11], -v[12:13]
	ds_load_b128 v[2:5], v1 offset:1008
	s_wait_loadcnt_dscnt 0x901
	v_mul_f64_e32 v[145:146], v[137:138], v[16:17]
	v_mul_f64_e32 v[16:17], v[139:140], v[16:17]
	scratch_load_b128 v[10:13], off, off offset:496
	v_add_f64_e32 v[141:142], v[141:142], v[129:130]
	v_add_f64_e32 v[143:144], v[143:144], v[131:132]
	s_wait_loadcnt_dscnt 0x900
	v_mul_f64_e32 v[151:152], v[2:3], v[20:21]
	v_mul_f64_e32 v[20:21], v[4:5], v[20:21]
	ds_load_b128 v[129:132], v1 offset:1024
	v_fma_f64 v[139:140], v[139:140], v[14:15], v[145:146]
	v_fma_f64 v[137:138], v[137:138], v[14:15], -v[16:17]
	scratch_load_b128 v[14:17], off, off offset:512
	v_add_f64_e32 v[141:142], v[141:142], v[149:150]
	v_add_f64_e32 v[143:144], v[143:144], v[147:148]
	v_fma_f64 v[147:148], v[4:5], v[18:19], v[151:152]
	v_fma_f64 v[149:150], v[2:3], v[18:19], -v[20:21]
	ds_load_b128 v[2:5], v1 offset:1040
	s_wait_loadcnt_dscnt 0x901
	v_mul_f64_e32 v[145:146], v[129:130], v[24:25]
	v_mul_f64_e32 v[24:25], v[131:132], v[24:25]
	scratch_load_b128 v[18:21], off, off offset:528
	s_wait_loadcnt_dscnt 0x900
	v_mul_f64_e32 v[151:152], v[2:3], v[28:29]
	v_mul_f64_e32 v[28:29], v[4:5], v[28:29]
	v_add_f64_e32 v[141:142], v[141:142], v[137:138]
	v_add_f64_e32 v[143:144], v[143:144], v[139:140]
	ds_load_b128 v[137:140], v1 offset:1056
	v_fma_f64 v[131:132], v[131:132], v[22:23], v[145:146]
	v_fma_f64 v[129:130], v[129:130], v[22:23], -v[24:25]
	scratch_load_b128 v[22:25], off, off offset:544
	v_add_f64_e32 v[141:142], v[141:142], v[149:150]
	v_add_f64_e32 v[143:144], v[143:144], v[147:148]
	v_fma_f64 v[147:148], v[4:5], v[26:27], v[151:152]
	v_fma_f64 v[149:150], v[2:3], v[26:27], -v[28:29]
	ds_load_b128 v[2:5], v1 offset:1072
	s_wait_loadcnt_dscnt 0x901
	v_mul_f64_e32 v[145:146], v[137:138], v[32:33]
	v_mul_f64_e32 v[32:33], v[139:140], v[32:33]
	scratch_load_b128 v[26:29], off, off offset:560
	s_wait_loadcnt_dscnt 0x900
	v_mul_f64_e32 v[151:152], v[2:3], v[40:41]
	v_mul_f64_e32 v[40:41], v[4:5], v[40:41]
	v_add_f64_e32 v[141:142], v[141:142], v[129:130]
	v_add_f64_e32 v[143:144], v[143:144], v[131:132]
	ds_load_b128 v[129:132], v1 offset:1088
	v_fma_f64 v[139:140], v[139:140], v[30:31], v[145:146]
	v_fma_f64 v[137:138], v[137:138], v[30:31], -v[32:33]
	scratch_load_b128 v[30:33], off, off offset:576
	v_add_f64_e32 v[141:142], v[141:142], v[149:150]
	v_add_f64_e32 v[143:144], v[143:144], v[147:148]
	v_fma_f64 v[149:150], v[4:5], v[38:39], v[151:152]
	v_fma_f64 v[151:152], v[2:3], v[38:39], -v[40:41]
	ds_load_b128 v[2:5], v1 offset:1104
	s_wait_loadcnt_dscnt 0x801
	v_mul_f64_e32 v[145:146], v[129:130], v[135:136]
	v_mul_f64_e32 v[147:148], v[131:132], v[135:136]
	scratch_load_b128 v[38:41], off, off offset:592
	v_add_f64_e32 v[141:142], v[141:142], v[137:138]
	v_add_f64_e32 v[139:140], v[143:144], v[139:140]
	ds_load_b128 v[135:138], v1 offset:1120
	v_fma_f64 v[145:146], v[131:132], v[133:134], v[145:146]
	v_fma_f64 v[133:134], v[129:130], v[133:134], -v[147:148]
	scratch_load_b128 v[129:132], off, off offset:608
	s_wait_loadcnt_dscnt 0x901
	v_mul_f64_e32 v[143:144], v[2:3], v[36:37]
	v_mul_f64_e32 v[36:37], v[4:5], v[36:37]
	v_add_f64_e32 v[141:142], v[141:142], v[151:152]
	v_add_f64_e32 v[139:140], v[139:140], v[149:150]
	s_delay_alu instid0(VALU_DEP_4) | instskip(NEXT) | instid1(VALU_DEP_4)
	v_fma_f64 v[143:144], v[4:5], v[34:35], v[143:144]
	v_fma_f64 v[149:150], v[2:3], v[34:35], -v[36:37]
	ds_load_b128 v[2:5], v1 offset:1136
	s_wait_loadcnt_dscnt 0x801
	v_mul_f64_e32 v[147:148], v[135:136], v[8:9]
	v_mul_f64_e32 v[8:9], v[137:138], v[8:9]
	scratch_load_b128 v[34:37], off, off offset:624
	s_wait_loadcnt_dscnt 0x800
	v_mul_f64_e32 v[151:152], v[2:3], v[12:13]
	v_add_f64_e32 v[133:134], v[141:142], v[133:134]
	v_add_f64_e32 v[145:146], v[139:140], v[145:146]
	v_mul_f64_e32 v[12:13], v[4:5], v[12:13]
	ds_load_b128 v[139:142], v1 offset:1152
	v_fma_f64 v[137:138], v[137:138], v[6:7], v[147:148]
	v_fma_f64 v[135:136], v[135:136], v[6:7], -v[8:9]
	scratch_load_b128 v[6:9], off, off offset:640
	v_fma_f64 v[147:148], v[4:5], v[10:11], v[151:152]
	v_add_f64_e32 v[133:134], v[133:134], v[149:150]
	v_add_f64_e32 v[143:144], v[145:146], v[143:144]
	v_fma_f64 v[149:150], v[2:3], v[10:11], -v[12:13]
	ds_load_b128 v[2:5], v1 offset:1168
	s_wait_loadcnt_dscnt 0x801
	v_mul_f64_e32 v[145:146], v[139:140], v[16:17]
	v_mul_f64_e32 v[16:17], v[141:142], v[16:17]
	scratch_load_b128 v[10:13], off, off offset:656
	v_add_f64_e32 v[151:152], v[133:134], v[135:136]
	v_add_f64_e32 v[137:138], v[143:144], v[137:138]
	s_wait_loadcnt_dscnt 0x800
	v_mul_f64_e32 v[143:144], v[2:3], v[20:21]
	v_mul_f64_e32 v[20:21], v[4:5], v[20:21]
	v_fma_f64 v[141:142], v[141:142], v[14:15], v[145:146]
	v_fma_f64 v[14:15], v[139:140], v[14:15], -v[16:17]
	ds_load_b128 v[133:136], v1 offset:1184
	s_wait_loadcnt_dscnt 0x700
	v_mul_f64_e32 v[139:140], v[133:134], v[24:25]
	v_mul_f64_e32 v[24:25], v[135:136], v[24:25]
	v_add_f64_e32 v[16:17], v[151:152], v[149:150]
	v_add_f64_e32 v[137:138], v[137:138], v[147:148]
	v_fma_f64 v[143:144], v[4:5], v[18:19], v[143:144]
	v_fma_f64 v[18:19], v[2:3], v[18:19], -v[20:21]
	v_fma_f64 v[135:136], v[135:136], v[22:23], v[139:140]
	v_fma_f64 v[22:23], v[133:134], v[22:23], -v[24:25]
	v_add_f64_e32 v[20:21], v[16:17], v[14:15]
	v_add_f64_e32 v[137:138], v[137:138], v[141:142]
	ds_load_b128 v[2:5], v1 offset:1200
	ds_load_b128 v[14:17], v1 offset:1216
	s_wait_loadcnt_dscnt 0x601
	v_mul_f64_e32 v[141:142], v[2:3], v[28:29]
	v_mul_f64_e32 v[28:29], v[4:5], v[28:29]
	s_wait_loadcnt_dscnt 0x500
	v_mul_f64_e32 v[24:25], v[14:15], v[32:33]
	v_mul_f64_e32 v[32:33], v[16:17], v[32:33]
	v_add_f64_e32 v[18:19], v[20:21], v[18:19]
	v_add_f64_e32 v[20:21], v[137:138], v[143:144]
	v_fma_f64 v[133:134], v[4:5], v[26:27], v[141:142]
	v_fma_f64 v[26:27], v[2:3], v[26:27], -v[28:29]
	v_fma_f64 v[16:17], v[16:17], v[30:31], v[24:25]
	v_fma_f64 v[14:15], v[14:15], v[30:31], -v[32:33]
	v_add_f64_e32 v[22:23], v[18:19], v[22:23]
	v_add_f64_e32 v[28:29], v[20:21], v[135:136]
	ds_load_b128 v[2:5], v1 offset:1232
	ds_load_b128 v[18:21], v1 offset:1248
	s_wait_loadcnt_dscnt 0x401
	v_mul_f64_e32 v[135:136], v[2:3], v[40:41]
	v_mul_f64_e32 v[40:41], v[4:5], v[40:41]
	v_add_f64_e32 v[22:23], v[22:23], v[26:27]
	v_add_f64_e32 v[24:25], v[28:29], v[133:134]
	s_wait_loadcnt_dscnt 0x300
	v_mul_f64_e32 v[26:27], v[18:19], v[131:132]
	v_mul_f64_e32 v[28:29], v[20:21], v[131:132]
	v_fma_f64 v[30:31], v[4:5], v[38:39], v[135:136]
	v_fma_f64 v[32:33], v[2:3], v[38:39], -v[40:41]
	v_add_f64_e32 v[22:23], v[22:23], v[14:15]
	v_add_f64_e32 v[24:25], v[24:25], v[16:17]
	ds_load_b128 v[2:5], v1 offset:1264
	ds_load_b128 v[14:17], v1 offset:1280
	v_fma_f64 v[20:21], v[20:21], v[129:130], v[26:27]
	v_fma_f64 v[18:19], v[18:19], v[129:130], -v[28:29]
	s_wait_loadcnt_dscnt 0x201
	v_mul_f64_e32 v[38:39], v[2:3], v[36:37]
	v_mul_f64_e32 v[36:37], v[4:5], v[36:37]
	s_wait_loadcnt_dscnt 0x100
	v_mul_f64_e32 v[26:27], v[14:15], v[8:9]
	v_mul_f64_e32 v[8:9], v[16:17], v[8:9]
	v_add_f64_e32 v[22:23], v[22:23], v[32:33]
	v_add_f64_e32 v[24:25], v[24:25], v[30:31]
	v_fma_f64 v[28:29], v[4:5], v[34:35], v[38:39]
	v_fma_f64 v[30:31], v[2:3], v[34:35], -v[36:37]
	ds_load_b128 v[2:5], v1 offset:1296
	v_fma_f64 v[16:17], v[16:17], v[6:7], v[26:27]
	v_fma_f64 v[6:7], v[14:15], v[6:7], -v[8:9]
	v_add_f64_e32 v[18:19], v[22:23], v[18:19]
	v_add_f64_e32 v[20:21], v[24:25], v[20:21]
	s_wait_loadcnt_dscnt 0x0
	v_mul_f64_e32 v[22:23], v[2:3], v[12:13]
	v_mul_f64_e32 v[12:13], v[4:5], v[12:13]
	s_delay_alu instid0(VALU_DEP_4) | instskip(NEXT) | instid1(VALU_DEP_4)
	v_add_f64_e32 v[8:9], v[18:19], v[30:31]
	v_add_f64_e32 v[14:15], v[20:21], v[28:29]
	s_delay_alu instid0(VALU_DEP_4) | instskip(NEXT) | instid1(VALU_DEP_4)
	v_fma_f64 v[4:5], v[4:5], v[10:11], v[22:23]
	v_fma_f64 v[2:3], v[2:3], v[10:11], -v[12:13]
	s_delay_alu instid0(VALU_DEP_4) | instskip(NEXT) | instid1(VALU_DEP_4)
	v_add_f64_e32 v[6:7], v[8:9], v[6:7]
	v_add_f64_e32 v[8:9], v[14:15], v[16:17]
	s_delay_alu instid0(VALU_DEP_2) | instskip(NEXT) | instid1(VALU_DEP_2)
	v_add_f64_e32 v[2:3], v[6:7], v[2:3]
	v_add_f64_e32 v[4:5], v[8:9], v[4:5]
	s_delay_alu instid0(VALU_DEP_2) | instskip(NEXT) | instid1(VALU_DEP_2)
	v_add_f64_e64 v[2:3], v[42:43], -v[2:3]
	v_add_f64_e64 v[4:5], v[44:45], -v[4:5]
	scratch_store_b128 off, v[2:5], off offset:288
	v_cmpx_lt_u32_e32 16, v0
	s_cbranch_execz .LBB40_227
; %bb.226:
	scratch_load_b128 v[5:8], off, s38
	v_dual_mov_b32 v2, v1 :: v_dual_mov_b32 v3, v1
	v_mov_b32_e32 v4, v1
	scratch_store_b128 off, v[1:4], off offset:272
	s_wait_loadcnt 0x0
	ds_store_b128 v128, v[5:8]
.LBB40_227:
	s_wait_alu 0xfffe
	s_or_b32 exec_lo, exec_lo, s0
	s_wait_storecnt_dscnt 0x0
	s_barrier_signal -1
	s_barrier_wait -1
	global_inv scope:SCOPE_SE
	s_clause 0x8
	scratch_load_b128 v[2:5], off, off offset:288
	scratch_load_b128 v[6:9], off, off offset:304
	;; [unrolled: 1-line block ×9, first 2 shown]
	ds_load_b128 v[38:41], v1 offset:928
	ds_load_b128 v[42:45], v1 offset:944
	s_clause 0x1
	scratch_load_b128 v[129:132], off, off offset:272
	scratch_load_b128 v[133:136], off, off offset:432
	s_mov_b32 s0, exec_lo
	s_wait_loadcnt_dscnt 0xa01
	v_mul_f64_e32 v[137:138], v[40:41], v[4:5]
	v_mul_f64_e32 v[4:5], v[38:39], v[4:5]
	s_wait_loadcnt_dscnt 0x900
	v_mul_f64_e32 v[141:142], v[42:43], v[8:9]
	v_mul_f64_e32 v[8:9], v[44:45], v[8:9]
	s_delay_alu instid0(VALU_DEP_4) | instskip(NEXT) | instid1(VALU_DEP_4)
	v_fma_f64 v[143:144], v[38:39], v[2:3], -v[137:138]
	v_fma_f64 v[145:146], v[40:41], v[2:3], v[4:5]
	ds_load_b128 v[2:5], v1 offset:960
	ds_load_b128 v[137:140], v1 offset:976
	scratch_load_b128 v[38:41], off, off offset:448
	v_fma_f64 v[44:45], v[44:45], v[6:7], v[141:142]
	v_fma_f64 v[42:43], v[42:43], v[6:7], -v[8:9]
	scratch_load_b128 v[6:9], off, off offset:464
	s_wait_loadcnt_dscnt 0xa01
	v_mul_f64_e32 v[147:148], v[2:3], v[12:13]
	v_mul_f64_e32 v[12:13], v[4:5], v[12:13]
	v_add_f64_e32 v[141:142], 0, v[143:144]
	v_add_f64_e32 v[143:144], 0, v[145:146]
	s_wait_loadcnt_dscnt 0x900
	v_mul_f64_e32 v[145:146], v[137:138], v[16:17]
	v_mul_f64_e32 v[16:17], v[139:140], v[16:17]
	v_fma_f64 v[147:148], v[4:5], v[10:11], v[147:148]
	v_fma_f64 v[149:150], v[2:3], v[10:11], -v[12:13]
	ds_load_b128 v[2:5], v1 offset:992
	scratch_load_b128 v[10:13], off, off offset:480
	v_add_f64_e32 v[141:142], v[141:142], v[42:43]
	v_add_f64_e32 v[143:144], v[143:144], v[44:45]
	ds_load_b128 v[42:45], v1 offset:1008
	v_fma_f64 v[139:140], v[139:140], v[14:15], v[145:146]
	v_fma_f64 v[137:138], v[137:138], v[14:15], -v[16:17]
	scratch_load_b128 v[14:17], off, off offset:496
	s_wait_loadcnt_dscnt 0xa01
	v_mul_f64_e32 v[151:152], v[2:3], v[20:21]
	v_mul_f64_e32 v[20:21], v[4:5], v[20:21]
	s_wait_loadcnt_dscnt 0x900
	v_mul_f64_e32 v[145:146], v[42:43], v[24:25]
	v_mul_f64_e32 v[24:25], v[44:45], v[24:25]
	v_add_f64_e32 v[141:142], v[141:142], v[149:150]
	v_add_f64_e32 v[143:144], v[143:144], v[147:148]
	v_fma_f64 v[147:148], v[4:5], v[18:19], v[151:152]
	v_fma_f64 v[149:150], v[2:3], v[18:19], -v[20:21]
	ds_load_b128 v[2:5], v1 offset:1024
	scratch_load_b128 v[18:21], off, off offset:512
	v_fma_f64 v[44:45], v[44:45], v[22:23], v[145:146]
	v_fma_f64 v[42:43], v[42:43], v[22:23], -v[24:25]
	scratch_load_b128 v[22:25], off, off offset:528
	v_add_f64_e32 v[141:142], v[141:142], v[137:138]
	v_add_f64_e32 v[143:144], v[143:144], v[139:140]
	ds_load_b128 v[137:140], v1 offset:1040
	s_wait_loadcnt_dscnt 0xa01
	v_mul_f64_e32 v[151:152], v[2:3], v[28:29]
	v_mul_f64_e32 v[28:29], v[4:5], v[28:29]
	s_wait_loadcnt_dscnt 0x900
	v_mul_f64_e32 v[145:146], v[137:138], v[32:33]
	v_mul_f64_e32 v[32:33], v[139:140], v[32:33]
	v_add_f64_e32 v[141:142], v[141:142], v[149:150]
	v_add_f64_e32 v[143:144], v[143:144], v[147:148]
	v_fma_f64 v[147:148], v[4:5], v[26:27], v[151:152]
	v_fma_f64 v[149:150], v[2:3], v[26:27], -v[28:29]
	ds_load_b128 v[2:5], v1 offset:1056
	scratch_load_b128 v[26:29], off, off offset:544
	v_fma_f64 v[139:140], v[139:140], v[30:31], v[145:146]
	v_fma_f64 v[137:138], v[137:138], v[30:31], -v[32:33]
	scratch_load_b128 v[30:33], off, off offset:560
	v_add_f64_e32 v[141:142], v[141:142], v[42:43]
	v_add_f64_e32 v[143:144], v[143:144], v[44:45]
	ds_load_b128 v[42:45], v1 offset:1072
	s_wait_loadcnt_dscnt 0xa01
	v_mul_f64_e32 v[151:152], v[2:3], v[36:37]
	v_mul_f64_e32 v[36:37], v[4:5], v[36:37]
	s_wait_loadcnt_dscnt 0x800
	v_mul_f64_e32 v[145:146], v[42:43], v[135:136]
	v_add_f64_e32 v[141:142], v[141:142], v[149:150]
	v_add_f64_e32 v[143:144], v[143:144], v[147:148]
	v_mul_f64_e32 v[147:148], v[44:45], v[135:136]
	v_fma_f64 v[149:150], v[4:5], v[34:35], v[151:152]
	v_fma_f64 v[151:152], v[2:3], v[34:35], -v[36:37]
	ds_load_b128 v[2:5], v1 offset:1088
	scratch_load_b128 v[34:37], off, off offset:576
	v_fma_f64 v[44:45], v[44:45], v[133:134], v[145:146]
	v_add_f64_e32 v[141:142], v[141:142], v[137:138]
	v_add_f64_e32 v[139:140], v[143:144], v[139:140]
	ds_load_b128 v[135:138], v1 offset:1104
	v_fma_f64 v[133:134], v[42:43], v[133:134], -v[147:148]
	s_wait_loadcnt_dscnt 0x801
	v_mul_f64_e32 v[143:144], v[2:3], v[40:41]
	v_mul_f64_e32 v[153:154], v[4:5], v[40:41]
	scratch_load_b128 v[40:43], off, off offset:592
	s_wait_loadcnt_dscnt 0x800
	v_mul_f64_e32 v[147:148], v[135:136], v[8:9]
	v_mul_f64_e32 v[8:9], v[137:138], v[8:9]
	v_add_f64_e32 v[141:142], v[141:142], v[151:152]
	v_add_f64_e32 v[139:140], v[139:140], v[149:150]
	v_fma_f64 v[149:150], v[4:5], v[38:39], v[143:144]
	v_fma_f64 v[38:39], v[2:3], v[38:39], -v[153:154]
	ds_load_b128 v[2:5], v1 offset:1120
	ds_load_b128 v[143:146], v1 offset:1136
	v_fma_f64 v[137:138], v[137:138], v[6:7], v[147:148]
	v_fma_f64 v[135:136], v[135:136], v[6:7], -v[8:9]
	scratch_load_b128 v[6:9], off, off offset:624
	v_add_f64_e32 v[133:134], v[141:142], v[133:134]
	v_add_f64_e32 v[44:45], v[139:140], v[44:45]
	scratch_load_b128 v[139:142], off, off offset:608
	s_wait_loadcnt_dscnt 0x901
	v_mul_f64_e32 v[151:152], v[2:3], v[12:13]
	v_mul_f64_e32 v[12:13], v[4:5], v[12:13]
	s_wait_loadcnt_dscnt 0x800
	v_mul_f64_e32 v[147:148], v[143:144], v[16:17]
	v_mul_f64_e32 v[16:17], v[145:146], v[16:17]
	v_add_f64_e32 v[38:39], v[133:134], v[38:39]
	v_add_f64_e32 v[44:45], v[44:45], v[149:150]
	v_fma_f64 v[149:150], v[4:5], v[10:11], v[151:152]
	v_fma_f64 v[151:152], v[2:3], v[10:11], -v[12:13]
	ds_load_b128 v[2:5], v1 offset:1152
	scratch_load_b128 v[10:13], off, off offset:640
	v_fma_f64 v[145:146], v[145:146], v[14:15], v[147:148]
	v_fma_f64 v[143:144], v[143:144], v[14:15], -v[16:17]
	scratch_load_b128 v[14:17], off, off offset:656
	v_add_f64_e32 v[38:39], v[38:39], v[135:136]
	v_add_f64_e32 v[44:45], v[44:45], v[137:138]
	ds_load_b128 v[133:136], v1 offset:1168
	s_wait_loadcnt_dscnt 0x901
	v_mul_f64_e32 v[137:138], v[2:3], v[20:21]
	v_mul_f64_e32 v[20:21], v[4:5], v[20:21]
	s_wait_loadcnt_dscnt 0x800
	v_mul_f64_e32 v[147:148], v[133:134], v[24:25]
	v_mul_f64_e32 v[24:25], v[135:136], v[24:25]
	v_add_f64_e32 v[38:39], v[38:39], v[151:152]
	v_add_f64_e32 v[44:45], v[44:45], v[149:150]
	v_fma_f64 v[137:138], v[4:5], v[18:19], v[137:138]
	v_fma_f64 v[149:150], v[2:3], v[18:19], -v[20:21]
	ds_load_b128 v[2:5], v1 offset:1184
	ds_load_b128 v[18:21], v1 offset:1200
	v_fma_f64 v[135:136], v[135:136], v[22:23], v[147:148]
	v_fma_f64 v[22:23], v[133:134], v[22:23], -v[24:25]
	v_add_f64_e32 v[38:39], v[38:39], v[143:144]
	v_add_f64_e32 v[44:45], v[44:45], v[145:146]
	s_wait_loadcnt_dscnt 0x701
	v_mul_f64_e32 v[143:144], v[2:3], v[28:29]
	v_mul_f64_e32 v[28:29], v[4:5], v[28:29]
	s_delay_alu instid0(VALU_DEP_4) | instskip(NEXT) | instid1(VALU_DEP_4)
	v_add_f64_e32 v[24:25], v[38:39], v[149:150]
	v_add_f64_e32 v[38:39], v[44:45], v[137:138]
	s_wait_loadcnt_dscnt 0x600
	v_mul_f64_e32 v[44:45], v[18:19], v[32:33]
	v_mul_f64_e32 v[32:33], v[20:21], v[32:33]
	v_fma_f64 v[133:134], v[4:5], v[26:27], v[143:144]
	v_fma_f64 v[26:27], v[2:3], v[26:27], -v[28:29]
	v_add_f64_e32 v[28:29], v[24:25], v[22:23]
	v_add_f64_e32 v[38:39], v[38:39], v[135:136]
	ds_load_b128 v[2:5], v1 offset:1216
	ds_load_b128 v[22:25], v1 offset:1232
	v_fma_f64 v[20:21], v[20:21], v[30:31], v[44:45]
	v_fma_f64 v[18:19], v[18:19], v[30:31], -v[32:33]
	s_wait_loadcnt_dscnt 0x501
	v_mul_f64_e32 v[135:136], v[2:3], v[36:37]
	v_mul_f64_e32 v[36:37], v[4:5], v[36:37]
	s_wait_loadcnt_dscnt 0x400
	v_mul_f64_e32 v[30:31], v[22:23], v[42:43]
	v_add_f64_e32 v[26:27], v[28:29], v[26:27]
	v_add_f64_e32 v[28:29], v[38:39], v[133:134]
	v_mul_f64_e32 v[32:33], v[24:25], v[42:43]
	v_fma_f64 v[38:39], v[4:5], v[34:35], v[135:136]
	v_fma_f64 v[34:35], v[2:3], v[34:35], -v[36:37]
	v_fma_f64 v[24:25], v[24:25], v[40:41], v[30:31]
	v_add_f64_e32 v[26:27], v[26:27], v[18:19]
	v_add_f64_e32 v[28:29], v[28:29], v[20:21]
	ds_load_b128 v[2:5], v1 offset:1248
	ds_load_b128 v[18:21], v1 offset:1264
	v_fma_f64 v[22:23], v[22:23], v[40:41], -v[32:33]
	s_wait_loadcnt_dscnt 0x201
	v_mul_f64_e32 v[36:37], v[2:3], v[141:142]
	v_mul_f64_e32 v[42:43], v[4:5], v[141:142]
	s_wait_dscnt 0x0
	v_mul_f64_e32 v[30:31], v[18:19], v[8:9]
	v_mul_f64_e32 v[8:9], v[20:21], v[8:9]
	v_add_f64_e32 v[26:27], v[26:27], v[34:35]
	v_add_f64_e32 v[28:29], v[28:29], v[38:39]
	v_fma_f64 v[32:33], v[4:5], v[139:140], v[36:37]
	v_fma_f64 v[34:35], v[2:3], v[139:140], -v[42:43]
	v_fma_f64 v[20:21], v[20:21], v[6:7], v[30:31]
	v_fma_f64 v[6:7], v[18:19], v[6:7], -v[8:9]
	v_add_f64_e32 v[26:27], v[26:27], v[22:23]
	v_add_f64_e32 v[28:29], v[28:29], v[24:25]
	ds_load_b128 v[2:5], v1 offset:1280
	ds_load_b128 v[22:25], v1 offset:1296
	s_wait_loadcnt_dscnt 0x101
	v_mul_f64_e32 v[36:37], v[2:3], v[12:13]
	v_mul_f64_e32 v[12:13], v[4:5], v[12:13]
	v_add_f64_e32 v[8:9], v[26:27], v[34:35]
	v_add_f64_e32 v[18:19], v[28:29], v[32:33]
	s_wait_loadcnt_dscnt 0x0
	v_mul_f64_e32 v[26:27], v[22:23], v[16:17]
	v_mul_f64_e32 v[16:17], v[24:25], v[16:17]
	v_fma_f64 v[4:5], v[4:5], v[10:11], v[36:37]
	v_fma_f64 v[1:2], v[2:3], v[10:11], -v[12:13]
	v_add_f64_e32 v[6:7], v[8:9], v[6:7]
	v_add_f64_e32 v[8:9], v[18:19], v[20:21]
	v_fma_f64 v[10:11], v[24:25], v[14:15], v[26:27]
	v_fma_f64 v[12:13], v[22:23], v[14:15], -v[16:17]
	s_delay_alu instid0(VALU_DEP_4) | instskip(NEXT) | instid1(VALU_DEP_4)
	v_add_f64_e32 v[1:2], v[6:7], v[1:2]
	v_add_f64_e32 v[3:4], v[8:9], v[4:5]
	s_delay_alu instid0(VALU_DEP_2) | instskip(NEXT) | instid1(VALU_DEP_2)
	v_add_f64_e32 v[1:2], v[1:2], v[12:13]
	v_add_f64_e32 v[3:4], v[3:4], v[10:11]
	s_delay_alu instid0(VALU_DEP_2) | instskip(NEXT) | instid1(VALU_DEP_2)
	v_add_f64_e64 v[1:2], v[129:130], -v[1:2]
	v_add_f64_e64 v[3:4], v[131:132], -v[3:4]
	scratch_store_b128 off, v[1:4], off offset:272
	v_cmpx_lt_u32_e32 15, v0
	s_cbranch_execz .LBB40_229
; %bb.228:
	scratch_load_b128 v[1:4], off, s39
	v_mov_b32_e32 v5, 0
	s_delay_alu instid0(VALU_DEP_1)
	v_dual_mov_b32 v6, v5 :: v_dual_mov_b32 v7, v5
	v_mov_b32_e32 v8, v5
	scratch_store_b128 off, v[5:8], off offset:256
	s_wait_loadcnt 0x0
	ds_store_b128 v128, v[1:4]
.LBB40_229:
	s_wait_alu 0xfffe
	s_or_b32 exec_lo, exec_lo, s0
	s_wait_storecnt_dscnt 0x0
	s_barrier_signal -1
	s_barrier_wait -1
	global_inv scope:SCOPE_SE
	s_clause 0x7
	scratch_load_b128 v[2:5], off, off offset:272
	scratch_load_b128 v[6:9], off, off offset:288
	;; [unrolled: 1-line block ×8, first 2 shown]
	v_mov_b32_e32 v1, 0
	s_mov_b32 s0, exec_lo
	ds_load_b128 v[34:37], v1 offset:912
	s_clause 0x1
	scratch_load_b128 v[38:41], off, off offset:400
	scratch_load_b128 v[42:45], off, off offset:256
	ds_load_b128 v[129:132], v1 offset:928
	scratch_load_b128 v[133:136], off, off offset:416
	s_wait_loadcnt_dscnt 0xa01
	v_mul_f64_e32 v[137:138], v[36:37], v[4:5]
	v_mul_f64_e32 v[4:5], v[34:35], v[4:5]
	s_delay_alu instid0(VALU_DEP_2) | instskip(NEXT) | instid1(VALU_DEP_2)
	v_fma_f64 v[143:144], v[34:35], v[2:3], -v[137:138]
	v_fma_f64 v[145:146], v[36:37], v[2:3], v[4:5]
	ds_load_b128 v[2:5], v1 offset:944
	s_wait_loadcnt_dscnt 0x901
	v_mul_f64_e32 v[141:142], v[129:130], v[8:9]
	v_mul_f64_e32 v[8:9], v[131:132], v[8:9]
	scratch_load_b128 v[34:37], off, off offset:432
	ds_load_b128 v[137:140], v1 offset:960
	s_wait_loadcnt_dscnt 0x901
	v_mul_f64_e32 v[147:148], v[2:3], v[12:13]
	v_mul_f64_e32 v[12:13], v[4:5], v[12:13]
	v_fma_f64 v[131:132], v[131:132], v[6:7], v[141:142]
	v_fma_f64 v[129:130], v[129:130], v[6:7], -v[8:9]
	v_add_f64_e32 v[141:142], 0, v[143:144]
	v_add_f64_e32 v[143:144], 0, v[145:146]
	scratch_load_b128 v[6:9], off, off offset:448
	v_fma_f64 v[147:148], v[4:5], v[10:11], v[147:148]
	v_fma_f64 v[149:150], v[2:3], v[10:11], -v[12:13]
	ds_load_b128 v[2:5], v1 offset:976
	s_wait_loadcnt_dscnt 0x901
	v_mul_f64_e32 v[145:146], v[137:138], v[16:17]
	v_mul_f64_e32 v[16:17], v[139:140], v[16:17]
	scratch_load_b128 v[10:13], off, off offset:464
	v_add_f64_e32 v[141:142], v[141:142], v[129:130]
	v_add_f64_e32 v[143:144], v[143:144], v[131:132]
	s_wait_loadcnt_dscnt 0x900
	v_mul_f64_e32 v[151:152], v[2:3], v[20:21]
	v_mul_f64_e32 v[20:21], v[4:5], v[20:21]
	ds_load_b128 v[129:132], v1 offset:992
	v_fma_f64 v[139:140], v[139:140], v[14:15], v[145:146]
	v_fma_f64 v[137:138], v[137:138], v[14:15], -v[16:17]
	scratch_load_b128 v[14:17], off, off offset:480
	v_add_f64_e32 v[141:142], v[141:142], v[149:150]
	v_add_f64_e32 v[143:144], v[143:144], v[147:148]
	v_fma_f64 v[147:148], v[4:5], v[18:19], v[151:152]
	v_fma_f64 v[149:150], v[2:3], v[18:19], -v[20:21]
	ds_load_b128 v[2:5], v1 offset:1008
	s_wait_loadcnt_dscnt 0x901
	v_mul_f64_e32 v[145:146], v[129:130], v[24:25]
	v_mul_f64_e32 v[24:25], v[131:132], v[24:25]
	scratch_load_b128 v[18:21], off, off offset:496
	s_wait_loadcnt_dscnt 0x900
	v_mul_f64_e32 v[151:152], v[2:3], v[28:29]
	v_mul_f64_e32 v[28:29], v[4:5], v[28:29]
	v_add_f64_e32 v[141:142], v[141:142], v[137:138]
	v_add_f64_e32 v[143:144], v[143:144], v[139:140]
	ds_load_b128 v[137:140], v1 offset:1024
	v_fma_f64 v[131:132], v[131:132], v[22:23], v[145:146]
	v_fma_f64 v[129:130], v[129:130], v[22:23], -v[24:25]
	scratch_load_b128 v[22:25], off, off offset:512
	v_add_f64_e32 v[141:142], v[141:142], v[149:150]
	v_add_f64_e32 v[143:144], v[143:144], v[147:148]
	v_fma_f64 v[147:148], v[4:5], v[26:27], v[151:152]
	v_fma_f64 v[149:150], v[2:3], v[26:27], -v[28:29]
	ds_load_b128 v[2:5], v1 offset:1040
	s_wait_loadcnt_dscnt 0x901
	v_mul_f64_e32 v[145:146], v[137:138], v[32:33]
	v_mul_f64_e32 v[32:33], v[139:140], v[32:33]
	scratch_load_b128 v[26:29], off, off offset:528
	s_wait_loadcnt_dscnt 0x900
	v_mul_f64_e32 v[151:152], v[2:3], v[40:41]
	v_mul_f64_e32 v[40:41], v[4:5], v[40:41]
	v_add_f64_e32 v[141:142], v[141:142], v[129:130]
	v_add_f64_e32 v[143:144], v[143:144], v[131:132]
	ds_load_b128 v[129:132], v1 offset:1056
	v_fma_f64 v[139:140], v[139:140], v[30:31], v[145:146]
	v_fma_f64 v[137:138], v[137:138], v[30:31], -v[32:33]
	scratch_load_b128 v[30:33], off, off offset:544
	v_add_f64_e32 v[141:142], v[141:142], v[149:150]
	v_add_f64_e32 v[143:144], v[143:144], v[147:148]
	v_fma_f64 v[149:150], v[4:5], v[38:39], v[151:152]
	v_fma_f64 v[151:152], v[2:3], v[38:39], -v[40:41]
	ds_load_b128 v[2:5], v1 offset:1072
	s_wait_loadcnt_dscnt 0x801
	v_mul_f64_e32 v[145:146], v[129:130], v[135:136]
	v_mul_f64_e32 v[147:148], v[131:132], v[135:136]
	scratch_load_b128 v[38:41], off, off offset:560
	v_add_f64_e32 v[141:142], v[141:142], v[137:138]
	v_add_f64_e32 v[139:140], v[143:144], v[139:140]
	ds_load_b128 v[135:138], v1 offset:1088
	v_fma_f64 v[145:146], v[131:132], v[133:134], v[145:146]
	v_fma_f64 v[133:134], v[129:130], v[133:134], -v[147:148]
	scratch_load_b128 v[129:132], off, off offset:576
	s_wait_loadcnt_dscnt 0x901
	v_mul_f64_e32 v[143:144], v[2:3], v[36:37]
	v_mul_f64_e32 v[36:37], v[4:5], v[36:37]
	v_add_f64_e32 v[141:142], v[141:142], v[151:152]
	v_add_f64_e32 v[139:140], v[139:140], v[149:150]
	s_delay_alu instid0(VALU_DEP_4) | instskip(NEXT) | instid1(VALU_DEP_4)
	v_fma_f64 v[143:144], v[4:5], v[34:35], v[143:144]
	v_fma_f64 v[149:150], v[2:3], v[34:35], -v[36:37]
	ds_load_b128 v[2:5], v1 offset:1104
	s_wait_loadcnt_dscnt 0x801
	v_mul_f64_e32 v[147:148], v[135:136], v[8:9]
	v_mul_f64_e32 v[8:9], v[137:138], v[8:9]
	scratch_load_b128 v[34:37], off, off offset:592
	s_wait_loadcnt_dscnt 0x800
	v_mul_f64_e32 v[151:152], v[2:3], v[12:13]
	v_add_f64_e32 v[133:134], v[141:142], v[133:134]
	v_add_f64_e32 v[145:146], v[139:140], v[145:146]
	v_mul_f64_e32 v[12:13], v[4:5], v[12:13]
	ds_load_b128 v[139:142], v1 offset:1120
	v_fma_f64 v[137:138], v[137:138], v[6:7], v[147:148]
	v_fma_f64 v[135:136], v[135:136], v[6:7], -v[8:9]
	scratch_load_b128 v[6:9], off, off offset:608
	v_fma_f64 v[147:148], v[4:5], v[10:11], v[151:152]
	v_add_f64_e32 v[133:134], v[133:134], v[149:150]
	v_add_f64_e32 v[143:144], v[145:146], v[143:144]
	v_fma_f64 v[149:150], v[2:3], v[10:11], -v[12:13]
	ds_load_b128 v[2:5], v1 offset:1136
	s_wait_loadcnt_dscnt 0x801
	v_mul_f64_e32 v[145:146], v[139:140], v[16:17]
	v_mul_f64_e32 v[16:17], v[141:142], v[16:17]
	scratch_load_b128 v[10:13], off, off offset:624
	v_add_f64_e32 v[151:152], v[133:134], v[135:136]
	v_add_f64_e32 v[137:138], v[143:144], v[137:138]
	s_wait_loadcnt_dscnt 0x800
	v_mul_f64_e32 v[143:144], v[2:3], v[20:21]
	v_mul_f64_e32 v[20:21], v[4:5], v[20:21]
	v_fma_f64 v[141:142], v[141:142], v[14:15], v[145:146]
	v_fma_f64 v[139:140], v[139:140], v[14:15], -v[16:17]
	ds_load_b128 v[133:136], v1 offset:1152
	scratch_load_b128 v[14:17], off, off offset:640
	v_add_f64_e32 v[145:146], v[151:152], v[149:150]
	v_add_f64_e32 v[137:138], v[137:138], v[147:148]
	v_fma_f64 v[143:144], v[4:5], v[18:19], v[143:144]
	v_fma_f64 v[149:150], v[2:3], v[18:19], -v[20:21]
	ds_load_b128 v[2:5], v1 offset:1168
	s_wait_loadcnt_dscnt 0x801
	v_mul_f64_e32 v[147:148], v[133:134], v[24:25]
	v_mul_f64_e32 v[24:25], v[135:136], v[24:25]
	scratch_load_b128 v[18:21], off, off offset:656
	s_wait_loadcnt_dscnt 0x800
	v_mul_f64_e32 v[151:152], v[2:3], v[28:29]
	v_mul_f64_e32 v[28:29], v[4:5], v[28:29]
	v_add_f64_e32 v[145:146], v[145:146], v[139:140]
	v_add_f64_e32 v[141:142], v[137:138], v[141:142]
	ds_load_b128 v[137:140], v1 offset:1184
	v_fma_f64 v[135:136], v[135:136], v[22:23], v[147:148]
	v_fma_f64 v[22:23], v[133:134], v[22:23], -v[24:25]
	v_add_f64_e32 v[24:25], v[145:146], v[149:150]
	v_add_f64_e32 v[133:134], v[141:142], v[143:144]
	s_wait_loadcnt_dscnt 0x700
	v_mul_f64_e32 v[141:142], v[137:138], v[32:33]
	v_mul_f64_e32 v[32:33], v[139:140], v[32:33]
	v_fma_f64 v[143:144], v[4:5], v[26:27], v[151:152]
	v_fma_f64 v[26:27], v[2:3], v[26:27], -v[28:29]
	v_add_f64_e32 v[28:29], v[24:25], v[22:23]
	v_add_f64_e32 v[133:134], v[133:134], v[135:136]
	ds_load_b128 v[2:5], v1 offset:1200
	ds_load_b128 v[22:25], v1 offset:1216
	v_fma_f64 v[139:140], v[139:140], v[30:31], v[141:142]
	v_fma_f64 v[30:31], v[137:138], v[30:31], -v[32:33]
	s_wait_loadcnt_dscnt 0x601
	v_mul_f64_e32 v[135:136], v[2:3], v[40:41]
	v_mul_f64_e32 v[40:41], v[4:5], v[40:41]
	s_wait_loadcnt_dscnt 0x500
	v_mul_f64_e32 v[32:33], v[22:23], v[131:132]
	v_mul_f64_e32 v[131:132], v[24:25], v[131:132]
	v_add_f64_e32 v[26:27], v[28:29], v[26:27]
	v_add_f64_e32 v[28:29], v[133:134], v[143:144]
	v_fma_f64 v[133:134], v[4:5], v[38:39], v[135:136]
	v_fma_f64 v[38:39], v[2:3], v[38:39], -v[40:41]
	v_fma_f64 v[24:25], v[24:25], v[129:130], v[32:33]
	v_fma_f64 v[22:23], v[22:23], v[129:130], -v[131:132]
	v_add_f64_e32 v[30:31], v[26:27], v[30:31]
	v_add_f64_e32 v[40:41], v[28:29], v[139:140]
	ds_load_b128 v[2:5], v1 offset:1232
	ds_load_b128 v[26:29], v1 offset:1248
	s_wait_loadcnt_dscnt 0x401
	v_mul_f64_e32 v[135:136], v[2:3], v[36:37]
	v_mul_f64_e32 v[36:37], v[4:5], v[36:37]
	v_add_f64_e32 v[30:31], v[30:31], v[38:39]
	v_add_f64_e32 v[32:33], v[40:41], v[133:134]
	s_wait_loadcnt_dscnt 0x300
	v_mul_f64_e32 v[38:39], v[26:27], v[8:9]
	v_mul_f64_e32 v[8:9], v[28:29], v[8:9]
	v_fma_f64 v[40:41], v[4:5], v[34:35], v[135:136]
	v_fma_f64 v[34:35], v[2:3], v[34:35], -v[36:37]
	v_add_f64_e32 v[30:31], v[30:31], v[22:23]
	v_add_f64_e32 v[32:33], v[32:33], v[24:25]
	ds_load_b128 v[2:5], v1 offset:1264
	ds_load_b128 v[22:25], v1 offset:1280
	v_fma_f64 v[28:29], v[28:29], v[6:7], v[38:39]
	v_fma_f64 v[6:7], v[26:27], v[6:7], -v[8:9]
	s_wait_loadcnt_dscnt 0x201
	v_mul_f64_e32 v[36:37], v[2:3], v[12:13]
	v_mul_f64_e32 v[12:13], v[4:5], v[12:13]
	v_add_f64_e32 v[8:9], v[30:31], v[34:35]
	v_add_f64_e32 v[26:27], v[32:33], v[40:41]
	s_wait_loadcnt_dscnt 0x100
	v_mul_f64_e32 v[30:31], v[22:23], v[16:17]
	v_mul_f64_e32 v[16:17], v[24:25], v[16:17]
	v_fma_f64 v[32:33], v[4:5], v[10:11], v[36:37]
	v_fma_f64 v[10:11], v[2:3], v[10:11], -v[12:13]
	ds_load_b128 v[2:5], v1 offset:1296
	v_add_f64_e32 v[6:7], v[8:9], v[6:7]
	v_add_f64_e32 v[8:9], v[26:27], v[28:29]
	v_fma_f64 v[24:25], v[24:25], v[14:15], v[30:31]
	v_fma_f64 v[14:15], v[22:23], v[14:15], -v[16:17]
	s_wait_loadcnt_dscnt 0x0
	v_mul_f64_e32 v[12:13], v[2:3], v[20:21]
	v_mul_f64_e32 v[20:21], v[4:5], v[20:21]
	v_add_f64_e32 v[6:7], v[6:7], v[10:11]
	v_add_f64_e32 v[8:9], v[8:9], v[32:33]
	s_delay_alu instid0(VALU_DEP_4) | instskip(NEXT) | instid1(VALU_DEP_4)
	v_fma_f64 v[4:5], v[4:5], v[18:19], v[12:13]
	v_fma_f64 v[2:3], v[2:3], v[18:19], -v[20:21]
	s_delay_alu instid0(VALU_DEP_4) | instskip(NEXT) | instid1(VALU_DEP_4)
	v_add_f64_e32 v[6:7], v[6:7], v[14:15]
	v_add_f64_e32 v[8:9], v[8:9], v[24:25]
	s_delay_alu instid0(VALU_DEP_2) | instskip(NEXT) | instid1(VALU_DEP_2)
	v_add_f64_e32 v[2:3], v[6:7], v[2:3]
	v_add_f64_e32 v[4:5], v[8:9], v[4:5]
	s_delay_alu instid0(VALU_DEP_2) | instskip(NEXT) | instid1(VALU_DEP_2)
	v_add_f64_e64 v[2:3], v[42:43], -v[2:3]
	v_add_f64_e64 v[4:5], v[44:45], -v[4:5]
	scratch_store_b128 off, v[2:5], off offset:256
	v_cmpx_lt_u32_e32 14, v0
	s_cbranch_execz .LBB40_231
; %bb.230:
	scratch_load_b128 v[5:8], off, s40
	v_dual_mov_b32 v2, v1 :: v_dual_mov_b32 v3, v1
	v_mov_b32_e32 v4, v1
	scratch_store_b128 off, v[1:4], off offset:240
	s_wait_loadcnt 0x0
	ds_store_b128 v128, v[5:8]
.LBB40_231:
	s_wait_alu 0xfffe
	s_or_b32 exec_lo, exec_lo, s0
	s_wait_storecnt_dscnt 0x0
	s_barrier_signal -1
	s_barrier_wait -1
	global_inv scope:SCOPE_SE
	s_clause 0x8
	scratch_load_b128 v[2:5], off, off offset:256
	scratch_load_b128 v[6:9], off, off offset:272
	scratch_load_b128 v[10:13], off, off offset:288
	scratch_load_b128 v[14:17], off, off offset:304
	scratch_load_b128 v[18:21], off, off offset:320
	scratch_load_b128 v[22:25], off, off offset:336
	scratch_load_b128 v[26:29], off, off offset:352
	scratch_load_b128 v[30:33], off, off offset:368
	scratch_load_b128 v[34:37], off, off offset:384
	ds_load_b128 v[38:41], v1 offset:896
	ds_load_b128 v[42:45], v1 offset:912
	s_clause 0x1
	scratch_load_b128 v[129:132], off, off offset:240
	scratch_load_b128 v[133:136], off, off offset:400
	s_mov_b32 s0, exec_lo
	s_wait_loadcnt_dscnt 0xa01
	v_mul_f64_e32 v[137:138], v[40:41], v[4:5]
	v_mul_f64_e32 v[4:5], v[38:39], v[4:5]
	s_wait_loadcnt_dscnt 0x900
	v_mul_f64_e32 v[141:142], v[42:43], v[8:9]
	v_mul_f64_e32 v[8:9], v[44:45], v[8:9]
	s_delay_alu instid0(VALU_DEP_4) | instskip(NEXT) | instid1(VALU_DEP_4)
	v_fma_f64 v[143:144], v[38:39], v[2:3], -v[137:138]
	v_fma_f64 v[145:146], v[40:41], v[2:3], v[4:5]
	ds_load_b128 v[2:5], v1 offset:928
	ds_load_b128 v[137:140], v1 offset:944
	scratch_load_b128 v[38:41], off, off offset:416
	v_fma_f64 v[44:45], v[44:45], v[6:7], v[141:142]
	v_fma_f64 v[42:43], v[42:43], v[6:7], -v[8:9]
	scratch_load_b128 v[6:9], off, off offset:432
	s_wait_loadcnt_dscnt 0xa01
	v_mul_f64_e32 v[147:148], v[2:3], v[12:13]
	v_mul_f64_e32 v[12:13], v[4:5], v[12:13]
	v_add_f64_e32 v[141:142], 0, v[143:144]
	v_add_f64_e32 v[143:144], 0, v[145:146]
	s_wait_loadcnt_dscnt 0x900
	v_mul_f64_e32 v[145:146], v[137:138], v[16:17]
	v_mul_f64_e32 v[16:17], v[139:140], v[16:17]
	v_fma_f64 v[147:148], v[4:5], v[10:11], v[147:148]
	v_fma_f64 v[149:150], v[2:3], v[10:11], -v[12:13]
	ds_load_b128 v[2:5], v1 offset:960
	scratch_load_b128 v[10:13], off, off offset:448
	v_add_f64_e32 v[141:142], v[141:142], v[42:43]
	v_add_f64_e32 v[143:144], v[143:144], v[44:45]
	ds_load_b128 v[42:45], v1 offset:976
	v_fma_f64 v[139:140], v[139:140], v[14:15], v[145:146]
	v_fma_f64 v[137:138], v[137:138], v[14:15], -v[16:17]
	scratch_load_b128 v[14:17], off, off offset:464
	s_wait_loadcnt_dscnt 0xa01
	v_mul_f64_e32 v[151:152], v[2:3], v[20:21]
	v_mul_f64_e32 v[20:21], v[4:5], v[20:21]
	s_wait_loadcnt_dscnt 0x900
	v_mul_f64_e32 v[145:146], v[42:43], v[24:25]
	v_mul_f64_e32 v[24:25], v[44:45], v[24:25]
	v_add_f64_e32 v[141:142], v[141:142], v[149:150]
	v_add_f64_e32 v[143:144], v[143:144], v[147:148]
	v_fma_f64 v[147:148], v[4:5], v[18:19], v[151:152]
	v_fma_f64 v[149:150], v[2:3], v[18:19], -v[20:21]
	ds_load_b128 v[2:5], v1 offset:992
	scratch_load_b128 v[18:21], off, off offset:480
	v_fma_f64 v[44:45], v[44:45], v[22:23], v[145:146]
	v_fma_f64 v[42:43], v[42:43], v[22:23], -v[24:25]
	scratch_load_b128 v[22:25], off, off offset:496
	v_add_f64_e32 v[141:142], v[141:142], v[137:138]
	v_add_f64_e32 v[143:144], v[143:144], v[139:140]
	ds_load_b128 v[137:140], v1 offset:1008
	s_wait_loadcnt_dscnt 0xa01
	v_mul_f64_e32 v[151:152], v[2:3], v[28:29]
	v_mul_f64_e32 v[28:29], v[4:5], v[28:29]
	s_wait_loadcnt_dscnt 0x900
	v_mul_f64_e32 v[145:146], v[137:138], v[32:33]
	v_mul_f64_e32 v[32:33], v[139:140], v[32:33]
	v_add_f64_e32 v[141:142], v[141:142], v[149:150]
	v_add_f64_e32 v[143:144], v[143:144], v[147:148]
	v_fma_f64 v[147:148], v[4:5], v[26:27], v[151:152]
	v_fma_f64 v[149:150], v[2:3], v[26:27], -v[28:29]
	ds_load_b128 v[2:5], v1 offset:1024
	scratch_load_b128 v[26:29], off, off offset:512
	v_fma_f64 v[139:140], v[139:140], v[30:31], v[145:146]
	v_fma_f64 v[137:138], v[137:138], v[30:31], -v[32:33]
	scratch_load_b128 v[30:33], off, off offset:528
	v_add_f64_e32 v[141:142], v[141:142], v[42:43]
	v_add_f64_e32 v[143:144], v[143:144], v[44:45]
	ds_load_b128 v[42:45], v1 offset:1040
	s_wait_loadcnt_dscnt 0xa01
	v_mul_f64_e32 v[151:152], v[2:3], v[36:37]
	v_mul_f64_e32 v[36:37], v[4:5], v[36:37]
	s_wait_loadcnt_dscnt 0x800
	v_mul_f64_e32 v[145:146], v[42:43], v[135:136]
	v_add_f64_e32 v[141:142], v[141:142], v[149:150]
	v_add_f64_e32 v[143:144], v[143:144], v[147:148]
	v_mul_f64_e32 v[147:148], v[44:45], v[135:136]
	v_fma_f64 v[149:150], v[4:5], v[34:35], v[151:152]
	v_fma_f64 v[151:152], v[2:3], v[34:35], -v[36:37]
	ds_load_b128 v[2:5], v1 offset:1056
	scratch_load_b128 v[34:37], off, off offset:544
	v_fma_f64 v[44:45], v[44:45], v[133:134], v[145:146]
	v_add_f64_e32 v[141:142], v[141:142], v[137:138]
	v_add_f64_e32 v[139:140], v[143:144], v[139:140]
	ds_load_b128 v[135:138], v1 offset:1072
	v_fma_f64 v[133:134], v[42:43], v[133:134], -v[147:148]
	s_wait_loadcnt_dscnt 0x801
	v_mul_f64_e32 v[143:144], v[2:3], v[40:41]
	v_mul_f64_e32 v[153:154], v[4:5], v[40:41]
	scratch_load_b128 v[40:43], off, off offset:560
	s_wait_loadcnt_dscnt 0x800
	v_mul_f64_e32 v[147:148], v[135:136], v[8:9]
	v_mul_f64_e32 v[8:9], v[137:138], v[8:9]
	v_add_f64_e32 v[141:142], v[141:142], v[151:152]
	v_add_f64_e32 v[139:140], v[139:140], v[149:150]
	v_fma_f64 v[149:150], v[4:5], v[38:39], v[143:144]
	v_fma_f64 v[38:39], v[2:3], v[38:39], -v[153:154]
	ds_load_b128 v[2:5], v1 offset:1088
	ds_load_b128 v[143:146], v1 offset:1104
	v_fma_f64 v[137:138], v[137:138], v[6:7], v[147:148]
	v_fma_f64 v[135:136], v[135:136], v[6:7], -v[8:9]
	scratch_load_b128 v[6:9], off, off offset:592
	v_add_f64_e32 v[133:134], v[141:142], v[133:134]
	v_add_f64_e32 v[44:45], v[139:140], v[44:45]
	scratch_load_b128 v[139:142], off, off offset:576
	s_wait_loadcnt_dscnt 0x901
	v_mul_f64_e32 v[151:152], v[2:3], v[12:13]
	v_mul_f64_e32 v[12:13], v[4:5], v[12:13]
	s_wait_loadcnt_dscnt 0x800
	v_mul_f64_e32 v[147:148], v[143:144], v[16:17]
	v_mul_f64_e32 v[16:17], v[145:146], v[16:17]
	v_add_f64_e32 v[38:39], v[133:134], v[38:39]
	v_add_f64_e32 v[44:45], v[44:45], v[149:150]
	v_fma_f64 v[149:150], v[4:5], v[10:11], v[151:152]
	v_fma_f64 v[151:152], v[2:3], v[10:11], -v[12:13]
	ds_load_b128 v[2:5], v1 offset:1120
	scratch_load_b128 v[10:13], off, off offset:608
	v_fma_f64 v[145:146], v[145:146], v[14:15], v[147:148]
	v_fma_f64 v[143:144], v[143:144], v[14:15], -v[16:17]
	scratch_load_b128 v[14:17], off, off offset:624
	v_add_f64_e32 v[38:39], v[38:39], v[135:136]
	v_add_f64_e32 v[44:45], v[44:45], v[137:138]
	ds_load_b128 v[133:136], v1 offset:1136
	s_wait_loadcnt_dscnt 0x901
	v_mul_f64_e32 v[137:138], v[2:3], v[20:21]
	v_mul_f64_e32 v[20:21], v[4:5], v[20:21]
	s_wait_loadcnt_dscnt 0x800
	v_mul_f64_e32 v[147:148], v[133:134], v[24:25]
	v_mul_f64_e32 v[24:25], v[135:136], v[24:25]
	v_add_f64_e32 v[38:39], v[38:39], v[151:152]
	v_add_f64_e32 v[44:45], v[44:45], v[149:150]
	v_fma_f64 v[137:138], v[4:5], v[18:19], v[137:138]
	v_fma_f64 v[149:150], v[2:3], v[18:19], -v[20:21]
	ds_load_b128 v[2:5], v1 offset:1152
	scratch_load_b128 v[18:21], off, off offset:640
	v_fma_f64 v[135:136], v[135:136], v[22:23], v[147:148]
	v_fma_f64 v[133:134], v[133:134], v[22:23], -v[24:25]
	scratch_load_b128 v[22:25], off, off offset:656
	v_add_f64_e32 v[38:39], v[38:39], v[143:144]
	v_add_f64_e32 v[44:45], v[44:45], v[145:146]
	ds_load_b128 v[143:146], v1 offset:1168
	s_wait_loadcnt_dscnt 0x901
	v_mul_f64_e32 v[151:152], v[2:3], v[28:29]
	v_mul_f64_e32 v[28:29], v[4:5], v[28:29]
	v_add_f64_e32 v[38:39], v[38:39], v[149:150]
	v_add_f64_e32 v[44:45], v[44:45], v[137:138]
	s_wait_loadcnt_dscnt 0x800
	v_mul_f64_e32 v[137:138], v[143:144], v[32:33]
	v_mul_f64_e32 v[32:33], v[145:146], v[32:33]
	v_fma_f64 v[147:148], v[4:5], v[26:27], v[151:152]
	v_fma_f64 v[149:150], v[2:3], v[26:27], -v[28:29]
	ds_load_b128 v[2:5], v1 offset:1184
	ds_load_b128 v[26:29], v1 offset:1200
	v_add_f64_e32 v[38:39], v[38:39], v[133:134]
	v_add_f64_e32 v[44:45], v[44:45], v[135:136]
	s_wait_loadcnt_dscnt 0x701
	v_mul_f64_e32 v[133:134], v[2:3], v[36:37]
	v_mul_f64_e32 v[36:37], v[4:5], v[36:37]
	v_fma_f64 v[135:136], v[145:146], v[30:31], v[137:138]
	v_fma_f64 v[30:31], v[143:144], v[30:31], -v[32:33]
	v_add_f64_e32 v[32:33], v[38:39], v[149:150]
	v_add_f64_e32 v[38:39], v[44:45], v[147:148]
	s_wait_loadcnt_dscnt 0x600
	v_mul_f64_e32 v[44:45], v[26:27], v[42:43]
	v_mul_f64_e32 v[42:43], v[28:29], v[42:43]
	v_fma_f64 v[133:134], v[4:5], v[34:35], v[133:134]
	v_fma_f64 v[34:35], v[2:3], v[34:35], -v[36:37]
	v_add_f64_e32 v[36:37], v[32:33], v[30:31]
	v_add_f64_e32 v[38:39], v[38:39], v[135:136]
	ds_load_b128 v[2:5], v1 offset:1216
	ds_load_b128 v[30:33], v1 offset:1232
	v_fma_f64 v[28:29], v[28:29], v[40:41], v[44:45]
	v_fma_f64 v[26:27], v[26:27], v[40:41], -v[42:43]
	s_wait_loadcnt_dscnt 0x401
	v_mul_f64_e32 v[135:136], v[2:3], v[141:142]
	v_mul_f64_e32 v[137:138], v[4:5], v[141:142]
	v_add_f64_e32 v[34:35], v[36:37], v[34:35]
	v_add_f64_e32 v[36:37], v[38:39], v[133:134]
	s_wait_dscnt 0x0
	v_mul_f64_e32 v[38:39], v[30:31], v[8:9]
	v_mul_f64_e32 v[8:9], v[32:33], v[8:9]
	v_fma_f64 v[40:41], v[4:5], v[139:140], v[135:136]
	v_fma_f64 v[42:43], v[2:3], v[139:140], -v[137:138]
	v_add_f64_e32 v[34:35], v[34:35], v[26:27]
	v_add_f64_e32 v[36:37], v[36:37], v[28:29]
	ds_load_b128 v[2:5], v1 offset:1248
	ds_load_b128 v[26:29], v1 offset:1264
	v_fma_f64 v[32:33], v[32:33], v[6:7], v[38:39]
	v_fma_f64 v[6:7], v[30:31], v[6:7], -v[8:9]
	s_wait_loadcnt_dscnt 0x301
	v_mul_f64_e32 v[44:45], v[2:3], v[12:13]
	v_mul_f64_e32 v[12:13], v[4:5], v[12:13]
	v_add_f64_e32 v[8:9], v[34:35], v[42:43]
	v_add_f64_e32 v[30:31], v[36:37], v[40:41]
	s_wait_loadcnt_dscnt 0x200
	v_mul_f64_e32 v[34:35], v[26:27], v[16:17]
	v_mul_f64_e32 v[16:17], v[28:29], v[16:17]
	v_fma_f64 v[36:37], v[4:5], v[10:11], v[44:45]
	v_fma_f64 v[10:11], v[2:3], v[10:11], -v[12:13]
	v_add_f64_e32 v[12:13], v[8:9], v[6:7]
	v_add_f64_e32 v[30:31], v[30:31], v[32:33]
	ds_load_b128 v[2:5], v1 offset:1280
	ds_load_b128 v[6:9], v1 offset:1296
	v_fma_f64 v[28:29], v[28:29], v[14:15], v[34:35]
	v_fma_f64 v[14:15], v[26:27], v[14:15], -v[16:17]
	s_wait_loadcnt_dscnt 0x101
	v_mul_f64_e32 v[32:33], v[2:3], v[20:21]
	v_mul_f64_e32 v[20:21], v[4:5], v[20:21]
	s_wait_loadcnt_dscnt 0x0
	v_mul_f64_e32 v[16:17], v[6:7], v[24:25]
	v_mul_f64_e32 v[24:25], v[8:9], v[24:25]
	v_add_f64_e32 v[10:11], v[12:13], v[10:11]
	v_add_f64_e32 v[12:13], v[30:31], v[36:37]
	v_fma_f64 v[4:5], v[4:5], v[18:19], v[32:33]
	v_fma_f64 v[1:2], v[2:3], v[18:19], -v[20:21]
	v_fma_f64 v[8:9], v[8:9], v[22:23], v[16:17]
	v_fma_f64 v[6:7], v[6:7], v[22:23], -v[24:25]
	v_add_f64_e32 v[10:11], v[10:11], v[14:15]
	v_add_f64_e32 v[12:13], v[12:13], v[28:29]
	s_delay_alu instid0(VALU_DEP_2) | instskip(NEXT) | instid1(VALU_DEP_2)
	v_add_f64_e32 v[1:2], v[10:11], v[1:2]
	v_add_f64_e32 v[3:4], v[12:13], v[4:5]
	s_delay_alu instid0(VALU_DEP_2) | instskip(NEXT) | instid1(VALU_DEP_2)
	v_add_f64_e32 v[1:2], v[1:2], v[6:7]
	v_add_f64_e32 v[3:4], v[3:4], v[8:9]
	s_delay_alu instid0(VALU_DEP_2) | instskip(NEXT) | instid1(VALU_DEP_2)
	v_add_f64_e64 v[1:2], v[129:130], -v[1:2]
	v_add_f64_e64 v[3:4], v[131:132], -v[3:4]
	scratch_store_b128 off, v[1:4], off offset:240
	v_cmpx_lt_u32_e32 13, v0
	s_cbranch_execz .LBB40_233
; %bb.232:
	scratch_load_b128 v[1:4], off, s41
	v_mov_b32_e32 v5, 0
	s_delay_alu instid0(VALU_DEP_1)
	v_dual_mov_b32 v6, v5 :: v_dual_mov_b32 v7, v5
	v_mov_b32_e32 v8, v5
	scratch_store_b128 off, v[5:8], off offset:224
	s_wait_loadcnt 0x0
	ds_store_b128 v128, v[1:4]
.LBB40_233:
	s_wait_alu 0xfffe
	s_or_b32 exec_lo, exec_lo, s0
	s_wait_storecnt_dscnt 0x0
	s_barrier_signal -1
	s_barrier_wait -1
	global_inv scope:SCOPE_SE
	s_clause 0x7
	scratch_load_b128 v[2:5], off, off offset:240
	scratch_load_b128 v[6:9], off, off offset:256
	scratch_load_b128 v[10:13], off, off offset:272
	scratch_load_b128 v[14:17], off, off offset:288
	scratch_load_b128 v[18:21], off, off offset:304
	scratch_load_b128 v[22:25], off, off offset:320
	scratch_load_b128 v[26:29], off, off offset:336
	scratch_load_b128 v[30:33], off, off offset:352
	v_mov_b32_e32 v1, 0
	s_mov_b32 s0, exec_lo
	ds_load_b128 v[34:37], v1 offset:880
	s_clause 0x1
	scratch_load_b128 v[38:41], off, off offset:368
	scratch_load_b128 v[42:45], off, off offset:224
	ds_load_b128 v[129:132], v1 offset:896
	scratch_load_b128 v[133:136], off, off offset:384
	s_wait_loadcnt_dscnt 0xa01
	v_mul_f64_e32 v[137:138], v[36:37], v[4:5]
	v_mul_f64_e32 v[4:5], v[34:35], v[4:5]
	s_delay_alu instid0(VALU_DEP_2) | instskip(NEXT) | instid1(VALU_DEP_2)
	v_fma_f64 v[143:144], v[34:35], v[2:3], -v[137:138]
	v_fma_f64 v[145:146], v[36:37], v[2:3], v[4:5]
	ds_load_b128 v[2:5], v1 offset:912
	s_wait_loadcnt_dscnt 0x901
	v_mul_f64_e32 v[141:142], v[129:130], v[8:9]
	v_mul_f64_e32 v[8:9], v[131:132], v[8:9]
	scratch_load_b128 v[34:37], off, off offset:400
	ds_load_b128 v[137:140], v1 offset:928
	s_wait_loadcnt_dscnt 0x901
	v_mul_f64_e32 v[147:148], v[2:3], v[12:13]
	v_mul_f64_e32 v[12:13], v[4:5], v[12:13]
	v_fma_f64 v[131:132], v[131:132], v[6:7], v[141:142]
	v_fma_f64 v[129:130], v[129:130], v[6:7], -v[8:9]
	v_add_f64_e32 v[141:142], 0, v[143:144]
	v_add_f64_e32 v[143:144], 0, v[145:146]
	scratch_load_b128 v[6:9], off, off offset:416
	v_fma_f64 v[147:148], v[4:5], v[10:11], v[147:148]
	v_fma_f64 v[149:150], v[2:3], v[10:11], -v[12:13]
	ds_load_b128 v[2:5], v1 offset:944
	s_wait_loadcnt_dscnt 0x901
	v_mul_f64_e32 v[145:146], v[137:138], v[16:17]
	v_mul_f64_e32 v[16:17], v[139:140], v[16:17]
	scratch_load_b128 v[10:13], off, off offset:432
	v_add_f64_e32 v[141:142], v[141:142], v[129:130]
	v_add_f64_e32 v[143:144], v[143:144], v[131:132]
	s_wait_loadcnt_dscnt 0x900
	v_mul_f64_e32 v[151:152], v[2:3], v[20:21]
	v_mul_f64_e32 v[20:21], v[4:5], v[20:21]
	ds_load_b128 v[129:132], v1 offset:960
	v_fma_f64 v[139:140], v[139:140], v[14:15], v[145:146]
	v_fma_f64 v[137:138], v[137:138], v[14:15], -v[16:17]
	scratch_load_b128 v[14:17], off, off offset:448
	v_add_f64_e32 v[141:142], v[141:142], v[149:150]
	v_add_f64_e32 v[143:144], v[143:144], v[147:148]
	v_fma_f64 v[147:148], v[4:5], v[18:19], v[151:152]
	v_fma_f64 v[149:150], v[2:3], v[18:19], -v[20:21]
	ds_load_b128 v[2:5], v1 offset:976
	s_wait_loadcnt_dscnt 0x901
	v_mul_f64_e32 v[145:146], v[129:130], v[24:25]
	v_mul_f64_e32 v[24:25], v[131:132], v[24:25]
	scratch_load_b128 v[18:21], off, off offset:464
	s_wait_loadcnt_dscnt 0x900
	v_mul_f64_e32 v[151:152], v[2:3], v[28:29]
	v_mul_f64_e32 v[28:29], v[4:5], v[28:29]
	v_add_f64_e32 v[141:142], v[141:142], v[137:138]
	v_add_f64_e32 v[143:144], v[143:144], v[139:140]
	ds_load_b128 v[137:140], v1 offset:992
	v_fma_f64 v[131:132], v[131:132], v[22:23], v[145:146]
	v_fma_f64 v[129:130], v[129:130], v[22:23], -v[24:25]
	scratch_load_b128 v[22:25], off, off offset:480
	v_add_f64_e32 v[141:142], v[141:142], v[149:150]
	v_add_f64_e32 v[143:144], v[143:144], v[147:148]
	v_fma_f64 v[147:148], v[4:5], v[26:27], v[151:152]
	v_fma_f64 v[149:150], v[2:3], v[26:27], -v[28:29]
	ds_load_b128 v[2:5], v1 offset:1008
	s_wait_loadcnt_dscnt 0x901
	v_mul_f64_e32 v[145:146], v[137:138], v[32:33]
	v_mul_f64_e32 v[32:33], v[139:140], v[32:33]
	scratch_load_b128 v[26:29], off, off offset:496
	s_wait_loadcnt_dscnt 0x900
	v_mul_f64_e32 v[151:152], v[2:3], v[40:41]
	v_mul_f64_e32 v[40:41], v[4:5], v[40:41]
	v_add_f64_e32 v[141:142], v[141:142], v[129:130]
	v_add_f64_e32 v[143:144], v[143:144], v[131:132]
	ds_load_b128 v[129:132], v1 offset:1024
	v_fma_f64 v[139:140], v[139:140], v[30:31], v[145:146]
	v_fma_f64 v[137:138], v[137:138], v[30:31], -v[32:33]
	scratch_load_b128 v[30:33], off, off offset:512
	v_add_f64_e32 v[141:142], v[141:142], v[149:150]
	v_add_f64_e32 v[143:144], v[143:144], v[147:148]
	v_fma_f64 v[149:150], v[4:5], v[38:39], v[151:152]
	v_fma_f64 v[151:152], v[2:3], v[38:39], -v[40:41]
	ds_load_b128 v[2:5], v1 offset:1040
	s_wait_loadcnt_dscnt 0x801
	v_mul_f64_e32 v[145:146], v[129:130], v[135:136]
	v_mul_f64_e32 v[147:148], v[131:132], v[135:136]
	scratch_load_b128 v[38:41], off, off offset:528
	v_add_f64_e32 v[141:142], v[141:142], v[137:138]
	v_add_f64_e32 v[139:140], v[143:144], v[139:140]
	ds_load_b128 v[135:138], v1 offset:1056
	v_fma_f64 v[145:146], v[131:132], v[133:134], v[145:146]
	v_fma_f64 v[133:134], v[129:130], v[133:134], -v[147:148]
	scratch_load_b128 v[129:132], off, off offset:544
	s_wait_loadcnt_dscnt 0x901
	v_mul_f64_e32 v[143:144], v[2:3], v[36:37]
	v_mul_f64_e32 v[36:37], v[4:5], v[36:37]
	v_add_f64_e32 v[141:142], v[141:142], v[151:152]
	v_add_f64_e32 v[139:140], v[139:140], v[149:150]
	s_delay_alu instid0(VALU_DEP_4) | instskip(NEXT) | instid1(VALU_DEP_4)
	v_fma_f64 v[143:144], v[4:5], v[34:35], v[143:144]
	v_fma_f64 v[149:150], v[2:3], v[34:35], -v[36:37]
	ds_load_b128 v[2:5], v1 offset:1072
	s_wait_loadcnt_dscnt 0x801
	v_mul_f64_e32 v[147:148], v[135:136], v[8:9]
	v_mul_f64_e32 v[8:9], v[137:138], v[8:9]
	scratch_load_b128 v[34:37], off, off offset:560
	s_wait_loadcnt_dscnt 0x800
	v_mul_f64_e32 v[151:152], v[2:3], v[12:13]
	v_add_f64_e32 v[133:134], v[141:142], v[133:134]
	v_add_f64_e32 v[145:146], v[139:140], v[145:146]
	v_mul_f64_e32 v[12:13], v[4:5], v[12:13]
	ds_load_b128 v[139:142], v1 offset:1088
	v_fma_f64 v[137:138], v[137:138], v[6:7], v[147:148]
	v_fma_f64 v[135:136], v[135:136], v[6:7], -v[8:9]
	scratch_load_b128 v[6:9], off, off offset:576
	v_fma_f64 v[147:148], v[4:5], v[10:11], v[151:152]
	v_add_f64_e32 v[133:134], v[133:134], v[149:150]
	v_add_f64_e32 v[143:144], v[145:146], v[143:144]
	v_fma_f64 v[149:150], v[2:3], v[10:11], -v[12:13]
	ds_load_b128 v[2:5], v1 offset:1104
	s_wait_loadcnt_dscnt 0x801
	v_mul_f64_e32 v[145:146], v[139:140], v[16:17]
	v_mul_f64_e32 v[16:17], v[141:142], v[16:17]
	scratch_load_b128 v[10:13], off, off offset:592
	v_add_f64_e32 v[151:152], v[133:134], v[135:136]
	v_add_f64_e32 v[137:138], v[143:144], v[137:138]
	s_wait_loadcnt_dscnt 0x800
	v_mul_f64_e32 v[143:144], v[2:3], v[20:21]
	v_mul_f64_e32 v[20:21], v[4:5], v[20:21]
	v_fma_f64 v[141:142], v[141:142], v[14:15], v[145:146]
	v_fma_f64 v[139:140], v[139:140], v[14:15], -v[16:17]
	ds_load_b128 v[133:136], v1 offset:1120
	scratch_load_b128 v[14:17], off, off offset:608
	v_add_f64_e32 v[145:146], v[151:152], v[149:150]
	v_add_f64_e32 v[137:138], v[137:138], v[147:148]
	v_fma_f64 v[143:144], v[4:5], v[18:19], v[143:144]
	v_fma_f64 v[149:150], v[2:3], v[18:19], -v[20:21]
	ds_load_b128 v[2:5], v1 offset:1136
	s_wait_loadcnt_dscnt 0x801
	v_mul_f64_e32 v[147:148], v[133:134], v[24:25]
	v_mul_f64_e32 v[24:25], v[135:136], v[24:25]
	scratch_load_b128 v[18:21], off, off offset:624
	s_wait_loadcnt_dscnt 0x800
	v_mul_f64_e32 v[151:152], v[2:3], v[28:29]
	v_mul_f64_e32 v[28:29], v[4:5], v[28:29]
	v_add_f64_e32 v[145:146], v[145:146], v[139:140]
	v_add_f64_e32 v[141:142], v[137:138], v[141:142]
	ds_load_b128 v[137:140], v1 offset:1152
	v_fma_f64 v[135:136], v[135:136], v[22:23], v[147:148]
	v_fma_f64 v[133:134], v[133:134], v[22:23], -v[24:25]
	scratch_load_b128 v[22:25], off, off offset:640
	v_fma_f64 v[147:148], v[4:5], v[26:27], v[151:152]
	v_add_f64_e32 v[145:146], v[145:146], v[149:150]
	v_add_f64_e32 v[141:142], v[141:142], v[143:144]
	v_fma_f64 v[149:150], v[2:3], v[26:27], -v[28:29]
	ds_load_b128 v[2:5], v1 offset:1168
	s_wait_loadcnt_dscnt 0x801
	v_mul_f64_e32 v[143:144], v[137:138], v[32:33]
	v_mul_f64_e32 v[32:33], v[139:140], v[32:33]
	scratch_load_b128 v[26:29], off, off offset:656
	s_wait_loadcnt_dscnt 0x800
	v_mul_f64_e32 v[151:152], v[2:3], v[40:41]
	v_mul_f64_e32 v[40:41], v[4:5], v[40:41]
	v_add_f64_e32 v[145:146], v[145:146], v[133:134]
	v_add_f64_e32 v[141:142], v[141:142], v[135:136]
	ds_load_b128 v[133:136], v1 offset:1184
	v_fma_f64 v[139:140], v[139:140], v[30:31], v[143:144]
	v_fma_f64 v[30:31], v[137:138], v[30:31], -v[32:33]
	v_fma_f64 v[143:144], v[4:5], v[38:39], v[151:152]
	v_fma_f64 v[38:39], v[2:3], v[38:39], -v[40:41]
	v_add_f64_e32 v[32:33], v[145:146], v[149:150]
	v_add_f64_e32 v[137:138], v[141:142], v[147:148]
	s_wait_loadcnt_dscnt 0x700
	v_mul_f64_e32 v[141:142], v[133:134], v[131:132]
	v_mul_f64_e32 v[131:132], v[135:136], v[131:132]
	s_delay_alu instid0(VALU_DEP_4) | instskip(NEXT) | instid1(VALU_DEP_4)
	v_add_f64_e32 v[40:41], v[32:33], v[30:31]
	v_add_f64_e32 v[137:138], v[137:138], v[139:140]
	ds_load_b128 v[2:5], v1 offset:1200
	ds_load_b128 v[30:33], v1 offset:1216
	v_fma_f64 v[135:136], v[135:136], v[129:130], v[141:142]
	v_fma_f64 v[129:130], v[133:134], v[129:130], -v[131:132]
	s_wait_loadcnt_dscnt 0x601
	v_mul_f64_e32 v[139:140], v[2:3], v[36:37]
	v_mul_f64_e32 v[36:37], v[4:5], v[36:37]
	s_wait_loadcnt_dscnt 0x500
	v_mul_f64_e32 v[131:132], v[30:31], v[8:9]
	v_mul_f64_e32 v[8:9], v[32:33], v[8:9]
	v_add_f64_e32 v[38:39], v[40:41], v[38:39]
	v_add_f64_e32 v[40:41], v[137:138], v[143:144]
	v_fma_f64 v[133:134], v[4:5], v[34:35], v[139:140]
	v_fma_f64 v[137:138], v[2:3], v[34:35], -v[36:37]
	ds_load_b128 v[2:5], v1 offset:1232
	ds_load_b128 v[34:37], v1 offset:1248
	v_fma_f64 v[32:33], v[32:33], v[6:7], v[131:132]
	v_fma_f64 v[6:7], v[30:31], v[6:7], -v[8:9]
	v_add_f64_e32 v[38:39], v[38:39], v[129:130]
	v_add_f64_e32 v[40:41], v[40:41], v[135:136]
	s_wait_loadcnt_dscnt 0x401
	v_mul_f64_e32 v[129:130], v[2:3], v[12:13]
	v_mul_f64_e32 v[12:13], v[4:5], v[12:13]
	s_delay_alu instid0(VALU_DEP_4) | instskip(NEXT) | instid1(VALU_DEP_4)
	v_add_f64_e32 v[8:9], v[38:39], v[137:138]
	v_add_f64_e32 v[30:31], v[40:41], v[133:134]
	s_wait_loadcnt_dscnt 0x300
	v_mul_f64_e32 v[38:39], v[34:35], v[16:17]
	v_mul_f64_e32 v[16:17], v[36:37], v[16:17]
	v_fma_f64 v[40:41], v[4:5], v[10:11], v[129:130]
	v_fma_f64 v[10:11], v[2:3], v[10:11], -v[12:13]
	v_add_f64_e32 v[12:13], v[8:9], v[6:7]
	v_add_f64_e32 v[30:31], v[30:31], v[32:33]
	ds_load_b128 v[2:5], v1 offset:1264
	ds_load_b128 v[6:9], v1 offset:1280
	v_fma_f64 v[36:37], v[36:37], v[14:15], v[38:39]
	v_fma_f64 v[14:15], v[34:35], v[14:15], -v[16:17]
	s_wait_loadcnt_dscnt 0x201
	v_mul_f64_e32 v[32:33], v[2:3], v[20:21]
	v_mul_f64_e32 v[20:21], v[4:5], v[20:21]
	s_wait_loadcnt_dscnt 0x100
	v_mul_f64_e32 v[16:17], v[6:7], v[24:25]
	v_mul_f64_e32 v[24:25], v[8:9], v[24:25]
	v_add_f64_e32 v[10:11], v[12:13], v[10:11]
	v_add_f64_e32 v[12:13], v[30:31], v[40:41]
	v_fma_f64 v[30:31], v[4:5], v[18:19], v[32:33]
	v_fma_f64 v[18:19], v[2:3], v[18:19], -v[20:21]
	ds_load_b128 v[2:5], v1 offset:1296
	v_fma_f64 v[8:9], v[8:9], v[22:23], v[16:17]
	v_fma_f64 v[6:7], v[6:7], v[22:23], -v[24:25]
	v_add_f64_e32 v[10:11], v[10:11], v[14:15]
	v_add_f64_e32 v[12:13], v[12:13], v[36:37]
	s_wait_loadcnt_dscnt 0x0
	v_mul_f64_e32 v[14:15], v[2:3], v[28:29]
	v_mul_f64_e32 v[20:21], v[4:5], v[28:29]
	s_delay_alu instid0(VALU_DEP_4) | instskip(NEXT) | instid1(VALU_DEP_4)
	v_add_f64_e32 v[10:11], v[10:11], v[18:19]
	v_add_f64_e32 v[12:13], v[12:13], v[30:31]
	s_delay_alu instid0(VALU_DEP_4) | instskip(NEXT) | instid1(VALU_DEP_4)
	v_fma_f64 v[4:5], v[4:5], v[26:27], v[14:15]
	v_fma_f64 v[2:3], v[2:3], v[26:27], -v[20:21]
	s_delay_alu instid0(VALU_DEP_4) | instskip(NEXT) | instid1(VALU_DEP_4)
	v_add_f64_e32 v[6:7], v[10:11], v[6:7]
	v_add_f64_e32 v[8:9], v[12:13], v[8:9]
	s_delay_alu instid0(VALU_DEP_2) | instskip(NEXT) | instid1(VALU_DEP_2)
	v_add_f64_e32 v[2:3], v[6:7], v[2:3]
	v_add_f64_e32 v[4:5], v[8:9], v[4:5]
	s_delay_alu instid0(VALU_DEP_2) | instskip(NEXT) | instid1(VALU_DEP_2)
	v_add_f64_e64 v[2:3], v[42:43], -v[2:3]
	v_add_f64_e64 v[4:5], v[44:45], -v[4:5]
	scratch_store_b128 off, v[2:5], off offset:224
	v_cmpx_lt_u32_e32 12, v0
	s_cbranch_execz .LBB40_235
; %bb.234:
	scratch_load_b128 v[5:8], off, s42
	v_dual_mov_b32 v2, v1 :: v_dual_mov_b32 v3, v1
	v_mov_b32_e32 v4, v1
	scratch_store_b128 off, v[1:4], off offset:208
	s_wait_loadcnt 0x0
	ds_store_b128 v128, v[5:8]
.LBB40_235:
	s_wait_alu 0xfffe
	s_or_b32 exec_lo, exec_lo, s0
	s_wait_storecnt_dscnt 0x0
	s_barrier_signal -1
	s_barrier_wait -1
	global_inv scope:SCOPE_SE
	s_clause 0x8
	scratch_load_b128 v[2:5], off, off offset:224
	scratch_load_b128 v[6:9], off, off offset:240
	;; [unrolled: 1-line block ×9, first 2 shown]
	ds_load_b128 v[38:41], v1 offset:864
	ds_load_b128 v[42:45], v1 offset:880
	s_clause 0x1
	scratch_load_b128 v[129:132], off, off offset:208
	scratch_load_b128 v[133:136], off, off offset:368
	s_mov_b32 s0, exec_lo
	s_wait_loadcnt_dscnt 0xa01
	v_mul_f64_e32 v[137:138], v[40:41], v[4:5]
	v_mul_f64_e32 v[4:5], v[38:39], v[4:5]
	s_wait_loadcnt_dscnt 0x900
	v_mul_f64_e32 v[141:142], v[42:43], v[8:9]
	v_mul_f64_e32 v[8:9], v[44:45], v[8:9]
	s_delay_alu instid0(VALU_DEP_4) | instskip(NEXT) | instid1(VALU_DEP_4)
	v_fma_f64 v[143:144], v[38:39], v[2:3], -v[137:138]
	v_fma_f64 v[145:146], v[40:41], v[2:3], v[4:5]
	ds_load_b128 v[2:5], v1 offset:896
	ds_load_b128 v[137:140], v1 offset:912
	scratch_load_b128 v[38:41], off, off offset:384
	v_fma_f64 v[44:45], v[44:45], v[6:7], v[141:142]
	v_fma_f64 v[42:43], v[42:43], v[6:7], -v[8:9]
	scratch_load_b128 v[6:9], off, off offset:400
	s_wait_loadcnt_dscnt 0xa01
	v_mul_f64_e32 v[147:148], v[2:3], v[12:13]
	v_mul_f64_e32 v[12:13], v[4:5], v[12:13]
	v_add_f64_e32 v[141:142], 0, v[143:144]
	v_add_f64_e32 v[143:144], 0, v[145:146]
	s_wait_loadcnt_dscnt 0x900
	v_mul_f64_e32 v[145:146], v[137:138], v[16:17]
	v_mul_f64_e32 v[16:17], v[139:140], v[16:17]
	v_fma_f64 v[147:148], v[4:5], v[10:11], v[147:148]
	v_fma_f64 v[149:150], v[2:3], v[10:11], -v[12:13]
	ds_load_b128 v[2:5], v1 offset:928
	scratch_load_b128 v[10:13], off, off offset:416
	v_add_f64_e32 v[141:142], v[141:142], v[42:43]
	v_add_f64_e32 v[143:144], v[143:144], v[44:45]
	ds_load_b128 v[42:45], v1 offset:944
	v_fma_f64 v[139:140], v[139:140], v[14:15], v[145:146]
	v_fma_f64 v[137:138], v[137:138], v[14:15], -v[16:17]
	scratch_load_b128 v[14:17], off, off offset:432
	s_wait_loadcnt_dscnt 0xa01
	v_mul_f64_e32 v[151:152], v[2:3], v[20:21]
	v_mul_f64_e32 v[20:21], v[4:5], v[20:21]
	s_wait_loadcnt_dscnt 0x900
	v_mul_f64_e32 v[145:146], v[42:43], v[24:25]
	v_mul_f64_e32 v[24:25], v[44:45], v[24:25]
	v_add_f64_e32 v[141:142], v[141:142], v[149:150]
	v_add_f64_e32 v[143:144], v[143:144], v[147:148]
	v_fma_f64 v[147:148], v[4:5], v[18:19], v[151:152]
	v_fma_f64 v[149:150], v[2:3], v[18:19], -v[20:21]
	ds_load_b128 v[2:5], v1 offset:960
	scratch_load_b128 v[18:21], off, off offset:448
	v_fma_f64 v[44:45], v[44:45], v[22:23], v[145:146]
	v_fma_f64 v[42:43], v[42:43], v[22:23], -v[24:25]
	scratch_load_b128 v[22:25], off, off offset:464
	v_add_f64_e32 v[141:142], v[141:142], v[137:138]
	v_add_f64_e32 v[143:144], v[143:144], v[139:140]
	ds_load_b128 v[137:140], v1 offset:976
	s_wait_loadcnt_dscnt 0xa01
	v_mul_f64_e32 v[151:152], v[2:3], v[28:29]
	v_mul_f64_e32 v[28:29], v[4:5], v[28:29]
	s_wait_loadcnt_dscnt 0x900
	v_mul_f64_e32 v[145:146], v[137:138], v[32:33]
	v_mul_f64_e32 v[32:33], v[139:140], v[32:33]
	v_add_f64_e32 v[141:142], v[141:142], v[149:150]
	v_add_f64_e32 v[143:144], v[143:144], v[147:148]
	v_fma_f64 v[147:148], v[4:5], v[26:27], v[151:152]
	v_fma_f64 v[149:150], v[2:3], v[26:27], -v[28:29]
	ds_load_b128 v[2:5], v1 offset:992
	scratch_load_b128 v[26:29], off, off offset:480
	v_fma_f64 v[139:140], v[139:140], v[30:31], v[145:146]
	v_fma_f64 v[137:138], v[137:138], v[30:31], -v[32:33]
	scratch_load_b128 v[30:33], off, off offset:496
	v_add_f64_e32 v[141:142], v[141:142], v[42:43]
	v_add_f64_e32 v[143:144], v[143:144], v[44:45]
	ds_load_b128 v[42:45], v1 offset:1008
	s_wait_loadcnt_dscnt 0xa01
	v_mul_f64_e32 v[151:152], v[2:3], v[36:37]
	v_mul_f64_e32 v[36:37], v[4:5], v[36:37]
	s_wait_loadcnt_dscnt 0x800
	v_mul_f64_e32 v[145:146], v[42:43], v[135:136]
	v_add_f64_e32 v[141:142], v[141:142], v[149:150]
	v_add_f64_e32 v[143:144], v[143:144], v[147:148]
	v_mul_f64_e32 v[147:148], v[44:45], v[135:136]
	v_fma_f64 v[149:150], v[4:5], v[34:35], v[151:152]
	v_fma_f64 v[151:152], v[2:3], v[34:35], -v[36:37]
	ds_load_b128 v[2:5], v1 offset:1024
	scratch_load_b128 v[34:37], off, off offset:512
	v_fma_f64 v[44:45], v[44:45], v[133:134], v[145:146]
	v_add_f64_e32 v[141:142], v[141:142], v[137:138]
	v_add_f64_e32 v[139:140], v[143:144], v[139:140]
	ds_load_b128 v[135:138], v1 offset:1040
	v_fma_f64 v[133:134], v[42:43], v[133:134], -v[147:148]
	s_wait_loadcnt_dscnt 0x801
	v_mul_f64_e32 v[143:144], v[2:3], v[40:41]
	v_mul_f64_e32 v[153:154], v[4:5], v[40:41]
	scratch_load_b128 v[40:43], off, off offset:528
	s_wait_loadcnt_dscnt 0x800
	v_mul_f64_e32 v[147:148], v[135:136], v[8:9]
	v_mul_f64_e32 v[8:9], v[137:138], v[8:9]
	v_add_f64_e32 v[141:142], v[141:142], v[151:152]
	v_add_f64_e32 v[139:140], v[139:140], v[149:150]
	v_fma_f64 v[149:150], v[4:5], v[38:39], v[143:144]
	v_fma_f64 v[38:39], v[2:3], v[38:39], -v[153:154]
	ds_load_b128 v[2:5], v1 offset:1056
	ds_load_b128 v[143:146], v1 offset:1072
	v_fma_f64 v[137:138], v[137:138], v[6:7], v[147:148]
	v_fma_f64 v[135:136], v[135:136], v[6:7], -v[8:9]
	scratch_load_b128 v[6:9], off, off offset:560
	v_add_f64_e32 v[133:134], v[141:142], v[133:134]
	v_add_f64_e32 v[44:45], v[139:140], v[44:45]
	scratch_load_b128 v[139:142], off, off offset:544
	s_wait_loadcnt_dscnt 0x901
	v_mul_f64_e32 v[151:152], v[2:3], v[12:13]
	v_mul_f64_e32 v[12:13], v[4:5], v[12:13]
	s_wait_loadcnt_dscnt 0x800
	v_mul_f64_e32 v[147:148], v[143:144], v[16:17]
	v_mul_f64_e32 v[16:17], v[145:146], v[16:17]
	v_add_f64_e32 v[38:39], v[133:134], v[38:39]
	v_add_f64_e32 v[44:45], v[44:45], v[149:150]
	v_fma_f64 v[149:150], v[4:5], v[10:11], v[151:152]
	v_fma_f64 v[151:152], v[2:3], v[10:11], -v[12:13]
	ds_load_b128 v[2:5], v1 offset:1088
	scratch_load_b128 v[10:13], off, off offset:576
	v_fma_f64 v[145:146], v[145:146], v[14:15], v[147:148]
	v_fma_f64 v[143:144], v[143:144], v[14:15], -v[16:17]
	scratch_load_b128 v[14:17], off, off offset:592
	v_add_f64_e32 v[38:39], v[38:39], v[135:136]
	v_add_f64_e32 v[44:45], v[44:45], v[137:138]
	ds_load_b128 v[133:136], v1 offset:1104
	s_wait_loadcnt_dscnt 0x901
	v_mul_f64_e32 v[137:138], v[2:3], v[20:21]
	v_mul_f64_e32 v[20:21], v[4:5], v[20:21]
	s_wait_loadcnt_dscnt 0x800
	v_mul_f64_e32 v[147:148], v[133:134], v[24:25]
	v_mul_f64_e32 v[24:25], v[135:136], v[24:25]
	v_add_f64_e32 v[38:39], v[38:39], v[151:152]
	v_add_f64_e32 v[44:45], v[44:45], v[149:150]
	v_fma_f64 v[137:138], v[4:5], v[18:19], v[137:138]
	v_fma_f64 v[149:150], v[2:3], v[18:19], -v[20:21]
	ds_load_b128 v[2:5], v1 offset:1120
	scratch_load_b128 v[18:21], off, off offset:608
	v_fma_f64 v[135:136], v[135:136], v[22:23], v[147:148]
	v_fma_f64 v[133:134], v[133:134], v[22:23], -v[24:25]
	scratch_load_b128 v[22:25], off, off offset:624
	v_add_f64_e32 v[38:39], v[38:39], v[143:144]
	v_add_f64_e32 v[44:45], v[44:45], v[145:146]
	ds_load_b128 v[143:146], v1 offset:1136
	s_wait_loadcnt_dscnt 0x901
	v_mul_f64_e32 v[151:152], v[2:3], v[28:29]
	v_mul_f64_e32 v[28:29], v[4:5], v[28:29]
	v_add_f64_e32 v[38:39], v[38:39], v[149:150]
	v_add_f64_e32 v[44:45], v[44:45], v[137:138]
	s_wait_loadcnt_dscnt 0x800
	v_mul_f64_e32 v[137:138], v[143:144], v[32:33]
	v_mul_f64_e32 v[32:33], v[145:146], v[32:33]
	v_fma_f64 v[147:148], v[4:5], v[26:27], v[151:152]
	v_fma_f64 v[149:150], v[2:3], v[26:27], -v[28:29]
	ds_load_b128 v[2:5], v1 offset:1152
	scratch_load_b128 v[26:29], off, off offset:640
	v_add_f64_e32 v[38:39], v[38:39], v[133:134]
	v_add_f64_e32 v[44:45], v[44:45], v[135:136]
	ds_load_b128 v[133:136], v1 offset:1168
	s_wait_loadcnt_dscnt 0x801
	v_mul_f64_e32 v[151:152], v[2:3], v[36:37]
	v_mul_f64_e32 v[36:37], v[4:5], v[36:37]
	v_fma_f64 v[137:138], v[145:146], v[30:31], v[137:138]
	v_fma_f64 v[143:144], v[143:144], v[30:31], -v[32:33]
	scratch_load_b128 v[30:33], off, off offset:656
	s_wait_loadcnt_dscnt 0x800
	v_mul_f64_e32 v[145:146], v[133:134], v[42:43]
	v_add_f64_e32 v[38:39], v[38:39], v[149:150]
	v_add_f64_e32 v[44:45], v[44:45], v[147:148]
	v_mul_f64_e32 v[42:43], v[135:136], v[42:43]
	v_fma_f64 v[147:148], v[4:5], v[34:35], v[151:152]
	v_fma_f64 v[149:150], v[2:3], v[34:35], -v[36:37]
	ds_load_b128 v[2:5], v1 offset:1184
	ds_load_b128 v[34:37], v1 offset:1200
	v_fma_f64 v[135:136], v[135:136], v[40:41], v[145:146]
	v_add_f64_e32 v[38:39], v[38:39], v[143:144]
	v_add_f64_e32 v[44:45], v[44:45], v[137:138]
	v_fma_f64 v[40:41], v[133:134], v[40:41], -v[42:43]
	s_wait_loadcnt_dscnt 0x601
	v_mul_f64_e32 v[137:138], v[2:3], v[141:142]
	v_mul_f64_e32 v[141:142], v[4:5], v[141:142]
	v_add_f64_e32 v[38:39], v[38:39], v[149:150]
	v_add_f64_e32 v[42:43], v[44:45], v[147:148]
	s_wait_dscnt 0x0
	v_mul_f64_e32 v[44:45], v[34:35], v[8:9]
	v_mul_f64_e32 v[8:9], v[36:37], v[8:9]
	v_fma_f64 v[133:134], v[4:5], v[139:140], v[137:138]
	v_fma_f64 v[137:138], v[2:3], v[139:140], -v[141:142]
	v_add_f64_e32 v[139:140], v[38:39], v[40:41]
	v_add_f64_e32 v[42:43], v[42:43], v[135:136]
	ds_load_b128 v[2:5], v1 offset:1216
	ds_load_b128 v[38:41], v1 offset:1232
	v_fma_f64 v[36:37], v[36:37], v[6:7], v[44:45]
	v_fma_f64 v[6:7], v[34:35], v[6:7], -v[8:9]
	s_wait_loadcnt_dscnt 0x501
	v_mul_f64_e32 v[135:136], v[2:3], v[12:13]
	v_mul_f64_e32 v[12:13], v[4:5], v[12:13]
	v_add_f64_e32 v[8:9], v[139:140], v[137:138]
	v_add_f64_e32 v[34:35], v[42:43], v[133:134]
	s_wait_loadcnt_dscnt 0x400
	v_mul_f64_e32 v[42:43], v[38:39], v[16:17]
	v_mul_f64_e32 v[16:17], v[40:41], v[16:17]
	v_fma_f64 v[44:45], v[4:5], v[10:11], v[135:136]
	v_fma_f64 v[10:11], v[2:3], v[10:11], -v[12:13]
	v_add_f64_e32 v[12:13], v[8:9], v[6:7]
	v_add_f64_e32 v[34:35], v[34:35], v[36:37]
	ds_load_b128 v[2:5], v1 offset:1248
	ds_load_b128 v[6:9], v1 offset:1264
	v_fma_f64 v[40:41], v[40:41], v[14:15], v[42:43]
	v_fma_f64 v[14:15], v[38:39], v[14:15], -v[16:17]
	s_wait_loadcnt_dscnt 0x301
	v_mul_f64_e32 v[36:37], v[2:3], v[20:21]
	v_mul_f64_e32 v[20:21], v[4:5], v[20:21]
	s_wait_loadcnt_dscnt 0x200
	v_mul_f64_e32 v[16:17], v[6:7], v[24:25]
	v_mul_f64_e32 v[24:25], v[8:9], v[24:25]
	v_add_f64_e32 v[10:11], v[12:13], v[10:11]
	v_add_f64_e32 v[12:13], v[34:35], v[44:45]
	v_fma_f64 v[34:35], v[4:5], v[18:19], v[36:37]
	v_fma_f64 v[18:19], v[2:3], v[18:19], -v[20:21]
	v_fma_f64 v[8:9], v[8:9], v[22:23], v[16:17]
	v_fma_f64 v[6:7], v[6:7], v[22:23], -v[24:25]
	v_add_f64_e32 v[14:15], v[10:11], v[14:15]
	v_add_f64_e32 v[20:21], v[12:13], v[40:41]
	ds_load_b128 v[2:5], v1 offset:1280
	ds_load_b128 v[10:13], v1 offset:1296
	s_wait_loadcnt_dscnt 0x101
	v_mul_f64_e32 v[36:37], v[2:3], v[28:29]
	v_mul_f64_e32 v[28:29], v[4:5], v[28:29]
	v_add_f64_e32 v[14:15], v[14:15], v[18:19]
	v_add_f64_e32 v[16:17], v[20:21], v[34:35]
	s_wait_loadcnt_dscnt 0x0
	v_mul_f64_e32 v[18:19], v[10:11], v[32:33]
	v_mul_f64_e32 v[20:21], v[12:13], v[32:33]
	v_fma_f64 v[4:5], v[4:5], v[26:27], v[36:37]
	v_fma_f64 v[1:2], v[2:3], v[26:27], -v[28:29]
	v_add_f64_e32 v[6:7], v[14:15], v[6:7]
	v_add_f64_e32 v[8:9], v[16:17], v[8:9]
	v_fma_f64 v[12:13], v[12:13], v[30:31], v[18:19]
	v_fma_f64 v[10:11], v[10:11], v[30:31], -v[20:21]
	s_delay_alu instid0(VALU_DEP_4) | instskip(NEXT) | instid1(VALU_DEP_4)
	v_add_f64_e32 v[1:2], v[6:7], v[1:2]
	v_add_f64_e32 v[3:4], v[8:9], v[4:5]
	s_delay_alu instid0(VALU_DEP_2) | instskip(NEXT) | instid1(VALU_DEP_2)
	v_add_f64_e32 v[1:2], v[1:2], v[10:11]
	v_add_f64_e32 v[3:4], v[3:4], v[12:13]
	s_delay_alu instid0(VALU_DEP_2) | instskip(NEXT) | instid1(VALU_DEP_2)
	v_add_f64_e64 v[1:2], v[129:130], -v[1:2]
	v_add_f64_e64 v[3:4], v[131:132], -v[3:4]
	scratch_store_b128 off, v[1:4], off offset:208
	v_cmpx_lt_u32_e32 11, v0
	s_cbranch_execz .LBB40_237
; %bb.236:
	scratch_load_b128 v[1:4], off, s43
	v_mov_b32_e32 v5, 0
	s_delay_alu instid0(VALU_DEP_1)
	v_dual_mov_b32 v6, v5 :: v_dual_mov_b32 v7, v5
	v_mov_b32_e32 v8, v5
	scratch_store_b128 off, v[5:8], off offset:192
	s_wait_loadcnt 0x0
	ds_store_b128 v128, v[1:4]
.LBB40_237:
	s_wait_alu 0xfffe
	s_or_b32 exec_lo, exec_lo, s0
	s_wait_storecnt_dscnt 0x0
	s_barrier_signal -1
	s_barrier_wait -1
	global_inv scope:SCOPE_SE
	s_clause 0x7
	scratch_load_b128 v[2:5], off, off offset:208
	scratch_load_b128 v[6:9], off, off offset:224
	;; [unrolled: 1-line block ×8, first 2 shown]
	v_mov_b32_e32 v1, 0
	s_mov_b32 s0, exec_lo
	ds_load_b128 v[34:37], v1 offset:848
	s_clause 0x1
	scratch_load_b128 v[38:41], off, off offset:336
	scratch_load_b128 v[42:45], off, off offset:192
	ds_load_b128 v[129:132], v1 offset:864
	scratch_load_b128 v[133:136], off, off offset:352
	s_wait_loadcnt_dscnt 0xa01
	v_mul_f64_e32 v[137:138], v[36:37], v[4:5]
	v_mul_f64_e32 v[4:5], v[34:35], v[4:5]
	s_delay_alu instid0(VALU_DEP_2) | instskip(NEXT) | instid1(VALU_DEP_2)
	v_fma_f64 v[143:144], v[34:35], v[2:3], -v[137:138]
	v_fma_f64 v[145:146], v[36:37], v[2:3], v[4:5]
	ds_load_b128 v[2:5], v1 offset:880
	s_wait_loadcnt_dscnt 0x901
	v_mul_f64_e32 v[141:142], v[129:130], v[8:9]
	v_mul_f64_e32 v[8:9], v[131:132], v[8:9]
	scratch_load_b128 v[34:37], off, off offset:368
	ds_load_b128 v[137:140], v1 offset:896
	s_wait_loadcnt_dscnt 0x901
	v_mul_f64_e32 v[147:148], v[2:3], v[12:13]
	v_mul_f64_e32 v[12:13], v[4:5], v[12:13]
	v_fma_f64 v[131:132], v[131:132], v[6:7], v[141:142]
	v_fma_f64 v[129:130], v[129:130], v[6:7], -v[8:9]
	v_add_f64_e32 v[141:142], 0, v[143:144]
	v_add_f64_e32 v[143:144], 0, v[145:146]
	scratch_load_b128 v[6:9], off, off offset:384
	v_fma_f64 v[147:148], v[4:5], v[10:11], v[147:148]
	v_fma_f64 v[149:150], v[2:3], v[10:11], -v[12:13]
	ds_load_b128 v[2:5], v1 offset:912
	s_wait_loadcnt_dscnt 0x901
	v_mul_f64_e32 v[145:146], v[137:138], v[16:17]
	v_mul_f64_e32 v[16:17], v[139:140], v[16:17]
	scratch_load_b128 v[10:13], off, off offset:400
	v_add_f64_e32 v[141:142], v[141:142], v[129:130]
	v_add_f64_e32 v[143:144], v[143:144], v[131:132]
	s_wait_loadcnt_dscnt 0x900
	v_mul_f64_e32 v[151:152], v[2:3], v[20:21]
	v_mul_f64_e32 v[20:21], v[4:5], v[20:21]
	ds_load_b128 v[129:132], v1 offset:928
	v_fma_f64 v[139:140], v[139:140], v[14:15], v[145:146]
	v_fma_f64 v[137:138], v[137:138], v[14:15], -v[16:17]
	scratch_load_b128 v[14:17], off, off offset:416
	v_add_f64_e32 v[141:142], v[141:142], v[149:150]
	v_add_f64_e32 v[143:144], v[143:144], v[147:148]
	v_fma_f64 v[147:148], v[4:5], v[18:19], v[151:152]
	v_fma_f64 v[149:150], v[2:3], v[18:19], -v[20:21]
	ds_load_b128 v[2:5], v1 offset:944
	s_wait_loadcnt_dscnt 0x901
	v_mul_f64_e32 v[145:146], v[129:130], v[24:25]
	v_mul_f64_e32 v[24:25], v[131:132], v[24:25]
	scratch_load_b128 v[18:21], off, off offset:432
	s_wait_loadcnt_dscnt 0x900
	v_mul_f64_e32 v[151:152], v[2:3], v[28:29]
	v_mul_f64_e32 v[28:29], v[4:5], v[28:29]
	v_add_f64_e32 v[141:142], v[141:142], v[137:138]
	v_add_f64_e32 v[143:144], v[143:144], v[139:140]
	ds_load_b128 v[137:140], v1 offset:960
	v_fma_f64 v[131:132], v[131:132], v[22:23], v[145:146]
	v_fma_f64 v[129:130], v[129:130], v[22:23], -v[24:25]
	scratch_load_b128 v[22:25], off, off offset:448
	v_add_f64_e32 v[141:142], v[141:142], v[149:150]
	v_add_f64_e32 v[143:144], v[143:144], v[147:148]
	v_fma_f64 v[147:148], v[4:5], v[26:27], v[151:152]
	v_fma_f64 v[149:150], v[2:3], v[26:27], -v[28:29]
	ds_load_b128 v[2:5], v1 offset:976
	s_wait_loadcnt_dscnt 0x901
	v_mul_f64_e32 v[145:146], v[137:138], v[32:33]
	v_mul_f64_e32 v[32:33], v[139:140], v[32:33]
	scratch_load_b128 v[26:29], off, off offset:464
	s_wait_loadcnt_dscnt 0x900
	v_mul_f64_e32 v[151:152], v[2:3], v[40:41]
	v_mul_f64_e32 v[40:41], v[4:5], v[40:41]
	v_add_f64_e32 v[141:142], v[141:142], v[129:130]
	v_add_f64_e32 v[143:144], v[143:144], v[131:132]
	ds_load_b128 v[129:132], v1 offset:992
	v_fma_f64 v[139:140], v[139:140], v[30:31], v[145:146]
	v_fma_f64 v[137:138], v[137:138], v[30:31], -v[32:33]
	scratch_load_b128 v[30:33], off, off offset:480
	v_add_f64_e32 v[141:142], v[141:142], v[149:150]
	v_add_f64_e32 v[143:144], v[143:144], v[147:148]
	v_fma_f64 v[149:150], v[4:5], v[38:39], v[151:152]
	v_fma_f64 v[151:152], v[2:3], v[38:39], -v[40:41]
	ds_load_b128 v[2:5], v1 offset:1008
	s_wait_loadcnt_dscnt 0x801
	v_mul_f64_e32 v[145:146], v[129:130], v[135:136]
	v_mul_f64_e32 v[147:148], v[131:132], v[135:136]
	scratch_load_b128 v[38:41], off, off offset:496
	v_add_f64_e32 v[141:142], v[141:142], v[137:138]
	v_add_f64_e32 v[139:140], v[143:144], v[139:140]
	ds_load_b128 v[135:138], v1 offset:1024
	v_fma_f64 v[145:146], v[131:132], v[133:134], v[145:146]
	v_fma_f64 v[133:134], v[129:130], v[133:134], -v[147:148]
	scratch_load_b128 v[129:132], off, off offset:512
	s_wait_loadcnt_dscnt 0x901
	v_mul_f64_e32 v[143:144], v[2:3], v[36:37]
	v_mul_f64_e32 v[36:37], v[4:5], v[36:37]
	v_add_f64_e32 v[141:142], v[141:142], v[151:152]
	v_add_f64_e32 v[139:140], v[139:140], v[149:150]
	s_delay_alu instid0(VALU_DEP_4) | instskip(NEXT) | instid1(VALU_DEP_4)
	v_fma_f64 v[143:144], v[4:5], v[34:35], v[143:144]
	v_fma_f64 v[149:150], v[2:3], v[34:35], -v[36:37]
	ds_load_b128 v[2:5], v1 offset:1040
	s_wait_loadcnt_dscnt 0x801
	v_mul_f64_e32 v[147:148], v[135:136], v[8:9]
	v_mul_f64_e32 v[8:9], v[137:138], v[8:9]
	scratch_load_b128 v[34:37], off, off offset:528
	s_wait_loadcnt_dscnt 0x800
	v_mul_f64_e32 v[151:152], v[2:3], v[12:13]
	v_add_f64_e32 v[133:134], v[141:142], v[133:134]
	v_add_f64_e32 v[145:146], v[139:140], v[145:146]
	v_mul_f64_e32 v[12:13], v[4:5], v[12:13]
	ds_load_b128 v[139:142], v1 offset:1056
	v_fma_f64 v[137:138], v[137:138], v[6:7], v[147:148]
	v_fma_f64 v[135:136], v[135:136], v[6:7], -v[8:9]
	scratch_load_b128 v[6:9], off, off offset:544
	v_fma_f64 v[147:148], v[4:5], v[10:11], v[151:152]
	v_add_f64_e32 v[133:134], v[133:134], v[149:150]
	v_add_f64_e32 v[143:144], v[145:146], v[143:144]
	v_fma_f64 v[149:150], v[2:3], v[10:11], -v[12:13]
	ds_load_b128 v[2:5], v1 offset:1072
	s_wait_loadcnt_dscnt 0x801
	v_mul_f64_e32 v[145:146], v[139:140], v[16:17]
	v_mul_f64_e32 v[16:17], v[141:142], v[16:17]
	scratch_load_b128 v[10:13], off, off offset:560
	v_add_f64_e32 v[151:152], v[133:134], v[135:136]
	v_add_f64_e32 v[137:138], v[143:144], v[137:138]
	s_wait_loadcnt_dscnt 0x800
	v_mul_f64_e32 v[143:144], v[2:3], v[20:21]
	v_mul_f64_e32 v[20:21], v[4:5], v[20:21]
	v_fma_f64 v[141:142], v[141:142], v[14:15], v[145:146]
	v_fma_f64 v[139:140], v[139:140], v[14:15], -v[16:17]
	ds_load_b128 v[133:136], v1 offset:1088
	scratch_load_b128 v[14:17], off, off offset:576
	v_add_f64_e32 v[145:146], v[151:152], v[149:150]
	v_add_f64_e32 v[137:138], v[137:138], v[147:148]
	v_fma_f64 v[143:144], v[4:5], v[18:19], v[143:144]
	v_fma_f64 v[149:150], v[2:3], v[18:19], -v[20:21]
	ds_load_b128 v[2:5], v1 offset:1104
	s_wait_loadcnt_dscnt 0x801
	v_mul_f64_e32 v[147:148], v[133:134], v[24:25]
	v_mul_f64_e32 v[24:25], v[135:136], v[24:25]
	scratch_load_b128 v[18:21], off, off offset:592
	s_wait_loadcnt_dscnt 0x800
	v_mul_f64_e32 v[151:152], v[2:3], v[28:29]
	v_mul_f64_e32 v[28:29], v[4:5], v[28:29]
	v_add_f64_e32 v[145:146], v[145:146], v[139:140]
	v_add_f64_e32 v[141:142], v[137:138], v[141:142]
	ds_load_b128 v[137:140], v1 offset:1120
	v_fma_f64 v[135:136], v[135:136], v[22:23], v[147:148]
	v_fma_f64 v[133:134], v[133:134], v[22:23], -v[24:25]
	scratch_load_b128 v[22:25], off, off offset:608
	v_fma_f64 v[147:148], v[4:5], v[26:27], v[151:152]
	v_add_f64_e32 v[145:146], v[145:146], v[149:150]
	v_add_f64_e32 v[141:142], v[141:142], v[143:144]
	v_fma_f64 v[149:150], v[2:3], v[26:27], -v[28:29]
	ds_load_b128 v[2:5], v1 offset:1136
	s_wait_loadcnt_dscnt 0x801
	v_mul_f64_e32 v[143:144], v[137:138], v[32:33]
	v_mul_f64_e32 v[32:33], v[139:140], v[32:33]
	scratch_load_b128 v[26:29], off, off offset:624
	s_wait_loadcnt_dscnt 0x800
	v_mul_f64_e32 v[151:152], v[2:3], v[40:41]
	v_mul_f64_e32 v[40:41], v[4:5], v[40:41]
	v_add_f64_e32 v[145:146], v[145:146], v[133:134]
	v_add_f64_e32 v[141:142], v[141:142], v[135:136]
	ds_load_b128 v[133:136], v1 offset:1152
	v_fma_f64 v[139:140], v[139:140], v[30:31], v[143:144]
	v_fma_f64 v[137:138], v[137:138], v[30:31], -v[32:33]
	scratch_load_b128 v[30:33], off, off offset:640
	v_add_f64_e32 v[143:144], v[145:146], v[149:150]
	v_add_f64_e32 v[141:142], v[141:142], v[147:148]
	v_fma_f64 v[147:148], v[4:5], v[38:39], v[151:152]
	v_fma_f64 v[149:150], v[2:3], v[38:39], -v[40:41]
	ds_load_b128 v[2:5], v1 offset:1168
	s_wait_loadcnt_dscnt 0x801
	v_mul_f64_e32 v[145:146], v[133:134], v[131:132]
	v_mul_f64_e32 v[131:132], v[135:136], v[131:132]
	scratch_load_b128 v[38:41], off, off offset:656
	s_wait_loadcnt_dscnt 0x800
	v_mul_f64_e32 v[151:152], v[2:3], v[36:37]
	v_mul_f64_e32 v[36:37], v[4:5], v[36:37]
	v_add_f64_e32 v[143:144], v[143:144], v[137:138]
	v_add_f64_e32 v[141:142], v[141:142], v[139:140]
	ds_load_b128 v[137:140], v1 offset:1184
	v_fma_f64 v[135:136], v[135:136], v[129:130], v[145:146]
	v_fma_f64 v[129:130], v[133:134], v[129:130], -v[131:132]
	v_fma_f64 v[145:146], v[2:3], v[34:35], -v[36:37]
	v_add_f64_e32 v[131:132], v[143:144], v[149:150]
	v_add_f64_e32 v[133:134], v[141:142], v[147:148]
	s_wait_loadcnt_dscnt 0x700
	v_mul_f64_e32 v[141:142], v[137:138], v[8:9]
	v_mul_f64_e32 v[8:9], v[139:140], v[8:9]
	v_fma_f64 v[143:144], v[4:5], v[34:35], v[151:152]
	ds_load_b128 v[2:5], v1 offset:1200
	ds_load_b128 v[34:37], v1 offset:1216
	v_add_f64_e32 v[129:130], v[131:132], v[129:130]
	v_add_f64_e32 v[131:132], v[133:134], v[135:136]
	s_wait_loadcnt_dscnt 0x601
	v_mul_f64_e32 v[133:134], v[2:3], v[12:13]
	v_mul_f64_e32 v[12:13], v[4:5], v[12:13]
	v_fma_f64 v[135:136], v[139:140], v[6:7], v[141:142]
	v_fma_f64 v[6:7], v[137:138], v[6:7], -v[8:9]
	v_add_f64_e32 v[8:9], v[129:130], v[145:146]
	v_add_f64_e32 v[129:130], v[131:132], v[143:144]
	s_wait_loadcnt_dscnt 0x500
	v_mul_f64_e32 v[131:132], v[34:35], v[16:17]
	v_mul_f64_e32 v[16:17], v[36:37], v[16:17]
	v_fma_f64 v[133:134], v[4:5], v[10:11], v[133:134]
	v_fma_f64 v[10:11], v[2:3], v[10:11], -v[12:13]
	v_add_f64_e32 v[12:13], v[8:9], v[6:7]
	v_add_f64_e32 v[129:130], v[129:130], v[135:136]
	ds_load_b128 v[2:5], v1 offset:1232
	ds_load_b128 v[6:9], v1 offset:1248
	v_fma_f64 v[36:37], v[36:37], v[14:15], v[131:132]
	v_fma_f64 v[14:15], v[34:35], v[14:15], -v[16:17]
	s_wait_loadcnt_dscnt 0x401
	v_mul_f64_e32 v[135:136], v[2:3], v[20:21]
	v_mul_f64_e32 v[20:21], v[4:5], v[20:21]
	s_wait_loadcnt_dscnt 0x300
	v_mul_f64_e32 v[16:17], v[6:7], v[24:25]
	v_mul_f64_e32 v[24:25], v[8:9], v[24:25]
	v_add_f64_e32 v[10:11], v[12:13], v[10:11]
	v_add_f64_e32 v[12:13], v[129:130], v[133:134]
	v_fma_f64 v[34:35], v[4:5], v[18:19], v[135:136]
	v_fma_f64 v[18:19], v[2:3], v[18:19], -v[20:21]
	v_fma_f64 v[8:9], v[8:9], v[22:23], v[16:17]
	v_fma_f64 v[6:7], v[6:7], v[22:23], -v[24:25]
	v_add_f64_e32 v[14:15], v[10:11], v[14:15]
	v_add_f64_e32 v[20:21], v[12:13], v[36:37]
	ds_load_b128 v[2:5], v1 offset:1264
	ds_load_b128 v[10:13], v1 offset:1280
	s_wait_loadcnt_dscnt 0x201
	v_mul_f64_e32 v[36:37], v[2:3], v[28:29]
	v_mul_f64_e32 v[28:29], v[4:5], v[28:29]
	v_add_f64_e32 v[14:15], v[14:15], v[18:19]
	v_add_f64_e32 v[16:17], v[20:21], v[34:35]
	s_wait_loadcnt_dscnt 0x100
	v_mul_f64_e32 v[18:19], v[10:11], v[32:33]
	v_mul_f64_e32 v[20:21], v[12:13], v[32:33]
	v_fma_f64 v[22:23], v[4:5], v[26:27], v[36:37]
	v_fma_f64 v[24:25], v[2:3], v[26:27], -v[28:29]
	ds_load_b128 v[2:5], v1 offset:1296
	v_add_f64_e32 v[6:7], v[14:15], v[6:7]
	v_add_f64_e32 v[8:9], v[16:17], v[8:9]
	v_fma_f64 v[12:13], v[12:13], v[30:31], v[18:19]
	v_fma_f64 v[10:11], v[10:11], v[30:31], -v[20:21]
	s_wait_loadcnt_dscnt 0x0
	v_mul_f64_e32 v[14:15], v[2:3], v[40:41]
	v_mul_f64_e32 v[16:17], v[4:5], v[40:41]
	v_add_f64_e32 v[6:7], v[6:7], v[24:25]
	v_add_f64_e32 v[8:9], v[8:9], v[22:23]
	s_delay_alu instid0(VALU_DEP_4) | instskip(NEXT) | instid1(VALU_DEP_4)
	v_fma_f64 v[4:5], v[4:5], v[38:39], v[14:15]
	v_fma_f64 v[2:3], v[2:3], v[38:39], -v[16:17]
	s_delay_alu instid0(VALU_DEP_4) | instskip(NEXT) | instid1(VALU_DEP_4)
	v_add_f64_e32 v[6:7], v[6:7], v[10:11]
	v_add_f64_e32 v[8:9], v[8:9], v[12:13]
	s_delay_alu instid0(VALU_DEP_2) | instskip(NEXT) | instid1(VALU_DEP_2)
	v_add_f64_e32 v[2:3], v[6:7], v[2:3]
	v_add_f64_e32 v[4:5], v[8:9], v[4:5]
	s_delay_alu instid0(VALU_DEP_2) | instskip(NEXT) | instid1(VALU_DEP_2)
	v_add_f64_e64 v[2:3], v[42:43], -v[2:3]
	v_add_f64_e64 v[4:5], v[44:45], -v[4:5]
	scratch_store_b128 off, v[2:5], off offset:192
	v_cmpx_lt_u32_e32 10, v0
	s_cbranch_execz .LBB40_239
; %bb.238:
	scratch_load_b128 v[5:8], off, s44
	v_dual_mov_b32 v2, v1 :: v_dual_mov_b32 v3, v1
	v_mov_b32_e32 v4, v1
	scratch_store_b128 off, v[1:4], off offset:176
	s_wait_loadcnt 0x0
	ds_store_b128 v128, v[5:8]
.LBB40_239:
	s_wait_alu 0xfffe
	s_or_b32 exec_lo, exec_lo, s0
	s_wait_storecnt_dscnt 0x0
	s_barrier_signal -1
	s_barrier_wait -1
	global_inv scope:SCOPE_SE
	s_clause 0x8
	scratch_load_b128 v[2:5], off, off offset:192
	scratch_load_b128 v[6:9], off, off offset:208
	;; [unrolled: 1-line block ×9, first 2 shown]
	ds_load_b128 v[38:41], v1 offset:832
	ds_load_b128 v[42:45], v1 offset:848
	s_clause 0x1
	scratch_load_b128 v[129:132], off, off offset:176
	scratch_load_b128 v[133:136], off, off offset:336
	s_mov_b32 s0, exec_lo
	s_wait_loadcnt_dscnt 0xa01
	v_mul_f64_e32 v[137:138], v[40:41], v[4:5]
	v_mul_f64_e32 v[4:5], v[38:39], v[4:5]
	s_wait_loadcnt_dscnt 0x900
	v_mul_f64_e32 v[141:142], v[42:43], v[8:9]
	v_mul_f64_e32 v[8:9], v[44:45], v[8:9]
	s_delay_alu instid0(VALU_DEP_4) | instskip(NEXT) | instid1(VALU_DEP_4)
	v_fma_f64 v[143:144], v[38:39], v[2:3], -v[137:138]
	v_fma_f64 v[145:146], v[40:41], v[2:3], v[4:5]
	ds_load_b128 v[2:5], v1 offset:864
	ds_load_b128 v[137:140], v1 offset:880
	scratch_load_b128 v[38:41], off, off offset:352
	v_fma_f64 v[44:45], v[44:45], v[6:7], v[141:142]
	v_fma_f64 v[42:43], v[42:43], v[6:7], -v[8:9]
	scratch_load_b128 v[6:9], off, off offset:368
	s_wait_loadcnt_dscnt 0xa01
	v_mul_f64_e32 v[147:148], v[2:3], v[12:13]
	v_mul_f64_e32 v[12:13], v[4:5], v[12:13]
	v_add_f64_e32 v[141:142], 0, v[143:144]
	v_add_f64_e32 v[143:144], 0, v[145:146]
	s_wait_loadcnt_dscnt 0x900
	v_mul_f64_e32 v[145:146], v[137:138], v[16:17]
	v_mul_f64_e32 v[16:17], v[139:140], v[16:17]
	v_fma_f64 v[147:148], v[4:5], v[10:11], v[147:148]
	v_fma_f64 v[149:150], v[2:3], v[10:11], -v[12:13]
	ds_load_b128 v[2:5], v1 offset:896
	scratch_load_b128 v[10:13], off, off offset:384
	v_add_f64_e32 v[141:142], v[141:142], v[42:43]
	v_add_f64_e32 v[143:144], v[143:144], v[44:45]
	ds_load_b128 v[42:45], v1 offset:912
	v_fma_f64 v[139:140], v[139:140], v[14:15], v[145:146]
	v_fma_f64 v[137:138], v[137:138], v[14:15], -v[16:17]
	scratch_load_b128 v[14:17], off, off offset:400
	s_wait_loadcnt_dscnt 0xa01
	v_mul_f64_e32 v[151:152], v[2:3], v[20:21]
	v_mul_f64_e32 v[20:21], v[4:5], v[20:21]
	s_wait_loadcnt_dscnt 0x900
	v_mul_f64_e32 v[145:146], v[42:43], v[24:25]
	v_mul_f64_e32 v[24:25], v[44:45], v[24:25]
	v_add_f64_e32 v[141:142], v[141:142], v[149:150]
	v_add_f64_e32 v[143:144], v[143:144], v[147:148]
	v_fma_f64 v[147:148], v[4:5], v[18:19], v[151:152]
	v_fma_f64 v[149:150], v[2:3], v[18:19], -v[20:21]
	ds_load_b128 v[2:5], v1 offset:928
	scratch_load_b128 v[18:21], off, off offset:416
	v_fma_f64 v[44:45], v[44:45], v[22:23], v[145:146]
	v_fma_f64 v[42:43], v[42:43], v[22:23], -v[24:25]
	scratch_load_b128 v[22:25], off, off offset:432
	v_add_f64_e32 v[141:142], v[141:142], v[137:138]
	v_add_f64_e32 v[143:144], v[143:144], v[139:140]
	ds_load_b128 v[137:140], v1 offset:944
	s_wait_loadcnt_dscnt 0xa01
	v_mul_f64_e32 v[151:152], v[2:3], v[28:29]
	v_mul_f64_e32 v[28:29], v[4:5], v[28:29]
	s_wait_loadcnt_dscnt 0x900
	v_mul_f64_e32 v[145:146], v[137:138], v[32:33]
	v_mul_f64_e32 v[32:33], v[139:140], v[32:33]
	v_add_f64_e32 v[141:142], v[141:142], v[149:150]
	v_add_f64_e32 v[143:144], v[143:144], v[147:148]
	v_fma_f64 v[147:148], v[4:5], v[26:27], v[151:152]
	v_fma_f64 v[149:150], v[2:3], v[26:27], -v[28:29]
	ds_load_b128 v[2:5], v1 offset:960
	scratch_load_b128 v[26:29], off, off offset:448
	v_fma_f64 v[139:140], v[139:140], v[30:31], v[145:146]
	v_fma_f64 v[137:138], v[137:138], v[30:31], -v[32:33]
	scratch_load_b128 v[30:33], off, off offset:464
	v_add_f64_e32 v[141:142], v[141:142], v[42:43]
	v_add_f64_e32 v[143:144], v[143:144], v[44:45]
	ds_load_b128 v[42:45], v1 offset:976
	s_wait_loadcnt_dscnt 0xa01
	v_mul_f64_e32 v[151:152], v[2:3], v[36:37]
	v_mul_f64_e32 v[36:37], v[4:5], v[36:37]
	s_wait_loadcnt_dscnt 0x800
	v_mul_f64_e32 v[145:146], v[42:43], v[135:136]
	v_add_f64_e32 v[141:142], v[141:142], v[149:150]
	v_add_f64_e32 v[143:144], v[143:144], v[147:148]
	v_mul_f64_e32 v[147:148], v[44:45], v[135:136]
	v_fma_f64 v[149:150], v[4:5], v[34:35], v[151:152]
	v_fma_f64 v[151:152], v[2:3], v[34:35], -v[36:37]
	ds_load_b128 v[2:5], v1 offset:992
	scratch_load_b128 v[34:37], off, off offset:480
	v_fma_f64 v[44:45], v[44:45], v[133:134], v[145:146]
	v_add_f64_e32 v[141:142], v[141:142], v[137:138]
	v_add_f64_e32 v[139:140], v[143:144], v[139:140]
	ds_load_b128 v[135:138], v1 offset:1008
	v_fma_f64 v[133:134], v[42:43], v[133:134], -v[147:148]
	s_wait_loadcnt_dscnt 0x801
	v_mul_f64_e32 v[143:144], v[2:3], v[40:41]
	v_mul_f64_e32 v[153:154], v[4:5], v[40:41]
	scratch_load_b128 v[40:43], off, off offset:496
	s_wait_loadcnt_dscnt 0x800
	v_mul_f64_e32 v[147:148], v[135:136], v[8:9]
	v_mul_f64_e32 v[8:9], v[137:138], v[8:9]
	v_add_f64_e32 v[141:142], v[141:142], v[151:152]
	v_add_f64_e32 v[139:140], v[139:140], v[149:150]
	v_fma_f64 v[149:150], v[4:5], v[38:39], v[143:144]
	v_fma_f64 v[38:39], v[2:3], v[38:39], -v[153:154]
	ds_load_b128 v[2:5], v1 offset:1024
	ds_load_b128 v[143:146], v1 offset:1040
	v_fma_f64 v[137:138], v[137:138], v[6:7], v[147:148]
	v_fma_f64 v[135:136], v[135:136], v[6:7], -v[8:9]
	scratch_load_b128 v[6:9], off, off offset:528
	v_add_f64_e32 v[133:134], v[141:142], v[133:134]
	v_add_f64_e32 v[44:45], v[139:140], v[44:45]
	scratch_load_b128 v[139:142], off, off offset:512
	s_wait_loadcnt_dscnt 0x901
	v_mul_f64_e32 v[151:152], v[2:3], v[12:13]
	v_mul_f64_e32 v[12:13], v[4:5], v[12:13]
	s_wait_loadcnt_dscnt 0x800
	v_mul_f64_e32 v[147:148], v[143:144], v[16:17]
	v_mul_f64_e32 v[16:17], v[145:146], v[16:17]
	v_add_f64_e32 v[38:39], v[133:134], v[38:39]
	v_add_f64_e32 v[44:45], v[44:45], v[149:150]
	v_fma_f64 v[149:150], v[4:5], v[10:11], v[151:152]
	v_fma_f64 v[151:152], v[2:3], v[10:11], -v[12:13]
	ds_load_b128 v[2:5], v1 offset:1056
	scratch_load_b128 v[10:13], off, off offset:544
	v_fma_f64 v[145:146], v[145:146], v[14:15], v[147:148]
	v_fma_f64 v[143:144], v[143:144], v[14:15], -v[16:17]
	scratch_load_b128 v[14:17], off, off offset:560
	v_add_f64_e32 v[38:39], v[38:39], v[135:136]
	v_add_f64_e32 v[44:45], v[44:45], v[137:138]
	ds_load_b128 v[133:136], v1 offset:1072
	s_wait_loadcnt_dscnt 0x901
	v_mul_f64_e32 v[137:138], v[2:3], v[20:21]
	v_mul_f64_e32 v[20:21], v[4:5], v[20:21]
	s_wait_loadcnt_dscnt 0x800
	v_mul_f64_e32 v[147:148], v[133:134], v[24:25]
	v_mul_f64_e32 v[24:25], v[135:136], v[24:25]
	v_add_f64_e32 v[38:39], v[38:39], v[151:152]
	v_add_f64_e32 v[44:45], v[44:45], v[149:150]
	v_fma_f64 v[137:138], v[4:5], v[18:19], v[137:138]
	v_fma_f64 v[149:150], v[2:3], v[18:19], -v[20:21]
	ds_load_b128 v[2:5], v1 offset:1088
	scratch_load_b128 v[18:21], off, off offset:576
	v_fma_f64 v[135:136], v[135:136], v[22:23], v[147:148]
	v_fma_f64 v[133:134], v[133:134], v[22:23], -v[24:25]
	scratch_load_b128 v[22:25], off, off offset:592
	v_add_f64_e32 v[38:39], v[38:39], v[143:144]
	v_add_f64_e32 v[44:45], v[44:45], v[145:146]
	ds_load_b128 v[143:146], v1 offset:1104
	s_wait_loadcnt_dscnt 0x901
	v_mul_f64_e32 v[151:152], v[2:3], v[28:29]
	v_mul_f64_e32 v[28:29], v[4:5], v[28:29]
	v_add_f64_e32 v[38:39], v[38:39], v[149:150]
	v_add_f64_e32 v[44:45], v[44:45], v[137:138]
	s_wait_loadcnt_dscnt 0x800
	v_mul_f64_e32 v[137:138], v[143:144], v[32:33]
	v_mul_f64_e32 v[32:33], v[145:146], v[32:33]
	v_fma_f64 v[147:148], v[4:5], v[26:27], v[151:152]
	v_fma_f64 v[149:150], v[2:3], v[26:27], -v[28:29]
	ds_load_b128 v[2:5], v1 offset:1120
	scratch_load_b128 v[26:29], off, off offset:608
	v_add_f64_e32 v[38:39], v[38:39], v[133:134]
	v_add_f64_e32 v[44:45], v[44:45], v[135:136]
	ds_load_b128 v[133:136], v1 offset:1136
	s_wait_loadcnt_dscnt 0x801
	v_mul_f64_e32 v[151:152], v[2:3], v[36:37]
	v_mul_f64_e32 v[36:37], v[4:5], v[36:37]
	v_fma_f64 v[137:138], v[145:146], v[30:31], v[137:138]
	v_fma_f64 v[143:144], v[143:144], v[30:31], -v[32:33]
	scratch_load_b128 v[30:33], off, off offset:624
	s_wait_loadcnt_dscnt 0x800
	v_mul_f64_e32 v[145:146], v[133:134], v[42:43]
	v_add_f64_e32 v[38:39], v[38:39], v[149:150]
	v_add_f64_e32 v[44:45], v[44:45], v[147:148]
	v_mul_f64_e32 v[147:148], v[135:136], v[42:43]
	v_fma_f64 v[149:150], v[4:5], v[34:35], v[151:152]
	v_fma_f64 v[151:152], v[2:3], v[34:35], -v[36:37]
	ds_load_b128 v[2:5], v1 offset:1152
	scratch_load_b128 v[34:37], off, off offset:640
	v_fma_f64 v[135:136], v[135:136], v[40:41], v[145:146]
	v_add_f64_e32 v[38:39], v[38:39], v[143:144]
	v_add_f64_e32 v[137:138], v[44:45], v[137:138]
	ds_load_b128 v[42:45], v1 offset:1168
	v_fma_f64 v[133:134], v[133:134], v[40:41], -v[147:148]
	s_wait_loadcnt_dscnt 0x701
	v_mul_f64_e32 v[143:144], v[2:3], v[141:142]
	v_mul_f64_e32 v[141:142], v[4:5], v[141:142]
	s_wait_dscnt 0x0
	v_mul_f64_e32 v[147:148], v[42:43], v[8:9]
	v_mul_f64_e32 v[8:9], v[44:45], v[8:9]
	v_add_f64_e32 v[145:146], v[38:39], v[151:152]
	v_add_f64_e32 v[137:138], v[137:138], v[149:150]
	scratch_load_b128 v[38:41], off, off offset:656
	v_fma_f64 v[143:144], v[4:5], v[139:140], v[143:144]
	v_fma_f64 v[139:140], v[2:3], v[139:140], -v[141:142]
	v_fma_f64 v[44:45], v[44:45], v[6:7], v[147:148]
	v_fma_f64 v[6:7], v[42:43], v[6:7], -v[8:9]
	v_add_f64_e32 v[141:142], v[145:146], v[133:134]
	v_add_f64_e32 v[137:138], v[137:138], v[135:136]
	ds_load_b128 v[2:5], v1 offset:1184
	ds_load_b128 v[133:136], v1 offset:1200
	s_wait_loadcnt_dscnt 0x701
	v_mul_f64_e32 v[145:146], v[2:3], v[12:13]
	v_mul_f64_e32 v[12:13], v[4:5], v[12:13]
	v_add_f64_e32 v[8:9], v[141:142], v[139:140]
	v_add_f64_e32 v[42:43], v[137:138], v[143:144]
	s_wait_loadcnt_dscnt 0x600
	v_mul_f64_e32 v[137:138], v[133:134], v[16:17]
	v_mul_f64_e32 v[16:17], v[135:136], v[16:17]
	v_fma_f64 v[139:140], v[4:5], v[10:11], v[145:146]
	v_fma_f64 v[10:11], v[2:3], v[10:11], -v[12:13]
	v_add_f64_e32 v[12:13], v[8:9], v[6:7]
	v_add_f64_e32 v[42:43], v[42:43], v[44:45]
	ds_load_b128 v[2:5], v1 offset:1216
	ds_load_b128 v[6:9], v1 offset:1232
	v_fma_f64 v[135:136], v[135:136], v[14:15], v[137:138]
	v_fma_f64 v[14:15], v[133:134], v[14:15], -v[16:17]
	s_wait_loadcnt_dscnt 0x501
	v_mul_f64_e32 v[44:45], v[2:3], v[20:21]
	v_mul_f64_e32 v[20:21], v[4:5], v[20:21]
	s_wait_loadcnt_dscnt 0x400
	v_mul_f64_e32 v[16:17], v[6:7], v[24:25]
	v_mul_f64_e32 v[24:25], v[8:9], v[24:25]
	v_add_f64_e32 v[10:11], v[12:13], v[10:11]
	v_add_f64_e32 v[12:13], v[42:43], v[139:140]
	v_fma_f64 v[42:43], v[4:5], v[18:19], v[44:45]
	v_fma_f64 v[18:19], v[2:3], v[18:19], -v[20:21]
	v_fma_f64 v[8:9], v[8:9], v[22:23], v[16:17]
	v_fma_f64 v[6:7], v[6:7], v[22:23], -v[24:25]
	v_add_f64_e32 v[14:15], v[10:11], v[14:15]
	v_add_f64_e32 v[20:21], v[12:13], v[135:136]
	ds_load_b128 v[2:5], v1 offset:1248
	ds_load_b128 v[10:13], v1 offset:1264
	s_wait_loadcnt_dscnt 0x301
	v_mul_f64_e32 v[44:45], v[2:3], v[28:29]
	v_mul_f64_e32 v[28:29], v[4:5], v[28:29]
	v_add_f64_e32 v[14:15], v[14:15], v[18:19]
	v_add_f64_e32 v[16:17], v[20:21], v[42:43]
	s_wait_loadcnt_dscnt 0x200
	v_mul_f64_e32 v[18:19], v[10:11], v[32:33]
	v_mul_f64_e32 v[20:21], v[12:13], v[32:33]
	v_fma_f64 v[22:23], v[4:5], v[26:27], v[44:45]
	v_fma_f64 v[24:25], v[2:3], v[26:27], -v[28:29]
	v_add_f64_e32 v[14:15], v[14:15], v[6:7]
	v_add_f64_e32 v[16:17], v[16:17], v[8:9]
	ds_load_b128 v[2:5], v1 offset:1280
	ds_load_b128 v[6:9], v1 offset:1296
	v_fma_f64 v[12:13], v[12:13], v[30:31], v[18:19]
	v_fma_f64 v[10:11], v[10:11], v[30:31], -v[20:21]
	s_wait_loadcnt_dscnt 0x101
	v_mul_f64_e32 v[26:27], v[2:3], v[36:37]
	v_mul_f64_e32 v[28:29], v[4:5], v[36:37]
	v_add_f64_e32 v[14:15], v[14:15], v[24:25]
	v_add_f64_e32 v[16:17], v[16:17], v[22:23]
	s_wait_loadcnt_dscnt 0x0
	v_mul_f64_e32 v[18:19], v[6:7], v[40:41]
	v_mul_f64_e32 v[20:21], v[8:9], v[40:41]
	v_fma_f64 v[4:5], v[4:5], v[34:35], v[26:27]
	v_fma_f64 v[1:2], v[2:3], v[34:35], -v[28:29]
	v_add_f64_e32 v[10:11], v[14:15], v[10:11]
	v_add_f64_e32 v[12:13], v[16:17], v[12:13]
	v_fma_f64 v[8:9], v[8:9], v[38:39], v[18:19]
	v_fma_f64 v[6:7], v[6:7], v[38:39], -v[20:21]
	s_delay_alu instid0(VALU_DEP_4) | instskip(NEXT) | instid1(VALU_DEP_4)
	v_add_f64_e32 v[1:2], v[10:11], v[1:2]
	v_add_f64_e32 v[3:4], v[12:13], v[4:5]
	s_delay_alu instid0(VALU_DEP_2) | instskip(NEXT) | instid1(VALU_DEP_2)
	v_add_f64_e32 v[1:2], v[1:2], v[6:7]
	v_add_f64_e32 v[3:4], v[3:4], v[8:9]
	s_delay_alu instid0(VALU_DEP_2) | instskip(NEXT) | instid1(VALU_DEP_2)
	v_add_f64_e64 v[1:2], v[129:130], -v[1:2]
	v_add_f64_e64 v[3:4], v[131:132], -v[3:4]
	scratch_store_b128 off, v[1:4], off offset:176
	v_cmpx_lt_u32_e32 9, v0
	s_cbranch_execz .LBB40_241
; %bb.240:
	scratch_load_b128 v[1:4], off, s45
	v_mov_b32_e32 v5, 0
	s_delay_alu instid0(VALU_DEP_1)
	v_dual_mov_b32 v6, v5 :: v_dual_mov_b32 v7, v5
	v_mov_b32_e32 v8, v5
	scratch_store_b128 off, v[5:8], off offset:160
	s_wait_loadcnt 0x0
	ds_store_b128 v128, v[1:4]
.LBB40_241:
	s_wait_alu 0xfffe
	s_or_b32 exec_lo, exec_lo, s0
	s_wait_storecnt_dscnt 0x0
	s_barrier_signal -1
	s_barrier_wait -1
	global_inv scope:SCOPE_SE
	s_clause 0x7
	scratch_load_b128 v[2:5], off, off offset:176
	scratch_load_b128 v[6:9], off, off offset:192
	;; [unrolled: 1-line block ×8, first 2 shown]
	v_mov_b32_e32 v1, 0
	s_mov_b32 s0, exec_lo
	ds_load_b128 v[34:37], v1 offset:816
	s_clause 0x1
	scratch_load_b128 v[38:41], off, off offset:304
	scratch_load_b128 v[42:45], off, off offset:160
	ds_load_b128 v[129:132], v1 offset:832
	scratch_load_b128 v[133:136], off, off offset:320
	s_wait_loadcnt_dscnt 0xa01
	v_mul_f64_e32 v[137:138], v[36:37], v[4:5]
	v_mul_f64_e32 v[4:5], v[34:35], v[4:5]
	s_delay_alu instid0(VALU_DEP_2) | instskip(NEXT) | instid1(VALU_DEP_2)
	v_fma_f64 v[143:144], v[34:35], v[2:3], -v[137:138]
	v_fma_f64 v[145:146], v[36:37], v[2:3], v[4:5]
	ds_load_b128 v[2:5], v1 offset:848
	s_wait_loadcnt_dscnt 0x901
	v_mul_f64_e32 v[141:142], v[129:130], v[8:9]
	v_mul_f64_e32 v[8:9], v[131:132], v[8:9]
	scratch_load_b128 v[34:37], off, off offset:336
	ds_load_b128 v[137:140], v1 offset:864
	s_wait_loadcnt_dscnt 0x901
	v_mul_f64_e32 v[147:148], v[2:3], v[12:13]
	v_mul_f64_e32 v[12:13], v[4:5], v[12:13]
	v_fma_f64 v[131:132], v[131:132], v[6:7], v[141:142]
	v_fma_f64 v[129:130], v[129:130], v[6:7], -v[8:9]
	v_add_f64_e32 v[141:142], 0, v[143:144]
	v_add_f64_e32 v[143:144], 0, v[145:146]
	scratch_load_b128 v[6:9], off, off offset:352
	v_fma_f64 v[147:148], v[4:5], v[10:11], v[147:148]
	v_fma_f64 v[149:150], v[2:3], v[10:11], -v[12:13]
	ds_load_b128 v[2:5], v1 offset:880
	s_wait_loadcnt_dscnt 0x901
	v_mul_f64_e32 v[145:146], v[137:138], v[16:17]
	v_mul_f64_e32 v[16:17], v[139:140], v[16:17]
	scratch_load_b128 v[10:13], off, off offset:368
	v_add_f64_e32 v[141:142], v[141:142], v[129:130]
	v_add_f64_e32 v[143:144], v[143:144], v[131:132]
	s_wait_loadcnt_dscnt 0x900
	v_mul_f64_e32 v[151:152], v[2:3], v[20:21]
	v_mul_f64_e32 v[20:21], v[4:5], v[20:21]
	ds_load_b128 v[129:132], v1 offset:896
	v_fma_f64 v[139:140], v[139:140], v[14:15], v[145:146]
	v_fma_f64 v[137:138], v[137:138], v[14:15], -v[16:17]
	scratch_load_b128 v[14:17], off, off offset:384
	v_add_f64_e32 v[141:142], v[141:142], v[149:150]
	v_add_f64_e32 v[143:144], v[143:144], v[147:148]
	v_fma_f64 v[147:148], v[4:5], v[18:19], v[151:152]
	v_fma_f64 v[149:150], v[2:3], v[18:19], -v[20:21]
	ds_load_b128 v[2:5], v1 offset:912
	s_wait_loadcnt_dscnt 0x901
	v_mul_f64_e32 v[145:146], v[129:130], v[24:25]
	v_mul_f64_e32 v[24:25], v[131:132], v[24:25]
	scratch_load_b128 v[18:21], off, off offset:400
	s_wait_loadcnt_dscnt 0x900
	v_mul_f64_e32 v[151:152], v[2:3], v[28:29]
	v_mul_f64_e32 v[28:29], v[4:5], v[28:29]
	v_add_f64_e32 v[141:142], v[141:142], v[137:138]
	v_add_f64_e32 v[143:144], v[143:144], v[139:140]
	ds_load_b128 v[137:140], v1 offset:928
	v_fma_f64 v[131:132], v[131:132], v[22:23], v[145:146]
	v_fma_f64 v[129:130], v[129:130], v[22:23], -v[24:25]
	scratch_load_b128 v[22:25], off, off offset:416
	v_add_f64_e32 v[141:142], v[141:142], v[149:150]
	v_add_f64_e32 v[143:144], v[143:144], v[147:148]
	v_fma_f64 v[147:148], v[4:5], v[26:27], v[151:152]
	v_fma_f64 v[149:150], v[2:3], v[26:27], -v[28:29]
	ds_load_b128 v[2:5], v1 offset:944
	s_wait_loadcnt_dscnt 0x901
	v_mul_f64_e32 v[145:146], v[137:138], v[32:33]
	v_mul_f64_e32 v[32:33], v[139:140], v[32:33]
	scratch_load_b128 v[26:29], off, off offset:432
	s_wait_loadcnt_dscnt 0x900
	v_mul_f64_e32 v[151:152], v[2:3], v[40:41]
	v_mul_f64_e32 v[40:41], v[4:5], v[40:41]
	v_add_f64_e32 v[141:142], v[141:142], v[129:130]
	v_add_f64_e32 v[143:144], v[143:144], v[131:132]
	ds_load_b128 v[129:132], v1 offset:960
	v_fma_f64 v[139:140], v[139:140], v[30:31], v[145:146]
	v_fma_f64 v[137:138], v[137:138], v[30:31], -v[32:33]
	scratch_load_b128 v[30:33], off, off offset:448
	v_add_f64_e32 v[141:142], v[141:142], v[149:150]
	v_add_f64_e32 v[143:144], v[143:144], v[147:148]
	v_fma_f64 v[149:150], v[4:5], v[38:39], v[151:152]
	v_fma_f64 v[151:152], v[2:3], v[38:39], -v[40:41]
	ds_load_b128 v[2:5], v1 offset:976
	s_wait_loadcnt_dscnt 0x801
	v_mul_f64_e32 v[145:146], v[129:130], v[135:136]
	v_mul_f64_e32 v[147:148], v[131:132], v[135:136]
	scratch_load_b128 v[38:41], off, off offset:464
	v_add_f64_e32 v[141:142], v[141:142], v[137:138]
	v_add_f64_e32 v[139:140], v[143:144], v[139:140]
	ds_load_b128 v[135:138], v1 offset:992
	v_fma_f64 v[145:146], v[131:132], v[133:134], v[145:146]
	v_fma_f64 v[133:134], v[129:130], v[133:134], -v[147:148]
	scratch_load_b128 v[129:132], off, off offset:480
	s_wait_loadcnt_dscnt 0x901
	v_mul_f64_e32 v[143:144], v[2:3], v[36:37]
	v_mul_f64_e32 v[36:37], v[4:5], v[36:37]
	v_add_f64_e32 v[141:142], v[141:142], v[151:152]
	v_add_f64_e32 v[139:140], v[139:140], v[149:150]
	s_delay_alu instid0(VALU_DEP_4) | instskip(NEXT) | instid1(VALU_DEP_4)
	v_fma_f64 v[143:144], v[4:5], v[34:35], v[143:144]
	v_fma_f64 v[149:150], v[2:3], v[34:35], -v[36:37]
	ds_load_b128 v[2:5], v1 offset:1008
	s_wait_loadcnt_dscnt 0x801
	v_mul_f64_e32 v[147:148], v[135:136], v[8:9]
	v_mul_f64_e32 v[8:9], v[137:138], v[8:9]
	scratch_load_b128 v[34:37], off, off offset:496
	s_wait_loadcnt_dscnt 0x800
	v_mul_f64_e32 v[151:152], v[2:3], v[12:13]
	v_add_f64_e32 v[133:134], v[141:142], v[133:134]
	v_add_f64_e32 v[145:146], v[139:140], v[145:146]
	v_mul_f64_e32 v[12:13], v[4:5], v[12:13]
	ds_load_b128 v[139:142], v1 offset:1024
	v_fma_f64 v[137:138], v[137:138], v[6:7], v[147:148]
	v_fma_f64 v[135:136], v[135:136], v[6:7], -v[8:9]
	scratch_load_b128 v[6:9], off, off offset:512
	v_fma_f64 v[147:148], v[4:5], v[10:11], v[151:152]
	v_add_f64_e32 v[133:134], v[133:134], v[149:150]
	v_add_f64_e32 v[143:144], v[145:146], v[143:144]
	v_fma_f64 v[149:150], v[2:3], v[10:11], -v[12:13]
	ds_load_b128 v[2:5], v1 offset:1040
	s_wait_loadcnt_dscnt 0x801
	v_mul_f64_e32 v[145:146], v[139:140], v[16:17]
	v_mul_f64_e32 v[16:17], v[141:142], v[16:17]
	scratch_load_b128 v[10:13], off, off offset:528
	v_add_f64_e32 v[151:152], v[133:134], v[135:136]
	v_add_f64_e32 v[137:138], v[143:144], v[137:138]
	s_wait_loadcnt_dscnt 0x800
	v_mul_f64_e32 v[143:144], v[2:3], v[20:21]
	v_mul_f64_e32 v[20:21], v[4:5], v[20:21]
	v_fma_f64 v[141:142], v[141:142], v[14:15], v[145:146]
	v_fma_f64 v[139:140], v[139:140], v[14:15], -v[16:17]
	ds_load_b128 v[133:136], v1 offset:1056
	scratch_load_b128 v[14:17], off, off offset:544
	v_add_f64_e32 v[145:146], v[151:152], v[149:150]
	v_add_f64_e32 v[137:138], v[137:138], v[147:148]
	v_fma_f64 v[143:144], v[4:5], v[18:19], v[143:144]
	v_fma_f64 v[149:150], v[2:3], v[18:19], -v[20:21]
	ds_load_b128 v[2:5], v1 offset:1072
	s_wait_loadcnt_dscnt 0x801
	v_mul_f64_e32 v[147:148], v[133:134], v[24:25]
	v_mul_f64_e32 v[24:25], v[135:136], v[24:25]
	scratch_load_b128 v[18:21], off, off offset:560
	s_wait_loadcnt_dscnt 0x800
	v_mul_f64_e32 v[151:152], v[2:3], v[28:29]
	v_mul_f64_e32 v[28:29], v[4:5], v[28:29]
	v_add_f64_e32 v[145:146], v[145:146], v[139:140]
	v_add_f64_e32 v[141:142], v[137:138], v[141:142]
	ds_load_b128 v[137:140], v1 offset:1088
	v_fma_f64 v[135:136], v[135:136], v[22:23], v[147:148]
	v_fma_f64 v[133:134], v[133:134], v[22:23], -v[24:25]
	scratch_load_b128 v[22:25], off, off offset:576
	v_fma_f64 v[147:148], v[4:5], v[26:27], v[151:152]
	v_add_f64_e32 v[145:146], v[145:146], v[149:150]
	v_add_f64_e32 v[141:142], v[141:142], v[143:144]
	v_fma_f64 v[149:150], v[2:3], v[26:27], -v[28:29]
	ds_load_b128 v[2:5], v1 offset:1104
	s_wait_loadcnt_dscnt 0x801
	v_mul_f64_e32 v[143:144], v[137:138], v[32:33]
	v_mul_f64_e32 v[32:33], v[139:140], v[32:33]
	scratch_load_b128 v[26:29], off, off offset:592
	s_wait_loadcnt_dscnt 0x800
	v_mul_f64_e32 v[151:152], v[2:3], v[40:41]
	v_mul_f64_e32 v[40:41], v[4:5], v[40:41]
	v_add_f64_e32 v[145:146], v[145:146], v[133:134]
	v_add_f64_e32 v[141:142], v[141:142], v[135:136]
	ds_load_b128 v[133:136], v1 offset:1120
	v_fma_f64 v[139:140], v[139:140], v[30:31], v[143:144]
	v_fma_f64 v[137:138], v[137:138], v[30:31], -v[32:33]
	scratch_load_b128 v[30:33], off, off offset:608
	v_add_f64_e32 v[143:144], v[145:146], v[149:150]
	v_add_f64_e32 v[141:142], v[141:142], v[147:148]
	v_fma_f64 v[147:148], v[4:5], v[38:39], v[151:152]
	v_fma_f64 v[149:150], v[2:3], v[38:39], -v[40:41]
	ds_load_b128 v[2:5], v1 offset:1136
	s_wait_loadcnt_dscnt 0x801
	v_mul_f64_e32 v[145:146], v[133:134], v[131:132]
	v_mul_f64_e32 v[131:132], v[135:136], v[131:132]
	scratch_load_b128 v[38:41], off, off offset:624
	s_wait_loadcnt_dscnt 0x800
	v_mul_f64_e32 v[151:152], v[2:3], v[36:37]
	v_mul_f64_e32 v[36:37], v[4:5], v[36:37]
	v_add_f64_e32 v[143:144], v[143:144], v[137:138]
	v_add_f64_e32 v[141:142], v[141:142], v[139:140]
	ds_load_b128 v[137:140], v1 offset:1152
	v_fma_f64 v[135:136], v[135:136], v[129:130], v[145:146]
	v_fma_f64 v[133:134], v[133:134], v[129:130], -v[131:132]
	scratch_load_b128 v[129:132], off, off offset:640
	v_add_f64_e32 v[143:144], v[143:144], v[149:150]
	v_add_f64_e32 v[141:142], v[141:142], v[147:148]
	v_fma_f64 v[147:148], v[4:5], v[34:35], v[151:152]
	v_fma_f64 v[149:150], v[2:3], v[34:35], -v[36:37]
	ds_load_b128 v[2:5], v1 offset:1168
	s_wait_loadcnt_dscnt 0x801
	v_mul_f64_e32 v[145:146], v[137:138], v[8:9]
	v_mul_f64_e32 v[8:9], v[139:140], v[8:9]
	scratch_load_b128 v[34:37], off, off offset:656
	s_wait_loadcnt_dscnt 0x800
	v_mul_f64_e32 v[151:152], v[2:3], v[12:13]
	v_mul_f64_e32 v[12:13], v[4:5], v[12:13]
	v_add_f64_e32 v[143:144], v[143:144], v[133:134]
	v_add_f64_e32 v[141:142], v[141:142], v[135:136]
	ds_load_b128 v[133:136], v1 offset:1184
	v_fma_f64 v[139:140], v[139:140], v[6:7], v[145:146]
	v_fma_f64 v[6:7], v[137:138], v[6:7], -v[8:9]
	v_add_f64_e32 v[8:9], v[143:144], v[149:150]
	v_add_f64_e32 v[137:138], v[141:142], v[147:148]
	s_wait_loadcnt_dscnt 0x700
	v_mul_f64_e32 v[141:142], v[133:134], v[16:17]
	v_mul_f64_e32 v[16:17], v[135:136], v[16:17]
	v_fma_f64 v[143:144], v[4:5], v[10:11], v[151:152]
	v_fma_f64 v[10:11], v[2:3], v[10:11], -v[12:13]
	v_add_f64_e32 v[12:13], v[8:9], v[6:7]
	v_add_f64_e32 v[137:138], v[137:138], v[139:140]
	ds_load_b128 v[2:5], v1 offset:1200
	ds_load_b128 v[6:9], v1 offset:1216
	v_fma_f64 v[135:136], v[135:136], v[14:15], v[141:142]
	v_fma_f64 v[14:15], v[133:134], v[14:15], -v[16:17]
	s_wait_loadcnt_dscnt 0x601
	v_mul_f64_e32 v[139:140], v[2:3], v[20:21]
	v_mul_f64_e32 v[20:21], v[4:5], v[20:21]
	s_wait_loadcnt_dscnt 0x500
	v_mul_f64_e32 v[16:17], v[6:7], v[24:25]
	v_mul_f64_e32 v[24:25], v[8:9], v[24:25]
	v_add_f64_e32 v[10:11], v[12:13], v[10:11]
	v_add_f64_e32 v[12:13], v[137:138], v[143:144]
	v_fma_f64 v[133:134], v[4:5], v[18:19], v[139:140]
	v_fma_f64 v[18:19], v[2:3], v[18:19], -v[20:21]
	v_fma_f64 v[8:9], v[8:9], v[22:23], v[16:17]
	v_fma_f64 v[6:7], v[6:7], v[22:23], -v[24:25]
	v_add_f64_e32 v[14:15], v[10:11], v[14:15]
	v_add_f64_e32 v[20:21], v[12:13], v[135:136]
	ds_load_b128 v[2:5], v1 offset:1232
	ds_load_b128 v[10:13], v1 offset:1248
	s_wait_loadcnt_dscnt 0x401
	v_mul_f64_e32 v[135:136], v[2:3], v[28:29]
	v_mul_f64_e32 v[28:29], v[4:5], v[28:29]
	v_add_f64_e32 v[14:15], v[14:15], v[18:19]
	v_add_f64_e32 v[16:17], v[20:21], v[133:134]
	s_wait_loadcnt_dscnt 0x300
	v_mul_f64_e32 v[18:19], v[10:11], v[32:33]
	v_mul_f64_e32 v[20:21], v[12:13], v[32:33]
	v_fma_f64 v[22:23], v[4:5], v[26:27], v[135:136]
	v_fma_f64 v[24:25], v[2:3], v[26:27], -v[28:29]
	v_add_f64_e32 v[14:15], v[14:15], v[6:7]
	v_add_f64_e32 v[16:17], v[16:17], v[8:9]
	ds_load_b128 v[2:5], v1 offset:1264
	ds_load_b128 v[6:9], v1 offset:1280
	v_fma_f64 v[12:13], v[12:13], v[30:31], v[18:19]
	v_fma_f64 v[10:11], v[10:11], v[30:31], -v[20:21]
	s_wait_loadcnt_dscnt 0x201
	v_mul_f64_e32 v[26:27], v[2:3], v[40:41]
	v_mul_f64_e32 v[28:29], v[4:5], v[40:41]
	s_wait_loadcnt_dscnt 0x100
	v_mul_f64_e32 v[18:19], v[6:7], v[131:132]
	v_mul_f64_e32 v[20:21], v[8:9], v[131:132]
	v_add_f64_e32 v[14:15], v[14:15], v[24:25]
	v_add_f64_e32 v[16:17], v[16:17], v[22:23]
	v_fma_f64 v[22:23], v[4:5], v[38:39], v[26:27]
	v_fma_f64 v[24:25], v[2:3], v[38:39], -v[28:29]
	ds_load_b128 v[2:5], v1 offset:1296
	v_fma_f64 v[8:9], v[8:9], v[129:130], v[18:19]
	v_fma_f64 v[6:7], v[6:7], v[129:130], -v[20:21]
	v_add_f64_e32 v[10:11], v[14:15], v[10:11]
	v_add_f64_e32 v[12:13], v[16:17], v[12:13]
	s_wait_loadcnt_dscnt 0x0
	v_mul_f64_e32 v[14:15], v[2:3], v[36:37]
	v_mul_f64_e32 v[16:17], v[4:5], v[36:37]
	s_delay_alu instid0(VALU_DEP_4) | instskip(NEXT) | instid1(VALU_DEP_4)
	v_add_f64_e32 v[10:11], v[10:11], v[24:25]
	v_add_f64_e32 v[12:13], v[12:13], v[22:23]
	s_delay_alu instid0(VALU_DEP_4) | instskip(NEXT) | instid1(VALU_DEP_4)
	v_fma_f64 v[4:5], v[4:5], v[34:35], v[14:15]
	v_fma_f64 v[2:3], v[2:3], v[34:35], -v[16:17]
	s_delay_alu instid0(VALU_DEP_4) | instskip(NEXT) | instid1(VALU_DEP_4)
	v_add_f64_e32 v[6:7], v[10:11], v[6:7]
	v_add_f64_e32 v[8:9], v[12:13], v[8:9]
	s_delay_alu instid0(VALU_DEP_2) | instskip(NEXT) | instid1(VALU_DEP_2)
	v_add_f64_e32 v[2:3], v[6:7], v[2:3]
	v_add_f64_e32 v[4:5], v[8:9], v[4:5]
	s_delay_alu instid0(VALU_DEP_2) | instskip(NEXT) | instid1(VALU_DEP_2)
	v_add_f64_e64 v[2:3], v[42:43], -v[2:3]
	v_add_f64_e64 v[4:5], v[44:45], -v[4:5]
	scratch_store_b128 off, v[2:5], off offset:160
	v_cmpx_lt_u32_e32 8, v0
	s_cbranch_execz .LBB40_243
; %bb.242:
	scratch_load_b128 v[5:8], off, s46
	v_dual_mov_b32 v2, v1 :: v_dual_mov_b32 v3, v1
	v_mov_b32_e32 v4, v1
	scratch_store_b128 off, v[1:4], off offset:144
	s_wait_loadcnt 0x0
	ds_store_b128 v128, v[5:8]
.LBB40_243:
	s_wait_alu 0xfffe
	s_or_b32 exec_lo, exec_lo, s0
	s_wait_storecnt_dscnt 0x0
	s_barrier_signal -1
	s_barrier_wait -1
	global_inv scope:SCOPE_SE
	s_clause 0x8
	scratch_load_b128 v[2:5], off, off offset:160
	scratch_load_b128 v[6:9], off, off offset:176
	;; [unrolled: 1-line block ×9, first 2 shown]
	ds_load_b128 v[38:41], v1 offset:800
	ds_load_b128 v[42:45], v1 offset:816
	s_clause 0x1
	scratch_load_b128 v[129:132], off, off offset:144
	scratch_load_b128 v[133:136], off, off offset:304
	s_mov_b32 s0, exec_lo
	s_wait_loadcnt_dscnt 0xa01
	v_mul_f64_e32 v[137:138], v[40:41], v[4:5]
	v_mul_f64_e32 v[4:5], v[38:39], v[4:5]
	s_wait_loadcnt_dscnt 0x900
	v_mul_f64_e32 v[141:142], v[42:43], v[8:9]
	v_mul_f64_e32 v[8:9], v[44:45], v[8:9]
	s_delay_alu instid0(VALU_DEP_4) | instskip(NEXT) | instid1(VALU_DEP_4)
	v_fma_f64 v[143:144], v[38:39], v[2:3], -v[137:138]
	v_fma_f64 v[145:146], v[40:41], v[2:3], v[4:5]
	ds_load_b128 v[2:5], v1 offset:832
	ds_load_b128 v[137:140], v1 offset:848
	scratch_load_b128 v[38:41], off, off offset:320
	v_fma_f64 v[44:45], v[44:45], v[6:7], v[141:142]
	v_fma_f64 v[42:43], v[42:43], v[6:7], -v[8:9]
	scratch_load_b128 v[6:9], off, off offset:336
	s_wait_loadcnt_dscnt 0xa01
	v_mul_f64_e32 v[147:148], v[2:3], v[12:13]
	v_mul_f64_e32 v[12:13], v[4:5], v[12:13]
	v_add_f64_e32 v[141:142], 0, v[143:144]
	v_add_f64_e32 v[143:144], 0, v[145:146]
	s_wait_loadcnt_dscnt 0x900
	v_mul_f64_e32 v[145:146], v[137:138], v[16:17]
	v_mul_f64_e32 v[16:17], v[139:140], v[16:17]
	v_fma_f64 v[147:148], v[4:5], v[10:11], v[147:148]
	v_fma_f64 v[149:150], v[2:3], v[10:11], -v[12:13]
	ds_load_b128 v[2:5], v1 offset:864
	scratch_load_b128 v[10:13], off, off offset:352
	v_add_f64_e32 v[141:142], v[141:142], v[42:43]
	v_add_f64_e32 v[143:144], v[143:144], v[44:45]
	ds_load_b128 v[42:45], v1 offset:880
	v_fma_f64 v[139:140], v[139:140], v[14:15], v[145:146]
	v_fma_f64 v[137:138], v[137:138], v[14:15], -v[16:17]
	scratch_load_b128 v[14:17], off, off offset:368
	s_wait_loadcnt_dscnt 0xa01
	v_mul_f64_e32 v[151:152], v[2:3], v[20:21]
	v_mul_f64_e32 v[20:21], v[4:5], v[20:21]
	s_wait_loadcnt_dscnt 0x900
	v_mul_f64_e32 v[145:146], v[42:43], v[24:25]
	v_mul_f64_e32 v[24:25], v[44:45], v[24:25]
	v_add_f64_e32 v[141:142], v[141:142], v[149:150]
	v_add_f64_e32 v[143:144], v[143:144], v[147:148]
	v_fma_f64 v[147:148], v[4:5], v[18:19], v[151:152]
	v_fma_f64 v[149:150], v[2:3], v[18:19], -v[20:21]
	ds_load_b128 v[2:5], v1 offset:896
	scratch_load_b128 v[18:21], off, off offset:384
	v_fma_f64 v[44:45], v[44:45], v[22:23], v[145:146]
	v_fma_f64 v[42:43], v[42:43], v[22:23], -v[24:25]
	scratch_load_b128 v[22:25], off, off offset:400
	v_add_f64_e32 v[141:142], v[141:142], v[137:138]
	v_add_f64_e32 v[143:144], v[143:144], v[139:140]
	ds_load_b128 v[137:140], v1 offset:912
	s_wait_loadcnt_dscnt 0xa01
	v_mul_f64_e32 v[151:152], v[2:3], v[28:29]
	v_mul_f64_e32 v[28:29], v[4:5], v[28:29]
	s_wait_loadcnt_dscnt 0x900
	v_mul_f64_e32 v[145:146], v[137:138], v[32:33]
	v_mul_f64_e32 v[32:33], v[139:140], v[32:33]
	v_add_f64_e32 v[141:142], v[141:142], v[149:150]
	v_add_f64_e32 v[143:144], v[143:144], v[147:148]
	v_fma_f64 v[147:148], v[4:5], v[26:27], v[151:152]
	v_fma_f64 v[149:150], v[2:3], v[26:27], -v[28:29]
	ds_load_b128 v[2:5], v1 offset:928
	scratch_load_b128 v[26:29], off, off offset:416
	v_fma_f64 v[139:140], v[139:140], v[30:31], v[145:146]
	v_fma_f64 v[137:138], v[137:138], v[30:31], -v[32:33]
	scratch_load_b128 v[30:33], off, off offset:432
	v_add_f64_e32 v[141:142], v[141:142], v[42:43]
	v_add_f64_e32 v[143:144], v[143:144], v[44:45]
	ds_load_b128 v[42:45], v1 offset:944
	s_wait_loadcnt_dscnt 0xa01
	v_mul_f64_e32 v[151:152], v[2:3], v[36:37]
	v_mul_f64_e32 v[36:37], v[4:5], v[36:37]
	s_wait_loadcnt_dscnt 0x800
	v_mul_f64_e32 v[145:146], v[42:43], v[135:136]
	v_add_f64_e32 v[141:142], v[141:142], v[149:150]
	v_add_f64_e32 v[143:144], v[143:144], v[147:148]
	v_mul_f64_e32 v[147:148], v[44:45], v[135:136]
	v_fma_f64 v[149:150], v[4:5], v[34:35], v[151:152]
	v_fma_f64 v[151:152], v[2:3], v[34:35], -v[36:37]
	ds_load_b128 v[2:5], v1 offset:960
	scratch_load_b128 v[34:37], off, off offset:448
	v_fma_f64 v[44:45], v[44:45], v[133:134], v[145:146]
	v_add_f64_e32 v[141:142], v[141:142], v[137:138]
	v_add_f64_e32 v[139:140], v[143:144], v[139:140]
	ds_load_b128 v[135:138], v1 offset:976
	v_fma_f64 v[133:134], v[42:43], v[133:134], -v[147:148]
	s_wait_loadcnt_dscnt 0x801
	v_mul_f64_e32 v[143:144], v[2:3], v[40:41]
	v_mul_f64_e32 v[153:154], v[4:5], v[40:41]
	scratch_load_b128 v[40:43], off, off offset:464
	s_wait_loadcnt_dscnt 0x800
	v_mul_f64_e32 v[147:148], v[135:136], v[8:9]
	v_mul_f64_e32 v[8:9], v[137:138], v[8:9]
	v_add_f64_e32 v[141:142], v[141:142], v[151:152]
	v_add_f64_e32 v[139:140], v[139:140], v[149:150]
	v_fma_f64 v[149:150], v[4:5], v[38:39], v[143:144]
	v_fma_f64 v[38:39], v[2:3], v[38:39], -v[153:154]
	ds_load_b128 v[2:5], v1 offset:992
	ds_load_b128 v[143:146], v1 offset:1008
	v_fma_f64 v[137:138], v[137:138], v[6:7], v[147:148]
	v_fma_f64 v[135:136], v[135:136], v[6:7], -v[8:9]
	scratch_load_b128 v[6:9], off, off offset:496
	v_add_f64_e32 v[133:134], v[141:142], v[133:134]
	v_add_f64_e32 v[44:45], v[139:140], v[44:45]
	scratch_load_b128 v[139:142], off, off offset:480
	s_wait_loadcnt_dscnt 0x901
	v_mul_f64_e32 v[151:152], v[2:3], v[12:13]
	v_mul_f64_e32 v[12:13], v[4:5], v[12:13]
	s_wait_loadcnt_dscnt 0x800
	v_mul_f64_e32 v[147:148], v[143:144], v[16:17]
	v_mul_f64_e32 v[16:17], v[145:146], v[16:17]
	v_add_f64_e32 v[38:39], v[133:134], v[38:39]
	v_add_f64_e32 v[44:45], v[44:45], v[149:150]
	v_fma_f64 v[149:150], v[4:5], v[10:11], v[151:152]
	v_fma_f64 v[151:152], v[2:3], v[10:11], -v[12:13]
	ds_load_b128 v[2:5], v1 offset:1024
	scratch_load_b128 v[10:13], off, off offset:512
	v_fma_f64 v[145:146], v[145:146], v[14:15], v[147:148]
	v_fma_f64 v[143:144], v[143:144], v[14:15], -v[16:17]
	scratch_load_b128 v[14:17], off, off offset:528
	v_add_f64_e32 v[38:39], v[38:39], v[135:136]
	v_add_f64_e32 v[44:45], v[44:45], v[137:138]
	ds_load_b128 v[133:136], v1 offset:1040
	s_wait_loadcnt_dscnt 0x901
	v_mul_f64_e32 v[137:138], v[2:3], v[20:21]
	v_mul_f64_e32 v[20:21], v[4:5], v[20:21]
	s_wait_loadcnt_dscnt 0x800
	v_mul_f64_e32 v[147:148], v[133:134], v[24:25]
	v_mul_f64_e32 v[24:25], v[135:136], v[24:25]
	v_add_f64_e32 v[38:39], v[38:39], v[151:152]
	v_add_f64_e32 v[44:45], v[44:45], v[149:150]
	v_fma_f64 v[137:138], v[4:5], v[18:19], v[137:138]
	v_fma_f64 v[149:150], v[2:3], v[18:19], -v[20:21]
	ds_load_b128 v[2:5], v1 offset:1056
	scratch_load_b128 v[18:21], off, off offset:544
	v_fma_f64 v[135:136], v[135:136], v[22:23], v[147:148]
	v_fma_f64 v[133:134], v[133:134], v[22:23], -v[24:25]
	scratch_load_b128 v[22:25], off, off offset:560
	v_add_f64_e32 v[38:39], v[38:39], v[143:144]
	v_add_f64_e32 v[44:45], v[44:45], v[145:146]
	ds_load_b128 v[143:146], v1 offset:1072
	s_wait_loadcnt_dscnt 0x901
	v_mul_f64_e32 v[151:152], v[2:3], v[28:29]
	v_mul_f64_e32 v[28:29], v[4:5], v[28:29]
	v_add_f64_e32 v[38:39], v[38:39], v[149:150]
	v_add_f64_e32 v[44:45], v[44:45], v[137:138]
	s_wait_loadcnt_dscnt 0x800
	v_mul_f64_e32 v[137:138], v[143:144], v[32:33]
	v_mul_f64_e32 v[32:33], v[145:146], v[32:33]
	v_fma_f64 v[147:148], v[4:5], v[26:27], v[151:152]
	v_fma_f64 v[149:150], v[2:3], v[26:27], -v[28:29]
	ds_load_b128 v[2:5], v1 offset:1088
	scratch_load_b128 v[26:29], off, off offset:576
	v_add_f64_e32 v[38:39], v[38:39], v[133:134]
	v_add_f64_e32 v[44:45], v[44:45], v[135:136]
	ds_load_b128 v[133:136], v1 offset:1104
	s_wait_loadcnt_dscnt 0x801
	v_mul_f64_e32 v[151:152], v[2:3], v[36:37]
	v_mul_f64_e32 v[36:37], v[4:5], v[36:37]
	v_fma_f64 v[137:138], v[145:146], v[30:31], v[137:138]
	v_fma_f64 v[143:144], v[143:144], v[30:31], -v[32:33]
	scratch_load_b128 v[30:33], off, off offset:592
	s_wait_loadcnt_dscnt 0x800
	v_mul_f64_e32 v[145:146], v[133:134], v[42:43]
	v_add_f64_e32 v[38:39], v[38:39], v[149:150]
	v_add_f64_e32 v[44:45], v[44:45], v[147:148]
	v_mul_f64_e32 v[147:148], v[135:136], v[42:43]
	v_fma_f64 v[149:150], v[4:5], v[34:35], v[151:152]
	v_fma_f64 v[151:152], v[2:3], v[34:35], -v[36:37]
	ds_load_b128 v[2:5], v1 offset:1120
	scratch_load_b128 v[34:37], off, off offset:608
	v_fma_f64 v[135:136], v[135:136], v[40:41], v[145:146]
	v_add_f64_e32 v[38:39], v[38:39], v[143:144]
	v_add_f64_e32 v[137:138], v[44:45], v[137:138]
	ds_load_b128 v[42:45], v1 offset:1136
	v_fma_f64 v[133:134], v[133:134], v[40:41], -v[147:148]
	s_wait_loadcnt_dscnt 0x701
	v_mul_f64_e32 v[143:144], v[2:3], v[141:142]
	v_mul_f64_e32 v[141:142], v[4:5], v[141:142]
	s_wait_dscnt 0x0
	v_mul_f64_e32 v[147:148], v[42:43], v[8:9]
	v_mul_f64_e32 v[8:9], v[44:45], v[8:9]
	v_add_f64_e32 v[145:146], v[38:39], v[151:152]
	v_add_f64_e32 v[137:138], v[137:138], v[149:150]
	scratch_load_b128 v[38:41], off, off offset:624
	v_fma_f64 v[143:144], v[4:5], v[139:140], v[143:144]
	v_fma_f64 v[141:142], v[2:3], v[139:140], -v[141:142]
	ds_load_b128 v[2:5], v1 offset:1152
	v_fma_f64 v[44:45], v[44:45], v[6:7], v[147:148]
	v_fma_f64 v[42:43], v[42:43], v[6:7], -v[8:9]
	scratch_load_b128 v[6:9], off, off offset:656
	v_add_f64_e32 v[145:146], v[145:146], v[133:134]
	v_add_f64_e32 v[149:150], v[137:138], v[135:136]
	scratch_load_b128 v[133:136], off, off offset:640
	ds_load_b128 v[137:140], v1 offset:1168
	s_wait_loadcnt_dscnt 0x901
	v_mul_f64_e32 v[151:152], v[2:3], v[12:13]
	v_mul_f64_e32 v[12:13], v[4:5], v[12:13]
	v_add_f64_e32 v[141:142], v[145:146], v[141:142]
	v_add_f64_e32 v[143:144], v[149:150], v[143:144]
	s_wait_loadcnt_dscnt 0x800
	v_mul_f64_e32 v[145:146], v[137:138], v[16:17]
	v_mul_f64_e32 v[16:17], v[139:140], v[16:17]
	v_fma_f64 v[147:148], v[4:5], v[10:11], v[151:152]
	v_fma_f64 v[149:150], v[2:3], v[10:11], -v[12:13]
	ds_load_b128 v[2:5], v1 offset:1184
	ds_load_b128 v[10:13], v1 offset:1200
	v_add_f64_e32 v[42:43], v[141:142], v[42:43]
	v_add_f64_e32 v[44:45], v[143:144], v[44:45]
	s_wait_loadcnt_dscnt 0x701
	v_mul_f64_e32 v[141:142], v[2:3], v[20:21]
	v_mul_f64_e32 v[20:21], v[4:5], v[20:21]
	v_fma_f64 v[139:140], v[139:140], v[14:15], v[145:146]
	v_fma_f64 v[14:15], v[137:138], v[14:15], -v[16:17]
	v_add_f64_e32 v[16:17], v[42:43], v[149:150]
	v_add_f64_e32 v[42:43], v[44:45], v[147:148]
	s_wait_loadcnt_dscnt 0x600
	v_mul_f64_e32 v[44:45], v[10:11], v[24:25]
	v_mul_f64_e32 v[24:25], v[12:13], v[24:25]
	v_fma_f64 v[137:138], v[4:5], v[18:19], v[141:142]
	v_fma_f64 v[18:19], v[2:3], v[18:19], -v[20:21]
	v_add_f64_e32 v[20:21], v[16:17], v[14:15]
	v_add_f64_e32 v[42:43], v[42:43], v[139:140]
	ds_load_b128 v[2:5], v1 offset:1216
	ds_load_b128 v[14:17], v1 offset:1232
	v_fma_f64 v[12:13], v[12:13], v[22:23], v[44:45]
	v_fma_f64 v[10:11], v[10:11], v[22:23], -v[24:25]
	s_wait_loadcnt_dscnt 0x501
	v_mul_f64_e32 v[139:140], v[2:3], v[28:29]
	v_mul_f64_e32 v[28:29], v[4:5], v[28:29]
	s_wait_loadcnt_dscnt 0x400
	v_mul_f64_e32 v[22:23], v[14:15], v[32:33]
	v_mul_f64_e32 v[24:25], v[16:17], v[32:33]
	v_add_f64_e32 v[18:19], v[20:21], v[18:19]
	v_add_f64_e32 v[20:21], v[42:43], v[137:138]
	v_fma_f64 v[32:33], v[4:5], v[26:27], v[139:140]
	v_fma_f64 v[26:27], v[2:3], v[26:27], -v[28:29]
	v_fma_f64 v[16:17], v[16:17], v[30:31], v[22:23]
	v_fma_f64 v[14:15], v[14:15], v[30:31], -v[24:25]
	v_add_f64_e32 v[18:19], v[18:19], v[10:11]
	v_add_f64_e32 v[20:21], v[20:21], v[12:13]
	ds_load_b128 v[2:5], v1 offset:1248
	ds_load_b128 v[10:13], v1 offset:1264
	s_wait_loadcnt_dscnt 0x301
	v_mul_f64_e32 v[28:29], v[2:3], v[36:37]
	v_mul_f64_e32 v[36:37], v[4:5], v[36:37]
	v_add_f64_e32 v[18:19], v[18:19], v[26:27]
	v_add_f64_e32 v[20:21], v[20:21], v[32:33]
	s_wait_loadcnt_dscnt 0x200
	v_mul_f64_e32 v[22:23], v[10:11], v[40:41]
	v_mul_f64_e32 v[24:25], v[12:13], v[40:41]
	v_fma_f64 v[26:27], v[4:5], v[34:35], v[28:29]
	v_fma_f64 v[28:29], v[2:3], v[34:35], -v[36:37]
	v_add_f64_e32 v[18:19], v[18:19], v[14:15]
	v_add_f64_e32 v[20:21], v[20:21], v[16:17]
	ds_load_b128 v[2:5], v1 offset:1280
	ds_load_b128 v[14:17], v1 offset:1296
	v_fma_f64 v[12:13], v[12:13], v[38:39], v[22:23]
	v_fma_f64 v[10:11], v[10:11], v[38:39], -v[24:25]
	s_wait_loadcnt_dscnt 0x1
	v_mul_f64_e32 v[30:31], v[2:3], v[135:136]
	v_mul_f64_e32 v[32:33], v[4:5], v[135:136]
	s_wait_dscnt 0x0
	v_mul_f64_e32 v[22:23], v[14:15], v[8:9]
	v_mul_f64_e32 v[8:9], v[16:17], v[8:9]
	v_add_f64_e32 v[18:19], v[18:19], v[28:29]
	v_add_f64_e32 v[20:21], v[20:21], v[26:27]
	v_fma_f64 v[4:5], v[4:5], v[133:134], v[30:31]
	v_fma_f64 v[1:2], v[2:3], v[133:134], -v[32:33]
	v_fma_f64 v[16:17], v[16:17], v[6:7], v[22:23]
	v_fma_f64 v[6:7], v[14:15], v[6:7], -v[8:9]
	v_add_f64_e32 v[10:11], v[18:19], v[10:11]
	v_add_f64_e32 v[12:13], v[20:21], v[12:13]
	s_delay_alu instid0(VALU_DEP_2) | instskip(NEXT) | instid1(VALU_DEP_2)
	v_add_f64_e32 v[1:2], v[10:11], v[1:2]
	v_add_f64_e32 v[3:4], v[12:13], v[4:5]
	s_delay_alu instid0(VALU_DEP_2) | instskip(NEXT) | instid1(VALU_DEP_2)
	;; [unrolled: 3-line block ×3, first 2 shown]
	v_add_f64_e64 v[1:2], v[129:130], -v[1:2]
	v_add_f64_e64 v[3:4], v[131:132], -v[3:4]
	scratch_store_b128 off, v[1:4], off offset:144
	v_cmpx_lt_u32_e32 7, v0
	s_cbranch_execz .LBB40_245
; %bb.244:
	scratch_load_b128 v[1:4], off, s47
	v_mov_b32_e32 v5, 0
	s_delay_alu instid0(VALU_DEP_1)
	v_dual_mov_b32 v6, v5 :: v_dual_mov_b32 v7, v5
	v_mov_b32_e32 v8, v5
	scratch_store_b128 off, v[5:8], off offset:128
	s_wait_loadcnt 0x0
	ds_store_b128 v128, v[1:4]
.LBB40_245:
	s_wait_alu 0xfffe
	s_or_b32 exec_lo, exec_lo, s0
	s_wait_storecnt_dscnt 0x0
	s_barrier_signal -1
	s_barrier_wait -1
	global_inv scope:SCOPE_SE
	s_clause 0x7
	scratch_load_b128 v[2:5], off, off offset:144
	scratch_load_b128 v[6:9], off, off offset:160
	;; [unrolled: 1-line block ×8, first 2 shown]
	v_mov_b32_e32 v1, 0
	s_mov_b32 s0, exec_lo
	ds_load_b128 v[34:37], v1 offset:784
	s_clause 0x1
	scratch_load_b128 v[38:41], off, off offset:272
	scratch_load_b128 v[42:45], off, off offset:128
	ds_load_b128 v[129:132], v1 offset:800
	scratch_load_b128 v[133:136], off, off offset:288
	s_wait_loadcnt_dscnt 0xa01
	v_mul_f64_e32 v[137:138], v[36:37], v[4:5]
	v_mul_f64_e32 v[4:5], v[34:35], v[4:5]
	s_delay_alu instid0(VALU_DEP_2) | instskip(NEXT) | instid1(VALU_DEP_2)
	v_fma_f64 v[143:144], v[34:35], v[2:3], -v[137:138]
	v_fma_f64 v[145:146], v[36:37], v[2:3], v[4:5]
	ds_load_b128 v[2:5], v1 offset:816
	s_wait_loadcnt_dscnt 0x901
	v_mul_f64_e32 v[141:142], v[129:130], v[8:9]
	v_mul_f64_e32 v[8:9], v[131:132], v[8:9]
	scratch_load_b128 v[34:37], off, off offset:304
	ds_load_b128 v[137:140], v1 offset:832
	s_wait_loadcnt_dscnt 0x901
	v_mul_f64_e32 v[147:148], v[2:3], v[12:13]
	v_mul_f64_e32 v[12:13], v[4:5], v[12:13]
	v_fma_f64 v[131:132], v[131:132], v[6:7], v[141:142]
	v_fma_f64 v[129:130], v[129:130], v[6:7], -v[8:9]
	v_add_f64_e32 v[141:142], 0, v[143:144]
	v_add_f64_e32 v[143:144], 0, v[145:146]
	scratch_load_b128 v[6:9], off, off offset:320
	v_fma_f64 v[147:148], v[4:5], v[10:11], v[147:148]
	v_fma_f64 v[149:150], v[2:3], v[10:11], -v[12:13]
	ds_load_b128 v[2:5], v1 offset:848
	s_wait_loadcnt_dscnt 0x901
	v_mul_f64_e32 v[145:146], v[137:138], v[16:17]
	v_mul_f64_e32 v[16:17], v[139:140], v[16:17]
	scratch_load_b128 v[10:13], off, off offset:336
	v_add_f64_e32 v[141:142], v[141:142], v[129:130]
	v_add_f64_e32 v[143:144], v[143:144], v[131:132]
	s_wait_loadcnt_dscnt 0x900
	v_mul_f64_e32 v[151:152], v[2:3], v[20:21]
	v_mul_f64_e32 v[20:21], v[4:5], v[20:21]
	ds_load_b128 v[129:132], v1 offset:864
	v_fma_f64 v[139:140], v[139:140], v[14:15], v[145:146]
	v_fma_f64 v[137:138], v[137:138], v[14:15], -v[16:17]
	scratch_load_b128 v[14:17], off, off offset:352
	v_add_f64_e32 v[141:142], v[141:142], v[149:150]
	v_add_f64_e32 v[143:144], v[143:144], v[147:148]
	v_fma_f64 v[147:148], v[4:5], v[18:19], v[151:152]
	v_fma_f64 v[149:150], v[2:3], v[18:19], -v[20:21]
	ds_load_b128 v[2:5], v1 offset:880
	s_wait_loadcnt_dscnt 0x901
	v_mul_f64_e32 v[145:146], v[129:130], v[24:25]
	v_mul_f64_e32 v[24:25], v[131:132], v[24:25]
	scratch_load_b128 v[18:21], off, off offset:368
	s_wait_loadcnt_dscnt 0x900
	v_mul_f64_e32 v[151:152], v[2:3], v[28:29]
	v_mul_f64_e32 v[28:29], v[4:5], v[28:29]
	v_add_f64_e32 v[141:142], v[141:142], v[137:138]
	v_add_f64_e32 v[143:144], v[143:144], v[139:140]
	ds_load_b128 v[137:140], v1 offset:896
	v_fma_f64 v[131:132], v[131:132], v[22:23], v[145:146]
	v_fma_f64 v[129:130], v[129:130], v[22:23], -v[24:25]
	scratch_load_b128 v[22:25], off, off offset:384
	v_add_f64_e32 v[141:142], v[141:142], v[149:150]
	v_add_f64_e32 v[143:144], v[143:144], v[147:148]
	v_fma_f64 v[147:148], v[4:5], v[26:27], v[151:152]
	v_fma_f64 v[149:150], v[2:3], v[26:27], -v[28:29]
	ds_load_b128 v[2:5], v1 offset:912
	s_wait_loadcnt_dscnt 0x901
	v_mul_f64_e32 v[145:146], v[137:138], v[32:33]
	v_mul_f64_e32 v[32:33], v[139:140], v[32:33]
	scratch_load_b128 v[26:29], off, off offset:400
	s_wait_loadcnt_dscnt 0x900
	v_mul_f64_e32 v[151:152], v[2:3], v[40:41]
	v_mul_f64_e32 v[40:41], v[4:5], v[40:41]
	v_add_f64_e32 v[141:142], v[141:142], v[129:130]
	v_add_f64_e32 v[143:144], v[143:144], v[131:132]
	ds_load_b128 v[129:132], v1 offset:928
	v_fma_f64 v[139:140], v[139:140], v[30:31], v[145:146]
	v_fma_f64 v[137:138], v[137:138], v[30:31], -v[32:33]
	scratch_load_b128 v[30:33], off, off offset:416
	v_add_f64_e32 v[141:142], v[141:142], v[149:150]
	v_add_f64_e32 v[143:144], v[143:144], v[147:148]
	v_fma_f64 v[149:150], v[4:5], v[38:39], v[151:152]
	v_fma_f64 v[151:152], v[2:3], v[38:39], -v[40:41]
	ds_load_b128 v[2:5], v1 offset:944
	s_wait_loadcnt_dscnt 0x801
	v_mul_f64_e32 v[145:146], v[129:130], v[135:136]
	v_mul_f64_e32 v[147:148], v[131:132], v[135:136]
	scratch_load_b128 v[38:41], off, off offset:432
	v_add_f64_e32 v[141:142], v[141:142], v[137:138]
	v_add_f64_e32 v[139:140], v[143:144], v[139:140]
	ds_load_b128 v[135:138], v1 offset:960
	v_fma_f64 v[145:146], v[131:132], v[133:134], v[145:146]
	v_fma_f64 v[133:134], v[129:130], v[133:134], -v[147:148]
	scratch_load_b128 v[129:132], off, off offset:448
	s_wait_loadcnt_dscnt 0x901
	v_mul_f64_e32 v[143:144], v[2:3], v[36:37]
	v_mul_f64_e32 v[36:37], v[4:5], v[36:37]
	v_add_f64_e32 v[141:142], v[141:142], v[151:152]
	v_add_f64_e32 v[139:140], v[139:140], v[149:150]
	s_delay_alu instid0(VALU_DEP_4) | instskip(NEXT) | instid1(VALU_DEP_4)
	v_fma_f64 v[143:144], v[4:5], v[34:35], v[143:144]
	v_fma_f64 v[149:150], v[2:3], v[34:35], -v[36:37]
	ds_load_b128 v[2:5], v1 offset:976
	s_wait_loadcnt_dscnt 0x801
	v_mul_f64_e32 v[147:148], v[135:136], v[8:9]
	v_mul_f64_e32 v[8:9], v[137:138], v[8:9]
	scratch_load_b128 v[34:37], off, off offset:464
	s_wait_loadcnt_dscnt 0x800
	v_mul_f64_e32 v[151:152], v[2:3], v[12:13]
	v_add_f64_e32 v[133:134], v[141:142], v[133:134]
	v_add_f64_e32 v[145:146], v[139:140], v[145:146]
	v_mul_f64_e32 v[12:13], v[4:5], v[12:13]
	ds_load_b128 v[139:142], v1 offset:992
	v_fma_f64 v[137:138], v[137:138], v[6:7], v[147:148]
	v_fma_f64 v[135:136], v[135:136], v[6:7], -v[8:9]
	scratch_load_b128 v[6:9], off, off offset:480
	v_fma_f64 v[147:148], v[4:5], v[10:11], v[151:152]
	v_add_f64_e32 v[133:134], v[133:134], v[149:150]
	v_add_f64_e32 v[143:144], v[145:146], v[143:144]
	v_fma_f64 v[149:150], v[2:3], v[10:11], -v[12:13]
	ds_load_b128 v[2:5], v1 offset:1008
	s_wait_loadcnt_dscnt 0x801
	v_mul_f64_e32 v[145:146], v[139:140], v[16:17]
	v_mul_f64_e32 v[16:17], v[141:142], v[16:17]
	scratch_load_b128 v[10:13], off, off offset:496
	v_add_f64_e32 v[151:152], v[133:134], v[135:136]
	v_add_f64_e32 v[137:138], v[143:144], v[137:138]
	s_wait_loadcnt_dscnt 0x800
	v_mul_f64_e32 v[143:144], v[2:3], v[20:21]
	v_mul_f64_e32 v[20:21], v[4:5], v[20:21]
	v_fma_f64 v[141:142], v[141:142], v[14:15], v[145:146]
	v_fma_f64 v[139:140], v[139:140], v[14:15], -v[16:17]
	ds_load_b128 v[133:136], v1 offset:1024
	scratch_load_b128 v[14:17], off, off offset:512
	v_add_f64_e32 v[145:146], v[151:152], v[149:150]
	v_add_f64_e32 v[137:138], v[137:138], v[147:148]
	v_fma_f64 v[143:144], v[4:5], v[18:19], v[143:144]
	v_fma_f64 v[149:150], v[2:3], v[18:19], -v[20:21]
	ds_load_b128 v[2:5], v1 offset:1040
	s_wait_loadcnt_dscnt 0x801
	v_mul_f64_e32 v[147:148], v[133:134], v[24:25]
	v_mul_f64_e32 v[24:25], v[135:136], v[24:25]
	scratch_load_b128 v[18:21], off, off offset:528
	s_wait_loadcnt_dscnt 0x800
	v_mul_f64_e32 v[151:152], v[2:3], v[28:29]
	v_mul_f64_e32 v[28:29], v[4:5], v[28:29]
	v_add_f64_e32 v[145:146], v[145:146], v[139:140]
	v_add_f64_e32 v[141:142], v[137:138], v[141:142]
	ds_load_b128 v[137:140], v1 offset:1056
	v_fma_f64 v[135:136], v[135:136], v[22:23], v[147:148]
	v_fma_f64 v[133:134], v[133:134], v[22:23], -v[24:25]
	scratch_load_b128 v[22:25], off, off offset:544
	v_fma_f64 v[147:148], v[4:5], v[26:27], v[151:152]
	v_add_f64_e32 v[145:146], v[145:146], v[149:150]
	v_add_f64_e32 v[141:142], v[141:142], v[143:144]
	v_fma_f64 v[149:150], v[2:3], v[26:27], -v[28:29]
	ds_load_b128 v[2:5], v1 offset:1072
	s_wait_loadcnt_dscnt 0x801
	v_mul_f64_e32 v[143:144], v[137:138], v[32:33]
	v_mul_f64_e32 v[32:33], v[139:140], v[32:33]
	scratch_load_b128 v[26:29], off, off offset:560
	s_wait_loadcnt_dscnt 0x800
	v_mul_f64_e32 v[151:152], v[2:3], v[40:41]
	v_mul_f64_e32 v[40:41], v[4:5], v[40:41]
	v_add_f64_e32 v[145:146], v[145:146], v[133:134]
	v_add_f64_e32 v[141:142], v[141:142], v[135:136]
	ds_load_b128 v[133:136], v1 offset:1088
	v_fma_f64 v[139:140], v[139:140], v[30:31], v[143:144]
	v_fma_f64 v[137:138], v[137:138], v[30:31], -v[32:33]
	scratch_load_b128 v[30:33], off, off offset:576
	v_add_f64_e32 v[143:144], v[145:146], v[149:150]
	v_add_f64_e32 v[141:142], v[141:142], v[147:148]
	v_fma_f64 v[147:148], v[4:5], v[38:39], v[151:152]
	v_fma_f64 v[149:150], v[2:3], v[38:39], -v[40:41]
	ds_load_b128 v[2:5], v1 offset:1104
	s_wait_loadcnt_dscnt 0x801
	v_mul_f64_e32 v[145:146], v[133:134], v[131:132]
	v_mul_f64_e32 v[131:132], v[135:136], v[131:132]
	scratch_load_b128 v[38:41], off, off offset:592
	s_wait_loadcnt_dscnt 0x800
	v_mul_f64_e32 v[151:152], v[2:3], v[36:37]
	v_mul_f64_e32 v[36:37], v[4:5], v[36:37]
	v_add_f64_e32 v[143:144], v[143:144], v[137:138]
	v_add_f64_e32 v[141:142], v[141:142], v[139:140]
	ds_load_b128 v[137:140], v1 offset:1120
	v_fma_f64 v[135:136], v[135:136], v[129:130], v[145:146]
	v_fma_f64 v[133:134], v[133:134], v[129:130], -v[131:132]
	scratch_load_b128 v[129:132], off, off offset:608
	v_add_f64_e32 v[143:144], v[143:144], v[149:150]
	v_add_f64_e32 v[141:142], v[141:142], v[147:148]
	v_fma_f64 v[147:148], v[4:5], v[34:35], v[151:152]
	;; [unrolled: 18-line block ×3, first 2 shown]
	v_fma_f64 v[149:150], v[2:3], v[10:11], -v[12:13]
	ds_load_b128 v[2:5], v1 offset:1168
	s_wait_loadcnt_dscnt 0x801
	v_mul_f64_e32 v[145:146], v[133:134], v[16:17]
	v_mul_f64_e32 v[16:17], v[135:136], v[16:17]
	scratch_load_b128 v[10:13], off, off offset:656
	s_wait_loadcnt_dscnt 0x800
	v_mul_f64_e32 v[151:152], v[2:3], v[20:21]
	v_mul_f64_e32 v[20:21], v[4:5], v[20:21]
	v_add_f64_e32 v[143:144], v[143:144], v[137:138]
	v_add_f64_e32 v[141:142], v[141:142], v[139:140]
	ds_load_b128 v[137:140], v1 offset:1184
	v_fma_f64 v[135:136], v[135:136], v[14:15], v[145:146]
	v_fma_f64 v[14:15], v[133:134], v[14:15], -v[16:17]
	v_add_f64_e32 v[16:17], v[143:144], v[149:150]
	v_add_f64_e32 v[133:134], v[141:142], v[147:148]
	s_wait_loadcnt_dscnt 0x700
	v_mul_f64_e32 v[141:142], v[137:138], v[24:25]
	v_mul_f64_e32 v[24:25], v[139:140], v[24:25]
	v_fma_f64 v[143:144], v[4:5], v[18:19], v[151:152]
	v_fma_f64 v[18:19], v[2:3], v[18:19], -v[20:21]
	v_add_f64_e32 v[20:21], v[16:17], v[14:15]
	v_add_f64_e32 v[133:134], v[133:134], v[135:136]
	ds_load_b128 v[2:5], v1 offset:1200
	ds_load_b128 v[14:17], v1 offset:1216
	v_fma_f64 v[139:140], v[139:140], v[22:23], v[141:142]
	v_fma_f64 v[22:23], v[137:138], v[22:23], -v[24:25]
	s_wait_loadcnt_dscnt 0x601
	v_mul_f64_e32 v[135:136], v[2:3], v[28:29]
	v_mul_f64_e32 v[28:29], v[4:5], v[28:29]
	s_wait_loadcnt_dscnt 0x500
	v_mul_f64_e32 v[24:25], v[14:15], v[32:33]
	v_mul_f64_e32 v[32:33], v[16:17], v[32:33]
	v_add_f64_e32 v[18:19], v[20:21], v[18:19]
	v_add_f64_e32 v[20:21], v[133:134], v[143:144]
	v_fma_f64 v[133:134], v[4:5], v[26:27], v[135:136]
	v_fma_f64 v[26:27], v[2:3], v[26:27], -v[28:29]
	v_fma_f64 v[16:17], v[16:17], v[30:31], v[24:25]
	v_fma_f64 v[14:15], v[14:15], v[30:31], -v[32:33]
	v_add_f64_e32 v[22:23], v[18:19], v[22:23]
	v_add_f64_e32 v[28:29], v[20:21], v[139:140]
	ds_load_b128 v[2:5], v1 offset:1232
	ds_load_b128 v[18:21], v1 offset:1248
	s_wait_loadcnt_dscnt 0x401
	v_mul_f64_e32 v[135:136], v[2:3], v[40:41]
	v_mul_f64_e32 v[40:41], v[4:5], v[40:41]
	v_add_f64_e32 v[22:23], v[22:23], v[26:27]
	v_add_f64_e32 v[24:25], v[28:29], v[133:134]
	s_wait_loadcnt_dscnt 0x300
	v_mul_f64_e32 v[26:27], v[18:19], v[131:132]
	v_mul_f64_e32 v[28:29], v[20:21], v[131:132]
	v_fma_f64 v[30:31], v[4:5], v[38:39], v[135:136]
	v_fma_f64 v[32:33], v[2:3], v[38:39], -v[40:41]
	v_add_f64_e32 v[22:23], v[22:23], v[14:15]
	v_add_f64_e32 v[24:25], v[24:25], v[16:17]
	ds_load_b128 v[2:5], v1 offset:1264
	ds_load_b128 v[14:17], v1 offset:1280
	v_fma_f64 v[20:21], v[20:21], v[129:130], v[26:27]
	v_fma_f64 v[18:19], v[18:19], v[129:130], -v[28:29]
	s_wait_loadcnt_dscnt 0x201
	v_mul_f64_e32 v[38:39], v[2:3], v[36:37]
	v_mul_f64_e32 v[36:37], v[4:5], v[36:37]
	s_wait_loadcnt_dscnt 0x100
	v_mul_f64_e32 v[26:27], v[14:15], v[8:9]
	v_mul_f64_e32 v[8:9], v[16:17], v[8:9]
	v_add_f64_e32 v[22:23], v[22:23], v[32:33]
	v_add_f64_e32 v[24:25], v[24:25], v[30:31]
	v_fma_f64 v[28:29], v[4:5], v[34:35], v[38:39]
	v_fma_f64 v[30:31], v[2:3], v[34:35], -v[36:37]
	ds_load_b128 v[2:5], v1 offset:1296
	v_fma_f64 v[16:17], v[16:17], v[6:7], v[26:27]
	v_fma_f64 v[6:7], v[14:15], v[6:7], -v[8:9]
	v_add_f64_e32 v[18:19], v[22:23], v[18:19]
	v_add_f64_e32 v[20:21], v[24:25], v[20:21]
	s_wait_loadcnt_dscnt 0x0
	v_mul_f64_e32 v[22:23], v[2:3], v[12:13]
	v_mul_f64_e32 v[12:13], v[4:5], v[12:13]
	s_delay_alu instid0(VALU_DEP_4) | instskip(NEXT) | instid1(VALU_DEP_4)
	v_add_f64_e32 v[8:9], v[18:19], v[30:31]
	v_add_f64_e32 v[14:15], v[20:21], v[28:29]
	s_delay_alu instid0(VALU_DEP_4) | instskip(NEXT) | instid1(VALU_DEP_4)
	v_fma_f64 v[4:5], v[4:5], v[10:11], v[22:23]
	v_fma_f64 v[2:3], v[2:3], v[10:11], -v[12:13]
	s_delay_alu instid0(VALU_DEP_4) | instskip(NEXT) | instid1(VALU_DEP_4)
	v_add_f64_e32 v[6:7], v[8:9], v[6:7]
	v_add_f64_e32 v[8:9], v[14:15], v[16:17]
	s_delay_alu instid0(VALU_DEP_2) | instskip(NEXT) | instid1(VALU_DEP_2)
	v_add_f64_e32 v[2:3], v[6:7], v[2:3]
	v_add_f64_e32 v[4:5], v[8:9], v[4:5]
	s_delay_alu instid0(VALU_DEP_2) | instskip(NEXT) | instid1(VALU_DEP_2)
	v_add_f64_e64 v[2:3], v[42:43], -v[2:3]
	v_add_f64_e64 v[4:5], v[44:45], -v[4:5]
	scratch_store_b128 off, v[2:5], off offset:128
	v_cmpx_lt_u32_e32 6, v0
	s_cbranch_execz .LBB40_247
; %bb.246:
	scratch_load_b128 v[5:8], off, s48
	v_dual_mov_b32 v2, v1 :: v_dual_mov_b32 v3, v1
	v_mov_b32_e32 v4, v1
	scratch_store_b128 off, v[1:4], off offset:112
	s_wait_loadcnt 0x0
	ds_store_b128 v128, v[5:8]
.LBB40_247:
	s_wait_alu 0xfffe
	s_or_b32 exec_lo, exec_lo, s0
	s_wait_storecnt_dscnt 0x0
	s_barrier_signal -1
	s_barrier_wait -1
	global_inv scope:SCOPE_SE
	s_clause 0x8
	scratch_load_b128 v[2:5], off, off offset:128
	scratch_load_b128 v[6:9], off, off offset:144
	;; [unrolled: 1-line block ×9, first 2 shown]
	ds_load_b128 v[38:41], v1 offset:768
	ds_load_b128 v[42:45], v1 offset:784
	s_clause 0x1
	scratch_load_b128 v[129:132], off, off offset:112
	scratch_load_b128 v[133:136], off, off offset:272
	s_mov_b32 s0, exec_lo
	s_wait_loadcnt_dscnt 0xa01
	v_mul_f64_e32 v[137:138], v[40:41], v[4:5]
	v_mul_f64_e32 v[4:5], v[38:39], v[4:5]
	s_wait_loadcnt_dscnt 0x900
	v_mul_f64_e32 v[141:142], v[42:43], v[8:9]
	v_mul_f64_e32 v[8:9], v[44:45], v[8:9]
	s_delay_alu instid0(VALU_DEP_4) | instskip(NEXT) | instid1(VALU_DEP_4)
	v_fma_f64 v[143:144], v[38:39], v[2:3], -v[137:138]
	v_fma_f64 v[145:146], v[40:41], v[2:3], v[4:5]
	ds_load_b128 v[2:5], v1 offset:800
	ds_load_b128 v[137:140], v1 offset:816
	scratch_load_b128 v[38:41], off, off offset:288
	v_fma_f64 v[44:45], v[44:45], v[6:7], v[141:142]
	v_fma_f64 v[42:43], v[42:43], v[6:7], -v[8:9]
	scratch_load_b128 v[6:9], off, off offset:304
	s_wait_loadcnt_dscnt 0xa01
	v_mul_f64_e32 v[147:148], v[2:3], v[12:13]
	v_mul_f64_e32 v[12:13], v[4:5], v[12:13]
	v_add_f64_e32 v[141:142], 0, v[143:144]
	v_add_f64_e32 v[143:144], 0, v[145:146]
	s_wait_loadcnt_dscnt 0x900
	v_mul_f64_e32 v[145:146], v[137:138], v[16:17]
	v_mul_f64_e32 v[16:17], v[139:140], v[16:17]
	v_fma_f64 v[147:148], v[4:5], v[10:11], v[147:148]
	v_fma_f64 v[149:150], v[2:3], v[10:11], -v[12:13]
	ds_load_b128 v[2:5], v1 offset:832
	scratch_load_b128 v[10:13], off, off offset:320
	v_add_f64_e32 v[141:142], v[141:142], v[42:43]
	v_add_f64_e32 v[143:144], v[143:144], v[44:45]
	ds_load_b128 v[42:45], v1 offset:848
	v_fma_f64 v[139:140], v[139:140], v[14:15], v[145:146]
	v_fma_f64 v[137:138], v[137:138], v[14:15], -v[16:17]
	scratch_load_b128 v[14:17], off, off offset:336
	s_wait_loadcnt_dscnt 0xa01
	v_mul_f64_e32 v[151:152], v[2:3], v[20:21]
	v_mul_f64_e32 v[20:21], v[4:5], v[20:21]
	s_wait_loadcnt_dscnt 0x900
	v_mul_f64_e32 v[145:146], v[42:43], v[24:25]
	v_mul_f64_e32 v[24:25], v[44:45], v[24:25]
	v_add_f64_e32 v[141:142], v[141:142], v[149:150]
	v_add_f64_e32 v[143:144], v[143:144], v[147:148]
	v_fma_f64 v[147:148], v[4:5], v[18:19], v[151:152]
	v_fma_f64 v[149:150], v[2:3], v[18:19], -v[20:21]
	ds_load_b128 v[2:5], v1 offset:864
	scratch_load_b128 v[18:21], off, off offset:352
	v_fma_f64 v[44:45], v[44:45], v[22:23], v[145:146]
	v_fma_f64 v[42:43], v[42:43], v[22:23], -v[24:25]
	scratch_load_b128 v[22:25], off, off offset:368
	v_add_f64_e32 v[141:142], v[141:142], v[137:138]
	v_add_f64_e32 v[143:144], v[143:144], v[139:140]
	ds_load_b128 v[137:140], v1 offset:880
	s_wait_loadcnt_dscnt 0xa01
	v_mul_f64_e32 v[151:152], v[2:3], v[28:29]
	v_mul_f64_e32 v[28:29], v[4:5], v[28:29]
	s_wait_loadcnt_dscnt 0x900
	v_mul_f64_e32 v[145:146], v[137:138], v[32:33]
	v_mul_f64_e32 v[32:33], v[139:140], v[32:33]
	v_add_f64_e32 v[141:142], v[141:142], v[149:150]
	v_add_f64_e32 v[143:144], v[143:144], v[147:148]
	v_fma_f64 v[147:148], v[4:5], v[26:27], v[151:152]
	v_fma_f64 v[149:150], v[2:3], v[26:27], -v[28:29]
	ds_load_b128 v[2:5], v1 offset:896
	scratch_load_b128 v[26:29], off, off offset:384
	v_fma_f64 v[139:140], v[139:140], v[30:31], v[145:146]
	v_fma_f64 v[137:138], v[137:138], v[30:31], -v[32:33]
	scratch_load_b128 v[30:33], off, off offset:400
	v_add_f64_e32 v[141:142], v[141:142], v[42:43]
	v_add_f64_e32 v[143:144], v[143:144], v[44:45]
	ds_load_b128 v[42:45], v1 offset:912
	s_wait_loadcnt_dscnt 0xa01
	v_mul_f64_e32 v[151:152], v[2:3], v[36:37]
	v_mul_f64_e32 v[36:37], v[4:5], v[36:37]
	s_wait_loadcnt_dscnt 0x800
	v_mul_f64_e32 v[145:146], v[42:43], v[135:136]
	v_add_f64_e32 v[141:142], v[141:142], v[149:150]
	v_add_f64_e32 v[143:144], v[143:144], v[147:148]
	v_mul_f64_e32 v[147:148], v[44:45], v[135:136]
	v_fma_f64 v[149:150], v[4:5], v[34:35], v[151:152]
	v_fma_f64 v[151:152], v[2:3], v[34:35], -v[36:37]
	ds_load_b128 v[2:5], v1 offset:928
	scratch_load_b128 v[34:37], off, off offset:416
	v_fma_f64 v[44:45], v[44:45], v[133:134], v[145:146]
	v_add_f64_e32 v[141:142], v[141:142], v[137:138]
	v_add_f64_e32 v[139:140], v[143:144], v[139:140]
	ds_load_b128 v[135:138], v1 offset:944
	v_fma_f64 v[133:134], v[42:43], v[133:134], -v[147:148]
	s_wait_loadcnt_dscnt 0x801
	v_mul_f64_e32 v[143:144], v[2:3], v[40:41]
	v_mul_f64_e32 v[153:154], v[4:5], v[40:41]
	scratch_load_b128 v[40:43], off, off offset:432
	s_wait_loadcnt_dscnt 0x800
	v_mul_f64_e32 v[147:148], v[135:136], v[8:9]
	v_mul_f64_e32 v[8:9], v[137:138], v[8:9]
	v_add_f64_e32 v[141:142], v[141:142], v[151:152]
	v_add_f64_e32 v[139:140], v[139:140], v[149:150]
	v_fma_f64 v[149:150], v[4:5], v[38:39], v[143:144]
	v_fma_f64 v[38:39], v[2:3], v[38:39], -v[153:154]
	ds_load_b128 v[2:5], v1 offset:960
	ds_load_b128 v[143:146], v1 offset:976
	v_fma_f64 v[137:138], v[137:138], v[6:7], v[147:148]
	v_fma_f64 v[135:136], v[135:136], v[6:7], -v[8:9]
	scratch_load_b128 v[6:9], off, off offset:464
	v_add_f64_e32 v[133:134], v[141:142], v[133:134]
	v_add_f64_e32 v[44:45], v[139:140], v[44:45]
	scratch_load_b128 v[139:142], off, off offset:448
	s_wait_loadcnt_dscnt 0x901
	v_mul_f64_e32 v[151:152], v[2:3], v[12:13]
	v_mul_f64_e32 v[12:13], v[4:5], v[12:13]
	s_wait_loadcnt_dscnt 0x800
	v_mul_f64_e32 v[147:148], v[143:144], v[16:17]
	v_mul_f64_e32 v[16:17], v[145:146], v[16:17]
	v_add_f64_e32 v[38:39], v[133:134], v[38:39]
	v_add_f64_e32 v[44:45], v[44:45], v[149:150]
	v_fma_f64 v[149:150], v[4:5], v[10:11], v[151:152]
	v_fma_f64 v[151:152], v[2:3], v[10:11], -v[12:13]
	ds_load_b128 v[2:5], v1 offset:992
	scratch_load_b128 v[10:13], off, off offset:480
	v_fma_f64 v[145:146], v[145:146], v[14:15], v[147:148]
	v_fma_f64 v[143:144], v[143:144], v[14:15], -v[16:17]
	scratch_load_b128 v[14:17], off, off offset:496
	v_add_f64_e32 v[38:39], v[38:39], v[135:136]
	v_add_f64_e32 v[44:45], v[44:45], v[137:138]
	ds_load_b128 v[133:136], v1 offset:1008
	s_wait_loadcnt_dscnt 0x901
	v_mul_f64_e32 v[137:138], v[2:3], v[20:21]
	v_mul_f64_e32 v[20:21], v[4:5], v[20:21]
	s_wait_loadcnt_dscnt 0x800
	v_mul_f64_e32 v[147:148], v[133:134], v[24:25]
	v_mul_f64_e32 v[24:25], v[135:136], v[24:25]
	v_add_f64_e32 v[38:39], v[38:39], v[151:152]
	v_add_f64_e32 v[44:45], v[44:45], v[149:150]
	v_fma_f64 v[137:138], v[4:5], v[18:19], v[137:138]
	v_fma_f64 v[149:150], v[2:3], v[18:19], -v[20:21]
	ds_load_b128 v[2:5], v1 offset:1024
	scratch_load_b128 v[18:21], off, off offset:512
	v_fma_f64 v[135:136], v[135:136], v[22:23], v[147:148]
	v_fma_f64 v[133:134], v[133:134], v[22:23], -v[24:25]
	scratch_load_b128 v[22:25], off, off offset:528
	v_add_f64_e32 v[38:39], v[38:39], v[143:144]
	v_add_f64_e32 v[44:45], v[44:45], v[145:146]
	ds_load_b128 v[143:146], v1 offset:1040
	s_wait_loadcnt_dscnt 0x901
	v_mul_f64_e32 v[151:152], v[2:3], v[28:29]
	v_mul_f64_e32 v[28:29], v[4:5], v[28:29]
	v_add_f64_e32 v[38:39], v[38:39], v[149:150]
	v_add_f64_e32 v[44:45], v[44:45], v[137:138]
	s_wait_loadcnt_dscnt 0x800
	v_mul_f64_e32 v[137:138], v[143:144], v[32:33]
	v_mul_f64_e32 v[32:33], v[145:146], v[32:33]
	v_fma_f64 v[147:148], v[4:5], v[26:27], v[151:152]
	v_fma_f64 v[149:150], v[2:3], v[26:27], -v[28:29]
	ds_load_b128 v[2:5], v1 offset:1056
	scratch_load_b128 v[26:29], off, off offset:544
	v_add_f64_e32 v[38:39], v[38:39], v[133:134]
	v_add_f64_e32 v[44:45], v[44:45], v[135:136]
	ds_load_b128 v[133:136], v1 offset:1072
	s_wait_loadcnt_dscnt 0x801
	v_mul_f64_e32 v[151:152], v[2:3], v[36:37]
	v_mul_f64_e32 v[36:37], v[4:5], v[36:37]
	v_fma_f64 v[137:138], v[145:146], v[30:31], v[137:138]
	v_fma_f64 v[143:144], v[143:144], v[30:31], -v[32:33]
	scratch_load_b128 v[30:33], off, off offset:560
	s_wait_loadcnt_dscnt 0x800
	v_mul_f64_e32 v[145:146], v[133:134], v[42:43]
	v_add_f64_e32 v[38:39], v[38:39], v[149:150]
	v_add_f64_e32 v[44:45], v[44:45], v[147:148]
	v_mul_f64_e32 v[147:148], v[135:136], v[42:43]
	v_fma_f64 v[149:150], v[4:5], v[34:35], v[151:152]
	v_fma_f64 v[151:152], v[2:3], v[34:35], -v[36:37]
	ds_load_b128 v[2:5], v1 offset:1088
	scratch_load_b128 v[34:37], off, off offset:576
	v_fma_f64 v[135:136], v[135:136], v[40:41], v[145:146]
	v_add_f64_e32 v[38:39], v[38:39], v[143:144]
	v_add_f64_e32 v[137:138], v[44:45], v[137:138]
	ds_load_b128 v[42:45], v1 offset:1104
	v_fma_f64 v[133:134], v[133:134], v[40:41], -v[147:148]
	s_wait_loadcnt_dscnt 0x701
	v_mul_f64_e32 v[143:144], v[2:3], v[141:142]
	v_mul_f64_e32 v[141:142], v[4:5], v[141:142]
	s_wait_dscnt 0x0
	v_mul_f64_e32 v[147:148], v[42:43], v[8:9]
	v_mul_f64_e32 v[8:9], v[44:45], v[8:9]
	v_add_f64_e32 v[145:146], v[38:39], v[151:152]
	v_add_f64_e32 v[137:138], v[137:138], v[149:150]
	scratch_load_b128 v[38:41], off, off offset:592
	v_fma_f64 v[143:144], v[4:5], v[139:140], v[143:144]
	v_fma_f64 v[141:142], v[2:3], v[139:140], -v[141:142]
	ds_load_b128 v[2:5], v1 offset:1120
	v_fma_f64 v[44:45], v[44:45], v[6:7], v[147:148]
	v_fma_f64 v[42:43], v[42:43], v[6:7], -v[8:9]
	scratch_load_b128 v[6:9], off, off offset:624
	v_add_f64_e32 v[145:146], v[145:146], v[133:134]
	v_add_f64_e32 v[149:150], v[137:138], v[135:136]
	scratch_load_b128 v[133:136], off, off offset:608
	ds_load_b128 v[137:140], v1 offset:1136
	s_wait_loadcnt_dscnt 0x901
	v_mul_f64_e32 v[151:152], v[2:3], v[12:13]
	v_mul_f64_e32 v[12:13], v[4:5], v[12:13]
	v_add_f64_e32 v[141:142], v[145:146], v[141:142]
	v_add_f64_e32 v[143:144], v[149:150], v[143:144]
	s_wait_loadcnt_dscnt 0x800
	v_mul_f64_e32 v[145:146], v[137:138], v[16:17]
	v_mul_f64_e32 v[16:17], v[139:140], v[16:17]
	v_fma_f64 v[147:148], v[4:5], v[10:11], v[151:152]
	v_fma_f64 v[149:150], v[2:3], v[10:11], -v[12:13]
	ds_load_b128 v[2:5], v1 offset:1152
	scratch_load_b128 v[10:13], off, off offset:640
	v_add_f64_e32 v[141:142], v[141:142], v[42:43]
	v_add_f64_e32 v[143:144], v[143:144], v[44:45]
	ds_load_b128 v[42:45], v1 offset:1168
	s_wait_loadcnt_dscnt 0x801
	v_mul_f64_e32 v[151:152], v[2:3], v[20:21]
	v_mul_f64_e32 v[20:21], v[4:5], v[20:21]
	v_fma_f64 v[139:140], v[139:140], v[14:15], v[145:146]
	v_fma_f64 v[137:138], v[137:138], v[14:15], -v[16:17]
	scratch_load_b128 v[14:17], off, off offset:656
	s_wait_loadcnt_dscnt 0x800
	v_mul_f64_e32 v[145:146], v[42:43], v[24:25]
	v_mul_f64_e32 v[24:25], v[44:45], v[24:25]
	v_add_f64_e32 v[141:142], v[141:142], v[149:150]
	v_add_f64_e32 v[143:144], v[143:144], v[147:148]
	v_fma_f64 v[147:148], v[4:5], v[18:19], v[151:152]
	v_fma_f64 v[149:150], v[2:3], v[18:19], -v[20:21]
	ds_load_b128 v[2:5], v1 offset:1184
	ds_load_b128 v[18:21], v1 offset:1200
	v_fma_f64 v[44:45], v[44:45], v[22:23], v[145:146]
	v_fma_f64 v[22:23], v[42:43], v[22:23], -v[24:25]
	v_add_f64_e32 v[137:138], v[141:142], v[137:138]
	v_add_f64_e32 v[139:140], v[143:144], v[139:140]
	s_wait_loadcnt_dscnt 0x701
	v_mul_f64_e32 v[141:142], v[2:3], v[28:29]
	v_mul_f64_e32 v[28:29], v[4:5], v[28:29]
	s_delay_alu instid0(VALU_DEP_4) | instskip(NEXT) | instid1(VALU_DEP_4)
	v_add_f64_e32 v[24:25], v[137:138], v[149:150]
	v_add_f64_e32 v[42:43], v[139:140], v[147:148]
	s_wait_loadcnt_dscnt 0x600
	v_mul_f64_e32 v[137:138], v[18:19], v[32:33]
	v_mul_f64_e32 v[32:33], v[20:21], v[32:33]
	v_fma_f64 v[139:140], v[4:5], v[26:27], v[141:142]
	v_fma_f64 v[26:27], v[2:3], v[26:27], -v[28:29]
	v_add_f64_e32 v[28:29], v[24:25], v[22:23]
	v_add_f64_e32 v[42:43], v[42:43], v[44:45]
	ds_load_b128 v[2:5], v1 offset:1216
	ds_load_b128 v[22:25], v1 offset:1232
	v_fma_f64 v[20:21], v[20:21], v[30:31], v[137:138]
	v_fma_f64 v[18:19], v[18:19], v[30:31], -v[32:33]
	s_wait_loadcnt_dscnt 0x501
	v_mul_f64_e32 v[44:45], v[2:3], v[36:37]
	v_mul_f64_e32 v[36:37], v[4:5], v[36:37]
	v_add_f64_e32 v[26:27], v[28:29], v[26:27]
	v_add_f64_e32 v[28:29], v[42:43], v[139:140]
	s_wait_loadcnt_dscnt 0x400
	v_mul_f64_e32 v[30:31], v[22:23], v[40:41]
	v_mul_f64_e32 v[32:33], v[24:25], v[40:41]
	v_fma_f64 v[40:41], v[4:5], v[34:35], v[44:45]
	v_fma_f64 v[34:35], v[2:3], v[34:35], -v[36:37]
	v_add_f64_e32 v[26:27], v[26:27], v[18:19]
	v_add_f64_e32 v[28:29], v[28:29], v[20:21]
	ds_load_b128 v[2:5], v1 offset:1248
	ds_load_b128 v[18:21], v1 offset:1264
	v_fma_f64 v[24:25], v[24:25], v[38:39], v[30:31]
	v_fma_f64 v[22:23], v[22:23], v[38:39], -v[32:33]
	s_wait_loadcnt_dscnt 0x201
	v_mul_f64_e32 v[36:37], v[2:3], v[135:136]
	v_mul_f64_e32 v[42:43], v[4:5], v[135:136]
	s_wait_dscnt 0x0
	v_mul_f64_e32 v[30:31], v[18:19], v[8:9]
	v_mul_f64_e32 v[8:9], v[20:21], v[8:9]
	v_add_f64_e32 v[26:27], v[26:27], v[34:35]
	v_add_f64_e32 v[28:29], v[28:29], v[40:41]
	v_fma_f64 v[32:33], v[4:5], v[133:134], v[36:37]
	v_fma_f64 v[34:35], v[2:3], v[133:134], -v[42:43]
	v_fma_f64 v[20:21], v[20:21], v[6:7], v[30:31]
	v_fma_f64 v[6:7], v[18:19], v[6:7], -v[8:9]
	v_add_f64_e32 v[26:27], v[26:27], v[22:23]
	v_add_f64_e32 v[28:29], v[28:29], v[24:25]
	ds_load_b128 v[2:5], v1 offset:1280
	ds_load_b128 v[22:25], v1 offset:1296
	s_wait_loadcnt_dscnt 0x101
	v_mul_f64_e32 v[36:37], v[2:3], v[12:13]
	v_mul_f64_e32 v[12:13], v[4:5], v[12:13]
	v_add_f64_e32 v[8:9], v[26:27], v[34:35]
	v_add_f64_e32 v[18:19], v[28:29], v[32:33]
	s_wait_loadcnt_dscnt 0x0
	v_mul_f64_e32 v[26:27], v[22:23], v[16:17]
	v_mul_f64_e32 v[16:17], v[24:25], v[16:17]
	v_fma_f64 v[4:5], v[4:5], v[10:11], v[36:37]
	v_fma_f64 v[1:2], v[2:3], v[10:11], -v[12:13]
	v_add_f64_e32 v[6:7], v[8:9], v[6:7]
	v_add_f64_e32 v[8:9], v[18:19], v[20:21]
	v_fma_f64 v[10:11], v[24:25], v[14:15], v[26:27]
	v_fma_f64 v[12:13], v[22:23], v[14:15], -v[16:17]
	s_delay_alu instid0(VALU_DEP_4) | instskip(NEXT) | instid1(VALU_DEP_4)
	v_add_f64_e32 v[1:2], v[6:7], v[1:2]
	v_add_f64_e32 v[3:4], v[8:9], v[4:5]
	s_delay_alu instid0(VALU_DEP_2) | instskip(NEXT) | instid1(VALU_DEP_2)
	v_add_f64_e32 v[1:2], v[1:2], v[12:13]
	v_add_f64_e32 v[3:4], v[3:4], v[10:11]
	s_delay_alu instid0(VALU_DEP_2) | instskip(NEXT) | instid1(VALU_DEP_2)
	v_add_f64_e64 v[1:2], v[129:130], -v[1:2]
	v_add_f64_e64 v[3:4], v[131:132], -v[3:4]
	scratch_store_b128 off, v[1:4], off offset:112
	v_cmpx_lt_u32_e32 5, v0
	s_cbranch_execz .LBB40_249
; %bb.248:
	scratch_load_b128 v[1:4], off, s49
	v_mov_b32_e32 v5, 0
	s_delay_alu instid0(VALU_DEP_1)
	v_dual_mov_b32 v6, v5 :: v_dual_mov_b32 v7, v5
	v_mov_b32_e32 v8, v5
	scratch_store_b128 off, v[5:8], off offset:96
	s_wait_loadcnt 0x0
	ds_store_b128 v128, v[1:4]
.LBB40_249:
	s_wait_alu 0xfffe
	s_or_b32 exec_lo, exec_lo, s0
	s_wait_storecnt_dscnt 0x0
	s_barrier_signal -1
	s_barrier_wait -1
	global_inv scope:SCOPE_SE
	s_clause 0x7
	scratch_load_b128 v[2:5], off, off offset:112
	scratch_load_b128 v[6:9], off, off offset:128
	;; [unrolled: 1-line block ×8, first 2 shown]
	v_mov_b32_e32 v1, 0
	s_mov_b32 s0, exec_lo
	ds_load_b128 v[38:41], v1 offset:752
	s_clause 0x1
	scratch_load_b128 v[34:37], off, off offset:240
	scratch_load_b128 v[42:45], off, off offset:96
	ds_load_b128 v[129:132], v1 offset:768
	scratch_load_b128 v[133:136], off, off offset:256
	s_wait_loadcnt_dscnt 0xa01
	v_mul_f64_e32 v[137:138], v[40:41], v[4:5]
	v_mul_f64_e32 v[4:5], v[38:39], v[4:5]
	s_delay_alu instid0(VALU_DEP_2) | instskip(NEXT) | instid1(VALU_DEP_2)
	v_fma_f64 v[143:144], v[38:39], v[2:3], -v[137:138]
	v_fma_f64 v[145:146], v[40:41], v[2:3], v[4:5]
	ds_load_b128 v[2:5], v1 offset:784
	s_wait_loadcnt_dscnt 0x901
	v_mul_f64_e32 v[141:142], v[129:130], v[8:9]
	v_mul_f64_e32 v[8:9], v[131:132], v[8:9]
	scratch_load_b128 v[38:41], off, off offset:272
	ds_load_b128 v[137:140], v1 offset:800
	s_wait_loadcnt_dscnt 0x901
	v_mul_f64_e32 v[147:148], v[2:3], v[12:13]
	v_mul_f64_e32 v[12:13], v[4:5], v[12:13]
	v_fma_f64 v[131:132], v[131:132], v[6:7], v[141:142]
	v_fma_f64 v[129:130], v[129:130], v[6:7], -v[8:9]
	v_add_f64_e32 v[141:142], 0, v[143:144]
	v_add_f64_e32 v[143:144], 0, v[145:146]
	scratch_load_b128 v[6:9], off, off offset:288
	v_fma_f64 v[147:148], v[4:5], v[10:11], v[147:148]
	v_fma_f64 v[149:150], v[2:3], v[10:11], -v[12:13]
	ds_load_b128 v[2:5], v1 offset:816
	s_wait_loadcnt_dscnt 0x901
	v_mul_f64_e32 v[145:146], v[137:138], v[16:17]
	v_mul_f64_e32 v[16:17], v[139:140], v[16:17]
	scratch_load_b128 v[10:13], off, off offset:304
	v_add_f64_e32 v[141:142], v[141:142], v[129:130]
	v_add_f64_e32 v[143:144], v[143:144], v[131:132]
	s_wait_loadcnt_dscnt 0x900
	v_mul_f64_e32 v[151:152], v[2:3], v[20:21]
	v_mul_f64_e32 v[20:21], v[4:5], v[20:21]
	ds_load_b128 v[129:132], v1 offset:832
	v_fma_f64 v[139:140], v[139:140], v[14:15], v[145:146]
	v_fma_f64 v[137:138], v[137:138], v[14:15], -v[16:17]
	scratch_load_b128 v[14:17], off, off offset:320
	v_add_f64_e32 v[141:142], v[141:142], v[149:150]
	v_add_f64_e32 v[143:144], v[143:144], v[147:148]
	v_fma_f64 v[147:148], v[4:5], v[18:19], v[151:152]
	v_fma_f64 v[149:150], v[2:3], v[18:19], -v[20:21]
	ds_load_b128 v[2:5], v1 offset:848
	s_wait_loadcnt_dscnt 0x901
	v_mul_f64_e32 v[145:146], v[129:130], v[24:25]
	v_mul_f64_e32 v[24:25], v[131:132], v[24:25]
	scratch_load_b128 v[18:21], off, off offset:336
	s_wait_loadcnt_dscnt 0x900
	v_mul_f64_e32 v[151:152], v[2:3], v[28:29]
	v_mul_f64_e32 v[28:29], v[4:5], v[28:29]
	v_add_f64_e32 v[141:142], v[141:142], v[137:138]
	v_add_f64_e32 v[143:144], v[143:144], v[139:140]
	ds_load_b128 v[137:140], v1 offset:864
	v_fma_f64 v[131:132], v[131:132], v[22:23], v[145:146]
	v_fma_f64 v[129:130], v[129:130], v[22:23], -v[24:25]
	scratch_load_b128 v[22:25], off, off offset:352
	v_add_f64_e32 v[141:142], v[141:142], v[149:150]
	v_add_f64_e32 v[143:144], v[143:144], v[147:148]
	v_fma_f64 v[147:148], v[4:5], v[26:27], v[151:152]
	v_fma_f64 v[149:150], v[2:3], v[26:27], -v[28:29]
	ds_load_b128 v[2:5], v1 offset:880
	s_wait_loadcnt_dscnt 0x901
	v_mul_f64_e32 v[145:146], v[137:138], v[32:33]
	v_mul_f64_e32 v[32:33], v[139:140], v[32:33]
	scratch_load_b128 v[26:29], off, off offset:368
	s_wait_loadcnt_dscnt 0x900
	v_mul_f64_e32 v[151:152], v[2:3], v[36:37]
	v_mul_f64_e32 v[36:37], v[4:5], v[36:37]
	v_add_f64_e32 v[141:142], v[141:142], v[129:130]
	v_add_f64_e32 v[143:144], v[143:144], v[131:132]
	ds_load_b128 v[129:132], v1 offset:896
	v_fma_f64 v[139:140], v[139:140], v[30:31], v[145:146]
	v_fma_f64 v[137:138], v[137:138], v[30:31], -v[32:33]
	scratch_load_b128 v[30:33], off, off offset:384
	v_add_f64_e32 v[141:142], v[141:142], v[149:150]
	v_add_f64_e32 v[143:144], v[143:144], v[147:148]
	v_fma_f64 v[149:150], v[4:5], v[34:35], v[151:152]
	v_fma_f64 v[151:152], v[2:3], v[34:35], -v[36:37]
	ds_load_b128 v[2:5], v1 offset:912
	s_wait_loadcnt_dscnt 0x801
	v_mul_f64_e32 v[145:146], v[129:130], v[135:136]
	v_mul_f64_e32 v[147:148], v[131:132], v[135:136]
	scratch_load_b128 v[34:37], off, off offset:400
	v_add_f64_e32 v[141:142], v[141:142], v[137:138]
	v_add_f64_e32 v[139:140], v[143:144], v[139:140]
	ds_load_b128 v[135:138], v1 offset:928
	v_fma_f64 v[145:146], v[131:132], v[133:134], v[145:146]
	v_fma_f64 v[133:134], v[129:130], v[133:134], -v[147:148]
	scratch_load_b128 v[129:132], off, off offset:416
	s_wait_loadcnt_dscnt 0x901
	v_mul_f64_e32 v[143:144], v[2:3], v[40:41]
	v_mul_f64_e32 v[40:41], v[4:5], v[40:41]
	v_add_f64_e32 v[141:142], v[141:142], v[151:152]
	v_add_f64_e32 v[139:140], v[139:140], v[149:150]
	s_delay_alu instid0(VALU_DEP_4) | instskip(NEXT) | instid1(VALU_DEP_4)
	v_fma_f64 v[143:144], v[4:5], v[38:39], v[143:144]
	v_fma_f64 v[149:150], v[2:3], v[38:39], -v[40:41]
	ds_load_b128 v[2:5], v1 offset:944
	s_wait_loadcnt_dscnt 0x801
	v_mul_f64_e32 v[147:148], v[135:136], v[8:9]
	v_mul_f64_e32 v[8:9], v[137:138], v[8:9]
	scratch_load_b128 v[38:41], off, off offset:432
	s_wait_loadcnt_dscnt 0x800
	v_mul_f64_e32 v[151:152], v[2:3], v[12:13]
	v_add_f64_e32 v[133:134], v[141:142], v[133:134]
	v_add_f64_e32 v[145:146], v[139:140], v[145:146]
	v_mul_f64_e32 v[12:13], v[4:5], v[12:13]
	ds_load_b128 v[139:142], v1 offset:960
	v_fma_f64 v[137:138], v[137:138], v[6:7], v[147:148]
	v_fma_f64 v[135:136], v[135:136], v[6:7], -v[8:9]
	scratch_load_b128 v[6:9], off, off offset:448
	v_fma_f64 v[147:148], v[4:5], v[10:11], v[151:152]
	v_add_f64_e32 v[133:134], v[133:134], v[149:150]
	v_add_f64_e32 v[143:144], v[145:146], v[143:144]
	v_fma_f64 v[149:150], v[2:3], v[10:11], -v[12:13]
	ds_load_b128 v[2:5], v1 offset:976
	s_wait_loadcnt_dscnt 0x801
	v_mul_f64_e32 v[145:146], v[139:140], v[16:17]
	v_mul_f64_e32 v[16:17], v[141:142], v[16:17]
	scratch_load_b128 v[10:13], off, off offset:464
	v_add_f64_e32 v[151:152], v[133:134], v[135:136]
	v_add_f64_e32 v[137:138], v[143:144], v[137:138]
	s_wait_loadcnt_dscnt 0x800
	v_mul_f64_e32 v[143:144], v[2:3], v[20:21]
	v_mul_f64_e32 v[20:21], v[4:5], v[20:21]
	v_fma_f64 v[141:142], v[141:142], v[14:15], v[145:146]
	v_fma_f64 v[139:140], v[139:140], v[14:15], -v[16:17]
	ds_load_b128 v[133:136], v1 offset:992
	scratch_load_b128 v[14:17], off, off offset:480
	v_add_f64_e32 v[145:146], v[151:152], v[149:150]
	v_add_f64_e32 v[137:138], v[137:138], v[147:148]
	v_fma_f64 v[143:144], v[4:5], v[18:19], v[143:144]
	v_fma_f64 v[149:150], v[2:3], v[18:19], -v[20:21]
	ds_load_b128 v[2:5], v1 offset:1008
	s_wait_loadcnt_dscnt 0x801
	v_mul_f64_e32 v[147:148], v[133:134], v[24:25]
	v_mul_f64_e32 v[24:25], v[135:136], v[24:25]
	scratch_load_b128 v[18:21], off, off offset:496
	s_wait_loadcnt_dscnt 0x800
	v_mul_f64_e32 v[151:152], v[2:3], v[28:29]
	v_mul_f64_e32 v[28:29], v[4:5], v[28:29]
	v_add_f64_e32 v[145:146], v[145:146], v[139:140]
	v_add_f64_e32 v[141:142], v[137:138], v[141:142]
	ds_load_b128 v[137:140], v1 offset:1024
	v_fma_f64 v[135:136], v[135:136], v[22:23], v[147:148]
	v_fma_f64 v[133:134], v[133:134], v[22:23], -v[24:25]
	scratch_load_b128 v[22:25], off, off offset:512
	v_fma_f64 v[147:148], v[4:5], v[26:27], v[151:152]
	v_add_f64_e32 v[145:146], v[145:146], v[149:150]
	v_add_f64_e32 v[141:142], v[141:142], v[143:144]
	v_fma_f64 v[149:150], v[2:3], v[26:27], -v[28:29]
	ds_load_b128 v[2:5], v1 offset:1040
	s_wait_loadcnt_dscnt 0x801
	v_mul_f64_e32 v[143:144], v[137:138], v[32:33]
	v_mul_f64_e32 v[32:33], v[139:140], v[32:33]
	scratch_load_b128 v[26:29], off, off offset:528
	s_wait_loadcnt_dscnt 0x800
	v_mul_f64_e32 v[151:152], v[2:3], v[36:37]
	v_mul_f64_e32 v[36:37], v[4:5], v[36:37]
	v_add_f64_e32 v[145:146], v[145:146], v[133:134]
	v_add_f64_e32 v[141:142], v[141:142], v[135:136]
	ds_load_b128 v[133:136], v1 offset:1056
	v_fma_f64 v[139:140], v[139:140], v[30:31], v[143:144]
	v_fma_f64 v[137:138], v[137:138], v[30:31], -v[32:33]
	scratch_load_b128 v[30:33], off, off offset:544
	v_add_f64_e32 v[143:144], v[145:146], v[149:150]
	v_add_f64_e32 v[141:142], v[141:142], v[147:148]
	v_fma_f64 v[147:148], v[4:5], v[34:35], v[151:152]
	v_fma_f64 v[149:150], v[2:3], v[34:35], -v[36:37]
	ds_load_b128 v[2:5], v1 offset:1072
	s_wait_loadcnt_dscnt 0x801
	v_mul_f64_e32 v[145:146], v[133:134], v[131:132]
	v_mul_f64_e32 v[131:132], v[135:136], v[131:132]
	scratch_load_b128 v[34:37], off, off offset:560
	s_wait_loadcnt_dscnt 0x800
	v_mul_f64_e32 v[151:152], v[2:3], v[40:41]
	v_mul_f64_e32 v[40:41], v[4:5], v[40:41]
	v_add_f64_e32 v[143:144], v[143:144], v[137:138]
	v_add_f64_e32 v[141:142], v[141:142], v[139:140]
	ds_load_b128 v[137:140], v1 offset:1088
	v_fma_f64 v[135:136], v[135:136], v[129:130], v[145:146]
	v_fma_f64 v[133:134], v[133:134], v[129:130], -v[131:132]
	scratch_load_b128 v[129:132], off, off offset:576
	v_add_f64_e32 v[143:144], v[143:144], v[149:150]
	v_add_f64_e32 v[141:142], v[141:142], v[147:148]
	v_fma_f64 v[147:148], v[4:5], v[38:39], v[151:152]
	;; [unrolled: 18-line block ×4, first 2 shown]
	v_fma_f64 v[149:150], v[2:3], v[18:19], -v[20:21]
	ds_load_b128 v[2:5], v1 offset:1168
	s_wait_loadcnt_dscnt 0x801
	v_mul_f64_e32 v[145:146], v[137:138], v[24:25]
	v_mul_f64_e32 v[24:25], v[139:140], v[24:25]
	scratch_load_b128 v[18:21], off, off offset:656
	s_wait_loadcnt_dscnt 0x800
	v_mul_f64_e32 v[151:152], v[2:3], v[28:29]
	v_mul_f64_e32 v[28:29], v[4:5], v[28:29]
	v_add_f64_e32 v[143:144], v[143:144], v[133:134]
	v_add_f64_e32 v[141:142], v[141:142], v[135:136]
	ds_load_b128 v[133:136], v1 offset:1184
	v_fma_f64 v[139:140], v[139:140], v[22:23], v[145:146]
	v_fma_f64 v[22:23], v[137:138], v[22:23], -v[24:25]
	v_add_f64_e32 v[24:25], v[143:144], v[149:150]
	v_add_f64_e32 v[137:138], v[141:142], v[147:148]
	s_wait_loadcnt_dscnt 0x700
	v_mul_f64_e32 v[141:142], v[133:134], v[32:33]
	v_mul_f64_e32 v[32:33], v[135:136], v[32:33]
	v_fma_f64 v[143:144], v[4:5], v[26:27], v[151:152]
	v_fma_f64 v[26:27], v[2:3], v[26:27], -v[28:29]
	v_add_f64_e32 v[28:29], v[24:25], v[22:23]
	v_add_f64_e32 v[137:138], v[137:138], v[139:140]
	ds_load_b128 v[2:5], v1 offset:1200
	ds_load_b128 v[22:25], v1 offset:1216
	v_fma_f64 v[135:136], v[135:136], v[30:31], v[141:142]
	v_fma_f64 v[30:31], v[133:134], v[30:31], -v[32:33]
	s_wait_loadcnt_dscnt 0x601
	v_mul_f64_e32 v[139:140], v[2:3], v[36:37]
	v_mul_f64_e32 v[36:37], v[4:5], v[36:37]
	s_wait_loadcnt_dscnt 0x500
	v_mul_f64_e32 v[32:33], v[22:23], v[131:132]
	v_mul_f64_e32 v[131:132], v[24:25], v[131:132]
	v_add_f64_e32 v[26:27], v[28:29], v[26:27]
	v_add_f64_e32 v[28:29], v[137:138], v[143:144]
	v_fma_f64 v[133:134], v[4:5], v[34:35], v[139:140]
	v_fma_f64 v[34:35], v[2:3], v[34:35], -v[36:37]
	v_fma_f64 v[24:25], v[24:25], v[129:130], v[32:33]
	v_fma_f64 v[22:23], v[22:23], v[129:130], -v[131:132]
	v_add_f64_e32 v[30:31], v[26:27], v[30:31]
	v_add_f64_e32 v[36:37], v[28:29], v[135:136]
	ds_load_b128 v[2:5], v1 offset:1232
	ds_load_b128 v[26:29], v1 offset:1248
	s_wait_loadcnt_dscnt 0x401
	v_mul_f64_e32 v[135:136], v[2:3], v[40:41]
	v_mul_f64_e32 v[40:41], v[4:5], v[40:41]
	v_add_f64_e32 v[30:31], v[30:31], v[34:35]
	v_add_f64_e32 v[32:33], v[36:37], v[133:134]
	s_wait_loadcnt_dscnt 0x300
	v_mul_f64_e32 v[34:35], v[26:27], v[8:9]
	v_mul_f64_e32 v[8:9], v[28:29], v[8:9]
	v_fma_f64 v[36:37], v[4:5], v[38:39], v[135:136]
	v_fma_f64 v[38:39], v[2:3], v[38:39], -v[40:41]
	v_add_f64_e32 v[30:31], v[30:31], v[22:23]
	v_add_f64_e32 v[32:33], v[32:33], v[24:25]
	ds_load_b128 v[2:5], v1 offset:1264
	ds_load_b128 v[22:25], v1 offset:1280
	v_fma_f64 v[28:29], v[28:29], v[6:7], v[34:35]
	v_fma_f64 v[6:7], v[26:27], v[6:7], -v[8:9]
	s_wait_loadcnt_dscnt 0x201
	v_mul_f64_e32 v[40:41], v[2:3], v[12:13]
	v_mul_f64_e32 v[12:13], v[4:5], v[12:13]
	v_add_f64_e32 v[8:9], v[30:31], v[38:39]
	v_add_f64_e32 v[26:27], v[32:33], v[36:37]
	s_wait_loadcnt_dscnt 0x100
	v_mul_f64_e32 v[30:31], v[22:23], v[16:17]
	v_mul_f64_e32 v[16:17], v[24:25], v[16:17]
	v_fma_f64 v[32:33], v[4:5], v[10:11], v[40:41]
	v_fma_f64 v[10:11], v[2:3], v[10:11], -v[12:13]
	ds_load_b128 v[2:5], v1 offset:1296
	v_add_f64_e32 v[6:7], v[8:9], v[6:7]
	v_add_f64_e32 v[8:9], v[26:27], v[28:29]
	v_fma_f64 v[24:25], v[24:25], v[14:15], v[30:31]
	v_fma_f64 v[14:15], v[22:23], v[14:15], -v[16:17]
	s_wait_loadcnt_dscnt 0x0
	v_mul_f64_e32 v[12:13], v[2:3], v[20:21]
	v_mul_f64_e32 v[20:21], v[4:5], v[20:21]
	v_add_f64_e32 v[6:7], v[6:7], v[10:11]
	v_add_f64_e32 v[8:9], v[8:9], v[32:33]
	s_delay_alu instid0(VALU_DEP_4) | instskip(NEXT) | instid1(VALU_DEP_4)
	v_fma_f64 v[4:5], v[4:5], v[18:19], v[12:13]
	v_fma_f64 v[2:3], v[2:3], v[18:19], -v[20:21]
	s_delay_alu instid0(VALU_DEP_4) | instskip(NEXT) | instid1(VALU_DEP_4)
	v_add_f64_e32 v[6:7], v[6:7], v[14:15]
	v_add_f64_e32 v[8:9], v[8:9], v[24:25]
	s_delay_alu instid0(VALU_DEP_2) | instskip(NEXT) | instid1(VALU_DEP_2)
	v_add_f64_e32 v[2:3], v[6:7], v[2:3]
	v_add_f64_e32 v[4:5], v[8:9], v[4:5]
	s_delay_alu instid0(VALU_DEP_2) | instskip(NEXT) | instid1(VALU_DEP_2)
	v_add_f64_e64 v[2:3], v[42:43], -v[2:3]
	v_add_f64_e64 v[4:5], v[44:45], -v[4:5]
	scratch_store_b128 off, v[2:5], off offset:96
	v_cmpx_lt_u32_e32 4, v0
	s_cbranch_execz .LBB40_251
; %bb.250:
	scratch_load_b128 v[5:8], off, s8
	v_dual_mov_b32 v2, v1 :: v_dual_mov_b32 v3, v1
	v_mov_b32_e32 v4, v1
	scratch_store_b128 off, v[1:4], off offset:80
	s_wait_loadcnt 0x0
	ds_store_b128 v128, v[5:8]
.LBB40_251:
	s_wait_alu 0xfffe
	s_or_b32 exec_lo, exec_lo, s0
	s_wait_storecnt_dscnt 0x0
	s_barrier_signal -1
	s_barrier_wait -1
	global_inv scope:SCOPE_SE
	s_clause 0x8
	scratch_load_b128 v[2:5], off, off offset:96
	scratch_load_b128 v[6:9], off, off offset:112
	;; [unrolled: 1-line block ×9, first 2 shown]
	ds_load_b128 v[38:41], v1 offset:736
	ds_load_b128 v[42:45], v1 offset:752
	s_clause 0x1
	scratch_load_b128 v[129:132], off, off offset:80
	scratch_load_b128 v[133:136], off, off offset:240
	s_mov_b32 s0, exec_lo
	s_wait_loadcnt_dscnt 0xa01
	v_mul_f64_e32 v[137:138], v[40:41], v[4:5]
	v_mul_f64_e32 v[4:5], v[38:39], v[4:5]
	s_wait_loadcnt_dscnt 0x900
	v_mul_f64_e32 v[141:142], v[42:43], v[8:9]
	v_mul_f64_e32 v[8:9], v[44:45], v[8:9]
	s_delay_alu instid0(VALU_DEP_4) | instskip(NEXT) | instid1(VALU_DEP_4)
	v_fma_f64 v[143:144], v[38:39], v[2:3], -v[137:138]
	v_fma_f64 v[145:146], v[40:41], v[2:3], v[4:5]
	ds_load_b128 v[2:5], v1 offset:768
	ds_load_b128 v[137:140], v1 offset:784
	scratch_load_b128 v[38:41], off, off offset:256
	v_fma_f64 v[44:45], v[44:45], v[6:7], v[141:142]
	v_fma_f64 v[42:43], v[42:43], v[6:7], -v[8:9]
	scratch_load_b128 v[6:9], off, off offset:272
	s_wait_loadcnt_dscnt 0xa01
	v_mul_f64_e32 v[147:148], v[2:3], v[12:13]
	v_mul_f64_e32 v[12:13], v[4:5], v[12:13]
	v_add_f64_e32 v[141:142], 0, v[143:144]
	v_add_f64_e32 v[143:144], 0, v[145:146]
	s_wait_loadcnt_dscnt 0x900
	v_mul_f64_e32 v[145:146], v[137:138], v[16:17]
	v_mul_f64_e32 v[16:17], v[139:140], v[16:17]
	v_fma_f64 v[147:148], v[4:5], v[10:11], v[147:148]
	v_fma_f64 v[149:150], v[2:3], v[10:11], -v[12:13]
	ds_load_b128 v[2:5], v1 offset:800
	scratch_load_b128 v[10:13], off, off offset:288
	v_add_f64_e32 v[141:142], v[141:142], v[42:43]
	v_add_f64_e32 v[143:144], v[143:144], v[44:45]
	ds_load_b128 v[42:45], v1 offset:816
	v_fma_f64 v[139:140], v[139:140], v[14:15], v[145:146]
	v_fma_f64 v[137:138], v[137:138], v[14:15], -v[16:17]
	scratch_load_b128 v[14:17], off, off offset:304
	s_wait_loadcnt_dscnt 0xa01
	v_mul_f64_e32 v[151:152], v[2:3], v[20:21]
	v_mul_f64_e32 v[20:21], v[4:5], v[20:21]
	s_wait_loadcnt_dscnt 0x900
	v_mul_f64_e32 v[145:146], v[42:43], v[24:25]
	v_mul_f64_e32 v[24:25], v[44:45], v[24:25]
	v_add_f64_e32 v[141:142], v[141:142], v[149:150]
	v_add_f64_e32 v[143:144], v[143:144], v[147:148]
	v_fma_f64 v[147:148], v[4:5], v[18:19], v[151:152]
	v_fma_f64 v[149:150], v[2:3], v[18:19], -v[20:21]
	ds_load_b128 v[2:5], v1 offset:832
	scratch_load_b128 v[18:21], off, off offset:320
	v_fma_f64 v[44:45], v[44:45], v[22:23], v[145:146]
	v_fma_f64 v[42:43], v[42:43], v[22:23], -v[24:25]
	scratch_load_b128 v[22:25], off, off offset:336
	v_add_f64_e32 v[141:142], v[141:142], v[137:138]
	v_add_f64_e32 v[143:144], v[143:144], v[139:140]
	ds_load_b128 v[137:140], v1 offset:848
	s_wait_loadcnt_dscnt 0xa01
	v_mul_f64_e32 v[151:152], v[2:3], v[28:29]
	v_mul_f64_e32 v[28:29], v[4:5], v[28:29]
	s_wait_loadcnt_dscnt 0x900
	v_mul_f64_e32 v[145:146], v[137:138], v[32:33]
	v_mul_f64_e32 v[32:33], v[139:140], v[32:33]
	v_add_f64_e32 v[141:142], v[141:142], v[149:150]
	v_add_f64_e32 v[143:144], v[143:144], v[147:148]
	v_fma_f64 v[147:148], v[4:5], v[26:27], v[151:152]
	v_fma_f64 v[149:150], v[2:3], v[26:27], -v[28:29]
	ds_load_b128 v[2:5], v1 offset:864
	scratch_load_b128 v[26:29], off, off offset:352
	v_fma_f64 v[139:140], v[139:140], v[30:31], v[145:146]
	v_fma_f64 v[137:138], v[137:138], v[30:31], -v[32:33]
	scratch_load_b128 v[30:33], off, off offset:368
	v_add_f64_e32 v[141:142], v[141:142], v[42:43]
	v_add_f64_e32 v[143:144], v[143:144], v[44:45]
	ds_load_b128 v[42:45], v1 offset:880
	s_wait_loadcnt_dscnt 0xa01
	v_mul_f64_e32 v[151:152], v[2:3], v[36:37]
	v_mul_f64_e32 v[36:37], v[4:5], v[36:37]
	s_wait_loadcnt_dscnt 0x800
	v_mul_f64_e32 v[145:146], v[42:43], v[135:136]
	v_add_f64_e32 v[141:142], v[141:142], v[149:150]
	v_add_f64_e32 v[143:144], v[143:144], v[147:148]
	v_mul_f64_e32 v[147:148], v[44:45], v[135:136]
	v_fma_f64 v[149:150], v[4:5], v[34:35], v[151:152]
	v_fma_f64 v[151:152], v[2:3], v[34:35], -v[36:37]
	ds_load_b128 v[2:5], v1 offset:896
	scratch_load_b128 v[34:37], off, off offset:384
	v_fma_f64 v[44:45], v[44:45], v[133:134], v[145:146]
	v_add_f64_e32 v[141:142], v[141:142], v[137:138]
	v_add_f64_e32 v[139:140], v[143:144], v[139:140]
	ds_load_b128 v[135:138], v1 offset:912
	v_fma_f64 v[133:134], v[42:43], v[133:134], -v[147:148]
	s_wait_loadcnt_dscnt 0x801
	v_mul_f64_e32 v[143:144], v[2:3], v[40:41]
	v_mul_f64_e32 v[153:154], v[4:5], v[40:41]
	scratch_load_b128 v[40:43], off, off offset:400
	s_wait_loadcnt_dscnt 0x800
	v_mul_f64_e32 v[147:148], v[135:136], v[8:9]
	v_mul_f64_e32 v[8:9], v[137:138], v[8:9]
	v_add_f64_e32 v[141:142], v[141:142], v[151:152]
	v_add_f64_e32 v[139:140], v[139:140], v[149:150]
	v_fma_f64 v[149:150], v[4:5], v[38:39], v[143:144]
	v_fma_f64 v[38:39], v[2:3], v[38:39], -v[153:154]
	ds_load_b128 v[2:5], v1 offset:928
	ds_load_b128 v[143:146], v1 offset:944
	v_fma_f64 v[137:138], v[137:138], v[6:7], v[147:148]
	v_fma_f64 v[135:136], v[135:136], v[6:7], -v[8:9]
	scratch_load_b128 v[6:9], off, off offset:432
	v_add_f64_e32 v[133:134], v[141:142], v[133:134]
	v_add_f64_e32 v[44:45], v[139:140], v[44:45]
	scratch_load_b128 v[139:142], off, off offset:416
	s_wait_loadcnt_dscnt 0x901
	v_mul_f64_e32 v[151:152], v[2:3], v[12:13]
	v_mul_f64_e32 v[12:13], v[4:5], v[12:13]
	s_wait_loadcnt_dscnt 0x800
	v_mul_f64_e32 v[147:148], v[143:144], v[16:17]
	v_mul_f64_e32 v[16:17], v[145:146], v[16:17]
	v_add_f64_e32 v[38:39], v[133:134], v[38:39]
	v_add_f64_e32 v[44:45], v[44:45], v[149:150]
	v_fma_f64 v[149:150], v[4:5], v[10:11], v[151:152]
	v_fma_f64 v[151:152], v[2:3], v[10:11], -v[12:13]
	ds_load_b128 v[2:5], v1 offset:960
	scratch_load_b128 v[10:13], off, off offset:448
	v_fma_f64 v[145:146], v[145:146], v[14:15], v[147:148]
	v_fma_f64 v[143:144], v[143:144], v[14:15], -v[16:17]
	scratch_load_b128 v[14:17], off, off offset:464
	v_add_f64_e32 v[38:39], v[38:39], v[135:136]
	v_add_f64_e32 v[44:45], v[44:45], v[137:138]
	ds_load_b128 v[133:136], v1 offset:976
	s_wait_loadcnt_dscnt 0x901
	v_mul_f64_e32 v[137:138], v[2:3], v[20:21]
	v_mul_f64_e32 v[20:21], v[4:5], v[20:21]
	s_wait_loadcnt_dscnt 0x800
	v_mul_f64_e32 v[147:148], v[133:134], v[24:25]
	v_mul_f64_e32 v[24:25], v[135:136], v[24:25]
	v_add_f64_e32 v[38:39], v[38:39], v[151:152]
	v_add_f64_e32 v[44:45], v[44:45], v[149:150]
	v_fma_f64 v[137:138], v[4:5], v[18:19], v[137:138]
	v_fma_f64 v[149:150], v[2:3], v[18:19], -v[20:21]
	ds_load_b128 v[2:5], v1 offset:992
	scratch_load_b128 v[18:21], off, off offset:480
	v_fma_f64 v[135:136], v[135:136], v[22:23], v[147:148]
	v_fma_f64 v[133:134], v[133:134], v[22:23], -v[24:25]
	scratch_load_b128 v[22:25], off, off offset:496
	v_add_f64_e32 v[38:39], v[38:39], v[143:144]
	v_add_f64_e32 v[44:45], v[44:45], v[145:146]
	ds_load_b128 v[143:146], v1 offset:1008
	s_wait_loadcnt_dscnt 0x901
	v_mul_f64_e32 v[151:152], v[2:3], v[28:29]
	v_mul_f64_e32 v[28:29], v[4:5], v[28:29]
	v_add_f64_e32 v[38:39], v[38:39], v[149:150]
	v_add_f64_e32 v[44:45], v[44:45], v[137:138]
	s_wait_loadcnt_dscnt 0x800
	v_mul_f64_e32 v[137:138], v[143:144], v[32:33]
	v_mul_f64_e32 v[32:33], v[145:146], v[32:33]
	v_fma_f64 v[147:148], v[4:5], v[26:27], v[151:152]
	v_fma_f64 v[149:150], v[2:3], v[26:27], -v[28:29]
	ds_load_b128 v[2:5], v1 offset:1024
	scratch_load_b128 v[26:29], off, off offset:512
	v_add_f64_e32 v[38:39], v[38:39], v[133:134]
	v_add_f64_e32 v[44:45], v[44:45], v[135:136]
	ds_load_b128 v[133:136], v1 offset:1040
	s_wait_loadcnt_dscnt 0x801
	v_mul_f64_e32 v[151:152], v[2:3], v[36:37]
	v_mul_f64_e32 v[36:37], v[4:5], v[36:37]
	v_fma_f64 v[137:138], v[145:146], v[30:31], v[137:138]
	v_fma_f64 v[143:144], v[143:144], v[30:31], -v[32:33]
	scratch_load_b128 v[30:33], off, off offset:528
	s_wait_loadcnt_dscnt 0x800
	v_mul_f64_e32 v[145:146], v[133:134], v[42:43]
	v_add_f64_e32 v[38:39], v[38:39], v[149:150]
	v_add_f64_e32 v[44:45], v[44:45], v[147:148]
	v_mul_f64_e32 v[147:148], v[135:136], v[42:43]
	v_fma_f64 v[149:150], v[4:5], v[34:35], v[151:152]
	v_fma_f64 v[151:152], v[2:3], v[34:35], -v[36:37]
	ds_load_b128 v[2:5], v1 offset:1056
	scratch_load_b128 v[34:37], off, off offset:544
	v_fma_f64 v[135:136], v[135:136], v[40:41], v[145:146]
	v_add_f64_e32 v[38:39], v[38:39], v[143:144]
	v_add_f64_e32 v[137:138], v[44:45], v[137:138]
	ds_load_b128 v[42:45], v1 offset:1072
	v_fma_f64 v[133:134], v[133:134], v[40:41], -v[147:148]
	s_wait_loadcnt_dscnt 0x701
	v_mul_f64_e32 v[143:144], v[2:3], v[141:142]
	v_mul_f64_e32 v[141:142], v[4:5], v[141:142]
	s_wait_dscnt 0x0
	v_mul_f64_e32 v[147:148], v[42:43], v[8:9]
	v_mul_f64_e32 v[8:9], v[44:45], v[8:9]
	v_add_f64_e32 v[145:146], v[38:39], v[151:152]
	v_add_f64_e32 v[137:138], v[137:138], v[149:150]
	scratch_load_b128 v[38:41], off, off offset:560
	v_fma_f64 v[143:144], v[4:5], v[139:140], v[143:144]
	v_fma_f64 v[141:142], v[2:3], v[139:140], -v[141:142]
	ds_load_b128 v[2:5], v1 offset:1088
	v_fma_f64 v[44:45], v[44:45], v[6:7], v[147:148]
	v_fma_f64 v[42:43], v[42:43], v[6:7], -v[8:9]
	scratch_load_b128 v[6:9], off, off offset:592
	v_add_f64_e32 v[145:146], v[145:146], v[133:134]
	v_add_f64_e32 v[149:150], v[137:138], v[135:136]
	scratch_load_b128 v[133:136], off, off offset:576
	ds_load_b128 v[137:140], v1 offset:1104
	s_wait_loadcnt_dscnt 0x901
	v_mul_f64_e32 v[151:152], v[2:3], v[12:13]
	v_mul_f64_e32 v[12:13], v[4:5], v[12:13]
	v_add_f64_e32 v[141:142], v[145:146], v[141:142]
	v_add_f64_e32 v[143:144], v[149:150], v[143:144]
	s_wait_loadcnt_dscnt 0x800
	v_mul_f64_e32 v[145:146], v[137:138], v[16:17]
	v_mul_f64_e32 v[16:17], v[139:140], v[16:17]
	v_fma_f64 v[147:148], v[4:5], v[10:11], v[151:152]
	v_fma_f64 v[149:150], v[2:3], v[10:11], -v[12:13]
	ds_load_b128 v[2:5], v1 offset:1120
	scratch_load_b128 v[10:13], off, off offset:608
	v_add_f64_e32 v[141:142], v[141:142], v[42:43]
	v_add_f64_e32 v[143:144], v[143:144], v[44:45]
	ds_load_b128 v[42:45], v1 offset:1136
	s_wait_loadcnt_dscnt 0x801
	v_mul_f64_e32 v[151:152], v[2:3], v[20:21]
	v_mul_f64_e32 v[20:21], v[4:5], v[20:21]
	v_fma_f64 v[139:140], v[139:140], v[14:15], v[145:146]
	v_fma_f64 v[137:138], v[137:138], v[14:15], -v[16:17]
	scratch_load_b128 v[14:17], off, off offset:624
	s_wait_loadcnt_dscnt 0x800
	v_mul_f64_e32 v[145:146], v[42:43], v[24:25]
	v_mul_f64_e32 v[24:25], v[44:45], v[24:25]
	v_add_f64_e32 v[141:142], v[141:142], v[149:150]
	v_add_f64_e32 v[143:144], v[143:144], v[147:148]
	v_fma_f64 v[147:148], v[4:5], v[18:19], v[151:152]
	v_fma_f64 v[149:150], v[2:3], v[18:19], -v[20:21]
	ds_load_b128 v[2:5], v1 offset:1152
	scratch_load_b128 v[18:21], off, off offset:640
	v_fma_f64 v[44:45], v[44:45], v[22:23], v[145:146]
	v_fma_f64 v[42:43], v[42:43], v[22:23], -v[24:25]
	scratch_load_b128 v[22:25], off, off offset:656
	v_add_f64_e32 v[141:142], v[141:142], v[137:138]
	v_add_f64_e32 v[143:144], v[143:144], v[139:140]
	ds_load_b128 v[137:140], v1 offset:1168
	s_wait_loadcnt_dscnt 0x901
	v_mul_f64_e32 v[151:152], v[2:3], v[28:29]
	v_mul_f64_e32 v[28:29], v[4:5], v[28:29]
	s_wait_loadcnt_dscnt 0x800
	v_mul_f64_e32 v[145:146], v[137:138], v[32:33]
	v_mul_f64_e32 v[32:33], v[139:140], v[32:33]
	v_add_f64_e32 v[141:142], v[141:142], v[149:150]
	v_add_f64_e32 v[143:144], v[143:144], v[147:148]
	v_fma_f64 v[147:148], v[4:5], v[26:27], v[151:152]
	v_fma_f64 v[149:150], v[2:3], v[26:27], -v[28:29]
	ds_load_b128 v[2:5], v1 offset:1184
	ds_load_b128 v[26:29], v1 offset:1200
	v_fma_f64 v[139:140], v[139:140], v[30:31], v[145:146]
	v_fma_f64 v[30:31], v[137:138], v[30:31], -v[32:33]
	v_add_f64_e32 v[42:43], v[141:142], v[42:43]
	v_add_f64_e32 v[44:45], v[143:144], v[44:45]
	s_wait_loadcnt_dscnt 0x701
	v_mul_f64_e32 v[141:142], v[2:3], v[36:37]
	v_mul_f64_e32 v[36:37], v[4:5], v[36:37]
	s_delay_alu instid0(VALU_DEP_4) | instskip(NEXT) | instid1(VALU_DEP_4)
	v_add_f64_e32 v[32:33], v[42:43], v[149:150]
	v_add_f64_e32 v[42:43], v[44:45], v[147:148]
	s_delay_alu instid0(VALU_DEP_4) | instskip(NEXT) | instid1(VALU_DEP_4)
	v_fma_f64 v[137:138], v[4:5], v[34:35], v[141:142]
	v_fma_f64 v[34:35], v[2:3], v[34:35], -v[36:37]
	s_wait_loadcnt_dscnt 0x600
	v_mul_f64_e32 v[44:45], v[26:27], v[40:41]
	v_mul_f64_e32 v[40:41], v[28:29], v[40:41]
	v_add_f64_e32 v[36:37], v[32:33], v[30:31]
	v_add_f64_e32 v[42:43], v[42:43], v[139:140]
	ds_load_b128 v[2:5], v1 offset:1216
	ds_load_b128 v[30:33], v1 offset:1232
	v_fma_f64 v[28:29], v[28:29], v[38:39], v[44:45]
	v_fma_f64 v[26:27], v[26:27], v[38:39], -v[40:41]
	s_wait_loadcnt_dscnt 0x401
	v_mul_f64_e32 v[139:140], v[2:3], v[135:136]
	v_mul_f64_e32 v[135:136], v[4:5], v[135:136]
	s_wait_dscnt 0x0
	v_mul_f64_e32 v[38:39], v[30:31], v[8:9]
	v_mul_f64_e32 v[8:9], v[32:33], v[8:9]
	v_add_f64_e32 v[34:35], v[36:37], v[34:35]
	v_add_f64_e32 v[36:37], v[42:43], v[137:138]
	v_fma_f64 v[40:41], v[4:5], v[133:134], v[139:140]
	v_fma_f64 v[42:43], v[2:3], v[133:134], -v[135:136]
	v_fma_f64 v[32:33], v[32:33], v[6:7], v[38:39]
	v_fma_f64 v[6:7], v[30:31], v[6:7], -v[8:9]
	v_add_f64_e32 v[34:35], v[34:35], v[26:27]
	v_add_f64_e32 v[36:37], v[36:37], v[28:29]
	ds_load_b128 v[2:5], v1 offset:1248
	ds_load_b128 v[26:29], v1 offset:1264
	s_wait_loadcnt_dscnt 0x301
	v_mul_f64_e32 v[44:45], v[2:3], v[12:13]
	v_mul_f64_e32 v[12:13], v[4:5], v[12:13]
	v_add_f64_e32 v[8:9], v[34:35], v[42:43]
	v_add_f64_e32 v[30:31], v[36:37], v[40:41]
	s_wait_loadcnt_dscnt 0x200
	v_mul_f64_e32 v[34:35], v[26:27], v[16:17]
	v_mul_f64_e32 v[16:17], v[28:29], v[16:17]
	v_fma_f64 v[36:37], v[4:5], v[10:11], v[44:45]
	v_fma_f64 v[10:11], v[2:3], v[10:11], -v[12:13]
	v_add_f64_e32 v[12:13], v[8:9], v[6:7]
	v_add_f64_e32 v[30:31], v[30:31], v[32:33]
	ds_load_b128 v[2:5], v1 offset:1280
	ds_load_b128 v[6:9], v1 offset:1296
	v_fma_f64 v[28:29], v[28:29], v[14:15], v[34:35]
	v_fma_f64 v[14:15], v[26:27], v[14:15], -v[16:17]
	s_wait_loadcnt_dscnt 0x101
	v_mul_f64_e32 v[32:33], v[2:3], v[20:21]
	v_mul_f64_e32 v[20:21], v[4:5], v[20:21]
	s_wait_loadcnt_dscnt 0x0
	v_mul_f64_e32 v[16:17], v[6:7], v[24:25]
	v_mul_f64_e32 v[24:25], v[8:9], v[24:25]
	v_add_f64_e32 v[10:11], v[12:13], v[10:11]
	v_add_f64_e32 v[12:13], v[30:31], v[36:37]
	v_fma_f64 v[4:5], v[4:5], v[18:19], v[32:33]
	v_fma_f64 v[1:2], v[2:3], v[18:19], -v[20:21]
	v_fma_f64 v[8:9], v[8:9], v[22:23], v[16:17]
	v_fma_f64 v[6:7], v[6:7], v[22:23], -v[24:25]
	v_add_f64_e32 v[10:11], v[10:11], v[14:15]
	v_add_f64_e32 v[12:13], v[12:13], v[28:29]
	s_delay_alu instid0(VALU_DEP_2) | instskip(NEXT) | instid1(VALU_DEP_2)
	v_add_f64_e32 v[1:2], v[10:11], v[1:2]
	v_add_f64_e32 v[3:4], v[12:13], v[4:5]
	s_delay_alu instid0(VALU_DEP_2) | instskip(NEXT) | instid1(VALU_DEP_2)
	;; [unrolled: 3-line block ×3, first 2 shown]
	v_add_f64_e64 v[1:2], v[129:130], -v[1:2]
	v_add_f64_e64 v[3:4], v[131:132], -v[3:4]
	scratch_store_b128 off, v[1:4], off offset:80
	v_cmpx_lt_u32_e32 3, v0
	s_cbranch_execz .LBB40_253
; %bb.252:
	scratch_load_b128 v[1:4], off, s10
	v_mov_b32_e32 v5, 0
	s_delay_alu instid0(VALU_DEP_1)
	v_dual_mov_b32 v6, v5 :: v_dual_mov_b32 v7, v5
	v_mov_b32_e32 v8, v5
	scratch_store_b128 off, v[5:8], off offset:64
	s_wait_loadcnt 0x0
	ds_store_b128 v128, v[1:4]
.LBB40_253:
	s_wait_alu 0xfffe
	s_or_b32 exec_lo, exec_lo, s0
	s_wait_storecnt_dscnt 0x0
	s_barrier_signal -1
	s_barrier_wait -1
	global_inv scope:SCOPE_SE
	s_clause 0x7
	scratch_load_b128 v[2:5], off, off offset:80
	scratch_load_b128 v[6:9], off, off offset:96
	;; [unrolled: 1-line block ×8, first 2 shown]
	v_mov_b32_e32 v1, 0
	s_mov_b32 s0, exec_lo
	ds_load_b128 v[38:41], v1 offset:720
	s_clause 0x1
	scratch_load_b128 v[34:37], off, off offset:208
	scratch_load_b128 v[42:45], off, off offset:64
	ds_load_b128 v[129:132], v1 offset:736
	scratch_load_b128 v[133:136], off, off offset:224
	s_wait_loadcnt_dscnt 0xa01
	v_mul_f64_e32 v[137:138], v[40:41], v[4:5]
	v_mul_f64_e32 v[4:5], v[38:39], v[4:5]
	s_delay_alu instid0(VALU_DEP_2) | instskip(NEXT) | instid1(VALU_DEP_2)
	v_fma_f64 v[143:144], v[38:39], v[2:3], -v[137:138]
	v_fma_f64 v[145:146], v[40:41], v[2:3], v[4:5]
	ds_load_b128 v[2:5], v1 offset:752
	s_wait_loadcnt_dscnt 0x901
	v_mul_f64_e32 v[141:142], v[129:130], v[8:9]
	v_mul_f64_e32 v[8:9], v[131:132], v[8:9]
	scratch_load_b128 v[38:41], off, off offset:240
	ds_load_b128 v[137:140], v1 offset:768
	s_wait_loadcnt_dscnt 0x901
	v_mul_f64_e32 v[147:148], v[2:3], v[12:13]
	v_mul_f64_e32 v[12:13], v[4:5], v[12:13]
	v_fma_f64 v[131:132], v[131:132], v[6:7], v[141:142]
	v_fma_f64 v[129:130], v[129:130], v[6:7], -v[8:9]
	v_add_f64_e32 v[141:142], 0, v[143:144]
	v_add_f64_e32 v[143:144], 0, v[145:146]
	scratch_load_b128 v[6:9], off, off offset:256
	v_fma_f64 v[147:148], v[4:5], v[10:11], v[147:148]
	v_fma_f64 v[149:150], v[2:3], v[10:11], -v[12:13]
	ds_load_b128 v[2:5], v1 offset:784
	s_wait_loadcnt_dscnt 0x901
	v_mul_f64_e32 v[145:146], v[137:138], v[16:17]
	v_mul_f64_e32 v[16:17], v[139:140], v[16:17]
	scratch_load_b128 v[10:13], off, off offset:272
	v_add_f64_e32 v[141:142], v[141:142], v[129:130]
	v_add_f64_e32 v[143:144], v[143:144], v[131:132]
	s_wait_loadcnt_dscnt 0x900
	v_mul_f64_e32 v[151:152], v[2:3], v[20:21]
	v_mul_f64_e32 v[20:21], v[4:5], v[20:21]
	ds_load_b128 v[129:132], v1 offset:800
	v_fma_f64 v[139:140], v[139:140], v[14:15], v[145:146]
	v_fma_f64 v[137:138], v[137:138], v[14:15], -v[16:17]
	scratch_load_b128 v[14:17], off, off offset:288
	v_add_f64_e32 v[141:142], v[141:142], v[149:150]
	v_add_f64_e32 v[143:144], v[143:144], v[147:148]
	v_fma_f64 v[147:148], v[4:5], v[18:19], v[151:152]
	v_fma_f64 v[149:150], v[2:3], v[18:19], -v[20:21]
	ds_load_b128 v[2:5], v1 offset:816
	s_wait_loadcnt_dscnt 0x901
	v_mul_f64_e32 v[145:146], v[129:130], v[24:25]
	v_mul_f64_e32 v[24:25], v[131:132], v[24:25]
	scratch_load_b128 v[18:21], off, off offset:304
	s_wait_loadcnt_dscnt 0x900
	v_mul_f64_e32 v[151:152], v[2:3], v[28:29]
	v_mul_f64_e32 v[28:29], v[4:5], v[28:29]
	v_add_f64_e32 v[141:142], v[141:142], v[137:138]
	v_add_f64_e32 v[143:144], v[143:144], v[139:140]
	ds_load_b128 v[137:140], v1 offset:832
	v_fma_f64 v[131:132], v[131:132], v[22:23], v[145:146]
	v_fma_f64 v[129:130], v[129:130], v[22:23], -v[24:25]
	scratch_load_b128 v[22:25], off, off offset:320
	v_add_f64_e32 v[141:142], v[141:142], v[149:150]
	v_add_f64_e32 v[143:144], v[143:144], v[147:148]
	v_fma_f64 v[147:148], v[4:5], v[26:27], v[151:152]
	v_fma_f64 v[149:150], v[2:3], v[26:27], -v[28:29]
	ds_load_b128 v[2:5], v1 offset:848
	s_wait_loadcnt_dscnt 0x901
	v_mul_f64_e32 v[145:146], v[137:138], v[32:33]
	v_mul_f64_e32 v[32:33], v[139:140], v[32:33]
	scratch_load_b128 v[26:29], off, off offset:336
	s_wait_loadcnt_dscnt 0x900
	v_mul_f64_e32 v[151:152], v[2:3], v[36:37]
	v_mul_f64_e32 v[36:37], v[4:5], v[36:37]
	v_add_f64_e32 v[141:142], v[141:142], v[129:130]
	v_add_f64_e32 v[143:144], v[143:144], v[131:132]
	ds_load_b128 v[129:132], v1 offset:864
	v_fma_f64 v[139:140], v[139:140], v[30:31], v[145:146]
	v_fma_f64 v[137:138], v[137:138], v[30:31], -v[32:33]
	scratch_load_b128 v[30:33], off, off offset:352
	v_add_f64_e32 v[141:142], v[141:142], v[149:150]
	v_add_f64_e32 v[143:144], v[143:144], v[147:148]
	v_fma_f64 v[149:150], v[4:5], v[34:35], v[151:152]
	v_fma_f64 v[151:152], v[2:3], v[34:35], -v[36:37]
	ds_load_b128 v[2:5], v1 offset:880
	s_wait_loadcnt_dscnt 0x801
	v_mul_f64_e32 v[145:146], v[129:130], v[135:136]
	v_mul_f64_e32 v[147:148], v[131:132], v[135:136]
	scratch_load_b128 v[34:37], off, off offset:368
	v_add_f64_e32 v[141:142], v[141:142], v[137:138]
	v_add_f64_e32 v[139:140], v[143:144], v[139:140]
	ds_load_b128 v[135:138], v1 offset:896
	v_fma_f64 v[145:146], v[131:132], v[133:134], v[145:146]
	v_fma_f64 v[133:134], v[129:130], v[133:134], -v[147:148]
	scratch_load_b128 v[129:132], off, off offset:384
	s_wait_loadcnt_dscnt 0x901
	v_mul_f64_e32 v[143:144], v[2:3], v[40:41]
	v_mul_f64_e32 v[40:41], v[4:5], v[40:41]
	v_add_f64_e32 v[141:142], v[141:142], v[151:152]
	v_add_f64_e32 v[139:140], v[139:140], v[149:150]
	s_delay_alu instid0(VALU_DEP_4) | instskip(NEXT) | instid1(VALU_DEP_4)
	v_fma_f64 v[143:144], v[4:5], v[38:39], v[143:144]
	v_fma_f64 v[149:150], v[2:3], v[38:39], -v[40:41]
	ds_load_b128 v[2:5], v1 offset:912
	s_wait_loadcnt_dscnt 0x801
	v_mul_f64_e32 v[147:148], v[135:136], v[8:9]
	v_mul_f64_e32 v[8:9], v[137:138], v[8:9]
	scratch_load_b128 v[38:41], off, off offset:400
	s_wait_loadcnt_dscnt 0x800
	v_mul_f64_e32 v[151:152], v[2:3], v[12:13]
	v_add_f64_e32 v[133:134], v[141:142], v[133:134]
	v_add_f64_e32 v[145:146], v[139:140], v[145:146]
	v_mul_f64_e32 v[12:13], v[4:5], v[12:13]
	ds_load_b128 v[139:142], v1 offset:928
	v_fma_f64 v[137:138], v[137:138], v[6:7], v[147:148]
	v_fma_f64 v[135:136], v[135:136], v[6:7], -v[8:9]
	scratch_load_b128 v[6:9], off, off offset:416
	v_fma_f64 v[147:148], v[4:5], v[10:11], v[151:152]
	v_add_f64_e32 v[133:134], v[133:134], v[149:150]
	v_add_f64_e32 v[143:144], v[145:146], v[143:144]
	v_fma_f64 v[149:150], v[2:3], v[10:11], -v[12:13]
	ds_load_b128 v[2:5], v1 offset:944
	s_wait_loadcnt_dscnt 0x801
	v_mul_f64_e32 v[145:146], v[139:140], v[16:17]
	v_mul_f64_e32 v[16:17], v[141:142], v[16:17]
	scratch_load_b128 v[10:13], off, off offset:432
	v_add_f64_e32 v[151:152], v[133:134], v[135:136]
	v_add_f64_e32 v[137:138], v[143:144], v[137:138]
	s_wait_loadcnt_dscnt 0x800
	v_mul_f64_e32 v[143:144], v[2:3], v[20:21]
	v_mul_f64_e32 v[20:21], v[4:5], v[20:21]
	v_fma_f64 v[141:142], v[141:142], v[14:15], v[145:146]
	v_fma_f64 v[139:140], v[139:140], v[14:15], -v[16:17]
	ds_load_b128 v[133:136], v1 offset:960
	scratch_load_b128 v[14:17], off, off offset:448
	v_add_f64_e32 v[145:146], v[151:152], v[149:150]
	v_add_f64_e32 v[137:138], v[137:138], v[147:148]
	v_fma_f64 v[143:144], v[4:5], v[18:19], v[143:144]
	v_fma_f64 v[149:150], v[2:3], v[18:19], -v[20:21]
	ds_load_b128 v[2:5], v1 offset:976
	s_wait_loadcnt_dscnt 0x801
	v_mul_f64_e32 v[147:148], v[133:134], v[24:25]
	v_mul_f64_e32 v[24:25], v[135:136], v[24:25]
	scratch_load_b128 v[18:21], off, off offset:464
	s_wait_loadcnt_dscnt 0x800
	v_mul_f64_e32 v[151:152], v[2:3], v[28:29]
	v_mul_f64_e32 v[28:29], v[4:5], v[28:29]
	v_add_f64_e32 v[145:146], v[145:146], v[139:140]
	v_add_f64_e32 v[141:142], v[137:138], v[141:142]
	ds_load_b128 v[137:140], v1 offset:992
	v_fma_f64 v[135:136], v[135:136], v[22:23], v[147:148]
	v_fma_f64 v[133:134], v[133:134], v[22:23], -v[24:25]
	scratch_load_b128 v[22:25], off, off offset:480
	v_fma_f64 v[147:148], v[4:5], v[26:27], v[151:152]
	v_add_f64_e32 v[145:146], v[145:146], v[149:150]
	v_add_f64_e32 v[141:142], v[141:142], v[143:144]
	v_fma_f64 v[149:150], v[2:3], v[26:27], -v[28:29]
	ds_load_b128 v[2:5], v1 offset:1008
	s_wait_loadcnt_dscnt 0x801
	v_mul_f64_e32 v[143:144], v[137:138], v[32:33]
	v_mul_f64_e32 v[32:33], v[139:140], v[32:33]
	scratch_load_b128 v[26:29], off, off offset:496
	s_wait_loadcnt_dscnt 0x800
	v_mul_f64_e32 v[151:152], v[2:3], v[36:37]
	v_mul_f64_e32 v[36:37], v[4:5], v[36:37]
	v_add_f64_e32 v[145:146], v[145:146], v[133:134]
	v_add_f64_e32 v[141:142], v[141:142], v[135:136]
	ds_load_b128 v[133:136], v1 offset:1024
	v_fma_f64 v[139:140], v[139:140], v[30:31], v[143:144]
	v_fma_f64 v[137:138], v[137:138], v[30:31], -v[32:33]
	scratch_load_b128 v[30:33], off, off offset:512
	v_add_f64_e32 v[143:144], v[145:146], v[149:150]
	v_add_f64_e32 v[141:142], v[141:142], v[147:148]
	v_fma_f64 v[147:148], v[4:5], v[34:35], v[151:152]
	v_fma_f64 v[149:150], v[2:3], v[34:35], -v[36:37]
	ds_load_b128 v[2:5], v1 offset:1040
	s_wait_loadcnt_dscnt 0x801
	v_mul_f64_e32 v[145:146], v[133:134], v[131:132]
	v_mul_f64_e32 v[131:132], v[135:136], v[131:132]
	scratch_load_b128 v[34:37], off, off offset:528
	s_wait_loadcnt_dscnt 0x800
	v_mul_f64_e32 v[151:152], v[2:3], v[40:41]
	v_mul_f64_e32 v[40:41], v[4:5], v[40:41]
	v_add_f64_e32 v[143:144], v[143:144], v[137:138]
	v_add_f64_e32 v[141:142], v[141:142], v[139:140]
	ds_load_b128 v[137:140], v1 offset:1056
	v_fma_f64 v[135:136], v[135:136], v[129:130], v[145:146]
	v_fma_f64 v[133:134], v[133:134], v[129:130], -v[131:132]
	scratch_load_b128 v[129:132], off, off offset:544
	v_add_f64_e32 v[143:144], v[143:144], v[149:150]
	v_add_f64_e32 v[141:142], v[141:142], v[147:148]
	v_fma_f64 v[147:148], v[4:5], v[38:39], v[151:152]
	;; [unrolled: 18-line block ×5, first 2 shown]
	v_fma_f64 v[149:150], v[2:3], v[26:27], -v[28:29]
	ds_load_b128 v[2:5], v1 offset:1168
	s_wait_loadcnt_dscnt 0x801
	v_mul_f64_e32 v[145:146], v[133:134], v[32:33]
	v_mul_f64_e32 v[32:33], v[135:136], v[32:33]
	scratch_load_b128 v[26:29], off, off offset:656
	s_wait_loadcnt_dscnt 0x800
	v_mul_f64_e32 v[151:152], v[2:3], v[36:37]
	v_mul_f64_e32 v[36:37], v[4:5], v[36:37]
	v_add_f64_e32 v[143:144], v[143:144], v[137:138]
	v_add_f64_e32 v[141:142], v[141:142], v[139:140]
	ds_load_b128 v[137:140], v1 offset:1184
	v_fma_f64 v[135:136], v[135:136], v[30:31], v[145:146]
	v_fma_f64 v[30:31], v[133:134], v[30:31], -v[32:33]
	v_add_f64_e32 v[32:33], v[143:144], v[149:150]
	v_add_f64_e32 v[133:134], v[141:142], v[147:148]
	s_wait_loadcnt_dscnt 0x700
	v_mul_f64_e32 v[141:142], v[137:138], v[131:132]
	v_mul_f64_e32 v[131:132], v[139:140], v[131:132]
	v_fma_f64 v[143:144], v[4:5], v[34:35], v[151:152]
	v_fma_f64 v[34:35], v[2:3], v[34:35], -v[36:37]
	v_add_f64_e32 v[36:37], v[32:33], v[30:31]
	v_add_f64_e32 v[133:134], v[133:134], v[135:136]
	ds_load_b128 v[2:5], v1 offset:1200
	ds_load_b128 v[30:33], v1 offset:1216
	v_fma_f64 v[139:140], v[139:140], v[129:130], v[141:142]
	v_fma_f64 v[129:130], v[137:138], v[129:130], -v[131:132]
	s_wait_loadcnt_dscnt 0x601
	v_mul_f64_e32 v[135:136], v[2:3], v[40:41]
	v_mul_f64_e32 v[40:41], v[4:5], v[40:41]
	s_wait_loadcnt_dscnt 0x500
	v_mul_f64_e32 v[131:132], v[30:31], v[8:9]
	v_mul_f64_e32 v[8:9], v[32:33], v[8:9]
	v_add_f64_e32 v[34:35], v[36:37], v[34:35]
	v_add_f64_e32 v[36:37], v[133:134], v[143:144]
	v_fma_f64 v[133:134], v[4:5], v[38:39], v[135:136]
	v_fma_f64 v[38:39], v[2:3], v[38:39], -v[40:41]
	v_fma_f64 v[32:33], v[32:33], v[6:7], v[131:132]
	v_fma_f64 v[6:7], v[30:31], v[6:7], -v[8:9]
	v_add_f64_e32 v[40:41], v[34:35], v[129:130]
	v_add_f64_e32 v[129:130], v[36:37], v[139:140]
	ds_load_b128 v[2:5], v1 offset:1232
	ds_load_b128 v[34:37], v1 offset:1248
	s_wait_loadcnt_dscnt 0x401
	v_mul_f64_e32 v[135:136], v[2:3], v[12:13]
	v_mul_f64_e32 v[12:13], v[4:5], v[12:13]
	v_add_f64_e32 v[8:9], v[40:41], v[38:39]
	v_add_f64_e32 v[30:31], v[129:130], v[133:134]
	s_wait_loadcnt_dscnt 0x300
	v_mul_f64_e32 v[38:39], v[34:35], v[16:17]
	v_mul_f64_e32 v[16:17], v[36:37], v[16:17]
	v_fma_f64 v[40:41], v[4:5], v[10:11], v[135:136]
	v_fma_f64 v[10:11], v[2:3], v[10:11], -v[12:13]
	v_add_f64_e32 v[12:13], v[8:9], v[6:7]
	v_add_f64_e32 v[30:31], v[30:31], v[32:33]
	ds_load_b128 v[2:5], v1 offset:1264
	ds_load_b128 v[6:9], v1 offset:1280
	v_fma_f64 v[36:37], v[36:37], v[14:15], v[38:39]
	v_fma_f64 v[14:15], v[34:35], v[14:15], -v[16:17]
	s_wait_loadcnt_dscnt 0x201
	v_mul_f64_e32 v[32:33], v[2:3], v[20:21]
	v_mul_f64_e32 v[20:21], v[4:5], v[20:21]
	s_wait_loadcnt_dscnt 0x100
	v_mul_f64_e32 v[16:17], v[6:7], v[24:25]
	v_mul_f64_e32 v[24:25], v[8:9], v[24:25]
	v_add_f64_e32 v[10:11], v[12:13], v[10:11]
	v_add_f64_e32 v[12:13], v[30:31], v[40:41]
	v_fma_f64 v[30:31], v[4:5], v[18:19], v[32:33]
	v_fma_f64 v[18:19], v[2:3], v[18:19], -v[20:21]
	ds_load_b128 v[2:5], v1 offset:1296
	v_fma_f64 v[8:9], v[8:9], v[22:23], v[16:17]
	v_fma_f64 v[6:7], v[6:7], v[22:23], -v[24:25]
	v_add_f64_e32 v[10:11], v[10:11], v[14:15]
	v_add_f64_e32 v[12:13], v[12:13], v[36:37]
	s_wait_loadcnt_dscnt 0x0
	v_mul_f64_e32 v[14:15], v[2:3], v[28:29]
	v_mul_f64_e32 v[20:21], v[4:5], v[28:29]
	s_delay_alu instid0(VALU_DEP_4) | instskip(NEXT) | instid1(VALU_DEP_4)
	v_add_f64_e32 v[10:11], v[10:11], v[18:19]
	v_add_f64_e32 v[12:13], v[12:13], v[30:31]
	s_delay_alu instid0(VALU_DEP_4) | instskip(NEXT) | instid1(VALU_DEP_4)
	v_fma_f64 v[4:5], v[4:5], v[26:27], v[14:15]
	v_fma_f64 v[2:3], v[2:3], v[26:27], -v[20:21]
	s_delay_alu instid0(VALU_DEP_4) | instskip(NEXT) | instid1(VALU_DEP_4)
	v_add_f64_e32 v[6:7], v[10:11], v[6:7]
	v_add_f64_e32 v[8:9], v[12:13], v[8:9]
	s_delay_alu instid0(VALU_DEP_2) | instskip(NEXT) | instid1(VALU_DEP_2)
	v_add_f64_e32 v[2:3], v[6:7], v[2:3]
	v_add_f64_e32 v[4:5], v[8:9], v[4:5]
	s_delay_alu instid0(VALU_DEP_2) | instskip(NEXT) | instid1(VALU_DEP_2)
	v_add_f64_e64 v[2:3], v[42:43], -v[2:3]
	v_add_f64_e64 v[4:5], v[44:45], -v[4:5]
	scratch_store_b128 off, v[2:5], off offset:64
	v_cmpx_lt_u32_e32 2, v0
	s_cbranch_execz .LBB40_255
; %bb.254:
	scratch_load_b128 v[5:8], off, s12
	v_dual_mov_b32 v2, v1 :: v_dual_mov_b32 v3, v1
	v_mov_b32_e32 v4, v1
	scratch_store_b128 off, v[1:4], off offset:48
	s_wait_loadcnt 0x0
	ds_store_b128 v128, v[5:8]
.LBB40_255:
	s_wait_alu 0xfffe
	s_or_b32 exec_lo, exec_lo, s0
	s_wait_storecnt_dscnt 0x0
	s_barrier_signal -1
	s_barrier_wait -1
	global_inv scope:SCOPE_SE
	s_clause 0x8
	scratch_load_b128 v[2:5], off, off offset:64
	scratch_load_b128 v[6:9], off, off offset:80
	;; [unrolled: 1-line block ×9, first 2 shown]
	ds_load_b128 v[42:45], v1 offset:704
	ds_load_b128 v[38:41], v1 offset:720
	s_clause 0x1
	scratch_load_b128 v[129:132], off, off offset:48
	scratch_load_b128 v[133:136], off, off offset:208
	s_mov_b32 s0, exec_lo
	s_wait_loadcnt_dscnt 0xa01
	v_mul_f64_e32 v[137:138], v[44:45], v[4:5]
	v_mul_f64_e32 v[4:5], v[42:43], v[4:5]
	s_wait_loadcnt_dscnt 0x900
	v_mul_f64_e32 v[141:142], v[38:39], v[8:9]
	v_mul_f64_e32 v[8:9], v[40:41], v[8:9]
	s_delay_alu instid0(VALU_DEP_4) | instskip(NEXT) | instid1(VALU_DEP_4)
	v_fma_f64 v[143:144], v[42:43], v[2:3], -v[137:138]
	v_fma_f64 v[145:146], v[44:45], v[2:3], v[4:5]
	ds_load_b128 v[2:5], v1 offset:736
	ds_load_b128 v[137:140], v1 offset:752
	scratch_load_b128 v[42:45], off, off offset:224
	v_fma_f64 v[40:41], v[40:41], v[6:7], v[141:142]
	v_fma_f64 v[38:39], v[38:39], v[6:7], -v[8:9]
	scratch_load_b128 v[6:9], off, off offset:240
	s_wait_loadcnt_dscnt 0xa01
	v_mul_f64_e32 v[147:148], v[2:3], v[12:13]
	v_mul_f64_e32 v[12:13], v[4:5], v[12:13]
	v_add_f64_e32 v[141:142], 0, v[143:144]
	v_add_f64_e32 v[143:144], 0, v[145:146]
	s_wait_loadcnt_dscnt 0x900
	v_mul_f64_e32 v[145:146], v[137:138], v[16:17]
	v_mul_f64_e32 v[16:17], v[139:140], v[16:17]
	v_fma_f64 v[147:148], v[4:5], v[10:11], v[147:148]
	v_fma_f64 v[149:150], v[2:3], v[10:11], -v[12:13]
	ds_load_b128 v[2:5], v1 offset:768
	scratch_load_b128 v[10:13], off, off offset:256
	v_add_f64_e32 v[141:142], v[141:142], v[38:39]
	v_add_f64_e32 v[143:144], v[143:144], v[40:41]
	ds_load_b128 v[38:41], v1 offset:784
	v_fma_f64 v[139:140], v[139:140], v[14:15], v[145:146]
	v_fma_f64 v[137:138], v[137:138], v[14:15], -v[16:17]
	scratch_load_b128 v[14:17], off, off offset:272
	s_wait_loadcnt_dscnt 0xa01
	v_mul_f64_e32 v[151:152], v[2:3], v[20:21]
	v_mul_f64_e32 v[20:21], v[4:5], v[20:21]
	s_wait_loadcnt_dscnt 0x900
	v_mul_f64_e32 v[145:146], v[38:39], v[24:25]
	v_mul_f64_e32 v[24:25], v[40:41], v[24:25]
	v_add_f64_e32 v[141:142], v[141:142], v[149:150]
	v_add_f64_e32 v[143:144], v[143:144], v[147:148]
	v_fma_f64 v[147:148], v[4:5], v[18:19], v[151:152]
	v_fma_f64 v[149:150], v[2:3], v[18:19], -v[20:21]
	ds_load_b128 v[2:5], v1 offset:800
	scratch_load_b128 v[18:21], off, off offset:288
	v_fma_f64 v[40:41], v[40:41], v[22:23], v[145:146]
	v_fma_f64 v[38:39], v[38:39], v[22:23], -v[24:25]
	scratch_load_b128 v[22:25], off, off offset:304
	v_add_f64_e32 v[141:142], v[141:142], v[137:138]
	v_add_f64_e32 v[143:144], v[143:144], v[139:140]
	ds_load_b128 v[137:140], v1 offset:816
	s_wait_loadcnt_dscnt 0xa01
	v_mul_f64_e32 v[151:152], v[2:3], v[28:29]
	v_mul_f64_e32 v[28:29], v[4:5], v[28:29]
	s_wait_loadcnt_dscnt 0x900
	v_mul_f64_e32 v[145:146], v[137:138], v[32:33]
	v_mul_f64_e32 v[32:33], v[139:140], v[32:33]
	v_add_f64_e32 v[141:142], v[141:142], v[149:150]
	v_add_f64_e32 v[143:144], v[143:144], v[147:148]
	v_fma_f64 v[147:148], v[4:5], v[26:27], v[151:152]
	v_fma_f64 v[149:150], v[2:3], v[26:27], -v[28:29]
	ds_load_b128 v[2:5], v1 offset:832
	scratch_load_b128 v[26:29], off, off offset:320
	v_fma_f64 v[139:140], v[139:140], v[30:31], v[145:146]
	v_fma_f64 v[137:138], v[137:138], v[30:31], -v[32:33]
	scratch_load_b128 v[30:33], off, off offset:336
	v_add_f64_e32 v[141:142], v[141:142], v[38:39]
	v_add_f64_e32 v[143:144], v[143:144], v[40:41]
	ds_load_b128 v[38:41], v1 offset:848
	s_wait_loadcnt_dscnt 0xa01
	v_mul_f64_e32 v[151:152], v[2:3], v[36:37]
	v_mul_f64_e32 v[36:37], v[4:5], v[36:37]
	s_wait_loadcnt_dscnt 0x800
	v_mul_f64_e32 v[145:146], v[38:39], v[135:136]
	v_add_f64_e32 v[141:142], v[141:142], v[149:150]
	v_add_f64_e32 v[143:144], v[143:144], v[147:148]
	v_mul_f64_e32 v[147:148], v[40:41], v[135:136]
	v_fma_f64 v[149:150], v[4:5], v[34:35], v[151:152]
	v_fma_f64 v[151:152], v[2:3], v[34:35], -v[36:37]
	ds_load_b128 v[2:5], v1 offset:864
	scratch_load_b128 v[34:37], off, off offset:352
	v_fma_f64 v[145:146], v[40:41], v[133:134], v[145:146]
	v_add_f64_e32 v[141:142], v[141:142], v[137:138]
	v_add_f64_e32 v[139:140], v[143:144], v[139:140]
	ds_load_b128 v[135:138], v1 offset:880
	v_fma_f64 v[133:134], v[38:39], v[133:134], -v[147:148]
	scratch_load_b128 v[38:41], off, off offset:368
	s_wait_loadcnt_dscnt 0x901
	v_mul_f64_e32 v[143:144], v[2:3], v[44:45]
	v_mul_f64_e32 v[44:45], v[4:5], v[44:45]
	s_wait_loadcnt_dscnt 0x800
	v_mul_f64_e32 v[147:148], v[135:136], v[8:9]
	v_mul_f64_e32 v[8:9], v[137:138], v[8:9]
	v_add_f64_e32 v[141:142], v[141:142], v[151:152]
	v_add_f64_e32 v[139:140], v[139:140], v[149:150]
	v_fma_f64 v[143:144], v[4:5], v[42:43], v[143:144]
	v_fma_f64 v[149:150], v[2:3], v[42:43], -v[44:45]
	ds_load_b128 v[2:5], v1 offset:896
	scratch_load_b128 v[42:45], off, off offset:384
	v_fma_f64 v[137:138], v[137:138], v[6:7], v[147:148]
	v_fma_f64 v[135:136], v[135:136], v[6:7], -v[8:9]
	scratch_load_b128 v[6:9], off, off offset:400
	v_add_f64_e32 v[133:134], v[141:142], v[133:134]
	v_add_f64_e32 v[145:146], v[139:140], v[145:146]
	ds_load_b128 v[139:142], v1 offset:912
	s_wait_loadcnt_dscnt 0x901
	v_mul_f64_e32 v[151:152], v[2:3], v[12:13]
	v_mul_f64_e32 v[12:13], v[4:5], v[12:13]
	v_add_f64_e32 v[133:134], v[133:134], v[149:150]
	v_add_f64_e32 v[143:144], v[145:146], v[143:144]
	s_wait_loadcnt_dscnt 0x800
	v_mul_f64_e32 v[145:146], v[139:140], v[16:17]
	v_mul_f64_e32 v[16:17], v[141:142], v[16:17]
	v_fma_f64 v[147:148], v[4:5], v[10:11], v[151:152]
	v_fma_f64 v[149:150], v[2:3], v[10:11], -v[12:13]
	ds_load_b128 v[2:5], v1 offset:928
	scratch_load_b128 v[10:13], off, off offset:416
	v_add_f64_e32 v[151:152], v[133:134], v[135:136]
	v_add_f64_e32 v[137:138], v[143:144], v[137:138]
	ds_load_b128 v[133:136], v1 offset:944
	s_wait_loadcnt_dscnt 0x801
	v_mul_f64_e32 v[143:144], v[2:3], v[20:21]
	v_mul_f64_e32 v[20:21], v[4:5], v[20:21]
	v_fma_f64 v[141:142], v[141:142], v[14:15], v[145:146]
	v_fma_f64 v[139:140], v[139:140], v[14:15], -v[16:17]
	scratch_load_b128 v[14:17], off, off offset:432
	v_add_f64_e32 v[145:146], v[151:152], v[149:150]
	v_add_f64_e32 v[137:138], v[137:138], v[147:148]
	s_wait_loadcnt_dscnt 0x800
	v_mul_f64_e32 v[147:148], v[133:134], v[24:25]
	v_mul_f64_e32 v[24:25], v[135:136], v[24:25]
	v_fma_f64 v[143:144], v[4:5], v[18:19], v[143:144]
	v_fma_f64 v[149:150], v[2:3], v[18:19], -v[20:21]
	ds_load_b128 v[2:5], v1 offset:960
	scratch_load_b128 v[18:21], off, off offset:448
	v_add_f64_e32 v[145:146], v[145:146], v[139:140]
	v_add_f64_e32 v[141:142], v[137:138], v[141:142]
	ds_load_b128 v[137:140], v1 offset:976
	s_wait_loadcnt_dscnt 0x801
	v_mul_f64_e32 v[151:152], v[2:3], v[28:29]
	v_mul_f64_e32 v[28:29], v[4:5], v[28:29]
	v_fma_f64 v[135:136], v[135:136], v[22:23], v[147:148]
	v_fma_f64 v[133:134], v[133:134], v[22:23], -v[24:25]
	scratch_load_b128 v[22:25], off, off offset:464
	v_add_f64_e32 v[145:146], v[145:146], v[149:150]
	v_add_f64_e32 v[141:142], v[141:142], v[143:144]
	s_wait_loadcnt_dscnt 0x800
	v_mul_f64_e32 v[143:144], v[137:138], v[32:33]
	v_mul_f64_e32 v[32:33], v[139:140], v[32:33]
	v_fma_f64 v[147:148], v[4:5], v[26:27], v[151:152]
	v_fma_f64 v[149:150], v[2:3], v[26:27], -v[28:29]
	ds_load_b128 v[2:5], v1 offset:992
	scratch_load_b128 v[26:29], off, off offset:480
	v_add_f64_e32 v[145:146], v[145:146], v[133:134]
	v_add_f64_e32 v[141:142], v[141:142], v[135:136]
	ds_load_b128 v[133:136], v1 offset:1008
	s_wait_loadcnt_dscnt 0x801
	v_mul_f64_e32 v[151:152], v[2:3], v[36:37]
	v_mul_f64_e32 v[36:37], v[4:5], v[36:37]
	v_fma_f64 v[139:140], v[139:140], v[30:31], v[143:144]
	v_fma_f64 v[137:138], v[137:138], v[30:31], -v[32:33]
	scratch_load_b128 v[30:33], off, off offset:496
	v_add_f64_e32 v[143:144], v[145:146], v[149:150]
	v_add_f64_e32 v[141:142], v[141:142], v[147:148]
	s_wait_loadcnt_dscnt 0x800
	v_mul_f64_e32 v[145:146], v[133:134], v[40:41]
	v_mul_f64_e32 v[40:41], v[135:136], v[40:41]
	v_fma_f64 v[147:148], v[4:5], v[34:35], v[151:152]
	v_fma_f64 v[149:150], v[2:3], v[34:35], -v[36:37]
	ds_load_b128 v[2:5], v1 offset:1024
	scratch_load_b128 v[34:37], off, off offset:512
	v_add_f64_e32 v[143:144], v[143:144], v[137:138]
	v_add_f64_e32 v[141:142], v[141:142], v[139:140]
	ds_load_b128 v[137:140], v1 offset:1040
	s_wait_loadcnt_dscnt 0x801
	v_mul_f64_e32 v[151:152], v[2:3], v[44:45]
	v_mul_f64_e32 v[44:45], v[4:5], v[44:45]
	v_fma_f64 v[135:136], v[135:136], v[38:39], v[145:146]
	v_fma_f64 v[133:134], v[133:134], v[38:39], -v[40:41]
	scratch_load_b128 v[38:41], off, off offset:528
	s_wait_loadcnt_dscnt 0x800
	v_mul_f64_e32 v[145:146], v[137:138], v[8:9]
	v_mul_f64_e32 v[8:9], v[139:140], v[8:9]
	v_add_f64_e32 v[143:144], v[143:144], v[149:150]
	v_add_f64_e32 v[141:142], v[141:142], v[147:148]
	v_fma_f64 v[147:148], v[4:5], v[42:43], v[151:152]
	v_fma_f64 v[149:150], v[2:3], v[42:43], -v[44:45]
	ds_load_b128 v[2:5], v1 offset:1056
	scratch_load_b128 v[42:45], off, off offset:544
	v_fma_f64 v[139:140], v[139:140], v[6:7], v[145:146]
	v_fma_f64 v[137:138], v[137:138], v[6:7], -v[8:9]
	scratch_load_b128 v[6:9], off, off offset:560
	v_add_f64_e32 v[143:144], v[143:144], v[133:134]
	v_add_f64_e32 v[141:142], v[141:142], v[135:136]
	ds_load_b128 v[133:136], v1 offset:1072
	s_wait_loadcnt_dscnt 0x901
	v_mul_f64_e32 v[151:152], v[2:3], v[12:13]
	v_mul_f64_e32 v[12:13], v[4:5], v[12:13]
	s_wait_loadcnt_dscnt 0x800
	v_mul_f64_e32 v[145:146], v[133:134], v[16:17]
	v_mul_f64_e32 v[16:17], v[135:136], v[16:17]
	v_add_f64_e32 v[143:144], v[143:144], v[149:150]
	v_add_f64_e32 v[141:142], v[141:142], v[147:148]
	v_fma_f64 v[147:148], v[4:5], v[10:11], v[151:152]
	v_fma_f64 v[149:150], v[2:3], v[10:11], -v[12:13]
	ds_load_b128 v[2:5], v1 offset:1088
	scratch_load_b128 v[10:13], off, off offset:576
	v_fma_f64 v[135:136], v[135:136], v[14:15], v[145:146]
	v_fma_f64 v[133:134], v[133:134], v[14:15], -v[16:17]
	scratch_load_b128 v[14:17], off, off offset:592
	v_add_f64_e32 v[143:144], v[143:144], v[137:138]
	v_add_f64_e32 v[141:142], v[141:142], v[139:140]
	ds_load_b128 v[137:140], v1 offset:1104
	s_wait_loadcnt_dscnt 0x901
	v_mul_f64_e32 v[151:152], v[2:3], v[20:21]
	v_mul_f64_e32 v[20:21], v[4:5], v[20:21]
	;; [unrolled: 18-line block ×4, first 2 shown]
	s_wait_loadcnt_dscnt 0x800
	v_mul_f64_e32 v[145:146], v[137:138], v[40:41]
	v_mul_f64_e32 v[40:41], v[139:140], v[40:41]
	v_add_f64_e32 v[143:144], v[143:144], v[149:150]
	v_add_f64_e32 v[141:142], v[141:142], v[147:148]
	v_fma_f64 v[147:148], v[4:5], v[34:35], v[151:152]
	v_fma_f64 v[149:150], v[2:3], v[34:35], -v[36:37]
	ds_load_b128 v[2:5], v1 offset:1184
	ds_load_b128 v[34:37], v1 offset:1200
	v_fma_f64 v[139:140], v[139:140], v[38:39], v[145:146]
	v_fma_f64 v[38:39], v[137:138], v[38:39], -v[40:41]
	v_add_f64_e32 v[133:134], v[143:144], v[133:134]
	v_add_f64_e32 v[135:136], v[141:142], v[135:136]
	s_wait_loadcnt_dscnt 0x701
	v_mul_f64_e32 v[141:142], v[2:3], v[44:45]
	v_mul_f64_e32 v[44:45], v[4:5], v[44:45]
	s_delay_alu instid0(VALU_DEP_4) | instskip(NEXT) | instid1(VALU_DEP_4)
	v_add_f64_e32 v[40:41], v[133:134], v[149:150]
	v_add_f64_e32 v[133:134], v[135:136], v[147:148]
	s_wait_loadcnt_dscnt 0x600
	v_mul_f64_e32 v[135:136], v[34:35], v[8:9]
	v_mul_f64_e32 v[8:9], v[36:37], v[8:9]
	v_fma_f64 v[137:138], v[4:5], v[42:43], v[141:142]
	v_fma_f64 v[42:43], v[2:3], v[42:43], -v[44:45]
	v_add_f64_e32 v[44:45], v[40:41], v[38:39]
	v_add_f64_e32 v[133:134], v[133:134], v[139:140]
	ds_load_b128 v[2:5], v1 offset:1216
	ds_load_b128 v[38:41], v1 offset:1232
	v_fma_f64 v[36:37], v[36:37], v[6:7], v[135:136]
	v_fma_f64 v[6:7], v[34:35], v[6:7], -v[8:9]
	s_wait_loadcnt_dscnt 0x501
	v_mul_f64_e32 v[139:140], v[2:3], v[12:13]
	v_mul_f64_e32 v[12:13], v[4:5], v[12:13]
	v_add_f64_e32 v[8:9], v[44:45], v[42:43]
	v_add_f64_e32 v[34:35], v[133:134], v[137:138]
	s_wait_loadcnt_dscnt 0x400
	v_mul_f64_e32 v[42:43], v[38:39], v[16:17]
	v_mul_f64_e32 v[16:17], v[40:41], v[16:17]
	v_fma_f64 v[44:45], v[4:5], v[10:11], v[139:140]
	v_fma_f64 v[10:11], v[2:3], v[10:11], -v[12:13]
	v_add_f64_e32 v[12:13], v[8:9], v[6:7]
	v_add_f64_e32 v[34:35], v[34:35], v[36:37]
	ds_load_b128 v[2:5], v1 offset:1248
	ds_load_b128 v[6:9], v1 offset:1264
	v_fma_f64 v[40:41], v[40:41], v[14:15], v[42:43]
	v_fma_f64 v[14:15], v[38:39], v[14:15], -v[16:17]
	s_wait_loadcnt_dscnt 0x301
	v_mul_f64_e32 v[36:37], v[2:3], v[20:21]
	v_mul_f64_e32 v[20:21], v[4:5], v[20:21]
	s_wait_loadcnt_dscnt 0x200
	v_mul_f64_e32 v[16:17], v[6:7], v[24:25]
	v_mul_f64_e32 v[24:25], v[8:9], v[24:25]
	v_add_f64_e32 v[10:11], v[12:13], v[10:11]
	v_add_f64_e32 v[12:13], v[34:35], v[44:45]
	v_fma_f64 v[34:35], v[4:5], v[18:19], v[36:37]
	v_fma_f64 v[18:19], v[2:3], v[18:19], -v[20:21]
	v_fma_f64 v[8:9], v[8:9], v[22:23], v[16:17]
	v_fma_f64 v[6:7], v[6:7], v[22:23], -v[24:25]
	v_add_f64_e32 v[14:15], v[10:11], v[14:15]
	v_add_f64_e32 v[20:21], v[12:13], v[40:41]
	ds_load_b128 v[2:5], v1 offset:1280
	ds_load_b128 v[10:13], v1 offset:1296
	s_wait_loadcnt_dscnt 0x101
	v_mul_f64_e32 v[36:37], v[2:3], v[28:29]
	v_mul_f64_e32 v[28:29], v[4:5], v[28:29]
	v_add_f64_e32 v[14:15], v[14:15], v[18:19]
	v_add_f64_e32 v[16:17], v[20:21], v[34:35]
	s_wait_loadcnt_dscnt 0x0
	v_mul_f64_e32 v[18:19], v[10:11], v[32:33]
	v_mul_f64_e32 v[20:21], v[12:13], v[32:33]
	v_fma_f64 v[4:5], v[4:5], v[26:27], v[36:37]
	v_fma_f64 v[1:2], v[2:3], v[26:27], -v[28:29]
	v_add_f64_e32 v[6:7], v[14:15], v[6:7]
	v_add_f64_e32 v[8:9], v[16:17], v[8:9]
	v_fma_f64 v[12:13], v[12:13], v[30:31], v[18:19]
	v_fma_f64 v[10:11], v[10:11], v[30:31], -v[20:21]
	s_delay_alu instid0(VALU_DEP_4) | instskip(NEXT) | instid1(VALU_DEP_4)
	v_add_f64_e32 v[1:2], v[6:7], v[1:2]
	v_add_f64_e32 v[3:4], v[8:9], v[4:5]
	s_delay_alu instid0(VALU_DEP_2) | instskip(NEXT) | instid1(VALU_DEP_2)
	v_add_f64_e32 v[1:2], v[1:2], v[10:11]
	v_add_f64_e32 v[3:4], v[3:4], v[12:13]
	s_delay_alu instid0(VALU_DEP_2) | instskip(NEXT) | instid1(VALU_DEP_2)
	v_add_f64_e64 v[1:2], v[129:130], -v[1:2]
	v_add_f64_e64 v[3:4], v[131:132], -v[3:4]
	scratch_store_b128 off, v[1:4], off offset:48
	v_cmpx_lt_u32_e32 1, v0
	s_cbranch_execz .LBB40_257
; %bb.256:
	scratch_load_b128 v[1:4], off, s13
	v_mov_b32_e32 v5, 0
	s_delay_alu instid0(VALU_DEP_1)
	v_dual_mov_b32 v6, v5 :: v_dual_mov_b32 v7, v5
	v_mov_b32_e32 v8, v5
	scratch_store_b128 off, v[5:8], off offset:32
	s_wait_loadcnt 0x0
	ds_store_b128 v128, v[1:4]
.LBB40_257:
	s_wait_alu 0xfffe
	s_or_b32 exec_lo, exec_lo, s0
	s_wait_storecnt_dscnt 0x0
	s_barrier_signal -1
	s_barrier_wait -1
	global_inv scope:SCOPE_SE
	s_clause 0x7
	scratch_load_b128 v[2:5], off, off offset:48
	scratch_load_b128 v[6:9], off, off offset:64
	;; [unrolled: 1-line block ×8, first 2 shown]
	v_mov_b32_e32 v1, 0
	s_mov_b32 s0, exec_lo
	ds_load_b128 v[38:41], v1 offset:688
	s_clause 0x1
	scratch_load_b128 v[34:37], off, off offset:176
	scratch_load_b128 v[42:45], off, off offset:32
	ds_load_b128 v[129:132], v1 offset:704
	scratch_load_b128 v[133:136], off, off offset:192
	s_wait_loadcnt_dscnt 0xa01
	v_mul_f64_e32 v[137:138], v[40:41], v[4:5]
	v_mul_f64_e32 v[4:5], v[38:39], v[4:5]
	s_delay_alu instid0(VALU_DEP_2) | instskip(NEXT) | instid1(VALU_DEP_2)
	v_fma_f64 v[143:144], v[38:39], v[2:3], -v[137:138]
	v_fma_f64 v[145:146], v[40:41], v[2:3], v[4:5]
	ds_load_b128 v[2:5], v1 offset:720
	s_wait_loadcnt_dscnt 0x901
	v_mul_f64_e32 v[141:142], v[129:130], v[8:9]
	v_mul_f64_e32 v[8:9], v[131:132], v[8:9]
	scratch_load_b128 v[38:41], off, off offset:208
	ds_load_b128 v[137:140], v1 offset:736
	s_wait_loadcnt_dscnt 0x901
	v_mul_f64_e32 v[147:148], v[2:3], v[12:13]
	v_mul_f64_e32 v[12:13], v[4:5], v[12:13]
	v_fma_f64 v[131:132], v[131:132], v[6:7], v[141:142]
	v_fma_f64 v[129:130], v[129:130], v[6:7], -v[8:9]
	v_add_f64_e32 v[141:142], 0, v[143:144]
	v_add_f64_e32 v[143:144], 0, v[145:146]
	scratch_load_b128 v[6:9], off, off offset:224
	v_fma_f64 v[147:148], v[4:5], v[10:11], v[147:148]
	v_fma_f64 v[149:150], v[2:3], v[10:11], -v[12:13]
	ds_load_b128 v[2:5], v1 offset:752
	s_wait_loadcnt_dscnt 0x901
	v_mul_f64_e32 v[145:146], v[137:138], v[16:17]
	v_mul_f64_e32 v[16:17], v[139:140], v[16:17]
	scratch_load_b128 v[10:13], off, off offset:240
	v_add_f64_e32 v[141:142], v[141:142], v[129:130]
	v_add_f64_e32 v[143:144], v[143:144], v[131:132]
	s_wait_loadcnt_dscnt 0x900
	v_mul_f64_e32 v[151:152], v[2:3], v[20:21]
	v_mul_f64_e32 v[20:21], v[4:5], v[20:21]
	ds_load_b128 v[129:132], v1 offset:768
	v_fma_f64 v[139:140], v[139:140], v[14:15], v[145:146]
	v_fma_f64 v[137:138], v[137:138], v[14:15], -v[16:17]
	scratch_load_b128 v[14:17], off, off offset:256
	v_add_f64_e32 v[141:142], v[141:142], v[149:150]
	v_add_f64_e32 v[143:144], v[143:144], v[147:148]
	v_fma_f64 v[147:148], v[4:5], v[18:19], v[151:152]
	v_fma_f64 v[149:150], v[2:3], v[18:19], -v[20:21]
	ds_load_b128 v[2:5], v1 offset:784
	s_wait_loadcnt_dscnt 0x901
	v_mul_f64_e32 v[145:146], v[129:130], v[24:25]
	v_mul_f64_e32 v[24:25], v[131:132], v[24:25]
	scratch_load_b128 v[18:21], off, off offset:272
	s_wait_loadcnt_dscnt 0x900
	v_mul_f64_e32 v[151:152], v[2:3], v[28:29]
	v_mul_f64_e32 v[28:29], v[4:5], v[28:29]
	v_add_f64_e32 v[141:142], v[141:142], v[137:138]
	v_add_f64_e32 v[143:144], v[143:144], v[139:140]
	ds_load_b128 v[137:140], v1 offset:800
	v_fma_f64 v[131:132], v[131:132], v[22:23], v[145:146]
	v_fma_f64 v[129:130], v[129:130], v[22:23], -v[24:25]
	scratch_load_b128 v[22:25], off, off offset:288
	v_add_f64_e32 v[141:142], v[141:142], v[149:150]
	v_add_f64_e32 v[143:144], v[143:144], v[147:148]
	v_fma_f64 v[147:148], v[4:5], v[26:27], v[151:152]
	v_fma_f64 v[149:150], v[2:3], v[26:27], -v[28:29]
	ds_load_b128 v[2:5], v1 offset:816
	s_wait_loadcnt_dscnt 0x901
	v_mul_f64_e32 v[145:146], v[137:138], v[32:33]
	v_mul_f64_e32 v[32:33], v[139:140], v[32:33]
	scratch_load_b128 v[26:29], off, off offset:304
	s_wait_loadcnt_dscnt 0x900
	v_mul_f64_e32 v[151:152], v[2:3], v[36:37]
	v_mul_f64_e32 v[36:37], v[4:5], v[36:37]
	v_add_f64_e32 v[141:142], v[141:142], v[129:130]
	v_add_f64_e32 v[143:144], v[143:144], v[131:132]
	ds_load_b128 v[129:132], v1 offset:832
	v_fma_f64 v[139:140], v[139:140], v[30:31], v[145:146]
	v_fma_f64 v[137:138], v[137:138], v[30:31], -v[32:33]
	scratch_load_b128 v[30:33], off, off offset:320
	v_add_f64_e32 v[141:142], v[141:142], v[149:150]
	v_add_f64_e32 v[143:144], v[143:144], v[147:148]
	v_fma_f64 v[149:150], v[4:5], v[34:35], v[151:152]
	v_fma_f64 v[151:152], v[2:3], v[34:35], -v[36:37]
	ds_load_b128 v[2:5], v1 offset:848
	s_wait_loadcnt_dscnt 0x801
	v_mul_f64_e32 v[145:146], v[129:130], v[135:136]
	v_mul_f64_e32 v[147:148], v[131:132], v[135:136]
	scratch_load_b128 v[34:37], off, off offset:336
	v_add_f64_e32 v[141:142], v[141:142], v[137:138]
	v_add_f64_e32 v[139:140], v[143:144], v[139:140]
	ds_load_b128 v[135:138], v1 offset:864
	v_fma_f64 v[145:146], v[131:132], v[133:134], v[145:146]
	v_fma_f64 v[133:134], v[129:130], v[133:134], -v[147:148]
	scratch_load_b128 v[129:132], off, off offset:352
	s_wait_loadcnt_dscnt 0x901
	v_mul_f64_e32 v[143:144], v[2:3], v[40:41]
	v_mul_f64_e32 v[40:41], v[4:5], v[40:41]
	v_add_f64_e32 v[141:142], v[141:142], v[151:152]
	v_add_f64_e32 v[139:140], v[139:140], v[149:150]
	s_delay_alu instid0(VALU_DEP_4) | instskip(NEXT) | instid1(VALU_DEP_4)
	v_fma_f64 v[143:144], v[4:5], v[38:39], v[143:144]
	v_fma_f64 v[149:150], v[2:3], v[38:39], -v[40:41]
	ds_load_b128 v[2:5], v1 offset:880
	s_wait_loadcnt_dscnt 0x801
	v_mul_f64_e32 v[147:148], v[135:136], v[8:9]
	v_mul_f64_e32 v[8:9], v[137:138], v[8:9]
	scratch_load_b128 v[38:41], off, off offset:368
	s_wait_loadcnt_dscnt 0x800
	v_mul_f64_e32 v[151:152], v[2:3], v[12:13]
	v_add_f64_e32 v[133:134], v[141:142], v[133:134]
	v_add_f64_e32 v[145:146], v[139:140], v[145:146]
	v_mul_f64_e32 v[12:13], v[4:5], v[12:13]
	ds_load_b128 v[139:142], v1 offset:896
	v_fma_f64 v[137:138], v[137:138], v[6:7], v[147:148]
	v_fma_f64 v[135:136], v[135:136], v[6:7], -v[8:9]
	scratch_load_b128 v[6:9], off, off offset:384
	v_fma_f64 v[147:148], v[4:5], v[10:11], v[151:152]
	v_add_f64_e32 v[133:134], v[133:134], v[149:150]
	v_add_f64_e32 v[143:144], v[145:146], v[143:144]
	v_fma_f64 v[149:150], v[2:3], v[10:11], -v[12:13]
	ds_load_b128 v[2:5], v1 offset:912
	s_wait_loadcnt_dscnt 0x801
	v_mul_f64_e32 v[145:146], v[139:140], v[16:17]
	v_mul_f64_e32 v[16:17], v[141:142], v[16:17]
	scratch_load_b128 v[10:13], off, off offset:400
	v_add_f64_e32 v[151:152], v[133:134], v[135:136]
	v_add_f64_e32 v[137:138], v[143:144], v[137:138]
	s_wait_loadcnt_dscnt 0x800
	v_mul_f64_e32 v[143:144], v[2:3], v[20:21]
	v_mul_f64_e32 v[20:21], v[4:5], v[20:21]
	v_fma_f64 v[141:142], v[141:142], v[14:15], v[145:146]
	v_fma_f64 v[139:140], v[139:140], v[14:15], -v[16:17]
	ds_load_b128 v[133:136], v1 offset:928
	scratch_load_b128 v[14:17], off, off offset:416
	v_add_f64_e32 v[145:146], v[151:152], v[149:150]
	v_add_f64_e32 v[137:138], v[137:138], v[147:148]
	v_fma_f64 v[143:144], v[4:5], v[18:19], v[143:144]
	v_fma_f64 v[149:150], v[2:3], v[18:19], -v[20:21]
	ds_load_b128 v[2:5], v1 offset:944
	s_wait_loadcnt_dscnt 0x801
	v_mul_f64_e32 v[147:148], v[133:134], v[24:25]
	v_mul_f64_e32 v[24:25], v[135:136], v[24:25]
	scratch_load_b128 v[18:21], off, off offset:432
	s_wait_loadcnt_dscnt 0x800
	v_mul_f64_e32 v[151:152], v[2:3], v[28:29]
	v_mul_f64_e32 v[28:29], v[4:5], v[28:29]
	v_add_f64_e32 v[145:146], v[145:146], v[139:140]
	v_add_f64_e32 v[141:142], v[137:138], v[141:142]
	ds_load_b128 v[137:140], v1 offset:960
	v_fma_f64 v[135:136], v[135:136], v[22:23], v[147:148]
	v_fma_f64 v[133:134], v[133:134], v[22:23], -v[24:25]
	scratch_load_b128 v[22:25], off, off offset:448
	v_fma_f64 v[147:148], v[4:5], v[26:27], v[151:152]
	v_add_f64_e32 v[145:146], v[145:146], v[149:150]
	v_add_f64_e32 v[141:142], v[141:142], v[143:144]
	v_fma_f64 v[149:150], v[2:3], v[26:27], -v[28:29]
	ds_load_b128 v[2:5], v1 offset:976
	s_wait_loadcnt_dscnt 0x801
	v_mul_f64_e32 v[143:144], v[137:138], v[32:33]
	v_mul_f64_e32 v[32:33], v[139:140], v[32:33]
	scratch_load_b128 v[26:29], off, off offset:464
	s_wait_loadcnt_dscnt 0x800
	v_mul_f64_e32 v[151:152], v[2:3], v[36:37]
	v_mul_f64_e32 v[36:37], v[4:5], v[36:37]
	v_add_f64_e32 v[145:146], v[145:146], v[133:134]
	v_add_f64_e32 v[141:142], v[141:142], v[135:136]
	ds_load_b128 v[133:136], v1 offset:992
	v_fma_f64 v[139:140], v[139:140], v[30:31], v[143:144]
	v_fma_f64 v[137:138], v[137:138], v[30:31], -v[32:33]
	scratch_load_b128 v[30:33], off, off offset:480
	v_add_f64_e32 v[143:144], v[145:146], v[149:150]
	v_add_f64_e32 v[141:142], v[141:142], v[147:148]
	v_fma_f64 v[147:148], v[4:5], v[34:35], v[151:152]
	v_fma_f64 v[149:150], v[2:3], v[34:35], -v[36:37]
	ds_load_b128 v[2:5], v1 offset:1008
	s_wait_loadcnt_dscnt 0x801
	v_mul_f64_e32 v[145:146], v[133:134], v[131:132]
	v_mul_f64_e32 v[131:132], v[135:136], v[131:132]
	scratch_load_b128 v[34:37], off, off offset:496
	s_wait_loadcnt_dscnt 0x800
	v_mul_f64_e32 v[151:152], v[2:3], v[40:41]
	v_mul_f64_e32 v[40:41], v[4:5], v[40:41]
	v_add_f64_e32 v[143:144], v[143:144], v[137:138]
	v_add_f64_e32 v[141:142], v[141:142], v[139:140]
	ds_load_b128 v[137:140], v1 offset:1024
	v_fma_f64 v[135:136], v[135:136], v[129:130], v[145:146]
	v_fma_f64 v[133:134], v[133:134], v[129:130], -v[131:132]
	scratch_load_b128 v[129:132], off, off offset:512
	v_add_f64_e32 v[143:144], v[143:144], v[149:150]
	v_add_f64_e32 v[141:142], v[141:142], v[147:148]
	v_fma_f64 v[147:148], v[4:5], v[38:39], v[151:152]
	;; [unrolled: 18-line block ×6, first 2 shown]
	v_fma_f64 v[151:152], v[2:3], v[34:35], -v[36:37]
	ds_load_b128 v[2:5], v1 offset:1168
	s_wait_loadcnt_dscnt 0x801
	v_mul_f64_e32 v[145:146], v[137:138], v[131:132]
	v_mul_f64_e32 v[147:148], v[139:140], v[131:132]
	scratch_load_b128 v[34:37], off, off offset:656
	v_add_f64_e32 v[143:144], v[143:144], v[133:134]
	v_add_f64_e32 v[135:136], v[141:142], v[135:136]
	s_wait_loadcnt_dscnt 0x800
	v_mul_f64_e32 v[141:142], v[2:3], v[40:41]
	v_mul_f64_e32 v[40:41], v[4:5], v[40:41]
	ds_load_b128 v[131:134], v1 offset:1184
	v_fma_f64 v[139:140], v[139:140], v[129:130], v[145:146]
	v_fma_f64 v[129:130], v[137:138], v[129:130], -v[147:148]
	v_add_f64_e32 v[137:138], v[143:144], v[151:152]
	v_add_f64_e32 v[135:136], v[135:136], v[149:150]
	s_wait_loadcnt_dscnt 0x700
	v_mul_f64_e32 v[143:144], v[131:132], v[8:9]
	v_mul_f64_e32 v[8:9], v[133:134], v[8:9]
	v_fma_f64 v[141:142], v[4:5], v[38:39], v[141:142]
	v_fma_f64 v[145:146], v[2:3], v[38:39], -v[40:41]
	ds_load_b128 v[2:5], v1 offset:1200
	ds_load_b128 v[38:41], v1 offset:1216
	v_add_f64_e32 v[129:130], v[137:138], v[129:130]
	v_add_f64_e32 v[135:136], v[135:136], v[139:140]
	s_wait_loadcnt_dscnt 0x601
	v_mul_f64_e32 v[137:138], v[2:3], v[12:13]
	v_mul_f64_e32 v[12:13], v[4:5], v[12:13]
	v_fma_f64 v[133:134], v[133:134], v[6:7], v[143:144]
	v_fma_f64 v[6:7], v[131:132], v[6:7], -v[8:9]
	s_wait_loadcnt_dscnt 0x500
	v_mul_f64_e32 v[131:132], v[38:39], v[16:17]
	v_mul_f64_e32 v[16:17], v[40:41], v[16:17]
	v_add_f64_e32 v[8:9], v[129:130], v[145:146]
	v_add_f64_e32 v[129:130], v[135:136], v[141:142]
	v_fma_f64 v[135:136], v[4:5], v[10:11], v[137:138]
	v_fma_f64 v[10:11], v[2:3], v[10:11], -v[12:13]
	v_fma_f64 v[40:41], v[40:41], v[14:15], v[131:132]
	v_fma_f64 v[14:15], v[38:39], v[14:15], -v[16:17]
	v_add_f64_e32 v[12:13], v[8:9], v[6:7]
	v_add_f64_e32 v[129:130], v[129:130], v[133:134]
	ds_load_b128 v[2:5], v1 offset:1232
	ds_load_b128 v[6:9], v1 offset:1248
	s_wait_loadcnt_dscnt 0x401
	v_mul_f64_e32 v[133:134], v[2:3], v[20:21]
	v_mul_f64_e32 v[20:21], v[4:5], v[20:21]
	s_wait_loadcnt_dscnt 0x300
	v_mul_f64_e32 v[16:17], v[6:7], v[24:25]
	v_mul_f64_e32 v[24:25], v[8:9], v[24:25]
	v_add_f64_e32 v[10:11], v[12:13], v[10:11]
	v_add_f64_e32 v[12:13], v[129:130], v[135:136]
	v_fma_f64 v[38:39], v[4:5], v[18:19], v[133:134]
	v_fma_f64 v[18:19], v[2:3], v[18:19], -v[20:21]
	v_fma_f64 v[8:9], v[8:9], v[22:23], v[16:17]
	v_fma_f64 v[6:7], v[6:7], v[22:23], -v[24:25]
	v_add_f64_e32 v[14:15], v[10:11], v[14:15]
	v_add_f64_e32 v[20:21], v[12:13], v[40:41]
	ds_load_b128 v[2:5], v1 offset:1264
	ds_load_b128 v[10:13], v1 offset:1280
	s_wait_loadcnt_dscnt 0x201
	v_mul_f64_e32 v[40:41], v[2:3], v[28:29]
	v_mul_f64_e32 v[28:29], v[4:5], v[28:29]
	v_add_f64_e32 v[14:15], v[14:15], v[18:19]
	v_add_f64_e32 v[16:17], v[20:21], v[38:39]
	s_wait_loadcnt_dscnt 0x100
	v_mul_f64_e32 v[18:19], v[10:11], v[32:33]
	v_mul_f64_e32 v[20:21], v[12:13], v[32:33]
	v_fma_f64 v[22:23], v[4:5], v[26:27], v[40:41]
	v_fma_f64 v[24:25], v[2:3], v[26:27], -v[28:29]
	ds_load_b128 v[2:5], v1 offset:1296
	v_add_f64_e32 v[6:7], v[14:15], v[6:7]
	v_add_f64_e32 v[8:9], v[16:17], v[8:9]
	v_fma_f64 v[12:13], v[12:13], v[30:31], v[18:19]
	v_fma_f64 v[10:11], v[10:11], v[30:31], -v[20:21]
	s_wait_loadcnt_dscnt 0x0
	v_mul_f64_e32 v[14:15], v[2:3], v[36:37]
	v_mul_f64_e32 v[16:17], v[4:5], v[36:37]
	v_add_f64_e32 v[6:7], v[6:7], v[24:25]
	v_add_f64_e32 v[8:9], v[8:9], v[22:23]
	s_delay_alu instid0(VALU_DEP_4) | instskip(NEXT) | instid1(VALU_DEP_4)
	v_fma_f64 v[4:5], v[4:5], v[34:35], v[14:15]
	v_fma_f64 v[2:3], v[2:3], v[34:35], -v[16:17]
	s_delay_alu instid0(VALU_DEP_4) | instskip(NEXT) | instid1(VALU_DEP_4)
	v_add_f64_e32 v[6:7], v[6:7], v[10:11]
	v_add_f64_e32 v[8:9], v[8:9], v[12:13]
	s_delay_alu instid0(VALU_DEP_2) | instskip(NEXT) | instid1(VALU_DEP_2)
	v_add_f64_e32 v[2:3], v[6:7], v[2:3]
	v_add_f64_e32 v[4:5], v[8:9], v[4:5]
	s_delay_alu instid0(VALU_DEP_2) | instskip(NEXT) | instid1(VALU_DEP_2)
	v_add_f64_e64 v[2:3], v[42:43], -v[2:3]
	v_add_f64_e64 v[4:5], v[44:45], -v[4:5]
	scratch_store_b128 off, v[2:5], off offset:32
	v_cmpx_ne_u32_e32 0, v0
	s_cbranch_execz .LBB40_259
; %bb.258:
	scratch_load_b128 v[5:8], off, off offset:16
	v_dual_mov_b32 v2, v1 :: v_dual_mov_b32 v3, v1
	v_mov_b32_e32 v4, v1
	scratch_store_b128 off, v[1:4], off offset:16
	s_wait_loadcnt 0x0
	ds_store_b128 v128, v[5:8]
.LBB40_259:
	s_wait_alu 0xfffe
	s_or_b32 exec_lo, exec_lo, s0
	s_wait_storecnt_dscnt 0x0
	s_barrier_signal -1
	s_barrier_wait -1
	global_inv scope:SCOPE_SE
	s_clause 0x8
	scratch_load_b128 v[2:5], off, off offset:32
	scratch_load_b128 v[6:9], off, off offset:48
	;; [unrolled: 1-line block ×9, first 2 shown]
	ds_load_b128 v[42:45], v1 offset:672
	ds_load_b128 v[38:41], v1 offset:688
	s_clause 0x1
	scratch_load_b128 v[128:131], off, off offset:16
	scratch_load_b128 v[132:135], off, off offset:176
	s_and_b32 vcc_lo, exec_lo, s18
	s_wait_loadcnt_dscnt 0xa01
	v_mul_f64_e32 v[136:137], v[44:45], v[4:5]
	v_mul_f64_e32 v[4:5], v[42:43], v[4:5]
	s_wait_loadcnt_dscnt 0x900
	v_mul_f64_e32 v[140:141], v[38:39], v[8:9]
	v_mul_f64_e32 v[8:9], v[40:41], v[8:9]
	s_delay_alu instid0(VALU_DEP_4) | instskip(NEXT) | instid1(VALU_DEP_4)
	v_fma_f64 v[142:143], v[42:43], v[2:3], -v[136:137]
	v_fma_f64 v[144:145], v[44:45], v[2:3], v[4:5]
	ds_load_b128 v[2:5], v1 offset:704
	ds_load_b128 v[136:139], v1 offset:720
	scratch_load_b128 v[42:45], off, off offset:192
	v_fma_f64 v[40:41], v[40:41], v[6:7], v[140:141]
	v_fma_f64 v[38:39], v[38:39], v[6:7], -v[8:9]
	scratch_load_b128 v[6:9], off, off offset:208
	s_wait_loadcnt_dscnt 0xa01
	v_mul_f64_e32 v[146:147], v[2:3], v[12:13]
	v_mul_f64_e32 v[12:13], v[4:5], v[12:13]
	v_add_f64_e32 v[140:141], 0, v[142:143]
	v_add_f64_e32 v[142:143], 0, v[144:145]
	s_wait_loadcnt_dscnt 0x900
	v_mul_f64_e32 v[144:145], v[136:137], v[16:17]
	v_mul_f64_e32 v[16:17], v[138:139], v[16:17]
	v_fma_f64 v[146:147], v[4:5], v[10:11], v[146:147]
	v_fma_f64 v[148:149], v[2:3], v[10:11], -v[12:13]
	ds_load_b128 v[2:5], v1 offset:736
	scratch_load_b128 v[10:13], off, off offset:224
	v_add_f64_e32 v[140:141], v[140:141], v[38:39]
	v_add_f64_e32 v[142:143], v[142:143], v[40:41]
	ds_load_b128 v[38:41], v1 offset:752
	v_fma_f64 v[138:139], v[138:139], v[14:15], v[144:145]
	v_fma_f64 v[136:137], v[136:137], v[14:15], -v[16:17]
	scratch_load_b128 v[14:17], off, off offset:240
	s_wait_loadcnt_dscnt 0xa01
	v_mul_f64_e32 v[150:151], v[2:3], v[20:21]
	v_mul_f64_e32 v[20:21], v[4:5], v[20:21]
	s_wait_loadcnt_dscnt 0x900
	v_mul_f64_e32 v[144:145], v[38:39], v[24:25]
	v_mul_f64_e32 v[24:25], v[40:41], v[24:25]
	v_add_f64_e32 v[140:141], v[140:141], v[148:149]
	v_add_f64_e32 v[142:143], v[142:143], v[146:147]
	v_fma_f64 v[146:147], v[4:5], v[18:19], v[150:151]
	v_fma_f64 v[148:149], v[2:3], v[18:19], -v[20:21]
	ds_load_b128 v[2:5], v1 offset:768
	scratch_load_b128 v[18:21], off, off offset:256
	v_fma_f64 v[40:41], v[40:41], v[22:23], v[144:145]
	v_fma_f64 v[38:39], v[38:39], v[22:23], -v[24:25]
	scratch_load_b128 v[22:25], off, off offset:272
	v_add_f64_e32 v[140:141], v[140:141], v[136:137]
	v_add_f64_e32 v[142:143], v[142:143], v[138:139]
	ds_load_b128 v[136:139], v1 offset:784
	s_wait_loadcnt_dscnt 0xa01
	v_mul_f64_e32 v[150:151], v[2:3], v[28:29]
	v_mul_f64_e32 v[28:29], v[4:5], v[28:29]
	s_wait_loadcnt_dscnt 0x900
	v_mul_f64_e32 v[144:145], v[136:137], v[32:33]
	v_mul_f64_e32 v[32:33], v[138:139], v[32:33]
	v_add_f64_e32 v[140:141], v[140:141], v[148:149]
	v_add_f64_e32 v[142:143], v[142:143], v[146:147]
	v_fma_f64 v[146:147], v[4:5], v[26:27], v[150:151]
	v_fma_f64 v[148:149], v[2:3], v[26:27], -v[28:29]
	ds_load_b128 v[2:5], v1 offset:800
	scratch_load_b128 v[26:29], off, off offset:288
	v_fma_f64 v[138:139], v[138:139], v[30:31], v[144:145]
	v_fma_f64 v[136:137], v[136:137], v[30:31], -v[32:33]
	scratch_load_b128 v[30:33], off, off offset:304
	v_add_f64_e32 v[140:141], v[140:141], v[38:39]
	v_add_f64_e32 v[142:143], v[142:143], v[40:41]
	ds_load_b128 v[38:41], v1 offset:816
	s_wait_loadcnt_dscnt 0xa01
	v_mul_f64_e32 v[150:151], v[2:3], v[36:37]
	v_mul_f64_e32 v[36:37], v[4:5], v[36:37]
	s_wait_loadcnt_dscnt 0x800
	v_mul_f64_e32 v[144:145], v[38:39], v[134:135]
	v_add_f64_e32 v[140:141], v[140:141], v[148:149]
	v_add_f64_e32 v[142:143], v[142:143], v[146:147]
	v_mul_f64_e32 v[146:147], v[40:41], v[134:135]
	v_fma_f64 v[148:149], v[4:5], v[34:35], v[150:151]
	v_fma_f64 v[150:151], v[2:3], v[34:35], -v[36:37]
	ds_load_b128 v[2:5], v1 offset:832
	scratch_load_b128 v[34:37], off, off offset:320
	v_fma_f64 v[144:145], v[40:41], v[132:133], v[144:145]
	v_add_f64_e32 v[140:141], v[140:141], v[136:137]
	v_add_f64_e32 v[138:139], v[142:143], v[138:139]
	ds_load_b128 v[134:137], v1 offset:848
	v_fma_f64 v[132:133], v[38:39], v[132:133], -v[146:147]
	scratch_load_b128 v[38:41], off, off offset:336
	s_wait_loadcnt_dscnt 0x901
	v_mul_f64_e32 v[142:143], v[2:3], v[44:45]
	v_mul_f64_e32 v[44:45], v[4:5], v[44:45]
	s_wait_loadcnt_dscnt 0x800
	v_mul_f64_e32 v[146:147], v[134:135], v[8:9]
	v_mul_f64_e32 v[8:9], v[136:137], v[8:9]
	v_add_f64_e32 v[140:141], v[140:141], v[150:151]
	v_add_f64_e32 v[138:139], v[138:139], v[148:149]
	v_fma_f64 v[142:143], v[4:5], v[42:43], v[142:143]
	v_fma_f64 v[148:149], v[2:3], v[42:43], -v[44:45]
	ds_load_b128 v[2:5], v1 offset:864
	scratch_load_b128 v[42:45], off, off offset:352
	v_fma_f64 v[136:137], v[136:137], v[6:7], v[146:147]
	v_fma_f64 v[134:135], v[134:135], v[6:7], -v[8:9]
	scratch_load_b128 v[6:9], off, off offset:368
	v_add_f64_e32 v[132:133], v[140:141], v[132:133]
	v_add_f64_e32 v[144:145], v[138:139], v[144:145]
	ds_load_b128 v[138:141], v1 offset:880
	s_wait_loadcnt_dscnt 0x901
	v_mul_f64_e32 v[150:151], v[2:3], v[12:13]
	v_mul_f64_e32 v[12:13], v[4:5], v[12:13]
	v_add_f64_e32 v[132:133], v[132:133], v[148:149]
	v_add_f64_e32 v[142:143], v[144:145], v[142:143]
	s_wait_loadcnt_dscnt 0x800
	v_mul_f64_e32 v[144:145], v[138:139], v[16:17]
	v_mul_f64_e32 v[16:17], v[140:141], v[16:17]
	v_fma_f64 v[146:147], v[4:5], v[10:11], v[150:151]
	v_fma_f64 v[148:149], v[2:3], v[10:11], -v[12:13]
	ds_load_b128 v[2:5], v1 offset:896
	scratch_load_b128 v[10:13], off, off offset:384
	v_add_f64_e32 v[150:151], v[132:133], v[134:135]
	v_add_f64_e32 v[136:137], v[142:143], v[136:137]
	ds_load_b128 v[132:135], v1 offset:912
	s_wait_loadcnt_dscnt 0x801
	v_mul_f64_e32 v[142:143], v[2:3], v[20:21]
	v_mul_f64_e32 v[20:21], v[4:5], v[20:21]
	v_fma_f64 v[140:141], v[140:141], v[14:15], v[144:145]
	v_fma_f64 v[138:139], v[138:139], v[14:15], -v[16:17]
	scratch_load_b128 v[14:17], off, off offset:400
	v_add_f64_e32 v[144:145], v[150:151], v[148:149]
	v_add_f64_e32 v[136:137], v[136:137], v[146:147]
	s_wait_loadcnt_dscnt 0x800
	v_mul_f64_e32 v[146:147], v[132:133], v[24:25]
	v_mul_f64_e32 v[24:25], v[134:135], v[24:25]
	v_fma_f64 v[142:143], v[4:5], v[18:19], v[142:143]
	v_fma_f64 v[148:149], v[2:3], v[18:19], -v[20:21]
	ds_load_b128 v[2:5], v1 offset:928
	scratch_load_b128 v[18:21], off, off offset:416
	v_add_f64_e32 v[144:145], v[144:145], v[138:139]
	v_add_f64_e32 v[140:141], v[136:137], v[140:141]
	ds_load_b128 v[136:139], v1 offset:944
	s_wait_loadcnt_dscnt 0x801
	v_mul_f64_e32 v[150:151], v[2:3], v[28:29]
	v_mul_f64_e32 v[28:29], v[4:5], v[28:29]
	v_fma_f64 v[134:135], v[134:135], v[22:23], v[146:147]
	v_fma_f64 v[132:133], v[132:133], v[22:23], -v[24:25]
	scratch_load_b128 v[22:25], off, off offset:432
	;; [unrolled: 18-line block ×4, first 2 shown]
	s_wait_loadcnt_dscnt 0x800
	v_mul_f64_e32 v[144:145], v[136:137], v[8:9]
	v_mul_f64_e32 v[8:9], v[138:139], v[8:9]
	v_add_f64_e32 v[142:143], v[142:143], v[148:149]
	v_add_f64_e32 v[140:141], v[140:141], v[146:147]
	v_fma_f64 v[146:147], v[4:5], v[42:43], v[150:151]
	v_fma_f64 v[148:149], v[2:3], v[42:43], -v[44:45]
	ds_load_b128 v[2:5], v1 offset:1024
	scratch_load_b128 v[42:45], off, off offset:512
	v_fma_f64 v[138:139], v[138:139], v[6:7], v[144:145]
	v_fma_f64 v[136:137], v[136:137], v[6:7], -v[8:9]
	scratch_load_b128 v[6:9], off, off offset:528
	v_add_f64_e32 v[142:143], v[142:143], v[132:133]
	v_add_f64_e32 v[140:141], v[140:141], v[134:135]
	ds_load_b128 v[132:135], v1 offset:1040
	s_wait_loadcnt_dscnt 0x901
	v_mul_f64_e32 v[150:151], v[2:3], v[12:13]
	v_mul_f64_e32 v[12:13], v[4:5], v[12:13]
	s_wait_loadcnt_dscnt 0x800
	v_mul_f64_e32 v[144:145], v[132:133], v[16:17]
	v_mul_f64_e32 v[16:17], v[134:135], v[16:17]
	v_add_f64_e32 v[142:143], v[142:143], v[148:149]
	v_add_f64_e32 v[140:141], v[140:141], v[146:147]
	v_fma_f64 v[146:147], v[4:5], v[10:11], v[150:151]
	v_fma_f64 v[148:149], v[2:3], v[10:11], -v[12:13]
	ds_load_b128 v[2:5], v1 offset:1056
	scratch_load_b128 v[10:13], off, off offset:544
	v_fma_f64 v[134:135], v[134:135], v[14:15], v[144:145]
	v_fma_f64 v[132:133], v[132:133], v[14:15], -v[16:17]
	scratch_load_b128 v[14:17], off, off offset:560
	v_add_f64_e32 v[142:143], v[142:143], v[136:137]
	v_add_f64_e32 v[140:141], v[140:141], v[138:139]
	ds_load_b128 v[136:139], v1 offset:1072
	s_wait_loadcnt_dscnt 0x901
	v_mul_f64_e32 v[150:151], v[2:3], v[20:21]
	v_mul_f64_e32 v[20:21], v[4:5], v[20:21]
	;; [unrolled: 18-line block ×5, first 2 shown]
	s_wait_loadcnt_dscnt 0x800
	v_mul_f64_e32 v[144:145], v[132:133], v[8:9]
	v_mul_f64_e32 v[8:9], v[134:135], v[8:9]
	v_add_f64_e32 v[142:143], v[142:143], v[148:149]
	v_add_f64_e32 v[140:141], v[140:141], v[146:147]
	v_fma_f64 v[146:147], v[4:5], v[42:43], v[150:151]
	v_fma_f64 v[148:149], v[2:3], v[42:43], -v[44:45]
	ds_load_b128 v[2:5], v1 offset:1184
	ds_load_b128 v[42:45], v1 offset:1200
	v_fma_f64 v[134:135], v[134:135], v[6:7], v[144:145]
	v_fma_f64 v[6:7], v[132:133], v[6:7], -v[8:9]
	v_add_f64_e32 v[136:137], v[142:143], v[136:137]
	v_add_f64_e32 v[138:139], v[140:141], v[138:139]
	s_wait_loadcnt_dscnt 0x701
	v_mul_f64_e32 v[140:141], v[2:3], v[12:13]
	v_mul_f64_e32 v[12:13], v[4:5], v[12:13]
	s_delay_alu instid0(VALU_DEP_4) | instskip(NEXT) | instid1(VALU_DEP_4)
	v_add_f64_e32 v[8:9], v[136:137], v[148:149]
	v_add_f64_e32 v[132:133], v[138:139], v[146:147]
	s_wait_loadcnt_dscnt 0x600
	v_mul_f64_e32 v[136:137], v[42:43], v[16:17]
	v_mul_f64_e32 v[16:17], v[44:45], v[16:17]
	v_fma_f64 v[138:139], v[4:5], v[10:11], v[140:141]
	v_fma_f64 v[10:11], v[2:3], v[10:11], -v[12:13]
	v_add_f64_e32 v[12:13], v[8:9], v[6:7]
	v_add_f64_e32 v[132:133], v[132:133], v[134:135]
	ds_load_b128 v[2:5], v1 offset:1216
	ds_load_b128 v[6:9], v1 offset:1232
	v_fma_f64 v[44:45], v[44:45], v[14:15], v[136:137]
	v_fma_f64 v[14:15], v[42:43], v[14:15], -v[16:17]
	s_wait_loadcnt_dscnt 0x501
	v_mul_f64_e32 v[134:135], v[2:3], v[20:21]
	v_mul_f64_e32 v[20:21], v[4:5], v[20:21]
	s_wait_loadcnt_dscnt 0x400
	v_mul_f64_e32 v[16:17], v[6:7], v[24:25]
	v_mul_f64_e32 v[24:25], v[8:9], v[24:25]
	v_add_f64_e32 v[10:11], v[12:13], v[10:11]
	v_add_f64_e32 v[12:13], v[132:133], v[138:139]
	v_fma_f64 v[42:43], v[4:5], v[18:19], v[134:135]
	v_fma_f64 v[18:19], v[2:3], v[18:19], -v[20:21]
	v_fma_f64 v[8:9], v[8:9], v[22:23], v[16:17]
	v_fma_f64 v[6:7], v[6:7], v[22:23], -v[24:25]
	v_add_f64_e32 v[14:15], v[10:11], v[14:15]
	v_add_f64_e32 v[20:21], v[12:13], v[44:45]
	ds_load_b128 v[2:5], v1 offset:1248
	ds_load_b128 v[10:13], v1 offset:1264
	s_wait_loadcnt_dscnt 0x301
	v_mul_f64_e32 v[44:45], v[2:3], v[28:29]
	v_mul_f64_e32 v[28:29], v[4:5], v[28:29]
	v_add_f64_e32 v[14:15], v[14:15], v[18:19]
	v_add_f64_e32 v[16:17], v[20:21], v[42:43]
	s_wait_loadcnt_dscnt 0x200
	v_mul_f64_e32 v[18:19], v[10:11], v[32:33]
	v_mul_f64_e32 v[20:21], v[12:13], v[32:33]
	v_fma_f64 v[22:23], v[4:5], v[26:27], v[44:45]
	v_fma_f64 v[24:25], v[2:3], v[26:27], -v[28:29]
	v_add_f64_e32 v[14:15], v[14:15], v[6:7]
	v_add_f64_e32 v[16:17], v[16:17], v[8:9]
	ds_load_b128 v[2:5], v1 offset:1280
	ds_load_b128 v[6:9], v1 offset:1296
	v_fma_f64 v[12:13], v[12:13], v[30:31], v[18:19]
	v_fma_f64 v[10:11], v[10:11], v[30:31], -v[20:21]
	s_wait_loadcnt_dscnt 0x101
	v_mul_f64_e32 v[0:1], v[2:3], v[36:37]
	v_mul_f64_e32 v[26:27], v[4:5], v[36:37]
	s_wait_loadcnt_dscnt 0x0
	v_mul_f64_e32 v[18:19], v[6:7], v[40:41]
	v_mul_f64_e32 v[20:21], v[8:9], v[40:41]
	v_add_f64_e32 v[14:15], v[14:15], v[24:25]
	v_add_f64_e32 v[16:17], v[16:17], v[22:23]
	v_fma_f64 v[0:1], v[4:5], v[34:35], v[0:1]
	v_fma_f64 v[2:3], v[2:3], v[34:35], -v[26:27]
	v_fma_f64 v[8:9], v[8:9], v[38:39], v[18:19]
	v_fma_f64 v[6:7], v[6:7], v[38:39], -v[20:21]
	v_add_f64_e32 v[4:5], v[14:15], v[10:11]
	v_add_f64_e32 v[10:11], v[16:17], v[12:13]
	s_delay_alu instid0(VALU_DEP_2) | instskip(NEXT) | instid1(VALU_DEP_2)
	v_add_f64_e32 v[2:3], v[4:5], v[2:3]
	v_add_f64_e32 v[0:1], v[10:11], v[0:1]
	s_delay_alu instid0(VALU_DEP_2) | instskip(NEXT) | instid1(VALU_DEP_2)
	;; [unrolled: 3-line block ×3, first 2 shown]
	v_add_f64_e64 v[0:1], v[128:129], -v[2:3]
	v_add_f64_e64 v[2:3], v[130:131], -v[4:5]
	scratch_store_b128 off, v[0:3], off offset:16
	s_wait_alu 0xfffe
	s_cbranch_vccz .LBB40_340
; %bb.260:
	v_mov_b32_e32 v0, 0
	global_load_b32 v1, v0, s[2:3] offset:156
	s_wait_loadcnt 0x0
	v_cmp_ne_u32_e32 vcc_lo, 40, v1
	s_cbranch_vccz .LBB40_262
; %bb.261:
	v_lshlrev_b32_e32 v1, 4, v1
	s_delay_alu instid0(VALU_DEP_1)
	v_add_nc_u32_e32 v9, 16, v1
	s_clause 0x1
	scratch_load_b128 v[1:4], v9, off offset:-16
	scratch_load_b128 v[5:8], off, s15
	s_wait_loadcnt 0x1
	scratch_store_b128 off, v[1:4], s15
	s_wait_loadcnt 0x0
	scratch_store_b128 v9, v[5:8], off offset:-16
.LBB40_262:
	global_load_b32 v0, v0, s[2:3] offset:152
	s_wait_loadcnt 0x0
	v_cmp_eq_u32_e32 vcc_lo, 39, v0
	s_cbranch_vccnz .LBB40_264
; %bb.263:
	v_lshlrev_b32_e32 v0, 4, v0
	s_delay_alu instid0(VALU_DEP_1)
	v_add_nc_u32_e32 v8, 16, v0
	s_clause 0x1
	scratch_load_b128 v[0:3], v8, off offset:-16
	scratch_load_b128 v[4:7], off, s21
	s_wait_loadcnt 0x1
	scratch_store_b128 off, v[0:3], s21
	s_wait_loadcnt 0x0
	scratch_store_b128 v8, v[4:7], off offset:-16
.LBB40_264:
	v_mov_b32_e32 v0, 0
	global_load_b32 v1, v0, s[2:3] offset:148
	s_wait_loadcnt 0x0
	v_cmp_eq_u32_e32 vcc_lo, 38, v1
	s_cbranch_vccnz .LBB40_266
; %bb.265:
	v_lshlrev_b32_e32 v1, 4, v1
	s_delay_alu instid0(VALU_DEP_1)
	v_add_nc_u32_e32 v9, 16, v1
	s_clause 0x1
	scratch_load_b128 v[1:4], v9, off offset:-16
	scratch_load_b128 v[5:8], off, s20
	s_wait_loadcnt 0x1
	scratch_store_b128 off, v[1:4], s20
	s_wait_loadcnt 0x0
	scratch_store_b128 v9, v[5:8], off offset:-16
.LBB40_266:
	global_load_b32 v0, v0, s[2:3] offset:144
	s_wait_loadcnt 0x0
	v_cmp_eq_u32_e32 vcc_lo, 37, v0
	s_cbranch_vccnz .LBB40_268
; %bb.267:
	v_lshlrev_b32_e32 v0, 4, v0
	s_delay_alu instid0(VALU_DEP_1)
	v_add_nc_u32_e32 v8, 16, v0
	s_clause 0x1
	scratch_load_b128 v[0:3], v8, off offset:-16
	scratch_load_b128 v[4:7], off, s25
	s_wait_loadcnt 0x1
	scratch_store_b128 off, v[0:3], s25
	s_wait_loadcnt 0x0
	scratch_store_b128 v8, v[4:7], off offset:-16
.LBB40_268:
	v_mov_b32_e32 v0, 0
	global_load_b32 v1, v0, s[2:3] offset:140
	s_wait_loadcnt 0x0
	v_cmp_eq_u32_e32 vcc_lo, 36, v1
	s_cbranch_vccnz .LBB40_270
; %bb.269:
	v_lshlrev_b32_e32 v1, 4, v1
	s_delay_alu instid0(VALU_DEP_1)
	v_add_nc_u32_e32 v9, 16, v1
	s_clause 0x1
	scratch_load_b128 v[1:4], v9, off offset:-16
	scratch_load_b128 v[5:8], off, s26
	s_wait_loadcnt 0x1
	scratch_store_b128 off, v[1:4], s26
	s_wait_loadcnt 0x0
	scratch_store_b128 v9, v[5:8], off offset:-16
.LBB40_270:
	;; [unrolled: 33-line block ×19, first 2 shown]
	global_load_b32 v0, v0, s[2:3]
	s_wait_loadcnt 0x0
	v_cmp_eq_u32_e32 vcc_lo, 1, v0
	s_cbranch_vccnz .LBB40_340
; %bb.339:
	v_lshlrev_b32_e32 v0, 4, v0
	s_delay_alu instid0(VALU_DEP_1)
	v_add_nc_u32_e32 v8, 16, v0
	scratch_load_b128 v[0:3], v8, off offset:-16
	scratch_load_b128 v[4:7], off, off offset:16
	s_wait_loadcnt 0x1
	scratch_store_b128 off, v[0:3], off offset:16
	s_wait_loadcnt 0x0
	scratch_store_b128 v8, v[4:7], off offset:-16
.LBB40_340:
	scratch_load_b128 v[0:3], off, off offset:16
	s_clause 0x11
	scratch_load_b128 v[4:7], off, s13
	scratch_load_b128 v[8:11], off, s12
	scratch_load_b128 v[12:15], off, s10
	scratch_load_b128 v[16:19], off, s8
	scratch_load_b128 v[20:23], off, s49
	scratch_load_b128 v[24:27], off, s48
	scratch_load_b128 v[28:31], off, s47
	scratch_load_b128 v[32:35], off, s46
	scratch_load_b128 v[36:39], off, s45
	scratch_load_b128 v[40:43], off, s44
	scratch_load_b128 v[128:131], off, s43
	scratch_load_b128 v[132:135], off, s42
	scratch_load_b128 v[136:139], off, s41
	scratch_load_b128 v[140:143], off, s40
	scratch_load_b128 v[144:147], off, s39
	scratch_load_b128 v[148:151], off, s38
	scratch_load_b128 v[152:155], off, s37
	scratch_load_b128 v[156:159], off, s36
	s_wait_loadcnt 0x12
	global_store_b128 v[46:47], v[0:3], off
	s_clause 0x1
	scratch_load_b128 v[0:3], off, s35
	scratch_load_b128 v[44:47], off, s34
	s_wait_loadcnt 0x13
	global_store_b128 v[48:49], v[4:7], off
	s_clause 0x1
	scratch_load_b128 v[4:7], off, s33
	scratch_load_b128 v[160:163], off, s31
	s_wait_loadcnt 0x14
	global_store_b128 v[50:51], v[8:11], off
	s_clause 0x1
	scratch_load_b128 v[8:11], off, s29
	scratch_load_b128 v[48:51], off, s27
	s_wait_loadcnt 0x15
	global_store_b128 v[52:53], v[12:15], off
	s_wait_loadcnt 0x14
	global_store_b128 v[54:55], v[16:19], off
	s_clause 0x1
	scratch_load_b128 v[12:15], off, s24
	scratch_load_b128 v[16:19], off, s23
	s_wait_loadcnt 0x15
	global_store_b128 v[56:57], v[20:23], off
	s_clause 0x1
	scratch_load_b128 v[20:23], off, s19
	scratch_load_b128 v[52:55], off, s14
	s_wait_loadcnt 0x16
	global_store_b128 v[58:59], v[24:27], off
	s_clause 0x1
	scratch_load_b128 v[24:27], off, s11
	scratch_load_b128 v[56:59], off, s9
	s_wait_loadcnt 0x17
	global_store_b128 v[60:61], v[28:31], off
	;; [unrolled: 17-line block ×3, first 2 shown]
	s_wait_loadcnt 0x18
	global_store_b128 v[70:71], v[132:135], off
	s_clause 0x1
	scratch_load_b128 v[68:71], off, s20
	scratch_load_b128 v[128:131], off, s21
	s_wait_loadcnt 0x19
	global_store_b128 v[72:73], v[136:139], off
	s_clause 0x1
	scratch_load_b128 v[132:135], off, s15
	scratch_load_b128 v[136:139], off, s22
	s_wait_loadcnt 0x1a
	global_store_b128 v[74:75], v[140:143], off
	s_wait_loadcnt 0x19
	global_store_b128 v[76:77], v[144:147], off
	;; [unrolled: 2-line block ×27, first 2 shown]
	s_nop 0
	s_sendmsg sendmsg(MSG_DEALLOC_VGPRS)
	s_endpgm
	.section	.rodata,"a",@progbits
	.p2align	6, 0x0
	.amdhsa_kernel _ZN9rocsolver6v33100L18getri_kernel_smallILi41E19rocblas_complex_numIdEPS3_EEvT1_iilPiilS6_bb
		.amdhsa_group_segment_fixed_size 1320
		.amdhsa_private_segment_fixed_size 688
		.amdhsa_kernarg_size 60
		.amdhsa_user_sgpr_count 2
		.amdhsa_user_sgpr_dispatch_ptr 0
		.amdhsa_user_sgpr_queue_ptr 0
		.amdhsa_user_sgpr_kernarg_segment_ptr 1
		.amdhsa_user_sgpr_dispatch_id 0
		.amdhsa_user_sgpr_private_segment_size 0
		.amdhsa_wavefront_size32 1
		.amdhsa_uses_dynamic_stack 0
		.amdhsa_enable_private_segment 1
		.amdhsa_system_sgpr_workgroup_id_x 1
		.amdhsa_system_sgpr_workgroup_id_y 0
		.amdhsa_system_sgpr_workgroup_id_z 0
		.amdhsa_system_sgpr_workgroup_info 0
		.amdhsa_system_vgpr_workitem_id 0
		.amdhsa_next_free_vgpr 168
		.amdhsa_next_free_sgpr 64
		.amdhsa_reserve_vcc 1
		.amdhsa_float_round_mode_32 0
		.amdhsa_float_round_mode_16_64 0
		.amdhsa_float_denorm_mode_32 3
		.amdhsa_float_denorm_mode_16_64 3
		.amdhsa_fp16_overflow 0
		.amdhsa_workgroup_processor_mode 1
		.amdhsa_memory_ordered 1
		.amdhsa_forward_progress 1
		.amdhsa_inst_pref_size 255
		.amdhsa_round_robin_scheduling 0
		.amdhsa_exception_fp_ieee_invalid_op 0
		.amdhsa_exception_fp_denorm_src 0
		.amdhsa_exception_fp_ieee_div_zero 0
		.amdhsa_exception_fp_ieee_overflow 0
		.amdhsa_exception_fp_ieee_underflow 0
		.amdhsa_exception_fp_ieee_inexact 0
		.amdhsa_exception_int_div_zero 0
	.end_amdhsa_kernel
	.section	.text._ZN9rocsolver6v33100L18getri_kernel_smallILi41E19rocblas_complex_numIdEPS3_EEvT1_iilPiilS6_bb,"axG",@progbits,_ZN9rocsolver6v33100L18getri_kernel_smallILi41E19rocblas_complex_numIdEPS3_EEvT1_iilPiilS6_bb,comdat
.Lfunc_end40:
	.size	_ZN9rocsolver6v33100L18getri_kernel_smallILi41E19rocblas_complex_numIdEPS3_EEvT1_iilPiilS6_bb, .Lfunc_end40-_ZN9rocsolver6v33100L18getri_kernel_smallILi41E19rocblas_complex_numIdEPS3_EEvT1_iilPiilS6_bb
                                        ; -- End function
	.set _ZN9rocsolver6v33100L18getri_kernel_smallILi41E19rocblas_complex_numIdEPS3_EEvT1_iilPiilS6_bb.num_vgpr, 168
	.set _ZN9rocsolver6v33100L18getri_kernel_smallILi41E19rocblas_complex_numIdEPS3_EEvT1_iilPiilS6_bb.num_agpr, 0
	.set _ZN9rocsolver6v33100L18getri_kernel_smallILi41E19rocblas_complex_numIdEPS3_EEvT1_iilPiilS6_bb.numbered_sgpr, 64
	.set _ZN9rocsolver6v33100L18getri_kernel_smallILi41E19rocblas_complex_numIdEPS3_EEvT1_iilPiilS6_bb.num_named_barrier, 0
	.set _ZN9rocsolver6v33100L18getri_kernel_smallILi41E19rocblas_complex_numIdEPS3_EEvT1_iilPiilS6_bb.private_seg_size, 688
	.set _ZN9rocsolver6v33100L18getri_kernel_smallILi41E19rocblas_complex_numIdEPS3_EEvT1_iilPiilS6_bb.uses_vcc, 1
	.set _ZN9rocsolver6v33100L18getri_kernel_smallILi41E19rocblas_complex_numIdEPS3_EEvT1_iilPiilS6_bb.uses_flat_scratch, 1
	.set _ZN9rocsolver6v33100L18getri_kernel_smallILi41E19rocblas_complex_numIdEPS3_EEvT1_iilPiilS6_bb.has_dyn_sized_stack, 0
	.set _ZN9rocsolver6v33100L18getri_kernel_smallILi41E19rocblas_complex_numIdEPS3_EEvT1_iilPiilS6_bb.has_recursion, 0
	.set _ZN9rocsolver6v33100L18getri_kernel_smallILi41E19rocblas_complex_numIdEPS3_EEvT1_iilPiilS6_bb.has_indirect_call, 0
	.section	.AMDGPU.csdata,"",@progbits
; Kernel info:
; codeLenInByte = 73520
; TotalNumSgprs: 66
; NumVgprs: 168
; ScratchSize: 688
; MemoryBound: 0
; FloatMode: 240
; IeeeMode: 1
; LDSByteSize: 1320 bytes/workgroup (compile time only)
; SGPRBlocks: 0
; VGPRBlocks: 20
; NumSGPRsForWavesPerEU: 66
; NumVGPRsForWavesPerEU: 168
; Occupancy: 9
; WaveLimiterHint : 1
; COMPUTE_PGM_RSRC2:SCRATCH_EN: 1
; COMPUTE_PGM_RSRC2:USER_SGPR: 2
; COMPUTE_PGM_RSRC2:TRAP_HANDLER: 0
; COMPUTE_PGM_RSRC2:TGID_X_EN: 1
; COMPUTE_PGM_RSRC2:TGID_Y_EN: 0
; COMPUTE_PGM_RSRC2:TGID_Z_EN: 0
; COMPUTE_PGM_RSRC2:TIDIG_COMP_CNT: 0
	.section	.text._ZN9rocsolver6v33100L18getri_kernel_smallILi42E19rocblas_complex_numIdEPS3_EEvT1_iilPiilS6_bb,"axG",@progbits,_ZN9rocsolver6v33100L18getri_kernel_smallILi42E19rocblas_complex_numIdEPS3_EEvT1_iilPiilS6_bb,comdat
	.globl	_ZN9rocsolver6v33100L18getri_kernel_smallILi42E19rocblas_complex_numIdEPS3_EEvT1_iilPiilS6_bb ; -- Begin function _ZN9rocsolver6v33100L18getri_kernel_smallILi42E19rocblas_complex_numIdEPS3_EEvT1_iilPiilS6_bb
	.p2align	8
	.type	_ZN9rocsolver6v33100L18getri_kernel_smallILi42E19rocblas_complex_numIdEPS3_EEvT1_iilPiilS6_bb,@function
_ZN9rocsolver6v33100L18getri_kernel_smallILi42E19rocblas_complex_numIdEPS3_EEvT1_iilPiilS6_bb: ; @_ZN9rocsolver6v33100L18getri_kernel_smallILi42E19rocblas_complex_numIdEPS3_EEvT1_iilPiilS6_bb
; %bb.0:
	s_mov_b32 s2, exec_lo
	v_cmpx_gt_u32_e32 42, v0
	s_cbranch_execz .LBB41_182
; %bb.1:
	s_clause 0x2
	s_load_b32 s2, s[0:1], 0x38
	s_load_b128 s[12:15], s[0:1], 0x10
	s_load_b128 s[4:7], s[0:1], 0x28
	s_mov_b32 s16, ttmp9
	s_wait_kmcnt 0x0
	s_bitcmp1_b32 s2, 8
	s_cselect_b32 s18, -1, 0
	s_bfe_u32 s2, s2, 0x10008
	s_ashr_i32 s17, ttmp9, 31
	s_cmp_eq_u32 s2, 0
                                        ; implicit-def: $sgpr2_sgpr3
	s_cbranch_scc1 .LBB41_3
; %bb.2:
	s_load_b32 s2, s[0:1], 0x20
	s_mul_u64 s[4:5], s[4:5], s[16:17]
	s_delay_alu instid0(SALU_CYCLE_1) | instskip(NEXT) | instid1(SALU_CYCLE_1)
	s_lshl_b64 s[4:5], s[4:5], 2
	s_add_nc_u64 s[4:5], s[14:15], s[4:5]
	s_wait_kmcnt 0x0
	s_ashr_i32 s3, s2, 31
	s_delay_alu instid0(SALU_CYCLE_1) | instskip(NEXT) | instid1(SALU_CYCLE_1)
	s_lshl_b64 s[2:3], s[2:3], 2
	s_add_nc_u64 s[2:3], s[4:5], s[2:3]
.LBB41_3:
	s_clause 0x1
	s_load_b128 s[8:11], s[0:1], 0x0
	s_load_b32 s51, s[0:1], 0x38
	s_mul_u64 s[0:1], s[12:13], s[16:17]
	v_lshlrev_b32_e32 v13, 4, v0
	s_lshl_b64 s[0:1], s[0:1], 4
	s_movk_i32 s12, 0xd0
	s_movk_i32 s13, 0xe0
	;; [unrolled: 1-line block ×15, first 2 shown]
	s_wait_kmcnt 0x0
	v_add3_u32 v5, s11, s11, v0
	s_ashr_i32 s5, s10, 31
	s_mov_b32 s4, s10
	s_add_nc_u64 s[0:1], s[8:9], s[0:1]
	s_lshl_b64 s[4:5], s[4:5], 4
	v_add_nc_u32_e32 v7, s11, v5
	v_ashrrev_i32_e32 v6, 31, v5
	s_add_nc_u64 s[0:1], s[0:1], s[4:5]
	s_ashr_i32 s9, s11, 31
	v_add_co_u32 v46, s4, s0, v13
	v_add_nc_u32_e32 v9, s11, v7
	v_ashrrev_i32_e32 v8, 31, v7
	s_mov_b32 s8, s11
	v_lshlrev_b64_e32 v[11:12], 4, v[5:6]
	v_add_co_ci_u32_e64 v47, null, s1, 0, s4
	v_add_nc_u32_e32 v16, s11, v9
	s_lshl_b64 s[8:9], s[8:9], 4
	v_lshlrev_b64_e32 v[14:15], 4, v[7:8]
	v_ashrrev_i32_e32 v10, 31, v9
	v_add_co_u32 v48, vcc_lo, v46, s8
	s_delay_alu instid0(VALU_DEP_1)
	v_add_co_ci_u32_e64 v49, null, s9, v47, vcc_lo
	v_add_co_u32 v50, vcc_lo, s0, v11
	v_ashrrev_i32_e32 v17, 31, v16
	v_add_nc_u32_e32 v11, s11, v16
	v_lshlrev_b64_e32 v[9:10], 4, v[9:10]
	s_wait_alu 0xfffd
	v_add_co_ci_u32_e64 v51, null, s1, v12, vcc_lo
	v_add_co_u32 v52, vcc_lo, s0, v14
	s_wait_alu 0xfffd
	v_add_co_ci_u32_e64 v53, null, s1, v15, vcc_lo
	v_lshlrev_b64_e32 v[14:15], 4, v[16:17]
	v_ashrrev_i32_e32 v12, 31, v11
	v_add_nc_u32_e32 v16, s11, v11
	v_add_co_u32 v54, vcc_lo, s0, v9
	s_wait_alu 0xfffd
	v_add_co_ci_u32_e64 v55, null, s1, v10, vcc_lo
	v_lshlrev_b64_e32 v[9:10], 4, v[11:12]
	v_ashrrev_i32_e32 v17, 31, v16
	v_add_nc_u32_e32 v11, s11, v16
	v_add_co_u32 v56, vcc_lo, s0, v14
	s_wait_alu 0xfffd
	v_add_co_ci_u32_e64 v57, null, s1, v15, vcc_lo
	v_lshlrev_b64_e32 v[14:15], 4, v[16:17]
	v_add_nc_u32_e32 v16, s11, v11
	v_ashrrev_i32_e32 v12, 31, v11
	v_add_co_u32 v58, vcc_lo, s0, v9
	s_wait_alu 0xfffd
	v_add_co_ci_u32_e64 v59, null, s1, v10, vcc_lo
	v_add_nc_u32_e32 v20, s11, v16
	v_ashrrev_i32_e32 v17, 31, v16
	v_lshlrev_b64_e32 v[18:19], 4, v[11:12]
	v_add_co_u32 v60, vcc_lo, s0, v14
	s_delay_alu instid0(VALU_DEP_4)
	v_add_nc_u32_e32 v24, s11, v20
	v_ashrrev_i32_e32 v21, 31, v20
	v_lshlrev_b64_e32 v[22:23], 4, v[16:17]
	s_wait_alu 0xfffd
	v_add_co_ci_u32_e64 v61, null, s1, v15, vcc_lo
	v_add_nc_u32_e32 v28, s11, v24
	v_ashrrev_i32_e32 v25, 31, v24
	v_add_co_u32 v62, vcc_lo, s0, v18
	v_lshlrev_b64_e32 v[26:27], 4, v[20:21]
	s_delay_alu instid0(VALU_DEP_4)
	v_add_nc_u32_e32 v36, s11, v28
	s_clause 0x2
	global_load_b128 v[1:4], v13, s[0:1]
	global_load_b128 v[5:8], v[48:49], off
	global_load_b128 v[9:12], v[50:51], off
	s_wait_alu 0xfffd
	v_add_co_ci_u32_e64 v63, null, s1, v19, vcc_lo
	s_clause 0x1
	global_load_b128 v[14:17], v[52:53], off
	global_load_b128 v[18:21], v[54:55], off
	v_lshlrev_b64_e32 v[34:35], 4, v[24:25]
	v_add_co_u32 v64, vcc_lo, s0, v22
	v_ashrrev_i32_e32 v29, 31, v28
	v_ashrrev_i32_e32 v37, 31, v36
	v_add_nc_u32_e32 v40, s11, v36
	s_wait_alu 0xfffd
	v_add_co_ci_u32_e64 v65, null, s1, v23, vcc_lo
	v_add_co_u32 v66, vcc_lo, s0, v26
	s_wait_alu 0xfffd
	v_add_co_ci_u32_e64 v67, null, s1, v27, vcc_lo
	v_add_co_u32 v68, vcc_lo, s0, v34
	global_load_b128 v[22:25], v[56:57], off
	v_lshlrev_b64_e32 v[38:39], 4, v[28:29]
	s_clause 0x1
	global_load_b128 v[26:29], v[58:59], off
	global_load_b128 v[30:33], v[60:61], off
	s_wait_alu 0xfffd
	v_add_co_ci_u32_e64 v69, null, s1, v35, vcc_lo
	v_lshlrev_b64_e32 v[42:43], 4, v[36:37]
	v_add_nc_u32_e32 v44, s11, v40
	global_load_b128 v[34:37], v[62:63], off
	v_ashrrev_i32_e32 v41, 31, v40
	v_add_co_u32 v70, vcc_lo, s0, v38
	v_ashrrev_i32_e32 v45, 31, v44
	s_wait_alu 0xfffd
	v_add_co_ci_u32_e64 v71, null, s1, v39, vcc_lo
	v_add_co_u32 v72, vcc_lo, s0, v42
	v_lshlrev_b64_e32 v[74:75], 4, v[40:41]
	v_add_nc_u32_e32 v76, s11, v44
	s_wait_alu 0xfffd
	v_add_co_ci_u32_e64 v73, null, s1, v43, vcc_lo
	v_lshlrev_b64_e32 v[78:79], 4, v[44:45]
	s_clause 0x1
	global_load_b128 v[38:41], v[64:65], off
	global_load_b128 v[42:45], v[66:67], off
	v_add_nc_u32_e32 v80, s11, v76
	v_ashrrev_i32_e32 v77, 31, v76
	v_add_co_u32 v74, vcc_lo, s0, v74
	global_load_b128 v[114:117], v[68:69], off
	s_wait_alu 0xfffd
	v_add_co_ci_u32_e64 v75, null, s1, v75, vcc_lo
	v_add_nc_u32_e32 v84, s11, v80
	s_clause 0x1
	global_load_b128 v[118:121], v[70:71], off
	global_load_b128 v[122:125], v[72:73], off
	v_lshlrev_b64_e32 v[82:83], 4, v[76:77]
	global_load_b128 v[126:129], v[74:75], off
	v_add_co_u32 v76, vcc_lo, s0, v78
	v_ashrrev_i32_e32 v85, 31, v84
	v_add_nc_u32_e32 v86, s11, v84
	s_wait_alu 0xfffd
	v_add_co_ci_u32_e64 v77, null, s1, v79, vcc_lo
	v_add_co_u32 v78, vcc_lo, s0, v82
	v_ashrrev_i32_e32 v81, 31, v80
	s_wait_alu 0xfffd
	v_add_co_ci_u32_e64 v79, null, s1, v83, vcc_lo
	v_lshlrev_b64_e32 v[82:83], 4, v[84:85]
	v_add_nc_u32_e32 v84, s11, v86
	v_ashrrev_i32_e32 v87, 31, v86
	v_lshlrev_b64_e32 v[80:81], 4, v[80:81]
	s_clause 0x1
	global_load_b128 v[130:133], v[76:77], off
	global_load_b128 v[134:137], v[78:79], off
	s_movk_i32 s4, 0x70
	v_ashrrev_i32_e32 v85, 31, v84
	v_lshlrev_b64_e32 v[86:87], 4, v[86:87]
	v_add_nc_u32_e32 v88, s11, v84
	v_add_co_u32 v80, vcc_lo, s0, v80
	s_delay_alu instid0(VALU_DEP_4)
	v_lshlrev_b64_e32 v[90:91], 4, v[84:85]
	s_wait_alu 0xfffd
	v_add_co_ci_u32_e64 v81, null, s1, v81, vcc_lo
	v_add_co_u32 v82, vcc_lo, s0, v82
	s_wait_alu 0xfffd
	v_add_co_ci_u32_e64 v83, null, s1, v83, vcc_lo
	v_add_co_u32 v84, vcc_lo, s0, v86
	;; [unrolled: 3-line block ×3, first 2 shown]
	s_wait_alu 0xfffd
	v_add_co_ci_u32_e64 v87, null, s1, v91, vcc_lo
	s_clause 0x2
	global_load_b128 v[138:141], v[80:81], off
	global_load_b128 v[142:145], v[82:83], off
	;; [unrolled: 1-line block ×3, first 2 shown]
	v_add_nc_u32_e32 v92, s11, v88
	global_load_b128 v[150:153], v[86:87], off
	v_ashrrev_i32_e32 v89, 31, v88
	s_movk_i32 s5, 0x80
	s_movk_i32 s8, 0x90
	v_ashrrev_i32_e32 v93, 31, v92
	s_movk_i32 s9, 0xa0
	v_lshlrev_b64_e32 v[88:89], 4, v[88:89]
	s_movk_i32 s10, 0xb0
	s_movk_i32 s52, 0x1c0
	v_lshlrev_b64_e32 v[90:91], 4, v[92:93]
	v_add_nc_u32_e32 v92, s11, v92
	s_movk_i32 s53, 0x1d0
	v_add_co_u32 v88, vcc_lo, s0, v88
	s_wait_alu 0xfffd
	v_add_co_ci_u32_e64 v89, null, s1, v89, vcc_lo
	v_add_nc_u32_e32 v94, s11, v92
	v_ashrrev_i32_e32 v93, 31, v92
	v_add_co_u32 v90, vcc_lo, s0, v90
	s_wait_alu 0xfffd
	v_add_co_ci_u32_e64 v91, null, s1, v91, vcc_lo
	v_add_nc_u32_e32 v96, s11, v94
	v_ashrrev_i32_e32 v95, 31, v94
	v_lshlrev_b64_e32 v[92:93], 4, v[92:93]
	s_clause 0x1
	global_load_b128 v[154:157], v[88:89], off
	global_load_b128 v[158:161], v[90:91], off
	s_movk_i32 s54, 0x1e0
	v_add_nc_u32_e32 v98, s11, v96
	v_ashrrev_i32_e32 v97, 31, v96
	v_lshlrev_b64_e32 v[94:95], 4, v[94:95]
	v_add_co_u32 v92, vcc_lo, s0, v92
	s_delay_alu instid0(VALU_DEP_4)
	v_add_nc_u32_e32 v100, s11, v98
	v_ashrrev_i32_e32 v99, 31, v98
	v_lshlrev_b64_e32 v[96:97], 4, v[96:97]
	s_wait_alu 0xfffd
	v_add_co_ci_u32_e64 v93, null, s1, v93, vcc_lo
	v_add_nc_u32_e32 v102, s11, v100
	v_ashrrev_i32_e32 v101, 31, v100
	v_lshlrev_b64_e32 v[98:99], 4, v[98:99]
	v_add_co_u32 v94, vcc_lo, s0, v94
	s_delay_alu instid0(VALU_DEP_4)
	v_add_nc_u32_e32 v104, s11, v102
	v_ashrrev_i32_e32 v103, 31, v102
	v_lshlrev_b64_e32 v[100:101], 4, v[100:101]
	s_wait_alu 0xfffd
	v_add_co_ci_u32_e64 v95, null, s1, v95, vcc_lo
	v_add_nc_u32_e32 v106, s11, v104
	v_ashrrev_i32_e32 v105, 31, v104
	v_add_co_u32 v96, vcc_lo, s0, v96
	v_lshlrev_b64_e32 v[102:103], 4, v[102:103]
	s_delay_alu instid0(VALU_DEP_4)
	v_add_nc_u32_e32 v108, s11, v106
	v_ashrrev_i32_e32 v107, 31, v106
	s_wait_alu 0xfffd
	v_add_co_ci_u32_e64 v97, null, s1, v97, vcc_lo
	v_add_co_u32 v98, vcc_lo, s0, v98
	v_add_nc_u32_e32 v110, s11, v108
	v_lshlrev_b64_e32 v[104:105], 4, v[104:105]
	v_ashrrev_i32_e32 v109, 31, v108
	s_wait_alu 0xfffd
	v_add_co_ci_u32_e64 v99, null, s1, v99, vcc_lo
	v_add_co_u32 v100, vcc_lo, s0, v100
	v_lshlrev_b64_e32 v[106:107], 4, v[106:107]
	s_wait_alu 0xfffd
	v_add_co_ci_u32_e64 v101, null, s1, v101, vcc_lo
	v_add_co_u32 v102, vcc_lo, s0, v102
	v_add_nc_u32_e32 v112, s11, v110
	s_clause 0x1
	global_load_b128 v[162:165], v[92:93], off
	global_load_b128 v[166:169], v[94:95], off
	s_wait_alu 0xfffd
	v_add_co_ci_u32_e64 v103, null, s1, v103, vcc_lo
	v_add_co_u32 v104, vcc_lo, s0, v104
	s_wait_alu 0xfffd
	v_add_co_ci_u32_e64 v105, null, s1, v105, vcc_lo
	v_add_co_u32 v106, vcc_lo, s0, v106
	v_add_nc_u32_e32 v170, s11, v112
	s_wait_alu 0xfffd
	v_add_co_ci_u32_e64 v107, null, s1, v107, vcc_lo
	v_ashrrev_i32_e32 v111, 31, v110
	v_ashrrev_i32_e32 v113, 31, v112
	;; [unrolled: 1-line block ×3, first 2 shown]
	s_movk_i32 s55, 0x1f0
	s_movk_i32 s56, 0x200
	v_lshlrev_b64_e32 v[110:111], 4, v[110:111]
	s_movk_i32 s57, 0x210
	s_movk_i32 s58, 0x220
	;; [unrolled: 1-line block ×8, first 2 shown]
	s_wait_alu 0xfffe
	s_add_co_i32 s48, s4, 16
	s_add_co_i32 s47, s5, 16
	;; [unrolled: 1-line block ×32, first 2 shown]
	s_mov_b32 s35, 32
	s_mov_b32 s34, 48
	;; [unrolled: 1-line block ×3, first 2 shown]
	s_movk_i32 s31, 0x50
	s_wait_loadcnt 0x18
	scratch_store_b128 off, v[1:4], off offset:16
	s_wait_loadcnt 0x17
	scratch_store_b128 off, v[5:8], off offset:32
	s_clause 0x1
	global_load_b128 v[1:4], v[96:97], off
	global_load_b128 v[5:8], v[98:99], off
	s_wait_loadcnt 0x18
	scratch_store_b128 off, v[9:12], off offset:48
	s_wait_loadcnt 0x17
	scratch_store_b128 off, v[14:17], off offset:64
	;; [unrolled: 2-line block ×3, first 2 shown]
	v_lshlrev_b64_e32 v[18:19], 4, v[108:109]
	s_clause 0x1
	global_load_b128 v[9:12], v[100:101], off
	global_load_b128 v[14:17], v[102:103], off
	v_add_co_u32 v108, vcc_lo, s0, v18
	s_wait_alu 0xfffd
	v_add_co_ci_u32_e64 v109, null, s1, v19, vcc_lo
	v_add_co_u32 v110, vcc_lo, s0, v110
	s_wait_alu 0xfffd
	v_add_co_ci_u32_e64 v111, null, s1, v111, vcc_lo
	s_wait_loadcnt 0x17
	scratch_store_b128 off, v[22:25], off offset:96
	s_wait_loadcnt 0x16
	scratch_store_b128 off, v[26:29], off offset:112
	;; [unrolled: 2-line block ×3, first 2 shown]
	s_clause 0x1
	global_load_b128 v[18:21], v[104:105], off
	global_load_b128 v[22:25], v[106:107], off
	v_lshlrev_b64_e32 v[26:27], 4, v[112:113]
	s_wait_loadcnt 0x16
	scratch_store_b128 off, v[34:37], off offset:144
	v_add_nc_u32_e32 v34, s11, v170
	v_lshlrev_b64_e32 v[36:37], 4, v[170:171]
	s_wait_loadcnt 0x15
	scratch_store_b128 off, v[38:41], off offset:160
	s_wait_loadcnt 0x14
	scratch_store_b128 off, v[42:45], off offset:176
	v_add_nc_u32_e32 v170, s11, v34
	v_ashrrev_i32_e32 v35, 31, v34
	v_add_co_u32 v112, vcc_lo, s0, v26
	s_wait_alu 0xfffd
	v_add_co_ci_u32_e64 v113, null, s1, v27, vcc_lo
	v_ashrrev_i32_e32 v171, 31, v170
	v_add_nc_u32_e32 v42, s11, v170
	v_lshlrev_b64_e32 v[34:35], 4, v[34:35]
	s_clause 0x1
	global_load_b128 v[26:29], v[108:109], off
	global_load_b128 v[30:33], v[110:111], off
	s_wait_loadcnt 0x15
	scratch_store_b128 off, v[114:117], off offset:192
	v_lshlrev_b64_e32 v[44:45], 4, v[170:171]
	v_add_nc_u32_e32 v170, s11, v42
	v_add_co_u32 v114, vcc_lo, s0, v36
	s_wait_loadcnt 0x14
	scratch_store_b128 off, v[118:121], off offset:208
	s_wait_loadcnt 0x13
	scratch_store_b128 off, v[122:125], off offset:224
	s_wait_alu 0xfffd
	v_add_co_ci_u32_e64 v115, null, s1, v37, vcc_lo
	v_add_nc_u32_e32 v122, s11, v170
	v_ashrrev_i32_e32 v43, 31, v42
	v_add_co_u32 v116, vcc_lo, s0, v34
	s_wait_alu 0xfffd
	v_add_co_ci_u32_e64 v117, null, s1, v35, vcc_lo
	s_clause 0x1
	global_load_b128 v[34:37], v[112:113], off
	global_load_b128 v[38:41], v[114:115], off
	v_ashrrev_i32_e32 v171, 31, v170
	s_wait_loadcnt 0x14
	scratch_store_b128 off, v[126:129], off offset:240
	v_add_nc_u32_e32 v126, s11, v122
	v_ashrrev_i32_e32 v123, 31, v122
	v_lshlrev_b64_e32 v[42:43], 4, v[42:43]
	v_lshlrev_b64_e32 v[124:125], 4, v[170:171]
	v_add_co_u32 v118, vcc_lo, s0, v44
	v_add_nc_u32_e32 v170, s11, v126
	v_lshlrev_b64_e32 v[128:129], 4, v[122:123]
	v_ashrrev_i32_e32 v127, 31, v126
	s_wait_alu 0xfffd
	v_add_co_ci_u32_e64 v119, null, s1, v45, vcc_lo
	v_add_co_u32 v120, vcc_lo, s0, v42
	v_ashrrev_i32_e32 v171, 31, v170
	s_wait_alu 0xfffd
	v_add_co_ci_u32_e64 v121, null, s1, v43, vcc_lo
	v_add_co_u32 v122, vcc_lo, s0, v124
	s_wait_alu 0xfffd
	v_add_co_ci_u32_e64 v123, null, s1, v125, vcc_lo
	v_lshlrev_b64_e32 v[126:127], 4, v[126:127]
	v_add_co_u32 v124, vcc_lo, s0, v128
	s_wait_alu 0xfffd
	v_add_co_ci_u32_e64 v125, null, s1, v129, vcc_lo
	v_lshlrev_b64_e32 v[128:129], 4, v[170:171]
	s_delay_alu instid0(VALU_DEP_4)
	v_add_co_u32 v126, vcc_lo, s0, v126
	s_wait_alu 0xfffd
	v_add_co_ci_u32_e64 v127, null, s1, v127, vcc_lo
	s_wait_loadcnt 0x13
	scratch_store_b128 off, v[130:133], off offset:256
	s_wait_loadcnt 0x12
	scratch_store_b128 off, v[134:137], off offset:272
	v_add_co_u32 v128, vcc_lo, s0, v128
	s_wait_alu 0xfffd
	v_add_co_ci_u32_e64 v129, null, s1, v129, vcc_lo
	s_clause 0x1
	global_load_b128 v[42:45], v[116:117], off
	global_load_b128 v[130:133], v[118:119], off
	s_wait_loadcnt 0x13
	scratch_store_b128 off, v[138:141], off offset:288
	s_wait_loadcnt 0x12
	scratch_store_b128 off, v[142:145], off offset:304
	;; [unrolled: 2-line block ×3, first 2 shown]
	s_clause 0x3
	global_load_b128 v[134:137], v[120:121], off
	global_load_b128 v[138:141], v[122:123], off
	;; [unrolled: 1-line block ×4, first 2 shown]
	s_wait_loadcnt 0x14
	scratch_store_b128 off, v[150:153], off offset:336
	global_load_b128 v[150:153], v[128:129], off
	s_movk_i32 s0, 0x50
	s_movk_i32 s1, 0x60
	s_movk_i32 s11, 0xc0
	s_wait_alu 0xfffe
	s_add_co_i32 s50, s0, 16
	s_movk_i32 s0, 0x290
	s_add_co_i32 s49, s1, 16
	s_add_co_i32 s43, s11, 16
	s_add_co_i32 s11, s53, 16
	s_wait_alu 0xfffe
	s_add_co_i32 s36, s0, 16
	s_bitcmp0_b32 s51, 0
	s_mov_b32 s1, -1
	s_wait_loadcnt 0x14
	scratch_store_b128 off, v[154:157], off offset:352
	s_wait_loadcnt 0x13
	scratch_store_b128 off, v[158:161], off offset:368
	;; [unrolled: 2-line block ×21, first 2 shown]
	s_cbranch_scc1 .LBB41_180
; %bb.4:
	v_cmp_eq_u32_e64 s0, 0, v0
	s_and_saveexec_b32 s1, s0
; %bb.5:
	v_mov_b32_e32 v1, 0
	ds_store_b32 v1, v1 offset:1344
; %bb.6:
	s_wait_alu 0xfffe
	s_or_b32 exec_lo, exec_lo, s1
	s_wait_storecnt_dscnt 0x0
	s_barrier_signal -1
	s_barrier_wait -1
	global_inv scope:SCOPE_SE
	scratch_load_b128 v[1:4], v13, off offset:16
	s_wait_loadcnt 0x0
	v_cmp_eq_f64_e32 vcc_lo, 0, v[1:2]
	v_cmp_eq_f64_e64 s1, 0, v[3:4]
	s_and_b32 s1, vcc_lo, s1
	s_wait_alu 0xfffe
	s_and_saveexec_b32 s51, s1
	s_cbranch_execz .LBB41_10
; %bb.7:
	v_mov_b32_e32 v1, 0
	s_mov_b32 s52, 0
	ds_load_b32 v2, v1 offset:1344
	s_wait_dscnt 0x0
	v_readfirstlane_b32 s1, v2
	v_add_nc_u32_e32 v2, 1, v0
	s_cmp_eq_u32 s1, 0
	s_delay_alu instid0(VALU_DEP_1) | instskip(SKIP_1) | instid1(SALU_CYCLE_1)
	v_cmp_gt_i32_e32 vcc_lo, s1, v2
	s_cselect_b32 s53, -1, 0
	s_or_b32 s53, s53, vcc_lo
	s_delay_alu instid0(SALU_CYCLE_1)
	s_and_b32 exec_lo, exec_lo, s53
	s_cbranch_execz .LBB41_10
; %bb.8:
	v_mov_b32_e32 v3, s1
.LBB41_9:                               ; =>This Inner Loop Header: Depth=1
	ds_cmpstore_rtn_b32 v3, v1, v2, v3 offset:1344
	s_wait_dscnt 0x0
	v_cmp_ne_u32_e32 vcc_lo, 0, v3
	v_cmp_le_i32_e64 s1, v3, v2
	s_and_b32 s1, vcc_lo, s1
	s_wait_alu 0xfffe
	s_and_b32 s1, exec_lo, s1
	s_wait_alu 0xfffe
	s_or_b32 s52, s1, s52
	s_delay_alu instid0(SALU_CYCLE_1)
	s_and_not1_b32 exec_lo, exec_lo, s52
	s_cbranch_execnz .LBB41_9
.LBB41_10:
	s_or_b32 exec_lo, exec_lo, s51
	v_mov_b32_e32 v1, 0
	s_barrier_signal -1
	s_barrier_wait -1
	global_inv scope:SCOPE_SE
	ds_load_b32 v2, v1 offset:1344
	s_and_saveexec_b32 s1, s0
	s_cbranch_execz .LBB41_12
; %bb.11:
	s_lshl_b64 s[52:53], s[16:17], 2
	s_delay_alu instid0(SALU_CYCLE_1)
	s_add_nc_u64 s[52:53], s[6:7], s[52:53]
	s_wait_dscnt 0x0
	global_store_b32 v1, v2, s[52:53]
.LBB41_12:
	s_wait_alu 0xfffe
	s_or_b32 exec_lo, exec_lo, s1
	s_wait_dscnt 0x0
	v_cmp_ne_u32_e32 vcc_lo, 0, v2
	s_mov_b32 s1, 0
	s_cbranch_vccnz .LBB41_180
; %bb.13:
	v_add_nc_u32_e32 v14, 16, v13
                                        ; implicit-def: $vgpr1_vgpr2
                                        ; implicit-def: $vgpr9_vgpr10
	scratch_load_b128 v[5:8], v14, off
	s_wait_loadcnt 0x0
	v_cmp_ngt_f64_e64 s1, |v[5:6]|, |v[7:8]|
	s_wait_alu 0xfffe
	s_and_saveexec_b32 s51, s1
	s_delay_alu instid0(SALU_CYCLE_1)
	s_xor_b32 s1, exec_lo, s51
	s_cbranch_execz .LBB41_15
; %bb.14:
	v_div_scale_f64 v[1:2], null, v[7:8], v[7:8], v[5:6]
	v_div_scale_f64 v[11:12], vcc_lo, v[5:6], v[7:8], v[5:6]
	s_delay_alu instid0(VALU_DEP_2) | instskip(NEXT) | instid1(TRANS32_DEP_1)
	v_rcp_f64_e32 v[3:4], v[1:2]
	v_fma_f64 v[9:10], -v[1:2], v[3:4], 1.0
	s_delay_alu instid0(VALU_DEP_1) | instskip(NEXT) | instid1(VALU_DEP_1)
	v_fma_f64 v[3:4], v[3:4], v[9:10], v[3:4]
	v_fma_f64 v[9:10], -v[1:2], v[3:4], 1.0
	s_delay_alu instid0(VALU_DEP_1) | instskip(NEXT) | instid1(VALU_DEP_1)
	v_fma_f64 v[3:4], v[3:4], v[9:10], v[3:4]
	v_mul_f64_e32 v[9:10], v[11:12], v[3:4]
	s_delay_alu instid0(VALU_DEP_1) | instskip(SKIP_1) | instid1(VALU_DEP_1)
	v_fma_f64 v[1:2], -v[1:2], v[9:10], v[11:12]
	s_wait_alu 0xfffd
	v_div_fmas_f64 v[1:2], v[1:2], v[3:4], v[9:10]
	s_delay_alu instid0(VALU_DEP_1) | instskip(NEXT) | instid1(VALU_DEP_1)
	v_div_fixup_f64 v[1:2], v[1:2], v[7:8], v[5:6]
	v_fma_f64 v[3:4], v[5:6], v[1:2], v[7:8]
	s_delay_alu instid0(VALU_DEP_1) | instskip(SKIP_1) | instid1(VALU_DEP_2)
	v_div_scale_f64 v[5:6], null, v[3:4], v[3:4], 1.0
	v_div_scale_f64 v[11:12], vcc_lo, 1.0, v[3:4], 1.0
	v_rcp_f64_e32 v[7:8], v[5:6]
	s_delay_alu instid0(TRANS32_DEP_1) | instskip(NEXT) | instid1(VALU_DEP_1)
	v_fma_f64 v[9:10], -v[5:6], v[7:8], 1.0
	v_fma_f64 v[7:8], v[7:8], v[9:10], v[7:8]
	s_delay_alu instid0(VALU_DEP_1) | instskip(NEXT) | instid1(VALU_DEP_1)
	v_fma_f64 v[9:10], -v[5:6], v[7:8], 1.0
	v_fma_f64 v[7:8], v[7:8], v[9:10], v[7:8]
	s_delay_alu instid0(VALU_DEP_1) | instskip(NEXT) | instid1(VALU_DEP_1)
	v_mul_f64_e32 v[9:10], v[11:12], v[7:8]
	v_fma_f64 v[5:6], -v[5:6], v[9:10], v[11:12]
	s_wait_alu 0xfffd
	s_delay_alu instid0(VALU_DEP_1) | instskip(NEXT) | instid1(VALU_DEP_1)
	v_div_fmas_f64 v[5:6], v[5:6], v[7:8], v[9:10]
	v_div_fixup_f64 v[3:4], v[5:6], v[3:4], 1.0
                                        ; implicit-def: $vgpr5_vgpr6
	s_delay_alu instid0(VALU_DEP_1) | instskip(SKIP_1) | instid1(VALU_DEP_2)
	v_mul_f64_e32 v[1:2], v[1:2], v[3:4]
	v_xor_b32_e32 v4, 0x80000000, v4
	v_xor_b32_e32 v10, 0x80000000, v2
	s_delay_alu instid0(VALU_DEP_3)
	v_mov_b32_e32 v9, v1
.LBB41_15:
	s_wait_alu 0xfffe
	s_and_not1_saveexec_b32 s1, s1
	s_cbranch_execz .LBB41_17
; %bb.16:
	v_div_scale_f64 v[1:2], null, v[5:6], v[5:6], v[7:8]
	v_div_scale_f64 v[11:12], vcc_lo, v[7:8], v[5:6], v[7:8]
	s_delay_alu instid0(VALU_DEP_2) | instskip(NEXT) | instid1(TRANS32_DEP_1)
	v_rcp_f64_e32 v[3:4], v[1:2]
	v_fma_f64 v[9:10], -v[1:2], v[3:4], 1.0
	s_delay_alu instid0(VALU_DEP_1) | instskip(NEXT) | instid1(VALU_DEP_1)
	v_fma_f64 v[3:4], v[3:4], v[9:10], v[3:4]
	v_fma_f64 v[9:10], -v[1:2], v[3:4], 1.0
	s_delay_alu instid0(VALU_DEP_1) | instskip(NEXT) | instid1(VALU_DEP_1)
	v_fma_f64 v[3:4], v[3:4], v[9:10], v[3:4]
	v_mul_f64_e32 v[9:10], v[11:12], v[3:4]
	s_delay_alu instid0(VALU_DEP_1) | instskip(SKIP_1) | instid1(VALU_DEP_1)
	v_fma_f64 v[1:2], -v[1:2], v[9:10], v[11:12]
	s_wait_alu 0xfffd
	v_div_fmas_f64 v[1:2], v[1:2], v[3:4], v[9:10]
	s_delay_alu instid0(VALU_DEP_1) | instskip(NEXT) | instid1(VALU_DEP_1)
	v_div_fixup_f64 v[3:4], v[1:2], v[5:6], v[7:8]
	v_fma_f64 v[1:2], v[7:8], v[3:4], v[5:6]
	s_delay_alu instid0(VALU_DEP_1) | instskip(NEXT) | instid1(VALU_DEP_1)
	v_div_scale_f64 v[5:6], null, v[1:2], v[1:2], 1.0
	v_rcp_f64_e32 v[7:8], v[5:6]
	s_delay_alu instid0(TRANS32_DEP_1) | instskip(NEXT) | instid1(VALU_DEP_1)
	v_fma_f64 v[9:10], -v[5:6], v[7:8], 1.0
	v_fma_f64 v[7:8], v[7:8], v[9:10], v[7:8]
	s_delay_alu instid0(VALU_DEP_1) | instskip(NEXT) | instid1(VALU_DEP_1)
	v_fma_f64 v[9:10], -v[5:6], v[7:8], 1.0
	v_fma_f64 v[7:8], v[7:8], v[9:10], v[7:8]
	v_div_scale_f64 v[9:10], vcc_lo, 1.0, v[1:2], 1.0
	s_delay_alu instid0(VALU_DEP_1) | instskip(NEXT) | instid1(VALU_DEP_1)
	v_mul_f64_e32 v[11:12], v[9:10], v[7:8]
	v_fma_f64 v[5:6], -v[5:6], v[11:12], v[9:10]
	s_wait_alu 0xfffd
	s_delay_alu instid0(VALU_DEP_1) | instskip(NEXT) | instid1(VALU_DEP_1)
	v_div_fmas_f64 v[5:6], v[5:6], v[7:8], v[11:12]
	v_div_fixup_f64 v[1:2], v[5:6], v[1:2], 1.0
	s_delay_alu instid0(VALU_DEP_1)
	v_mul_f64_e64 v[3:4], v[3:4], -v[1:2]
	v_xor_b32_e32 v10, 0x80000000, v2
	v_mov_b32_e32 v9, v1
.LBB41_17:
	s_wait_alu 0xfffe
	s_or_b32 exec_lo, exec_lo, s1
	scratch_store_b128 v14, v[1:4], off
	scratch_load_b128 v[15:18], off, s35
	v_xor_b32_e32 v12, 0x80000000, v4
	v_mov_b32_e32 v11, v3
	v_add_nc_u32_e32 v5, 0x2a0, v13
	ds_store_b128 v13, v[9:12]
	s_wait_loadcnt 0x0
	ds_store_b128 v13, v[15:18] offset:672
	s_wait_storecnt_dscnt 0x0
	s_barrier_signal -1
	s_barrier_wait -1
	global_inv scope:SCOPE_SE
	s_and_saveexec_b32 s1, s0
	s_cbranch_execz .LBB41_19
; %bb.18:
	scratch_load_b128 v[1:4], v14, off
	ds_load_b128 v[6:9], v5
	v_mov_b32_e32 v10, 0
	ds_load_b128 v[15:18], v10 offset:16
	s_wait_loadcnt_dscnt 0x1
	v_mul_f64_e32 v[10:11], v[6:7], v[3:4]
	v_mul_f64_e32 v[3:4], v[8:9], v[3:4]
	s_delay_alu instid0(VALU_DEP_2) | instskip(NEXT) | instid1(VALU_DEP_2)
	v_fma_f64 v[8:9], v[8:9], v[1:2], v[10:11]
	v_fma_f64 v[1:2], v[6:7], v[1:2], -v[3:4]
	s_delay_alu instid0(VALU_DEP_2) | instskip(NEXT) | instid1(VALU_DEP_2)
	v_add_f64_e32 v[3:4], 0, v[8:9]
	v_add_f64_e32 v[1:2], 0, v[1:2]
	s_wait_dscnt 0x0
	s_delay_alu instid0(VALU_DEP_2) | instskip(NEXT) | instid1(VALU_DEP_2)
	v_mul_f64_e32 v[6:7], v[3:4], v[17:18]
	v_mul_f64_e32 v[8:9], v[1:2], v[17:18]
	s_delay_alu instid0(VALU_DEP_2) | instskip(NEXT) | instid1(VALU_DEP_2)
	v_fma_f64 v[1:2], v[1:2], v[15:16], -v[6:7]
	v_fma_f64 v[3:4], v[3:4], v[15:16], v[8:9]
	scratch_store_b128 off, v[1:4], off offset:32
.LBB41_19:
	s_wait_alu 0xfffe
	s_or_b32 exec_lo, exec_lo, s1
	s_wait_loadcnt 0x0
	s_wait_storecnt 0x0
	s_barrier_signal -1
	s_barrier_wait -1
	global_inv scope:SCOPE_SE
	scratch_load_b128 v[1:4], off, s34
	s_mov_b32 s1, exec_lo
	s_wait_loadcnt 0x0
	ds_store_b128 v5, v[1:4]
	s_wait_dscnt 0x0
	s_barrier_signal -1
	s_barrier_wait -1
	global_inv scope:SCOPE_SE
	v_cmpx_gt_u32_e32 2, v0
	s_cbranch_execz .LBB41_23
; %bb.20:
	scratch_load_b128 v[1:4], v14, off
	ds_load_b128 v[6:9], v5
	s_wait_loadcnt_dscnt 0x0
	v_mul_f64_e32 v[10:11], v[8:9], v[3:4]
	v_mul_f64_e32 v[3:4], v[6:7], v[3:4]
	s_delay_alu instid0(VALU_DEP_2) | instskip(NEXT) | instid1(VALU_DEP_2)
	v_fma_f64 v[6:7], v[6:7], v[1:2], -v[10:11]
	v_fma_f64 v[3:4], v[8:9], v[1:2], v[3:4]
	s_delay_alu instid0(VALU_DEP_2) | instskip(NEXT) | instid1(VALU_DEP_2)
	v_add_f64_e32 v[1:2], 0, v[6:7]
	v_add_f64_e32 v[3:4], 0, v[3:4]
	s_and_saveexec_b32 s51, s0
	s_cbranch_execz .LBB41_22
; %bb.21:
	scratch_load_b128 v[6:9], off, off offset:32
	v_mov_b32_e32 v10, 0
	ds_load_b128 v[15:18], v10 offset:688
	s_wait_loadcnt_dscnt 0x0
	v_mul_f64_e32 v[10:11], v[15:16], v[8:9]
	v_mul_f64_e32 v[8:9], v[17:18], v[8:9]
	s_delay_alu instid0(VALU_DEP_2) | instskip(NEXT) | instid1(VALU_DEP_2)
	v_fma_f64 v[10:11], v[17:18], v[6:7], v[10:11]
	v_fma_f64 v[6:7], v[15:16], v[6:7], -v[8:9]
	s_delay_alu instid0(VALU_DEP_2) | instskip(NEXT) | instid1(VALU_DEP_2)
	v_add_f64_e32 v[3:4], v[3:4], v[10:11]
	v_add_f64_e32 v[1:2], v[1:2], v[6:7]
.LBB41_22:
	s_or_b32 exec_lo, exec_lo, s51
	v_mov_b32_e32 v6, 0
	ds_load_b128 v[6:9], v6 offset:32
	s_wait_dscnt 0x0
	v_mul_f64_e32 v[10:11], v[3:4], v[8:9]
	v_mul_f64_e32 v[8:9], v[1:2], v[8:9]
	s_delay_alu instid0(VALU_DEP_2) | instskip(NEXT) | instid1(VALU_DEP_2)
	v_fma_f64 v[1:2], v[1:2], v[6:7], -v[10:11]
	v_fma_f64 v[3:4], v[3:4], v[6:7], v[8:9]
	scratch_store_b128 off, v[1:4], off offset:48
.LBB41_23:
	s_wait_alu 0xfffe
	s_or_b32 exec_lo, exec_lo, s1
	s_wait_loadcnt 0x0
	s_wait_storecnt 0x0
	s_barrier_signal -1
	s_barrier_wait -1
	global_inv scope:SCOPE_SE
	scratch_load_b128 v[1:4], off, s33
	v_add_nc_u32_e32 v6, -1, v0
	s_mov_b32 s0, exec_lo
	s_wait_loadcnt 0x0
	ds_store_b128 v5, v[1:4]
	s_wait_dscnt 0x0
	s_barrier_signal -1
	s_barrier_wait -1
	global_inv scope:SCOPE_SE
	v_cmpx_gt_u32_e32 3, v0
	s_cbranch_execz .LBB41_27
; %bb.24:
	v_dual_mov_b32 v1, 0 :: v_dual_add_nc_u32 v8, 0x2a0, v13
	v_mov_b32_e32 v3, 0
	v_dual_mov_b32 v2, 0 :: v_dual_add_nc_u32 v7, -1, v0
	v_mov_b32_e32 v4, 0
	v_or_b32_e32 v9, 8, v14
	s_mov_b32 s1, 0
.LBB41_25:                              ; =>This Inner Loop Header: Depth=1
	scratch_load_b128 v[15:18], v9, off offset:-8
	ds_load_b128 v[19:22], v8
	v_add_nc_u32_e32 v7, 1, v7
	v_add_nc_u32_e32 v8, 16, v8
	v_add_nc_u32_e32 v9, 16, v9
	s_delay_alu instid0(VALU_DEP_3)
	v_cmp_lt_u32_e32 vcc_lo, 1, v7
	s_wait_alu 0xfffe
	s_or_b32 s1, vcc_lo, s1
	s_wait_loadcnt_dscnt 0x0
	v_mul_f64_e32 v[10:11], v[21:22], v[17:18]
	v_mul_f64_e32 v[17:18], v[19:20], v[17:18]
	s_delay_alu instid0(VALU_DEP_2) | instskip(NEXT) | instid1(VALU_DEP_2)
	v_fma_f64 v[10:11], v[19:20], v[15:16], -v[10:11]
	v_fma_f64 v[15:16], v[21:22], v[15:16], v[17:18]
	s_delay_alu instid0(VALU_DEP_2) | instskip(NEXT) | instid1(VALU_DEP_2)
	v_add_f64_e32 v[3:4], v[3:4], v[10:11]
	v_add_f64_e32 v[1:2], v[1:2], v[15:16]
	s_wait_alu 0xfffe
	s_and_not1_b32 exec_lo, exec_lo, s1
	s_cbranch_execnz .LBB41_25
; %bb.26:
	s_or_b32 exec_lo, exec_lo, s1
	v_mov_b32_e32 v7, 0
	ds_load_b128 v[7:10], v7 offset:48
	s_wait_dscnt 0x0
	v_mul_f64_e32 v[11:12], v[1:2], v[9:10]
	v_mul_f64_e32 v[15:16], v[3:4], v[9:10]
	s_delay_alu instid0(VALU_DEP_2) | instskip(NEXT) | instid1(VALU_DEP_2)
	v_fma_f64 v[9:10], v[3:4], v[7:8], -v[11:12]
	v_fma_f64 v[11:12], v[1:2], v[7:8], v[15:16]
	scratch_store_b128 off, v[9:12], off offset:64
.LBB41_27:
	s_wait_alu 0xfffe
	s_or_b32 exec_lo, exec_lo, s0
	s_wait_loadcnt 0x0
	s_wait_storecnt 0x0
	s_barrier_signal -1
	s_barrier_wait -1
	global_inv scope:SCOPE_SE
	scratch_load_b128 v[1:4], off, s31
	s_mov_b32 s0, exec_lo
	s_wait_loadcnt 0x0
	ds_store_b128 v5, v[1:4]
	s_wait_dscnt 0x0
	s_barrier_signal -1
	s_barrier_wait -1
	global_inv scope:SCOPE_SE
	v_cmpx_gt_u32_e32 4, v0
	s_cbranch_execz .LBB41_31
; %bb.28:
	v_dual_mov_b32 v1, 0 :: v_dual_add_nc_u32 v8, 0x2a0, v13
	v_mov_b32_e32 v3, 0
	v_dual_mov_b32 v2, 0 :: v_dual_add_nc_u32 v7, -1, v0
	v_mov_b32_e32 v4, 0
	v_or_b32_e32 v9, 8, v14
	s_mov_b32 s1, 0
.LBB41_29:                              ; =>This Inner Loop Header: Depth=1
	scratch_load_b128 v[15:18], v9, off offset:-8
	ds_load_b128 v[19:22], v8
	v_add_nc_u32_e32 v7, 1, v7
	v_add_nc_u32_e32 v8, 16, v8
	v_add_nc_u32_e32 v9, 16, v9
	s_delay_alu instid0(VALU_DEP_3)
	v_cmp_lt_u32_e32 vcc_lo, 2, v7
	s_wait_alu 0xfffe
	s_or_b32 s1, vcc_lo, s1
	s_wait_loadcnt_dscnt 0x0
	v_mul_f64_e32 v[10:11], v[21:22], v[17:18]
	v_mul_f64_e32 v[17:18], v[19:20], v[17:18]
	s_delay_alu instid0(VALU_DEP_2) | instskip(NEXT) | instid1(VALU_DEP_2)
	v_fma_f64 v[10:11], v[19:20], v[15:16], -v[10:11]
	v_fma_f64 v[15:16], v[21:22], v[15:16], v[17:18]
	s_delay_alu instid0(VALU_DEP_2) | instskip(NEXT) | instid1(VALU_DEP_2)
	v_add_f64_e32 v[3:4], v[3:4], v[10:11]
	v_add_f64_e32 v[1:2], v[1:2], v[15:16]
	s_wait_alu 0xfffe
	s_and_not1_b32 exec_lo, exec_lo, s1
	s_cbranch_execnz .LBB41_29
; %bb.30:
	s_or_b32 exec_lo, exec_lo, s1
	v_mov_b32_e32 v7, 0
	ds_load_b128 v[7:10], v7 offset:64
	s_wait_dscnt 0x0
	v_mul_f64_e32 v[11:12], v[1:2], v[9:10]
	v_mul_f64_e32 v[15:16], v[3:4], v[9:10]
	s_delay_alu instid0(VALU_DEP_2) | instskip(NEXT) | instid1(VALU_DEP_2)
	v_fma_f64 v[9:10], v[3:4], v[7:8], -v[11:12]
	v_fma_f64 v[11:12], v[1:2], v[7:8], v[15:16]
	scratch_store_b128 off, v[9:12], off offset:80
.LBB41_31:
	s_wait_alu 0xfffe
	s_or_b32 exec_lo, exec_lo, s0
	s_wait_loadcnt 0x0
	s_wait_storecnt 0x0
	s_barrier_signal -1
	s_barrier_wait -1
	global_inv scope:SCOPE_SE
	scratch_load_b128 v[1:4], off, s50
	;; [unrolled: 58-line block ×19, first 2 shown]
	s_mov_b32 s0, exec_lo
	s_wait_loadcnt 0x0
	ds_store_b128 v5, v[1:4]
	s_wait_dscnt 0x0
	s_barrier_signal -1
	s_barrier_wait -1
	global_inv scope:SCOPE_SE
	v_cmpx_gt_u32_e32 22, v0
	s_cbranch_execz .LBB41_103
; %bb.100:
	v_dual_mov_b32 v1, 0 :: v_dual_add_nc_u32 v8, 0x2a0, v13
	v_mov_b32_e32 v3, 0
	v_dual_mov_b32 v2, 0 :: v_dual_add_nc_u32 v7, -1, v0
	v_mov_b32_e32 v4, 0
	v_or_b32_e32 v9, 8, v14
	s_mov_b32 s1, 0
.LBB41_101:                             ; =>This Inner Loop Header: Depth=1
	scratch_load_b128 v[15:18], v9, off offset:-8
	ds_load_b128 v[19:22], v8
	v_add_nc_u32_e32 v7, 1, v7
	v_add_nc_u32_e32 v8, 16, v8
	v_add_nc_u32_e32 v9, 16, v9
	s_delay_alu instid0(VALU_DEP_3)
	v_cmp_lt_u32_e32 vcc_lo, 20, v7
	s_wait_alu 0xfffe
	s_or_b32 s1, vcc_lo, s1
	s_wait_loadcnt_dscnt 0x0
	v_mul_f64_e32 v[10:11], v[21:22], v[17:18]
	v_mul_f64_e32 v[17:18], v[19:20], v[17:18]
	s_delay_alu instid0(VALU_DEP_2) | instskip(NEXT) | instid1(VALU_DEP_2)
	v_fma_f64 v[10:11], v[19:20], v[15:16], -v[10:11]
	v_fma_f64 v[15:16], v[21:22], v[15:16], v[17:18]
	s_delay_alu instid0(VALU_DEP_2) | instskip(NEXT) | instid1(VALU_DEP_2)
	v_add_f64_e32 v[3:4], v[3:4], v[10:11]
	v_add_f64_e32 v[1:2], v[1:2], v[15:16]
	s_wait_alu 0xfffe
	s_and_not1_b32 exec_lo, exec_lo, s1
	s_cbranch_execnz .LBB41_101
; %bb.102:
	s_or_b32 exec_lo, exec_lo, s1
	v_mov_b32_e32 v7, 0
	ds_load_b128 v[7:10], v7 offset:352
	s_wait_dscnt 0x0
	v_mul_f64_e32 v[11:12], v[1:2], v[9:10]
	v_mul_f64_e32 v[15:16], v[3:4], v[9:10]
	s_delay_alu instid0(VALU_DEP_2) | instskip(NEXT) | instid1(VALU_DEP_2)
	v_fma_f64 v[9:10], v[3:4], v[7:8], -v[11:12]
	v_fma_f64 v[11:12], v[1:2], v[7:8], v[15:16]
	scratch_store_b128 off, v[9:12], off offset:368
.LBB41_103:
	s_wait_alu 0xfffe
	s_or_b32 exec_lo, exec_lo, s0
	s_wait_loadcnt 0x0
	s_wait_storecnt 0x0
	s_barrier_signal -1
	s_barrier_wait -1
	global_inv scope:SCOPE_SE
	scratch_load_b128 v[1:4], off, s20
	s_mov_b32 s0, exec_lo
	s_wait_loadcnt 0x0
	ds_store_b128 v5, v[1:4]
	s_wait_dscnt 0x0
	s_barrier_signal -1
	s_barrier_wait -1
	global_inv scope:SCOPE_SE
	v_cmpx_gt_u32_e32 23, v0
	s_cbranch_execz .LBB41_107
; %bb.104:
	v_dual_mov_b32 v1, 0 :: v_dual_add_nc_u32 v8, 0x2a0, v13
	v_mov_b32_e32 v3, 0
	v_dual_mov_b32 v2, 0 :: v_dual_add_nc_u32 v7, -1, v0
	v_mov_b32_e32 v4, 0
	v_or_b32_e32 v9, 8, v14
	s_mov_b32 s1, 0
.LBB41_105:                             ; =>This Inner Loop Header: Depth=1
	scratch_load_b128 v[15:18], v9, off offset:-8
	ds_load_b128 v[19:22], v8
	v_add_nc_u32_e32 v7, 1, v7
	v_add_nc_u32_e32 v8, 16, v8
	v_add_nc_u32_e32 v9, 16, v9
	s_delay_alu instid0(VALU_DEP_3)
	v_cmp_lt_u32_e32 vcc_lo, 21, v7
	s_wait_alu 0xfffe
	s_or_b32 s1, vcc_lo, s1
	s_wait_loadcnt_dscnt 0x0
	v_mul_f64_e32 v[10:11], v[21:22], v[17:18]
	v_mul_f64_e32 v[17:18], v[19:20], v[17:18]
	s_delay_alu instid0(VALU_DEP_2) | instskip(NEXT) | instid1(VALU_DEP_2)
	v_fma_f64 v[10:11], v[19:20], v[15:16], -v[10:11]
	v_fma_f64 v[15:16], v[21:22], v[15:16], v[17:18]
	s_delay_alu instid0(VALU_DEP_2) | instskip(NEXT) | instid1(VALU_DEP_2)
	v_add_f64_e32 v[3:4], v[3:4], v[10:11]
	v_add_f64_e32 v[1:2], v[1:2], v[15:16]
	s_wait_alu 0xfffe
	s_and_not1_b32 exec_lo, exec_lo, s1
	s_cbranch_execnz .LBB41_105
; %bb.106:
	s_or_b32 exec_lo, exec_lo, s1
	v_mov_b32_e32 v7, 0
	ds_load_b128 v[7:10], v7 offset:368
	s_wait_dscnt 0x0
	v_mul_f64_e32 v[11:12], v[1:2], v[9:10]
	v_mul_f64_e32 v[15:16], v[3:4], v[9:10]
	s_delay_alu instid0(VALU_DEP_2) | instskip(NEXT) | instid1(VALU_DEP_2)
	v_fma_f64 v[9:10], v[3:4], v[7:8], -v[11:12]
	v_fma_f64 v[11:12], v[1:2], v[7:8], v[15:16]
	scratch_store_b128 off, v[9:12], off offset:384
.LBB41_107:
	s_wait_alu 0xfffe
	s_or_b32 exec_lo, exec_lo, s0
	s_wait_loadcnt 0x0
	s_wait_storecnt 0x0
	s_barrier_signal -1
	s_barrier_wait -1
	global_inv scope:SCOPE_SE
	scratch_load_b128 v[1:4], off, s21
	;; [unrolled: 58-line block ×19, first 2 shown]
	s_mov_b32 s0, exec_lo
	s_wait_loadcnt 0x0
	ds_store_b128 v5, v[1:4]
	s_wait_dscnt 0x0
	s_barrier_signal -1
	s_barrier_wait -1
	global_inv scope:SCOPE_SE
	v_cmpx_ne_u32_e32 41, v0
	s_cbranch_execz .LBB41_179
; %bb.176:
	v_mov_b32_e32 v1, 0
	v_dual_mov_b32 v2, 0 :: v_dual_mov_b32 v3, 0
	v_mov_b32_e32 v4, 0
	v_or_b32_e32 v7, 8, v14
	s_mov_b32 s1, 0
.LBB41_177:                             ; =>This Inner Loop Header: Depth=1
	scratch_load_b128 v[8:11], v7, off offset:-8
	ds_load_b128 v[12:15], v5
	v_add_nc_u32_e32 v6, 1, v6
	v_add_nc_u32_e32 v5, 16, v5
	;; [unrolled: 1-line block ×3, first 2 shown]
	s_delay_alu instid0(VALU_DEP_3)
	v_cmp_lt_u32_e32 vcc_lo, 39, v6
	s_wait_alu 0xfffe
	s_or_b32 s1, vcc_lo, s1
	s_wait_loadcnt_dscnt 0x0
	v_mul_f64_e32 v[16:17], v[14:15], v[10:11]
	v_mul_f64_e32 v[10:11], v[12:13], v[10:11]
	s_delay_alu instid0(VALU_DEP_2) | instskip(NEXT) | instid1(VALU_DEP_2)
	v_fma_f64 v[12:13], v[12:13], v[8:9], -v[16:17]
	v_fma_f64 v[8:9], v[14:15], v[8:9], v[10:11]
	s_delay_alu instid0(VALU_DEP_2) | instskip(NEXT) | instid1(VALU_DEP_2)
	v_add_f64_e32 v[3:4], v[3:4], v[12:13]
	v_add_f64_e32 v[1:2], v[1:2], v[8:9]
	s_wait_alu 0xfffe
	s_and_not1_b32 exec_lo, exec_lo, s1
	s_cbranch_execnz .LBB41_177
; %bb.178:
	s_or_b32 exec_lo, exec_lo, s1
	v_mov_b32_e32 v5, 0
	ds_load_b128 v[5:8], v5 offset:656
	s_wait_dscnt 0x0
	v_mul_f64_e32 v[9:10], v[1:2], v[7:8]
	v_mul_f64_e32 v[7:8], v[3:4], v[7:8]
	s_delay_alu instid0(VALU_DEP_2) | instskip(NEXT) | instid1(VALU_DEP_2)
	v_fma_f64 v[3:4], v[3:4], v[5:6], -v[9:10]
	v_fma_f64 v[5:6], v[1:2], v[5:6], v[7:8]
	scratch_store_b128 off, v[3:6], off offset:672
.LBB41_179:
	s_wait_alu 0xfffe
	s_or_b32 exec_lo, exec_lo, s0
	s_mov_b32 s1, -1
	s_wait_loadcnt 0x0
	s_wait_storecnt 0x0
	s_barrier_signal -1
	s_barrier_wait -1
	global_inv scope:SCOPE_SE
.LBB41_180:
	s_wait_alu 0xfffe
	s_and_b32 vcc_lo, exec_lo, s1
	s_wait_alu 0xfffe
	s_cbranch_vccz .LBB41_182
; %bb.181:
	v_mov_b32_e32 v1, 0
	s_lshl_b64 s[0:1], s[16:17], 2
	s_wait_alu 0xfffe
	s_add_nc_u64 s[0:1], s[6:7], s[0:1]
	global_load_b32 v1, v1, s[0:1]
	s_wait_loadcnt 0x0
	v_cmp_ne_u32_e32 vcc_lo, 0, v1
	s_cbranch_vccz .LBB41_183
.LBB41_182:
	s_nop 0
	s_sendmsg sendmsg(MSG_DEALLOC_VGPRS)
	s_endpgm
.LBB41_183:
	v_lshl_add_u32 v130, v0, 4, 0x2a0
	s_mov_b32 s0, exec_lo
	v_cmpx_eq_u32_e32 41, v0
	s_cbranch_execz .LBB41_185
; %bb.184:
	scratch_load_b128 v[1:4], off, s29
	v_mov_b32_e32 v5, 0
	s_delay_alu instid0(VALU_DEP_1)
	v_dual_mov_b32 v6, v5 :: v_dual_mov_b32 v7, v5
	v_mov_b32_e32 v8, v5
	scratch_store_b128 off, v[5:8], off offset:656
	s_wait_loadcnt 0x0
	ds_store_b128 v130, v[1:4]
.LBB41_185:
	s_wait_alu 0xfffe
	s_or_b32 exec_lo, exec_lo, s0
	s_wait_storecnt_dscnt 0x0
	s_barrier_signal -1
	s_barrier_wait -1
	global_inv scope:SCOPE_SE
	s_clause 0x1
	scratch_load_b128 v[2:5], off, off offset:672
	scratch_load_b128 v[6:9], off, off offset:656
	v_mov_b32_e32 v1, 0
	s_mov_b32 s0, exec_lo
	ds_load_b128 v[10:13], v1 offset:1328
	s_wait_loadcnt_dscnt 0x100
	v_mul_f64_e32 v[14:15], v[12:13], v[4:5]
	v_mul_f64_e32 v[4:5], v[10:11], v[4:5]
	s_delay_alu instid0(VALU_DEP_2) | instskip(NEXT) | instid1(VALU_DEP_2)
	v_fma_f64 v[10:11], v[10:11], v[2:3], -v[14:15]
	v_fma_f64 v[2:3], v[12:13], v[2:3], v[4:5]
	s_delay_alu instid0(VALU_DEP_2) | instskip(NEXT) | instid1(VALU_DEP_2)
	v_add_f64_e32 v[4:5], 0, v[10:11]
	v_add_f64_e32 v[10:11], 0, v[2:3]
	s_wait_loadcnt 0x0
	s_delay_alu instid0(VALU_DEP_2) | instskip(NEXT) | instid1(VALU_DEP_2)
	v_add_f64_e64 v[2:3], v[6:7], -v[4:5]
	v_add_f64_e64 v[4:5], v[8:9], -v[10:11]
	scratch_store_b128 off, v[2:5], off offset:656
	v_cmpx_lt_u32_e32 39, v0
	s_cbranch_execz .LBB41_187
; %bb.186:
	scratch_load_b128 v[5:8], off, s26
	v_dual_mov_b32 v2, v1 :: v_dual_mov_b32 v3, v1
	v_mov_b32_e32 v4, v1
	scratch_store_b128 off, v[1:4], off offset:640
	s_wait_loadcnt 0x0
	ds_store_b128 v130, v[5:8]
.LBB41_187:
	s_wait_alu 0xfffe
	s_or_b32 exec_lo, exec_lo, s0
	s_wait_storecnt_dscnt 0x0
	s_barrier_signal -1
	s_barrier_wait -1
	global_inv scope:SCOPE_SE
	s_clause 0x2
	scratch_load_b128 v[2:5], off, off offset:656
	scratch_load_b128 v[6:9], off, off offset:672
	;; [unrolled: 1-line block ×3, first 2 shown]
	ds_load_b128 v[14:17], v1 offset:1312
	ds_load_b128 v[18:21], v1 offset:1328
	s_mov_b32 s0, exec_lo
	s_wait_loadcnt_dscnt 0x201
	v_mul_f64_e32 v[22:23], v[16:17], v[4:5]
	v_mul_f64_e32 v[4:5], v[14:15], v[4:5]
	s_wait_loadcnt_dscnt 0x100
	v_mul_f64_e32 v[24:25], v[18:19], v[8:9]
	v_mul_f64_e32 v[8:9], v[20:21], v[8:9]
	s_delay_alu instid0(VALU_DEP_4) | instskip(NEXT) | instid1(VALU_DEP_4)
	v_fma_f64 v[14:15], v[14:15], v[2:3], -v[22:23]
	v_fma_f64 v[1:2], v[16:17], v[2:3], v[4:5]
	s_delay_alu instid0(VALU_DEP_4) | instskip(NEXT) | instid1(VALU_DEP_4)
	v_fma_f64 v[3:4], v[20:21], v[6:7], v[24:25]
	v_fma_f64 v[5:6], v[18:19], v[6:7], -v[8:9]
	s_delay_alu instid0(VALU_DEP_4) | instskip(NEXT) | instid1(VALU_DEP_4)
	v_add_f64_e32 v[7:8], 0, v[14:15]
	v_add_f64_e32 v[1:2], 0, v[1:2]
	s_delay_alu instid0(VALU_DEP_2) | instskip(NEXT) | instid1(VALU_DEP_2)
	v_add_f64_e32 v[5:6], v[7:8], v[5:6]
	v_add_f64_e32 v[3:4], v[1:2], v[3:4]
	s_wait_loadcnt 0x0
	s_delay_alu instid0(VALU_DEP_2) | instskip(NEXT) | instid1(VALU_DEP_2)
	v_add_f64_e64 v[1:2], v[10:11], -v[5:6]
	v_add_f64_e64 v[3:4], v[12:13], -v[3:4]
	scratch_store_b128 off, v[1:4], off offset:640
	v_cmpx_lt_u32_e32 38, v0
	s_cbranch_execz .LBB41_189
; %bb.188:
	scratch_load_b128 v[1:4], off, s28
	v_mov_b32_e32 v5, 0
	s_delay_alu instid0(VALU_DEP_1)
	v_dual_mov_b32 v6, v5 :: v_dual_mov_b32 v7, v5
	v_mov_b32_e32 v8, v5
	scratch_store_b128 off, v[5:8], off offset:624
	s_wait_loadcnt 0x0
	ds_store_b128 v130, v[1:4]
.LBB41_189:
	s_wait_alu 0xfffe
	s_or_b32 exec_lo, exec_lo, s0
	s_wait_storecnt_dscnt 0x0
	s_barrier_signal -1
	s_barrier_wait -1
	global_inv scope:SCOPE_SE
	s_clause 0x3
	scratch_load_b128 v[2:5], off, off offset:640
	scratch_load_b128 v[6:9], off, off offset:656
	;; [unrolled: 1-line block ×4, first 2 shown]
	v_mov_b32_e32 v1, 0
	ds_load_b128 v[18:21], v1 offset:1296
	ds_load_b128 v[22:25], v1 offset:1312
	s_mov_b32 s0, exec_lo
	s_wait_loadcnt_dscnt 0x301
	v_mul_f64_e32 v[26:27], v[20:21], v[4:5]
	v_mul_f64_e32 v[4:5], v[18:19], v[4:5]
	s_wait_loadcnt_dscnt 0x200
	v_mul_f64_e32 v[28:29], v[22:23], v[8:9]
	v_mul_f64_e32 v[8:9], v[24:25], v[8:9]
	s_delay_alu instid0(VALU_DEP_4) | instskip(NEXT) | instid1(VALU_DEP_4)
	v_fma_f64 v[18:19], v[18:19], v[2:3], -v[26:27]
	v_fma_f64 v[20:21], v[20:21], v[2:3], v[4:5]
	ds_load_b128 v[2:5], v1 offset:1328
	v_fma_f64 v[24:25], v[24:25], v[6:7], v[28:29]
	v_fma_f64 v[6:7], v[22:23], v[6:7], -v[8:9]
	s_wait_loadcnt_dscnt 0x100
	v_mul_f64_e32 v[26:27], v[2:3], v[12:13]
	v_mul_f64_e32 v[12:13], v[4:5], v[12:13]
	v_add_f64_e32 v[8:9], 0, v[18:19]
	v_add_f64_e32 v[18:19], 0, v[20:21]
	s_delay_alu instid0(VALU_DEP_4) | instskip(NEXT) | instid1(VALU_DEP_4)
	v_fma_f64 v[4:5], v[4:5], v[10:11], v[26:27]
	v_fma_f64 v[2:3], v[2:3], v[10:11], -v[12:13]
	s_delay_alu instid0(VALU_DEP_4) | instskip(NEXT) | instid1(VALU_DEP_4)
	v_add_f64_e32 v[6:7], v[8:9], v[6:7]
	v_add_f64_e32 v[8:9], v[18:19], v[24:25]
	s_delay_alu instid0(VALU_DEP_2) | instskip(NEXT) | instid1(VALU_DEP_2)
	v_add_f64_e32 v[2:3], v[6:7], v[2:3]
	v_add_f64_e32 v[4:5], v[8:9], v[4:5]
	s_wait_loadcnt 0x0
	s_delay_alu instid0(VALU_DEP_2) | instskip(NEXT) | instid1(VALU_DEP_2)
	v_add_f64_e64 v[2:3], v[14:15], -v[2:3]
	v_add_f64_e64 v[4:5], v[16:17], -v[4:5]
	scratch_store_b128 off, v[2:5], off offset:624
	v_cmpx_lt_u32_e32 37, v0
	s_cbranch_execz .LBB41_191
; %bb.190:
	scratch_load_b128 v[5:8], off, s27
	v_dual_mov_b32 v2, v1 :: v_dual_mov_b32 v3, v1
	v_mov_b32_e32 v4, v1
	scratch_store_b128 off, v[1:4], off offset:608
	s_wait_loadcnt 0x0
	ds_store_b128 v130, v[5:8]
.LBB41_191:
	s_wait_alu 0xfffe
	s_or_b32 exec_lo, exec_lo, s0
	s_wait_storecnt_dscnt 0x0
	s_barrier_signal -1
	s_barrier_wait -1
	global_inv scope:SCOPE_SE
	s_clause 0x4
	scratch_load_b128 v[2:5], off, off offset:624
	scratch_load_b128 v[6:9], off, off offset:640
	;; [unrolled: 1-line block ×5, first 2 shown]
	ds_load_b128 v[22:25], v1 offset:1280
	ds_load_b128 v[26:29], v1 offset:1296
	s_mov_b32 s0, exec_lo
	s_wait_loadcnt_dscnt 0x401
	v_mul_f64_e32 v[30:31], v[24:25], v[4:5]
	v_mul_f64_e32 v[4:5], v[22:23], v[4:5]
	s_wait_loadcnt_dscnt 0x300
	v_mul_f64_e32 v[32:33], v[26:27], v[8:9]
	v_mul_f64_e32 v[8:9], v[28:29], v[8:9]
	s_delay_alu instid0(VALU_DEP_4) | instskip(NEXT) | instid1(VALU_DEP_4)
	v_fma_f64 v[30:31], v[22:23], v[2:3], -v[30:31]
	v_fma_f64 v[34:35], v[24:25], v[2:3], v[4:5]
	ds_load_b128 v[2:5], v1 offset:1312
	ds_load_b128 v[22:25], v1 offset:1328
	v_fma_f64 v[28:29], v[28:29], v[6:7], v[32:33]
	v_fma_f64 v[6:7], v[26:27], v[6:7], -v[8:9]
	s_wait_loadcnt_dscnt 0x201
	v_mul_f64_e32 v[36:37], v[2:3], v[12:13]
	v_mul_f64_e32 v[12:13], v[4:5], v[12:13]
	v_add_f64_e32 v[8:9], 0, v[30:31]
	v_add_f64_e32 v[26:27], 0, v[34:35]
	s_wait_loadcnt_dscnt 0x100
	v_mul_f64_e32 v[30:31], v[22:23], v[16:17]
	v_mul_f64_e32 v[16:17], v[24:25], v[16:17]
	v_fma_f64 v[4:5], v[4:5], v[10:11], v[36:37]
	v_fma_f64 v[1:2], v[2:3], v[10:11], -v[12:13]
	v_add_f64_e32 v[6:7], v[8:9], v[6:7]
	v_add_f64_e32 v[8:9], v[26:27], v[28:29]
	v_fma_f64 v[10:11], v[24:25], v[14:15], v[30:31]
	v_fma_f64 v[12:13], v[22:23], v[14:15], -v[16:17]
	s_delay_alu instid0(VALU_DEP_4) | instskip(NEXT) | instid1(VALU_DEP_4)
	v_add_f64_e32 v[1:2], v[6:7], v[1:2]
	v_add_f64_e32 v[3:4], v[8:9], v[4:5]
	s_delay_alu instid0(VALU_DEP_2) | instskip(NEXT) | instid1(VALU_DEP_2)
	v_add_f64_e32 v[1:2], v[1:2], v[12:13]
	v_add_f64_e32 v[3:4], v[3:4], v[10:11]
	s_wait_loadcnt 0x0
	s_delay_alu instid0(VALU_DEP_2) | instskip(NEXT) | instid1(VALU_DEP_2)
	v_add_f64_e64 v[1:2], v[18:19], -v[1:2]
	v_add_f64_e64 v[3:4], v[20:21], -v[3:4]
	scratch_store_b128 off, v[1:4], off offset:608
	v_cmpx_lt_u32_e32 36, v0
	s_cbranch_execz .LBB41_193
; %bb.192:
	scratch_load_b128 v[1:4], off, s30
	v_mov_b32_e32 v5, 0
	s_delay_alu instid0(VALU_DEP_1)
	v_dual_mov_b32 v6, v5 :: v_dual_mov_b32 v7, v5
	v_mov_b32_e32 v8, v5
	scratch_store_b128 off, v[5:8], off offset:592
	s_wait_loadcnt 0x0
	ds_store_b128 v130, v[1:4]
.LBB41_193:
	s_wait_alu 0xfffe
	s_or_b32 exec_lo, exec_lo, s0
	s_wait_storecnt_dscnt 0x0
	s_barrier_signal -1
	s_barrier_wait -1
	global_inv scope:SCOPE_SE
	s_clause 0x5
	scratch_load_b128 v[2:5], off, off offset:608
	scratch_load_b128 v[6:9], off, off offset:624
	;; [unrolled: 1-line block ×6, first 2 shown]
	v_mov_b32_e32 v1, 0
	ds_load_b128 v[26:29], v1 offset:1264
	ds_load_b128 v[30:33], v1 offset:1280
	s_mov_b32 s0, exec_lo
	s_wait_loadcnt_dscnt 0x501
	v_mul_f64_e32 v[34:35], v[28:29], v[4:5]
	v_mul_f64_e32 v[4:5], v[26:27], v[4:5]
	s_wait_loadcnt_dscnt 0x400
	v_mul_f64_e32 v[36:37], v[30:31], v[8:9]
	v_mul_f64_e32 v[8:9], v[32:33], v[8:9]
	s_delay_alu instid0(VALU_DEP_4) | instskip(NEXT) | instid1(VALU_DEP_4)
	v_fma_f64 v[34:35], v[26:27], v[2:3], -v[34:35]
	v_fma_f64 v[38:39], v[28:29], v[2:3], v[4:5]
	ds_load_b128 v[2:5], v1 offset:1296
	ds_load_b128 v[26:29], v1 offset:1312
	v_fma_f64 v[32:33], v[32:33], v[6:7], v[36:37]
	v_fma_f64 v[6:7], v[30:31], v[6:7], -v[8:9]
	s_wait_loadcnt_dscnt 0x301
	v_mul_f64_e32 v[40:41], v[2:3], v[12:13]
	v_mul_f64_e32 v[12:13], v[4:5], v[12:13]
	v_add_f64_e32 v[8:9], 0, v[34:35]
	v_add_f64_e32 v[30:31], 0, v[38:39]
	s_wait_loadcnt_dscnt 0x200
	v_mul_f64_e32 v[34:35], v[26:27], v[16:17]
	v_mul_f64_e32 v[16:17], v[28:29], v[16:17]
	v_fma_f64 v[36:37], v[4:5], v[10:11], v[40:41]
	v_fma_f64 v[10:11], v[2:3], v[10:11], -v[12:13]
	ds_load_b128 v[2:5], v1 offset:1328
	v_add_f64_e32 v[6:7], v[8:9], v[6:7]
	v_add_f64_e32 v[8:9], v[30:31], v[32:33]
	v_fma_f64 v[28:29], v[28:29], v[14:15], v[34:35]
	v_fma_f64 v[14:15], v[26:27], v[14:15], -v[16:17]
	s_wait_loadcnt_dscnt 0x100
	v_mul_f64_e32 v[12:13], v[2:3], v[20:21]
	v_mul_f64_e32 v[20:21], v[4:5], v[20:21]
	v_add_f64_e32 v[6:7], v[6:7], v[10:11]
	v_add_f64_e32 v[8:9], v[8:9], v[36:37]
	s_delay_alu instid0(VALU_DEP_4) | instskip(NEXT) | instid1(VALU_DEP_4)
	v_fma_f64 v[4:5], v[4:5], v[18:19], v[12:13]
	v_fma_f64 v[2:3], v[2:3], v[18:19], -v[20:21]
	s_delay_alu instid0(VALU_DEP_4) | instskip(NEXT) | instid1(VALU_DEP_4)
	v_add_f64_e32 v[6:7], v[6:7], v[14:15]
	v_add_f64_e32 v[8:9], v[8:9], v[28:29]
	s_delay_alu instid0(VALU_DEP_2) | instskip(NEXT) | instid1(VALU_DEP_2)
	v_add_f64_e32 v[2:3], v[6:7], v[2:3]
	v_add_f64_e32 v[4:5], v[8:9], v[4:5]
	s_wait_loadcnt 0x0
	s_delay_alu instid0(VALU_DEP_2) | instskip(NEXT) | instid1(VALU_DEP_2)
	v_add_f64_e64 v[2:3], v[22:23], -v[2:3]
	v_add_f64_e64 v[4:5], v[24:25], -v[4:5]
	scratch_store_b128 off, v[2:5], off offset:592
	v_cmpx_lt_u32_e32 35, v0
	s_cbranch_execz .LBB41_195
; %bb.194:
	scratch_load_b128 v[5:8], off, s4
	v_dual_mov_b32 v2, v1 :: v_dual_mov_b32 v3, v1
	v_mov_b32_e32 v4, v1
	scratch_store_b128 off, v[1:4], off offset:576
	s_wait_loadcnt 0x0
	ds_store_b128 v130, v[5:8]
.LBB41_195:
	s_wait_alu 0xfffe
	s_or_b32 exec_lo, exec_lo, s0
	s_wait_storecnt_dscnt 0x0
	s_barrier_signal -1
	s_barrier_wait -1
	global_inv scope:SCOPE_SE
	s_clause 0x5
	scratch_load_b128 v[2:5], off, off offset:592
	scratch_load_b128 v[6:9], off, off offset:608
	;; [unrolled: 1-line block ×6, first 2 shown]
	ds_load_b128 v[26:29], v1 offset:1248
	ds_load_b128 v[34:37], v1 offset:1264
	scratch_load_b128 v[30:33], off, off offset:576
	s_mov_b32 s0, exec_lo
	s_wait_loadcnt_dscnt 0x601
	v_mul_f64_e32 v[38:39], v[28:29], v[4:5]
	v_mul_f64_e32 v[4:5], v[26:27], v[4:5]
	s_wait_loadcnt_dscnt 0x500
	v_mul_f64_e32 v[40:41], v[34:35], v[8:9]
	v_mul_f64_e32 v[8:9], v[36:37], v[8:9]
	s_delay_alu instid0(VALU_DEP_4) | instskip(NEXT) | instid1(VALU_DEP_4)
	v_fma_f64 v[38:39], v[26:27], v[2:3], -v[38:39]
	v_fma_f64 v[42:43], v[28:29], v[2:3], v[4:5]
	ds_load_b128 v[2:5], v1 offset:1280
	ds_load_b128 v[26:29], v1 offset:1296
	v_fma_f64 v[36:37], v[36:37], v[6:7], v[40:41]
	v_fma_f64 v[6:7], v[34:35], v[6:7], -v[8:9]
	s_wait_loadcnt_dscnt 0x401
	v_mul_f64_e32 v[44:45], v[2:3], v[12:13]
	v_mul_f64_e32 v[12:13], v[4:5], v[12:13]
	v_add_f64_e32 v[8:9], 0, v[38:39]
	v_add_f64_e32 v[34:35], 0, v[42:43]
	s_wait_loadcnt_dscnt 0x300
	v_mul_f64_e32 v[38:39], v[26:27], v[16:17]
	v_mul_f64_e32 v[16:17], v[28:29], v[16:17]
	v_fma_f64 v[40:41], v[4:5], v[10:11], v[44:45]
	v_fma_f64 v[10:11], v[2:3], v[10:11], -v[12:13]
	v_add_f64_e32 v[12:13], v[8:9], v[6:7]
	v_add_f64_e32 v[34:35], v[34:35], v[36:37]
	ds_load_b128 v[2:5], v1 offset:1312
	ds_load_b128 v[6:9], v1 offset:1328
	v_fma_f64 v[28:29], v[28:29], v[14:15], v[38:39]
	v_fma_f64 v[14:15], v[26:27], v[14:15], -v[16:17]
	s_wait_loadcnt_dscnt 0x201
	v_mul_f64_e32 v[36:37], v[2:3], v[20:21]
	v_mul_f64_e32 v[20:21], v[4:5], v[20:21]
	s_wait_loadcnt_dscnt 0x100
	v_mul_f64_e32 v[16:17], v[6:7], v[24:25]
	v_mul_f64_e32 v[24:25], v[8:9], v[24:25]
	v_add_f64_e32 v[10:11], v[12:13], v[10:11]
	v_add_f64_e32 v[12:13], v[34:35], v[40:41]
	v_fma_f64 v[4:5], v[4:5], v[18:19], v[36:37]
	v_fma_f64 v[1:2], v[2:3], v[18:19], -v[20:21]
	v_fma_f64 v[8:9], v[8:9], v[22:23], v[16:17]
	v_fma_f64 v[6:7], v[6:7], v[22:23], -v[24:25]
	v_add_f64_e32 v[10:11], v[10:11], v[14:15]
	v_add_f64_e32 v[12:13], v[12:13], v[28:29]
	s_delay_alu instid0(VALU_DEP_2) | instskip(NEXT) | instid1(VALU_DEP_2)
	v_add_f64_e32 v[1:2], v[10:11], v[1:2]
	v_add_f64_e32 v[3:4], v[12:13], v[4:5]
	s_delay_alu instid0(VALU_DEP_2) | instskip(NEXT) | instid1(VALU_DEP_2)
	v_add_f64_e32 v[1:2], v[1:2], v[6:7]
	v_add_f64_e32 v[3:4], v[3:4], v[8:9]
	s_wait_loadcnt 0x0
	s_delay_alu instid0(VALU_DEP_2) | instskip(NEXT) | instid1(VALU_DEP_2)
	v_add_f64_e64 v[1:2], v[30:31], -v[1:2]
	v_add_f64_e64 v[3:4], v[32:33], -v[3:4]
	scratch_store_b128 off, v[1:4], off offset:576
	v_cmpx_lt_u32_e32 34, v0
	s_cbranch_execz .LBB41_197
; %bb.196:
	scratch_load_b128 v[1:4], off, s8
	v_mov_b32_e32 v5, 0
	s_delay_alu instid0(VALU_DEP_1)
	v_dual_mov_b32 v6, v5 :: v_dual_mov_b32 v7, v5
	v_mov_b32_e32 v8, v5
	scratch_store_b128 off, v[5:8], off offset:560
	s_wait_loadcnt 0x0
	ds_store_b128 v130, v[1:4]
.LBB41_197:
	s_wait_alu 0xfffe
	s_or_b32 exec_lo, exec_lo, s0
	s_wait_storecnt_dscnt 0x0
	s_barrier_signal -1
	s_barrier_wait -1
	global_inv scope:SCOPE_SE
	s_clause 0x6
	scratch_load_b128 v[2:5], off, off offset:576
	scratch_load_b128 v[6:9], off, off offset:592
	scratch_load_b128 v[10:13], off, off offset:608
	scratch_load_b128 v[14:17], off, off offset:624
	scratch_load_b128 v[18:21], off, off offset:640
	scratch_load_b128 v[22:25], off, off offset:656
	scratch_load_b128 v[26:29], off, off offset:672
	v_mov_b32_e32 v1, 0
	scratch_load_b128 v[34:37], off, off offset:560
	s_mov_b32 s0, exec_lo
	ds_load_b128 v[30:33], v1 offset:1232
	ds_load_b128 v[38:41], v1 offset:1248
	s_wait_loadcnt_dscnt 0x701
	v_mul_f64_e32 v[42:43], v[32:33], v[4:5]
	v_mul_f64_e32 v[4:5], v[30:31], v[4:5]
	s_wait_loadcnt_dscnt 0x600
	v_mul_f64_e32 v[44:45], v[38:39], v[8:9]
	v_mul_f64_e32 v[8:9], v[40:41], v[8:9]
	s_delay_alu instid0(VALU_DEP_4) | instskip(NEXT) | instid1(VALU_DEP_4)
	v_fma_f64 v[42:43], v[30:31], v[2:3], -v[42:43]
	v_fma_f64 v[131:132], v[32:33], v[2:3], v[4:5]
	ds_load_b128 v[2:5], v1 offset:1264
	ds_load_b128 v[30:33], v1 offset:1280
	v_fma_f64 v[40:41], v[40:41], v[6:7], v[44:45]
	v_fma_f64 v[6:7], v[38:39], v[6:7], -v[8:9]
	s_wait_loadcnt_dscnt 0x501
	v_mul_f64_e32 v[133:134], v[2:3], v[12:13]
	v_mul_f64_e32 v[12:13], v[4:5], v[12:13]
	v_add_f64_e32 v[8:9], 0, v[42:43]
	v_add_f64_e32 v[38:39], 0, v[131:132]
	s_wait_loadcnt_dscnt 0x400
	v_mul_f64_e32 v[42:43], v[30:31], v[16:17]
	v_mul_f64_e32 v[16:17], v[32:33], v[16:17]
	v_fma_f64 v[44:45], v[4:5], v[10:11], v[133:134]
	v_fma_f64 v[10:11], v[2:3], v[10:11], -v[12:13]
	v_add_f64_e32 v[12:13], v[8:9], v[6:7]
	v_add_f64_e32 v[38:39], v[38:39], v[40:41]
	ds_load_b128 v[2:5], v1 offset:1296
	ds_load_b128 v[6:9], v1 offset:1312
	v_fma_f64 v[32:33], v[32:33], v[14:15], v[42:43]
	v_fma_f64 v[14:15], v[30:31], v[14:15], -v[16:17]
	s_wait_loadcnt_dscnt 0x301
	v_mul_f64_e32 v[40:41], v[2:3], v[20:21]
	v_mul_f64_e32 v[20:21], v[4:5], v[20:21]
	s_wait_loadcnt_dscnt 0x200
	v_mul_f64_e32 v[16:17], v[6:7], v[24:25]
	v_mul_f64_e32 v[24:25], v[8:9], v[24:25]
	v_add_f64_e32 v[10:11], v[12:13], v[10:11]
	v_add_f64_e32 v[12:13], v[38:39], v[44:45]
	v_fma_f64 v[30:31], v[4:5], v[18:19], v[40:41]
	v_fma_f64 v[18:19], v[2:3], v[18:19], -v[20:21]
	ds_load_b128 v[2:5], v1 offset:1328
	v_fma_f64 v[8:9], v[8:9], v[22:23], v[16:17]
	v_fma_f64 v[6:7], v[6:7], v[22:23], -v[24:25]
	v_add_f64_e32 v[10:11], v[10:11], v[14:15]
	v_add_f64_e32 v[12:13], v[12:13], v[32:33]
	s_wait_loadcnt_dscnt 0x100
	v_mul_f64_e32 v[14:15], v[2:3], v[28:29]
	v_mul_f64_e32 v[20:21], v[4:5], v[28:29]
	s_delay_alu instid0(VALU_DEP_4) | instskip(NEXT) | instid1(VALU_DEP_4)
	v_add_f64_e32 v[10:11], v[10:11], v[18:19]
	v_add_f64_e32 v[12:13], v[12:13], v[30:31]
	s_delay_alu instid0(VALU_DEP_4) | instskip(NEXT) | instid1(VALU_DEP_4)
	v_fma_f64 v[4:5], v[4:5], v[26:27], v[14:15]
	v_fma_f64 v[2:3], v[2:3], v[26:27], -v[20:21]
	s_delay_alu instid0(VALU_DEP_4) | instskip(NEXT) | instid1(VALU_DEP_4)
	v_add_f64_e32 v[6:7], v[10:11], v[6:7]
	v_add_f64_e32 v[8:9], v[12:13], v[8:9]
	s_delay_alu instid0(VALU_DEP_2) | instskip(NEXT) | instid1(VALU_DEP_2)
	v_add_f64_e32 v[2:3], v[6:7], v[2:3]
	v_add_f64_e32 v[4:5], v[8:9], v[4:5]
	s_wait_loadcnt 0x0
	s_delay_alu instid0(VALU_DEP_2) | instskip(NEXT) | instid1(VALU_DEP_2)
	v_add_f64_e64 v[2:3], v[34:35], -v[2:3]
	v_add_f64_e64 v[4:5], v[36:37], -v[4:5]
	scratch_store_b128 off, v[2:5], off offset:560
	v_cmpx_lt_u32_e32 33, v0
	s_cbranch_execz .LBB41_199
; %bb.198:
	scratch_load_b128 v[5:8], off, s5
	v_dual_mov_b32 v2, v1 :: v_dual_mov_b32 v3, v1
	v_mov_b32_e32 v4, v1
	scratch_store_b128 off, v[1:4], off offset:544
	s_wait_loadcnt 0x0
	ds_store_b128 v130, v[5:8]
.LBB41_199:
	s_wait_alu 0xfffe
	s_or_b32 exec_lo, exec_lo, s0
	s_wait_storecnt_dscnt 0x0
	s_barrier_signal -1
	s_barrier_wait -1
	global_inv scope:SCOPE_SE
	s_clause 0x7
	scratch_load_b128 v[2:5], off, off offset:560
	scratch_load_b128 v[6:9], off, off offset:576
	;; [unrolled: 1-line block ×8, first 2 shown]
	ds_load_b128 v[34:37], v1 offset:1216
	ds_load_b128 v[38:41], v1 offset:1232
	scratch_load_b128 v[42:45], off, off offset:544
	s_mov_b32 s0, exec_lo
	s_wait_loadcnt_dscnt 0x801
	v_mul_f64_e32 v[131:132], v[36:37], v[4:5]
	v_mul_f64_e32 v[4:5], v[34:35], v[4:5]
	s_wait_loadcnt_dscnt 0x700
	v_mul_f64_e32 v[133:134], v[38:39], v[8:9]
	v_mul_f64_e32 v[8:9], v[40:41], v[8:9]
	s_delay_alu instid0(VALU_DEP_4) | instskip(NEXT) | instid1(VALU_DEP_4)
	v_fma_f64 v[131:132], v[34:35], v[2:3], -v[131:132]
	v_fma_f64 v[135:136], v[36:37], v[2:3], v[4:5]
	ds_load_b128 v[2:5], v1 offset:1248
	ds_load_b128 v[34:37], v1 offset:1264
	v_fma_f64 v[40:41], v[40:41], v[6:7], v[133:134]
	v_fma_f64 v[6:7], v[38:39], v[6:7], -v[8:9]
	s_wait_loadcnt_dscnt 0x601
	v_mul_f64_e32 v[137:138], v[2:3], v[12:13]
	v_mul_f64_e32 v[12:13], v[4:5], v[12:13]
	v_add_f64_e32 v[8:9], 0, v[131:132]
	v_add_f64_e32 v[38:39], 0, v[135:136]
	s_wait_loadcnt_dscnt 0x500
	v_mul_f64_e32 v[131:132], v[34:35], v[16:17]
	v_mul_f64_e32 v[16:17], v[36:37], v[16:17]
	v_fma_f64 v[133:134], v[4:5], v[10:11], v[137:138]
	v_fma_f64 v[10:11], v[2:3], v[10:11], -v[12:13]
	v_add_f64_e32 v[12:13], v[8:9], v[6:7]
	v_add_f64_e32 v[38:39], v[38:39], v[40:41]
	ds_load_b128 v[2:5], v1 offset:1280
	ds_load_b128 v[6:9], v1 offset:1296
	v_fma_f64 v[36:37], v[36:37], v[14:15], v[131:132]
	v_fma_f64 v[14:15], v[34:35], v[14:15], -v[16:17]
	s_wait_loadcnt_dscnt 0x401
	v_mul_f64_e32 v[40:41], v[2:3], v[20:21]
	v_mul_f64_e32 v[20:21], v[4:5], v[20:21]
	s_wait_loadcnt_dscnt 0x300
	v_mul_f64_e32 v[16:17], v[6:7], v[24:25]
	v_mul_f64_e32 v[24:25], v[8:9], v[24:25]
	v_add_f64_e32 v[10:11], v[12:13], v[10:11]
	v_add_f64_e32 v[12:13], v[38:39], v[133:134]
	v_fma_f64 v[34:35], v[4:5], v[18:19], v[40:41]
	v_fma_f64 v[18:19], v[2:3], v[18:19], -v[20:21]
	v_fma_f64 v[8:9], v[8:9], v[22:23], v[16:17]
	v_fma_f64 v[6:7], v[6:7], v[22:23], -v[24:25]
	v_add_f64_e32 v[14:15], v[10:11], v[14:15]
	v_add_f64_e32 v[20:21], v[12:13], v[36:37]
	ds_load_b128 v[2:5], v1 offset:1312
	ds_load_b128 v[10:13], v1 offset:1328
	s_wait_loadcnt_dscnt 0x201
	v_mul_f64_e32 v[36:37], v[2:3], v[28:29]
	v_mul_f64_e32 v[28:29], v[4:5], v[28:29]
	v_add_f64_e32 v[14:15], v[14:15], v[18:19]
	v_add_f64_e32 v[16:17], v[20:21], v[34:35]
	s_wait_loadcnt_dscnt 0x100
	v_mul_f64_e32 v[18:19], v[10:11], v[32:33]
	v_mul_f64_e32 v[20:21], v[12:13], v[32:33]
	v_fma_f64 v[4:5], v[4:5], v[26:27], v[36:37]
	v_fma_f64 v[1:2], v[2:3], v[26:27], -v[28:29]
	v_add_f64_e32 v[6:7], v[14:15], v[6:7]
	v_add_f64_e32 v[8:9], v[16:17], v[8:9]
	v_fma_f64 v[12:13], v[12:13], v[30:31], v[18:19]
	v_fma_f64 v[10:11], v[10:11], v[30:31], -v[20:21]
	s_delay_alu instid0(VALU_DEP_4) | instskip(NEXT) | instid1(VALU_DEP_4)
	v_add_f64_e32 v[1:2], v[6:7], v[1:2]
	v_add_f64_e32 v[3:4], v[8:9], v[4:5]
	s_delay_alu instid0(VALU_DEP_2) | instskip(NEXT) | instid1(VALU_DEP_2)
	v_add_f64_e32 v[1:2], v[1:2], v[10:11]
	v_add_f64_e32 v[3:4], v[3:4], v[12:13]
	s_wait_loadcnt 0x0
	s_delay_alu instid0(VALU_DEP_2) | instskip(NEXT) | instid1(VALU_DEP_2)
	v_add_f64_e64 v[1:2], v[42:43], -v[1:2]
	v_add_f64_e64 v[3:4], v[44:45], -v[3:4]
	scratch_store_b128 off, v[1:4], off offset:544
	v_cmpx_lt_u32_e32 32, v0
	s_cbranch_execz .LBB41_201
; %bb.200:
	scratch_load_b128 v[1:4], off, s10
	v_mov_b32_e32 v5, 0
	s_delay_alu instid0(VALU_DEP_1)
	v_dual_mov_b32 v6, v5 :: v_dual_mov_b32 v7, v5
	v_mov_b32_e32 v8, v5
	scratch_store_b128 off, v[5:8], off offset:528
	s_wait_loadcnt 0x0
	ds_store_b128 v130, v[1:4]
.LBB41_201:
	s_wait_alu 0xfffe
	s_or_b32 exec_lo, exec_lo, s0
	s_wait_storecnt_dscnt 0x0
	s_barrier_signal -1
	s_barrier_wait -1
	global_inv scope:SCOPE_SE
	s_clause 0x7
	scratch_load_b128 v[2:5], off, off offset:544
	scratch_load_b128 v[6:9], off, off offset:560
	;; [unrolled: 1-line block ×8, first 2 shown]
	v_mov_b32_e32 v1, 0
	scratch_load_b128 v[38:41], off, off offset:672
	s_mov_b32 s0, exec_lo
	ds_load_b128 v[34:37], v1 offset:1200
	ds_load_b128 v[42:45], v1 offset:1216
	s_wait_loadcnt_dscnt 0x801
	v_mul_f64_e32 v[131:132], v[36:37], v[4:5]
	v_mul_f64_e32 v[4:5], v[34:35], v[4:5]
	s_wait_loadcnt_dscnt 0x700
	v_mul_f64_e32 v[133:134], v[42:43], v[8:9]
	v_mul_f64_e32 v[8:9], v[44:45], v[8:9]
	s_delay_alu instid0(VALU_DEP_4) | instskip(NEXT) | instid1(VALU_DEP_4)
	v_fma_f64 v[34:35], v[34:35], v[2:3], -v[131:132]
	v_fma_f64 v[36:37], v[36:37], v[2:3], v[4:5]
	ds_load_b128 v[2:5], v1 offset:1232
	v_fma_f64 v[44:45], v[44:45], v[6:7], v[133:134]
	v_fma_f64 v[42:43], v[42:43], v[6:7], -v[8:9]
	ds_load_b128 v[6:9], v1 offset:1248
	s_wait_loadcnt_dscnt 0x601
	v_mul_f64_e32 v[131:132], v[2:3], v[12:13]
	v_mul_f64_e32 v[12:13], v[4:5], v[12:13]
	s_wait_loadcnt_dscnt 0x500
	v_mul_f64_e32 v[137:138], v[6:7], v[16:17]
	v_mul_f64_e32 v[16:17], v[8:9], v[16:17]
	v_add_f64_e32 v[133:134], 0, v[34:35]
	v_add_f64_e32 v[135:136], 0, v[36:37]
	scratch_load_b128 v[34:37], off, off offset:528
	v_fma_f64 v[131:132], v[4:5], v[10:11], v[131:132]
	v_fma_f64 v[10:11], v[2:3], v[10:11], -v[12:13]
	ds_load_b128 v[2:5], v1 offset:1264
	v_add_f64_e32 v[12:13], v[133:134], v[42:43]
	v_add_f64_e32 v[42:43], v[135:136], v[44:45]
	v_fma_f64 v[133:134], v[8:9], v[14:15], v[137:138]
	v_fma_f64 v[14:15], v[6:7], v[14:15], -v[16:17]
	ds_load_b128 v[6:9], v1 offset:1280
	s_wait_loadcnt_dscnt 0x501
	v_mul_f64_e32 v[44:45], v[2:3], v[20:21]
	v_mul_f64_e32 v[20:21], v[4:5], v[20:21]
	s_wait_loadcnt_dscnt 0x400
	v_mul_f64_e32 v[16:17], v[6:7], v[24:25]
	v_mul_f64_e32 v[24:25], v[8:9], v[24:25]
	v_add_f64_e32 v[10:11], v[12:13], v[10:11]
	v_add_f64_e32 v[12:13], v[42:43], v[131:132]
	v_fma_f64 v[42:43], v[4:5], v[18:19], v[44:45]
	v_fma_f64 v[18:19], v[2:3], v[18:19], -v[20:21]
	ds_load_b128 v[2:5], v1 offset:1296
	v_fma_f64 v[16:17], v[8:9], v[22:23], v[16:17]
	v_fma_f64 v[22:23], v[6:7], v[22:23], -v[24:25]
	ds_load_b128 v[6:9], v1 offset:1312
	s_wait_loadcnt_dscnt 0x301
	v_mul_f64_e32 v[20:21], v[4:5], v[28:29]
	v_add_f64_e32 v[10:11], v[10:11], v[14:15]
	v_add_f64_e32 v[12:13], v[12:13], v[133:134]
	v_mul_f64_e32 v[14:15], v[2:3], v[28:29]
	s_wait_loadcnt_dscnt 0x200
	v_mul_f64_e32 v[24:25], v[8:9], v[32:33]
	v_fma_f64 v[20:21], v[2:3], v[26:27], -v[20:21]
	v_add_f64_e32 v[10:11], v[10:11], v[18:19]
	v_add_f64_e32 v[12:13], v[12:13], v[42:43]
	v_mul_f64_e32 v[18:19], v[6:7], v[32:33]
	v_fma_f64 v[14:15], v[4:5], v[26:27], v[14:15]
	ds_load_b128 v[2:5], v1 offset:1328
	v_fma_f64 v[6:7], v[6:7], v[30:31], -v[24:25]
	v_add_f64_e32 v[10:11], v[10:11], v[22:23]
	v_add_f64_e32 v[12:13], v[12:13], v[16:17]
	s_wait_loadcnt_dscnt 0x100
	v_mul_f64_e32 v[16:17], v[2:3], v[40:41]
	v_mul_f64_e32 v[22:23], v[4:5], v[40:41]
	v_fma_f64 v[8:9], v[8:9], v[30:31], v[18:19]
	v_add_f64_e32 v[10:11], v[10:11], v[20:21]
	v_add_f64_e32 v[12:13], v[12:13], v[14:15]
	v_fma_f64 v[4:5], v[4:5], v[38:39], v[16:17]
	v_fma_f64 v[2:3], v[2:3], v[38:39], -v[22:23]
	s_delay_alu instid0(VALU_DEP_4) | instskip(NEXT) | instid1(VALU_DEP_4)
	v_add_f64_e32 v[6:7], v[10:11], v[6:7]
	v_add_f64_e32 v[8:9], v[12:13], v[8:9]
	s_delay_alu instid0(VALU_DEP_2) | instskip(NEXT) | instid1(VALU_DEP_2)
	v_add_f64_e32 v[2:3], v[6:7], v[2:3]
	v_add_f64_e32 v[4:5], v[8:9], v[4:5]
	s_wait_loadcnt 0x0
	s_delay_alu instid0(VALU_DEP_2) | instskip(NEXT) | instid1(VALU_DEP_2)
	v_add_f64_e64 v[2:3], v[34:35], -v[2:3]
	v_add_f64_e64 v[4:5], v[36:37], -v[4:5]
	scratch_store_b128 off, v[2:5], off offset:528
	v_cmpx_lt_u32_e32 31, v0
	s_cbranch_execz .LBB41_203
; %bb.202:
	scratch_load_b128 v[5:8], off, s9
	v_dual_mov_b32 v2, v1 :: v_dual_mov_b32 v3, v1
	v_mov_b32_e32 v4, v1
	scratch_store_b128 off, v[1:4], off offset:512
	s_wait_loadcnt 0x0
	ds_store_b128 v130, v[5:8]
.LBB41_203:
	s_wait_alu 0xfffe
	s_or_b32 exec_lo, exec_lo, s0
	s_wait_storecnt_dscnt 0x0
	s_barrier_signal -1
	s_barrier_wait -1
	global_inv scope:SCOPE_SE
	s_clause 0x7
	scratch_load_b128 v[2:5], off, off offset:528
	scratch_load_b128 v[6:9], off, off offset:544
	;; [unrolled: 1-line block ×8, first 2 shown]
	ds_load_b128 v[34:37], v1 offset:1184
	ds_load_b128 v[42:45], v1 offset:1200
	s_clause 0x1
	scratch_load_b128 v[38:41], off, off offset:656
	scratch_load_b128 v[131:134], off, off offset:672
	s_mov_b32 s0, exec_lo
	s_wait_loadcnt_dscnt 0x901
	v_mul_f64_e32 v[135:136], v[36:37], v[4:5]
	v_mul_f64_e32 v[4:5], v[34:35], v[4:5]
	s_wait_loadcnt_dscnt 0x800
	v_mul_f64_e32 v[137:138], v[42:43], v[8:9]
	v_mul_f64_e32 v[8:9], v[44:45], v[8:9]
	s_delay_alu instid0(VALU_DEP_4) | instskip(NEXT) | instid1(VALU_DEP_4)
	v_fma_f64 v[34:35], v[34:35], v[2:3], -v[135:136]
	v_fma_f64 v[36:37], v[36:37], v[2:3], v[4:5]
	ds_load_b128 v[2:5], v1 offset:1216
	v_fma_f64 v[44:45], v[44:45], v[6:7], v[137:138]
	v_fma_f64 v[42:43], v[42:43], v[6:7], -v[8:9]
	ds_load_b128 v[6:9], v1 offset:1232
	s_wait_loadcnt_dscnt 0x701
	v_mul_f64_e32 v[135:136], v[2:3], v[12:13]
	v_mul_f64_e32 v[12:13], v[4:5], v[12:13]
	s_wait_loadcnt_dscnt 0x600
	v_mul_f64_e32 v[137:138], v[6:7], v[16:17]
	v_mul_f64_e32 v[16:17], v[8:9], v[16:17]
	v_add_f64_e32 v[34:35], 0, v[34:35]
	v_add_f64_e32 v[36:37], 0, v[36:37]
	v_fma_f64 v[135:136], v[4:5], v[10:11], v[135:136]
	v_fma_f64 v[139:140], v[2:3], v[10:11], -v[12:13]
	ds_load_b128 v[2:5], v1 offset:1248
	scratch_load_b128 v[10:13], off, off offset:512
	v_add_f64_e32 v[34:35], v[34:35], v[42:43]
	v_add_f64_e32 v[36:37], v[36:37], v[44:45]
	v_fma_f64 v[44:45], v[8:9], v[14:15], v[137:138]
	v_fma_f64 v[14:15], v[6:7], v[14:15], -v[16:17]
	ds_load_b128 v[6:9], v1 offset:1264
	s_wait_loadcnt_dscnt 0x601
	v_mul_f64_e32 v[42:43], v[2:3], v[20:21]
	v_mul_f64_e32 v[20:21], v[4:5], v[20:21]
	v_add_f64_e32 v[16:17], v[34:35], v[139:140]
	v_add_f64_e32 v[34:35], v[36:37], v[135:136]
	s_wait_loadcnt_dscnt 0x500
	v_mul_f64_e32 v[36:37], v[6:7], v[24:25]
	v_mul_f64_e32 v[24:25], v[8:9], v[24:25]
	v_fma_f64 v[42:43], v[4:5], v[18:19], v[42:43]
	v_fma_f64 v[18:19], v[2:3], v[18:19], -v[20:21]
	ds_load_b128 v[2:5], v1 offset:1280
	v_add_f64_e32 v[14:15], v[16:17], v[14:15]
	v_add_f64_e32 v[16:17], v[34:35], v[44:45]
	v_fma_f64 v[34:35], v[8:9], v[22:23], v[36:37]
	v_fma_f64 v[22:23], v[6:7], v[22:23], -v[24:25]
	ds_load_b128 v[6:9], v1 offset:1296
	s_wait_loadcnt_dscnt 0x401
	v_mul_f64_e32 v[20:21], v[2:3], v[28:29]
	v_mul_f64_e32 v[28:29], v[4:5], v[28:29]
	s_wait_loadcnt_dscnt 0x300
	v_mul_f64_e32 v[24:25], v[8:9], v[32:33]
	v_add_f64_e32 v[14:15], v[14:15], v[18:19]
	v_add_f64_e32 v[16:17], v[16:17], v[42:43]
	v_mul_f64_e32 v[18:19], v[6:7], v[32:33]
	v_fma_f64 v[20:21], v[4:5], v[26:27], v[20:21]
	v_fma_f64 v[26:27], v[2:3], v[26:27], -v[28:29]
	ds_load_b128 v[2:5], v1 offset:1312
	v_fma_f64 v[24:25], v[6:7], v[30:31], -v[24:25]
	v_add_f64_e32 v[14:15], v[14:15], v[22:23]
	v_add_f64_e32 v[16:17], v[16:17], v[34:35]
	v_fma_f64 v[18:19], v[8:9], v[30:31], v[18:19]
	ds_load_b128 v[6:9], v1 offset:1328
	s_wait_loadcnt_dscnt 0x201
	v_mul_f64_e32 v[22:23], v[2:3], v[40:41]
	v_mul_f64_e32 v[28:29], v[4:5], v[40:41]
	v_add_f64_e32 v[14:15], v[14:15], v[26:27]
	v_add_f64_e32 v[16:17], v[16:17], v[20:21]
	s_wait_loadcnt_dscnt 0x100
	v_mul_f64_e32 v[20:21], v[6:7], v[133:134]
	v_mul_f64_e32 v[26:27], v[8:9], v[133:134]
	v_fma_f64 v[4:5], v[4:5], v[38:39], v[22:23]
	v_fma_f64 v[1:2], v[2:3], v[38:39], -v[28:29]
	v_add_f64_e32 v[14:15], v[14:15], v[24:25]
	v_add_f64_e32 v[16:17], v[16:17], v[18:19]
	v_fma_f64 v[8:9], v[8:9], v[131:132], v[20:21]
	v_fma_f64 v[6:7], v[6:7], v[131:132], -v[26:27]
	s_delay_alu instid0(VALU_DEP_4) | instskip(NEXT) | instid1(VALU_DEP_4)
	v_add_f64_e32 v[1:2], v[14:15], v[1:2]
	v_add_f64_e32 v[3:4], v[16:17], v[4:5]
	s_delay_alu instid0(VALU_DEP_2) | instskip(NEXT) | instid1(VALU_DEP_2)
	v_add_f64_e32 v[1:2], v[1:2], v[6:7]
	v_add_f64_e32 v[3:4], v[3:4], v[8:9]
	s_wait_loadcnt 0x0
	s_delay_alu instid0(VALU_DEP_2) | instskip(NEXT) | instid1(VALU_DEP_2)
	v_add_f64_e64 v[1:2], v[10:11], -v[1:2]
	v_add_f64_e64 v[3:4], v[12:13], -v[3:4]
	scratch_store_b128 off, v[1:4], off offset:512
	v_cmpx_lt_u32_e32 30, v0
	s_cbranch_execz .LBB41_205
; %bb.204:
	scratch_load_b128 v[1:4], off, s12
	v_mov_b32_e32 v5, 0
	s_delay_alu instid0(VALU_DEP_1)
	v_dual_mov_b32 v6, v5 :: v_dual_mov_b32 v7, v5
	v_mov_b32_e32 v8, v5
	scratch_store_b128 off, v[5:8], off offset:496
	s_wait_loadcnt 0x0
	ds_store_b128 v130, v[1:4]
.LBB41_205:
	s_wait_alu 0xfffe
	s_or_b32 exec_lo, exec_lo, s0
	s_wait_storecnt_dscnt 0x0
	s_barrier_signal -1
	s_barrier_wait -1
	global_inv scope:SCOPE_SE
	s_clause 0x7
	scratch_load_b128 v[2:5], off, off offset:512
	scratch_load_b128 v[6:9], off, off offset:528
	;; [unrolled: 1-line block ×8, first 2 shown]
	v_mov_b32_e32 v1, 0
	s_clause 0x1
	scratch_load_b128 v[38:41], off, off offset:640
	scratch_load_b128 v[131:134], off, off offset:656
	s_mov_b32 s0, exec_lo
	ds_load_b128 v[34:37], v1 offset:1168
	ds_load_b128 v[42:45], v1 offset:1184
	s_wait_loadcnt_dscnt 0x901
	v_mul_f64_e32 v[135:136], v[36:37], v[4:5]
	v_mul_f64_e32 v[4:5], v[34:35], v[4:5]
	s_wait_loadcnt_dscnt 0x800
	v_mul_f64_e32 v[137:138], v[42:43], v[8:9]
	v_mul_f64_e32 v[8:9], v[44:45], v[8:9]
	s_delay_alu instid0(VALU_DEP_4) | instskip(NEXT) | instid1(VALU_DEP_4)
	v_fma_f64 v[135:136], v[34:35], v[2:3], -v[135:136]
	v_fma_f64 v[139:140], v[36:37], v[2:3], v[4:5]
	ds_load_b128 v[2:5], v1 offset:1200
	scratch_load_b128 v[34:37], off, off offset:672
	v_fma_f64 v[44:45], v[44:45], v[6:7], v[137:138]
	v_fma_f64 v[42:43], v[42:43], v[6:7], -v[8:9]
	ds_load_b128 v[6:9], v1 offset:1216
	s_wait_loadcnt_dscnt 0x801
	v_mul_f64_e32 v[141:142], v[2:3], v[12:13]
	v_mul_f64_e32 v[12:13], v[4:5], v[12:13]
	v_add_f64_e32 v[135:136], 0, v[135:136]
	v_add_f64_e32 v[137:138], 0, v[139:140]
	s_wait_loadcnt_dscnt 0x700
	v_mul_f64_e32 v[139:140], v[6:7], v[16:17]
	v_mul_f64_e32 v[16:17], v[8:9], v[16:17]
	v_fma_f64 v[141:142], v[4:5], v[10:11], v[141:142]
	v_fma_f64 v[10:11], v[2:3], v[10:11], -v[12:13]
	ds_load_b128 v[2:5], v1 offset:1232
	v_add_f64_e32 v[12:13], v[135:136], v[42:43]
	v_add_f64_e32 v[42:43], v[137:138], v[44:45]
	v_fma_f64 v[135:136], v[8:9], v[14:15], v[139:140]
	v_fma_f64 v[14:15], v[6:7], v[14:15], -v[16:17]
	ds_load_b128 v[6:9], v1 offset:1248
	s_wait_loadcnt_dscnt 0x601
	v_mul_f64_e32 v[44:45], v[2:3], v[20:21]
	v_mul_f64_e32 v[20:21], v[4:5], v[20:21]
	s_wait_loadcnt_dscnt 0x500
	v_mul_f64_e32 v[137:138], v[6:7], v[24:25]
	v_mul_f64_e32 v[24:25], v[8:9], v[24:25]
	v_add_f64_e32 v[16:17], v[12:13], v[10:11]
	v_add_f64_e32 v[42:43], v[42:43], v[141:142]
	scratch_load_b128 v[10:13], off, off offset:496
	v_fma_f64 v[44:45], v[4:5], v[18:19], v[44:45]
	v_fma_f64 v[18:19], v[2:3], v[18:19], -v[20:21]
	ds_load_b128 v[2:5], v1 offset:1264
	v_add_f64_e32 v[14:15], v[16:17], v[14:15]
	v_add_f64_e32 v[16:17], v[42:43], v[135:136]
	v_fma_f64 v[42:43], v[8:9], v[22:23], v[137:138]
	v_fma_f64 v[22:23], v[6:7], v[22:23], -v[24:25]
	ds_load_b128 v[6:9], v1 offset:1280
	s_wait_loadcnt_dscnt 0x501
	v_mul_f64_e32 v[20:21], v[2:3], v[28:29]
	v_mul_f64_e32 v[28:29], v[4:5], v[28:29]
	s_wait_loadcnt_dscnt 0x400
	v_mul_f64_e32 v[24:25], v[8:9], v[32:33]
	v_add_f64_e32 v[14:15], v[14:15], v[18:19]
	v_add_f64_e32 v[16:17], v[16:17], v[44:45]
	v_mul_f64_e32 v[18:19], v[6:7], v[32:33]
	v_fma_f64 v[20:21], v[4:5], v[26:27], v[20:21]
	v_fma_f64 v[26:27], v[2:3], v[26:27], -v[28:29]
	ds_load_b128 v[2:5], v1 offset:1296
	v_fma_f64 v[24:25], v[6:7], v[30:31], -v[24:25]
	v_add_f64_e32 v[14:15], v[14:15], v[22:23]
	v_add_f64_e32 v[16:17], v[16:17], v[42:43]
	v_fma_f64 v[18:19], v[8:9], v[30:31], v[18:19]
	ds_load_b128 v[6:9], v1 offset:1312
	s_wait_loadcnt_dscnt 0x301
	v_mul_f64_e32 v[22:23], v[2:3], v[40:41]
	v_mul_f64_e32 v[28:29], v[4:5], v[40:41]
	v_add_f64_e32 v[14:15], v[14:15], v[26:27]
	v_add_f64_e32 v[16:17], v[16:17], v[20:21]
	s_wait_loadcnt_dscnt 0x200
	v_mul_f64_e32 v[20:21], v[6:7], v[133:134]
	v_mul_f64_e32 v[26:27], v[8:9], v[133:134]
	v_fma_f64 v[22:23], v[4:5], v[38:39], v[22:23]
	v_fma_f64 v[28:29], v[2:3], v[38:39], -v[28:29]
	ds_load_b128 v[2:5], v1 offset:1328
	v_add_f64_e32 v[14:15], v[14:15], v[24:25]
	v_add_f64_e32 v[16:17], v[16:17], v[18:19]
	v_fma_f64 v[8:9], v[8:9], v[131:132], v[20:21]
	v_fma_f64 v[6:7], v[6:7], v[131:132], -v[26:27]
	s_wait_loadcnt_dscnt 0x100
	v_mul_f64_e32 v[18:19], v[2:3], v[36:37]
	v_mul_f64_e32 v[24:25], v[4:5], v[36:37]
	v_add_f64_e32 v[14:15], v[14:15], v[28:29]
	v_add_f64_e32 v[16:17], v[16:17], v[22:23]
	s_delay_alu instid0(VALU_DEP_4) | instskip(NEXT) | instid1(VALU_DEP_4)
	v_fma_f64 v[4:5], v[4:5], v[34:35], v[18:19]
	v_fma_f64 v[2:3], v[2:3], v[34:35], -v[24:25]
	s_delay_alu instid0(VALU_DEP_4) | instskip(NEXT) | instid1(VALU_DEP_4)
	v_add_f64_e32 v[6:7], v[14:15], v[6:7]
	v_add_f64_e32 v[8:9], v[16:17], v[8:9]
	s_delay_alu instid0(VALU_DEP_2) | instskip(NEXT) | instid1(VALU_DEP_2)
	v_add_f64_e32 v[2:3], v[6:7], v[2:3]
	v_add_f64_e32 v[4:5], v[8:9], v[4:5]
	s_wait_loadcnt 0x0
	s_delay_alu instid0(VALU_DEP_2) | instskip(NEXT) | instid1(VALU_DEP_2)
	v_add_f64_e64 v[2:3], v[10:11], -v[2:3]
	v_add_f64_e64 v[4:5], v[12:13], -v[4:5]
	scratch_store_b128 off, v[2:5], off offset:496
	v_cmpx_lt_u32_e32 29, v0
	s_cbranch_execz .LBB41_207
; %bb.206:
	scratch_load_b128 v[5:8], off, s11
	v_dual_mov_b32 v2, v1 :: v_dual_mov_b32 v3, v1
	v_mov_b32_e32 v4, v1
	scratch_store_b128 off, v[1:4], off offset:480
	s_wait_loadcnt 0x0
	ds_store_b128 v130, v[5:8]
.LBB41_207:
	s_wait_alu 0xfffe
	s_or_b32 exec_lo, exec_lo, s0
	s_wait_storecnt_dscnt 0x0
	s_barrier_signal -1
	s_barrier_wait -1
	global_inv scope:SCOPE_SE
	s_clause 0x8
	scratch_load_b128 v[2:5], off, off offset:496
	scratch_load_b128 v[6:9], off, off offset:512
	;; [unrolled: 1-line block ×9, first 2 shown]
	ds_load_b128 v[38:41], v1 offset:1152
	ds_load_b128 v[42:45], v1 offset:1168
	s_clause 0x1
	scratch_load_b128 v[131:134], off, off offset:480
	scratch_load_b128 v[135:138], off, off offset:640
	s_mov_b32 s0, exec_lo
	s_wait_loadcnt_dscnt 0xa01
	v_mul_f64_e32 v[139:140], v[40:41], v[4:5]
	v_mul_f64_e32 v[4:5], v[38:39], v[4:5]
	s_wait_loadcnt_dscnt 0x900
	v_mul_f64_e32 v[143:144], v[42:43], v[8:9]
	v_mul_f64_e32 v[8:9], v[44:45], v[8:9]
	s_delay_alu instid0(VALU_DEP_4) | instskip(NEXT) | instid1(VALU_DEP_4)
	v_fma_f64 v[145:146], v[38:39], v[2:3], -v[139:140]
	v_fma_f64 v[147:148], v[40:41], v[2:3], v[4:5]
	ds_load_b128 v[2:5], v1 offset:1184
	ds_load_b128 v[139:142], v1 offset:1200
	scratch_load_b128 v[38:41], off, off offset:656
	v_fma_f64 v[44:45], v[44:45], v[6:7], v[143:144]
	v_fma_f64 v[42:43], v[42:43], v[6:7], -v[8:9]
	scratch_load_b128 v[6:9], off, off offset:672
	s_wait_loadcnt_dscnt 0xa01
	v_mul_f64_e32 v[149:150], v[2:3], v[12:13]
	v_mul_f64_e32 v[12:13], v[4:5], v[12:13]
	v_add_f64_e32 v[143:144], 0, v[145:146]
	v_add_f64_e32 v[145:146], 0, v[147:148]
	s_wait_loadcnt_dscnt 0x900
	v_mul_f64_e32 v[147:148], v[139:140], v[16:17]
	v_mul_f64_e32 v[16:17], v[141:142], v[16:17]
	v_fma_f64 v[149:150], v[4:5], v[10:11], v[149:150]
	v_fma_f64 v[151:152], v[2:3], v[10:11], -v[12:13]
	ds_load_b128 v[2:5], v1 offset:1216
	ds_load_b128 v[10:13], v1 offset:1232
	v_add_f64_e32 v[42:43], v[143:144], v[42:43]
	v_add_f64_e32 v[44:45], v[145:146], v[44:45]
	v_fma_f64 v[141:142], v[141:142], v[14:15], v[147:148]
	v_fma_f64 v[14:15], v[139:140], v[14:15], -v[16:17]
	s_wait_loadcnt_dscnt 0x801
	v_mul_f64_e32 v[143:144], v[2:3], v[20:21]
	v_mul_f64_e32 v[20:21], v[4:5], v[20:21]
	v_add_f64_e32 v[16:17], v[42:43], v[151:152]
	v_add_f64_e32 v[42:43], v[44:45], v[149:150]
	s_wait_loadcnt_dscnt 0x700
	v_mul_f64_e32 v[44:45], v[10:11], v[24:25]
	v_mul_f64_e32 v[24:25], v[12:13], v[24:25]
	v_fma_f64 v[139:140], v[4:5], v[18:19], v[143:144]
	v_fma_f64 v[18:19], v[2:3], v[18:19], -v[20:21]
	v_add_f64_e32 v[20:21], v[16:17], v[14:15]
	v_add_f64_e32 v[42:43], v[42:43], v[141:142]
	ds_load_b128 v[2:5], v1 offset:1248
	ds_load_b128 v[14:17], v1 offset:1264
	v_fma_f64 v[12:13], v[12:13], v[22:23], v[44:45]
	v_fma_f64 v[10:11], v[10:11], v[22:23], -v[24:25]
	s_wait_loadcnt_dscnt 0x601
	v_mul_f64_e32 v[141:142], v[2:3], v[28:29]
	v_mul_f64_e32 v[28:29], v[4:5], v[28:29]
	s_wait_loadcnt_dscnt 0x500
	v_mul_f64_e32 v[22:23], v[14:15], v[32:33]
	v_mul_f64_e32 v[24:25], v[16:17], v[32:33]
	v_add_f64_e32 v[18:19], v[20:21], v[18:19]
	v_add_f64_e32 v[20:21], v[42:43], v[139:140]
	v_fma_f64 v[32:33], v[4:5], v[26:27], v[141:142]
	v_fma_f64 v[26:27], v[2:3], v[26:27], -v[28:29]
	v_fma_f64 v[16:17], v[16:17], v[30:31], v[22:23]
	v_fma_f64 v[14:15], v[14:15], v[30:31], -v[24:25]
	v_add_f64_e32 v[18:19], v[18:19], v[10:11]
	v_add_f64_e32 v[20:21], v[20:21], v[12:13]
	ds_load_b128 v[2:5], v1 offset:1280
	ds_load_b128 v[10:13], v1 offset:1296
	s_wait_loadcnt_dscnt 0x401
	v_mul_f64_e32 v[28:29], v[2:3], v[36:37]
	v_mul_f64_e32 v[36:37], v[4:5], v[36:37]
	s_wait_loadcnt_dscnt 0x200
	v_mul_f64_e32 v[22:23], v[10:11], v[137:138]
	v_mul_f64_e32 v[24:25], v[12:13], v[137:138]
	v_add_f64_e32 v[18:19], v[18:19], v[26:27]
	v_add_f64_e32 v[20:21], v[20:21], v[32:33]
	v_fma_f64 v[26:27], v[4:5], v[34:35], v[28:29]
	v_fma_f64 v[28:29], v[2:3], v[34:35], -v[36:37]
	v_fma_f64 v[12:13], v[12:13], v[135:136], v[22:23]
	v_fma_f64 v[10:11], v[10:11], v[135:136], -v[24:25]
	v_add_f64_e32 v[18:19], v[18:19], v[14:15]
	v_add_f64_e32 v[20:21], v[20:21], v[16:17]
	ds_load_b128 v[2:5], v1 offset:1312
	ds_load_b128 v[14:17], v1 offset:1328
	s_wait_loadcnt_dscnt 0x101
	v_mul_f64_e32 v[30:31], v[2:3], v[40:41]
	v_mul_f64_e32 v[32:33], v[4:5], v[40:41]
	s_wait_loadcnt_dscnt 0x0
	v_mul_f64_e32 v[22:23], v[14:15], v[8:9]
	v_mul_f64_e32 v[8:9], v[16:17], v[8:9]
	v_add_f64_e32 v[18:19], v[18:19], v[28:29]
	v_add_f64_e32 v[20:21], v[20:21], v[26:27]
	v_fma_f64 v[4:5], v[4:5], v[38:39], v[30:31]
	v_fma_f64 v[1:2], v[2:3], v[38:39], -v[32:33]
	v_fma_f64 v[16:17], v[16:17], v[6:7], v[22:23]
	v_fma_f64 v[6:7], v[14:15], v[6:7], -v[8:9]
	v_add_f64_e32 v[10:11], v[18:19], v[10:11]
	v_add_f64_e32 v[12:13], v[20:21], v[12:13]
	s_delay_alu instid0(VALU_DEP_2) | instskip(NEXT) | instid1(VALU_DEP_2)
	v_add_f64_e32 v[1:2], v[10:11], v[1:2]
	v_add_f64_e32 v[3:4], v[12:13], v[4:5]
	s_delay_alu instid0(VALU_DEP_2) | instskip(NEXT) | instid1(VALU_DEP_2)
	;; [unrolled: 3-line block ×3, first 2 shown]
	v_add_f64_e64 v[1:2], v[131:132], -v[1:2]
	v_add_f64_e64 v[3:4], v[133:134], -v[3:4]
	scratch_store_b128 off, v[1:4], off offset:480
	v_cmpx_lt_u32_e32 28, v0
	s_cbranch_execz .LBB41_209
; %bb.208:
	scratch_load_b128 v[1:4], off, s14
	v_mov_b32_e32 v5, 0
	s_delay_alu instid0(VALU_DEP_1)
	v_dual_mov_b32 v6, v5 :: v_dual_mov_b32 v7, v5
	v_mov_b32_e32 v8, v5
	scratch_store_b128 off, v[5:8], off offset:464
	s_wait_loadcnt 0x0
	ds_store_b128 v130, v[1:4]
.LBB41_209:
	s_wait_alu 0xfffe
	s_or_b32 exec_lo, exec_lo, s0
	s_wait_storecnt_dscnt 0x0
	s_barrier_signal -1
	s_barrier_wait -1
	global_inv scope:SCOPE_SE
	s_clause 0x7
	scratch_load_b128 v[2:5], off, off offset:480
	scratch_load_b128 v[6:9], off, off offset:496
	;; [unrolled: 1-line block ×8, first 2 shown]
	v_mov_b32_e32 v1, 0
	s_mov_b32 s0, exec_lo
	ds_load_b128 v[34:37], v1 offset:1136
	s_clause 0x1
	scratch_load_b128 v[38:41], off, off offset:608
	scratch_load_b128 v[42:45], off, off offset:464
	ds_load_b128 v[131:134], v1 offset:1152
	scratch_load_b128 v[135:138], off, off offset:624
	s_wait_loadcnt_dscnt 0xa01
	v_mul_f64_e32 v[139:140], v[36:37], v[4:5]
	v_mul_f64_e32 v[4:5], v[34:35], v[4:5]
	s_delay_alu instid0(VALU_DEP_2) | instskip(NEXT) | instid1(VALU_DEP_2)
	v_fma_f64 v[145:146], v[34:35], v[2:3], -v[139:140]
	v_fma_f64 v[147:148], v[36:37], v[2:3], v[4:5]
	ds_load_b128 v[2:5], v1 offset:1168
	s_wait_loadcnt_dscnt 0x901
	v_mul_f64_e32 v[143:144], v[131:132], v[8:9]
	v_mul_f64_e32 v[8:9], v[133:134], v[8:9]
	scratch_load_b128 v[34:37], off, off offset:640
	ds_load_b128 v[139:142], v1 offset:1184
	s_wait_loadcnt_dscnt 0x901
	v_mul_f64_e32 v[149:150], v[2:3], v[12:13]
	v_mul_f64_e32 v[12:13], v[4:5], v[12:13]
	v_fma_f64 v[133:134], v[133:134], v[6:7], v[143:144]
	v_fma_f64 v[131:132], v[131:132], v[6:7], -v[8:9]
	v_add_f64_e32 v[143:144], 0, v[145:146]
	v_add_f64_e32 v[145:146], 0, v[147:148]
	scratch_load_b128 v[6:9], off, off offset:656
	v_fma_f64 v[149:150], v[4:5], v[10:11], v[149:150]
	v_fma_f64 v[151:152], v[2:3], v[10:11], -v[12:13]
	ds_load_b128 v[2:5], v1 offset:1200
	s_wait_loadcnt_dscnt 0x901
	v_mul_f64_e32 v[147:148], v[139:140], v[16:17]
	v_mul_f64_e32 v[16:17], v[141:142], v[16:17]
	scratch_load_b128 v[10:13], off, off offset:672
	v_add_f64_e32 v[143:144], v[143:144], v[131:132]
	v_add_f64_e32 v[145:146], v[145:146], v[133:134]
	s_wait_loadcnt_dscnt 0x900
	v_mul_f64_e32 v[153:154], v[2:3], v[20:21]
	v_mul_f64_e32 v[20:21], v[4:5], v[20:21]
	ds_load_b128 v[131:134], v1 offset:1216
	v_fma_f64 v[141:142], v[141:142], v[14:15], v[147:148]
	v_fma_f64 v[14:15], v[139:140], v[14:15], -v[16:17]
	v_add_f64_e32 v[16:17], v[143:144], v[151:152]
	v_add_f64_e32 v[139:140], v[145:146], v[149:150]
	s_wait_loadcnt_dscnt 0x800
	v_mul_f64_e32 v[143:144], v[131:132], v[24:25]
	v_mul_f64_e32 v[24:25], v[133:134], v[24:25]
	v_fma_f64 v[145:146], v[4:5], v[18:19], v[153:154]
	v_fma_f64 v[18:19], v[2:3], v[18:19], -v[20:21]
	v_add_f64_e32 v[20:21], v[16:17], v[14:15]
	v_add_f64_e32 v[139:140], v[139:140], v[141:142]
	ds_load_b128 v[2:5], v1 offset:1232
	ds_load_b128 v[14:17], v1 offset:1248
	v_fma_f64 v[133:134], v[133:134], v[22:23], v[143:144]
	v_fma_f64 v[22:23], v[131:132], v[22:23], -v[24:25]
	s_wait_loadcnt_dscnt 0x701
	v_mul_f64_e32 v[141:142], v[2:3], v[28:29]
	v_mul_f64_e32 v[28:29], v[4:5], v[28:29]
	s_wait_loadcnt_dscnt 0x600
	v_mul_f64_e32 v[24:25], v[14:15], v[32:33]
	v_mul_f64_e32 v[32:33], v[16:17], v[32:33]
	v_add_f64_e32 v[18:19], v[20:21], v[18:19]
	v_add_f64_e32 v[20:21], v[139:140], v[145:146]
	v_fma_f64 v[131:132], v[4:5], v[26:27], v[141:142]
	v_fma_f64 v[26:27], v[2:3], v[26:27], -v[28:29]
	v_fma_f64 v[16:17], v[16:17], v[30:31], v[24:25]
	v_fma_f64 v[14:15], v[14:15], v[30:31], -v[32:33]
	v_add_f64_e32 v[22:23], v[18:19], v[22:23]
	v_add_f64_e32 v[28:29], v[20:21], v[133:134]
	ds_load_b128 v[2:5], v1 offset:1264
	ds_load_b128 v[18:21], v1 offset:1280
	s_wait_loadcnt_dscnt 0x501
	v_mul_f64_e32 v[133:134], v[2:3], v[40:41]
	v_mul_f64_e32 v[40:41], v[4:5], v[40:41]
	v_add_f64_e32 v[22:23], v[22:23], v[26:27]
	v_add_f64_e32 v[24:25], v[28:29], v[131:132]
	s_wait_loadcnt_dscnt 0x300
	v_mul_f64_e32 v[26:27], v[18:19], v[137:138]
	v_mul_f64_e32 v[28:29], v[20:21], v[137:138]
	v_fma_f64 v[30:31], v[4:5], v[38:39], v[133:134]
	v_fma_f64 v[32:33], v[2:3], v[38:39], -v[40:41]
	v_add_f64_e32 v[22:23], v[22:23], v[14:15]
	v_add_f64_e32 v[24:25], v[24:25], v[16:17]
	ds_load_b128 v[2:5], v1 offset:1296
	ds_load_b128 v[14:17], v1 offset:1312
	v_fma_f64 v[20:21], v[20:21], v[135:136], v[26:27]
	v_fma_f64 v[18:19], v[18:19], v[135:136], -v[28:29]
	s_wait_loadcnt_dscnt 0x201
	v_mul_f64_e32 v[38:39], v[2:3], v[36:37]
	v_mul_f64_e32 v[36:37], v[4:5], v[36:37]
	v_add_f64_e32 v[22:23], v[22:23], v[32:33]
	v_add_f64_e32 v[24:25], v[24:25], v[30:31]
	s_wait_loadcnt_dscnt 0x100
	v_mul_f64_e32 v[26:27], v[14:15], v[8:9]
	v_mul_f64_e32 v[8:9], v[16:17], v[8:9]
	v_fma_f64 v[28:29], v[4:5], v[34:35], v[38:39]
	v_fma_f64 v[30:31], v[2:3], v[34:35], -v[36:37]
	ds_load_b128 v[2:5], v1 offset:1328
	v_add_f64_e32 v[18:19], v[22:23], v[18:19]
	v_add_f64_e32 v[20:21], v[24:25], v[20:21]
	s_wait_loadcnt_dscnt 0x0
	v_mul_f64_e32 v[22:23], v[2:3], v[12:13]
	v_mul_f64_e32 v[12:13], v[4:5], v[12:13]
	v_fma_f64 v[16:17], v[16:17], v[6:7], v[26:27]
	v_fma_f64 v[6:7], v[14:15], v[6:7], -v[8:9]
	v_add_f64_e32 v[8:9], v[18:19], v[30:31]
	v_add_f64_e32 v[14:15], v[20:21], v[28:29]
	v_fma_f64 v[4:5], v[4:5], v[10:11], v[22:23]
	v_fma_f64 v[2:3], v[2:3], v[10:11], -v[12:13]
	s_delay_alu instid0(VALU_DEP_4) | instskip(NEXT) | instid1(VALU_DEP_4)
	v_add_f64_e32 v[6:7], v[8:9], v[6:7]
	v_add_f64_e32 v[8:9], v[14:15], v[16:17]
	s_delay_alu instid0(VALU_DEP_2) | instskip(NEXT) | instid1(VALU_DEP_2)
	v_add_f64_e32 v[2:3], v[6:7], v[2:3]
	v_add_f64_e32 v[4:5], v[8:9], v[4:5]
	s_delay_alu instid0(VALU_DEP_2) | instskip(NEXT) | instid1(VALU_DEP_2)
	v_add_f64_e64 v[2:3], v[42:43], -v[2:3]
	v_add_f64_e64 v[4:5], v[44:45], -v[4:5]
	scratch_store_b128 off, v[2:5], off offset:464
	v_cmpx_lt_u32_e32 27, v0
	s_cbranch_execz .LBB41_211
; %bb.210:
	scratch_load_b128 v[5:8], off, s13
	v_dual_mov_b32 v2, v1 :: v_dual_mov_b32 v3, v1
	v_mov_b32_e32 v4, v1
	scratch_store_b128 off, v[1:4], off offset:448
	s_wait_loadcnt 0x0
	ds_store_b128 v130, v[5:8]
.LBB41_211:
	s_wait_alu 0xfffe
	s_or_b32 exec_lo, exec_lo, s0
	s_wait_storecnt_dscnt 0x0
	s_barrier_signal -1
	s_barrier_wait -1
	global_inv scope:SCOPE_SE
	s_clause 0x8
	scratch_load_b128 v[2:5], off, off offset:464
	scratch_load_b128 v[6:9], off, off offset:480
	;; [unrolled: 1-line block ×9, first 2 shown]
	ds_load_b128 v[38:41], v1 offset:1120
	ds_load_b128 v[42:45], v1 offset:1136
	s_clause 0x1
	scratch_load_b128 v[131:134], off, off offset:448
	scratch_load_b128 v[135:138], off, off offset:608
	s_mov_b32 s0, exec_lo
	s_wait_loadcnt_dscnt 0xa01
	v_mul_f64_e32 v[139:140], v[40:41], v[4:5]
	v_mul_f64_e32 v[4:5], v[38:39], v[4:5]
	s_wait_loadcnt_dscnt 0x900
	v_mul_f64_e32 v[143:144], v[42:43], v[8:9]
	v_mul_f64_e32 v[8:9], v[44:45], v[8:9]
	s_delay_alu instid0(VALU_DEP_4) | instskip(NEXT) | instid1(VALU_DEP_4)
	v_fma_f64 v[145:146], v[38:39], v[2:3], -v[139:140]
	v_fma_f64 v[147:148], v[40:41], v[2:3], v[4:5]
	ds_load_b128 v[2:5], v1 offset:1152
	ds_load_b128 v[139:142], v1 offset:1168
	scratch_load_b128 v[38:41], off, off offset:624
	v_fma_f64 v[44:45], v[44:45], v[6:7], v[143:144]
	v_fma_f64 v[42:43], v[42:43], v[6:7], -v[8:9]
	scratch_load_b128 v[6:9], off, off offset:640
	s_wait_loadcnt_dscnt 0xa01
	v_mul_f64_e32 v[149:150], v[2:3], v[12:13]
	v_mul_f64_e32 v[12:13], v[4:5], v[12:13]
	v_add_f64_e32 v[143:144], 0, v[145:146]
	v_add_f64_e32 v[145:146], 0, v[147:148]
	s_wait_loadcnt_dscnt 0x900
	v_mul_f64_e32 v[147:148], v[139:140], v[16:17]
	v_mul_f64_e32 v[16:17], v[141:142], v[16:17]
	v_fma_f64 v[149:150], v[4:5], v[10:11], v[149:150]
	v_fma_f64 v[151:152], v[2:3], v[10:11], -v[12:13]
	ds_load_b128 v[2:5], v1 offset:1184
	scratch_load_b128 v[10:13], off, off offset:656
	v_add_f64_e32 v[143:144], v[143:144], v[42:43]
	v_add_f64_e32 v[145:146], v[145:146], v[44:45]
	ds_load_b128 v[42:45], v1 offset:1200
	v_fma_f64 v[141:142], v[141:142], v[14:15], v[147:148]
	v_fma_f64 v[139:140], v[139:140], v[14:15], -v[16:17]
	scratch_load_b128 v[14:17], off, off offset:672
	s_wait_loadcnt_dscnt 0xa01
	v_mul_f64_e32 v[153:154], v[2:3], v[20:21]
	v_mul_f64_e32 v[20:21], v[4:5], v[20:21]
	s_wait_loadcnt_dscnt 0x900
	v_mul_f64_e32 v[147:148], v[42:43], v[24:25]
	v_mul_f64_e32 v[24:25], v[44:45], v[24:25]
	v_add_f64_e32 v[143:144], v[143:144], v[151:152]
	v_add_f64_e32 v[145:146], v[145:146], v[149:150]
	v_fma_f64 v[149:150], v[4:5], v[18:19], v[153:154]
	v_fma_f64 v[151:152], v[2:3], v[18:19], -v[20:21]
	ds_load_b128 v[2:5], v1 offset:1216
	ds_load_b128 v[18:21], v1 offset:1232
	v_fma_f64 v[44:45], v[44:45], v[22:23], v[147:148]
	v_fma_f64 v[22:23], v[42:43], v[22:23], -v[24:25]
	v_add_f64_e32 v[139:140], v[143:144], v[139:140]
	v_add_f64_e32 v[141:142], v[145:146], v[141:142]
	s_wait_loadcnt_dscnt 0x801
	v_mul_f64_e32 v[143:144], v[2:3], v[28:29]
	v_mul_f64_e32 v[28:29], v[4:5], v[28:29]
	s_delay_alu instid0(VALU_DEP_4) | instskip(NEXT) | instid1(VALU_DEP_4)
	v_add_f64_e32 v[24:25], v[139:140], v[151:152]
	v_add_f64_e32 v[42:43], v[141:142], v[149:150]
	s_wait_loadcnt_dscnt 0x700
	v_mul_f64_e32 v[139:140], v[18:19], v[32:33]
	v_mul_f64_e32 v[32:33], v[20:21], v[32:33]
	v_fma_f64 v[141:142], v[4:5], v[26:27], v[143:144]
	v_fma_f64 v[26:27], v[2:3], v[26:27], -v[28:29]
	v_add_f64_e32 v[28:29], v[24:25], v[22:23]
	v_add_f64_e32 v[42:43], v[42:43], v[44:45]
	ds_load_b128 v[2:5], v1 offset:1248
	ds_load_b128 v[22:25], v1 offset:1264
	v_fma_f64 v[20:21], v[20:21], v[30:31], v[139:140]
	v_fma_f64 v[18:19], v[18:19], v[30:31], -v[32:33]
	s_wait_loadcnt_dscnt 0x601
	v_mul_f64_e32 v[44:45], v[2:3], v[36:37]
	v_mul_f64_e32 v[36:37], v[4:5], v[36:37]
	s_wait_loadcnt_dscnt 0x400
	v_mul_f64_e32 v[30:31], v[22:23], v[137:138]
	v_mul_f64_e32 v[32:33], v[24:25], v[137:138]
	v_add_f64_e32 v[26:27], v[28:29], v[26:27]
	v_add_f64_e32 v[28:29], v[42:43], v[141:142]
	v_fma_f64 v[42:43], v[4:5], v[34:35], v[44:45]
	v_fma_f64 v[34:35], v[2:3], v[34:35], -v[36:37]
	v_fma_f64 v[24:25], v[24:25], v[135:136], v[30:31]
	v_fma_f64 v[22:23], v[22:23], v[135:136], -v[32:33]
	v_add_f64_e32 v[26:27], v[26:27], v[18:19]
	v_add_f64_e32 v[28:29], v[28:29], v[20:21]
	ds_load_b128 v[2:5], v1 offset:1280
	ds_load_b128 v[18:21], v1 offset:1296
	s_wait_loadcnt_dscnt 0x301
	v_mul_f64_e32 v[36:37], v[2:3], v[40:41]
	v_mul_f64_e32 v[40:41], v[4:5], v[40:41]
	s_wait_loadcnt_dscnt 0x200
	v_mul_f64_e32 v[30:31], v[18:19], v[8:9]
	v_mul_f64_e32 v[8:9], v[20:21], v[8:9]
	v_add_f64_e32 v[26:27], v[26:27], v[34:35]
	v_add_f64_e32 v[28:29], v[28:29], v[42:43]
	v_fma_f64 v[32:33], v[4:5], v[38:39], v[36:37]
	v_fma_f64 v[34:35], v[2:3], v[38:39], -v[40:41]
	v_fma_f64 v[20:21], v[20:21], v[6:7], v[30:31]
	v_fma_f64 v[6:7], v[18:19], v[6:7], -v[8:9]
	v_add_f64_e32 v[26:27], v[26:27], v[22:23]
	v_add_f64_e32 v[28:29], v[28:29], v[24:25]
	ds_load_b128 v[2:5], v1 offset:1312
	ds_load_b128 v[22:25], v1 offset:1328
	s_wait_loadcnt_dscnt 0x101
	v_mul_f64_e32 v[36:37], v[2:3], v[12:13]
	v_mul_f64_e32 v[12:13], v[4:5], v[12:13]
	v_add_f64_e32 v[8:9], v[26:27], v[34:35]
	v_add_f64_e32 v[18:19], v[28:29], v[32:33]
	s_wait_loadcnt_dscnt 0x0
	v_mul_f64_e32 v[26:27], v[22:23], v[16:17]
	v_mul_f64_e32 v[16:17], v[24:25], v[16:17]
	v_fma_f64 v[4:5], v[4:5], v[10:11], v[36:37]
	v_fma_f64 v[1:2], v[2:3], v[10:11], -v[12:13]
	v_add_f64_e32 v[6:7], v[8:9], v[6:7]
	v_add_f64_e32 v[8:9], v[18:19], v[20:21]
	v_fma_f64 v[10:11], v[24:25], v[14:15], v[26:27]
	v_fma_f64 v[12:13], v[22:23], v[14:15], -v[16:17]
	s_delay_alu instid0(VALU_DEP_4) | instskip(NEXT) | instid1(VALU_DEP_4)
	v_add_f64_e32 v[1:2], v[6:7], v[1:2]
	v_add_f64_e32 v[3:4], v[8:9], v[4:5]
	s_delay_alu instid0(VALU_DEP_2) | instskip(NEXT) | instid1(VALU_DEP_2)
	v_add_f64_e32 v[1:2], v[1:2], v[12:13]
	v_add_f64_e32 v[3:4], v[3:4], v[10:11]
	s_delay_alu instid0(VALU_DEP_2) | instskip(NEXT) | instid1(VALU_DEP_2)
	v_add_f64_e64 v[1:2], v[131:132], -v[1:2]
	v_add_f64_e64 v[3:4], v[133:134], -v[3:4]
	scratch_store_b128 off, v[1:4], off offset:448
	v_cmpx_lt_u32_e32 26, v0
	s_cbranch_execz .LBB41_213
; %bb.212:
	scratch_load_b128 v[1:4], off, s19
	v_mov_b32_e32 v5, 0
	s_delay_alu instid0(VALU_DEP_1)
	v_dual_mov_b32 v6, v5 :: v_dual_mov_b32 v7, v5
	v_mov_b32_e32 v8, v5
	scratch_store_b128 off, v[5:8], off offset:432
	s_wait_loadcnt 0x0
	ds_store_b128 v130, v[1:4]
.LBB41_213:
	s_wait_alu 0xfffe
	s_or_b32 exec_lo, exec_lo, s0
	s_wait_storecnt_dscnt 0x0
	s_barrier_signal -1
	s_barrier_wait -1
	global_inv scope:SCOPE_SE
	s_clause 0x7
	scratch_load_b128 v[2:5], off, off offset:448
	scratch_load_b128 v[6:9], off, off offset:464
	;; [unrolled: 1-line block ×8, first 2 shown]
	v_mov_b32_e32 v1, 0
	s_mov_b32 s0, exec_lo
	ds_load_b128 v[34:37], v1 offset:1104
	s_clause 0x1
	scratch_load_b128 v[38:41], off, off offset:576
	scratch_load_b128 v[42:45], off, off offset:432
	ds_load_b128 v[131:134], v1 offset:1120
	scratch_load_b128 v[135:138], off, off offset:592
	s_wait_loadcnt_dscnt 0xa01
	v_mul_f64_e32 v[139:140], v[36:37], v[4:5]
	v_mul_f64_e32 v[4:5], v[34:35], v[4:5]
	s_delay_alu instid0(VALU_DEP_2) | instskip(NEXT) | instid1(VALU_DEP_2)
	v_fma_f64 v[145:146], v[34:35], v[2:3], -v[139:140]
	v_fma_f64 v[147:148], v[36:37], v[2:3], v[4:5]
	ds_load_b128 v[2:5], v1 offset:1136
	s_wait_loadcnt_dscnt 0x901
	v_mul_f64_e32 v[143:144], v[131:132], v[8:9]
	v_mul_f64_e32 v[8:9], v[133:134], v[8:9]
	scratch_load_b128 v[34:37], off, off offset:608
	ds_load_b128 v[139:142], v1 offset:1152
	s_wait_loadcnt_dscnt 0x901
	v_mul_f64_e32 v[149:150], v[2:3], v[12:13]
	v_mul_f64_e32 v[12:13], v[4:5], v[12:13]
	v_fma_f64 v[133:134], v[133:134], v[6:7], v[143:144]
	v_fma_f64 v[131:132], v[131:132], v[6:7], -v[8:9]
	v_add_f64_e32 v[143:144], 0, v[145:146]
	v_add_f64_e32 v[145:146], 0, v[147:148]
	scratch_load_b128 v[6:9], off, off offset:624
	v_fma_f64 v[149:150], v[4:5], v[10:11], v[149:150]
	v_fma_f64 v[151:152], v[2:3], v[10:11], -v[12:13]
	ds_load_b128 v[2:5], v1 offset:1168
	s_wait_loadcnt_dscnt 0x901
	v_mul_f64_e32 v[147:148], v[139:140], v[16:17]
	v_mul_f64_e32 v[16:17], v[141:142], v[16:17]
	scratch_load_b128 v[10:13], off, off offset:640
	v_add_f64_e32 v[143:144], v[143:144], v[131:132]
	v_add_f64_e32 v[145:146], v[145:146], v[133:134]
	s_wait_loadcnt_dscnt 0x900
	v_mul_f64_e32 v[153:154], v[2:3], v[20:21]
	v_mul_f64_e32 v[20:21], v[4:5], v[20:21]
	ds_load_b128 v[131:134], v1 offset:1184
	v_fma_f64 v[141:142], v[141:142], v[14:15], v[147:148]
	v_fma_f64 v[139:140], v[139:140], v[14:15], -v[16:17]
	scratch_load_b128 v[14:17], off, off offset:656
	v_add_f64_e32 v[143:144], v[143:144], v[151:152]
	v_add_f64_e32 v[145:146], v[145:146], v[149:150]
	v_fma_f64 v[149:150], v[4:5], v[18:19], v[153:154]
	v_fma_f64 v[151:152], v[2:3], v[18:19], -v[20:21]
	ds_load_b128 v[2:5], v1 offset:1200
	s_wait_loadcnt_dscnt 0x901
	v_mul_f64_e32 v[147:148], v[131:132], v[24:25]
	v_mul_f64_e32 v[24:25], v[133:134], v[24:25]
	scratch_load_b128 v[18:21], off, off offset:672
	s_wait_loadcnt_dscnt 0x900
	v_mul_f64_e32 v[153:154], v[2:3], v[28:29]
	v_mul_f64_e32 v[28:29], v[4:5], v[28:29]
	v_add_f64_e32 v[143:144], v[143:144], v[139:140]
	v_add_f64_e32 v[145:146], v[145:146], v[141:142]
	ds_load_b128 v[139:142], v1 offset:1216
	v_fma_f64 v[133:134], v[133:134], v[22:23], v[147:148]
	v_fma_f64 v[22:23], v[131:132], v[22:23], -v[24:25]
	v_add_f64_e32 v[24:25], v[143:144], v[151:152]
	v_add_f64_e32 v[131:132], v[145:146], v[149:150]
	s_wait_loadcnt_dscnt 0x800
	v_mul_f64_e32 v[143:144], v[139:140], v[32:33]
	v_mul_f64_e32 v[32:33], v[141:142], v[32:33]
	v_fma_f64 v[145:146], v[4:5], v[26:27], v[153:154]
	v_fma_f64 v[26:27], v[2:3], v[26:27], -v[28:29]
	v_add_f64_e32 v[28:29], v[24:25], v[22:23]
	v_add_f64_e32 v[131:132], v[131:132], v[133:134]
	ds_load_b128 v[2:5], v1 offset:1232
	ds_load_b128 v[22:25], v1 offset:1248
	v_fma_f64 v[141:142], v[141:142], v[30:31], v[143:144]
	v_fma_f64 v[30:31], v[139:140], v[30:31], -v[32:33]
	s_wait_loadcnt_dscnt 0x701
	v_mul_f64_e32 v[133:134], v[2:3], v[40:41]
	v_mul_f64_e32 v[40:41], v[4:5], v[40:41]
	s_wait_loadcnt_dscnt 0x500
	v_mul_f64_e32 v[32:33], v[22:23], v[137:138]
	v_add_f64_e32 v[26:27], v[28:29], v[26:27]
	v_add_f64_e32 v[28:29], v[131:132], v[145:146]
	v_mul_f64_e32 v[131:132], v[24:25], v[137:138]
	v_fma_f64 v[133:134], v[4:5], v[38:39], v[133:134]
	v_fma_f64 v[38:39], v[2:3], v[38:39], -v[40:41]
	v_fma_f64 v[24:25], v[24:25], v[135:136], v[32:33]
	v_add_f64_e32 v[30:31], v[26:27], v[30:31]
	v_add_f64_e32 v[40:41], v[28:29], v[141:142]
	ds_load_b128 v[2:5], v1 offset:1264
	ds_load_b128 v[26:29], v1 offset:1280
	v_fma_f64 v[22:23], v[22:23], v[135:136], -v[131:132]
	s_wait_loadcnt_dscnt 0x401
	v_mul_f64_e32 v[137:138], v[2:3], v[36:37]
	v_mul_f64_e32 v[36:37], v[4:5], v[36:37]
	v_add_f64_e32 v[30:31], v[30:31], v[38:39]
	v_add_f64_e32 v[32:33], v[40:41], v[133:134]
	s_wait_loadcnt_dscnt 0x300
	v_mul_f64_e32 v[38:39], v[26:27], v[8:9]
	v_mul_f64_e32 v[8:9], v[28:29], v[8:9]
	v_fma_f64 v[40:41], v[4:5], v[34:35], v[137:138]
	v_fma_f64 v[34:35], v[2:3], v[34:35], -v[36:37]
	v_add_f64_e32 v[30:31], v[30:31], v[22:23]
	v_add_f64_e32 v[32:33], v[32:33], v[24:25]
	ds_load_b128 v[2:5], v1 offset:1296
	ds_load_b128 v[22:25], v1 offset:1312
	v_fma_f64 v[28:29], v[28:29], v[6:7], v[38:39]
	v_fma_f64 v[6:7], v[26:27], v[6:7], -v[8:9]
	s_wait_loadcnt_dscnt 0x201
	v_mul_f64_e32 v[36:37], v[2:3], v[12:13]
	v_mul_f64_e32 v[12:13], v[4:5], v[12:13]
	v_add_f64_e32 v[8:9], v[30:31], v[34:35]
	v_add_f64_e32 v[26:27], v[32:33], v[40:41]
	s_wait_loadcnt_dscnt 0x100
	v_mul_f64_e32 v[30:31], v[22:23], v[16:17]
	v_mul_f64_e32 v[16:17], v[24:25], v[16:17]
	v_fma_f64 v[32:33], v[4:5], v[10:11], v[36:37]
	v_fma_f64 v[10:11], v[2:3], v[10:11], -v[12:13]
	ds_load_b128 v[2:5], v1 offset:1328
	v_add_f64_e32 v[6:7], v[8:9], v[6:7]
	v_add_f64_e32 v[8:9], v[26:27], v[28:29]
	v_fma_f64 v[24:25], v[24:25], v[14:15], v[30:31]
	v_fma_f64 v[14:15], v[22:23], v[14:15], -v[16:17]
	s_wait_loadcnt_dscnt 0x0
	v_mul_f64_e32 v[12:13], v[2:3], v[20:21]
	v_mul_f64_e32 v[20:21], v[4:5], v[20:21]
	v_add_f64_e32 v[6:7], v[6:7], v[10:11]
	v_add_f64_e32 v[8:9], v[8:9], v[32:33]
	s_delay_alu instid0(VALU_DEP_4) | instskip(NEXT) | instid1(VALU_DEP_4)
	v_fma_f64 v[4:5], v[4:5], v[18:19], v[12:13]
	v_fma_f64 v[2:3], v[2:3], v[18:19], -v[20:21]
	s_delay_alu instid0(VALU_DEP_4) | instskip(NEXT) | instid1(VALU_DEP_4)
	v_add_f64_e32 v[6:7], v[6:7], v[14:15]
	v_add_f64_e32 v[8:9], v[8:9], v[24:25]
	s_delay_alu instid0(VALU_DEP_2) | instskip(NEXT) | instid1(VALU_DEP_2)
	v_add_f64_e32 v[2:3], v[6:7], v[2:3]
	v_add_f64_e32 v[4:5], v[8:9], v[4:5]
	s_delay_alu instid0(VALU_DEP_2) | instskip(NEXT) | instid1(VALU_DEP_2)
	v_add_f64_e64 v[2:3], v[42:43], -v[2:3]
	v_add_f64_e64 v[4:5], v[44:45], -v[4:5]
	scratch_store_b128 off, v[2:5], off offset:432
	v_cmpx_lt_u32_e32 25, v0
	s_cbranch_execz .LBB41_215
; %bb.214:
	scratch_load_b128 v[5:8], off, s15
	v_dual_mov_b32 v2, v1 :: v_dual_mov_b32 v3, v1
	v_mov_b32_e32 v4, v1
	scratch_store_b128 off, v[1:4], off offset:416
	s_wait_loadcnt 0x0
	ds_store_b128 v130, v[5:8]
.LBB41_215:
	s_wait_alu 0xfffe
	s_or_b32 exec_lo, exec_lo, s0
	s_wait_storecnt_dscnt 0x0
	s_barrier_signal -1
	s_barrier_wait -1
	global_inv scope:SCOPE_SE
	s_clause 0x8
	scratch_load_b128 v[2:5], off, off offset:432
	scratch_load_b128 v[6:9], off, off offset:448
	;; [unrolled: 1-line block ×9, first 2 shown]
	ds_load_b128 v[38:41], v1 offset:1088
	ds_load_b128 v[42:45], v1 offset:1104
	s_clause 0x1
	scratch_load_b128 v[131:134], off, off offset:416
	scratch_load_b128 v[135:138], off, off offset:576
	s_mov_b32 s0, exec_lo
	s_wait_loadcnt_dscnt 0xa01
	v_mul_f64_e32 v[139:140], v[40:41], v[4:5]
	v_mul_f64_e32 v[4:5], v[38:39], v[4:5]
	s_wait_loadcnt_dscnt 0x900
	v_mul_f64_e32 v[143:144], v[42:43], v[8:9]
	v_mul_f64_e32 v[8:9], v[44:45], v[8:9]
	s_delay_alu instid0(VALU_DEP_4) | instskip(NEXT) | instid1(VALU_DEP_4)
	v_fma_f64 v[145:146], v[38:39], v[2:3], -v[139:140]
	v_fma_f64 v[147:148], v[40:41], v[2:3], v[4:5]
	ds_load_b128 v[2:5], v1 offset:1120
	ds_load_b128 v[139:142], v1 offset:1136
	scratch_load_b128 v[38:41], off, off offset:592
	v_fma_f64 v[44:45], v[44:45], v[6:7], v[143:144]
	v_fma_f64 v[42:43], v[42:43], v[6:7], -v[8:9]
	scratch_load_b128 v[6:9], off, off offset:608
	s_wait_loadcnt_dscnt 0xa01
	v_mul_f64_e32 v[149:150], v[2:3], v[12:13]
	v_mul_f64_e32 v[12:13], v[4:5], v[12:13]
	v_add_f64_e32 v[143:144], 0, v[145:146]
	v_add_f64_e32 v[145:146], 0, v[147:148]
	s_wait_loadcnt_dscnt 0x900
	v_mul_f64_e32 v[147:148], v[139:140], v[16:17]
	v_mul_f64_e32 v[16:17], v[141:142], v[16:17]
	v_fma_f64 v[149:150], v[4:5], v[10:11], v[149:150]
	v_fma_f64 v[151:152], v[2:3], v[10:11], -v[12:13]
	ds_load_b128 v[2:5], v1 offset:1152
	scratch_load_b128 v[10:13], off, off offset:624
	v_add_f64_e32 v[143:144], v[143:144], v[42:43]
	v_add_f64_e32 v[145:146], v[145:146], v[44:45]
	ds_load_b128 v[42:45], v1 offset:1168
	v_fma_f64 v[141:142], v[141:142], v[14:15], v[147:148]
	v_fma_f64 v[139:140], v[139:140], v[14:15], -v[16:17]
	scratch_load_b128 v[14:17], off, off offset:640
	s_wait_loadcnt_dscnt 0xa01
	v_mul_f64_e32 v[153:154], v[2:3], v[20:21]
	v_mul_f64_e32 v[20:21], v[4:5], v[20:21]
	s_wait_loadcnt_dscnt 0x900
	v_mul_f64_e32 v[147:148], v[42:43], v[24:25]
	v_mul_f64_e32 v[24:25], v[44:45], v[24:25]
	v_add_f64_e32 v[143:144], v[143:144], v[151:152]
	v_add_f64_e32 v[145:146], v[145:146], v[149:150]
	v_fma_f64 v[149:150], v[4:5], v[18:19], v[153:154]
	v_fma_f64 v[151:152], v[2:3], v[18:19], -v[20:21]
	ds_load_b128 v[2:5], v1 offset:1184
	scratch_load_b128 v[18:21], off, off offset:656
	v_fma_f64 v[44:45], v[44:45], v[22:23], v[147:148]
	v_fma_f64 v[42:43], v[42:43], v[22:23], -v[24:25]
	scratch_load_b128 v[22:25], off, off offset:672
	v_add_f64_e32 v[143:144], v[143:144], v[139:140]
	v_add_f64_e32 v[145:146], v[145:146], v[141:142]
	ds_load_b128 v[139:142], v1 offset:1200
	s_wait_loadcnt_dscnt 0xa01
	v_mul_f64_e32 v[153:154], v[2:3], v[28:29]
	v_mul_f64_e32 v[28:29], v[4:5], v[28:29]
	s_wait_loadcnt_dscnt 0x900
	v_mul_f64_e32 v[147:148], v[139:140], v[32:33]
	v_mul_f64_e32 v[32:33], v[141:142], v[32:33]
	v_add_f64_e32 v[143:144], v[143:144], v[151:152]
	v_add_f64_e32 v[145:146], v[145:146], v[149:150]
	v_fma_f64 v[149:150], v[4:5], v[26:27], v[153:154]
	v_fma_f64 v[151:152], v[2:3], v[26:27], -v[28:29]
	ds_load_b128 v[2:5], v1 offset:1216
	ds_load_b128 v[26:29], v1 offset:1232
	v_fma_f64 v[141:142], v[141:142], v[30:31], v[147:148]
	v_fma_f64 v[30:31], v[139:140], v[30:31], -v[32:33]
	v_add_f64_e32 v[42:43], v[143:144], v[42:43]
	v_add_f64_e32 v[44:45], v[145:146], v[44:45]
	s_wait_loadcnt_dscnt 0x801
	v_mul_f64_e32 v[143:144], v[2:3], v[36:37]
	v_mul_f64_e32 v[36:37], v[4:5], v[36:37]
	s_delay_alu instid0(VALU_DEP_4) | instskip(NEXT) | instid1(VALU_DEP_4)
	v_add_f64_e32 v[32:33], v[42:43], v[151:152]
	v_add_f64_e32 v[42:43], v[44:45], v[149:150]
	s_wait_loadcnt_dscnt 0x600
	v_mul_f64_e32 v[44:45], v[26:27], v[137:138]
	v_mul_f64_e32 v[137:138], v[28:29], v[137:138]
	v_fma_f64 v[139:140], v[4:5], v[34:35], v[143:144]
	v_fma_f64 v[34:35], v[2:3], v[34:35], -v[36:37]
	v_add_f64_e32 v[36:37], v[32:33], v[30:31]
	v_add_f64_e32 v[42:43], v[42:43], v[141:142]
	ds_load_b128 v[2:5], v1 offset:1248
	ds_load_b128 v[30:33], v1 offset:1264
	v_fma_f64 v[28:29], v[28:29], v[135:136], v[44:45]
	v_fma_f64 v[26:27], v[26:27], v[135:136], -v[137:138]
	s_wait_loadcnt_dscnt 0x501
	v_mul_f64_e32 v[141:142], v[2:3], v[40:41]
	v_mul_f64_e32 v[40:41], v[4:5], v[40:41]
	v_add_f64_e32 v[34:35], v[36:37], v[34:35]
	v_add_f64_e32 v[36:37], v[42:43], v[139:140]
	s_wait_loadcnt_dscnt 0x400
	v_mul_f64_e32 v[42:43], v[30:31], v[8:9]
	v_mul_f64_e32 v[8:9], v[32:33], v[8:9]
	v_fma_f64 v[44:45], v[4:5], v[38:39], v[141:142]
	v_fma_f64 v[38:39], v[2:3], v[38:39], -v[40:41]
	v_add_f64_e32 v[34:35], v[34:35], v[26:27]
	v_add_f64_e32 v[36:37], v[36:37], v[28:29]
	ds_load_b128 v[2:5], v1 offset:1280
	ds_load_b128 v[26:29], v1 offset:1296
	v_fma_f64 v[32:33], v[32:33], v[6:7], v[42:43]
	v_fma_f64 v[6:7], v[30:31], v[6:7], -v[8:9]
	s_wait_loadcnt_dscnt 0x301
	v_mul_f64_e32 v[40:41], v[2:3], v[12:13]
	v_mul_f64_e32 v[12:13], v[4:5], v[12:13]
	;; [unrolled: 16-line block ×3, first 2 shown]
	s_wait_loadcnt_dscnt 0x0
	v_mul_f64_e32 v[16:17], v[6:7], v[24:25]
	v_mul_f64_e32 v[24:25], v[8:9], v[24:25]
	v_add_f64_e32 v[10:11], v[12:13], v[10:11]
	v_add_f64_e32 v[12:13], v[30:31], v[36:37]
	v_fma_f64 v[4:5], v[4:5], v[18:19], v[32:33]
	v_fma_f64 v[1:2], v[2:3], v[18:19], -v[20:21]
	v_fma_f64 v[8:9], v[8:9], v[22:23], v[16:17]
	v_fma_f64 v[6:7], v[6:7], v[22:23], -v[24:25]
	v_add_f64_e32 v[10:11], v[10:11], v[14:15]
	v_add_f64_e32 v[12:13], v[12:13], v[28:29]
	s_delay_alu instid0(VALU_DEP_2) | instskip(NEXT) | instid1(VALU_DEP_2)
	v_add_f64_e32 v[1:2], v[10:11], v[1:2]
	v_add_f64_e32 v[3:4], v[12:13], v[4:5]
	s_delay_alu instid0(VALU_DEP_2) | instskip(NEXT) | instid1(VALU_DEP_2)
	;; [unrolled: 3-line block ×3, first 2 shown]
	v_add_f64_e64 v[1:2], v[131:132], -v[1:2]
	v_add_f64_e64 v[3:4], v[133:134], -v[3:4]
	scratch_store_b128 off, v[1:4], off offset:416
	v_cmpx_lt_u32_e32 24, v0
	s_cbranch_execz .LBB41_217
; %bb.216:
	scratch_load_b128 v[1:4], off, s21
	v_mov_b32_e32 v5, 0
	s_delay_alu instid0(VALU_DEP_1)
	v_dual_mov_b32 v6, v5 :: v_dual_mov_b32 v7, v5
	v_mov_b32_e32 v8, v5
	scratch_store_b128 off, v[5:8], off offset:400
	s_wait_loadcnt 0x0
	ds_store_b128 v130, v[1:4]
.LBB41_217:
	s_wait_alu 0xfffe
	s_or_b32 exec_lo, exec_lo, s0
	s_wait_storecnt_dscnt 0x0
	s_barrier_signal -1
	s_barrier_wait -1
	global_inv scope:SCOPE_SE
	s_clause 0x7
	scratch_load_b128 v[2:5], off, off offset:416
	scratch_load_b128 v[6:9], off, off offset:432
	;; [unrolled: 1-line block ×8, first 2 shown]
	v_mov_b32_e32 v1, 0
	s_mov_b32 s0, exec_lo
	ds_load_b128 v[34:37], v1 offset:1072
	s_clause 0x1
	scratch_load_b128 v[38:41], off, off offset:544
	scratch_load_b128 v[42:45], off, off offset:400
	ds_load_b128 v[131:134], v1 offset:1088
	scratch_load_b128 v[135:138], off, off offset:560
	s_wait_loadcnt_dscnt 0xa01
	v_mul_f64_e32 v[139:140], v[36:37], v[4:5]
	v_mul_f64_e32 v[4:5], v[34:35], v[4:5]
	s_delay_alu instid0(VALU_DEP_2) | instskip(NEXT) | instid1(VALU_DEP_2)
	v_fma_f64 v[145:146], v[34:35], v[2:3], -v[139:140]
	v_fma_f64 v[147:148], v[36:37], v[2:3], v[4:5]
	ds_load_b128 v[2:5], v1 offset:1104
	s_wait_loadcnt_dscnt 0x901
	v_mul_f64_e32 v[143:144], v[131:132], v[8:9]
	v_mul_f64_e32 v[8:9], v[133:134], v[8:9]
	scratch_load_b128 v[34:37], off, off offset:576
	ds_load_b128 v[139:142], v1 offset:1120
	s_wait_loadcnt_dscnt 0x901
	v_mul_f64_e32 v[149:150], v[2:3], v[12:13]
	v_mul_f64_e32 v[12:13], v[4:5], v[12:13]
	v_fma_f64 v[133:134], v[133:134], v[6:7], v[143:144]
	v_fma_f64 v[131:132], v[131:132], v[6:7], -v[8:9]
	v_add_f64_e32 v[143:144], 0, v[145:146]
	v_add_f64_e32 v[145:146], 0, v[147:148]
	scratch_load_b128 v[6:9], off, off offset:592
	v_fma_f64 v[149:150], v[4:5], v[10:11], v[149:150]
	v_fma_f64 v[151:152], v[2:3], v[10:11], -v[12:13]
	ds_load_b128 v[2:5], v1 offset:1136
	s_wait_loadcnt_dscnt 0x901
	v_mul_f64_e32 v[147:148], v[139:140], v[16:17]
	v_mul_f64_e32 v[16:17], v[141:142], v[16:17]
	scratch_load_b128 v[10:13], off, off offset:608
	v_add_f64_e32 v[143:144], v[143:144], v[131:132]
	v_add_f64_e32 v[145:146], v[145:146], v[133:134]
	s_wait_loadcnt_dscnt 0x900
	v_mul_f64_e32 v[153:154], v[2:3], v[20:21]
	v_mul_f64_e32 v[20:21], v[4:5], v[20:21]
	ds_load_b128 v[131:134], v1 offset:1152
	v_fma_f64 v[141:142], v[141:142], v[14:15], v[147:148]
	v_fma_f64 v[139:140], v[139:140], v[14:15], -v[16:17]
	scratch_load_b128 v[14:17], off, off offset:624
	v_add_f64_e32 v[143:144], v[143:144], v[151:152]
	v_add_f64_e32 v[145:146], v[145:146], v[149:150]
	v_fma_f64 v[149:150], v[4:5], v[18:19], v[153:154]
	v_fma_f64 v[151:152], v[2:3], v[18:19], -v[20:21]
	ds_load_b128 v[2:5], v1 offset:1168
	s_wait_loadcnt_dscnt 0x901
	v_mul_f64_e32 v[147:148], v[131:132], v[24:25]
	v_mul_f64_e32 v[24:25], v[133:134], v[24:25]
	scratch_load_b128 v[18:21], off, off offset:640
	s_wait_loadcnt_dscnt 0x900
	v_mul_f64_e32 v[153:154], v[2:3], v[28:29]
	v_mul_f64_e32 v[28:29], v[4:5], v[28:29]
	v_add_f64_e32 v[143:144], v[143:144], v[139:140]
	v_add_f64_e32 v[145:146], v[145:146], v[141:142]
	ds_load_b128 v[139:142], v1 offset:1184
	v_fma_f64 v[133:134], v[133:134], v[22:23], v[147:148]
	v_fma_f64 v[131:132], v[131:132], v[22:23], -v[24:25]
	scratch_load_b128 v[22:25], off, off offset:656
	v_add_f64_e32 v[143:144], v[143:144], v[151:152]
	v_add_f64_e32 v[145:146], v[145:146], v[149:150]
	v_fma_f64 v[149:150], v[4:5], v[26:27], v[153:154]
	v_fma_f64 v[151:152], v[2:3], v[26:27], -v[28:29]
	ds_load_b128 v[2:5], v1 offset:1200
	s_wait_loadcnt_dscnt 0x901
	v_mul_f64_e32 v[147:148], v[139:140], v[32:33]
	v_mul_f64_e32 v[32:33], v[141:142], v[32:33]
	scratch_load_b128 v[26:29], off, off offset:672
	s_wait_loadcnt_dscnt 0x900
	v_mul_f64_e32 v[153:154], v[2:3], v[40:41]
	v_mul_f64_e32 v[40:41], v[4:5], v[40:41]
	v_add_f64_e32 v[143:144], v[143:144], v[131:132]
	v_add_f64_e32 v[145:146], v[145:146], v[133:134]
	ds_load_b128 v[131:134], v1 offset:1216
	v_fma_f64 v[141:142], v[141:142], v[30:31], v[147:148]
	v_fma_f64 v[30:31], v[139:140], v[30:31], -v[32:33]
	v_add_f64_e32 v[32:33], v[143:144], v[151:152]
	v_add_f64_e32 v[139:140], v[145:146], v[149:150]
	s_wait_loadcnt_dscnt 0x700
	v_mul_f64_e32 v[143:144], v[131:132], v[137:138]
	v_mul_f64_e32 v[137:138], v[133:134], v[137:138]
	v_fma_f64 v[145:146], v[4:5], v[38:39], v[153:154]
	v_fma_f64 v[38:39], v[2:3], v[38:39], -v[40:41]
	v_add_f64_e32 v[40:41], v[32:33], v[30:31]
	v_add_f64_e32 v[139:140], v[139:140], v[141:142]
	ds_load_b128 v[2:5], v1 offset:1232
	ds_load_b128 v[30:33], v1 offset:1248
	v_fma_f64 v[133:134], v[133:134], v[135:136], v[143:144]
	v_fma_f64 v[131:132], v[131:132], v[135:136], -v[137:138]
	s_wait_loadcnt_dscnt 0x601
	v_mul_f64_e32 v[141:142], v[2:3], v[36:37]
	v_mul_f64_e32 v[36:37], v[4:5], v[36:37]
	v_add_f64_e32 v[38:39], v[40:41], v[38:39]
	v_add_f64_e32 v[40:41], v[139:140], v[145:146]
	s_wait_loadcnt_dscnt 0x500
	v_mul_f64_e32 v[135:136], v[30:31], v[8:9]
	v_mul_f64_e32 v[8:9], v[32:33], v[8:9]
	v_fma_f64 v[137:138], v[4:5], v[34:35], v[141:142]
	v_fma_f64 v[139:140], v[2:3], v[34:35], -v[36:37]
	ds_load_b128 v[2:5], v1 offset:1264
	ds_load_b128 v[34:37], v1 offset:1280
	v_add_f64_e32 v[38:39], v[38:39], v[131:132]
	v_add_f64_e32 v[40:41], v[40:41], v[133:134]
	s_wait_loadcnt_dscnt 0x401
	v_mul_f64_e32 v[131:132], v[2:3], v[12:13]
	v_mul_f64_e32 v[12:13], v[4:5], v[12:13]
	v_fma_f64 v[32:33], v[32:33], v[6:7], v[135:136]
	v_fma_f64 v[6:7], v[30:31], v[6:7], -v[8:9]
	v_add_f64_e32 v[8:9], v[38:39], v[139:140]
	v_add_f64_e32 v[30:31], v[40:41], v[137:138]
	s_wait_loadcnt_dscnt 0x300
	v_mul_f64_e32 v[38:39], v[34:35], v[16:17]
	v_mul_f64_e32 v[16:17], v[36:37], v[16:17]
	v_fma_f64 v[40:41], v[4:5], v[10:11], v[131:132]
	v_fma_f64 v[10:11], v[2:3], v[10:11], -v[12:13]
	v_add_f64_e32 v[12:13], v[8:9], v[6:7]
	v_add_f64_e32 v[30:31], v[30:31], v[32:33]
	ds_load_b128 v[2:5], v1 offset:1296
	ds_load_b128 v[6:9], v1 offset:1312
	v_fma_f64 v[36:37], v[36:37], v[14:15], v[38:39]
	v_fma_f64 v[14:15], v[34:35], v[14:15], -v[16:17]
	s_wait_loadcnt_dscnt 0x201
	v_mul_f64_e32 v[32:33], v[2:3], v[20:21]
	v_mul_f64_e32 v[20:21], v[4:5], v[20:21]
	s_wait_loadcnt_dscnt 0x100
	v_mul_f64_e32 v[16:17], v[6:7], v[24:25]
	v_mul_f64_e32 v[24:25], v[8:9], v[24:25]
	v_add_f64_e32 v[10:11], v[12:13], v[10:11]
	v_add_f64_e32 v[12:13], v[30:31], v[40:41]
	v_fma_f64 v[30:31], v[4:5], v[18:19], v[32:33]
	v_fma_f64 v[18:19], v[2:3], v[18:19], -v[20:21]
	ds_load_b128 v[2:5], v1 offset:1328
	v_fma_f64 v[8:9], v[8:9], v[22:23], v[16:17]
	v_fma_f64 v[6:7], v[6:7], v[22:23], -v[24:25]
	v_add_f64_e32 v[10:11], v[10:11], v[14:15]
	v_add_f64_e32 v[12:13], v[12:13], v[36:37]
	s_wait_loadcnt_dscnt 0x0
	v_mul_f64_e32 v[14:15], v[2:3], v[28:29]
	v_mul_f64_e32 v[20:21], v[4:5], v[28:29]
	s_delay_alu instid0(VALU_DEP_4) | instskip(NEXT) | instid1(VALU_DEP_4)
	v_add_f64_e32 v[10:11], v[10:11], v[18:19]
	v_add_f64_e32 v[12:13], v[12:13], v[30:31]
	s_delay_alu instid0(VALU_DEP_4) | instskip(NEXT) | instid1(VALU_DEP_4)
	v_fma_f64 v[4:5], v[4:5], v[26:27], v[14:15]
	v_fma_f64 v[2:3], v[2:3], v[26:27], -v[20:21]
	s_delay_alu instid0(VALU_DEP_4) | instskip(NEXT) | instid1(VALU_DEP_4)
	v_add_f64_e32 v[6:7], v[10:11], v[6:7]
	v_add_f64_e32 v[8:9], v[12:13], v[8:9]
	s_delay_alu instid0(VALU_DEP_2) | instskip(NEXT) | instid1(VALU_DEP_2)
	v_add_f64_e32 v[2:3], v[6:7], v[2:3]
	v_add_f64_e32 v[4:5], v[8:9], v[4:5]
	s_delay_alu instid0(VALU_DEP_2) | instskip(NEXT) | instid1(VALU_DEP_2)
	v_add_f64_e64 v[2:3], v[42:43], -v[2:3]
	v_add_f64_e64 v[4:5], v[44:45], -v[4:5]
	scratch_store_b128 off, v[2:5], off offset:400
	v_cmpx_lt_u32_e32 23, v0
	s_cbranch_execz .LBB41_219
; %bb.218:
	scratch_load_b128 v[5:8], off, s20
	v_dual_mov_b32 v2, v1 :: v_dual_mov_b32 v3, v1
	v_mov_b32_e32 v4, v1
	scratch_store_b128 off, v[1:4], off offset:384
	s_wait_loadcnt 0x0
	ds_store_b128 v130, v[5:8]
.LBB41_219:
	s_wait_alu 0xfffe
	s_or_b32 exec_lo, exec_lo, s0
	s_wait_storecnt_dscnt 0x0
	s_barrier_signal -1
	s_barrier_wait -1
	global_inv scope:SCOPE_SE
	s_clause 0x8
	scratch_load_b128 v[2:5], off, off offset:400
	scratch_load_b128 v[6:9], off, off offset:416
	;; [unrolled: 1-line block ×9, first 2 shown]
	ds_load_b128 v[38:41], v1 offset:1056
	ds_load_b128 v[42:45], v1 offset:1072
	s_clause 0x1
	scratch_load_b128 v[131:134], off, off offset:384
	scratch_load_b128 v[135:138], off, off offset:544
	s_mov_b32 s0, exec_lo
	s_wait_loadcnt_dscnt 0xa01
	v_mul_f64_e32 v[139:140], v[40:41], v[4:5]
	v_mul_f64_e32 v[4:5], v[38:39], v[4:5]
	s_wait_loadcnt_dscnt 0x900
	v_mul_f64_e32 v[143:144], v[42:43], v[8:9]
	v_mul_f64_e32 v[8:9], v[44:45], v[8:9]
	s_delay_alu instid0(VALU_DEP_4) | instskip(NEXT) | instid1(VALU_DEP_4)
	v_fma_f64 v[145:146], v[38:39], v[2:3], -v[139:140]
	v_fma_f64 v[147:148], v[40:41], v[2:3], v[4:5]
	ds_load_b128 v[2:5], v1 offset:1088
	ds_load_b128 v[139:142], v1 offset:1104
	scratch_load_b128 v[38:41], off, off offset:560
	v_fma_f64 v[44:45], v[44:45], v[6:7], v[143:144]
	v_fma_f64 v[42:43], v[42:43], v[6:7], -v[8:9]
	scratch_load_b128 v[6:9], off, off offset:576
	s_wait_loadcnt_dscnt 0xa01
	v_mul_f64_e32 v[149:150], v[2:3], v[12:13]
	v_mul_f64_e32 v[12:13], v[4:5], v[12:13]
	v_add_f64_e32 v[143:144], 0, v[145:146]
	v_add_f64_e32 v[145:146], 0, v[147:148]
	s_wait_loadcnt_dscnt 0x900
	v_mul_f64_e32 v[147:148], v[139:140], v[16:17]
	v_mul_f64_e32 v[16:17], v[141:142], v[16:17]
	v_fma_f64 v[149:150], v[4:5], v[10:11], v[149:150]
	v_fma_f64 v[151:152], v[2:3], v[10:11], -v[12:13]
	ds_load_b128 v[2:5], v1 offset:1120
	scratch_load_b128 v[10:13], off, off offset:592
	v_add_f64_e32 v[143:144], v[143:144], v[42:43]
	v_add_f64_e32 v[145:146], v[145:146], v[44:45]
	ds_load_b128 v[42:45], v1 offset:1136
	v_fma_f64 v[141:142], v[141:142], v[14:15], v[147:148]
	v_fma_f64 v[139:140], v[139:140], v[14:15], -v[16:17]
	scratch_load_b128 v[14:17], off, off offset:608
	s_wait_loadcnt_dscnt 0xa01
	v_mul_f64_e32 v[153:154], v[2:3], v[20:21]
	v_mul_f64_e32 v[20:21], v[4:5], v[20:21]
	s_wait_loadcnt_dscnt 0x900
	v_mul_f64_e32 v[147:148], v[42:43], v[24:25]
	v_mul_f64_e32 v[24:25], v[44:45], v[24:25]
	v_add_f64_e32 v[143:144], v[143:144], v[151:152]
	v_add_f64_e32 v[145:146], v[145:146], v[149:150]
	v_fma_f64 v[149:150], v[4:5], v[18:19], v[153:154]
	v_fma_f64 v[151:152], v[2:3], v[18:19], -v[20:21]
	ds_load_b128 v[2:5], v1 offset:1152
	scratch_load_b128 v[18:21], off, off offset:624
	v_fma_f64 v[44:45], v[44:45], v[22:23], v[147:148]
	v_fma_f64 v[42:43], v[42:43], v[22:23], -v[24:25]
	scratch_load_b128 v[22:25], off, off offset:640
	v_add_f64_e32 v[143:144], v[143:144], v[139:140]
	v_add_f64_e32 v[145:146], v[145:146], v[141:142]
	ds_load_b128 v[139:142], v1 offset:1168
	s_wait_loadcnt_dscnt 0xa01
	v_mul_f64_e32 v[153:154], v[2:3], v[28:29]
	v_mul_f64_e32 v[28:29], v[4:5], v[28:29]
	s_wait_loadcnt_dscnt 0x900
	v_mul_f64_e32 v[147:148], v[139:140], v[32:33]
	v_mul_f64_e32 v[32:33], v[141:142], v[32:33]
	v_add_f64_e32 v[143:144], v[143:144], v[151:152]
	v_add_f64_e32 v[145:146], v[145:146], v[149:150]
	v_fma_f64 v[149:150], v[4:5], v[26:27], v[153:154]
	v_fma_f64 v[151:152], v[2:3], v[26:27], -v[28:29]
	ds_load_b128 v[2:5], v1 offset:1184
	scratch_load_b128 v[26:29], off, off offset:656
	v_fma_f64 v[141:142], v[141:142], v[30:31], v[147:148]
	v_fma_f64 v[139:140], v[139:140], v[30:31], -v[32:33]
	scratch_load_b128 v[30:33], off, off offset:672
	v_add_f64_e32 v[143:144], v[143:144], v[42:43]
	v_add_f64_e32 v[145:146], v[145:146], v[44:45]
	ds_load_b128 v[42:45], v1 offset:1200
	s_wait_loadcnt_dscnt 0xa01
	v_mul_f64_e32 v[153:154], v[2:3], v[36:37]
	v_mul_f64_e32 v[36:37], v[4:5], v[36:37]
	s_wait_loadcnt_dscnt 0x800
	v_mul_f64_e32 v[147:148], v[42:43], v[137:138]
	v_mul_f64_e32 v[137:138], v[44:45], v[137:138]
	v_add_f64_e32 v[143:144], v[143:144], v[151:152]
	v_add_f64_e32 v[145:146], v[145:146], v[149:150]
	v_fma_f64 v[149:150], v[4:5], v[34:35], v[153:154]
	v_fma_f64 v[151:152], v[2:3], v[34:35], -v[36:37]
	ds_load_b128 v[2:5], v1 offset:1216
	ds_load_b128 v[34:37], v1 offset:1232
	v_fma_f64 v[44:45], v[44:45], v[135:136], v[147:148]
	v_fma_f64 v[42:43], v[42:43], v[135:136], -v[137:138]
	v_add_f64_e32 v[139:140], v[143:144], v[139:140]
	v_add_f64_e32 v[141:142], v[145:146], v[141:142]
	s_wait_loadcnt_dscnt 0x701
	v_mul_f64_e32 v[143:144], v[2:3], v[40:41]
	v_mul_f64_e32 v[40:41], v[4:5], v[40:41]
	s_delay_alu instid0(VALU_DEP_4) | instskip(NEXT) | instid1(VALU_DEP_4)
	v_add_f64_e32 v[135:136], v[139:140], v[151:152]
	v_add_f64_e32 v[137:138], v[141:142], v[149:150]
	s_wait_loadcnt_dscnt 0x600
	v_mul_f64_e32 v[139:140], v[34:35], v[8:9]
	v_mul_f64_e32 v[8:9], v[36:37], v[8:9]
	v_fma_f64 v[141:142], v[4:5], v[38:39], v[143:144]
	v_fma_f64 v[143:144], v[2:3], v[38:39], -v[40:41]
	ds_load_b128 v[2:5], v1 offset:1248
	ds_load_b128 v[38:41], v1 offset:1264
	v_add_f64_e32 v[42:43], v[135:136], v[42:43]
	v_add_f64_e32 v[44:45], v[137:138], v[44:45]
	v_fma_f64 v[36:37], v[36:37], v[6:7], v[139:140]
	s_wait_loadcnt_dscnt 0x501
	v_mul_f64_e32 v[135:136], v[2:3], v[12:13]
	v_mul_f64_e32 v[12:13], v[4:5], v[12:13]
	v_fma_f64 v[6:7], v[34:35], v[6:7], -v[8:9]
	v_add_f64_e32 v[8:9], v[42:43], v[143:144]
	v_add_f64_e32 v[34:35], v[44:45], v[141:142]
	s_wait_loadcnt_dscnt 0x400
	v_mul_f64_e32 v[42:43], v[38:39], v[16:17]
	v_mul_f64_e32 v[16:17], v[40:41], v[16:17]
	v_fma_f64 v[44:45], v[4:5], v[10:11], v[135:136]
	v_fma_f64 v[10:11], v[2:3], v[10:11], -v[12:13]
	v_add_f64_e32 v[12:13], v[8:9], v[6:7]
	v_add_f64_e32 v[34:35], v[34:35], v[36:37]
	ds_load_b128 v[2:5], v1 offset:1280
	ds_load_b128 v[6:9], v1 offset:1296
	v_fma_f64 v[40:41], v[40:41], v[14:15], v[42:43]
	v_fma_f64 v[14:15], v[38:39], v[14:15], -v[16:17]
	s_wait_loadcnt_dscnt 0x301
	v_mul_f64_e32 v[36:37], v[2:3], v[20:21]
	v_mul_f64_e32 v[20:21], v[4:5], v[20:21]
	s_wait_loadcnt_dscnt 0x200
	v_mul_f64_e32 v[16:17], v[6:7], v[24:25]
	v_mul_f64_e32 v[24:25], v[8:9], v[24:25]
	v_add_f64_e32 v[10:11], v[12:13], v[10:11]
	v_add_f64_e32 v[12:13], v[34:35], v[44:45]
	v_fma_f64 v[34:35], v[4:5], v[18:19], v[36:37]
	v_fma_f64 v[18:19], v[2:3], v[18:19], -v[20:21]
	v_fma_f64 v[8:9], v[8:9], v[22:23], v[16:17]
	v_fma_f64 v[6:7], v[6:7], v[22:23], -v[24:25]
	v_add_f64_e32 v[14:15], v[10:11], v[14:15]
	v_add_f64_e32 v[20:21], v[12:13], v[40:41]
	ds_load_b128 v[2:5], v1 offset:1312
	ds_load_b128 v[10:13], v1 offset:1328
	s_wait_loadcnt_dscnt 0x101
	v_mul_f64_e32 v[36:37], v[2:3], v[28:29]
	v_mul_f64_e32 v[28:29], v[4:5], v[28:29]
	v_add_f64_e32 v[14:15], v[14:15], v[18:19]
	v_add_f64_e32 v[16:17], v[20:21], v[34:35]
	s_wait_loadcnt_dscnt 0x0
	v_mul_f64_e32 v[18:19], v[10:11], v[32:33]
	v_mul_f64_e32 v[20:21], v[12:13], v[32:33]
	v_fma_f64 v[4:5], v[4:5], v[26:27], v[36:37]
	v_fma_f64 v[1:2], v[2:3], v[26:27], -v[28:29]
	v_add_f64_e32 v[6:7], v[14:15], v[6:7]
	v_add_f64_e32 v[8:9], v[16:17], v[8:9]
	v_fma_f64 v[12:13], v[12:13], v[30:31], v[18:19]
	v_fma_f64 v[10:11], v[10:11], v[30:31], -v[20:21]
	s_delay_alu instid0(VALU_DEP_4) | instskip(NEXT) | instid1(VALU_DEP_4)
	v_add_f64_e32 v[1:2], v[6:7], v[1:2]
	v_add_f64_e32 v[3:4], v[8:9], v[4:5]
	s_delay_alu instid0(VALU_DEP_2) | instskip(NEXT) | instid1(VALU_DEP_2)
	v_add_f64_e32 v[1:2], v[1:2], v[10:11]
	v_add_f64_e32 v[3:4], v[3:4], v[12:13]
	s_delay_alu instid0(VALU_DEP_2) | instskip(NEXT) | instid1(VALU_DEP_2)
	v_add_f64_e64 v[1:2], v[131:132], -v[1:2]
	v_add_f64_e64 v[3:4], v[133:134], -v[3:4]
	scratch_store_b128 off, v[1:4], off offset:384
	v_cmpx_lt_u32_e32 22, v0
	s_cbranch_execz .LBB41_221
; %bb.220:
	scratch_load_b128 v[1:4], off, s23
	v_mov_b32_e32 v5, 0
	s_delay_alu instid0(VALU_DEP_1)
	v_dual_mov_b32 v6, v5 :: v_dual_mov_b32 v7, v5
	v_mov_b32_e32 v8, v5
	scratch_store_b128 off, v[5:8], off offset:368
	s_wait_loadcnt 0x0
	ds_store_b128 v130, v[1:4]
.LBB41_221:
	s_wait_alu 0xfffe
	s_or_b32 exec_lo, exec_lo, s0
	s_wait_storecnt_dscnt 0x0
	s_barrier_signal -1
	s_barrier_wait -1
	global_inv scope:SCOPE_SE
	s_clause 0x7
	scratch_load_b128 v[2:5], off, off offset:384
	scratch_load_b128 v[6:9], off, off offset:400
	;; [unrolled: 1-line block ×8, first 2 shown]
	v_mov_b32_e32 v1, 0
	s_mov_b32 s0, exec_lo
	ds_load_b128 v[34:37], v1 offset:1040
	s_clause 0x1
	scratch_load_b128 v[38:41], off, off offset:512
	scratch_load_b128 v[42:45], off, off offset:368
	ds_load_b128 v[131:134], v1 offset:1056
	scratch_load_b128 v[135:138], off, off offset:528
	s_wait_loadcnt_dscnt 0xa01
	v_mul_f64_e32 v[139:140], v[36:37], v[4:5]
	v_mul_f64_e32 v[4:5], v[34:35], v[4:5]
	s_delay_alu instid0(VALU_DEP_2) | instskip(NEXT) | instid1(VALU_DEP_2)
	v_fma_f64 v[145:146], v[34:35], v[2:3], -v[139:140]
	v_fma_f64 v[147:148], v[36:37], v[2:3], v[4:5]
	ds_load_b128 v[2:5], v1 offset:1072
	s_wait_loadcnt_dscnt 0x901
	v_mul_f64_e32 v[143:144], v[131:132], v[8:9]
	v_mul_f64_e32 v[8:9], v[133:134], v[8:9]
	scratch_load_b128 v[34:37], off, off offset:544
	ds_load_b128 v[139:142], v1 offset:1088
	s_wait_loadcnt_dscnt 0x901
	v_mul_f64_e32 v[149:150], v[2:3], v[12:13]
	v_mul_f64_e32 v[12:13], v[4:5], v[12:13]
	v_fma_f64 v[133:134], v[133:134], v[6:7], v[143:144]
	v_fma_f64 v[131:132], v[131:132], v[6:7], -v[8:9]
	v_add_f64_e32 v[143:144], 0, v[145:146]
	v_add_f64_e32 v[145:146], 0, v[147:148]
	scratch_load_b128 v[6:9], off, off offset:560
	v_fma_f64 v[149:150], v[4:5], v[10:11], v[149:150]
	v_fma_f64 v[151:152], v[2:3], v[10:11], -v[12:13]
	ds_load_b128 v[2:5], v1 offset:1104
	s_wait_loadcnt_dscnt 0x901
	v_mul_f64_e32 v[147:148], v[139:140], v[16:17]
	v_mul_f64_e32 v[16:17], v[141:142], v[16:17]
	scratch_load_b128 v[10:13], off, off offset:576
	v_add_f64_e32 v[143:144], v[143:144], v[131:132]
	v_add_f64_e32 v[145:146], v[145:146], v[133:134]
	s_wait_loadcnt_dscnt 0x900
	v_mul_f64_e32 v[153:154], v[2:3], v[20:21]
	v_mul_f64_e32 v[20:21], v[4:5], v[20:21]
	ds_load_b128 v[131:134], v1 offset:1120
	v_fma_f64 v[141:142], v[141:142], v[14:15], v[147:148]
	v_fma_f64 v[139:140], v[139:140], v[14:15], -v[16:17]
	scratch_load_b128 v[14:17], off, off offset:592
	v_add_f64_e32 v[143:144], v[143:144], v[151:152]
	v_add_f64_e32 v[145:146], v[145:146], v[149:150]
	v_fma_f64 v[149:150], v[4:5], v[18:19], v[153:154]
	v_fma_f64 v[151:152], v[2:3], v[18:19], -v[20:21]
	ds_load_b128 v[2:5], v1 offset:1136
	s_wait_loadcnt_dscnt 0x901
	v_mul_f64_e32 v[147:148], v[131:132], v[24:25]
	v_mul_f64_e32 v[24:25], v[133:134], v[24:25]
	scratch_load_b128 v[18:21], off, off offset:608
	s_wait_loadcnt_dscnt 0x900
	v_mul_f64_e32 v[153:154], v[2:3], v[28:29]
	v_mul_f64_e32 v[28:29], v[4:5], v[28:29]
	v_add_f64_e32 v[143:144], v[143:144], v[139:140]
	v_add_f64_e32 v[145:146], v[145:146], v[141:142]
	ds_load_b128 v[139:142], v1 offset:1152
	v_fma_f64 v[133:134], v[133:134], v[22:23], v[147:148]
	v_fma_f64 v[131:132], v[131:132], v[22:23], -v[24:25]
	scratch_load_b128 v[22:25], off, off offset:624
	v_add_f64_e32 v[143:144], v[143:144], v[151:152]
	v_add_f64_e32 v[145:146], v[145:146], v[149:150]
	v_fma_f64 v[149:150], v[4:5], v[26:27], v[153:154]
	v_fma_f64 v[151:152], v[2:3], v[26:27], -v[28:29]
	ds_load_b128 v[2:5], v1 offset:1168
	s_wait_loadcnt_dscnt 0x901
	v_mul_f64_e32 v[147:148], v[139:140], v[32:33]
	v_mul_f64_e32 v[32:33], v[141:142], v[32:33]
	scratch_load_b128 v[26:29], off, off offset:640
	s_wait_loadcnt_dscnt 0x900
	v_mul_f64_e32 v[153:154], v[2:3], v[40:41]
	v_mul_f64_e32 v[40:41], v[4:5], v[40:41]
	v_add_f64_e32 v[143:144], v[143:144], v[131:132]
	v_add_f64_e32 v[145:146], v[145:146], v[133:134]
	ds_load_b128 v[131:134], v1 offset:1184
	v_fma_f64 v[141:142], v[141:142], v[30:31], v[147:148]
	v_fma_f64 v[139:140], v[139:140], v[30:31], -v[32:33]
	scratch_load_b128 v[30:33], off, off offset:656
	v_add_f64_e32 v[143:144], v[143:144], v[151:152]
	v_add_f64_e32 v[145:146], v[145:146], v[149:150]
	v_fma_f64 v[151:152], v[4:5], v[38:39], v[153:154]
	v_fma_f64 v[153:154], v[2:3], v[38:39], -v[40:41]
	ds_load_b128 v[2:5], v1 offset:1200
	s_wait_loadcnt_dscnt 0x801
	v_mul_f64_e32 v[147:148], v[131:132], v[137:138]
	v_mul_f64_e32 v[149:150], v[133:134], v[137:138]
	scratch_load_b128 v[38:41], off, off offset:672
	v_add_f64_e32 v[143:144], v[143:144], v[139:140]
	v_add_f64_e32 v[141:142], v[145:146], v[141:142]
	ds_load_b128 v[137:140], v1 offset:1216
	v_fma_f64 v[133:134], v[133:134], v[135:136], v[147:148]
	v_fma_f64 v[131:132], v[131:132], v[135:136], -v[149:150]
	s_wait_loadcnt_dscnt 0x801
	v_mul_f64_e32 v[145:146], v[2:3], v[36:37]
	v_mul_f64_e32 v[36:37], v[4:5], v[36:37]
	v_add_f64_e32 v[135:136], v[143:144], v[153:154]
	v_add_f64_e32 v[141:142], v[141:142], v[151:152]
	s_delay_alu instid0(VALU_DEP_4) | instskip(NEXT) | instid1(VALU_DEP_4)
	v_fma_f64 v[145:146], v[4:5], v[34:35], v[145:146]
	v_fma_f64 v[147:148], v[2:3], v[34:35], -v[36:37]
	s_wait_loadcnt_dscnt 0x700
	v_mul_f64_e32 v[143:144], v[137:138], v[8:9]
	v_mul_f64_e32 v[8:9], v[139:140], v[8:9]
	ds_load_b128 v[2:5], v1 offset:1232
	ds_load_b128 v[34:37], v1 offset:1248
	v_add_f64_e32 v[131:132], v[135:136], v[131:132]
	v_add_f64_e32 v[133:134], v[141:142], v[133:134]
	s_wait_loadcnt_dscnt 0x601
	v_mul_f64_e32 v[135:136], v[2:3], v[12:13]
	v_mul_f64_e32 v[12:13], v[4:5], v[12:13]
	v_fma_f64 v[139:140], v[139:140], v[6:7], v[143:144]
	v_fma_f64 v[6:7], v[137:138], v[6:7], -v[8:9]
	v_add_f64_e32 v[8:9], v[131:132], v[147:148]
	v_add_f64_e32 v[131:132], v[133:134], v[145:146]
	s_wait_loadcnt_dscnt 0x500
	v_mul_f64_e32 v[133:134], v[34:35], v[16:17]
	v_mul_f64_e32 v[16:17], v[36:37], v[16:17]
	v_fma_f64 v[135:136], v[4:5], v[10:11], v[135:136]
	v_fma_f64 v[10:11], v[2:3], v[10:11], -v[12:13]
	v_add_f64_e32 v[12:13], v[8:9], v[6:7]
	v_add_f64_e32 v[131:132], v[131:132], v[139:140]
	ds_load_b128 v[2:5], v1 offset:1264
	ds_load_b128 v[6:9], v1 offset:1280
	v_fma_f64 v[36:37], v[36:37], v[14:15], v[133:134]
	v_fma_f64 v[14:15], v[34:35], v[14:15], -v[16:17]
	s_wait_loadcnt_dscnt 0x401
	v_mul_f64_e32 v[137:138], v[2:3], v[20:21]
	v_mul_f64_e32 v[20:21], v[4:5], v[20:21]
	s_wait_loadcnt_dscnt 0x300
	v_mul_f64_e32 v[16:17], v[6:7], v[24:25]
	v_mul_f64_e32 v[24:25], v[8:9], v[24:25]
	v_add_f64_e32 v[10:11], v[12:13], v[10:11]
	v_add_f64_e32 v[12:13], v[131:132], v[135:136]
	v_fma_f64 v[34:35], v[4:5], v[18:19], v[137:138]
	v_fma_f64 v[18:19], v[2:3], v[18:19], -v[20:21]
	v_fma_f64 v[8:9], v[8:9], v[22:23], v[16:17]
	v_fma_f64 v[6:7], v[6:7], v[22:23], -v[24:25]
	v_add_f64_e32 v[14:15], v[10:11], v[14:15]
	v_add_f64_e32 v[20:21], v[12:13], v[36:37]
	ds_load_b128 v[2:5], v1 offset:1296
	ds_load_b128 v[10:13], v1 offset:1312
	s_wait_loadcnt_dscnt 0x201
	v_mul_f64_e32 v[36:37], v[2:3], v[28:29]
	v_mul_f64_e32 v[28:29], v[4:5], v[28:29]
	v_add_f64_e32 v[14:15], v[14:15], v[18:19]
	v_add_f64_e32 v[16:17], v[20:21], v[34:35]
	s_wait_loadcnt_dscnt 0x100
	v_mul_f64_e32 v[18:19], v[10:11], v[32:33]
	v_mul_f64_e32 v[20:21], v[12:13], v[32:33]
	v_fma_f64 v[22:23], v[4:5], v[26:27], v[36:37]
	v_fma_f64 v[24:25], v[2:3], v[26:27], -v[28:29]
	ds_load_b128 v[2:5], v1 offset:1328
	v_add_f64_e32 v[6:7], v[14:15], v[6:7]
	v_add_f64_e32 v[8:9], v[16:17], v[8:9]
	v_fma_f64 v[12:13], v[12:13], v[30:31], v[18:19]
	v_fma_f64 v[10:11], v[10:11], v[30:31], -v[20:21]
	s_wait_loadcnt_dscnt 0x0
	v_mul_f64_e32 v[14:15], v[2:3], v[40:41]
	v_mul_f64_e32 v[16:17], v[4:5], v[40:41]
	v_add_f64_e32 v[6:7], v[6:7], v[24:25]
	v_add_f64_e32 v[8:9], v[8:9], v[22:23]
	s_delay_alu instid0(VALU_DEP_4) | instskip(NEXT) | instid1(VALU_DEP_4)
	v_fma_f64 v[4:5], v[4:5], v[38:39], v[14:15]
	v_fma_f64 v[2:3], v[2:3], v[38:39], -v[16:17]
	s_delay_alu instid0(VALU_DEP_4) | instskip(NEXT) | instid1(VALU_DEP_4)
	v_add_f64_e32 v[6:7], v[6:7], v[10:11]
	v_add_f64_e32 v[8:9], v[8:9], v[12:13]
	s_delay_alu instid0(VALU_DEP_2) | instskip(NEXT) | instid1(VALU_DEP_2)
	v_add_f64_e32 v[2:3], v[6:7], v[2:3]
	v_add_f64_e32 v[4:5], v[8:9], v[4:5]
	s_delay_alu instid0(VALU_DEP_2) | instskip(NEXT) | instid1(VALU_DEP_2)
	v_add_f64_e64 v[2:3], v[42:43], -v[2:3]
	v_add_f64_e64 v[4:5], v[44:45], -v[4:5]
	scratch_store_b128 off, v[2:5], off offset:368
	v_cmpx_lt_u32_e32 21, v0
	s_cbranch_execz .LBB41_223
; %bb.222:
	scratch_load_b128 v[5:8], off, s22
	v_dual_mov_b32 v2, v1 :: v_dual_mov_b32 v3, v1
	v_mov_b32_e32 v4, v1
	scratch_store_b128 off, v[1:4], off offset:352
	s_wait_loadcnt 0x0
	ds_store_b128 v130, v[5:8]
.LBB41_223:
	s_wait_alu 0xfffe
	s_or_b32 exec_lo, exec_lo, s0
	s_wait_storecnt_dscnt 0x0
	s_barrier_signal -1
	s_barrier_wait -1
	global_inv scope:SCOPE_SE
	s_clause 0x8
	scratch_load_b128 v[2:5], off, off offset:368
	scratch_load_b128 v[6:9], off, off offset:384
	;; [unrolled: 1-line block ×9, first 2 shown]
	ds_load_b128 v[38:41], v1 offset:1024
	ds_load_b128 v[42:45], v1 offset:1040
	s_clause 0x1
	scratch_load_b128 v[131:134], off, off offset:352
	scratch_load_b128 v[135:138], off, off offset:512
	s_mov_b32 s0, exec_lo
	s_wait_loadcnt_dscnt 0xa01
	v_mul_f64_e32 v[139:140], v[40:41], v[4:5]
	v_mul_f64_e32 v[4:5], v[38:39], v[4:5]
	s_wait_loadcnt_dscnt 0x900
	v_mul_f64_e32 v[143:144], v[42:43], v[8:9]
	v_mul_f64_e32 v[8:9], v[44:45], v[8:9]
	s_delay_alu instid0(VALU_DEP_4) | instskip(NEXT) | instid1(VALU_DEP_4)
	v_fma_f64 v[145:146], v[38:39], v[2:3], -v[139:140]
	v_fma_f64 v[147:148], v[40:41], v[2:3], v[4:5]
	ds_load_b128 v[2:5], v1 offset:1056
	ds_load_b128 v[139:142], v1 offset:1072
	scratch_load_b128 v[38:41], off, off offset:528
	v_fma_f64 v[44:45], v[44:45], v[6:7], v[143:144]
	v_fma_f64 v[42:43], v[42:43], v[6:7], -v[8:9]
	scratch_load_b128 v[6:9], off, off offset:544
	s_wait_loadcnt_dscnt 0xa01
	v_mul_f64_e32 v[149:150], v[2:3], v[12:13]
	v_mul_f64_e32 v[12:13], v[4:5], v[12:13]
	v_add_f64_e32 v[143:144], 0, v[145:146]
	v_add_f64_e32 v[145:146], 0, v[147:148]
	s_wait_loadcnt_dscnt 0x900
	v_mul_f64_e32 v[147:148], v[139:140], v[16:17]
	v_mul_f64_e32 v[16:17], v[141:142], v[16:17]
	v_fma_f64 v[149:150], v[4:5], v[10:11], v[149:150]
	v_fma_f64 v[151:152], v[2:3], v[10:11], -v[12:13]
	ds_load_b128 v[2:5], v1 offset:1088
	scratch_load_b128 v[10:13], off, off offset:560
	v_add_f64_e32 v[143:144], v[143:144], v[42:43]
	v_add_f64_e32 v[145:146], v[145:146], v[44:45]
	ds_load_b128 v[42:45], v1 offset:1104
	v_fma_f64 v[141:142], v[141:142], v[14:15], v[147:148]
	v_fma_f64 v[139:140], v[139:140], v[14:15], -v[16:17]
	scratch_load_b128 v[14:17], off, off offset:576
	s_wait_loadcnt_dscnt 0xa01
	v_mul_f64_e32 v[153:154], v[2:3], v[20:21]
	v_mul_f64_e32 v[20:21], v[4:5], v[20:21]
	s_wait_loadcnt_dscnt 0x900
	v_mul_f64_e32 v[147:148], v[42:43], v[24:25]
	v_mul_f64_e32 v[24:25], v[44:45], v[24:25]
	v_add_f64_e32 v[143:144], v[143:144], v[151:152]
	v_add_f64_e32 v[145:146], v[145:146], v[149:150]
	v_fma_f64 v[149:150], v[4:5], v[18:19], v[153:154]
	v_fma_f64 v[151:152], v[2:3], v[18:19], -v[20:21]
	ds_load_b128 v[2:5], v1 offset:1120
	scratch_load_b128 v[18:21], off, off offset:592
	v_fma_f64 v[44:45], v[44:45], v[22:23], v[147:148]
	v_fma_f64 v[42:43], v[42:43], v[22:23], -v[24:25]
	scratch_load_b128 v[22:25], off, off offset:608
	v_add_f64_e32 v[143:144], v[143:144], v[139:140]
	v_add_f64_e32 v[145:146], v[145:146], v[141:142]
	ds_load_b128 v[139:142], v1 offset:1136
	s_wait_loadcnt_dscnt 0xa01
	v_mul_f64_e32 v[153:154], v[2:3], v[28:29]
	v_mul_f64_e32 v[28:29], v[4:5], v[28:29]
	s_wait_loadcnt_dscnt 0x900
	v_mul_f64_e32 v[147:148], v[139:140], v[32:33]
	v_mul_f64_e32 v[32:33], v[141:142], v[32:33]
	v_add_f64_e32 v[143:144], v[143:144], v[151:152]
	v_add_f64_e32 v[145:146], v[145:146], v[149:150]
	v_fma_f64 v[149:150], v[4:5], v[26:27], v[153:154]
	v_fma_f64 v[151:152], v[2:3], v[26:27], -v[28:29]
	ds_load_b128 v[2:5], v1 offset:1152
	scratch_load_b128 v[26:29], off, off offset:624
	v_fma_f64 v[141:142], v[141:142], v[30:31], v[147:148]
	v_fma_f64 v[139:140], v[139:140], v[30:31], -v[32:33]
	scratch_load_b128 v[30:33], off, off offset:640
	v_add_f64_e32 v[143:144], v[143:144], v[42:43]
	v_add_f64_e32 v[145:146], v[145:146], v[44:45]
	ds_load_b128 v[42:45], v1 offset:1168
	s_wait_loadcnt_dscnt 0xa01
	v_mul_f64_e32 v[153:154], v[2:3], v[36:37]
	v_mul_f64_e32 v[36:37], v[4:5], v[36:37]
	s_wait_loadcnt_dscnt 0x800
	v_mul_f64_e32 v[147:148], v[42:43], v[137:138]
	v_add_f64_e32 v[143:144], v[143:144], v[151:152]
	v_add_f64_e32 v[145:146], v[145:146], v[149:150]
	v_mul_f64_e32 v[149:150], v[44:45], v[137:138]
	v_fma_f64 v[151:152], v[4:5], v[34:35], v[153:154]
	v_fma_f64 v[153:154], v[2:3], v[34:35], -v[36:37]
	ds_load_b128 v[2:5], v1 offset:1184
	scratch_load_b128 v[34:37], off, off offset:656
	v_fma_f64 v[44:45], v[44:45], v[135:136], v[147:148]
	v_add_f64_e32 v[143:144], v[143:144], v[139:140]
	v_add_f64_e32 v[141:142], v[145:146], v[141:142]
	ds_load_b128 v[137:140], v1 offset:1200
	v_fma_f64 v[135:136], v[42:43], v[135:136], -v[149:150]
	s_wait_loadcnt_dscnt 0x801
	v_mul_f64_e32 v[145:146], v[2:3], v[40:41]
	v_mul_f64_e32 v[155:156], v[4:5], v[40:41]
	scratch_load_b128 v[40:43], off, off offset:672
	s_wait_loadcnt_dscnt 0x800
	v_mul_f64_e32 v[147:148], v[137:138], v[8:9]
	v_mul_f64_e32 v[8:9], v[139:140], v[8:9]
	v_add_f64_e32 v[143:144], v[143:144], v[153:154]
	v_add_f64_e32 v[141:142], v[141:142], v[151:152]
	v_fma_f64 v[145:146], v[4:5], v[38:39], v[145:146]
	v_fma_f64 v[38:39], v[2:3], v[38:39], -v[155:156]
	v_fma_f64 v[139:140], v[139:140], v[6:7], v[147:148]
	v_fma_f64 v[6:7], v[137:138], v[6:7], -v[8:9]
	v_add_f64_e32 v[135:136], v[143:144], v[135:136]
	v_add_f64_e32 v[44:45], v[141:142], v[44:45]
	ds_load_b128 v[2:5], v1 offset:1216
	ds_load_b128 v[141:144], v1 offset:1232
	s_wait_loadcnt_dscnt 0x701
	v_mul_f64_e32 v[149:150], v[2:3], v[12:13]
	v_mul_f64_e32 v[12:13], v[4:5], v[12:13]
	v_add_f64_e32 v[8:9], v[135:136], v[38:39]
	v_add_f64_e32 v[38:39], v[44:45], v[145:146]
	s_wait_loadcnt_dscnt 0x600
	v_mul_f64_e32 v[44:45], v[141:142], v[16:17]
	v_mul_f64_e32 v[16:17], v[143:144], v[16:17]
	v_fma_f64 v[135:136], v[4:5], v[10:11], v[149:150]
	v_fma_f64 v[10:11], v[2:3], v[10:11], -v[12:13]
	v_add_f64_e32 v[12:13], v[8:9], v[6:7]
	v_add_f64_e32 v[38:39], v[38:39], v[139:140]
	ds_load_b128 v[2:5], v1 offset:1248
	ds_load_b128 v[6:9], v1 offset:1264
	v_fma_f64 v[44:45], v[143:144], v[14:15], v[44:45]
	v_fma_f64 v[14:15], v[141:142], v[14:15], -v[16:17]
	s_wait_loadcnt_dscnt 0x501
	v_mul_f64_e32 v[137:138], v[2:3], v[20:21]
	v_mul_f64_e32 v[20:21], v[4:5], v[20:21]
	s_wait_loadcnt_dscnt 0x400
	v_mul_f64_e32 v[16:17], v[6:7], v[24:25]
	v_mul_f64_e32 v[24:25], v[8:9], v[24:25]
	v_add_f64_e32 v[10:11], v[12:13], v[10:11]
	v_add_f64_e32 v[12:13], v[38:39], v[135:136]
	v_fma_f64 v[38:39], v[4:5], v[18:19], v[137:138]
	v_fma_f64 v[18:19], v[2:3], v[18:19], -v[20:21]
	v_fma_f64 v[8:9], v[8:9], v[22:23], v[16:17]
	v_fma_f64 v[6:7], v[6:7], v[22:23], -v[24:25]
	v_add_f64_e32 v[14:15], v[10:11], v[14:15]
	v_add_f64_e32 v[20:21], v[12:13], v[44:45]
	ds_load_b128 v[2:5], v1 offset:1280
	ds_load_b128 v[10:13], v1 offset:1296
	s_wait_loadcnt_dscnt 0x301
	v_mul_f64_e32 v[44:45], v[2:3], v[28:29]
	v_mul_f64_e32 v[28:29], v[4:5], v[28:29]
	v_add_f64_e32 v[14:15], v[14:15], v[18:19]
	v_add_f64_e32 v[16:17], v[20:21], v[38:39]
	s_wait_loadcnt_dscnt 0x200
	v_mul_f64_e32 v[18:19], v[10:11], v[32:33]
	v_mul_f64_e32 v[20:21], v[12:13], v[32:33]
	v_fma_f64 v[22:23], v[4:5], v[26:27], v[44:45]
	v_fma_f64 v[24:25], v[2:3], v[26:27], -v[28:29]
	v_add_f64_e32 v[14:15], v[14:15], v[6:7]
	v_add_f64_e32 v[16:17], v[16:17], v[8:9]
	ds_load_b128 v[2:5], v1 offset:1312
	ds_load_b128 v[6:9], v1 offset:1328
	v_fma_f64 v[12:13], v[12:13], v[30:31], v[18:19]
	v_fma_f64 v[10:11], v[10:11], v[30:31], -v[20:21]
	s_wait_loadcnt_dscnt 0x101
	v_mul_f64_e32 v[26:27], v[2:3], v[36:37]
	v_mul_f64_e32 v[28:29], v[4:5], v[36:37]
	s_wait_loadcnt_dscnt 0x0
	v_mul_f64_e32 v[18:19], v[6:7], v[42:43]
	v_add_f64_e32 v[14:15], v[14:15], v[24:25]
	v_add_f64_e32 v[16:17], v[16:17], v[22:23]
	v_mul_f64_e32 v[20:21], v[8:9], v[42:43]
	v_fma_f64 v[4:5], v[4:5], v[34:35], v[26:27]
	v_fma_f64 v[1:2], v[2:3], v[34:35], -v[28:29]
	v_fma_f64 v[8:9], v[8:9], v[40:41], v[18:19]
	v_add_f64_e32 v[10:11], v[14:15], v[10:11]
	v_add_f64_e32 v[12:13], v[16:17], v[12:13]
	v_fma_f64 v[6:7], v[6:7], v[40:41], -v[20:21]
	s_delay_alu instid0(VALU_DEP_3) | instskip(NEXT) | instid1(VALU_DEP_3)
	v_add_f64_e32 v[1:2], v[10:11], v[1:2]
	v_add_f64_e32 v[3:4], v[12:13], v[4:5]
	s_delay_alu instid0(VALU_DEP_2) | instskip(NEXT) | instid1(VALU_DEP_2)
	v_add_f64_e32 v[1:2], v[1:2], v[6:7]
	v_add_f64_e32 v[3:4], v[3:4], v[8:9]
	s_delay_alu instid0(VALU_DEP_2) | instskip(NEXT) | instid1(VALU_DEP_2)
	v_add_f64_e64 v[1:2], v[131:132], -v[1:2]
	v_add_f64_e64 v[3:4], v[133:134], -v[3:4]
	scratch_store_b128 off, v[1:4], off offset:352
	v_cmpx_lt_u32_e32 20, v0
	s_cbranch_execz .LBB41_225
; %bb.224:
	scratch_load_b128 v[1:4], off, s25
	v_mov_b32_e32 v5, 0
	s_delay_alu instid0(VALU_DEP_1)
	v_dual_mov_b32 v6, v5 :: v_dual_mov_b32 v7, v5
	v_mov_b32_e32 v8, v5
	scratch_store_b128 off, v[5:8], off offset:336
	s_wait_loadcnt 0x0
	ds_store_b128 v130, v[1:4]
.LBB41_225:
	s_wait_alu 0xfffe
	s_or_b32 exec_lo, exec_lo, s0
	s_wait_storecnt_dscnt 0x0
	s_barrier_signal -1
	s_barrier_wait -1
	global_inv scope:SCOPE_SE
	s_clause 0x7
	scratch_load_b128 v[2:5], off, off offset:352
	scratch_load_b128 v[6:9], off, off offset:368
	;; [unrolled: 1-line block ×8, first 2 shown]
	v_mov_b32_e32 v1, 0
	s_mov_b32 s0, exec_lo
	ds_load_b128 v[34:37], v1 offset:1008
	s_clause 0x1
	scratch_load_b128 v[38:41], off, off offset:480
	scratch_load_b128 v[42:45], off, off offset:336
	ds_load_b128 v[131:134], v1 offset:1024
	scratch_load_b128 v[135:138], off, off offset:496
	s_wait_loadcnt_dscnt 0xa01
	v_mul_f64_e32 v[139:140], v[36:37], v[4:5]
	v_mul_f64_e32 v[4:5], v[34:35], v[4:5]
	s_delay_alu instid0(VALU_DEP_2) | instskip(NEXT) | instid1(VALU_DEP_2)
	v_fma_f64 v[145:146], v[34:35], v[2:3], -v[139:140]
	v_fma_f64 v[147:148], v[36:37], v[2:3], v[4:5]
	ds_load_b128 v[2:5], v1 offset:1040
	s_wait_loadcnt_dscnt 0x901
	v_mul_f64_e32 v[143:144], v[131:132], v[8:9]
	v_mul_f64_e32 v[8:9], v[133:134], v[8:9]
	scratch_load_b128 v[34:37], off, off offset:512
	ds_load_b128 v[139:142], v1 offset:1056
	s_wait_loadcnt_dscnt 0x901
	v_mul_f64_e32 v[149:150], v[2:3], v[12:13]
	v_mul_f64_e32 v[12:13], v[4:5], v[12:13]
	v_fma_f64 v[133:134], v[133:134], v[6:7], v[143:144]
	v_fma_f64 v[131:132], v[131:132], v[6:7], -v[8:9]
	v_add_f64_e32 v[143:144], 0, v[145:146]
	v_add_f64_e32 v[145:146], 0, v[147:148]
	scratch_load_b128 v[6:9], off, off offset:528
	v_fma_f64 v[149:150], v[4:5], v[10:11], v[149:150]
	v_fma_f64 v[151:152], v[2:3], v[10:11], -v[12:13]
	ds_load_b128 v[2:5], v1 offset:1072
	s_wait_loadcnt_dscnt 0x901
	v_mul_f64_e32 v[147:148], v[139:140], v[16:17]
	v_mul_f64_e32 v[16:17], v[141:142], v[16:17]
	scratch_load_b128 v[10:13], off, off offset:544
	v_add_f64_e32 v[143:144], v[143:144], v[131:132]
	v_add_f64_e32 v[145:146], v[145:146], v[133:134]
	s_wait_loadcnt_dscnt 0x900
	v_mul_f64_e32 v[153:154], v[2:3], v[20:21]
	v_mul_f64_e32 v[20:21], v[4:5], v[20:21]
	ds_load_b128 v[131:134], v1 offset:1088
	v_fma_f64 v[141:142], v[141:142], v[14:15], v[147:148]
	v_fma_f64 v[139:140], v[139:140], v[14:15], -v[16:17]
	scratch_load_b128 v[14:17], off, off offset:560
	v_add_f64_e32 v[143:144], v[143:144], v[151:152]
	v_add_f64_e32 v[145:146], v[145:146], v[149:150]
	v_fma_f64 v[149:150], v[4:5], v[18:19], v[153:154]
	v_fma_f64 v[151:152], v[2:3], v[18:19], -v[20:21]
	ds_load_b128 v[2:5], v1 offset:1104
	s_wait_loadcnt_dscnt 0x901
	v_mul_f64_e32 v[147:148], v[131:132], v[24:25]
	v_mul_f64_e32 v[24:25], v[133:134], v[24:25]
	scratch_load_b128 v[18:21], off, off offset:576
	s_wait_loadcnt_dscnt 0x900
	v_mul_f64_e32 v[153:154], v[2:3], v[28:29]
	v_mul_f64_e32 v[28:29], v[4:5], v[28:29]
	v_add_f64_e32 v[143:144], v[143:144], v[139:140]
	v_add_f64_e32 v[145:146], v[145:146], v[141:142]
	ds_load_b128 v[139:142], v1 offset:1120
	v_fma_f64 v[133:134], v[133:134], v[22:23], v[147:148]
	v_fma_f64 v[131:132], v[131:132], v[22:23], -v[24:25]
	scratch_load_b128 v[22:25], off, off offset:592
	v_add_f64_e32 v[143:144], v[143:144], v[151:152]
	v_add_f64_e32 v[145:146], v[145:146], v[149:150]
	v_fma_f64 v[149:150], v[4:5], v[26:27], v[153:154]
	v_fma_f64 v[151:152], v[2:3], v[26:27], -v[28:29]
	ds_load_b128 v[2:5], v1 offset:1136
	s_wait_loadcnt_dscnt 0x901
	v_mul_f64_e32 v[147:148], v[139:140], v[32:33]
	v_mul_f64_e32 v[32:33], v[141:142], v[32:33]
	scratch_load_b128 v[26:29], off, off offset:608
	s_wait_loadcnt_dscnt 0x900
	v_mul_f64_e32 v[153:154], v[2:3], v[40:41]
	v_mul_f64_e32 v[40:41], v[4:5], v[40:41]
	v_add_f64_e32 v[143:144], v[143:144], v[131:132]
	v_add_f64_e32 v[145:146], v[145:146], v[133:134]
	ds_load_b128 v[131:134], v1 offset:1152
	v_fma_f64 v[141:142], v[141:142], v[30:31], v[147:148]
	v_fma_f64 v[139:140], v[139:140], v[30:31], -v[32:33]
	scratch_load_b128 v[30:33], off, off offset:624
	v_add_f64_e32 v[143:144], v[143:144], v[151:152]
	v_add_f64_e32 v[145:146], v[145:146], v[149:150]
	v_fma_f64 v[151:152], v[4:5], v[38:39], v[153:154]
	v_fma_f64 v[153:154], v[2:3], v[38:39], -v[40:41]
	ds_load_b128 v[2:5], v1 offset:1168
	s_wait_loadcnt_dscnt 0x801
	v_mul_f64_e32 v[147:148], v[131:132], v[137:138]
	v_mul_f64_e32 v[149:150], v[133:134], v[137:138]
	scratch_load_b128 v[38:41], off, off offset:640
	v_add_f64_e32 v[143:144], v[143:144], v[139:140]
	v_add_f64_e32 v[141:142], v[145:146], v[141:142]
	ds_load_b128 v[137:140], v1 offset:1184
	v_fma_f64 v[147:148], v[133:134], v[135:136], v[147:148]
	v_fma_f64 v[135:136], v[131:132], v[135:136], -v[149:150]
	scratch_load_b128 v[131:134], off, off offset:656
	s_wait_loadcnt_dscnt 0x901
	v_mul_f64_e32 v[145:146], v[2:3], v[36:37]
	v_mul_f64_e32 v[36:37], v[4:5], v[36:37]
	v_add_f64_e32 v[143:144], v[143:144], v[153:154]
	v_add_f64_e32 v[141:142], v[141:142], v[151:152]
	s_delay_alu instid0(VALU_DEP_4) | instskip(NEXT) | instid1(VALU_DEP_4)
	v_fma_f64 v[145:146], v[4:5], v[34:35], v[145:146]
	v_fma_f64 v[151:152], v[2:3], v[34:35], -v[36:37]
	ds_load_b128 v[2:5], v1 offset:1200
	s_wait_loadcnt_dscnt 0x801
	v_mul_f64_e32 v[149:150], v[137:138], v[8:9]
	v_mul_f64_e32 v[8:9], v[139:140], v[8:9]
	scratch_load_b128 v[34:37], off, off offset:672
	s_wait_loadcnt_dscnt 0x800
	v_mul_f64_e32 v[153:154], v[2:3], v[12:13]
	v_add_f64_e32 v[135:136], v[143:144], v[135:136]
	v_add_f64_e32 v[147:148], v[141:142], v[147:148]
	v_mul_f64_e32 v[12:13], v[4:5], v[12:13]
	ds_load_b128 v[141:144], v1 offset:1216
	v_fma_f64 v[139:140], v[139:140], v[6:7], v[149:150]
	v_fma_f64 v[6:7], v[137:138], v[6:7], -v[8:9]
	s_wait_loadcnt_dscnt 0x700
	v_mul_f64_e32 v[137:138], v[141:142], v[16:17]
	v_add_f64_e32 v[8:9], v[135:136], v[151:152]
	v_add_f64_e32 v[135:136], v[147:148], v[145:146]
	v_mul_f64_e32 v[16:17], v[143:144], v[16:17]
	v_fma_f64 v[145:146], v[4:5], v[10:11], v[153:154]
	v_fma_f64 v[10:11], v[2:3], v[10:11], -v[12:13]
	v_fma_f64 v[137:138], v[143:144], v[14:15], v[137:138]
	v_add_f64_e32 v[12:13], v[8:9], v[6:7]
	v_add_f64_e32 v[135:136], v[135:136], v[139:140]
	ds_load_b128 v[2:5], v1 offset:1232
	ds_load_b128 v[6:9], v1 offset:1248
	v_fma_f64 v[14:15], v[141:142], v[14:15], -v[16:17]
	s_wait_loadcnt_dscnt 0x601
	v_mul_f64_e32 v[139:140], v[2:3], v[20:21]
	v_mul_f64_e32 v[20:21], v[4:5], v[20:21]
	s_wait_loadcnt_dscnt 0x500
	v_mul_f64_e32 v[16:17], v[6:7], v[24:25]
	v_mul_f64_e32 v[24:25], v[8:9], v[24:25]
	v_add_f64_e32 v[10:11], v[12:13], v[10:11]
	v_add_f64_e32 v[12:13], v[135:136], v[145:146]
	v_fma_f64 v[135:136], v[4:5], v[18:19], v[139:140]
	v_fma_f64 v[18:19], v[2:3], v[18:19], -v[20:21]
	v_fma_f64 v[8:9], v[8:9], v[22:23], v[16:17]
	v_fma_f64 v[6:7], v[6:7], v[22:23], -v[24:25]
	v_add_f64_e32 v[14:15], v[10:11], v[14:15]
	v_add_f64_e32 v[20:21], v[12:13], v[137:138]
	ds_load_b128 v[2:5], v1 offset:1264
	ds_load_b128 v[10:13], v1 offset:1280
	s_wait_loadcnt_dscnt 0x401
	v_mul_f64_e32 v[137:138], v[2:3], v[28:29]
	v_mul_f64_e32 v[28:29], v[4:5], v[28:29]
	v_add_f64_e32 v[14:15], v[14:15], v[18:19]
	v_add_f64_e32 v[16:17], v[20:21], v[135:136]
	s_wait_loadcnt_dscnt 0x300
	v_mul_f64_e32 v[18:19], v[10:11], v[32:33]
	v_mul_f64_e32 v[20:21], v[12:13], v[32:33]
	v_fma_f64 v[22:23], v[4:5], v[26:27], v[137:138]
	v_fma_f64 v[24:25], v[2:3], v[26:27], -v[28:29]
	v_add_f64_e32 v[14:15], v[14:15], v[6:7]
	v_add_f64_e32 v[16:17], v[16:17], v[8:9]
	ds_load_b128 v[2:5], v1 offset:1296
	ds_load_b128 v[6:9], v1 offset:1312
	v_fma_f64 v[12:13], v[12:13], v[30:31], v[18:19]
	v_fma_f64 v[10:11], v[10:11], v[30:31], -v[20:21]
	s_wait_loadcnt_dscnt 0x201
	v_mul_f64_e32 v[26:27], v[2:3], v[40:41]
	v_mul_f64_e32 v[28:29], v[4:5], v[40:41]
	s_wait_loadcnt_dscnt 0x100
	v_mul_f64_e32 v[18:19], v[6:7], v[133:134]
	v_mul_f64_e32 v[20:21], v[8:9], v[133:134]
	v_add_f64_e32 v[14:15], v[14:15], v[24:25]
	v_add_f64_e32 v[16:17], v[16:17], v[22:23]
	v_fma_f64 v[22:23], v[4:5], v[38:39], v[26:27]
	v_fma_f64 v[24:25], v[2:3], v[38:39], -v[28:29]
	ds_load_b128 v[2:5], v1 offset:1328
	v_fma_f64 v[8:9], v[8:9], v[131:132], v[18:19]
	v_fma_f64 v[6:7], v[6:7], v[131:132], -v[20:21]
	v_add_f64_e32 v[10:11], v[14:15], v[10:11]
	v_add_f64_e32 v[12:13], v[16:17], v[12:13]
	s_wait_loadcnt_dscnt 0x0
	v_mul_f64_e32 v[14:15], v[2:3], v[36:37]
	v_mul_f64_e32 v[16:17], v[4:5], v[36:37]
	s_delay_alu instid0(VALU_DEP_4) | instskip(NEXT) | instid1(VALU_DEP_4)
	v_add_f64_e32 v[10:11], v[10:11], v[24:25]
	v_add_f64_e32 v[12:13], v[12:13], v[22:23]
	s_delay_alu instid0(VALU_DEP_4) | instskip(NEXT) | instid1(VALU_DEP_4)
	v_fma_f64 v[4:5], v[4:5], v[34:35], v[14:15]
	v_fma_f64 v[2:3], v[2:3], v[34:35], -v[16:17]
	s_delay_alu instid0(VALU_DEP_4) | instskip(NEXT) | instid1(VALU_DEP_4)
	v_add_f64_e32 v[6:7], v[10:11], v[6:7]
	v_add_f64_e32 v[8:9], v[12:13], v[8:9]
	s_delay_alu instid0(VALU_DEP_2) | instskip(NEXT) | instid1(VALU_DEP_2)
	v_add_f64_e32 v[2:3], v[6:7], v[2:3]
	v_add_f64_e32 v[4:5], v[8:9], v[4:5]
	s_delay_alu instid0(VALU_DEP_2) | instskip(NEXT) | instid1(VALU_DEP_2)
	v_add_f64_e64 v[2:3], v[42:43], -v[2:3]
	v_add_f64_e64 v[4:5], v[44:45], -v[4:5]
	scratch_store_b128 off, v[2:5], off offset:336
	v_cmpx_lt_u32_e32 19, v0
	s_cbranch_execz .LBB41_227
; %bb.226:
	scratch_load_b128 v[5:8], off, s24
	v_dual_mov_b32 v2, v1 :: v_dual_mov_b32 v3, v1
	v_mov_b32_e32 v4, v1
	scratch_store_b128 off, v[1:4], off offset:320
	s_wait_loadcnt 0x0
	ds_store_b128 v130, v[5:8]
.LBB41_227:
	s_wait_alu 0xfffe
	s_or_b32 exec_lo, exec_lo, s0
	s_wait_storecnt_dscnt 0x0
	s_barrier_signal -1
	s_barrier_wait -1
	global_inv scope:SCOPE_SE
	s_clause 0x8
	scratch_load_b128 v[2:5], off, off offset:336
	scratch_load_b128 v[6:9], off, off offset:352
	;; [unrolled: 1-line block ×9, first 2 shown]
	ds_load_b128 v[38:41], v1 offset:992
	ds_load_b128 v[42:45], v1 offset:1008
	s_clause 0x1
	scratch_load_b128 v[131:134], off, off offset:320
	scratch_load_b128 v[135:138], off, off offset:480
	s_mov_b32 s0, exec_lo
	s_wait_loadcnt_dscnt 0xa01
	v_mul_f64_e32 v[139:140], v[40:41], v[4:5]
	v_mul_f64_e32 v[4:5], v[38:39], v[4:5]
	s_wait_loadcnt_dscnt 0x900
	v_mul_f64_e32 v[143:144], v[42:43], v[8:9]
	v_mul_f64_e32 v[8:9], v[44:45], v[8:9]
	s_delay_alu instid0(VALU_DEP_4) | instskip(NEXT) | instid1(VALU_DEP_4)
	v_fma_f64 v[145:146], v[38:39], v[2:3], -v[139:140]
	v_fma_f64 v[147:148], v[40:41], v[2:3], v[4:5]
	ds_load_b128 v[2:5], v1 offset:1024
	ds_load_b128 v[139:142], v1 offset:1040
	scratch_load_b128 v[38:41], off, off offset:496
	v_fma_f64 v[44:45], v[44:45], v[6:7], v[143:144]
	v_fma_f64 v[42:43], v[42:43], v[6:7], -v[8:9]
	scratch_load_b128 v[6:9], off, off offset:512
	s_wait_loadcnt_dscnt 0xa01
	v_mul_f64_e32 v[149:150], v[2:3], v[12:13]
	v_mul_f64_e32 v[12:13], v[4:5], v[12:13]
	v_add_f64_e32 v[143:144], 0, v[145:146]
	v_add_f64_e32 v[145:146], 0, v[147:148]
	s_wait_loadcnt_dscnt 0x900
	v_mul_f64_e32 v[147:148], v[139:140], v[16:17]
	v_mul_f64_e32 v[16:17], v[141:142], v[16:17]
	v_fma_f64 v[149:150], v[4:5], v[10:11], v[149:150]
	v_fma_f64 v[151:152], v[2:3], v[10:11], -v[12:13]
	ds_load_b128 v[2:5], v1 offset:1056
	scratch_load_b128 v[10:13], off, off offset:528
	v_add_f64_e32 v[143:144], v[143:144], v[42:43]
	v_add_f64_e32 v[145:146], v[145:146], v[44:45]
	ds_load_b128 v[42:45], v1 offset:1072
	v_fma_f64 v[141:142], v[141:142], v[14:15], v[147:148]
	v_fma_f64 v[139:140], v[139:140], v[14:15], -v[16:17]
	scratch_load_b128 v[14:17], off, off offset:544
	s_wait_loadcnt_dscnt 0xa01
	v_mul_f64_e32 v[153:154], v[2:3], v[20:21]
	v_mul_f64_e32 v[20:21], v[4:5], v[20:21]
	s_wait_loadcnt_dscnt 0x900
	v_mul_f64_e32 v[147:148], v[42:43], v[24:25]
	v_mul_f64_e32 v[24:25], v[44:45], v[24:25]
	v_add_f64_e32 v[143:144], v[143:144], v[151:152]
	v_add_f64_e32 v[145:146], v[145:146], v[149:150]
	v_fma_f64 v[149:150], v[4:5], v[18:19], v[153:154]
	v_fma_f64 v[151:152], v[2:3], v[18:19], -v[20:21]
	ds_load_b128 v[2:5], v1 offset:1088
	scratch_load_b128 v[18:21], off, off offset:560
	v_fma_f64 v[44:45], v[44:45], v[22:23], v[147:148]
	v_fma_f64 v[42:43], v[42:43], v[22:23], -v[24:25]
	scratch_load_b128 v[22:25], off, off offset:576
	v_add_f64_e32 v[143:144], v[143:144], v[139:140]
	v_add_f64_e32 v[145:146], v[145:146], v[141:142]
	ds_load_b128 v[139:142], v1 offset:1104
	s_wait_loadcnt_dscnt 0xa01
	v_mul_f64_e32 v[153:154], v[2:3], v[28:29]
	v_mul_f64_e32 v[28:29], v[4:5], v[28:29]
	s_wait_loadcnt_dscnt 0x900
	v_mul_f64_e32 v[147:148], v[139:140], v[32:33]
	v_mul_f64_e32 v[32:33], v[141:142], v[32:33]
	v_add_f64_e32 v[143:144], v[143:144], v[151:152]
	v_add_f64_e32 v[145:146], v[145:146], v[149:150]
	v_fma_f64 v[149:150], v[4:5], v[26:27], v[153:154]
	v_fma_f64 v[151:152], v[2:3], v[26:27], -v[28:29]
	ds_load_b128 v[2:5], v1 offset:1120
	scratch_load_b128 v[26:29], off, off offset:592
	v_fma_f64 v[141:142], v[141:142], v[30:31], v[147:148]
	v_fma_f64 v[139:140], v[139:140], v[30:31], -v[32:33]
	scratch_load_b128 v[30:33], off, off offset:608
	v_add_f64_e32 v[143:144], v[143:144], v[42:43]
	v_add_f64_e32 v[145:146], v[145:146], v[44:45]
	ds_load_b128 v[42:45], v1 offset:1136
	s_wait_loadcnt_dscnt 0xa01
	v_mul_f64_e32 v[153:154], v[2:3], v[36:37]
	v_mul_f64_e32 v[36:37], v[4:5], v[36:37]
	s_wait_loadcnt_dscnt 0x800
	v_mul_f64_e32 v[147:148], v[42:43], v[137:138]
	v_add_f64_e32 v[143:144], v[143:144], v[151:152]
	v_add_f64_e32 v[145:146], v[145:146], v[149:150]
	v_mul_f64_e32 v[149:150], v[44:45], v[137:138]
	v_fma_f64 v[151:152], v[4:5], v[34:35], v[153:154]
	v_fma_f64 v[153:154], v[2:3], v[34:35], -v[36:37]
	ds_load_b128 v[2:5], v1 offset:1152
	scratch_load_b128 v[34:37], off, off offset:624
	v_fma_f64 v[44:45], v[44:45], v[135:136], v[147:148]
	v_add_f64_e32 v[143:144], v[143:144], v[139:140]
	v_add_f64_e32 v[141:142], v[145:146], v[141:142]
	ds_load_b128 v[137:140], v1 offset:1168
	v_fma_f64 v[135:136], v[42:43], v[135:136], -v[149:150]
	s_wait_loadcnt_dscnt 0x801
	v_mul_f64_e32 v[145:146], v[2:3], v[40:41]
	v_mul_f64_e32 v[155:156], v[4:5], v[40:41]
	scratch_load_b128 v[40:43], off, off offset:640
	s_wait_loadcnt_dscnt 0x800
	v_mul_f64_e32 v[149:150], v[137:138], v[8:9]
	v_mul_f64_e32 v[8:9], v[139:140], v[8:9]
	v_add_f64_e32 v[143:144], v[143:144], v[153:154]
	v_add_f64_e32 v[141:142], v[141:142], v[151:152]
	v_fma_f64 v[151:152], v[4:5], v[38:39], v[145:146]
	v_fma_f64 v[38:39], v[2:3], v[38:39], -v[155:156]
	ds_load_b128 v[2:5], v1 offset:1184
	ds_load_b128 v[145:148], v1 offset:1200
	v_fma_f64 v[139:140], v[139:140], v[6:7], v[149:150]
	v_fma_f64 v[137:138], v[137:138], v[6:7], -v[8:9]
	scratch_load_b128 v[6:9], off, off offset:672
	v_add_f64_e32 v[135:136], v[143:144], v[135:136]
	v_add_f64_e32 v[44:45], v[141:142], v[44:45]
	scratch_load_b128 v[141:144], off, off offset:656
	s_wait_loadcnt_dscnt 0x901
	v_mul_f64_e32 v[153:154], v[2:3], v[12:13]
	v_mul_f64_e32 v[12:13], v[4:5], v[12:13]
	v_add_f64_e32 v[38:39], v[135:136], v[38:39]
	v_add_f64_e32 v[44:45], v[44:45], v[151:152]
	s_wait_loadcnt_dscnt 0x800
	v_mul_f64_e32 v[135:136], v[145:146], v[16:17]
	v_mul_f64_e32 v[16:17], v[147:148], v[16:17]
	v_fma_f64 v[149:150], v[4:5], v[10:11], v[153:154]
	v_fma_f64 v[151:152], v[2:3], v[10:11], -v[12:13]
	ds_load_b128 v[2:5], v1 offset:1216
	ds_load_b128 v[10:13], v1 offset:1232
	v_add_f64_e32 v[38:39], v[38:39], v[137:138]
	v_add_f64_e32 v[44:45], v[44:45], v[139:140]
	s_wait_loadcnt_dscnt 0x701
	v_mul_f64_e32 v[137:138], v[2:3], v[20:21]
	v_mul_f64_e32 v[20:21], v[4:5], v[20:21]
	v_fma_f64 v[135:136], v[147:148], v[14:15], v[135:136]
	v_fma_f64 v[14:15], v[145:146], v[14:15], -v[16:17]
	v_add_f64_e32 v[16:17], v[38:39], v[151:152]
	v_add_f64_e32 v[38:39], v[44:45], v[149:150]
	s_wait_loadcnt_dscnt 0x600
	v_mul_f64_e32 v[44:45], v[10:11], v[24:25]
	v_mul_f64_e32 v[24:25], v[12:13], v[24:25]
	v_fma_f64 v[137:138], v[4:5], v[18:19], v[137:138]
	v_fma_f64 v[18:19], v[2:3], v[18:19], -v[20:21]
	v_add_f64_e32 v[20:21], v[16:17], v[14:15]
	v_add_f64_e32 v[38:39], v[38:39], v[135:136]
	ds_load_b128 v[2:5], v1 offset:1248
	ds_load_b128 v[14:17], v1 offset:1264
	v_fma_f64 v[12:13], v[12:13], v[22:23], v[44:45]
	v_fma_f64 v[10:11], v[10:11], v[22:23], -v[24:25]
	s_wait_loadcnt_dscnt 0x501
	v_mul_f64_e32 v[135:136], v[2:3], v[28:29]
	v_mul_f64_e32 v[28:29], v[4:5], v[28:29]
	s_wait_loadcnt_dscnt 0x400
	v_mul_f64_e32 v[22:23], v[14:15], v[32:33]
	v_mul_f64_e32 v[24:25], v[16:17], v[32:33]
	v_add_f64_e32 v[18:19], v[20:21], v[18:19]
	v_add_f64_e32 v[20:21], v[38:39], v[137:138]
	v_fma_f64 v[32:33], v[4:5], v[26:27], v[135:136]
	v_fma_f64 v[26:27], v[2:3], v[26:27], -v[28:29]
	v_fma_f64 v[16:17], v[16:17], v[30:31], v[22:23]
	v_fma_f64 v[14:15], v[14:15], v[30:31], -v[24:25]
	v_add_f64_e32 v[18:19], v[18:19], v[10:11]
	v_add_f64_e32 v[20:21], v[20:21], v[12:13]
	ds_load_b128 v[2:5], v1 offset:1280
	ds_load_b128 v[10:13], v1 offset:1296
	s_wait_loadcnt_dscnt 0x301
	v_mul_f64_e32 v[28:29], v[2:3], v[36:37]
	v_mul_f64_e32 v[36:37], v[4:5], v[36:37]
	s_wait_loadcnt_dscnt 0x200
	v_mul_f64_e32 v[22:23], v[10:11], v[42:43]
	v_add_f64_e32 v[18:19], v[18:19], v[26:27]
	v_add_f64_e32 v[20:21], v[20:21], v[32:33]
	v_mul_f64_e32 v[24:25], v[12:13], v[42:43]
	v_fma_f64 v[26:27], v[4:5], v[34:35], v[28:29]
	v_fma_f64 v[28:29], v[2:3], v[34:35], -v[36:37]
	v_fma_f64 v[12:13], v[12:13], v[40:41], v[22:23]
	v_add_f64_e32 v[18:19], v[18:19], v[14:15]
	v_add_f64_e32 v[20:21], v[20:21], v[16:17]
	ds_load_b128 v[2:5], v1 offset:1312
	ds_load_b128 v[14:17], v1 offset:1328
	v_fma_f64 v[10:11], v[10:11], v[40:41], -v[24:25]
	s_wait_loadcnt_dscnt 0x1
	v_mul_f64_e32 v[30:31], v[2:3], v[143:144]
	v_mul_f64_e32 v[32:33], v[4:5], v[143:144]
	s_wait_dscnt 0x0
	v_mul_f64_e32 v[22:23], v[14:15], v[8:9]
	v_mul_f64_e32 v[8:9], v[16:17], v[8:9]
	v_add_f64_e32 v[18:19], v[18:19], v[28:29]
	v_add_f64_e32 v[20:21], v[20:21], v[26:27]
	v_fma_f64 v[4:5], v[4:5], v[141:142], v[30:31]
	v_fma_f64 v[1:2], v[2:3], v[141:142], -v[32:33]
	v_fma_f64 v[16:17], v[16:17], v[6:7], v[22:23]
	v_fma_f64 v[6:7], v[14:15], v[6:7], -v[8:9]
	v_add_f64_e32 v[10:11], v[18:19], v[10:11]
	v_add_f64_e32 v[12:13], v[20:21], v[12:13]
	s_delay_alu instid0(VALU_DEP_2) | instskip(NEXT) | instid1(VALU_DEP_2)
	v_add_f64_e32 v[1:2], v[10:11], v[1:2]
	v_add_f64_e32 v[3:4], v[12:13], v[4:5]
	s_delay_alu instid0(VALU_DEP_2) | instskip(NEXT) | instid1(VALU_DEP_2)
	;; [unrolled: 3-line block ×3, first 2 shown]
	v_add_f64_e64 v[1:2], v[131:132], -v[1:2]
	v_add_f64_e64 v[3:4], v[133:134], -v[3:4]
	scratch_store_b128 off, v[1:4], off offset:320
	v_cmpx_lt_u32_e32 18, v0
	s_cbranch_execz .LBB41_229
; %bb.228:
	scratch_load_b128 v[1:4], off, s37
	v_mov_b32_e32 v5, 0
	s_delay_alu instid0(VALU_DEP_1)
	v_dual_mov_b32 v6, v5 :: v_dual_mov_b32 v7, v5
	v_mov_b32_e32 v8, v5
	scratch_store_b128 off, v[5:8], off offset:304
	s_wait_loadcnt 0x0
	ds_store_b128 v130, v[1:4]
.LBB41_229:
	s_wait_alu 0xfffe
	s_or_b32 exec_lo, exec_lo, s0
	s_wait_storecnt_dscnt 0x0
	s_barrier_signal -1
	s_barrier_wait -1
	global_inv scope:SCOPE_SE
	s_clause 0x7
	scratch_load_b128 v[2:5], off, off offset:320
	scratch_load_b128 v[6:9], off, off offset:336
	;; [unrolled: 1-line block ×8, first 2 shown]
	v_mov_b32_e32 v1, 0
	s_mov_b32 s0, exec_lo
	ds_load_b128 v[34:37], v1 offset:976
	s_clause 0x1
	scratch_load_b128 v[38:41], off, off offset:448
	scratch_load_b128 v[42:45], off, off offset:304
	ds_load_b128 v[131:134], v1 offset:992
	scratch_load_b128 v[135:138], off, off offset:464
	s_wait_loadcnt_dscnt 0xa01
	v_mul_f64_e32 v[139:140], v[36:37], v[4:5]
	v_mul_f64_e32 v[4:5], v[34:35], v[4:5]
	s_delay_alu instid0(VALU_DEP_2) | instskip(NEXT) | instid1(VALU_DEP_2)
	v_fma_f64 v[145:146], v[34:35], v[2:3], -v[139:140]
	v_fma_f64 v[147:148], v[36:37], v[2:3], v[4:5]
	ds_load_b128 v[2:5], v1 offset:1008
	s_wait_loadcnt_dscnt 0x901
	v_mul_f64_e32 v[143:144], v[131:132], v[8:9]
	v_mul_f64_e32 v[8:9], v[133:134], v[8:9]
	scratch_load_b128 v[34:37], off, off offset:480
	ds_load_b128 v[139:142], v1 offset:1024
	s_wait_loadcnt_dscnt 0x901
	v_mul_f64_e32 v[149:150], v[2:3], v[12:13]
	v_mul_f64_e32 v[12:13], v[4:5], v[12:13]
	v_fma_f64 v[133:134], v[133:134], v[6:7], v[143:144]
	v_fma_f64 v[131:132], v[131:132], v[6:7], -v[8:9]
	v_add_f64_e32 v[143:144], 0, v[145:146]
	v_add_f64_e32 v[145:146], 0, v[147:148]
	scratch_load_b128 v[6:9], off, off offset:496
	v_fma_f64 v[149:150], v[4:5], v[10:11], v[149:150]
	v_fma_f64 v[151:152], v[2:3], v[10:11], -v[12:13]
	ds_load_b128 v[2:5], v1 offset:1040
	s_wait_loadcnt_dscnt 0x901
	v_mul_f64_e32 v[147:148], v[139:140], v[16:17]
	v_mul_f64_e32 v[16:17], v[141:142], v[16:17]
	scratch_load_b128 v[10:13], off, off offset:512
	v_add_f64_e32 v[143:144], v[143:144], v[131:132]
	v_add_f64_e32 v[145:146], v[145:146], v[133:134]
	s_wait_loadcnt_dscnt 0x900
	v_mul_f64_e32 v[153:154], v[2:3], v[20:21]
	v_mul_f64_e32 v[20:21], v[4:5], v[20:21]
	ds_load_b128 v[131:134], v1 offset:1056
	v_fma_f64 v[141:142], v[141:142], v[14:15], v[147:148]
	v_fma_f64 v[139:140], v[139:140], v[14:15], -v[16:17]
	scratch_load_b128 v[14:17], off, off offset:528
	v_add_f64_e32 v[143:144], v[143:144], v[151:152]
	v_add_f64_e32 v[145:146], v[145:146], v[149:150]
	v_fma_f64 v[149:150], v[4:5], v[18:19], v[153:154]
	v_fma_f64 v[151:152], v[2:3], v[18:19], -v[20:21]
	ds_load_b128 v[2:5], v1 offset:1072
	s_wait_loadcnt_dscnt 0x901
	v_mul_f64_e32 v[147:148], v[131:132], v[24:25]
	v_mul_f64_e32 v[24:25], v[133:134], v[24:25]
	scratch_load_b128 v[18:21], off, off offset:544
	s_wait_loadcnt_dscnt 0x900
	v_mul_f64_e32 v[153:154], v[2:3], v[28:29]
	v_mul_f64_e32 v[28:29], v[4:5], v[28:29]
	v_add_f64_e32 v[143:144], v[143:144], v[139:140]
	v_add_f64_e32 v[145:146], v[145:146], v[141:142]
	ds_load_b128 v[139:142], v1 offset:1088
	v_fma_f64 v[133:134], v[133:134], v[22:23], v[147:148]
	v_fma_f64 v[131:132], v[131:132], v[22:23], -v[24:25]
	scratch_load_b128 v[22:25], off, off offset:560
	v_add_f64_e32 v[143:144], v[143:144], v[151:152]
	v_add_f64_e32 v[145:146], v[145:146], v[149:150]
	v_fma_f64 v[149:150], v[4:5], v[26:27], v[153:154]
	v_fma_f64 v[151:152], v[2:3], v[26:27], -v[28:29]
	ds_load_b128 v[2:5], v1 offset:1104
	s_wait_loadcnt_dscnt 0x901
	v_mul_f64_e32 v[147:148], v[139:140], v[32:33]
	v_mul_f64_e32 v[32:33], v[141:142], v[32:33]
	scratch_load_b128 v[26:29], off, off offset:576
	s_wait_loadcnt_dscnt 0x900
	v_mul_f64_e32 v[153:154], v[2:3], v[40:41]
	v_mul_f64_e32 v[40:41], v[4:5], v[40:41]
	v_add_f64_e32 v[143:144], v[143:144], v[131:132]
	v_add_f64_e32 v[145:146], v[145:146], v[133:134]
	ds_load_b128 v[131:134], v1 offset:1120
	v_fma_f64 v[141:142], v[141:142], v[30:31], v[147:148]
	v_fma_f64 v[139:140], v[139:140], v[30:31], -v[32:33]
	scratch_load_b128 v[30:33], off, off offset:592
	v_add_f64_e32 v[143:144], v[143:144], v[151:152]
	v_add_f64_e32 v[145:146], v[145:146], v[149:150]
	v_fma_f64 v[151:152], v[4:5], v[38:39], v[153:154]
	v_fma_f64 v[153:154], v[2:3], v[38:39], -v[40:41]
	ds_load_b128 v[2:5], v1 offset:1136
	s_wait_loadcnt_dscnt 0x801
	v_mul_f64_e32 v[147:148], v[131:132], v[137:138]
	v_mul_f64_e32 v[149:150], v[133:134], v[137:138]
	scratch_load_b128 v[38:41], off, off offset:608
	v_add_f64_e32 v[143:144], v[143:144], v[139:140]
	v_add_f64_e32 v[141:142], v[145:146], v[141:142]
	ds_load_b128 v[137:140], v1 offset:1152
	v_fma_f64 v[147:148], v[133:134], v[135:136], v[147:148]
	v_fma_f64 v[135:136], v[131:132], v[135:136], -v[149:150]
	scratch_load_b128 v[131:134], off, off offset:624
	s_wait_loadcnt_dscnt 0x901
	v_mul_f64_e32 v[145:146], v[2:3], v[36:37]
	v_mul_f64_e32 v[36:37], v[4:5], v[36:37]
	v_add_f64_e32 v[143:144], v[143:144], v[153:154]
	v_add_f64_e32 v[141:142], v[141:142], v[151:152]
	s_delay_alu instid0(VALU_DEP_4) | instskip(NEXT) | instid1(VALU_DEP_4)
	v_fma_f64 v[145:146], v[4:5], v[34:35], v[145:146]
	v_fma_f64 v[151:152], v[2:3], v[34:35], -v[36:37]
	ds_load_b128 v[2:5], v1 offset:1168
	s_wait_loadcnt_dscnt 0x801
	v_mul_f64_e32 v[149:150], v[137:138], v[8:9]
	v_mul_f64_e32 v[8:9], v[139:140], v[8:9]
	scratch_load_b128 v[34:37], off, off offset:640
	s_wait_loadcnt_dscnt 0x800
	v_mul_f64_e32 v[153:154], v[2:3], v[12:13]
	v_add_f64_e32 v[135:136], v[143:144], v[135:136]
	v_add_f64_e32 v[147:148], v[141:142], v[147:148]
	v_mul_f64_e32 v[12:13], v[4:5], v[12:13]
	ds_load_b128 v[141:144], v1 offset:1184
	v_fma_f64 v[139:140], v[139:140], v[6:7], v[149:150]
	v_fma_f64 v[137:138], v[137:138], v[6:7], -v[8:9]
	scratch_load_b128 v[6:9], off, off offset:656
	v_fma_f64 v[149:150], v[4:5], v[10:11], v[153:154]
	v_add_f64_e32 v[135:136], v[135:136], v[151:152]
	v_add_f64_e32 v[145:146], v[147:148], v[145:146]
	v_fma_f64 v[151:152], v[2:3], v[10:11], -v[12:13]
	ds_load_b128 v[2:5], v1 offset:1200
	s_wait_loadcnt_dscnt 0x801
	v_mul_f64_e32 v[147:148], v[141:142], v[16:17]
	v_mul_f64_e32 v[16:17], v[143:144], v[16:17]
	scratch_load_b128 v[10:13], off, off offset:672
	v_add_f64_e32 v[153:154], v[135:136], v[137:138]
	v_add_f64_e32 v[139:140], v[145:146], v[139:140]
	s_wait_loadcnt_dscnt 0x800
	v_mul_f64_e32 v[145:146], v[2:3], v[20:21]
	v_mul_f64_e32 v[20:21], v[4:5], v[20:21]
	v_fma_f64 v[143:144], v[143:144], v[14:15], v[147:148]
	v_fma_f64 v[14:15], v[141:142], v[14:15], -v[16:17]
	ds_load_b128 v[135:138], v1 offset:1216
	s_wait_loadcnt_dscnt 0x700
	v_mul_f64_e32 v[141:142], v[135:136], v[24:25]
	v_mul_f64_e32 v[24:25], v[137:138], v[24:25]
	v_add_f64_e32 v[16:17], v[153:154], v[151:152]
	v_add_f64_e32 v[139:140], v[139:140], v[149:150]
	v_fma_f64 v[145:146], v[4:5], v[18:19], v[145:146]
	v_fma_f64 v[18:19], v[2:3], v[18:19], -v[20:21]
	v_fma_f64 v[137:138], v[137:138], v[22:23], v[141:142]
	v_fma_f64 v[22:23], v[135:136], v[22:23], -v[24:25]
	v_add_f64_e32 v[20:21], v[16:17], v[14:15]
	v_add_f64_e32 v[139:140], v[139:140], v[143:144]
	ds_load_b128 v[2:5], v1 offset:1232
	ds_load_b128 v[14:17], v1 offset:1248
	s_wait_loadcnt_dscnt 0x601
	v_mul_f64_e32 v[143:144], v[2:3], v[28:29]
	v_mul_f64_e32 v[28:29], v[4:5], v[28:29]
	s_wait_loadcnt_dscnt 0x500
	v_mul_f64_e32 v[24:25], v[14:15], v[32:33]
	v_mul_f64_e32 v[32:33], v[16:17], v[32:33]
	v_add_f64_e32 v[18:19], v[20:21], v[18:19]
	v_add_f64_e32 v[20:21], v[139:140], v[145:146]
	v_fma_f64 v[135:136], v[4:5], v[26:27], v[143:144]
	v_fma_f64 v[26:27], v[2:3], v[26:27], -v[28:29]
	v_fma_f64 v[16:17], v[16:17], v[30:31], v[24:25]
	v_fma_f64 v[14:15], v[14:15], v[30:31], -v[32:33]
	v_add_f64_e32 v[22:23], v[18:19], v[22:23]
	v_add_f64_e32 v[28:29], v[20:21], v[137:138]
	ds_load_b128 v[2:5], v1 offset:1264
	ds_load_b128 v[18:21], v1 offset:1280
	s_wait_loadcnt_dscnt 0x401
	v_mul_f64_e32 v[137:138], v[2:3], v[40:41]
	v_mul_f64_e32 v[40:41], v[4:5], v[40:41]
	v_add_f64_e32 v[22:23], v[22:23], v[26:27]
	v_add_f64_e32 v[24:25], v[28:29], v[135:136]
	s_wait_loadcnt_dscnt 0x300
	v_mul_f64_e32 v[26:27], v[18:19], v[133:134]
	v_mul_f64_e32 v[28:29], v[20:21], v[133:134]
	v_fma_f64 v[30:31], v[4:5], v[38:39], v[137:138]
	v_fma_f64 v[32:33], v[2:3], v[38:39], -v[40:41]
	v_add_f64_e32 v[22:23], v[22:23], v[14:15]
	v_add_f64_e32 v[24:25], v[24:25], v[16:17]
	ds_load_b128 v[2:5], v1 offset:1296
	ds_load_b128 v[14:17], v1 offset:1312
	v_fma_f64 v[20:21], v[20:21], v[131:132], v[26:27]
	v_fma_f64 v[18:19], v[18:19], v[131:132], -v[28:29]
	s_wait_loadcnt_dscnt 0x201
	v_mul_f64_e32 v[38:39], v[2:3], v[36:37]
	v_mul_f64_e32 v[36:37], v[4:5], v[36:37]
	s_wait_loadcnt_dscnt 0x100
	v_mul_f64_e32 v[26:27], v[14:15], v[8:9]
	v_mul_f64_e32 v[8:9], v[16:17], v[8:9]
	v_add_f64_e32 v[22:23], v[22:23], v[32:33]
	v_add_f64_e32 v[24:25], v[24:25], v[30:31]
	v_fma_f64 v[28:29], v[4:5], v[34:35], v[38:39]
	v_fma_f64 v[30:31], v[2:3], v[34:35], -v[36:37]
	ds_load_b128 v[2:5], v1 offset:1328
	v_fma_f64 v[16:17], v[16:17], v[6:7], v[26:27]
	v_fma_f64 v[6:7], v[14:15], v[6:7], -v[8:9]
	v_add_f64_e32 v[18:19], v[22:23], v[18:19]
	v_add_f64_e32 v[20:21], v[24:25], v[20:21]
	s_wait_loadcnt_dscnt 0x0
	v_mul_f64_e32 v[22:23], v[2:3], v[12:13]
	v_mul_f64_e32 v[12:13], v[4:5], v[12:13]
	s_delay_alu instid0(VALU_DEP_4) | instskip(NEXT) | instid1(VALU_DEP_4)
	v_add_f64_e32 v[8:9], v[18:19], v[30:31]
	v_add_f64_e32 v[14:15], v[20:21], v[28:29]
	s_delay_alu instid0(VALU_DEP_4) | instskip(NEXT) | instid1(VALU_DEP_4)
	v_fma_f64 v[4:5], v[4:5], v[10:11], v[22:23]
	v_fma_f64 v[2:3], v[2:3], v[10:11], -v[12:13]
	s_delay_alu instid0(VALU_DEP_4) | instskip(NEXT) | instid1(VALU_DEP_4)
	v_add_f64_e32 v[6:7], v[8:9], v[6:7]
	v_add_f64_e32 v[8:9], v[14:15], v[16:17]
	s_delay_alu instid0(VALU_DEP_2) | instskip(NEXT) | instid1(VALU_DEP_2)
	v_add_f64_e32 v[2:3], v[6:7], v[2:3]
	v_add_f64_e32 v[4:5], v[8:9], v[4:5]
	s_delay_alu instid0(VALU_DEP_2) | instskip(NEXT) | instid1(VALU_DEP_2)
	v_add_f64_e64 v[2:3], v[42:43], -v[2:3]
	v_add_f64_e64 v[4:5], v[44:45], -v[4:5]
	scratch_store_b128 off, v[2:5], off offset:304
	v_cmpx_lt_u32_e32 17, v0
	s_cbranch_execz .LBB41_231
; %bb.230:
	scratch_load_b128 v[5:8], off, s38
	v_dual_mov_b32 v2, v1 :: v_dual_mov_b32 v3, v1
	v_mov_b32_e32 v4, v1
	scratch_store_b128 off, v[1:4], off offset:288
	s_wait_loadcnt 0x0
	ds_store_b128 v130, v[5:8]
.LBB41_231:
	s_wait_alu 0xfffe
	s_or_b32 exec_lo, exec_lo, s0
	s_wait_storecnt_dscnt 0x0
	s_barrier_signal -1
	s_barrier_wait -1
	global_inv scope:SCOPE_SE
	s_clause 0x8
	scratch_load_b128 v[2:5], off, off offset:304
	scratch_load_b128 v[6:9], off, off offset:320
	;; [unrolled: 1-line block ×9, first 2 shown]
	ds_load_b128 v[38:41], v1 offset:960
	ds_load_b128 v[42:45], v1 offset:976
	s_clause 0x1
	scratch_load_b128 v[131:134], off, off offset:288
	scratch_load_b128 v[135:138], off, off offset:448
	s_mov_b32 s0, exec_lo
	s_wait_loadcnt_dscnt 0xa01
	v_mul_f64_e32 v[139:140], v[40:41], v[4:5]
	v_mul_f64_e32 v[4:5], v[38:39], v[4:5]
	s_wait_loadcnt_dscnt 0x900
	v_mul_f64_e32 v[143:144], v[42:43], v[8:9]
	v_mul_f64_e32 v[8:9], v[44:45], v[8:9]
	s_delay_alu instid0(VALU_DEP_4) | instskip(NEXT) | instid1(VALU_DEP_4)
	v_fma_f64 v[145:146], v[38:39], v[2:3], -v[139:140]
	v_fma_f64 v[147:148], v[40:41], v[2:3], v[4:5]
	ds_load_b128 v[2:5], v1 offset:992
	ds_load_b128 v[139:142], v1 offset:1008
	scratch_load_b128 v[38:41], off, off offset:464
	v_fma_f64 v[44:45], v[44:45], v[6:7], v[143:144]
	v_fma_f64 v[42:43], v[42:43], v[6:7], -v[8:9]
	scratch_load_b128 v[6:9], off, off offset:480
	s_wait_loadcnt_dscnt 0xa01
	v_mul_f64_e32 v[149:150], v[2:3], v[12:13]
	v_mul_f64_e32 v[12:13], v[4:5], v[12:13]
	v_add_f64_e32 v[143:144], 0, v[145:146]
	v_add_f64_e32 v[145:146], 0, v[147:148]
	s_wait_loadcnt_dscnt 0x900
	v_mul_f64_e32 v[147:148], v[139:140], v[16:17]
	v_mul_f64_e32 v[16:17], v[141:142], v[16:17]
	v_fma_f64 v[149:150], v[4:5], v[10:11], v[149:150]
	v_fma_f64 v[151:152], v[2:3], v[10:11], -v[12:13]
	ds_load_b128 v[2:5], v1 offset:1024
	scratch_load_b128 v[10:13], off, off offset:496
	v_add_f64_e32 v[143:144], v[143:144], v[42:43]
	v_add_f64_e32 v[145:146], v[145:146], v[44:45]
	ds_load_b128 v[42:45], v1 offset:1040
	v_fma_f64 v[141:142], v[141:142], v[14:15], v[147:148]
	v_fma_f64 v[139:140], v[139:140], v[14:15], -v[16:17]
	scratch_load_b128 v[14:17], off, off offset:512
	s_wait_loadcnt_dscnt 0xa01
	v_mul_f64_e32 v[153:154], v[2:3], v[20:21]
	v_mul_f64_e32 v[20:21], v[4:5], v[20:21]
	s_wait_loadcnt_dscnt 0x900
	v_mul_f64_e32 v[147:148], v[42:43], v[24:25]
	v_mul_f64_e32 v[24:25], v[44:45], v[24:25]
	v_add_f64_e32 v[143:144], v[143:144], v[151:152]
	v_add_f64_e32 v[145:146], v[145:146], v[149:150]
	v_fma_f64 v[149:150], v[4:5], v[18:19], v[153:154]
	v_fma_f64 v[151:152], v[2:3], v[18:19], -v[20:21]
	ds_load_b128 v[2:5], v1 offset:1056
	scratch_load_b128 v[18:21], off, off offset:528
	v_fma_f64 v[44:45], v[44:45], v[22:23], v[147:148]
	v_fma_f64 v[42:43], v[42:43], v[22:23], -v[24:25]
	scratch_load_b128 v[22:25], off, off offset:544
	v_add_f64_e32 v[143:144], v[143:144], v[139:140]
	v_add_f64_e32 v[145:146], v[145:146], v[141:142]
	ds_load_b128 v[139:142], v1 offset:1072
	s_wait_loadcnt_dscnt 0xa01
	v_mul_f64_e32 v[153:154], v[2:3], v[28:29]
	v_mul_f64_e32 v[28:29], v[4:5], v[28:29]
	s_wait_loadcnt_dscnt 0x900
	v_mul_f64_e32 v[147:148], v[139:140], v[32:33]
	v_mul_f64_e32 v[32:33], v[141:142], v[32:33]
	v_add_f64_e32 v[143:144], v[143:144], v[151:152]
	v_add_f64_e32 v[145:146], v[145:146], v[149:150]
	v_fma_f64 v[149:150], v[4:5], v[26:27], v[153:154]
	v_fma_f64 v[151:152], v[2:3], v[26:27], -v[28:29]
	ds_load_b128 v[2:5], v1 offset:1088
	scratch_load_b128 v[26:29], off, off offset:560
	v_fma_f64 v[141:142], v[141:142], v[30:31], v[147:148]
	v_fma_f64 v[139:140], v[139:140], v[30:31], -v[32:33]
	scratch_load_b128 v[30:33], off, off offset:576
	v_add_f64_e32 v[143:144], v[143:144], v[42:43]
	v_add_f64_e32 v[145:146], v[145:146], v[44:45]
	ds_load_b128 v[42:45], v1 offset:1104
	s_wait_loadcnt_dscnt 0xa01
	v_mul_f64_e32 v[153:154], v[2:3], v[36:37]
	v_mul_f64_e32 v[36:37], v[4:5], v[36:37]
	s_wait_loadcnt_dscnt 0x800
	v_mul_f64_e32 v[147:148], v[42:43], v[137:138]
	v_add_f64_e32 v[143:144], v[143:144], v[151:152]
	v_add_f64_e32 v[145:146], v[145:146], v[149:150]
	v_mul_f64_e32 v[149:150], v[44:45], v[137:138]
	v_fma_f64 v[151:152], v[4:5], v[34:35], v[153:154]
	v_fma_f64 v[153:154], v[2:3], v[34:35], -v[36:37]
	ds_load_b128 v[2:5], v1 offset:1120
	scratch_load_b128 v[34:37], off, off offset:592
	v_fma_f64 v[44:45], v[44:45], v[135:136], v[147:148]
	v_add_f64_e32 v[143:144], v[143:144], v[139:140]
	v_add_f64_e32 v[141:142], v[145:146], v[141:142]
	ds_load_b128 v[137:140], v1 offset:1136
	v_fma_f64 v[135:136], v[42:43], v[135:136], -v[149:150]
	s_wait_loadcnt_dscnt 0x801
	v_mul_f64_e32 v[145:146], v[2:3], v[40:41]
	v_mul_f64_e32 v[155:156], v[4:5], v[40:41]
	scratch_load_b128 v[40:43], off, off offset:608
	s_wait_loadcnt_dscnt 0x800
	v_mul_f64_e32 v[149:150], v[137:138], v[8:9]
	v_mul_f64_e32 v[8:9], v[139:140], v[8:9]
	v_add_f64_e32 v[143:144], v[143:144], v[153:154]
	v_add_f64_e32 v[141:142], v[141:142], v[151:152]
	v_fma_f64 v[151:152], v[4:5], v[38:39], v[145:146]
	v_fma_f64 v[38:39], v[2:3], v[38:39], -v[155:156]
	ds_load_b128 v[2:5], v1 offset:1152
	ds_load_b128 v[145:148], v1 offset:1168
	v_fma_f64 v[139:140], v[139:140], v[6:7], v[149:150]
	v_fma_f64 v[137:138], v[137:138], v[6:7], -v[8:9]
	scratch_load_b128 v[6:9], off, off offset:640
	v_add_f64_e32 v[135:136], v[143:144], v[135:136]
	v_add_f64_e32 v[44:45], v[141:142], v[44:45]
	scratch_load_b128 v[141:144], off, off offset:624
	s_wait_loadcnt_dscnt 0x901
	v_mul_f64_e32 v[153:154], v[2:3], v[12:13]
	v_mul_f64_e32 v[12:13], v[4:5], v[12:13]
	s_wait_loadcnt_dscnt 0x800
	v_mul_f64_e32 v[149:150], v[145:146], v[16:17]
	v_mul_f64_e32 v[16:17], v[147:148], v[16:17]
	v_add_f64_e32 v[38:39], v[135:136], v[38:39]
	v_add_f64_e32 v[44:45], v[44:45], v[151:152]
	v_fma_f64 v[151:152], v[4:5], v[10:11], v[153:154]
	v_fma_f64 v[153:154], v[2:3], v[10:11], -v[12:13]
	ds_load_b128 v[2:5], v1 offset:1184
	scratch_load_b128 v[10:13], off, off offset:656
	v_fma_f64 v[147:148], v[147:148], v[14:15], v[149:150]
	v_fma_f64 v[145:146], v[145:146], v[14:15], -v[16:17]
	scratch_load_b128 v[14:17], off, off offset:672
	v_add_f64_e32 v[38:39], v[38:39], v[137:138]
	v_add_f64_e32 v[44:45], v[44:45], v[139:140]
	ds_load_b128 v[135:138], v1 offset:1200
	s_wait_loadcnt_dscnt 0x901
	v_mul_f64_e32 v[139:140], v[2:3], v[20:21]
	v_mul_f64_e32 v[20:21], v[4:5], v[20:21]
	s_wait_loadcnt_dscnt 0x800
	v_mul_f64_e32 v[149:150], v[135:136], v[24:25]
	v_mul_f64_e32 v[24:25], v[137:138], v[24:25]
	v_add_f64_e32 v[38:39], v[38:39], v[153:154]
	v_add_f64_e32 v[44:45], v[44:45], v[151:152]
	v_fma_f64 v[139:140], v[4:5], v[18:19], v[139:140]
	v_fma_f64 v[151:152], v[2:3], v[18:19], -v[20:21]
	ds_load_b128 v[2:5], v1 offset:1216
	ds_load_b128 v[18:21], v1 offset:1232
	v_fma_f64 v[137:138], v[137:138], v[22:23], v[149:150]
	v_fma_f64 v[22:23], v[135:136], v[22:23], -v[24:25]
	v_add_f64_e32 v[38:39], v[38:39], v[145:146]
	v_add_f64_e32 v[44:45], v[44:45], v[147:148]
	s_wait_loadcnt_dscnt 0x701
	v_mul_f64_e32 v[145:146], v[2:3], v[28:29]
	v_mul_f64_e32 v[28:29], v[4:5], v[28:29]
	s_delay_alu instid0(VALU_DEP_4) | instskip(NEXT) | instid1(VALU_DEP_4)
	v_add_f64_e32 v[24:25], v[38:39], v[151:152]
	v_add_f64_e32 v[38:39], v[44:45], v[139:140]
	s_wait_loadcnt_dscnt 0x600
	v_mul_f64_e32 v[44:45], v[18:19], v[32:33]
	v_mul_f64_e32 v[32:33], v[20:21], v[32:33]
	v_fma_f64 v[135:136], v[4:5], v[26:27], v[145:146]
	v_fma_f64 v[26:27], v[2:3], v[26:27], -v[28:29]
	v_add_f64_e32 v[28:29], v[24:25], v[22:23]
	v_add_f64_e32 v[38:39], v[38:39], v[137:138]
	ds_load_b128 v[2:5], v1 offset:1248
	ds_load_b128 v[22:25], v1 offset:1264
	v_fma_f64 v[20:21], v[20:21], v[30:31], v[44:45]
	v_fma_f64 v[18:19], v[18:19], v[30:31], -v[32:33]
	s_wait_loadcnt_dscnt 0x501
	v_mul_f64_e32 v[137:138], v[2:3], v[36:37]
	v_mul_f64_e32 v[36:37], v[4:5], v[36:37]
	s_wait_loadcnt_dscnt 0x400
	v_mul_f64_e32 v[30:31], v[22:23], v[42:43]
	v_add_f64_e32 v[26:27], v[28:29], v[26:27]
	v_add_f64_e32 v[28:29], v[38:39], v[135:136]
	v_mul_f64_e32 v[32:33], v[24:25], v[42:43]
	v_fma_f64 v[38:39], v[4:5], v[34:35], v[137:138]
	v_fma_f64 v[34:35], v[2:3], v[34:35], -v[36:37]
	v_fma_f64 v[24:25], v[24:25], v[40:41], v[30:31]
	v_add_f64_e32 v[26:27], v[26:27], v[18:19]
	v_add_f64_e32 v[28:29], v[28:29], v[20:21]
	ds_load_b128 v[2:5], v1 offset:1280
	ds_load_b128 v[18:21], v1 offset:1296
	v_fma_f64 v[22:23], v[22:23], v[40:41], -v[32:33]
	s_wait_loadcnt_dscnt 0x201
	v_mul_f64_e32 v[36:37], v[2:3], v[143:144]
	v_mul_f64_e32 v[42:43], v[4:5], v[143:144]
	s_wait_dscnt 0x0
	v_mul_f64_e32 v[30:31], v[18:19], v[8:9]
	v_mul_f64_e32 v[8:9], v[20:21], v[8:9]
	v_add_f64_e32 v[26:27], v[26:27], v[34:35]
	v_add_f64_e32 v[28:29], v[28:29], v[38:39]
	v_fma_f64 v[32:33], v[4:5], v[141:142], v[36:37]
	v_fma_f64 v[34:35], v[2:3], v[141:142], -v[42:43]
	v_fma_f64 v[20:21], v[20:21], v[6:7], v[30:31]
	v_fma_f64 v[6:7], v[18:19], v[6:7], -v[8:9]
	v_add_f64_e32 v[26:27], v[26:27], v[22:23]
	v_add_f64_e32 v[28:29], v[28:29], v[24:25]
	ds_load_b128 v[2:5], v1 offset:1312
	ds_load_b128 v[22:25], v1 offset:1328
	s_wait_loadcnt_dscnt 0x101
	v_mul_f64_e32 v[36:37], v[2:3], v[12:13]
	v_mul_f64_e32 v[12:13], v[4:5], v[12:13]
	v_add_f64_e32 v[8:9], v[26:27], v[34:35]
	v_add_f64_e32 v[18:19], v[28:29], v[32:33]
	s_wait_loadcnt_dscnt 0x0
	v_mul_f64_e32 v[26:27], v[22:23], v[16:17]
	v_mul_f64_e32 v[16:17], v[24:25], v[16:17]
	v_fma_f64 v[4:5], v[4:5], v[10:11], v[36:37]
	v_fma_f64 v[1:2], v[2:3], v[10:11], -v[12:13]
	v_add_f64_e32 v[6:7], v[8:9], v[6:7]
	v_add_f64_e32 v[8:9], v[18:19], v[20:21]
	v_fma_f64 v[10:11], v[24:25], v[14:15], v[26:27]
	v_fma_f64 v[12:13], v[22:23], v[14:15], -v[16:17]
	s_delay_alu instid0(VALU_DEP_4) | instskip(NEXT) | instid1(VALU_DEP_4)
	v_add_f64_e32 v[1:2], v[6:7], v[1:2]
	v_add_f64_e32 v[3:4], v[8:9], v[4:5]
	s_delay_alu instid0(VALU_DEP_2) | instskip(NEXT) | instid1(VALU_DEP_2)
	v_add_f64_e32 v[1:2], v[1:2], v[12:13]
	v_add_f64_e32 v[3:4], v[3:4], v[10:11]
	s_delay_alu instid0(VALU_DEP_2) | instskip(NEXT) | instid1(VALU_DEP_2)
	v_add_f64_e64 v[1:2], v[131:132], -v[1:2]
	v_add_f64_e64 v[3:4], v[133:134], -v[3:4]
	scratch_store_b128 off, v[1:4], off offset:288
	v_cmpx_lt_u32_e32 16, v0
	s_cbranch_execz .LBB41_233
; %bb.232:
	scratch_load_b128 v[1:4], off, s39
	v_mov_b32_e32 v5, 0
	s_delay_alu instid0(VALU_DEP_1)
	v_dual_mov_b32 v6, v5 :: v_dual_mov_b32 v7, v5
	v_mov_b32_e32 v8, v5
	scratch_store_b128 off, v[5:8], off offset:272
	s_wait_loadcnt 0x0
	ds_store_b128 v130, v[1:4]
.LBB41_233:
	s_wait_alu 0xfffe
	s_or_b32 exec_lo, exec_lo, s0
	s_wait_storecnt_dscnt 0x0
	s_barrier_signal -1
	s_barrier_wait -1
	global_inv scope:SCOPE_SE
	s_clause 0x7
	scratch_load_b128 v[2:5], off, off offset:288
	scratch_load_b128 v[6:9], off, off offset:304
	;; [unrolled: 1-line block ×8, first 2 shown]
	v_mov_b32_e32 v1, 0
	s_mov_b32 s0, exec_lo
	ds_load_b128 v[34:37], v1 offset:944
	s_clause 0x1
	scratch_load_b128 v[38:41], off, off offset:416
	scratch_load_b128 v[42:45], off, off offset:272
	ds_load_b128 v[131:134], v1 offset:960
	scratch_load_b128 v[135:138], off, off offset:432
	s_wait_loadcnt_dscnt 0xa01
	v_mul_f64_e32 v[139:140], v[36:37], v[4:5]
	v_mul_f64_e32 v[4:5], v[34:35], v[4:5]
	s_delay_alu instid0(VALU_DEP_2) | instskip(NEXT) | instid1(VALU_DEP_2)
	v_fma_f64 v[145:146], v[34:35], v[2:3], -v[139:140]
	v_fma_f64 v[147:148], v[36:37], v[2:3], v[4:5]
	ds_load_b128 v[2:5], v1 offset:976
	s_wait_loadcnt_dscnt 0x901
	v_mul_f64_e32 v[143:144], v[131:132], v[8:9]
	v_mul_f64_e32 v[8:9], v[133:134], v[8:9]
	scratch_load_b128 v[34:37], off, off offset:448
	ds_load_b128 v[139:142], v1 offset:992
	s_wait_loadcnt_dscnt 0x901
	v_mul_f64_e32 v[149:150], v[2:3], v[12:13]
	v_mul_f64_e32 v[12:13], v[4:5], v[12:13]
	v_fma_f64 v[133:134], v[133:134], v[6:7], v[143:144]
	v_fma_f64 v[131:132], v[131:132], v[6:7], -v[8:9]
	v_add_f64_e32 v[143:144], 0, v[145:146]
	v_add_f64_e32 v[145:146], 0, v[147:148]
	scratch_load_b128 v[6:9], off, off offset:464
	v_fma_f64 v[149:150], v[4:5], v[10:11], v[149:150]
	v_fma_f64 v[151:152], v[2:3], v[10:11], -v[12:13]
	ds_load_b128 v[2:5], v1 offset:1008
	s_wait_loadcnt_dscnt 0x901
	v_mul_f64_e32 v[147:148], v[139:140], v[16:17]
	v_mul_f64_e32 v[16:17], v[141:142], v[16:17]
	scratch_load_b128 v[10:13], off, off offset:480
	v_add_f64_e32 v[143:144], v[143:144], v[131:132]
	v_add_f64_e32 v[145:146], v[145:146], v[133:134]
	s_wait_loadcnt_dscnt 0x900
	v_mul_f64_e32 v[153:154], v[2:3], v[20:21]
	v_mul_f64_e32 v[20:21], v[4:5], v[20:21]
	ds_load_b128 v[131:134], v1 offset:1024
	v_fma_f64 v[141:142], v[141:142], v[14:15], v[147:148]
	v_fma_f64 v[139:140], v[139:140], v[14:15], -v[16:17]
	scratch_load_b128 v[14:17], off, off offset:496
	v_add_f64_e32 v[143:144], v[143:144], v[151:152]
	v_add_f64_e32 v[145:146], v[145:146], v[149:150]
	v_fma_f64 v[149:150], v[4:5], v[18:19], v[153:154]
	v_fma_f64 v[151:152], v[2:3], v[18:19], -v[20:21]
	ds_load_b128 v[2:5], v1 offset:1040
	s_wait_loadcnt_dscnt 0x901
	v_mul_f64_e32 v[147:148], v[131:132], v[24:25]
	v_mul_f64_e32 v[24:25], v[133:134], v[24:25]
	scratch_load_b128 v[18:21], off, off offset:512
	s_wait_loadcnt_dscnt 0x900
	v_mul_f64_e32 v[153:154], v[2:3], v[28:29]
	v_mul_f64_e32 v[28:29], v[4:5], v[28:29]
	v_add_f64_e32 v[143:144], v[143:144], v[139:140]
	v_add_f64_e32 v[145:146], v[145:146], v[141:142]
	ds_load_b128 v[139:142], v1 offset:1056
	v_fma_f64 v[133:134], v[133:134], v[22:23], v[147:148]
	v_fma_f64 v[131:132], v[131:132], v[22:23], -v[24:25]
	scratch_load_b128 v[22:25], off, off offset:528
	v_add_f64_e32 v[143:144], v[143:144], v[151:152]
	v_add_f64_e32 v[145:146], v[145:146], v[149:150]
	v_fma_f64 v[149:150], v[4:5], v[26:27], v[153:154]
	v_fma_f64 v[151:152], v[2:3], v[26:27], -v[28:29]
	ds_load_b128 v[2:5], v1 offset:1072
	s_wait_loadcnt_dscnt 0x901
	v_mul_f64_e32 v[147:148], v[139:140], v[32:33]
	v_mul_f64_e32 v[32:33], v[141:142], v[32:33]
	scratch_load_b128 v[26:29], off, off offset:544
	s_wait_loadcnt_dscnt 0x900
	v_mul_f64_e32 v[153:154], v[2:3], v[40:41]
	v_mul_f64_e32 v[40:41], v[4:5], v[40:41]
	v_add_f64_e32 v[143:144], v[143:144], v[131:132]
	v_add_f64_e32 v[145:146], v[145:146], v[133:134]
	ds_load_b128 v[131:134], v1 offset:1088
	v_fma_f64 v[141:142], v[141:142], v[30:31], v[147:148]
	v_fma_f64 v[139:140], v[139:140], v[30:31], -v[32:33]
	scratch_load_b128 v[30:33], off, off offset:560
	v_add_f64_e32 v[143:144], v[143:144], v[151:152]
	v_add_f64_e32 v[145:146], v[145:146], v[149:150]
	v_fma_f64 v[151:152], v[4:5], v[38:39], v[153:154]
	v_fma_f64 v[153:154], v[2:3], v[38:39], -v[40:41]
	ds_load_b128 v[2:5], v1 offset:1104
	s_wait_loadcnt_dscnt 0x801
	v_mul_f64_e32 v[147:148], v[131:132], v[137:138]
	v_mul_f64_e32 v[149:150], v[133:134], v[137:138]
	scratch_load_b128 v[38:41], off, off offset:576
	v_add_f64_e32 v[143:144], v[143:144], v[139:140]
	v_add_f64_e32 v[141:142], v[145:146], v[141:142]
	ds_load_b128 v[137:140], v1 offset:1120
	v_fma_f64 v[147:148], v[133:134], v[135:136], v[147:148]
	v_fma_f64 v[135:136], v[131:132], v[135:136], -v[149:150]
	scratch_load_b128 v[131:134], off, off offset:592
	s_wait_loadcnt_dscnt 0x901
	v_mul_f64_e32 v[145:146], v[2:3], v[36:37]
	v_mul_f64_e32 v[36:37], v[4:5], v[36:37]
	v_add_f64_e32 v[143:144], v[143:144], v[153:154]
	v_add_f64_e32 v[141:142], v[141:142], v[151:152]
	s_delay_alu instid0(VALU_DEP_4) | instskip(NEXT) | instid1(VALU_DEP_4)
	v_fma_f64 v[145:146], v[4:5], v[34:35], v[145:146]
	v_fma_f64 v[151:152], v[2:3], v[34:35], -v[36:37]
	ds_load_b128 v[2:5], v1 offset:1136
	s_wait_loadcnt_dscnt 0x801
	v_mul_f64_e32 v[149:150], v[137:138], v[8:9]
	v_mul_f64_e32 v[8:9], v[139:140], v[8:9]
	scratch_load_b128 v[34:37], off, off offset:608
	s_wait_loadcnt_dscnt 0x800
	v_mul_f64_e32 v[153:154], v[2:3], v[12:13]
	v_add_f64_e32 v[135:136], v[143:144], v[135:136]
	v_add_f64_e32 v[147:148], v[141:142], v[147:148]
	v_mul_f64_e32 v[12:13], v[4:5], v[12:13]
	ds_load_b128 v[141:144], v1 offset:1152
	v_fma_f64 v[139:140], v[139:140], v[6:7], v[149:150]
	v_fma_f64 v[137:138], v[137:138], v[6:7], -v[8:9]
	scratch_load_b128 v[6:9], off, off offset:624
	v_fma_f64 v[149:150], v[4:5], v[10:11], v[153:154]
	v_add_f64_e32 v[135:136], v[135:136], v[151:152]
	v_add_f64_e32 v[145:146], v[147:148], v[145:146]
	v_fma_f64 v[151:152], v[2:3], v[10:11], -v[12:13]
	ds_load_b128 v[2:5], v1 offset:1168
	s_wait_loadcnt_dscnt 0x801
	v_mul_f64_e32 v[147:148], v[141:142], v[16:17]
	v_mul_f64_e32 v[16:17], v[143:144], v[16:17]
	scratch_load_b128 v[10:13], off, off offset:640
	v_add_f64_e32 v[153:154], v[135:136], v[137:138]
	v_add_f64_e32 v[139:140], v[145:146], v[139:140]
	s_wait_loadcnt_dscnt 0x800
	v_mul_f64_e32 v[145:146], v[2:3], v[20:21]
	v_mul_f64_e32 v[20:21], v[4:5], v[20:21]
	v_fma_f64 v[143:144], v[143:144], v[14:15], v[147:148]
	v_fma_f64 v[141:142], v[141:142], v[14:15], -v[16:17]
	ds_load_b128 v[135:138], v1 offset:1184
	scratch_load_b128 v[14:17], off, off offset:656
	v_add_f64_e32 v[147:148], v[153:154], v[151:152]
	v_add_f64_e32 v[139:140], v[139:140], v[149:150]
	v_fma_f64 v[145:146], v[4:5], v[18:19], v[145:146]
	v_fma_f64 v[151:152], v[2:3], v[18:19], -v[20:21]
	ds_load_b128 v[2:5], v1 offset:1200
	s_wait_loadcnt_dscnt 0x801
	v_mul_f64_e32 v[149:150], v[135:136], v[24:25]
	v_mul_f64_e32 v[24:25], v[137:138], v[24:25]
	scratch_load_b128 v[18:21], off, off offset:672
	s_wait_loadcnt_dscnt 0x800
	v_mul_f64_e32 v[153:154], v[2:3], v[28:29]
	v_mul_f64_e32 v[28:29], v[4:5], v[28:29]
	v_add_f64_e32 v[147:148], v[147:148], v[141:142]
	v_add_f64_e32 v[143:144], v[139:140], v[143:144]
	ds_load_b128 v[139:142], v1 offset:1216
	v_fma_f64 v[137:138], v[137:138], v[22:23], v[149:150]
	v_fma_f64 v[22:23], v[135:136], v[22:23], -v[24:25]
	v_add_f64_e32 v[24:25], v[147:148], v[151:152]
	v_add_f64_e32 v[135:136], v[143:144], v[145:146]
	s_wait_loadcnt_dscnt 0x700
	v_mul_f64_e32 v[143:144], v[139:140], v[32:33]
	v_mul_f64_e32 v[32:33], v[141:142], v[32:33]
	v_fma_f64 v[145:146], v[4:5], v[26:27], v[153:154]
	v_fma_f64 v[26:27], v[2:3], v[26:27], -v[28:29]
	v_add_f64_e32 v[28:29], v[24:25], v[22:23]
	v_add_f64_e32 v[135:136], v[135:136], v[137:138]
	ds_load_b128 v[2:5], v1 offset:1232
	ds_load_b128 v[22:25], v1 offset:1248
	v_fma_f64 v[141:142], v[141:142], v[30:31], v[143:144]
	v_fma_f64 v[30:31], v[139:140], v[30:31], -v[32:33]
	s_wait_loadcnt_dscnt 0x601
	v_mul_f64_e32 v[137:138], v[2:3], v[40:41]
	v_mul_f64_e32 v[40:41], v[4:5], v[40:41]
	s_wait_loadcnt_dscnt 0x500
	v_mul_f64_e32 v[32:33], v[22:23], v[133:134]
	v_mul_f64_e32 v[133:134], v[24:25], v[133:134]
	v_add_f64_e32 v[26:27], v[28:29], v[26:27]
	v_add_f64_e32 v[28:29], v[135:136], v[145:146]
	v_fma_f64 v[135:136], v[4:5], v[38:39], v[137:138]
	v_fma_f64 v[38:39], v[2:3], v[38:39], -v[40:41]
	v_fma_f64 v[24:25], v[24:25], v[131:132], v[32:33]
	v_fma_f64 v[22:23], v[22:23], v[131:132], -v[133:134]
	v_add_f64_e32 v[30:31], v[26:27], v[30:31]
	v_add_f64_e32 v[40:41], v[28:29], v[141:142]
	ds_load_b128 v[2:5], v1 offset:1264
	ds_load_b128 v[26:29], v1 offset:1280
	s_wait_loadcnt_dscnt 0x401
	v_mul_f64_e32 v[137:138], v[2:3], v[36:37]
	v_mul_f64_e32 v[36:37], v[4:5], v[36:37]
	v_add_f64_e32 v[30:31], v[30:31], v[38:39]
	v_add_f64_e32 v[32:33], v[40:41], v[135:136]
	s_wait_loadcnt_dscnt 0x300
	v_mul_f64_e32 v[38:39], v[26:27], v[8:9]
	v_mul_f64_e32 v[8:9], v[28:29], v[8:9]
	v_fma_f64 v[40:41], v[4:5], v[34:35], v[137:138]
	v_fma_f64 v[34:35], v[2:3], v[34:35], -v[36:37]
	v_add_f64_e32 v[30:31], v[30:31], v[22:23]
	v_add_f64_e32 v[32:33], v[32:33], v[24:25]
	ds_load_b128 v[2:5], v1 offset:1296
	ds_load_b128 v[22:25], v1 offset:1312
	v_fma_f64 v[28:29], v[28:29], v[6:7], v[38:39]
	v_fma_f64 v[6:7], v[26:27], v[6:7], -v[8:9]
	s_wait_loadcnt_dscnt 0x201
	v_mul_f64_e32 v[36:37], v[2:3], v[12:13]
	v_mul_f64_e32 v[12:13], v[4:5], v[12:13]
	v_add_f64_e32 v[8:9], v[30:31], v[34:35]
	v_add_f64_e32 v[26:27], v[32:33], v[40:41]
	s_wait_loadcnt_dscnt 0x100
	v_mul_f64_e32 v[30:31], v[22:23], v[16:17]
	v_mul_f64_e32 v[16:17], v[24:25], v[16:17]
	v_fma_f64 v[32:33], v[4:5], v[10:11], v[36:37]
	v_fma_f64 v[10:11], v[2:3], v[10:11], -v[12:13]
	ds_load_b128 v[2:5], v1 offset:1328
	v_add_f64_e32 v[6:7], v[8:9], v[6:7]
	v_add_f64_e32 v[8:9], v[26:27], v[28:29]
	v_fma_f64 v[24:25], v[24:25], v[14:15], v[30:31]
	v_fma_f64 v[14:15], v[22:23], v[14:15], -v[16:17]
	s_wait_loadcnt_dscnt 0x0
	v_mul_f64_e32 v[12:13], v[2:3], v[20:21]
	v_mul_f64_e32 v[20:21], v[4:5], v[20:21]
	v_add_f64_e32 v[6:7], v[6:7], v[10:11]
	v_add_f64_e32 v[8:9], v[8:9], v[32:33]
	s_delay_alu instid0(VALU_DEP_4) | instskip(NEXT) | instid1(VALU_DEP_4)
	v_fma_f64 v[4:5], v[4:5], v[18:19], v[12:13]
	v_fma_f64 v[2:3], v[2:3], v[18:19], -v[20:21]
	s_delay_alu instid0(VALU_DEP_4) | instskip(NEXT) | instid1(VALU_DEP_4)
	v_add_f64_e32 v[6:7], v[6:7], v[14:15]
	v_add_f64_e32 v[8:9], v[8:9], v[24:25]
	s_delay_alu instid0(VALU_DEP_2) | instskip(NEXT) | instid1(VALU_DEP_2)
	v_add_f64_e32 v[2:3], v[6:7], v[2:3]
	v_add_f64_e32 v[4:5], v[8:9], v[4:5]
	s_delay_alu instid0(VALU_DEP_2) | instskip(NEXT) | instid1(VALU_DEP_2)
	v_add_f64_e64 v[2:3], v[42:43], -v[2:3]
	v_add_f64_e64 v[4:5], v[44:45], -v[4:5]
	scratch_store_b128 off, v[2:5], off offset:272
	v_cmpx_lt_u32_e32 15, v0
	s_cbranch_execz .LBB41_235
; %bb.234:
	scratch_load_b128 v[5:8], off, s40
	v_dual_mov_b32 v2, v1 :: v_dual_mov_b32 v3, v1
	v_mov_b32_e32 v4, v1
	scratch_store_b128 off, v[1:4], off offset:256
	s_wait_loadcnt 0x0
	ds_store_b128 v130, v[5:8]
.LBB41_235:
	s_wait_alu 0xfffe
	s_or_b32 exec_lo, exec_lo, s0
	s_wait_storecnt_dscnt 0x0
	s_barrier_signal -1
	s_barrier_wait -1
	global_inv scope:SCOPE_SE
	s_clause 0x8
	scratch_load_b128 v[2:5], off, off offset:272
	scratch_load_b128 v[6:9], off, off offset:288
	;; [unrolled: 1-line block ×9, first 2 shown]
	ds_load_b128 v[38:41], v1 offset:928
	ds_load_b128 v[42:45], v1 offset:944
	s_clause 0x1
	scratch_load_b128 v[131:134], off, off offset:256
	scratch_load_b128 v[135:138], off, off offset:416
	s_mov_b32 s0, exec_lo
	s_wait_loadcnt_dscnt 0xa01
	v_mul_f64_e32 v[139:140], v[40:41], v[4:5]
	v_mul_f64_e32 v[4:5], v[38:39], v[4:5]
	s_wait_loadcnt_dscnt 0x900
	v_mul_f64_e32 v[143:144], v[42:43], v[8:9]
	v_mul_f64_e32 v[8:9], v[44:45], v[8:9]
	s_delay_alu instid0(VALU_DEP_4) | instskip(NEXT) | instid1(VALU_DEP_4)
	v_fma_f64 v[145:146], v[38:39], v[2:3], -v[139:140]
	v_fma_f64 v[147:148], v[40:41], v[2:3], v[4:5]
	ds_load_b128 v[2:5], v1 offset:960
	ds_load_b128 v[139:142], v1 offset:976
	scratch_load_b128 v[38:41], off, off offset:432
	v_fma_f64 v[44:45], v[44:45], v[6:7], v[143:144]
	v_fma_f64 v[42:43], v[42:43], v[6:7], -v[8:9]
	scratch_load_b128 v[6:9], off, off offset:448
	s_wait_loadcnt_dscnt 0xa01
	v_mul_f64_e32 v[149:150], v[2:3], v[12:13]
	v_mul_f64_e32 v[12:13], v[4:5], v[12:13]
	v_add_f64_e32 v[143:144], 0, v[145:146]
	v_add_f64_e32 v[145:146], 0, v[147:148]
	s_wait_loadcnt_dscnt 0x900
	v_mul_f64_e32 v[147:148], v[139:140], v[16:17]
	v_mul_f64_e32 v[16:17], v[141:142], v[16:17]
	v_fma_f64 v[149:150], v[4:5], v[10:11], v[149:150]
	v_fma_f64 v[151:152], v[2:3], v[10:11], -v[12:13]
	ds_load_b128 v[2:5], v1 offset:992
	scratch_load_b128 v[10:13], off, off offset:464
	v_add_f64_e32 v[143:144], v[143:144], v[42:43]
	v_add_f64_e32 v[145:146], v[145:146], v[44:45]
	ds_load_b128 v[42:45], v1 offset:1008
	v_fma_f64 v[141:142], v[141:142], v[14:15], v[147:148]
	v_fma_f64 v[139:140], v[139:140], v[14:15], -v[16:17]
	scratch_load_b128 v[14:17], off, off offset:480
	s_wait_loadcnt_dscnt 0xa01
	v_mul_f64_e32 v[153:154], v[2:3], v[20:21]
	v_mul_f64_e32 v[20:21], v[4:5], v[20:21]
	s_wait_loadcnt_dscnt 0x900
	v_mul_f64_e32 v[147:148], v[42:43], v[24:25]
	v_mul_f64_e32 v[24:25], v[44:45], v[24:25]
	v_add_f64_e32 v[143:144], v[143:144], v[151:152]
	v_add_f64_e32 v[145:146], v[145:146], v[149:150]
	v_fma_f64 v[149:150], v[4:5], v[18:19], v[153:154]
	v_fma_f64 v[151:152], v[2:3], v[18:19], -v[20:21]
	ds_load_b128 v[2:5], v1 offset:1024
	scratch_load_b128 v[18:21], off, off offset:496
	v_fma_f64 v[44:45], v[44:45], v[22:23], v[147:148]
	v_fma_f64 v[42:43], v[42:43], v[22:23], -v[24:25]
	scratch_load_b128 v[22:25], off, off offset:512
	v_add_f64_e32 v[143:144], v[143:144], v[139:140]
	v_add_f64_e32 v[145:146], v[145:146], v[141:142]
	ds_load_b128 v[139:142], v1 offset:1040
	s_wait_loadcnt_dscnt 0xa01
	v_mul_f64_e32 v[153:154], v[2:3], v[28:29]
	v_mul_f64_e32 v[28:29], v[4:5], v[28:29]
	s_wait_loadcnt_dscnt 0x900
	v_mul_f64_e32 v[147:148], v[139:140], v[32:33]
	v_mul_f64_e32 v[32:33], v[141:142], v[32:33]
	v_add_f64_e32 v[143:144], v[143:144], v[151:152]
	v_add_f64_e32 v[145:146], v[145:146], v[149:150]
	v_fma_f64 v[149:150], v[4:5], v[26:27], v[153:154]
	v_fma_f64 v[151:152], v[2:3], v[26:27], -v[28:29]
	ds_load_b128 v[2:5], v1 offset:1056
	scratch_load_b128 v[26:29], off, off offset:528
	v_fma_f64 v[141:142], v[141:142], v[30:31], v[147:148]
	v_fma_f64 v[139:140], v[139:140], v[30:31], -v[32:33]
	scratch_load_b128 v[30:33], off, off offset:544
	v_add_f64_e32 v[143:144], v[143:144], v[42:43]
	v_add_f64_e32 v[145:146], v[145:146], v[44:45]
	ds_load_b128 v[42:45], v1 offset:1072
	s_wait_loadcnt_dscnt 0xa01
	v_mul_f64_e32 v[153:154], v[2:3], v[36:37]
	v_mul_f64_e32 v[36:37], v[4:5], v[36:37]
	s_wait_loadcnt_dscnt 0x800
	v_mul_f64_e32 v[147:148], v[42:43], v[137:138]
	v_add_f64_e32 v[143:144], v[143:144], v[151:152]
	v_add_f64_e32 v[145:146], v[145:146], v[149:150]
	v_mul_f64_e32 v[149:150], v[44:45], v[137:138]
	v_fma_f64 v[151:152], v[4:5], v[34:35], v[153:154]
	v_fma_f64 v[153:154], v[2:3], v[34:35], -v[36:37]
	ds_load_b128 v[2:5], v1 offset:1088
	scratch_load_b128 v[34:37], off, off offset:560
	v_fma_f64 v[44:45], v[44:45], v[135:136], v[147:148]
	v_add_f64_e32 v[143:144], v[143:144], v[139:140]
	v_add_f64_e32 v[141:142], v[145:146], v[141:142]
	ds_load_b128 v[137:140], v1 offset:1104
	v_fma_f64 v[135:136], v[42:43], v[135:136], -v[149:150]
	s_wait_loadcnt_dscnt 0x801
	v_mul_f64_e32 v[145:146], v[2:3], v[40:41]
	v_mul_f64_e32 v[155:156], v[4:5], v[40:41]
	scratch_load_b128 v[40:43], off, off offset:576
	s_wait_loadcnt_dscnt 0x800
	v_mul_f64_e32 v[149:150], v[137:138], v[8:9]
	v_mul_f64_e32 v[8:9], v[139:140], v[8:9]
	v_add_f64_e32 v[143:144], v[143:144], v[153:154]
	v_add_f64_e32 v[141:142], v[141:142], v[151:152]
	v_fma_f64 v[151:152], v[4:5], v[38:39], v[145:146]
	v_fma_f64 v[38:39], v[2:3], v[38:39], -v[155:156]
	ds_load_b128 v[2:5], v1 offset:1120
	ds_load_b128 v[145:148], v1 offset:1136
	v_fma_f64 v[139:140], v[139:140], v[6:7], v[149:150]
	v_fma_f64 v[137:138], v[137:138], v[6:7], -v[8:9]
	scratch_load_b128 v[6:9], off, off offset:608
	v_add_f64_e32 v[135:136], v[143:144], v[135:136]
	v_add_f64_e32 v[44:45], v[141:142], v[44:45]
	scratch_load_b128 v[141:144], off, off offset:592
	s_wait_loadcnt_dscnt 0x901
	v_mul_f64_e32 v[153:154], v[2:3], v[12:13]
	v_mul_f64_e32 v[12:13], v[4:5], v[12:13]
	s_wait_loadcnt_dscnt 0x800
	v_mul_f64_e32 v[149:150], v[145:146], v[16:17]
	v_mul_f64_e32 v[16:17], v[147:148], v[16:17]
	v_add_f64_e32 v[38:39], v[135:136], v[38:39]
	v_add_f64_e32 v[44:45], v[44:45], v[151:152]
	v_fma_f64 v[151:152], v[4:5], v[10:11], v[153:154]
	v_fma_f64 v[153:154], v[2:3], v[10:11], -v[12:13]
	ds_load_b128 v[2:5], v1 offset:1152
	scratch_load_b128 v[10:13], off, off offset:624
	v_fma_f64 v[147:148], v[147:148], v[14:15], v[149:150]
	v_fma_f64 v[145:146], v[145:146], v[14:15], -v[16:17]
	scratch_load_b128 v[14:17], off, off offset:640
	v_add_f64_e32 v[38:39], v[38:39], v[137:138]
	v_add_f64_e32 v[44:45], v[44:45], v[139:140]
	ds_load_b128 v[135:138], v1 offset:1168
	s_wait_loadcnt_dscnt 0x901
	v_mul_f64_e32 v[139:140], v[2:3], v[20:21]
	v_mul_f64_e32 v[20:21], v[4:5], v[20:21]
	s_wait_loadcnt_dscnt 0x800
	v_mul_f64_e32 v[149:150], v[135:136], v[24:25]
	v_mul_f64_e32 v[24:25], v[137:138], v[24:25]
	v_add_f64_e32 v[38:39], v[38:39], v[153:154]
	v_add_f64_e32 v[44:45], v[44:45], v[151:152]
	v_fma_f64 v[139:140], v[4:5], v[18:19], v[139:140]
	v_fma_f64 v[151:152], v[2:3], v[18:19], -v[20:21]
	ds_load_b128 v[2:5], v1 offset:1184
	scratch_load_b128 v[18:21], off, off offset:656
	v_fma_f64 v[137:138], v[137:138], v[22:23], v[149:150]
	v_fma_f64 v[135:136], v[135:136], v[22:23], -v[24:25]
	scratch_load_b128 v[22:25], off, off offset:672
	v_add_f64_e32 v[38:39], v[38:39], v[145:146]
	v_add_f64_e32 v[44:45], v[44:45], v[147:148]
	ds_load_b128 v[145:148], v1 offset:1200
	s_wait_loadcnt_dscnt 0x901
	v_mul_f64_e32 v[153:154], v[2:3], v[28:29]
	v_mul_f64_e32 v[28:29], v[4:5], v[28:29]
	v_add_f64_e32 v[38:39], v[38:39], v[151:152]
	v_add_f64_e32 v[44:45], v[44:45], v[139:140]
	s_wait_loadcnt_dscnt 0x800
	v_mul_f64_e32 v[139:140], v[145:146], v[32:33]
	v_mul_f64_e32 v[32:33], v[147:148], v[32:33]
	v_fma_f64 v[149:150], v[4:5], v[26:27], v[153:154]
	v_fma_f64 v[151:152], v[2:3], v[26:27], -v[28:29]
	ds_load_b128 v[2:5], v1 offset:1216
	ds_load_b128 v[26:29], v1 offset:1232
	v_add_f64_e32 v[38:39], v[38:39], v[135:136]
	v_add_f64_e32 v[44:45], v[44:45], v[137:138]
	s_wait_loadcnt_dscnt 0x701
	v_mul_f64_e32 v[135:136], v[2:3], v[36:37]
	v_mul_f64_e32 v[36:37], v[4:5], v[36:37]
	v_fma_f64 v[137:138], v[147:148], v[30:31], v[139:140]
	v_fma_f64 v[30:31], v[145:146], v[30:31], -v[32:33]
	v_add_f64_e32 v[32:33], v[38:39], v[151:152]
	v_add_f64_e32 v[38:39], v[44:45], v[149:150]
	s_wait_loadcnt_dscnt 0x600
	v_mul_f64_e32 v[44:45], v[26:27], v[42:43]
	v_mul_f64_e32 v[42:43], v[28:29], v[42:43]
	v_fma_f64 v[135:136], v[4:5], v[34:35], v[135:136]
	v_fma_f64 v[34:35], v[2:3], v[34:35], -v[36:37]
	v_add_f64_e32 v[36:37], v[32:33], v[30:31]
	v_add_f64_e32 v[38:39], v[38:39], v[137:138]
	ds_load_b128 v[2:5], v1 offset:1248
	ds_load_b128 v[30:33], v1 offset:1264
	v_fma_f64 v[28:29], v[28:29], v[40:41], v[44:45]
	v_fma_f64 v[26:27], v[26:27], v[40:41], -v[42:43]
	s_wait_loadcnt_dscnt 0x401
	v_mul_f64_e32 v[137:138], v[2:3], v[143:144]
	v_mul_f64_e32 v[139:140], v[4:5], v[143:144]
	v_add_f64_e32 v[34:35], v[36:37], v[34:35]
	v_add_f64_e32 v[36:37], v[38:39], v[135:136]
	s_wait_dscnt 0x0
	v_mul_f64_e32 v[38:39], v[30:31], v[8:9]
	v_mul_f64_e32 v[8:9], v[32:33], v[8:9]
	v_fma_f64 v[40:41], v[4:5], v[141:142], v[137:138]
	v_fma_f64 v[42:43], v[2:3], v[141:142], -v[139:140]
	v_add_f64_e32 v[34:35], v[34:35], v[26:27]
	v_add_f64_e32 v[36:37], v[36:37], v[28:29]
	ds_load_b128 v[2:5], v1 offset:1280
	ds_load_b128 v[26:29], v1 offset:1296
	v_fma_f64 v[32:33], v[32:33], v[6:7], v[38:39]
	v_fma_f64 v[6:7], v[30:31], v[6:7], -v[8:9]
	s_wait_loadcnt_dscnt 0x301
	v_mul_f64_e32 v[44:45], v[2:3], v[12:13]
	v_mul_f64_e32 v[12:13], v[4:5], v[12:13]
	v_add_f64_e32 v[8:9], v[34:35], v[42:43]
	v_add_f64_e32 v[30:31], v[36:37], v[40:41]
	s_wait_loadcnt_dscnt 0x200
	v_mul_f64_e32 v[34:35], v[26:27], v[16:17]
	v_mul_f64_e32 v[16:17], v[28:29], v[16:17]
	v_fma_f64 v[36:37], v[4:5], v[10:11], v[44:45]
	v_fma_f64 v[10:11], v[2:3], v[10:11], -v[12:13]
	v_add_f64_e32 v[12:13], v[8:9], v[6:7]
	v_add_f64_e32 v[30:31], v[30:31], v[32:33]
	ds_load_b128 v[2:5], v1 offset:1312
	ds_load_b128 v[6:9], v1 offset:1328
	v_fma_f64 v[28:29], v[28:29], v[14:15], v[34:35]
	v_fma_f64 v[14:15], v[26:27], v[14:15], -v[16:17]
	s_wait_loadcnt_dscnt 0x101
	v_mul_f64_e32 v[32:33], v[2:3], v[20:21]
	v_mul_f64_e32 v[20:21], v[4:5], v[20:21]
	s_wait_loadcnt_dscnt 0x0
	v_mul_f64_e32 v[16:17], v[6:7], v[24:25]
	v_mul_f64_e32 v[24:25], v[8:9], v[24:25]
	v_add_f64_e32 v[10:11], v[12:13], v[10:11]
	v_add_f64_e32 v[12:13], v[30:31], v[36:37]
	v_fma_f64 v[4:5], v[4:5], v[18:19], v[32:33]
	v_fma_f64 v[1:2], v[2:3], v[18:19], -v[20:21]
	v_fma_f64 v[8:9], v[8:9], v[22:23], v[16:17]
	v_fma_f64 v[6:7], v[6:7], v[22:23], -v[24:25]
	v_add_f64_e32 v[10:11], v[10:11], v[14:15]
	v_add_f64_e32 v[12:13], v[12:13], v[28:29]
	s_delay_alu instid0(VALU_DEP_2) | instskip(NEXT) | instid1(VALU_DEP_2)
	v_add_f64_e32 v[1:2], v[10:11], v[1:2]
	v_add_f64_e32 v[3:4], v[12:13], v[4:5]
	s_delay_alu instid0(VALU_DEP_2) | instskip(NEXT) | instid1(VALU_DEP_2)
	;; [unrolled: 3-line block ×3, first 2 shown]
	v_add_f64_e64 v[1:2], v[131:132], -v[1:2]
	v_add_f64_e64 v[3:4], v[133:134], -v[3:4]
	scratch_store_b128 off, v[1:4], off offset:256
	v_cmpx_lt_u32_e32 14, v0
	s_cbranch_execz .LBB41_237
; %bb.236:
	scratch_load_b128 v[1:4], off, s41
	v_mov_b32_e32 v5, 0
	s_delay_alu instid0(VALU_DEP_1)
	v_dual_mov_b32 v6, v5 :: v_dual_mov_b32 v7, v5
	v_mov_b32_e32 v8, v5
	scratch_store_b128 off, v[5:8], off offset:240
	s_wait_loadcnt 0x0
	ds_store_b128 v130, v[1:4]
.LBB41_237:
	s_wait_alu 0xfffe
	s_or_b32 exec_lo, exec_lo, s0
	s_wait_storecnt_dscnt 0x0
	s_barrier_signal -1
	s_barrier_wait -1
	global_inv scope:SCOPE_SE
	s_clause 0x7
	scratch_load_b128 v[2:5], off, off offset:256
	scratch_load_b128 v[6:9], off, off offset:272
	;; [unrolled: 1-line block ×8, first 2 shown]
	v_mov_b32_e32 v1, 0
	s_mov_b32 s0, exec_lo
	ds_load_b128 v[34:37], v1 offset:912
	s_clause 0x1
	scratch_load_b128 v[38:41], off, off offset:384
	scratch_load_b128 v[42:45], off, off offset:240
	ds_load_b128 v[131:134], v1 offset:928
	scratch_load_b128 v[135:138], off, off offset:400
	s_wait_loadcnt_dscnt 0xa01
	v_mul_f64_e32 v[139:140], v[36:37], v[4:5]
	v_mul_f64_e32 v[4:5], v[34:35], v[4:5]
	s_delay_alu instid0(VALU_DEP_2) | instskip(NEXT) | instid1(VALU_DEP_2)
	v_fma_f64 v[145:146], v[34:35], v[2:3], -v[139:140]
	v_fma_f64 v[147:148], v[36:37], v[2:3], v[4:5]
	ds_load_b128 v[2:5], v1 offset:944
	s_wait_loadcnt_dscnt 0x901
	v_mul_f64_e32 v[143:144], v[131:132], v[8:9]
	v_mul_f64_e32 v[8:9], v[133:134], v[8:9]
	scratch_load_b128 v[34:37], off, off offset:416
	ds_load_b128 v[139:142], v1 offset:960
	s_wait_loadcnt_dscnt 0x901
	v_mul_f64_e32 v[149:150], v[2:3], v[12:13]
	v_mul_f64_e32 v[12:13], v[4:5], v[12:13]
	v_fma_f64 v[133:134], v[133:134], v[6:7], v[143:144]
	v_fma_f64 v[131:132], v[131:132], v[6:7], -v[8:9]
	v_add_f64_e32 v[143:144], 0, v[145:146]
	v_add_f64_e32 v[145:146], 0, v[147:148]
	scratch_load_b128 v[6:9], off, off offset:432
	v_fma_f64 v[149:150], v[4:5], v[10:11], v[149:150]
	v_fma_f64 v[151:152], v[2:3], v[10:11], -v[12:13]
	ds_load_b128 v[2:5], v1 offset:976
	s_wait_loadcnt_dscnt 0x901
	v_mul_f64_e32 v[147:148], v[139:140], v[16:17]
	v_mul_f64_e32 v[16:17], v[141:142], v[16:17]
	scratch_load_b128 v[10:13], off, off offset:448
	v_add_f64_e32 v[143:144], v[143:144], v[131:132]
	v_add_f64_e32 v[145:146], v[145:146], v[133:134]
	s_wait_loadcnt_dscnt 0x900
	v_mul_f64_e32 v[153:154], v[2:3], v[20:21]
	v_mul_f64_e32 v[20:21], v[4:5], v[20:21]
	ds_load_b128 v[131:134], v1 offset:992
	v_fma_f64 v[141:142], v[141:142], v[14:15], v[147:148]
	v_fma_f64 v[139:140], v[139:140], v[14:15], -v[16:17]
	scratch_load_b128 v[14:17], off, off offset:464
	v_add_f64_e32 v[143:144], v[143:144], v[151:152]
	v_add_f64_e32 v[145:146], v[145:146], v[149:150]
	v_fma_f64 v[149:150], v[4:5], v[18:19], v[153:154]
	v_fma_f64 v[151:152], v[2:3], v[18:19], -v[20:21]
	ds_load_b128 v[2:5], v1 offset:1008
	s_wait_loadcnt_dscnt 0x901
	v_mul_f64_e32 v[147:148], v[131:132], v[24:25]
	v_mul_f64_e32 v[24:25], v[133:134], v[24:25]
	scratch_load_b128 v[18:21], off, off offset:480
	s_wait_loadcnt_dscnt 0x900
	v_mul_f64_e32 v[153:154], v[2:3], v[28:29]
	v_mul_f64_e32 v[28:29], v[4:5], v[28:29]
	v_add_f64_e32 v[143:144], v[143:144], v[139:140]
	v_add_f64_e32 v[145:146], v[145:146], v[141:142]
	ds_load_b128 v[139:142], v1 offset:1024
	v_fma_f64 v[133:134], v[133:134], v[22:23], v[147:148]
	v_fma_f64 v[131:132], v[131:132], v[22:23], -v[24:25]
	scratch_load_b128 v[22:25], off, off offset:496
	v_add_f64_e32 v[143:144], v[143:144], v[151:152]
	v_add_f64_e32 v[145:146], v[145:146], v[149:150]
	v_fma_f64 v[149:150], v[4:5], v[26:27], v[153:154]
	v_fma_f64 v[151:152], v[2:3], v[26:27], -v[28:29]
	ds_load_b128 v[2:5], v1 offset:1040
	s_wait_loadcnt_dscnt 0x901
	v_mul_f64_e32 v[147:148], v[139:140], v[32:33]
	v_mul_f64_e32 v[32:33], v[141:142], v[32:33]
	scratch_load_b128 v[26:29], off, off offset:512
	s_wait_loadcnt_dscnt 0x900
	v_mul_f64_e32 v[153:154], v[2:3], v[40:41]
	v_mul_f64_e32 v[40:41], v[4:5], v[40:41]
	v_add_f64_e32 v[143:144], v[143:144], v[131:132]
	v_add_f64_e32 v[145:146], v[145:146], v[133:134]
	ds_load_b128 v[131:134], v1 offset:1056
	v_fma_f64 v[141:142], v[141:142], v[30:31], v[147:148]
	v_fma_f64 v[139:140], v[139:140], v[30:31], -v[32:33]
	scratch_load_b128 v[30:33], off, off offset:528
	v_add_f64_e32 v[143:144], v[143:144], v[151:152]
	v_add_f64_e32 v[145:146], v[145:146], v[149:150]
	v_fma_f64 v[151:152], v[4:5], v[38:39], v[153:154]
	v_fma_f64 v[153:154], v[2:3], v[38:39], -v[40:41]
	ds_load_b128 v[2:5], v1 offset:1072
	s_wait_loadcnt_dscnt 0x801
	v_mul_f64_e32 v[147:148], v[131:132], v[137:138]
	v_mul_f64_e32 v[149:150], v[133:134], v[137:138]
	scratch_load_b128 v[38:41], off, off offset:544
	v_add_f64_e32 v[143:144], v[143:144], v[139:140]
	v_add_f64_e32 v[141:142], v[145:146], v[141:142]
	ds_load_b128 v[137:140], v1 offset:1088
	v_fma_f64 v[147:148], v[133:134], v[135:136], v[147:148]
	v_fma_f64 v[135:136], v[131:132], v[135:136], -v[149:150]
	scratch_load_b128 v[131:134], off, off offset:560
	s_wait_loadcnt_dscnt 0x901
	v_mul_f64_e32 v[145:146], v[2:3], v[36:37]
	v_mul_f64_e32 v[36:37], v[4:5], v[36:37]
	v_add_f64_e32 v[143:144], v[143:144], v[153:154]
	v_add_f64_e32 v[141:142], v[141:142], v[151:152]
	s_delay_alu instid0(VALU_DEP_4) | instskip(NEXT) | instid1(VALU_DEP_4)
	v_fma_f64 v[145:146], v[4:5], v[34:35], v[145:146]
	v_fma_f64 v[151:152], v[2:3], v[34:35], -v[36:37]
	ds_load_b128 v[2:5], v1 offset:1104
	s_wait_loadcnt_dscnt 0x801
	v_mul_f64_e32 v[149:150], v[137:138], v[8:9]
	v_mul_f64_e32 v[8:9], v[139:140], v[8:9]
	scratch_load_b128 v[34:37], off, off offset:576
	s_wait_loadcnt_dscnt 0x800
	v_mul_f64_e32 v[153:154], v[2:3], v[12:13]
	v_add_f64_e32 v[135:136], v[143:144], v[135:136]
	v_add_f64_e32 v[147:148], v[141:142], v[147:148]
	v_mul_f64_e32 v[12:13], v[4:5], v[12:13]
	ds_load_b128 v[141:144], v1 offset:1120
	v_fma_f64 v[139:140], v[139:140], v[6:7], v[149:150]
	v_fma_f64 v[137:138], v[137:138], v[6:7], -v[8:9]
	scratch_load_b128 v[6:9], off, off offset:592
	v_fma_f64 v[149:150], v[4:5], v[10:11], v[153:154]
	v_add_f64_e32 v[135:136], v[135:136], v[151:152]
	v_add_f64_e32 v[145:146], v[147:148], v[145:146]
	v_fma_f64 v[151:152], v[2:3], v[10:11], -v[12:13]
	ds_load_b128 v[2:5], v1 offset:1136
	s_wait_loadcnt_dscnt 0x801
	v_mul_f64_e32 v[147:148], v[141:142], v[16:17]
	v_mul_f64_e32 v[16:17], v[143:144], v[16:17]
	scratch_load_b128 v[10:13], off, off offset:608
	v_add_f64_e32 v[153:154], v[135:136], v[137:138]
	v_add_f64_e32 v[139:140], v[145:146], v[139:140]
	s_wait_loadcnt_dscnt 0x800
	v_mul_f64_e32 v[145:146], v[2:3], v[20:21]
	v_mul_f64_e32 v[20:21], v[4:5], v[20:21]
	v_fma_f64 v[143:144], v[143:144], v[14:15], v[147:148]
	v_fma_f64 v[141:142], v[141:142], v[14:15], -v[16:17]
	ds_load_b128 v[135:138], v1 offset:1152
	scratch_load_b128 v[14:17], off, off offset:624
	v_add_f64_e32 v[147:148], v[153:154], v[151:152]
	v_add_f64_e32 v[139:140], v[139:140], v[149:150]
	v_fma_f64 v[145:146], v[4:5], v[18:19], v[145:146]
	v_fma_f64 v[151:152], v[2:3], v[18:19], -v[20:21]
	ds_load_b128 v[2:5], v1 offset:1168
	s_wait_loadcnt_dscnt 0x801
	v_mul_f64_e32 v[149:150], v[135:136], v[24:25]
	v_mul_f64_e32 v[24:25], v[137:138], v[24:25]
	scratch_load_b128 v[18:21], off, off offset:640
	s_wait_loadcnt_dscnt 0x800
	v_mul_f64_e32 v[153:154], v[2:3], v[28:29]
	v_mul_f64_e32 v[28:29], v[4:5], v[28:29]
	v_add_f64_e32 v[147:148], v[147:148], v[141:142]
	v_add_f64_e32 v[143:144], v[139:140], v[143:144]
	ds_load_b128 v[139:142], v1 offset:1184
	v_fma_f64 v[137:138], v[137:138], v[22:23], v[149:150]
	v_fma_f64 v[135:136], v[135:136], v[22:23], -v[24:25]
	scratch_load_b128 v[22:25], off, off offset:656
	v_fma_f64 v[149:150], v[4:5], v[26:27], v[153:154]
	v_add_f64_e32 v[147:148], v[147:148], v[151:152]
	v_add_f64_e32 v[143:144], v[143:144], v[145:146]
	v_fma_f64 v[151:152], v[2:3], v[26:27], -v[28:29]
	ds_load_b128 v[2:5], v1 offset:1200
	s_wait_loadcnt_dscnt 0x801
	v_mul_f64_e32 v[145:146], v[139:140], v[32:33]
	v_mul_f64_e32 v[32:33], v[141:142], v[32:33]
	scratch_load_b128 v[26:29], off, off offset:672
	s_wait_loadcnt_dscnt 0x800
	v_mul_f64_e32 v[153:154], v[2:3], v[40:41]
	v_mul_f64_e32 v[40:41], v[4:5], v[40:41]
	v_add_f64_e32 v[147:148], v[147:148], v[135:136]
	v_add_f64_e32 v[143:144], v[143:144], v[137:138]
	ds_load_b128 v[135:138], v1 offset:1216
	v_fma_f64 v[141:142], v[141:142], v[30:31], v[145:146]
	v_fma_f64 v[30:31], v[139:140], v[30:31], -v[32:33]
	v_fma_f64 v[145:146], v[4:5], v[38:39], v[153:154]
	v_fma_f64 v[38:39], v[2:3], v[38:39], -v[40:41]
	v_add_f64_e32 v[32:33], v[147:148], v[151:152]
	v_add_f64_e32 v[139:140], v[143:144], v[149:150]
	s_wait_loadcnt_dscnt 0x700
	v_mul_f64_e32 v[143:144], v[135:136], v[133:134]
	v_mul_f64_e32 v[133:134], v[137:138], v[133:134]
	s_delay_alu instid0(VALU_DEP_4) | instskip(NEXT) | instid1(VALU_DEP_4)
	v_add_f64_e32 v[40:41], v[32:33], v[30:31]
	v_add_f64_e32 v[139:140], v[139:140], v[141:142]
	ds_load_b128 v[2:5], v1 offset:1232
	ds_load_b128 v[30:33], v1 offset:1248
	v_fma_f64 v[137:138], v[137:138], v[131:132], v[143:144]
	v_fma_f64 v[131:132], v[135:136], v[131:132], -v[133:134]
	s_wait_loadcnt_dscnt 0x601
	v_mul_f64_e32 v[141:142], v[2:3], v[36:37]
	v_mul_f64_e32 v[36:37], v[4:5], v[36:37]
	s_wait_loadcnt_dscnt 0x500
	v_mul_f64_e32 v[133:134], v[30:31], v[8:9]
	v_mul_f64_e32 v[8:9], v[32:33], v[8:9]
	v_add_f64_e32 v[38:39], v[40:41], v[38:39]
	v_add_f64_e32 v[40:41], v[139:140], v[145:146]
	v_fma_f64 v[135:136], v[4:5], v[34:35], v[141:142]
	v_fma_f64 v[139:140], v[2:3], v[34:35], -v[36:37]
	ds_load_b128 v[2:5], v1 offset:1264
	ds_load_b128 v[34:37], v1 offset:1280
	v_fma_f64 v[32:33], v[32:33], v[6:7], v[133:134]
	v_fma_f64 v[6:7], v[30:31], v[6:7], -v[8:9]
	v_add_f64_e32 v[38:39], v[38:39], v[131:132]
	v_add_f64_e32 v[40:41], v[40:41], v[137:138]
	s_wait_loadcnt_dscnt 0x401
	v_mul_f64_e32 v[131:132], v[2:3], v[12:13]
	v_mul_f64_e32 v[12:13], v[4:5], v[12:13]
	s_delay_alu instid0(VALU_DEP_4) | instskip(NEXT) | instid1(VALU_DEP_4)
	v_add_f64_e32 v[8:9], v[38:39], v[139:140]
	v_add_f64_e32 v[30:31], v[40:41], v[135:136]
	s_wait_loadcnt_dscnt 0x300
	v_mul_f64_e32 v[38:39], v[34:35], v[16:17]
	v_mul_f64_e32 v[16:17], v[36:37], v[16:17]
	v_fma_f64 v[40:41], v[4:5], v[10:11], v[131:132]
	v_fma_f64 v[10:11], v[2:3], v[10:11], -v[12:13]
	v_add_f64_e32 v[12:13], v[8:9], v[6:7]
	v_add_f64_e32 v[30:31], v[30:31], v[32:33]
	ds_load_b128 v[2:5], v1 offset:1296
	ds_load_b128 v[6:9], v1 offset:1312
	v_fma_f64 v[36:37], v[36:37], v[14:15], v[38:39]
	v_fma_f64 v[14:15], v[34:35], v[14:15], -v[16:17]
	s_wait_loadcnt_dscnt 0x201
	v_mul_f64_e32 v[32:33], v[2:3], v[20:21]
	v_mul_f64_e32 v[20:21], v[4:5], v[20:21]
	s_wait_loadcnt_dscnt 0x100
	v_mul_f64_e32 v[16:17], v[6:7], v[24:25]
	v_mul_f64_e32 v[24:25], v[8:9], v[24:25]
	v_add_f64_e32 v[10:11], v[12:13], v[10:11]
	v_add_f64_e32 v[12:13], v[30:31], v[40:41]
	v_fma_f64 v[30:31], v[4:5], v[18:19], v[32:33]
	v_fma_f64 v[18:19], v[2:3], v[18:19], -v[20:21]
	ds_load_b128 v[2:5], v1 offset:1328
	v_fma_f64 v[8:9], v[8:9], v[22:23], v[16:17]
	v_fma_f64 v[6:7], v[6:7], v[22:23], -v[24:25]
	v_add_f64_e32 v[10:11], v[10:11], v[14:15]
	v_add_f64_e32 v[12:13], v[12:13], v[36:37]
	s_wait_loadcnt_dscnt 0x0
	v_mul_f64_e32 v[14:15], v[2:3], v[28:29]
	v_mul_f64_e32 v[20:21], v[4:5], v[28:29]
	s_delay_alu instid0(VALU_DEP_4) | instskip(NEXT) | instid1(VALU_DEP_4)
	v_add_f64_e32 v[10:11], v[10:11], v[18:19]
	v_add_f64_e32 v[12:13], v[12:13], v[30:31]
	s_delay_alu instid0(VALU_DEP_4) | instskip(NEXT) | instid1(VALU_DEP_4)
	v_fma_f64 v[4:5], v[4:5], v[26:27], v[14:15]
	v_fma_f64 v[2:3], v[2:3], v[26:27], -v[20:21]
	s_delay_alu instid0(VALU_DEP_4) | instskip(NEXT) | instid1(VALU_DEP_4)
	v_add_f64_e32 v[6:7], v[10:11], v[6:7]
	v_add_f64_e32 v[8:9], v[12:13], v[8:9]
	s_delay_alu instid0(VALU_DEP_2) | instskip(NEXT) | instid1(VALU_DEP_2)
	v_add_f64_e32 v[2:3], v[6:7], v[2:3]
	v_add_f64_e32 v[4:5], v[8:9], v[4:5]
	s_delay_alu instid0(VALU_DEP_2) | instskip(NEXT) | instid1(VALU_DEP_2)
	v_add_f64_e64 v[2:3], v[42:43], -v[2:3]
	v_add_f64_e64 v[4:5], v[44:45], -v[4:5]
	scratch_store_b128 off, v[2:5], off offset:240
	v_cmpx_lt_u32_e32 13, v0
	s_cbranch_execz .LBB41_239
; %bb.238:
	scratch_load_b128 v[5:8], off, s42
	v_dual_mov_b32 v2, v1 :: v_dual_mov_b32 v3, v1
	v_mov_b32_e32 v4, v1
	scratch_store_b128 off, v[1:4], off offset:224
	s_wait_loadcnt 0x0
	ds_store_b128 v130, v[5:8]
.LBB41_239:
	s_wait_alu 0xfffe
	s_or_b32 exec_lo, exec_lo, s0
	s_wait_storecnt_dscnt 0x0
	s_barrier_signal -1
	s_barrier_wait -1
	global_inv scope:SCOPE_SE
	s_clause 0x8
	scratch_load_b128 v[2:5], off, off offset:240
	scratch_load_b128 v[6:9], off, off offset:256
	;; [unrolled: 1-line block ×9, first 2 shown]
	ds_load_b128 v[38:41], v1 offset:896
	ds_load_b128 v[42:45], v1 offset:912
	s_clause 0x1
	scratch_load_b128 v[131:134], off, off offset:224
	scratch_load_b128 v[135:138], off, off offset:384
	s_mov_b32 s0, exec_lo
	s_wait_loadcnt_dscnt 0xa01
	v_mul_f64_e32 v[139:140], v[40:41], v[4:5]
	v_mul_f64_e32 v[4:5], v[38:39], v[4:5]
	s_wait_loadcnt_dscnt 0x900
	v_mul_f64_e32 v[143:144], v[42:43], v[8:9]
	v_mul_f64_e32 v[8:9], v[44:45], v[8:9]
	s_delay_alu instid0(VALU_DEP_4) | instskip(NEXT) | instid1(VALU_DEP_4)
	v_fma_f64 v[145:146], v[38:39], v[2:3], -v[139:140]
	v_fma_f64 v[147:148], v[40:41], v[2:3], v[4:5]
	ds_load_b128 v[2:5], v1 offset:928
	ds_load_b128 v[139:142], v1 offset:944
	scratch_load_b128 v[38:41], off, off offset:400
	v_fma_f64 v[44:45], v[44:45], v[6:7], v[143:144]
	v_fma_f64 v[42:43], v[42:43], v[6:7], -v[8:9]
	scratch_load_b128 v[6:9], off, off offset:416
	s_wait_loadcnt_dscnt 0xa01
	v_mul_f64_e32 v[149:150], v[2:3], v[12:13]
	v_mul_f64_e32 v[12:13], v[4:5], v[12:13]
	v_add_f64_e32 v[143:144], 0, v[145:146]
	v_add_f64_e32 v[145:146], 0, v[147:148]
	s_wait_loadcnt_dscnt 0x900
	v_mul_f64_e32 v[147:148], v[139:140], v[16:17]
	v_mul_f64_e32 v[16:17], v[141:142], v[16:17]
	v_fma_f64 v[149:150], v[4:5], v[10:11], v[149:150]
	v_fma_f64 v[151:152], v[2:3], v[10:11], -v[12:13]
	ds_load_b128 v[2:5], v1 offset:960
	scratch_load_b128 v[10:13], off, off offset:432
	v_add_f64_e32 v[143:144], v[143:144], v[42:43]
	v_add_f64_e32 v[145:146], v[145:146], v[44:45]
	ds_load_b128 v[42:45], v1 offset:976
	v_fma_f64 v[141:142], v[141:142], v[14:15], v[147:148]
	v_fma_f64 v[139:140], v[139:140], v[14:15], -v[16:17]
	scratch_load_b128 v[14:17], off, off offset:448
	s_wait_loadcnt_dscnt 0xa01
	v_mul_f64_e32 v[153:154], v[2:3], v[20:21]
	v_mul_f64_e32 v[20:21], v[4:5], v[20:21]
	s_wait_loadcnt_dscnt 0x900
	v_mul_f64_e32 v[147:148], v[42:43], v[24:25]
	v_mul_f64_e32 v[24:25], v[44:45], v[24:25]
	v_add_f64_e32 v[143:144], v[143:144], v[151:152]
	v_add_f64_e32 v[145:146], v[145:146], v[149:150]
	v_fma_f64 v[149:150], v[4:5], v[18:19], v[153:154]
	v_fma_f64 v[151:152], v[2:3], v[18:19], -v[20:21]
	ds_load_b128 v[2:5], v1 offset:992
	scratch_load_b128 v[18:21], off, off offset:464
	v_fma_f64 v[44:45], v[44:45], v[22:23], v[147:148]
	v_fma_f64 v[42:43], v[42:43], v[22:23], -v[24:25]
	scratch_load_b128 v[22:25], off, off offset:480
	v_add_f64_e32 v[143:144], v[143:144], v[139:140]
	v_add_f64_e32 v[145:146], v[145:146], v[141:142]
	ds_load_b128 v[139:142], v1 offset:1008
	s_wait_loadcnt_dscnt 0xa01
	v_mul_f64_e32 v[153:154], v[2:3], v[28:29]
	v_mul_f64_e32 v[28:29], v[4:5], v[28:29]
	s_wait_loadcnt_dscnt 0x900
	v_mul_f64_e32 v[147:148], v[139:140], v[32:33]
	v_mul_f64_e32 v[32:33], v[141:142], v[32:33]
	v_add_f64_e32 v[143:144], v[143:144], v[151:152]
	v_add_f64_e32 v[145:146], v[145:146], v[149:150]
	v_fma_f64 v[149:150], v[4:5], v[26:27], v[153:154]
	v_fma_f64 v[151:152], v[2:3], v[26:27], -v[28:29]
	ds_load_b128 v[2:5], v1 offset:1024
	scratch_load_b128 v[26:29], off, off offset:496
	v_fma_f64 v[141:142], v[141:142], v[30:31], v[147:148]
	v_fma_f64 v[139:140], v[139:140], v[30:31], -v[32:33]
	scratch_load_b128 v[30:33], off, off offset:512
	v_add_f64_e32 v[143:144], v[143:144], v[42:43]
	v_add_f64_e32 v[145:146], v[145:146], v[44:45]
	ds_load_b128 v[42:45], v1 offset:1040
	s_wait_loadcnt_dscnt 0xa01
	v_mul_f64_e32 v[153:154], v[2:3], v[36:37]
	v_mul_f64_e32 v[36:37], v[4:5], v[36:37]
	s_wait_loadcnt_dscnt 0x800
	v_mul_f64_e32 v[147:148], v[42:43], v[137:138]
	v_add_f64_e32 v[143:144], v[143:144], v[151:152]
	v_add_f64_e32 v[145:146], v[145:146], v[149:150]
	v_mul_f64_e32 v[149:150], v[44:45], v[137:138]
	v_fma_f64 v[151:152], v[4:5], v[34:35], v[153:154]
	v_fma_f64 v[153:154], v[2:3], v[34:35], -v[36:37]
	ds_load_b128 v[2:5], v1 offset:1056
	scratch_load_b128 v[34:37], off, off offset:528
	v_fma_f64 v[44:45], v[44:45], v[135:136], v[147:148]
	v_add_f64_e32 v[143:144], v[143:144], v[139:140]
	v_add_f64_e32 v[141:142], v[145:146], v[141:142]
	ds_load_b128 v[137:140], v1 offset:1072
	v_fma_f64 v[135:136], v[42:43], v[135:136], -v[149:150]
	s_wait_loadcnt_dscnt 0x801
	v_mul_f64_e32 v[145:146], v[2:3], v[40:41]
	v_mul_f64_e32 v[155:156], v[4:5], v[40:41]
	scratch_load_b128 v[40:43], off, off offset:544
	s_wait_loadcnt_dscnt 0x800
	v_mul_f64_e32 v[149:150], v[137:138], v[8:9]
	v_mul_f64_e32 v[8:9], v[139:140], v[8:9]
	v_add_f64_e32 v[143:144], v[143:144], v[153:154]
	v_add_f64_e32 v[141:142], v[141:142], v[151:152]
	v_fma_f64 v[151:152], v[4:5], v[38:39], v[145:146]
	v_fma_f64 v[38:39], v[2:3], v[38:39], -v[155:156]
	ds_load_b128 v[2:5], v1 offset:1088
	ds_load_b128 v[145:148], v1 offset:1104
	v_fma_f64 v[139:140], v[139:140], v[6:7], v[149:150]
	v_fma_f64 v[137:138], v[137:138], v[6:7], -v[8:9]
	scratch_load_b128 v[6:9], off, off offset:576
	v_add_f64_e32 v[135:136], v[143:144], v[135:136]
	v_add_f64_e32 v[44:45], v[141:142], v[44:45]
	scratch_load_b128 v[141:144], off, off offset:560
	s_wait_loadcnt_dscnt 0x901
	v_mul_f64_e32 v[153:154], v[2:3], v[12:13]
	v_mul_f64_e32 v[12:13], v[4:5], v[12:13]
	s_wait_loadcnt_dscnt 0x800
	v_mul_f64_e32 v[149:150], v[145:146], v[16:17]
	v_mul_f64_e32 v[16:17], v[147:148], v[16:17]
	v_add_f64_e32 v[38:39], v[135:136], v[38:39]
	v_add_f64_e32 v[44:45], v[44:45], v[151:152]
	v_fma_f64 v[151:152], v[4:5], v[10:11], v[153:154]
	v_fma_f64 v[153:154], v[2:3], v[10:11], -v[12:13]
	ds_load_b128 v[2:5], v1 offset:1120
	scratch_load_b128 v[10:13], off, off offset:592
	v_fma_f64 v[147:148], v[147:148], v[14:15], v[149:150]
	v_fma_f64 v[145:146], v[145:146], v[14:15], -v[16:17]
	scratch_load_b128 v[14:17], off, off offset:608
	v_add_f64_e32 v[38:39], v[38:39], v[137:138]
	v_add_f64_e32 v[44:45], v[44:45], v[139:140]
	ds_load_b128 v[135:138], v1 offset:1136
	s_wait_loadcnt_dscnt 0x901
	v_mul_f64_e32 v[139:140], v[2:3], v[20:21]
	v_mul_f64_e32 v[20:21], v[4:5], v[20:21]
	s_wait_loadcnt_dscnt 0x800
	v_mul_f64_e32 v[149:150], v[135:136], v[24:25]
	v_mul_f64_e32 v[24:25], v[137:138], v[24:25]
	v_add_f64_e32 v[38:39], v[38:39], v[153:154]
	v_add_f64_e32 v[44:45], v[44:45], v[151:152]
	v_fma_f64 v[139:140], v[4:5], v[18:19], v[139:140]
	v_fma_f64 v[151:152], v[2:3], v[18:19], -v[20:21]
	ds_load_b128 v[2:5], v1 offset:1152
	scratch_load_b128 v[18:21], off, off offset:624
	v_fma_f64 v[137:138], v[137:138], v[22:23], v[149:150]
	v_fma_f64 v[135:136], v[135:136], v[22:23], -v[24:25]
	scratch_load_b128 v[22:25], off, off offset:640
	v_add_f64_e32 v[38:39], v[38:39], v[145:146]
	v_add_f64_e32 v[44:45], v[44:45], v[147:148]
	ds_load_b128 v[145:148], v1 offset:1168
	s_wait_loadcnt_dscnt 0x901
	v_mul_f64_e32 v[153:154], v[2:3], v[28:29]
	v_mul_f64_e32 v[28:29], v[4:5], v[28:29]
	v_add_f64_e32 v[38:39], v[38:39], v[151:152]
	v_add_f64_e32 v[44:45], v[44:45], v[139:140]
	s_wait_loadcnt_dscnt 0x800
	v_mul_f64_e32 v[139:140], v[145:146], v[32:33]
	v_mul_f64_e32 v[32:33], v[147:148], v[32:33]
	v_fma_f64 v[149:150], v[4:5], v[26:27], v[153:154]
	v_fma_f64 v[151:152], v[2:3], v[26:27], -v[28:29]
	ds_load_b128 v[2:5], v1 offset:1184
	scratch_load_b128 v[26:29], off, off offset:656
	v_add_f64_e32 v[38:39], v[38:39], v[135:136]
	v_add_f64_e32 v[44:45], v[44:45], v[137:138]
	ds_load_b128 v[135:138], v1 offset:1200
	s_wait_loadcnt_dscnt 0x801
	v_mul_f64_e32 v[153:154], v[2:3], v[36:37]
	v_mul_f64_e32 v[36:37], v[4:5], v[36:37]
	v_fma_f64 v[139:140], v[147:148], v[30:31], v[139:140]
	v_fma_f64 v[145:146], v[145:146], v[30:31], -v[32:33]
	scratch_load_b128 v[30:33], off, off offset:672
	s_wait_loadcnt_dscnt 0x800
	v_mul_f64_e32 v[147:148], v[135:136], v[42:43]
	v_add_f64_e32 v[38:39], v[38:39], v[151:152]
	v_add_f64_e32 v[44:45], v[44:45], v[149:150]
	v_mul_f64_e32 v[42:43], v[137:138], v[42:43]
	v_fma_f64 v[149:150], v[4:5], v[34:35], v[153:154]
	v_fma_f64 v[151:152], v[2:3], v[34:35], -v[36:37]
	ds_load_b128 v[2:5], v1 offset:1216
	ds_load_b128 v[34:37], v1 offset:1232
	v_fma_f64 v[137:138], v[137:138], v[40:41], v[147:148]
	v_add_f64_e32 v[38:39], v[38:39], v[145:146]
	v_add_f64_e32 v[44:45], v[44:45], v[139:140]
	v_fma_f64 v[40:41], v[135:136], v[40:41], -v[42:43]
	s_wait_loadcnt_dscnt 0x601
	v_mul_f64_e32 v[139:140], v[2:3], v[143:144]
	v_mul_f64_e32 v[143:144], v[4:5], v[143:144]
	v_add_f64_e32 v[38:39], v[38:39], v[151:152]
	v_add_f64_e32 v[42:43], v[44:45], v[149:150]
	s_wait_dscnt 0x0
	v_mul_f64_e32 v[44:45], v[34:35], v[8:9]
	v_mul_f64_e32 v[8:9], v[36:37], v[8:9]
	v_fma_f64 v[135:136], v[4:5], v[141:142], v[139:140]
	v_fma_f64 v[139:140], v[2:3], v[141:142], -v[143:144]
	v_add_f64_e32 v[141:142], v[38:39], v[40:41]
	v_add_f64_e32 v[42:43], v[42:43], v[137:138]
	ds_load_b128 v[2:5], v1 offset:1248
	ds_load_b128 v[38:41], v1 offset:1264
	v_fma_f64 v[36:37], v[36:37], v[6:7], v[44:45]
	v_fma_f64 v[6:7], v[34:35], v[6:7], -v[8:9]
	s_wait_loadcnt_dscnt 0x501
	v_mul_f64_e32 v[137:138], v[2:3], v[12:13]
	v_mul_f64_e32 v[12:13], v[4:5], v[12:13]
	v_add_f64_e32 v[8:9], v[141:142], v[139:140]
	v_add_f64_e32 v[34:35], v[42:43], v[135:136]
	s_wait_loadcnt_dscnt 0x400
	v_mul_f64_e32 v[42:43], v[38:39], v[16:17]
	v_mul_f64_e32 v[16:17], v[40:41], v[16:17]
	v_fma_f64 v[44:45], v[4:5], v[10:11], v[137:138]
	v_fma_f64 v[10:11], v[2:3], v[10:11], -v[12:13]
	v_add_f64_e32 v[12:13], v[8:9], v[6:7]
	v_add_f64_e32 v[34:35], v[34:35], v[36:37]
	ds_load_b128 v[2:5], v1 offset:1280
	ds_load_b128 v[6:9], v1 offset:1296
	v_fma_f64 v[40:41], v[40:41], v[14:15], v[42:43]
	v_fma_f64 v[14:15], v[38:39], v[14:15], -v[16:17]
	s_wait_loadcnt_dscnt 0x301
	v_mul_f64_e32 v[36:37], v[2:3], v[20:21]
	v_mul_f64_e32 v[20:21], v[4:5], v[20:21]
	s_wait_loadcnt_dscnt 0x200
	v_mul_f64_e32 v[16:17], v[6:7], v[24:25]
	v_mul_f64_e32 v[24:25], v[8:9], v[24:25]
	v_add_f64_e32 v[10:11], v[12:13], v[10:11]
	v_add_f64_e32 v[12:13], v[34:35], v[44:45]
	v_fma_f64 v[34:35], v[4:5], v[18:19], v[36:37]
	v_fma_f64 v[18:19], v[2:3], v[18:19], -v[20:21]
	v_fma_f64 v[8:9], v[8:9], v[22:23], v[16:17]
	v_fma_f64 v[6:7], v[6:7], v[22:23], -v[24:25]
	v_add_f64_e32 v[14:15], v[10:11], v[14:15]
	v_add_f64_e32 v[20:21], v[12:13], v[40:41]
	ds_load_b128 v[2:5], v1 offset:1312
	ds_load_b128 v[10:13], v1 offset:1328
	s_wait_loadcnt_dscnt 0x101
	v_mul_f64_e32 v[36:37], v[2:3], v[28:29]
	v_mul_f64_e32 v[28:29], v[4:5], v[28:29]
	v_add_f64_e32 v[14:15], v[14:15], v[18:19]
	v_add_f64_e32 v[16:17], v[20:21], v[34:35]
	s_wait_loadcnt_dscnt 0x0
	v_mul_f64_e32 v[18:19], v[10:11], v[32:33]
	v_mul_f64_e32 v[20:21], v[12:13], v[32:33]
	v_fma_f64 v[4:5], v[4:5], v[26:27], v[36:37]
	v_fma_f64 v[1:2], v[2:3], v[26:27], -v[28:29]
	v_add_f64_e32 v[6:7], v[14:15], v[6:7]
	v_add_f64_e32 v[8:9], v[16:17], v[8:9]
	v_fma_f64 v[12:13], v[12:13], v[30:31], v[18:19]
	v_fma_f64 v[10:11], v[10:11], v[30:31], -v[20:21]
	s_delay_alu instid0(VALU_DEP_4) | instskip(NEXT) | instid1(VALU_DEP_4)
	v_add_f64_e32 v[1:2], v[6:7], v[1:2]
	v_add_f64_e32 v[3:4], v[8:9], v[4:5]
	s_delay_alu instid0(VALU_DEP_2) | instskip(NEXT) | instid1(VALU_DEP_2)
	v_add_f64_e32 v[1:2], v[1:2], v[10:11]
	v_add_f64_e32 v[3:4], v[3:4], v[12:13]
	s_delay_alu instid0(VALU_DEP_2) | instskip(NEXT) | instid1(VALU_DEP_2)
	v_add_f64_e64 v[1:2], v[131:132], -v[1:2]
	v_add_f64_e64 v[3:4], v[133:134], -v[3:4]
	scratch_store_b128 off, v[1:4], off offset:224
	v_cmpx_lt_u32_e32 12, v0
	s_cbranch_execz .LBB41_241
; %bb.240:
	scratch_load_b128 v[1:4], off, s43
	v_mov_b32_e32 v5, 0
	s_delay_alu instid0(VALU_DEP_1)
	v_dual_mov_b32 v6, v5 :: v_dual_mov_b32 v7, v5
	v_mov_b32_e32 v8, v5
	scratch_store_b128 off, v[5:8], off offset:208
	s_wait_loadcnt 0x0
	ds_store_b128 v130, v[1:4]
.LBB41_241:
	s_wait_alu 0xfffe
	s_or_b32 exec_lo, exec_lo, s0
	s_wait_storecnt_dscnt 0x0
	s_barrier_signal -1
	s_barrier_wait -1
	global_inv scope:SCOPE_SE
	s_clause 0x7
	scratch_load_b128 v[2:5], off, off offset:224
	scratch_load_b128 v[6:9], off, off offset:240
	;; [unrolled: 1-line block ×8, first 2 shown]
	v_mov_b32_e32 v1, 0
	s_mov_b32 s0, exec_lo
	ds_load_b128 v[34:37], v1 offset:880
	s_clause 0x1
	scratch_load_b128 v[38:41], off, off offset:352
	scratch_load_b128 v[42:45], off, off offset:208
	ds_load_b128 v[131:134], v1 offset:896
	scratch_load_b128 v[135:138], off, off offset:368
	s_wait_loadcnt_dscnt 0xa01
	v_mul_f64_e32 v[139:140], v[36:37], v[4:5]
	v_mul_f64_e32 v[4:5], v[34:35], v[4:5]
	s_delay_alu instid0(VALU_DEP_2) | instskip(NEXT) | instid1(VALU_DEP_2)
	v_fma_f64 v[145:146], v[34:35], v[2:3], -v[139:140]
	v_fma_f64 v[147:148], v[36:37], v[2:3], v[4:5]
	ds_load_b128 v[2:5], v1 offset:912
	s_wait_loadcnt_dscnt 0x901
	v_mul_f64_e32 v[143:144], v[131:132], v[8:9]
	v_mul_f64_e32 v[8:9], v[133:134], v[8:9]
	scratch_load_b128 v[34:37], off, off offset:384
	ds_load_b128 v[139:142], v1 offset:928
	s_wait_loadcnt_dscnt 0x901
	v_mul_f64_e32 v[149:150], v[2:3], v[12:13]
	v_mul_f64_e32 v[12:13], v[4:5], v[12:13]
	v_fma_f64 v[133:134], v[133:134], v[6:7], v[143:144]
	v_fma_f64 v[131:132], v[131:132], v[6:7], -v[8:9]
	v_add_f64_e32 v[143:144], 0, v[145:146]
	v_add_f64_e32 v[145:146], 0, v[147:148]
	scratch_load_b128 v[6:9], off, off offset:400
	v_fma_f64 v[149:150], v[4:5], v[10:11], v[149:150]
	v_fma_f64 v[151:152], v[2:3], v[10:11], -v[12:13]
	ds_load_b128 v[2:5], v1 offset:944
	s_wait_loadcnt_dscnt 0x901
	v_mul_f64_e32 v[147:148], v[139:140], v[16:17]
	v_mul_f64_e32 v[16:17], v[141:142], v[16:17]
	scratch_load_b128 v[10:13], off, off offset:416
	v_add_f64_e32 v[143:144], v[143:144], v[131:132]
	v_add_f64_e32 v[145:146], v[145:146], v[133:134]
	s_wait_loadcnt_dscnt 0x900
	v_mul_f64_e32 v[153:154], v[2:3], v[20:21]
	v_mul_f64_e32 v[20:21], v[4:5], v[20:21]
	ds_load_b128 v[131:134], v1 offset:960
	v_fma_f64 v[141:142], v[141:142], v[14:15], v[147:148]
	v_fma_f64 v[139:140], v[139:140], v[14:15], -v[16:17]
	scratch_load_b128 v[14:17], off, off offset:432
	v_add_f64_e32 v[143:144], v[143:144], v[151:152]
	v_add_f64_e32 v[145:146], v[145:146], v[149:150]
	v_fma_f64 v[149:150], v[4:5], v[18:19], v[153:154]
	v_fma_f64 v[151:152], v[2:3], v[18:19], -v[20:21]
	ds_load_b128 v[2:5], v1 offset:976
	s_wait_loadcnt_dscnt 0x901
	v_mul_f64_e32 v[147:148], v[131:132], v[24:25]
	v_mul_f64_e32 v[24:25], v[133:134], v[24:25]
	scratch_load_b128 v[18:21], off, off offset:448
	s_wait_loadcnt_dscnt 0x900
	v_mul_f64_e32 v[153:154], v[2:3], v[28:29]
	v_mul_f64_e32 v[28:29], v[4:5], v[28:29]
	v_add_f64_e32 v[143:144], v[143:144], v[139:140]
	v_add_f64_e32 v[145:146], v[145:146], v[141:142]
	ds_load_b128 v[139:142], v1 offset:992
	v_fma_f64 v[133:134], v[133:134], v[22:23], v[147:148]
	v_fma_f64 v[131:132], v[131:132], v[22:23], -v[24:25]
	scratch_load_b128 v[22:25], off, off offset:464
	v_add_f64_e32 v[143:144], v[143:144], v[151:152]
	v_add_f64_e32 v[145:146], v[145:146], v[149:150]
	v_fma_f64 v[149:150], v[4:5], v[26:27], v[153:154]
	v_fma_f64 v[151:152], v[2:3], v[26:27], -v[28:29]
	ds_load_b128 v[2:5], v1 offset:1008
	s_wait_loadcnt_dscnt 0x901
	v_mul_f64_e32 v[147:148], v[139:140], v[32:33]
	v_mul_f64_e32 v[32:33], v[141:142], v[32:33]
	scratch_load_b128 v[26:29], off, off offset:480
	s_wait_loadcnt_dscnt 0x900
	v_mul_f64_e32 v[153:154], v[2:3], v[40:41]
	v_mul_f64_e32 v[40:41], v[4:5], v[40:41]
	v_add_f64_e32 v[143:144], v[143:144], v[131:132]
	v_add_f64_e32 v[145:146], v[145:146], v[133:134]
	ds_load_b128 v[131:134], v1 offset:1024
	v_fma_f64 v[141:142], v[141:142], v[30:31], v[147:148]
	v_fma_f64 v[139:140], v[139:140], v[30:31], -v[32:33]
	scratch_load_b128 v[30:33], off, off offset:496
	v_add_f64_e32 v[143:144], v[143:144], v[151:152]
	v_add_f64_e32 v[145:146], v[145:146], v[149:150]
	v_fma_f64 v[151:152], v[4:5], v[38:39], v[153:154]
	v_fma_f64 v[153:154], v[2:3], v[38:39], -v[40:41]
	ds_load_b128 v[2:5], v1 offset:1040
	s_wait_loadcnt_dscnt 0x801
	v_mul_f64_e32 v[147:148], v[131:132], v[137:138]
	v_mul_f64_e32 v[149:150], v[133:134], v[137:138]
	scratch_load_b128 v[38:41], off, off offset:512
	v_add_f64_e32 v[143:144], v[143:144], v[139:140]
	v_add_f64_e32 v[141:142], v[145:146], v[141:142]
	ds_load_b128 v[137:140], v1 offset:1056
	v_fma_f64 v[147:148], v[133:134], v[135:136], v[147:148]
	v_fma_f64 v[135:136], v[131:132], v[135:136], -v[149:150]
	scratch_load_b128 v[131:134], off, off offset:528
	s_wait_loadcnt_dscnt 0x901
	v_mul_f64_e32 v[145:146], v[2:3], v[36:37]
	v_mul_f64_e32 v[36:37], v[4:5], v[36:37]
	v_add_f64_e32 v[143:144], v[143:144], v[153:154]
	v_add_f64_e32 v[141:142], v[141:142], v[151:152]
	s_delay_alu instid0(VALU_DEP_4) | instskip(NEXT) | instid1(VALU_DEP_4)
	v_fma_f64 v[145:146], v[4:5], v[34:35], v[145:146]
	v_fma_f64 v[151:152], v[2:3], v[34:35], -v[36:37]
	ds_load_b128 v[2:5], v1 offset:1072
	s_wait_loadcnt_dscnt 0x801
	v_mul_f64_e32 v[149:150], v[137:138], v[8:9]
	v_mul_f64_e32 v[8:9], v[139:140], v[8:9]
	scratch_load_b128 v[34:37], off, off offset:544
	s_wait_loadcnt_dscnt 0x800
	v_mul_f64_e32 v[153:154], v[2:3], v[12:13]
	v_add_f64_e32 v[135:136], v[143:144], v[135:136]
	v_add_f64_e32 v[147:148], v[141:142], v[147:148]
	v_mul_f64_e32 v[12:13], v[4:5], v[12:13]
	ds_load_b128 v[141:144], v1 offset:1088
	v_fma_f64 v[139:140], v[139:140], v[6:7], v[149:150]
	v_fma_f64 v[137:138], v[137:138], v[6:7], -v[8:9]
	scratch_load_b128 v[6:9], off, off offset:560
	v_fma_f64 v[149:150], v[4:5], v[10:11], v[153:154]
	v_add_f64_e32 v[135:136], v[135:136], v[151:152]
	v_add_f64_e32 v[145:146], v[147:148], v[145:146]
	v_fma_f64 v[151:152], v[2:3], v[10:11], -v[12:13]
	ds_load_b128 v[2:5], v1 offset:1104
	s_wait_loadcnt_dscnt 0x801
	v_mul_f64_e32 v[147:148], v[141:142], v[16:17]
	v_mul_f64_e32 v[16:17], v[143:144], v[16:17]
	scratch_load_b128 v[10:13], off, off offset:576
	v_add_f64_e32 v[153:154], v[135:136], v[137:138]
	v_add_f64_e32 v[139:140], v[145:146], v[139:140]
	s_wait_loadcnt_dscnt 0x800
	v_mul_f64_e32 v[145:146], v[2:3], v[20:21]
	v_mul_f64_e32 v[20:21], v[4:5], v[20:21]
	v_fma_f64 v[143:144], v[143:144], v[14:15], v[147:148]
	v_fma_f64 v[141:142], v[141:142], v[14:15], -v[16:17]
	ds_load_b128 v[135:138], v1 offset:1120
	scratch_load_b128 v[14:17], off, off offset:592
	v_add_f64_e32 v[147:148], v[153:154], v[151:152]
	v_add_f64_e32 v[139:140], v[139:140], v[149:150]
	v_fma_f64 v[145:146], v[4:5], v[18:19], v[145:146]
	v_fma_f64 v[151:152], v[2:3], v[18:19], -v[20:21]
	ds_load_b128 v[2:5], v1 offset:1136
	s_wait_loadcnt_dscnt 0x801
	v_mul_f64_e32 v[149:150], v[135:136], v[24:25]
	v_mul_f64_e32 v[24:25], v[137:138], v[24:25]
	scratch_load_b128 v[18:21], off, off offset:608
	s_wait_loadcnt_dscnt 0x800
	v_mul_f64_e32 v[153:154], v[2:3], v[28:29]
	v_mul_f64_e32 v[28:29], v[4:5], v[28:29]
	v_add_f64_e32 v[147:148], v[147:148], v[141:142]
	v_add_f64_e32 v[143:144], v[139:140], v[143:144]
	ds_load_b128 v[139:142], v1 offset:1152
	v_fma_f64 v[137:138], v[137:138], v[22:23], v[149:150]
	v_fma_f64 v[135:136], v[135:136], v[22:23], -v[24:25]
	scratch_load_b128 v[22:25], off, off offset:624
	v_fma_f64 v[149:150], v[4:5], v[26:27], v[153:154]
	v_add_f64_e32 v[147:148], v[147:148], v[151:152]
	v_add_f64_e32 v[143:144], v[143:144], v[145:146]
	v_fma_f64 v[151:152], v[2:3], v[26:27], -v[28:29]
	ds_load_b128 v[2:5], v1 offset:1168
	s_wait_loadcnt_dscnt 0x801
	v_mul_f64_e32 v[145:146], v[139:140], v[32:33]
	v_mul_f64_e32 v[32:33], v[141:142], v[32:33]
	scratch_load_b128 v[26:29], off, off offset:640
	s_wait_loadcnt_dscnt 0x800
	v_mul_f64_e32 v[153:154], v[2:3], v[40:41]
	v_mul_f64_e32 v[40:41], v[4:5], v[40:41]
	v_add_f64_e32 v[147:148], v[147:148], v[135:136]
	v_add_f64_e32 v[143:144], v[143:144], v[137:138]
	ds_load_b128 v[135:138], v1 offset:1184
	v_fma_f64 v[141:142], v[141:142], v[30:31], v[145:146]
	v_fma_f64 v[139:140], v[139:140], v[30:31], -v[32:33]
	scratch_load_b128 v[30:33], off, off offset:656
	v_add_f64_e32 v[145:146], v[147:148], v[151:152]
	v_add_f64_e32 v[143:144], v[143:144], v[149:150]
	v_fma_f64 v[149:150], v[4:5], v[38:39], v[153:154]
	v_fma_f64 v[151:152], v[2:3], v[38:39], -v[40:41]
	ds_load_b128 v[2:5], v1 offset:1200
	s_wait_loadcnt_dscnt 0x801
	v_mul_f64_e32 v[147:148], v[135:136], v[133:134]
	v_mul_f64_e32 v[133:134], v[137:138], v[133:134]
	scratch_load_b128 v[38:41], off, off offset:672
	s_wait_loadcnt_dscnt 0x800
	v_mul_f64_e32 v[153:154], v[2:3], v[36:37]
	v_mul_f64_e32 v[36:37], v[4:5], v[36:37]
	v_add_f64_e32 v[145:146], v[145:146], v[139:140]
	v_add_f64_e32 v[143:144], v[143:144], v[141:142]
	ds_load_b128 v[139:142], v1 offset:1216
	v_fma_f64 v[137:138], v[137:138], v[131:132], v[147:148]
	v_fma_f64 v[131:132], v[135:136], v[131:132], -v[133:134]
	v_fma_f64 v[147:148], v[2:3], v[34:35], -v[36:37]
	v_add_f64_e32 v[133:134], v[145:146], v[151:152]
	v_add_f64_e32 v[135:136], v[143:144], v[149:150]
	s_wait_loadcnt_dscnt 0x700
	v_mul_f64_e32 v[143:144], v[139:140], v[8:9]
	v_mul_f64_e32 v[8:9], v[141:142], v[8:9]
	v_fma_f64 v[145:146], v[4:5], v[34:35], v[153:154]
	ds_load_b128 v[2:5], v1 offset:1232
	ds_load_b128 v[34:37], v1 offset:1248
	v_add_f64_e32 v[131:132], v[133:134], v[131:132]
	v_add_f64_e32 v[133:134], v[135:136], v[137:138]
	s_wait_loadcnt_dscnt 0x601
	v_mul_f64_e32 v[135:136], v[2:3], v[12:13]
	v_mul_f64_e32 v[12:13], v[4:5], v[12:13]
	v_fma_f64 v[137:138], v[141:142], v[6:7], v[143:144]
	v_fma_f64 v[6:7], v[139:140], v[6:7], -v[8:9]
	v_add_f64_e32 v[8:9], v[131:132], v[147:148]
	v_add_f64_e32 v[131:132], v[133:134], v[145:146]
	s_wait_loadcnt_dscnt 0x500
	v_mul_f64_e32 v[133:134], v[34:35], v[16:17]
	v_mul_f64_e32 v[16:17], v[36:37], v[16:17]
	v_fma_f64 v[135:136], v[4:5], v[10:11], v[135:136]
	v_fma_f64 v[10:11], v[2:3], v[10:11], -v[12:13]
	v_add_f64_e32 v[12:13], v[8:9], v[6:7]
	v_add_f64_e32 v[131:132], v[131:132], v[137:138]
	ds_load_b128 v[2:5], v1 offset:1264
	ds_load_b128 v[6:9], v1 offset:1280
	v_fma_f64 v[36:37], v[36:37], v[14:15], v[133:134]
	v_fma_f64 v[14:15], v[34:35], v[14:15], -v[16:17]
	s_wait_loadcnt_dscnt 0x401
	v_mul_f64_e32 v[137:138], v[2:3], v[20:21]
	v_mul_f64_e32 v[20:21], v[4:5], v[20:21]
	s_wait_loadcnt_dscnt 0x300
	v_mul_f64_e32 v[16:17], v[6:7], v[24:25]
	v_mul_f64_e32 v[24:25], v[8:9], v[24:25]
	v_add_f64_e32 v[10:11], v[12:13], v[10:11]
	v_add_f64_e32 v[12:13], v[131:132], v[135:136]
	v_fma_f64 v[34:35], v[4:5], v[18:19], v[137:138]
	v_fma_f64 v[18:19], v[2:3], v[18:19], -v[20:21]
	v_fma_f64 v[8:9], v[8:9], v[22:23], v[16:17]
	v_fma_f64 v[6:7], v[6:7], v[22:23], -v[24:25]
	v_add_f64_e32 v[14:15], v[10:11], v[14:15]
	v_add_f64_e32 v[20:21], v[12:13], v[36:37]
	ds_load_b128 v[2:5], v1 offset:1296
	ds_load_b128 v[10:13], v1 offset:1312
	s_wait_loadcnt_dscnt 0x201
	v_mul_f64_e32 v[36:37], v[2:3], v[28:29]
	v_mul_f64_e32 v[28:29], v[4:5], v[28:29]
	v_add_f64_e32 v[14:15], v[14:15], v[18:19]
	v_add_f64_e32 v[16:17], v[20:21], v[34:35]
	s_wait_loadcnt_dscnt 0x100
	v_mul_f64_e32 v[18:19], v[10:11], v[32:33]
	v_mul_f64_e32 v[20:21], v[12:13], v[32:33]
	v_fma_f64 v[22:23], v[4:5], v[26:27], v[36:37]
	v_fma_f64 v[24:25], v[2:3], v[26:27], -v[28:29]
	ds_load_b128 v[2:5], v1 offset:1328
	v_add_f64_e32 v[6:7], v[14:15], v[6:7]
	v_add_f64_e32 v[8:9], v[16:17], v[8:9]
	v_fma_f64 v[12:13], v[12:13], v[30:31], v[18:19]
	v_fma_f64 v[10:11], v[10:11], v[30:31], -v[20:21]
	s_wait_loadcnt_dscnt 0x0
	v_mul_f64_e32 v[14:15], v[2:3], v[40:41]
	v_mul_f64_e32 v[16:17], v[4:5], v[40:41]
	v_add_f64_e32 v[6:7], v[6:7], v[24:25]
	v_add_f64_e32 v[8:9], v[8:9], v[22:23]
	s_delay_alu instid0(VALU_DEP_4) | instskip(NEXT) | instid1(VALU_DEP_4)
	v_fma_f64 v[4:5], v[4:5], v[38:39], v[14:15]
	v_fma_f64 v[2:3], v[2:3], v[38:39], -v[16:17]
	s_delay_alu instid0(VALU_DEP_4) | instskip(NEXT) | instid1(VALU_DEP_4)
	v_add_f64_e32 v[6:7], v[6:7], v[10:11]
	v_add_f64_e32 v[8:9], v[8:9], v[12:13]
	s_delay_alu instid0(VALU_DEP_2) | instskip(NEXT) | instid1(VALU_DEP_2)
	v_add_f64_e32 v[2:3], v[6:7], v[2:3]
	v_add_f64_e32 v[4:5], v[8:9], v[4:5]
	s_delay_alu instid0(VALU_DEP_2) | instskip(NEXT) | instid1(VALU_DEP_2)
	v_add_f64_e64 v[2:3], v[42:43], -v[2:3]
	v_add_f64_e64 v[4:5], v[44:45], -v[4:5]
	scratch_store_b128 off, v[2:5], off offset:208
	v_cmpx_lt_u32_e32 11, v0
	s_cbranch_execz .LBB41_243
; %bb.242:
	scratch_load_b128 v[5:8], off, s44
	v_dual_mov_b32 v2, v1 :: v_dual_mov_b32 v3, v1
	v_mov_b32_e32 v4, v1
	scratch_store_b128 off, v[1:4], off offset:192
	s_wait_loadcnt 0x0
	ds_store_b128 v130, v[5:8]
.LBB41_243:
	s_wait_alu 0xfffe
	s_or_b32 exec_lo, exec_lo, s0
	s_wait_storecnt_dscnt 0x0
	s_barrier_signal -1
	s_barrier_wait -1
	global_inv scope:SCOPE_SE
	s_clause 0x8
	scratch_load_b128 v[2:5], off, off offset:208
	scratch_load_b128 v[6:9], off, off offset:224
	;; [unrolled: 1-line block ×9, first 2 shown]
	ds_load_b128 v[38:41], v1 offset:864
	ds_load_b128 v[42:45], v1 offset:880
	s_clause 0x1
	scratch_load_b128 v[131:134], off, off offset:192
	scratch_load_b128 v[135:138], off, off offset:352
	s_mov_b32 s0, exec_lo
	s_wait_loadcnt_dscnt 0xa01
	v_mul_f64_e32 v[139:140], v[40:41], v[4:5]
	v_mul_f64_e32 v[4:5], v[38:39], v[4:5]
	s_wait_loadcnt_dscnt 0x900
	v_mul_f64_e32 v[143:144], v[42:43], v[8:9]
	v_mul_f64_e32 v[8:9], v[44:45], v[8:9]
	s_delay_alu instid0(VALU_DEP_4) | instskip(NEXT) | instid1(VALU_DEP_4)
	v_fma_f64 v[145:146], v[38:39], v[2:3], -v[139:140]
	v_fma_f64 v[147:148], v[40:41], v[2:3], v[4:5]
	ds_load_b128 v[2:5], v1 offset:896
	ds_load_b128 v[139:142], v1 offset:912
	scratch_load_b128 v[38:41], off, off offset:368
	v_fma_f64 v[44:45], v[44:45], v[6:7], v[143:144]
	v_fma_f64 v[42:43], v[42:43], v[6:7], -v[8:9]
	scratch_load_b128 v[6:9], off, off offset:384
	s_wait_loadcnt_dscnt 0xa01
	v_mul_f64_e32 v[149:150], v[2:3], v[12:13]
	v_mul_f64_e32 v[12:13], v[4:5], v[12:13]
	v_add_f64_e32 v[143:144], 0, v[145:146]
	v_add_f64_e32 v[145:146], 0, v[147:148]
	s_wait_loadcnt_dscnt 0x900
	v_mul_f64_e32 v[147:148], v[139:140], v[16:17]
	v_mul_f64_e32 v[16:17], v[141:142], v[16:17]
	v_fma_f64 v[149:150], v[4:5], v[10:11], v[149:150]
	v_fma_f64 v[151:152], v[2:3], v[10:11], -v[12:13]
	ds_load_b128 v[2:5], v1 offset:928
	scratch_load_b128 v[10:13], off, off offset:400
	v_add_f64_e32 v[143:144], v[143:144], v[42:43]
	v_add_f64_e32 v[145:146], v[145:146], v[44:45]
	ds_load_b128 v[42:45], v1 offset:944
	v_fma_f64 v[141:142], v[141:142], v[14:15], v[147:148]
	v_fma_f64 v[139:140], v[139:140], v[14:15], -v[16:17]
	scratch_load_b128 v[14:17], off, off offset:416
	s_wait_loadcnt_dscnt 0xa01
	v_mul_f64_e32 v[153:154], v[2:3], v[20:21]
	v_mul_f64_e32 v[20:21], v[4:5], v[20:21]
	s_wait_loadcnt_dscnt 0x900
	v_mul_f64_e32 v[147:148], v[42:43], v[24:25]
	v_mul_f64_e32 v[24:25], v[44:45], v[24:25]
	v_add_f64_e32 v[143:144], v[143:144], v[151:152]
	v_add_f64_e32 v[145:146], v[145:146], v[149:150]
	v_fma_f64 v[149:150], v[4:5], v[18:19], v[153:154]
	v_fma_f64 v[151:152], v[2:3], v[18:19], -v[20:21]
	ds_load_b128 v[2:5], v1 offset:960
	scratch_load_b128 v[18:21], off, off offset:432
	v_fma_f64 v[44:45], v[44:45], v[22:23], v[147:148]
	v_fma_f64 v[42:43], v[42:43], v[22:23], -v[24:25]
	scratch_load_b128 v[22:25], off, off offset:448
	v_add_f64_e32 v[143:144], v[143:144], v[139:140]
	v_add_f64_e32 v[145:146], v[145:146], v[141:142]
	ds_load_b128 v[139:142], v1 offset:976
	s_wait_loadcnt_dscnt 0xa01
	v_mul_f64_e32 v[153:154], v[2:3], v[28:29]
	v_mul_f64_e32 v[28:29], v[4:5], v[28:29]
	s_wait_loadcnt_dscnt 0x900
	v_mul_f64_e32 v[147:148], v[139:140], v[32:33]
	v_mul_f64_e32 v[32:33], v[141:142], v[32:33]
	v_add_f64_e32 v[143:144], v[143:144], v[151:152]
	v_add_f64_e32 v[145:146], v[145:146], v[149:150]
	v_fma_f64 v[149:150], v[4:5], v[26:27], v[153:154]
	v_fma_f64 v[151:152], v[2:3], v[26:27], -v[28:29]
	ds_load_b128 v[2:5], v1 offset:992
	scratch_load_b128 v[26:29], off, off offset:464
	v_fma_f64 v[141:142], v[141:142], v[30:31], v[147:148]
	v_fma_f64 v[139:140], v[139:140], v[30:31], -v[32:33]
	scratch_load_b128 v[30:33], off, off offset:480
	v_add_f64_e32 v[143:144], v[143:144], v[42:43]
	v_add_f64_e32 v[145:146], v[145:146], v[44:45]
	ds_load_b128 v[42:45], v1 offset:1008
	s_wait_loadcnt_dscnt 0xa01
	v_mul_f64_e32 v[153:154], v[2:3], v[36:37]
	v_mul_f64_e32 v[36:37], v[4:5], v[36:37]
	s_wait_loadcnt_dscnt 0x800
	v_mul_f64_e32 v[147:148], v[42:43], v[137:138]
	v_add_f64_e32 v[143:144], v[143:144], v[151:152]
	v_add_f64_e32 v[145:146], v[145:146], v[149:150]
	v_mul_f64_e32 v[149:150], v[44:45], v[137:138]
	v_fma_f64 v[151:152], v[4:5], v[34:35], v[153:154]
	v_fma_f64 v[153:154], v[2:3], v[34:35], -v[36:37]
	ds_load_b128 v[2:5], v1 offset:1024
	scratch_load_b128 v[34:37], off, off offset:496
	v_fma_f64 v[44:45], v[44:45], v[135:136], v[147:148]
	v_add_f64_e32 v[143:144], v[143:144], v[139:140]
	v_add_f64_e32 v[141:142], v[145:146], v[141:142]
	ds_load_b128 v[137:140], v1 offset:1040
	v_fma_f64 v[135:136], v[42:43], v[135:136], -v[149:150]
	s_wait_loadcnt_dscnt 0x801
	v_mul_f64_e32 v[145:146], v[2:3], v[40:41]
	v_mul_f64_e32 v[155:156], v[4:5], v[40:41]
	scratch_load_b128 v[40:43], off, off offset:512
	s_wait_loadcnt_dscnt 0x800
	v_mul_f64_e32 v[149:150], v[137:138], v[8:9]
	v_mul_f64_e32 v[8:9], v[139:140], v[8:9]
	v_add_f64_e32 v[143:144], v[143:144], v[153:154]
	v_add_f64_e32 v[141:142], v[141:142], v[151:152]
	v_fma_f64 v[151:152], v[4:5], v[38:39], v[145:146]
	v_fma_f64 v[38:39], v[2:3], v[38:39], -v[155:156]
	ds_load_b128 v[2:5], v1 offset:1056
	ds_load_b128 v[145:148], v1 offset:1072
	v_fma_f64 v[139:140], v[139:140], v[6:7], v[149:150]
	v_fma_f64 v[137:138], v[137:138], v[6:7], -v[8:9]
	scratch_load_b128 v[6:9], off, off offset:544
	v_add_f64_e32 v[135:136], v[143:144], v[135:136]
	v_add_f64_e32 v[44:45], v[141:142], v[44:45]
	scratch_load_b128 v[141:144], off, off offset:528
	s_wait_loadcnt_dscnt 0x901
	v_mul_f64_e32 v[153:154], v[2:3], v[12:13]
	v_mul_f64_e32 v[12:13], v[4:5], v[12:13]
	s_wait_loadcnt_dscnt 0x800
	v_mul_f64_e32 v[149:150], v[145:146], v[16:17]
	v_mul_f64_e32 v[16:17], v[147:148], v[16:17]
	v_add_f64_e32 v[38:39], v[135:136], v[38:39]
	v_add_f64_e32 v[44:45], v[44:45], v[151:152]
	v_fma_f64 v[151:152], v[4:5], v[10:11], v[153:154]
	v_fma_f64 v[153:154], v[2:3], v[10:11], -v[12:13]
	ds_load_b128 v[2:5], v1 offset:1088
	scratch_load_b128 v[10:13], off, off offset:560
	v_fma_f64 v[147:148], v[147:148], v[14:15], v[149:150]
	v_fma_f64 v[145:146], v[145:146], v[14:15], -v[16:17]
	scratch_load_b128 v[14:17], off, off offset:576
	v_add_f64_e32 v[38:39], v[38:39], v[137:138]
	v_add_f64_e32 v[44:45], v[44:45], v[139:140]
	ds_load_b128 v[135:138], v1 offset:1104
	s_wait_loadcnt_dscnt 0x901
	v_mul_f64_e32 v[139:140], v[2:3], v[20:21]
	v_mul_f64_e32 v[20:21], v[4:5], v[20:21]
	s_wait_loadcnt_dscnt 0x800
	v_mul_f64_e32 v[149:150], v[135:136], v[24:25]
	v_mul_f64_e32 v[24:25], v[137:138], v[24:25]
	v_add_f64_e32 v[38:39], v[38:39], v[153:154]
	v_add_f64_e32 v[44:45], v[44:45], v[151:152]
	v_fma_f64 v[139:140], v[4:5], v[18:19], v[139:140]
	v_fma_f64 v[151:152], v[2:3], v[18:19], -v[20:21]
	ds_load_b128 v[2:5], v1 offset:1120
	scratch_load_b128 v[18:21], off, off offset:592
	v_fma_f64 v[137:138], v[137:138], v[22:23], v[149:150]
	v_fma_f64 v[135:136], v[135:136], v[22:23], -v[24:25]
	scratch_load_b128 v[22:25], off, off offset:608
	v_add_f64_e32 v[38:39], v[38:39], v[145:146]
	v_add_f64_e32 v[44:45], v[44:45], v[147:148]
	ds_load_b128 v[145:148], v1 offset:1136
	s_wait_loadcnt_dscnt 0x901
	v_mul_f64_e32 v[153:154], v[2:3], v[28:29]
	v_mul_f64_e32 v[28:29], v[4:5], v[28:29]
	v_add_f64_e32 v[38:39], v[38:39], v[151:152]
	v_add_f64_e32 v[44:45], v[44:45], v[139:140]
	s_wait_loadcnt_dscnt 0x800
	v_mul_f64_e32 v[139:140], v[145:146], v[32:33]
	v_mul_f64_e32 v[32:33], v[147:148], v[32:33]
	v_fma_f64 v[149:150], v[4:5], v[26:27], v[153:154]
	v_fma_f64 v[151:152], v[2:3], v[26:27], -v[28:29]
	ds_load_b128 v[2:5], v1 offset:1152
	scratch_load_b128 v[26:29], off, off offset:624
	v_add_f64_e32 v[38:39], v[38:39], v[135:136]
	v_add_f64_e32 v[44:45], v[44:45], v[137:138]
	ds_load_b128 v[135:138], v1 offset:1168
	s_wait_loadcnt_dscnt 0x801
	v_mul_f64_e32 v[153:154], v[2:3], v[36:37]
	v_mul_f64_e32 v[36:37], v[4:5], v[36:37]
	v_fma_f64 v[139:140], v[147:148], v[30:31], v[139:140]
	v_fma_f64 v[145:146], v[145:146], v[30:31], -v[32:33]
	scratch_load_b128 v[30:33], off, off offset:640
	s_wait_loadcnt_dscnt 0x800
	v_mul_f64_e32 v[147:148], v[135:136], v[42:43]
	v_add_f64_e32 v[38:39], v[38:39], v[151:152]
	v_add_f64_e32 v[44:45], v[44:45], v[149:150]
	v_mul_f64_e32 v[149:150], v[137:138], v[42:43]
	v_fma_f64 v[151:152], v[4:5], v[34:35], v[153:154]
	v_fma_f64 v[153:154], v[2:3], v[34:35], -v[36:37]
	ds_load_b128 v[2:5], v1 offset:1184
	scratch_load_b128 v[34:37], off, off offset:656
	v_fma_f64 v[137:138], v[137:138], v[40:41], v[147:148]
	v_add_f64_e32 v[38:39], v[38:39], v[145:146]
	v_add_f64_e32 v[139:140], v[44:45], v[139:140]
	ds_load_b128 v[42:45], v1 offset:1200
	v_fma_f64 v[135:136], v[135:136], v[40:41], -v[149:150]
	s_wait_loadcnt_dscnt 0x701
	v_mul_f64_e32 v[145:146], v[2:3], v[143:144]
	v_mul_f64_e32 v[143:144], v[4:5], v[143:144]
	s_wait_dscnt 0x0
	v_mul_f64_e32 v[149:150], v[42:43], v[8:9]
	v_mul_f64_e32 v[8:9], v[44:45], v[8:9]
	v_add_f64_e32 v[147:148], v[38:39], v[153:154]
	v_add_f64_e32 v[139:140], v[139:140], v[151:152]
	scratch_load_b128 v[38:41], off, off offset:672
	v_fma_f64 v[145:146], v[4:5], v[141:142], v[145:146]
	v_fma_f64 v[141:142], v[2:3], v[141:142], -v[143:144]
	v_fma_f64 v[44:45], v[44:45], v[6:7], v[149:150]
	v_fma_f64 v[6:7], v[42:43], v[6:7], -v[8:9]
	v_add_f64_e32 v[143:144], v[147:148], v[135:136]
	v_add_f64_e32 v[139:140], v[139:140], v[137:138]
	ds_load_b128 v[2:5], v1 offset:1216
	ds_load_b128 v[135:138], v1 offset:1232
	s_wait_loadcnt_dscnt 0x701
	v_mul_f64_e32 v[147:148], v[2:3], v[12:13]
	v_mul_f64_e32 v[12:13], v[4:5], v[12:13]
	v_add_f64_e32 v[8:9], v[143:144], v[141:142]
	v_add_f64_e32 v[42:43], v[139:140], v[145:146]
	s_wait_loadcnt_dscnt 0x600
	v_mul_f64_e32 v[139:140], v[135:136], v[16:17]
	v_mul_f64_e32 v[16:17], v[137:138], v[16:17]
	v_fma_f64 v[141:142], v[4:5], v[10:11], v[147:148]
	v_fma_f64 v[10:11], v[2:3], v[10:11], -v[12:13]
	v_add_f64_e32 v[12:13], v[8:9], v[6:7]
	v_add_f64_e32 v[42:43], v[42:43], v[44:45]
	ds_load_b128 v[2:5], v1 offset:1248
	ds_load_b128 v[6:9], v1 offset:1264
	v_fma_f64 v[137:138], v[137:138], v[14:15], v[139:140]
	v_fma_f64 v[14:15], v[135:136], v[14:15], -v[16:17]
	s_wait_loadcnt_dscnt 0x501
	v_mul_f64_e32 v[44:45], v[2:3], v[20:21]
	v_mul_f64_e32 v[20:21], v[4:5], v[20:21]
	s_wait_loadcnt_dscnt 0x400
	v_mul_f64_e32 v[16:17], v[6:7], v[24:25]
	v_mul_f64_e32 v[24:25], v[8:9], v[24:25]
	v_add_f64_e32 v[10:11], v[12:13], v[10:11]
	v_add_f64_e32 v[12:13], v[42:43], v[141:142]
	v_fma_f64 v[42:43], v[4:5], v[18:19], v[44:45]
	v_fma_f64 v[18:19], v[2:3], v[18:19], -v[20:21]
	v_fma_f64 v[8:9], v[8:9], v[22:23], v[16:17]
	v_fma_f64 v[6:7], v[6:7], v[22:23], -v[24:25]
	v_add_f64_e32 v[14:15], v[10:11], v[14:15]
	v_add_f64_e32 v[20:21], v[12:13], v[137:138]
	ds_load_b128 v[2:5], v1 offset:1280
	ds_load_b128 v[10:13], v1 offset:1296
	s_wait_loadcnt_dscnt 0x301
	v_mul_f64_e32 v[44:45], v[2:3], v[28:29]
	v_mul_f64_e32 v[28:29], v[4:5], v[28:29]
	v_add_f64_e32 v[14:15], v[14:15], v[18:19]
	v_add_f64_e32 v[16:17], v[20:21], v[42:43]
	s_wait_loadcnt_dscnt 0x200
	v_mul_f64_e32 v[18:19], v[10:11], v[32:33]
	v_mul_f64_e32 v[20:21], v[12:13], v[32:33]
	v_fma_f64 v[22:23], v[4:5], v[26:27], v[44:45]
	v_fma_f64 v[24:25], v[2:3], v[26:27], -v[28:29]
	v_add_f64_e32 v[14:15], v[14:15], v[6:7]
	v_add_f64_e32 v[16:17], v[16:17], v[8:9]
	ds_load_b128 v[2:5], v1 offset:1312
	ds_load_b128 v[6:9], v1 offset:1328
	v_fma_f64 v[12:13], v[12:13], v[30:31], v[18:19]
	v_fma_f64 v[10:11], v[10:11], v[30:31], -v[20:21]
	s_wait_loadcnt_dscnt 0x101
	v_mul_f64_e32 v[26:27], v[2:3], v[36:37]
	v_mul_f64_e32 v[28:29], v[4:5], v[36:37]
	v_add_f64_e32 v[14:15], v[14:15], v[24:25]
	v_add_f64_e32 v[16:17], v[16:17], v[22:23]
	s_wait_loadcnt_dscnt 0x0
	v_mul_f64_e32 v[18:19], v[6:7], v[40:41]
	v_mul_f64_e32 v[20:21], v[8:9], v[40:41]
	v_fma_f64 v[4:5], v[4:5], v[34:35], v[26:27]
	v_fma_f64 v[1:2], v[2:3], v[34:35], -v[28:29]
	v_add_f64_e32 v[10:11], v[14:15], v[10:11]
	v_add_f64_e32 v[12:13], v[16:17], v[12:13]
	v_fma_f64 v[8:9], v[8:9], v[38:39], v[18:19]
	v_fma_f64 v[6:7], v[6:7], v[38:39], -v[20:21]
	s_delay_alu instid0(VALU_DEP_4) | instskip(NEXT) | instid1(VALU_DEP_4)
	v_add_f64_e32 v[1:2], v[10:11], v[1:2]
	v_add_f64_e32 v[3:4], v[12:13], v[4:5]
	s_delay_alu instid0(VALU_DEP_2) | instskip(NEXT) | instid1(VALU_DEP_2)
	v_add_f64_e32 v[1:2], v[1:2], v[6:7]
	v_add_f64_e32 v[3:4], v[3:4], v[8:9]
	s_delay_alu instid0(VALU_DEP_2) | instskip(NEXT) | instid1(VALU_DEP_2)
	v_add_f64_e64 v[1:2], v[131:132], -v[1:2]
	v_add_f64_e64 v[3:4], v[133:134], -v[3:4]
	scratch_store_b128 off, v[1:4], off offset:192
	v_cmpx_lt_u32_e32 10, v0
	s_cbranch_execz .LBB41_245
; %bb.244:
	scratch_load_b128 v[1:4], off, s45
	v_mov_b32_e32 v5, 0
	s_delay_alu instid0(VALU_DEP_1)
	v_dual_mov_b32 v6, v5 :: v_dual_mov_b32 v7, v5
	v_mov_b32_e32 v8, v5
	scratch_store_b128 off, v[5:8], off offset:176
	s_wait_loadcnt 0x0
	ds_store_b128 v130, v[1:4]
.LBB41_245:
	s_wait_alu 0xfffe
	s_or_b32 exec_lo, exec_lo, s0
	s_wait_storecnt_dscnt 0x0
	s_barrier_signal -1
	s_barrier_wait -1
	global_inv scope:SCOPE_SE
	s_clause 0x7
	scratch_load_b128 v[2:5], off, off offset:192
	scratch_load_b128 v[6:9], off, off offset:208
	;; [unrolled: 1-line block ×8, first 2 shown]
	v_mov_b32_e32 v1, 0
	s_mov_b32 s0, exec_lo
	ds_load_b128 v[34:37], v1 offset:848
	s_clause 0x1
	scratch_load_b128 v[38:41], off, off offset:320
	scratch_load_b128 v[42:45], off, off offset:176
	ds_load_b128 v[131:134], v1 offset:864
	scratch_load_b128 v[135:138], off, off offset:336
	s_wait_loadcnt_dscnt 0xa01
	v_mul_f64_e32 v[139:140], v[36:37], v[4:5]
	v_mul_f64_e32 v[4:5], v[34:35], v[4:5]
	s_delay_alu instid0(VALU_DEP_2) | instskip(NEXT) | instid1(VALU_DEP_2)
	v_fma_f64 v[145:146], v[34:35], v[2:3], -v[139:140]
	v_fma_f64 v[147:148], v[36:37], v[2:3], v[4:5]
	ds_load_b128 v[2:5], v1 offset:880
	s_wait_loadcnt_dscnt 0x901
	v_mul_f64_e32 v[143:144], v[131:132], v[8:9]
	v_mul_f64_e32 v[8:9], v[133:134], v[8:9]
	scratch_load_b128 v[34:37], off, off offset:352
	ds_load_b128 v[139:142], v1 offset:896
	s_wait_loadcnt_dscnt 0x901
	v_mul_f64_e32 v[149:150], v[2:3], v[12:13]
	v_mul_f64_e32 v[12:13], v[4:5], v[12:13]
	v_fma_f64 v[133:134], v[133:134], v[6:7], v[143:144]
	v_fma_f64 v[131:132], v[131:132], v[6:7], -v[8:9]
	v_add_f64_e32 v[143:144], 0, v[145:146]
	v_add_f64_e32 v[145:146], 0, v[147:148]
	scratch_load_b128 v[6:9], off, off offset:368
	v_fma_f64 v[149:150], v[4:5], v[10:11], v[149:150]
	v_fma_f64 v[151:152], v[2:3], v[10:11], -v[12:13]
	ds_load_b128 v[2:5], v1 offset:912
	s_wait_loadcnt_dscnt 0x901
	v_mul_f64_e32 v[147:148], v[139:140], v[16:17]
	v_mul_f64_e32 v[16:17], v[141:142], v[16:17]
	scratch_load_b128 v[10:13], off, off offset:384
	v_add_f64_e32 v[143:144], v[143:144], v[131:132]
	v_add_f64_e32 v[145:146], v[145:146], v[133:134]
	s_wait_loadcnt_dscnt 0x900
	v_mul_f64_e32 v[153:154], v[2:3], v[20:21]
	v_mul_f64_e32 v[20:21], v[4:5], v[20:21]
	ds_load_b128 v[131:134], v1 offset:928
	v_fma_f64 v[141:142], v[141:142], v[14:15], v[147:148]
	v_fma_f64 v[139:140], v[139:140], v[14:15], -v[16:17]
	scratch_load_b128 v[14:17], off, off offset:400
	v_add_f64_e32 v[143:144], v[143:144], v[151:152]
	v_add_f64_e32 v[145:146], v[145:146], v[149:150]
	v_fma_f64 v[149:150], v[4:5], v[18:19], v[153:154]
	v_fma_f64 v[151:152], v[2:3], v[18:19], -v[20:21]
	ds_load_b128 v[2:5], v1 offset:944
	s_wait_loadcnt_dscnt 0x901
	v_mul_f64_e32 v[147:148], v[131:132], v[24:25]
	v_mul_f64_e32 v[24:25], v[133:134], v[24:25]
	scratch_load_b128 v[18:21], off, off offset:416
	s_wait_loadcnt_dscnt 0x900
	v_mul_f64_e32 v[153:154], v[2:3], v[28:29]
	v_mul_f64_e32 v[28:29], v[4:5], v[28:29]
	v_add_f64_e32 v[143:144], v[143:144], v[139:140]
	v_add_f64_e32 v[145:146], v[145:146], v[141:142]
	ds_load_b128 v[139:142], v1 offset:960
	v_fma_f64 v[133:134], v[133:134], v[22:23], v[147:148]
	v_fma_f64 v[131:132], v[131:132], v[22:23], -v[24:25]
	scratch_load_b128 v[22:25], off, off offset:432
	v_add_f64_e32 v[143:144], v[143:144], v[151:152]
	v_add_f64_e32 v[145:146], v[145:146], v[149:150]
	v_fma_f64 v[149:150], v[4:5], v[26:27], v[153:154]
	v_fma_f64 v[151:152], v[2:3], v[26:27], -v[28:29]
	ds_load_b128 v[2:5], v1 offset:976
	s_wait_loadcnt_dscnt 0x901
	v_mul_f64_e32 v[147:148], v[139:140], v[32:33]
	v_mul_f64_e32 v[32:33], v[141:142], v[32:33]
	scratch_load_b128 v[26:29], off, off offset:448
	s_wait_loadcnt_dscnt 0x900
	v_mul_f64_e32 v[153:154], v[2:3], v[40:41]
	v_mul_f64_e32 v[40:41], v[4:5], v[40:41]
	v_add_f64_e32 v[143:144], v[143:144], v[131:132]
	v_add_f64_e32 v[145:146], v[145:146], v[133:134]
	ds_load_b128 v[131:134], v1 offset:992
	v_fma_f64 v[141:142], v[141:142], v[30:31], v[147:148]
	v_fma_f64 v[139:140], v[139:140], v[30:31], -v[32:33]
	scratch_load_b128 v[30:33], off, off offset:464
	v_add_f64_e32 v[143:144], v[143:144], v[151:152]
	v_add_f64_e32 v[145:146], v[145:146], v[149:150]
	v_fma_f64 v[151:152], v[4:5], v[38:39], v[153:154]
	v_fma_f64 v[153:154], v[2:3], v[38:39], -v[40:41]
	ds_load_b128 v[2:5], v1 offset:1008
	s_wait_loadcnt_dscnt 0x801
	v_mul_f64_e32 v[147:148], v[131:132], v[137:138]
	v_mul_f64_e32 v[149:150], v[133:134], v[137:138]
	scratch_load_b128 v[38:41], off, off offset:480
	v_add_f64_e32 v[143:144], v[143:144], v[139:140]
	v_add_f64_e32 v[141:142], v[145:146], v[141:142]
	ds_load_b128 v[137:140], v1 offset:1024
	v_fma_f64 v[147:148], v[133:134], v[135:136], v[147:148]
	v_fma_f64 v[135:136], v[131:132], v[135:136], -v[149:150]
	scratch_load_b128 v[131:134], off, off offset:496
	s_wait_loadcnt_dscnt 0x901
	v_mul_f64_e32 v[145:146], v[2:3], v[36:37]
	v_mul_f64_e32 v[36:37], v[4:5], v[36:37]
	v_add_f64_e32 v[143:144], v[143:144], v[153:154]
	v_add_f64_e32 v[141:142], v[141:142], v[151:152]
	s_delay_alu instid0(VALU_DEP_4) | instskip(NEXT) | instid1(VALU_DEP_4)
	v_fma_f64 v[145:146], v[4:5], v[34:35], v[145:146]
	v_fma_f64 v[151:152], v[2:3], v[34:35], -v[36:37]
	ds_load_b128 v[2:5], v1 offset:1040
	s_wait_loadcnt_dscnt 0x801
	v_mul_f64_e32 v[149:150], v[137:138], v[8:9]
	v_mul_f64_e32 v[8:9], v[139:140], v[8:9]
	scratch_load_b128 v[34:37], off, off offset:512
	s_wait_loadcnt_dscnt 0x800
	v_mul_f64_e32 v[153:154], v[2:3], v[12:13]
	v_add_f64_e32 v[135:136], v[143:144], v[135:136]
	v_add_f64_e32 v[147:148], v[141:142], v[147:148]
	v_mul_f64_e32 v[12:13], v[4:5], v[12:13]
	ds_load_b128 v[141:144], v1 offset:1056
	v_fma_f64 v[139:140], v[139:140], v[6:7], v[149:150]
	v_fma_f64 v[137:138], v[137:138], v[6:7], -v[8:9]
	scratch_load_b128 v[6:9], off, off offset:528
	v_fma_f64 v[149:150], v[4:5], v[10:11], v[153:154]
	v_add_f64_e32 v[135:136], v[135:136], v[151:152]
	v_add_f64_e32 v[145:146], v[147:148], v[145:146]
	v_fma_f64 v[151:152], v[2:3], v[10:11], -v[12:13]
	ds_load_b128 v[2:5], v1 offset:1072
	s_wait_loadcnt_dscnt 0x801
	v_mul_f64_e32 v[147:148], v[141:142], v[16:17]
	v_mul_f64_e32 v[16:17], v[143:144], v[16:17]
	scratch_load_b128 v[10:13], off, off offset:544
	v_add_f64_e32 v[153:154], v[135:136], v[137:138]
	v_add_f64_e32 v[139:140], v[145:146], v[139:140]
	s_wait_loadcnt_dscnt 0x800
	v_mul_f64_e32 v[145:146], v[2:3], v[20:21]
	v_mul_f64_e32 v[20:21], v[4:5], v[20:21]
	v_fma_f64 v[143:144], v[143:144], v[14:15], v[147:148]
	v_fma_f64 v[141:142], v[141:142], v[14:15], -v[16:17]
	ds_load_b128 v[135:138], v1 offset:1088
	scratch_load_b128 v[14:17], off, off offset:560
	v_add_f64_e32 v[147:148], v[153:154], v[151:152]
	v_add_f64_e32 v[139:140], v[139:140], v[149:150]
	v_fma_f64 v[145:146], v[4:5], v[18:19], v[145:146]
	v_fma_f64 v[151:152], v[2:3], v[18:19], -v[20:21]
	ds_load_b128 v[2:5], v1 offset:1104
	s_wait_loadcnt_dscnt 0x801
	v_mul_f64_e32 v[149:150], v[135:136], v[24:25]
	v_mul_f64_e32 v[24:25], v[137:138], v[24:25]
	scratch_load_b128 v[18:21], off, off offset:576
	s_wait_loadcnt_dscnt 0x800
	v_mul_f64_e32 v[153:154], v[2:3], v[28:29]
	v_mul_f64_e32 v[28:29], v[4:5], v[28:29]
	v_add_f64_e32 v[147:148], v[147:148], v[141:142]
	v_add_f64_e32 v[143:144], v[139:140], v[143:144]
	ds_load_b128 v[139:142], v1 offset:1120
	v_fma_f64 v[137:138], v[137:138], v[22:23], v[149:150]
	v_fma_f64 v[135:136], v[135:136], v[22:23], -v[24:25]
	scratch_load_b128 v[22:25], off, off offset:592
	v_fma_f64 v[149:150], v[4:5], v[26:27], v[153:154]
	v_add_f64_e32 v[147:148], v[147:148], v[151:152]
	v_add_f64_e32 v[143:144], v[143:144], v[145:146]
	v_fma_f64 v[151:152], v[2:3], v[26:27], -v[28:29]
	ds_load_b128 v[2:5], v1 offset:1136
	s_wait_loadcnt_dscnt 0x801
	v_mul_f64_e32 v[145:146], v[139:140], v[32:33]
	v_mul_f64_e32 v[32:33], v[141:142], v[32:33]
	scratch_load_b128 v[26:29], off, off offset:608
	s_wait_loadcnt_dscnt 0x800
	v_mul_f64_e32 v[153:154], v[2:3], v[40:41]
	v_mul_f64_e32 v[40:41], v[4:5], v[40:41]
	v_add_f64_e32 v[147:148], v[147:148], v[135:136]
	v_add_f64_e32 v[143:144], v[143:144], v[137:138]
	ds_load_b128 v[135:138], v1 offset:1152
	v_fma_f64 v[141:142], v[141:142], v[30:31], v[145:146]
	v_fma_f64 v[139:140], v[139:140], v[30:31], -v[32:33]
	scratch_load_b128 v[30:33], off, off offset:624
	v_add_f64_e32 v[145:146], v[147:148], v[151:152]
	v_add_f64_e32 v[143:144], v[143:144], v[149:150]
	v_fma_f64 v[149:150], v[4:5], v[38:39], v[153:154]
	v_fma_f64 v[151:152], v[2:3], v[38:39], -v[40:41]
	ds_load_b128 v[2:5], v1 offset:1168
	s_wait_loadcnt_dscnt 0x801
	v_mul_f64_e32 v[147:148], v[135:136], v[133:134]
	v_mul_f64_e32 v[133:134], v[137:138], v[133:134]
	scratch_load_b128 v[38:41], off, off offset:640
	s_wait_loadcnt_dscnt 0x800
	v_mul_f64_e32 v[153:154], v[2:3], v[36:37]
	v_mul_f64_e32 v[36:37], v[4:5], v[36:37]
	v_add_f64_e32 v[145:146], v[145:146], v[139:140]
	v_add_f64_e32 v[143:144], v[143:144], v[141:142]
	ds_load_b128 v[139:142], v1 offset:1184
	v_fma_f64 v[137:138], v[137:138], v[131:132], v[147:148]
	v_fma_f64 v[135:136], v[135:136], v[131:132], -v[133:134]
	scratch_load_b128 v[131:134], off, off offset:656
	v_add_f64_e32 v[145:146], v[145:146], v[151:152]
	v_add_f64_e32 v[143:144], v[143:144], v[149:150]
	v_fma_f64 v[149:150], v[4:5], v[34:35], v[153:154]
	v_fma_f64 v[151:152], v[2:3], v[34:35], -v[36:37]
	ds_load_b128 v[2:5], v1 offset:1200
	s_wait_loadcnt_dscnt 0x801
	v_mul_f64_e32 v[147:148], v[139:140], v[8:9]
	v_mul_f64_e32 v[8:9], v[141:142], v[8:9]
	scratch_load_b128 v[34:37], off, off offset:672
	s_wait_loadcnt_dscnt 0x800
	v_mul_f64_e32 v[153:154], v[2:3], v[12:13]
	v_mul_f64_e32 v[12:13], v[4:5], v[12:13]
	v_add_f64_e32 v[145:146], v[145:146], v[135:136]
	v_add_f64_e32 v[143:144], v[143:144], v[137:138]
	ds_load_b128 v[135:138], v1 offset:1216
	v_fma_f64 v[141:142], v[141:142], v[6:7], v[147:148]
	v_fma_f64 v[6:7], v[139:140], v[6:7], -v[8:9]
	v_add_f64_e32 v[8:9], v[145:146], v[151:152]
	v_add_f64_e32 v[139:140], v[143:144], v[149:150]
	s_wait_loadcnt_dscnt 0x700
	v_mul_f64_e32 v[143:144], v[135:136], v[16:17]
	v_mul_f64_e32 v[16:17], v[137:138], v[16:17]
	v_fma_f64 v[145:146], v[4:5], v[10:11], v[153:154]
	v_fma_f64 v[10:11], v[2:3], v[10:11], -v[12:13]
	v_add_f64_e32 v[12:13], v[8:9], v[6:7]
	v_add_f64_e32 v[139:140], v[139:140], v[141:142]
	ds_load_b128 v[2:5], v1 offset:1232
	ds_load_b128 v[6:9], v1 offset:1248
	v_fma_f64 v[137:138], v[137:138], v[14:15], v[143:144]
	v_fma_f64 v[14:15], v[135:136], v[14:15], -v[16:17]
	s_wait_loadcnt_dscnt 0x601
	v_mul_f64_e32 v[141:142], v[2:3], v[20:21]
	v_mul_f64_e32 v[20:21], v[4:5], v[20:21]
	s_wait_loadcnt_dscnt 0x500
	v_mul_f64_e32 v[16:17], v[6:7], v[24:25]
	v_mul_f64_e32 v[24:25], v[8:9], v[24:25]
	v_add_f64_e32 v[10:11], v[12:13], v[10:11]
	v_add_f64_e32 v[12:13], v[139:140], v[145:146]
	v_fma_f64 v[135:136], v[4:5], v[18:19], v[141:142]
	v_fma_f64 v[18:19], v[2:3], v[18:19], -v[20:21]
	v_fma_f64 v[8:9], v[8:9], v[22:23], v[16:17]
	v_fma_f64 v[6:7], v[6:7], v[22:23], -v[24:25]
	v_add_f64_e32 v[14:15], v[10:11], v[14:15]
	v_add_f64_e32 v[20:21], v[12:13], v[137:138]
	ds_load_b128 v[2:5], v1 offset:1264
	ds_load_b128 v[10:13], v1 offset:1280
	s_wait_loadcnt_dscnt 0x401
	v_mul_f64_e32 v[137:138], v[2:3], v[28:29]
	v_mul_f64_e32 v[28:29], v[4:5], v[28:29]
	v_add_f64_e32 v[14:15], v[14:15], v[18:19]
	v_add_f64_e32 v[16:17], v[20:21], v[135:136]
	s_wait_loadcnt_dscnt 0x300
	v_mul_f64_e32 v[18:19], v[10:11], v[32:33]
	v_mul_f64_e32 v[20:21], v[12:13], v[32:33]
	v_fma_f64 v[22:23], v[4:5], v[26:27], v[137:138]
	v_fma_f64 v[24:25], v[2:3], v[26:27], -v[28:29]
	v_add_f64_e32 v[14:15], v[14:15], v[6:7]
	v_add_f64_e32 v[16:17], v[16:17], v[8:9]
	ds_load_b128 v[2:5], v1 offset:1296
	ds_load_b128 v[6:9], v1 offset:1312
	v_fma_f64 v[12:13], v[12:13], v[30:31], v[18:19]
	v_fma_f64 v[10:11], v[10:11], v[30:31], -v[20:21]
	s_wait_loadcnt_dscnt 0x201
	v_mul_f64_e32 v[26:27], v[2:3], v[40:41]
	v_mul_f64_e32 v[28:29], v[4:5], v[40:41]
	s_wait_loadcnt_dscnt 0x100
	v_mul_f64_e32 v[18:19], v[6:7], v[133:134]
	v_mul_f64_e32 v[20:21], v[8:9], v[133:134]
	v_add_f64_e32 v[14:15], v[14:15], v[24:25]
	v_add_f64_e32 v[16:17], v[16:17], v[22:23]
	v_fma_f64 v[22:23], v[4:5], v[38:39], v[26:27]
	v_fma_f64 v[24:25], v[2:3], v[38:39], -v[28:29]
	ds_load_b128 v[2:5], v1 offset:1328
	v_fma_f64 v[8:9], v[8:9], v[131:132], v[18:19]
	v_fma_f64 v[6:7], v[6:7], v[131:132], -v[20:21]
	v_add_f64_e32 v[10:11], v[14:15], v[10:11]
	v_add_f64_e32 v[12:13], v[16:17], v[12:13]
	s_wait_loadcnt_dscnt 0x0
	v_mul_f64_e32 v[14:15], v[2:3], v[36:37]
	v_mul_f64_e32 v[16:17], v[4:5], v[36:37]
	s_delay_alu instid0(VALU_DEP_4) | instskip(NEXT) | instid1(VALU_DEP_4)
	v_add_f64_e32 v[10:11], v[10:11], v[24:25]
	v_add_f64_e32 v[12:13], v[12:13], v[22:23]
	s_delay_alu instid0(VALU_DEP_4) | instskip(NEXT) | instid1(VALU_DEP_4)
	v_fma_f64 v[4:5], v[4:5], v[34:35], v[14:15]
	v_fma_f64 v[2:3], v[2:3], v[34:35], -v[16:17]
	s_delay_alu instid0(VALU_DEP_4) | instskip(NEXT) | instid1(VALU_DEP_4)
	v_add_f64_e32 v[6:7], v[10:11], v[6:7]
	v_add_f64_e32 v[8:9], v[12:13], v[8:9]
	s_delay_alu instid0(VALU_DEP_2) | instskip(NEXT) | instid1(VALU_DEP_2)
	v_add_f64_e32 v[2:3], v[6:7], v[2:3]
	v_add_f64_e32 v[4:5], v[8:9], v[4:5]
	s_delay_alu instid0(VALU_DEP_2) | instskip(NEXT) | instid1(VALU_DEP_2)
	v_add_f64_e64 v[2:3], v[42:43], -v[2:3]
	v_add_f64_e64 v[4:5], v[44:45], -v[4:5]
	scratch_store_b128 off, v[2:5], off offset:176
	v_cmpx_lt_u32_e32 9, v0
	s_cbranch_execz .LBB41_247
; %bb.246:
	scratch_load_b128 v[5:8], off, s46
	v_dual_mov_b32 v2, v1 :: v_dual_mov_b32 v3, v1
	v_mov_b32_e32 v4, v1
	scratch_store_b128 off, v[1:4], off offset:160
	s_wait_loadcnt 0x0
	ds_store_b128 v130, v[5:8]
.LBB41_247:
	s_wait_alu 0xfffe
	s_or_b32 exec_lo, exec_lo, s0
	s_wait_storecnt_dscnt 0x0
	s_barrier_signal -1
	s_barrier_wait -1
	global_inv scope:SCOPE_SE
	s_clause 0x8
	scratch_load_b128 v[2:5], off, off offset:176
	scratch_load_b128 v[6:9], off, off offset:192
	;; [unrolled: 1-line block ×9, first 2 shown]
	ds_load_b128 v[38:41], v1 offset:832
	ds_load_b128 v[42:45], v1 offset:848
	s_clause 0x1
	scratch_load_b128 v[131:134], off, off offset:160
	scratch_load_b128 v[135:138], off, off offset:320
	s_mov_b32 s0, exec_lo
	s_wait_loadcnt_dscnt 0xa01
	v_mul_f64_e32 v[139:140], v[40:41], v[4:5]
	v_mul_f64_e32 v[4:5], v[38:39], v[4:5]
	s_wait_loadcnt_dscnt 0x900
	v_mul_f64_e32 v[143:144], v[42:43], v[8:9]
	v_mul_f64_e32 v[8:9], v[44:45], v[8:9]
	s_delay_alu instid0(VALU_DEP_4) | instskip(NEXT) | instid1(VALU_DEP_4)
	v_fma_f64 v[145:146], v[38:39], v[2:3], -v[139:140]
	v_fma_f64 v[147:148], v[40:41], v[2:3], v[4:5]
	ds_load_b128 v[2:5], v1 offset:864
	ds_load_b128 v[139:142], v1 offset:880
	scratch_load_b128 v[38:41], off, off offset:336
	v_fma_f64 v[44:45], v[44:45], v[6:7], v[143:144]
	v_fma_f64 v[42:43], v[42:43], v[6:7], -v[8:9]
	scratch_load_b128 v[6:9], off, off offset:352
	s_wait_loadcnt_dscnt 0xa01
	v_mul_f64_e32 v[149:150], v[2:3], v[12:13]
	v_mul_f64_e32 v[12:13], v[4:5], v[12:13]
	v_add_f64_e32 v[143:144], 0, v[145:146]
	v_add_f64_e32 v[145:146], 0, v[147:148]
	s_wait_loadcnt_dscnt 0x900
	v_mul_f64_e32 v[147:148], v[139:140], v[16:17]
	v_mul_f64_e32 v[16:17], v[141:142], v[16:17]
	v_fma_f64 v[149:150], v[4:5], v[10:11], v[149:150]
	v_fma_f64 v[151:152], v[2:3], v[10:11], -v[12:13]
	ds_load_b128 v[2:5], v1 offset:896
	scratch_load_b128 v[10:13], off, off offset:368
	v_add_f64_e32 v[143:144], v[143:144], v[42:43]
	v_add_f64_e32 v[145:146], v[145:146], v[44:45]
	ds_load_b128 v[42:45], v1 offset:912
	v_fma_f64 v[141:142], v[141:142], v[14:15], v[147:148]
	v_fma_f64 v[139:140], v[139:140], v[14:15], -v[16:17]
	scratch_load_b128 v[14:17], off, off offset:384
	s_wait_loadcnt_dscnt 0xa01
	v_mul_f64_e32 v[153:154], v[2:3], v[20:21]
	v_mul_f64_e32 v[20:21], v[4:5], v[20:21]
	s_wait_loadcnt_dscnt 0x900
	v_mul_f64_e32 v[147:148], v[42:43], v[24:25]
	v_mul_f64_e32 v[24:25], v[44:45], v[24:25]
	v_add_f64_e32 v[143:144], v[143:144], v[151:152]
	v_add_f64_e32 v[145:146], v[145:146], v[149:150]
	v_fma_f64 v[149:150], v[4:5], v[18:19], v[153:154]
	v_fma_f64 v[151:152], v[2:3], v[18:19], -v[20:21]
	ds_load_b128 v[2:5], v1 offset:928
	scratch_load_b128 v[18:21], off, off offset:400
	v_fma_f64 v[44:45], v[44:45], v[22:23], v[147:148]
	v_fma_f64 v[42:43], v[42:43], v[22:23], -v[24:25]
	scratch_load_b128 v[22:25], off, off offset:416
	v_add_f64_e32 v[143:144], v[143:144], v[139:140]
	v_add_f64_e32 v[145:146], v[145:146], v[141:142]
	ds_load_b128 v[139:142], v1 offset:944
	s_wait_loadcnt_dscnt 0xa01
	v_mul_f64_e32 v[153:154], v[2:3], v[28:29]
	v_mul_f64_e32 v[28:29], v[4:5], v[28:29]
	s_wait_loadcnt_dscnt 0x900
	v_mul_f64_e32 v[147:148], v[139:140], v[32:33]
	v_mul_f64_e32 v[32:33], v[141:142], v[32:33]
	v_add_f64_e32 v[143:144], v[143:144], v[151:152]
	v_add_f64_e32 v[145:146], v[145:146], v[149:150]
	v_fma_f64 v[149:150], v[4:5], v[26:27], v[153:154]
	v_fma_f64 v[151:152], v[2:3], v[26:27], -v[28:29]
	ds_load_b128 v[2:5], v1 offset:960
	scratch_load_b128 v[26:29], off, off offset:432
	v_fma_f64 v[141:142], v[141:142], v[30:31], v[147:148]
	v_fma_f64 v[139:140], v[139:140], v[30:31], -v[32:33]
	scratch_load_b128 v[30:33], off, off offset:448
	v_add_f64_e32 v[143:144], v[143:144], v[42:43]
	v_add_f64_e32 v[145:146], v[145:146], v[44:45]
	ds_load_b128 v[42:45], v1 offset:976
	s_wait_loadcnt_dscnt 0xa01
	v_mul_f64_e32 v[153:154], v[2:3], v[36:37]
	v_mul_f64_e32 v[36:37], v[4:5], v[36:37]
	s_wait_loadcnt_dscnt 0x800
	v_mul_f64_e32 v[147:148], v[42:43], v[137:138]
	v_add_f64_e32 v[143:144], v[143:144], v[151:152]
	v_add_f64_e32 v[145:146], v[145:146], v[149:150]
	v_mul_f64_e32 v[149:150], v[44:45], v[137:138]
	v_fma_f64 v[151:152], v[4:5], v[34:35], v[153:154]
	v_fma_f64 v[153:154], v[2:3], v[34:35], -v[36:37]
	ds_load_b128 v[2:5], v1 offset:992
	scratch_load_b128 v[34:37], off, off offset:464
	v_fma_f64 v[44:45], v[44:45], v[135:136], v[147:148]
	v_add_f64_e32 v[143:144], v[143:144], v[139:140]
	v_add_f64_e32 v[141:142], v[145:146], v[141:142]
	ds_load_b128 v[137:140], v1 offset:1008
	v_fma_f64 v[135:136], v[42:43], v[135:136], -v[149:150]
	s_wait_loadcnt_dscnt 0x801
	v_mul_f64_e32 v[145:146], v[2:3], v[40:41]
	v_mul_f64_e32 v[155:156], v[4:5], v[40:41]
	scratch_load_b128 v[40:43], off, off offset:480
	s_wait_loadcnt_dscnt 0x800
	v_mul_f64_e32 v[149:150], v[137:138], v[8:9]
	v_mul_f64_e32 v[8:9], v[139:140], v[8:9]
	v_add_f64_e32 v[143:144], v[143:144], v[153:154]
	v_add_f64_e32 v[141:142], v[141:142], v[151:152]
	v_fma_f64 v[151:152], v[4:5], v[38:39], v[145:146]
	v_fma_f64 v[38:39], v[2:3], v[38:39], -v[155:156]
	ds_load_b128 v[2:5], v1 offset:1024
	ds_load_b128 v[145:148], v1 offset:1040
	v_fma_f64 v[139:140], v[139:140], v[6:7], v[149:150]
	v_fma_f64 v[137:138], v[137:138], v[6:7], -v[8:9]
	scratch_load_b128 v[6:9], off, off offset:512
	v_add_f64_e32 v[135:136], v[143:144], v[135:136]
	v_add_f64_e32 v[44:45], v[141:142], v[44:45]
	scratch_load_b128 v[141:144], off, off offset:496
	s_wait_loadcnt_dscnt 0x901
	v_mul_f64_e32 v[153:154], v[2:3], v[12:13]
	v_mul_f64_e32 v[12:13], v[4:5], v[12:13]
	s_wait_loadcnt_dscnt 0x800
	v_mul_f64_e32 v[149:150], v[145:146], v[16:17]
	v_mul_f64_e32 v[16:17], v[147:148], v[16:17]
	v_add_f64_e32 v[38:39], v[135:136], v[38:39]
	v_add_f64_e32 v[44:45], v[44:45], v[151:152]
	v_fma_f64 v[151:152], v[4:5], v[10:11], v[153:154]
	v_fma_f64 v[153:154], v[2:3], v[10:11], -v[12:13]
	ds_load_b128 v[2:5], v1 offset:1056
	scratch_load_b128 v[10:13], off, off offset:528
	v_fma_f64 v[147:148], v[147:148], v[14:15], v[149:150]
	v_fma_f64 v[145:146], v[145:146], v[14:15], -v[16:17]
	scratch_load_b128 v[14:17], off, off offset:544
	v_add_f64_e32 v[38:39], v[38:39], v[137:138]
	v_add_f64_e32 v[44:45], v[44:45], v[139:140]
	ds_load_b128 v[135:138], v1 offset:1072
	s_wait_loadcnt_dscnt 0x901
	v_mul_f64_e32 v[139:140], v[2:3], v[20:21]
	v_mul_f64_e32 v[20:21], v[4:5], v[20:21]
	s_wait_loadcnt_dscnt 0x800
	v_mul_f64_e32 v[149:150], v[135:136], v[24:25]
	v_mul_f64_e32 v[24:25], v[137:138], v[24:25]
	v_add_f64_e32 v[38:39], v[38:39], v[153:154]
	v_add_f64_e32 v[44:45], v[44:45], v[151:152]
	v_fma_f64 v[139:140], v[4:5], v[18:19], v[139:140]
	v_fma_f64 v[151:152], v[2:3], v[18:19], -v[20:21]
	ds_load_b128 v[2:5], v1 offset:1088
	scratch_load_b128 v[18:21], off, off offset:560
	v_fma_f64 v[137:138], v[137:138], v[22:23], v[149:150]
	v_fma_f64 v[135:136], v[135:136], v[22:23], -v[24:25]
	scratch_load_b128 v[22:25], off, off offset:576
	v_add_f64_e32 v[38:39], v[38:39], v[145:146]
	v_add_f64_e32 v[44:45], v[44:45], v[147:148]
	ds_load_b128 v[145:148], v1 offset:1104
	s_wait_loadcnt_dscnt 0x901
	v_mul_f64_e32 v[153:154], v[2:3], v[28:29]
	v_mul_f64_e32 v[28:29], v[4:5], v[28:29]
	v_add_f64_e32 v[38:39], v[38:39], v[151:152]
	v_add_f64_e32 v[44:45], v[44:45], v[139:140]
	s_wait_loadcnt_dscnt 0x800
	v_mul_f64_e32 v[139:140], v[145:146], v[32:33]
	v_mul_f64_e32 v[32:33], v[147:148], v[32:33]
	v_fma_f64 v[149:150], v[4:5], v[26:27], v[153:154]
	v_fma_f64 v[151:152], v[2:3], v[26:27], -v[28:29]
	ds_load_b128 v[2:5], v1 offset:1120
	scratch_load_b128 v[26:29], off, off offset:592
	v_add_f64_e32 v[38:39], v[38:39], v[135:136]
	v_add_f64_e32 v[44:45], v[44:45], v[137:138]
	ds_load_b128 v[135:138], v1 offset:1136
	s_wait_loadcnt_dscnt 0x801
	v_mul_f64_e32 v[153:154], v[2:3], v[36:37]
	v_mul_f64_e32 v[36:37], v[4:5], v[36:37]
	v_fma_f64 v[139:140], v[147:148], v[30:31], v[139:140]
	v_fma_f64 v[145:146], v[145:146], v[30:31], -v[32:33]
	scratch_load_b128 v[30:33], off, off offset:608
	s_wait_loadcnt_dscnt 0x800
	v_mul_f64_e32 v[147:148], v[135:136], v[42:43]
	v_add_f64_e32 v[38:39], v[38:39], v[151:152]
	v_add_f64_e32 v[44:45], v[44:45], v[149:150]
	v_mul_f64_e32 v[149:150], v[137:138], v[42:43]
	v_fma_f64 v[151:152], v[4:5], v[34:35], v[153:154]
	v_fma_f64 v[153:154], v[2:3], v[34:35], -v[36:37]
	ds_load_b128 v[2:5], v1 offset:1152
	scratch_load_b128 v[34:37], off, off offset:624
	v_fma_f64 v[137:138], v[137:138], v[40:41], v[147:148]
	v_add_f64_e32 v[38:39], v[38:39], v[145:146]
	v_add_f64_e32 v[139:140], v[44:45], v[139:140]
	ds_load_b128 v[42:45], v1 offset:1168
	v_fma_f64 v[135:136], v[135:136], v[40:41], -v[149:150]
	s_wait_loadcnt_dscnt 0x701
	v_mul_f64_e32 v[145:146], v[2:3], v[143:144]
	v_mul_f64_e32 v[143:144], v[4:5], v[143:144]
	s_wait_dscnt 0x0
	v_mul_f64_e32 v[149:150], v[42:43], v[8:9]
	v_mul_f64_e32 v[8:9], v[44:45], v[8:9]
	v_add_f64_e32 v[147:148], v[38:39], v[153:154]
	v_add_f64_e32 v[139:140], v[139:140], v[151:152]
	scratch_load_b128 v[38:41], off, off offset:640
	v_fma_f64 v[145:146], v[4:5], v[141:142], v[145:146]
	v_fma_f64 v[143:144], v[2:3], v[141:142], -v[143:144]
	ds_load_b128 v[2:5], v1 offset:1184
	v_fma_f64 v[44:45], v[44:45], v[6:7], v[149:150]
	v_fma_f64 v[42:43], v[42:43], v[6:7], -v[8:9]
	scratch_load_b128 v[6:9], off, off offset:672
	v_add_f64_e32 v[147:148], v[147:148], v[135:136]
	v_add_f64_e32 v[151:152], v[139:140], v[137:138]
	scratch_load_b128 v[135:138], off, off offset:656
	ds_load_b128 v[139:142], v1 offset:1200
	s_wait_loadcnt_dscnt 0x901
	v_mul_f64_e32 v[153:154], v[2:3], v[12:13]
	v_mul_f64_e32 v[12:13], v[4:5], v[12:13]
	v_add_f64_e32 v[143:144], v[147:148], v[143:144]
	v_add_f64_e32 v[145:146], v[151:152], v[145:146]
	s_wait_loadcnt_dscnt 0x800
	v_mul_f64_e32 v[147:148], v[139:140], v[16:17]
	v_mul_f64_e32 v[16:17], v[141:142], v[16:17]
	v_fma_f64 v[149:150], v[4:5], v[10:11], v[153:154]
	v_fma_f64 v[151:152], v[2:3], v[10:11], -v[12:13]
	ds_load_b128 v[2:5], v1 offset:1216
	ds_load_b128 v[10:13], v1 offset:1232
	v_add_f64_e32 v[42:43], v[143:144], v[42:43]
	v_add_f64_e32 v[44:45], v[145:146], v[44:45]
	s_wait_loadcnt_dscnt 0x701
	v_mul_f64_e32 v[143:144], v[2:3], v[20:21]
	v_mul_f64_e32 v[20:21], v[4:5], v[20:21]
	v_fma_f64 v[141:142], v[141:142], v[14:15], v[147:148]
	v_fma_f64 v[14:15], v[139:140], v[14:15], -v[16:17]
	v_add_f64_e32 v[16:17], v[42:43], v[151:152]
	v_add_f64_e32 v[42:43], v[44:45], v[149:150]
	s_wait_loadcnt_dscnt 0x600
	v_mul_f64_e32 v[44:45], v[10:11], v[24:25]
	v_mul_f64_e32 v[24:25], v[12:13], v[24:25]
	v_fma_f64 v[139:140], v[4:5], v[18:19], v[143:144]
	v_fma_f64 v[18:19], v[2:3], v[18:19], -v[20:21]
	v_add_f64_e32 v[20:21], v[16:17], v[14:15]
	v_add_f64_e32 v[42:43], v[42:43], v[141:142]
	ds_load_b128 v[2:5], v1 offset:1248
	ds_load_b128 v[14:17], v1 offset:1264
	v_fma_f64 v[12:13], v[12:13], v[22:23], v[44:45]
	v_fma_f64 v[10:11], v[10:11], v[22:23], -v[24:25]
	s_wait_loadcnt_dscnt 0x501
	v_mul_f64_e32 v[141:142], v[2:3], v[28:29]
	v_mul_f64_e32 v[28:29], v[4:5], v[28:29]
	s_wait_loadcnt_dscnt 0x400
	v_mul_f64_e32 v[22:23], v[14:15], v[32:33]
	v_mul_f64_e32 v[24:25], v[16:17], v[32:33]
	v_add_f64_e32 v[18:19], v[20:21], v[18:19]
	v_add_f64_e32 v[20:21], v[42:43], v[139:140]
	v_fma_f64 v[32:33], v[4:5], v[26:27], v[141:142]
	v_fma_f64 v[26:27], v[2:3], v[26:27], -v[28:29]
	v_fma_f64 v[16:17], v[16:17], v[30:31], v[22:23]
	v_fma_f64 v[14:15], v[14:15], v[30:31], -v[24:25]
	v_add_f64_e32 v[18:19], v[18:19], v[10:11]
	v_add_f64_e32 v[20:21], v[20:21], v[12:13]
	ds_load_b128 v[2:5], v1 offset:1280
	ds_load_b128 v[10:13], v1 offset:1296
	s_wait_loadcnt_dscnt 0x301
	v_mul_f64_e32 v[28:29], v[2:3], v[36:37]
	v_mul_f64_e32 v[36:37], v[4:5], v[36:37]
	v_add_f64_e32 v[18:19], v[18:19], v[26:27]
	v_add_f64_e32 v[20:21], v[20:21], v[32:33]
	s_wait_loadcnt_dscnt 0x200
	v_mul_f64_e32 v[22:23], v[10:11], v[40:41]
	v_mul_f64_e32 v[24:25], v[12:13], v[40:41]
	v_fma_f64 v[26:27], v[4:5], v[34:35], v[28:29]
	v_fma_f64 v[28:29], v[2:3], v[34:35], -v[36:37]
	v_add_f64_e32 v[18:19], v[18:19], v[14:15]
	v_add_f64_e32 v[20:21], v[20:21], v[16:17]
	ds_load_b128 v[2:5], v1 offset:1312
	ds_load_b128 v[14:17], v1 offset:1328
	v_fma_f64 v[12:13], v[12:13], v[38:39], v[22:23]
	v_fma_f64 v[10:11], v[10:11], v[38:39], -v[24:25]
	s_wait_loadcnt_dscnt 0x1
	v_mul_f64_e32 v[30:31], v[2:3], v[137:138]
	v_mul_f64_e32 v[32:33], v[4:5], v[137:138]
	s_wait_dscnt 0x0
	v_mul_f64_e32 v[22:23], v[14:15], v[8:9]
	v_mul_f64_e32 v[8:9], v[16:17], v[8:9]
	v_add_f64_e32 v[18:19], v[18:19], v[28:29]
	v_add_f64_e32 v[20:21], v[20:21], v[26:27]
	v_fma_f64 v[4:5], v[4:5], v[135:136], v[30:31]
	v_fma_f64 v[1:2], v[2:3], v[135:136], -v[32:33]
	v_fma_f64 v[16:17], v[16:17], v[6:7], v[22:23]
	v_fma_f64 v[6:7], v[14:15], v[6:7], -v[8:9]
	v_add_f64_e32 v[10:11], v[18:19], v[10:11]
	v_add_f64_e32 v[12:13], v[20:21], v[12:13]
	s_delay_alu instid0(VALU_DEP_2) | instskip(NEXT) | instid1(VALU_DEP_2)
	v_add_f64_e32 v[1:2], v[10:11], v[1:2]
	v_add_f64_e32 v[3:4], v[12:13], v[4:5]
	s_delay_alu instid0(VALU_DEP_2) | instskip(NEXT) | instid1(VALU_DEP_2)
	v_add_f64_e32 v[1:2], v[1:2], v[6:7]
	v_add_f64_e32 v[3:4], v[3:4], v[16:17]
	s_delay_alu instid0(VALU_DEP_2) | instskip(NEXT) | instid1(VALU_DEP_2)
	v_add_f64_e64 v[1:2], v[131:132], -v[1:2]
	v_add_f64_e64 v[3:4], v[133:134], -v[3:4]
	scratch_store_b128 off, v[1:4], off offset:160
	v_cmpx_lt_u32_e32 8, v0
	s_cbranch_execz .LBB41_249
; %bb.248:
	scratch_load_b128 v[1:4], off, s47
	v_mov_b32_e32 v5, 0
	s_delay_alu instid0(VALU_DEP_1)
	v_dual_mov_b32 v6, v5 :: v_dual_mov_b32 v7, v5
	v_mov_b32_e32 v8, v5
	scratch_store_b128 off, v[5:8], off offset:144
	s_wait_loadcnt 0x0
	ds_store_b128 v130, v[1:4]
.LBB41_249:
	s_wait_alu 0xfffe
	s_or_b32 exec_lo, exec_lo, s0
	s_wait_storecnt_dscnt 0x0
	s_barrier_signal -1
	s_barrier_wait -1
	global_inv scope:SCOPE_SE
	s_clause 0x7
	scratch_load_b128 v[2:5], off, off offset:160
	scratch_load_b128 v[6:9], off, off offset:176
	;; [unrolled: 1-line block ×8, first 2 shown]
	v_mov_b32_e32 v1, 0
	s_mov_b32 s0, exec_lo
	ds_load_b128 v[34:37], v1 offset:816
	s_clause 0x1
	scratch_load_b128 v[38:41], off, off offset:288
	scratch_load_b128 v[42:45], off, off offset:144
	ds_load_b128 v[131:134], v1 offset:832
	scratch_load_b128 v[135:138], off, off offset:304
	s_wait_loadcnt_dscnt 0xa01
	v_mul_f64_e32 v[139:140], v[36:37], v[4:5]
	v_mul_f64_e32 v[4:5], v[34:35], v[4:5]
	s_delay_alu instid0(VALU_DEP_2) | instskip(NEXT) | instid1(VALU_DEP_2)
	v_fma_f64 v[145:146], v[34:35], v[2:3], -v[139:140]
	v_fma_f64 v[147:148], v[36:37], v[2:3], v[4:5]
	ds_load_b128 v[2:5], v1 offset:848
	s_wait_loadcnt_dscnt 0x901
	v_mul_f64_e32 v[143:144], v[131:132], v[8:9]
	v_mul_f64_e32 v[8:9], v[133:134], v[8:9]
	scratch_load_b128 v[34:37], off, off offset:320
	ds_load_b128 v[139:142], v1 offset:864
	s_wait_loadcnt_dscnt 0x901
	v_mul_f64_e32 v[149:150], v[2:3], v[12:13]
	v_mul_f64_e32 v[12:13], v[4:5], v[12:13]
	v_fma_f64 v[133:134], v[133:134], v[6:7], v[143:144]
	v_fma_f64 v[131:132], v[131:132], v[6:7], -v[8:9]
	v_add_f64_e32 v[143:144], 0, v[145:146]
	v_add_f64_e32 v[145:146], 0, v[147:148]
	scratch_load_b128 v[6:9], off, off offset:336
	v_fma_f64 v[149:150], v[4:5], v[10:11], v[149:150]
	v_fma_f64 v[151:152], v[2:3], v[10:11], -v[12:13]
	ds_load_b128 v[2:5], v1 offset:880
	s_wait_loadcnt_dscnt 0x901
	v_mul_f64_e32 v[147:148], v[139:140], v[16:17]
	v_mul_f64_e32 v[16:17], v[141:142], v[16:17]
	scratch_load_b128 v[10:13], off, off offset:352
	v_add_f64_e32 v[143:144], v[143:144], v[131:132]
	v_add_f64_e32 v[145:146], v[145:146], v[133:134]
	s_wait_loadcnt_dscnt 0x900
	v_mul_f64_e32 v[153:154], v[2:3], v[20:21]
	v_mul_f64_e32 v[20:21], v[4:5], v[20:21]
	ds_load_b128 v[131:134], v1 offset:896
	v_fma_f64 v[141:142], v[141:142], v[14:15], v[147:148]
	v_fma_f64 v[139:140], v[139:140], v[14:15], -v[16:17]
	scratch_load_b128 v[14:17], off, off offset:368
	v_add_f64_e32 v[143:144], v[143:144], v[151:152]
	v_add_f64_e32 v[145:146], v[145:146], v[149:150]
	v_fma_f64 v[149:150], v[4:5], v[18:19], v[153:154]
	v_fma_f64 v[151:152], v[2:3], v[18:19], -v[20:21]
	ds_load_b128 v[2:5], v1 offset:912
	s_wait_loadcnt_dscnt 0x901
	v_mul_f64_e32 v[147:148], v[131:132], v[24:25]
	v_mul_f64_e32 v[24:25], v[133:134], v[24:25]
	scratch_load_b128 v[18:21], off, off offset:384
	s_wait_loadcnt_dscnt 0x900
	v_mul_f64_e32 v[153:154], v[2:3], v[28:29]
	v_mul_f64_e32 v[28:29], v[4:5], v[28:29]
	v_add_f64_e32 v[143:144], v[143:144], v[139:140]
	v_add_f64_e32 v[145:146], v[145:146], v[141:142]
	ds_load_b128 v[139:142], v1 offset:928
	v_fma_f64 v[133:134], v[133:134], v[22:23], v[147:148]
	v_fma_f64 v[131:132], v[131:132], v[22:23], -v[24:25]
	scratch_load_b128 v[22:25], off, off offset:400
	v_add_f64_e32 v[143:144], v[143:144], v[151:152]
	v_add_f64_e32 v[145:146], v[145:146], v[149:150]
	v_fma_f64 v[149:150], v[4:5], v[26:27], v[153:154]
	v_fma_f64 v[151:152], v[2:3], v[26:27], -v[28:29]
	ds_load_b128 v[2:5], v1 offset:944
	s_wait_loadcnt_dscnt 0x901
	v_mul_f64_e32 v[147:148], v[139:140], v[32:33]
	v_mul_f64_e32 v[32:33], v[141:142], v[32:33]
	scratch_load_b128 v[26:29], off, off offset:416
	s_wait_loadcnt_dscnt 0x900
	v_mul_f64_e32 v[153:154], v[2:3], v[40:41]
	v_mul_f64_e32 v[40:41], v[4:5], v[40:41]
	v_add_f64_e32 v[143:144], v[143:144], v[131:132]
	v_add_f64_e32 v[145:146], v[145:146], v[133:134]
	ds_load_b128 v[131:134], v1 offset:960
	v_fma_f64 v[141:142], v[141:142], v[30:31], v[147:148]
	v_fma_f64 v[139:140], v[139:140], v[30:31], -v[32:33]
	scratch_load_b128 v[30:33], off, off offset:432
	v_add_f64_e32 v[143:144], v[143:144], v[151:152]
	v_add_f64_e32 v[145:146], v[145:146], v[149:150]
	v_fma_f64 v[151:152], v[4:5], v[38:39], v[153:154]
	v_fma_f64 v[153:154], v[2:3], v[38:39], -v[40:41]
	ds_load_b128 v[2:5], v1 offset:976
	s_wait_loadcnt_dscnt 0x801
	v_mul_f64_e32 v[147:148], v[131:132], v[137:138]
	v_mul_f64_e32 v[149:150], v[133:134], v[137:138]
	scratch_load_b128 v[38:41], off, off offset:448
	v_add_f64_e32 v[143:144], v[143:144], v[139:140]
	v_add_f64_e32 v[141:142], v[145:146], v[141:142]
	ds_load_b128 v[137:140], v1 offset:992
	v_fma_f64 v[147:148], v[133:134], v[135:136], v[147:148]
	v_fma_f64 v[135:136], v[131:132], v[135:136], -v[149:150]
	scratch_load_b128 v[131:134], off, off offset:464
	s_wait_loadcnt_dscnt 0x901
	v_mul_f64_e32 v[145:146], v[2:3], v[36:37]
	v_mul_f64_e32 v[36:37], v[4:5], v[36:37]
	v_add_f64_e32 v[143:144], v[143:144], v[153:154]
	v_add_f64_e32 v[141:142], v[141:142], v[151:152]
	s_delay_alu instid0(VALU_DEP_4) | instskip(NEXT) | instid1(VALU_DEP_4)
	v_fma_f64 v[145:146], v[4:5], v[34:35], v[145:146]
	v_fma_f64 v[151:152], v[2:3], v[34:35], -v[36:37]
	ds_load_b128 v[2:5], v1 offset:1008
	s_wait_loadcnt_dscnt 0x801
	v_mul_f64_e32 v[149:150], v[137:138], v[8:9]
	v_mul_f64_e32 v[8:9], v[139:140], v[8:9]
	scratch_load_b128 v[34:37], off, off offset:480
	s_wait_loadcnt_dscnt 0x800
	v_mul_f64_e32 v[153:154], v[2:3], v[12:13]
	v_add_f64_e32 v[135:136], v[143:144], v[135:136]
	v_add_f64_e32 v[147:148], v[141:142], v[147:148]
	v_mul_f64_e32 v[12:13], v[4:5], v[12:13]
	ds_load_b128 v[141:144], v1 offset:1024
	v_fma_f64 v[139:140], v[139:140], v[6:7], v[149:150]
	v_fma_f64 v[137:138], v[137:138], v[6:7], -v[8:9]
	scratch_load_b128 v[6:9], off, off offset:496
	v_fma_f64 v[149:150], v[4:5], v[10:11], v[153:154]
	v_add_f64_e32 v[135:136], v[135:136], v[151:152]
	v_add_f64_e32 v[145:146], v[147:148], v[145:146]
	v_fma_f64 v[151:152], v[2:3], v[10:11], -v[12:13]
	ds_load_b128 v[2:5], v1 offset:1040
	s_wait_loadcnt_dscnt 0x801
	v_mul_f64_e32 v[147:148], v[141:142], v[16:17]
	v_mul_f64_e32 v[16:17], v[143:144], v[16:17]
	scratch_load_b128 v[10:13], off, off offset:512
	v_add_f64_e32 v[153:154], v[135:136], v[137:138]
	v_add_f64_e32 v[139:140], v[145:146], v[139:140]
	s_wait_loadcnt_dscnt 0x800
	v_mul_f64_e32 v[145:146], v[2:3], v[20:21]
	v_mul_f64_e32 v[20:21], v[4:5], v[20:21]
	v_fma_f64 v[143:144], v[143:144], v[14:15], v[147:148]
	v_fma_f64 v[141:142], v[141:142], v[14:15], -v[16:17]
	ds_load_b128 v[135:138], v1 offset:1056
	scratch_load_b128 v[14:17], off, off offset:528
	v_add_f64_e32 v[147:148], v[153:154], v[151:152]
	v_add_f64_e32 v[139:140], v[139:140], v[149:150]
	v_fma_f64 v[145:146], v[4:5], v[18:19], v[145:146]
	v_fma_f64 v[151:152], v[2:3], v[18:19], -v[20:21]
	ds_load_b128 v[2:5], v1 offset:1072
	s_wait_loadcnt_dscnt 0x801
	v_mul_f64_e32 v[149:150], v[135:136], v[24:25]
	v_mul_f64_e32 v[24:25], v[137:138], v[24:25]
	scratch_load_b128 v[18:21], off, off offset:544
	s_wait_loadcnt_dscnt 0x800
	v_mul_f64_e32 v[153:154], v[2:3], v[28:29]
	v_mul_f64_e32 v[28:29], v[4:5], v[28:29]
	v_add_f64_e32 v[147:148], v[147:148], v[141:142]
	v_add_f64_e32 v[143:144], v[139:140], v[143:144]
	ds_load_b128 v[139:142], v1 offset:1088
	v_fma_f64 v[137:138], v[137:138], v[22:23], v[149:150]
	v_fma_f64 v[135:136], v[135:136], v[22:23], -v[24:25]
	scratch_load_b128 v[22:25], off, off offset:560
	v_fma_f64 v[149:150], v[4:5], v[26:27], v[153:154]
	v_add_f64_e32 v[147:148], v[147:148], v[151:152]
	v_add_f64_e32 v[143:144], v[143:144], v[145:146]
	v_fma_f64 v[151:152], v[2:3], v[26:27], -v[28:29]
	ds_load_b128 v[2:5], v1 offset:1104
	s_wait_loadcnt_dscnt 0x801
	v_mul_f64_e32 v[145:146], v[139:140], v[32:33]
	v_mul_f64_e32 v[32:33], v[141:142], v[32:33]
	scratch_load_b128 v[26:29], off, off offset:576
	s_wait_loadcnt_dscnt 0x800
	v_mul_f64_e32 v[153:154], v[2:3], v[40:41]
	v_mul_f64_e32 v[40:41], v[4:5], v[40:41]
	v_add_f64_e32 v[147:148], v[147:148], v[135:136]
	v_add_f64_e32 v[143:144], v[143:144], v[137:138]
	ds_load_b128 v[135:138], v1 offset:1120
	v_fma_f64 v[141:142], v[141:142], v[30:31], v[145:146]
	v_fma_f64 v[139:140], v[139:140], v[30:31], -v[32:33]
	scratch_load_b128 v[30:33], off, off offset:592
	v_add_f64_e32 v[145:146], v[147:148], v[151:152]
	v_add_f64_e32 v[143:144], v[143:144], v[149:150]
	v_fma_f64 v[149:150], v[4:5], v[38:39], v[153:154]
	v_fma_f64 v[151:152], v[2:3], v[38:39], -v[40:41]
	ds_load_b128 v[2:5], v1 offset:1136
	s_wait_loadcnt_dscnt 0x801
	v_mul_f64_e32 v[147:148], v[135:136], v[133:134]
	v_mul_f64_e32 v[133:134], v[137:138], v[133:134]
	scratch_load_b128 v[38:41], off, off offset:608
	s_wait_loadcnt_dscnt 0x800
	v_mul_f64_e32 v[153:154], v[2:3], v[36:37]
	v_mul_f64_e32 v[36:37], v[4:5], v[36:37]
	v_add_f64_e32 v[145:146], v[145:146], v[139:140]
	v_add_f64_e32 v[143:144], v[143:144], v[141:142]
	ds_load_b128 v[139:142], v1 offset:1152
	v_fma_f64 v[137:138], v[137:138], v[131:132], v[147:148]
	v_fma_f64 v[135:136], v[135:136], v[131:132], -v[133:134]
	scratch_load_b128 v[131:134], off, off offset:624
	v_add_f64_e32 v[145:146], v[145:146], v[151:152]
	v_add_f64_e32 v[143:144], v[143:144], v[149:150]
	v_fma_f64 v[149:150], v[4:5], v[34:35], v[153:154]
	;; [unrolled: 18-line block ×3, first 2 shown]
	v_fma_f64 v[151:152], v[2:3], v[10:11], -v[12:13]
	ds_load_b128 v[2:5], v1 offset:1200
	s_wait_loadcnt_dscnt 0x801
	v_mul_f64_e32 v[147:148], v[135:136], v[16:17]
	v_mul_f64_e32 v[16:17], v[137:138], v[16:17]
	scratch_load_b128 v[10:13], off, off offset:672
	s_wait_loadcnt_dscnt 0x800
	v_mul_f64_e32 v[153:154], v[2:3], v[20:21]
	v_mul_f64_e32 v[20:21], v[4:5], v[20:21]
	v_add_f64_e32 v[145:146], v[145:146], v[139:140]
	v_add_f64_e32 v[143:144], v[143:144], v[141:142]
	ds_load_b128 v[139:142], v1 offset:1216
	v_fma_f64 v[137:138], v[137:138], v[14:15], v[147:148]
	v_fma_f64 v[14:15], v[135:136], v[14:15], -v[16:17]
	v_add_f64_e32 v[16:17], v[145:146], v[151:152]
	v_add_f64_e32 v[135:136], v[143:144], v[149:150]
	s_wait_loadcnt_dscnt 0x700
	v_mul_f64_e32 v[143:144], v[139:140], v[24:25]
	v_mul_f64_e32 v[24:25], v[141:142], v[24:25]
	v_fma_f64 v[145:146], v[4:5], v[18:19], v[153:154]
	v_fma_f64 v[18:19], v[2:3], v[18:19], -v[20:21]
	v_add_f64_e32 v[20:21], v[16:17], v[14:15]
	v_add_f64_e32 v[135:136], v[135:136], v[137:138]
	ds_load_b128 v[2:5], v1 offset:1232
	ds_load_b128 v[14:17], v1 offset:1248
	v_fma_f64 v[141:142], v[141:142], v[22:23], v[143:144]
	v_fma_f64 v[22:23], v[139:140], v[22:23], -v[24:25]
	s_wait_loadcnt_dscnt 0x601
	v_mul_f64_e32 v[137:138], v[2:3], v[28:29]
	v_mul_f64_e32 v[28:29], v[4:5], v[28:29]
	s_wait_loadcnt_dscnt 0x500
	v_mul_f64_e32 v[24:25], v[14:15], v[32:33]
	v_mul_f64_e32 v[32:33], v[16:17], v[32:33]
	v_add_f64_e32 v[18:19], v[20:21], v[18:19]
	v_add_f64_e32 v[20:21], v[135:136], v[145:146]
	v_fma_f64 v[135:136], v[4:5], v[26:27], v[137:138]
	v_fma_f64 v[26:27], v[2:3], v[26:27], -v[28:29]
	v_fma_f64 v[16:17], v[16:17], v[30:31], v[24:25]
	v_fma_f64 v[14:15], v[14:15], v[30:31], -v[32:33]
	v_add_f64_e32 v[22:23], v[18:19], v[22:23]
	v_add_f64_e32 v[28:29], v[20:21], v[141:142]
	ds_load_b128 v[2:5], v1 offset:1264
	ds_load_b128 v[18:21], v1 offset:1280
	s_wait_loadcnt_dscnt 0x401
	v_mul_f64_e32 v[137:138], v[2:3], v[40:41]
	v_mul_f64_e32 v[40:41], v[4:5], v[40:41]
	v_add_f64_e32 v[22:23], v[22:23], v[26:27]
	v_add_f64_e32 v[24:25], v[28:29], v[135:136]
	s_wait_loadcnt_dscnt 0x300
	v_mul_f64_e32 v[26:27], v[18:19], v[133:134]
	v_mul_f64_e32 v[28:29], v[20:21], v[133:134]
	v_fma_f64 v[30:31], v[4:5], v[38:39], v[137:138]
	v_fma_f64 v[32:33], v[2:3], v[38:39], -v[40:41]
	v_add_f64_e32 v[22:23], v[22:23], v[14:15]
	v_add_f64_e32 v[24:25], v[24:25], v[16:17]
	ds_load_b128 v[2:5], v1 offset:1296
	ds_load_b128 v[14:17], v1 offset:1312
	v_fma_f64 v[20:21], v[20:21], v[131:132], v[26:27]
	v_fma_f64 v[18:19], v[18:19], v[131:132], -v[28:29]
	s_wait_loadcnt_dscnt 0x201
	v_mul_f64_e32 v[38:39], v[2:3], v[36:37]
	v_mul_f64_e32 v[36:37], v[4:5], v[36:37]
	s_wait_loadcnt_dscnt 0x100
	v_mul_f64_e32 v[26:27], v[14:15], v[8:9]
	v_mul_f64_e32 v[8:9], v[16:17], v[8:9]
	v_add_f64_e32 v[22:23], v[22:23], v[32:33]
	v_add_f64_e32 v[24:25], v[24:25], v[30:31]
	v_fma_f64 v[28:29], v[4:5], v[34:35], v[38:39]
	v_fma_f64 v[30:31], v[2:3], v[34:35], -v[36:37]
	ds_load_b128 v[2:5], v1 offset:1328
	v_fma_f64 v[16:17], v[16:17], v[6:7], v[26:27]
	v_fma_f64 v[6:7], v[14:15], v[6:7], -v[8:9]
	v_add_f64_e32 v[18:19], v[22:23], v[18:19]
	v_add_f64_e32 v[20:21], v[24:25], v[20:21]
	s_wait_loadcnt_dscnt 0x0
	v_mul_f64_e32 v[22:23], v[2:3], v[12:13]
	v_mul_f64_e32 v[12:13], v[4:5], v[12:13]
	s_delay_alu instid0(VALU_DEP_4) | instskip(NEXT) | instid1(VALU_DEP_4)
	v_add_f64_e32 v[8:9], v[18:19], v[30:31]
	v_add_f64_e32 v[14:15], v[20:21], v[28:29]
	s_delay_alu instid0(VALU_DEP_4) | instskip(NEXT) | instid1(VALU_DEP_4)
	v_fma_f64 v[4:5], v[4:5], v[10:11], v[22:23]
	v_fma_f64 v[2:3], v[2:3], v[10:11], -v[12:13]
	s_delay_alu instid0(VALU_DEP_4) | instskip(NEXT) | instid1(VALU_DEP_4)
	v_add_f64_e32 v[6:7], v[8:9], v[6:7]
	v_add_f64_e32 v[8:9], v[14:15], v[16:17]
	s_delay_alu instid0(VALU_DEP_2) | instskip(NEXT) | instid1(VALU_DEP_2)
	v_add_f64_e32 v[2:3], v[6:7], v[2:3]
	v_add_f64_e32 v[4:5], v[8:9], v[4:5]
	s_delay_alu instid0(VALU_DEP_2) | instskip(NEXT) | instid1(VALU_DEP_2)
	v_add_f64_e64 v[2:3], v[42:43], -v[2:3]
	v_add_f64_e64 v[4:5], v[44:45], -v[4:5]
	scratch_store_b128 off, v[2:5], off offset:144
	v_cmpx_lt_u32_e32 7, v0
	s_cbranch_execz .LBB41_251
; %bb.250:
	scratch_load_b128 v[5:8], off, s48
	v_dual_mov_b32 v2, v1 :: v_dual_mov_b32 v3, v1
	v_mov_b32_e32 v4, v1
	scratch_store_b128 off, v[1:4], off offset:128
	s_wait_loadcnt 0x0
	ds_store_b128 v130, v[5:8]
.LBB41_251:
	s_wait_alu 0xfffe
	s_or_b32 exec_lo, exec_lo, s0
	s_wait_storecnt_dscnt 0x0
	s_barrier_signal -1
	s_barrier_wait -1
	global_inv scope:SCOPE_SE
	s_clause 0x8
	scratch_load_b128 v[2:5], off, off offset:144
	scratch_load_b128 v[6:9], off, off offset:160
	;; [unrolled: 1-line block ×9, first 2 shown]
	ds_load_b128 v[38:41], v1 offset:800
	ds_load_b128 v[42:45], v1 offset:816
	s_clause 0x1
	scratch_load_b128 v[131:134], off, off offset:128
	scratch_load_b128 v[135:138], off, off offset:288
	s_mov_b32 s0, exec_lo
	s_wait_loadcnt_dscnt 0xa01
	v_mul_f64_e32 v[139:140], v[40:41], v[4:5]
	v_mul_f64_e32 v[4:5], v[38:39], v[4:5]
	s_wait_loadcnt_dscnt 0x900
	v_mul_f64_e32 v[143:144], v[42:43], v[8:9]
	v_mul_f64_e32 v[8:9], v[44:45], v[8:9]
	s_delay_alu instid0(VALU_DEP_4) | instskip(NEXT) | instid1(VALU_DEP_4)
	v_fma_f64 v[145:146], v[38:39], v[2:3], -v[139:140]
	v_fma_f64 v[147:148], v[40:41], v[2:3], v[4:5]
	ds_load_b128 v[2:5], v1 offset:832
	ds_load_b128 v[139:142], v1 offset:848
	scratch_load_b128 v[38:41], off, off offset:304
	v_fma_f64 v[44:45], v[44:45], v[6:7], v[143:144]
	v_fma_f64 v[42:43], v[42:43], v[6:7], -v[8:9]
	scratch_load_b128 v[6:9], off, off offset:320
	s_wait_loadcnt_dscnt 0xa01
	v_mul_f64_e32 v[149:150], v[2:3], v[12:13]
	v_mul_f64_e32 v[12:13], v[4:5], v[12:13]
	v_add_f64_e32 v[143:144], 0, v[145:146]
	v_add_f64_e32 v[145:146], 0, v[147:148]
	s_wait_loadcnt_dscnt 0x900
	v_mul_f64_e32 v[147:148], v[139:140], v[16:17]
	v_mul_f64_e32 v[16:17], v[141:142], v[16:17]
	v_fma_f64 v[149:150], v[4:5], v[10:11], v[149:150]
	v_fma_f64 v[151:152], v[2:3], v[10:11], -v[12:13]
	ds_load_b128 v[2:5], v1 offset:864
	scratch_load_b128 v[10:13], off, off offset:336
	v_add_f64_e32 v[143:144], v[143:144], v[42:43]
	v_add_f64_e32 v[145:146], v[145:146], v[44:45]
	ds_load_b128 v[42:45], v1 offset:880
	v_fma_f64 v[141:142], v[141:142], v[14:15], v[147:148]
	v_fma_f64 v[139:140], v[139:140], v[14:15], -v[16:17]
	scratch_load_b128 v[14:17], off, off offset:352
	s_wait_loadcnt_dscnt 0xa01
	v_mul_f64_e32 v[153:154], v[2:3], v[20:21]
	v_mul_f64_e32 v[20:21], v[4:5], v[20:21]
	s_wait_loadcnt_dscnt 0x900
	v_mul_f64_e32 v[147:148], v[42:43], v[24:25]
	v_mul_f64_e32 v[24:25], v[44:45], v[24:25]
	v_add_f64_e32 v[143:144], v[143:144], v[151:152]
	v_add_f64_e32 v[145:146], v[145:146], v[149:150]
	v_fma_f64 v[149:150], v[4:5], v[18:19], v[153:154]
	v_fma_f64 v[151:152], v[2:3], v[18:19], -v[20:21]
	ds_load_b128 v[2:5], v1 offset:896
	scratch_load_b128 v[18:21], off, off offset:368
	v_fma_f64 v[44:45], v[44:45], v[22:23], v[147:148]
	v_fma_f64 v[42:43], v[42:43], v[22:23], -v[24:25]
	scratch_load_b128 v[22:25], off, off offset:384
	v_add_f64_e32 v[143:144], v[143:144], v[139:140]
	v_add_f64_e32 v[145:146], v[145:146], v[141:142]
	ds_load_b128 v[139:142], v1 offset:912
	s_wait_loadcnt_dscnt 0xa01
	v_mul_f64_e32 v[153:154], v[2:3], v[28:29]
	v_mul_f64_e32 v[28:29], v[4:5], v[28:29]
	s_wait_loadcnt_dscnt 0x900
	v_mul_f64_e32 v[147:148], v[139:140], v[32:33]
	v_mul_f64_e32 v[32:33], v[141:142], v[32:33]
	v_add_f64_e32 v[143:144], v[143:144], v[151:152]
	v_add_f64_e32 v[145:146], v[145:146], v[149:150]
	v_fma_f64 v[149:150], v[4:5], v[26:27], v[153:154]
	v_fma_f64 v[151:152], v[2:3], v[26:27], -v[28:29]
	ds_load_b128 v[2:5], v1 offset:928
	scratch_load_b128 v[26:29], off, off offset:400
	v_fma_f64 v[141:142], v[141:142], v[30:31], v[147:148]
	v_fma_f64 v[139:140], v[139:140], v[30:31], -v[32:33]
	scratch_load_b128 v[30:33], off, off offset:416
	v_add_f64_e32 v[143:144], v[143:144], v[42:43]
	v_add_f64_e32 v[145:146], v[145:146], v[44:45]
	ds_load_b128 v[42:45], v1 offset:944
	s_wait_loadcnt_dscnt 0xa01
	v_mul_f64_e32 v[153:154], v[2:3], v[36:37]
	v_mul_f64_e32 v[36:37], v[4:5], v[36:37]
	s_wait_loadcnt_dscnt 0x800
	v_mul_f64_e32 v[147:148], v[42:43], v[137:138]
	v_add_f64_e32 v[143:144], v[143:144], v[151:152]
	v_add_f64_e32 v[145:146], v[145:146], v[149:150]
	v_mul_f64_e32 v[149:150], v[44:45], v[137:138]
	v_fma_f64 v[151:152], v[4:5], v[34:35], v[153:154]
	v_fma_f64 v[153:154], v[2:3], v[34:35], -v[36:37]
	ds_load_b128 v[2:5], v1 offset:960
	scratch_load_b128 v[34:37], off, off offset:432
	v_fma_f64 v[44:45], v[44:45], v[135:136], v[147:148]
	v_add_f64_e32 v[143:144], v[143:144], v[139:140]
	v_add_f64_e32 v[141:142], v[145:146], v[141:142]
	ds_load_b128 v[137:140], v1 offset:976
	v_fma_f64 v[135:136], v[42:43], v[135:136], -v[149:150]
	s_wait_loadcnt_dscnt 0x801
	v_mul_f64_e32 v[145:146], v[2:3], v[40:41]
	v_mul_f64_e32 v[155:156], v[4:5], v[40:41]
	scratch_load_b128 v[40:43], off, off offset:448
	s_wait_loadcnt_dscnt 0x800
	v_mul_f64_e32 v[149:150], v[137:138], v[8:9]
	v_mul_f64_e32 v[8:9], v[139:140], v[8:9]
	v_add_f64_e32 v[143:144], v[143:144], v[153:154]
	v_add_f64_e32 v[141:142], v[141:142], v[151:152]
	v_fma_f64 v[151:152], v[4:5], v[38:39], v[145:146]
	v_fma_f64 v[38:39], v[2:3], v[38:39], -v[155:156]
	ds_load_b128 v[2:5], v1 offset:992
	ds_load_b128 v[145:148], v1 offset:1008
	v_fma_f64 v[139:140], v[139:140], v[6:7], v[149:150]
	v_fma_f64 v[137:138], v[137:138], v[6:7], -v[8:9]
	scratch_load_b128 v[6:9], off, off offset:480
	v_add_f64_e32 v[135:136], v[143:144], v[135:136]
	v_add_f64_e32 v[44:45], v[141:142], v[44:45]
	scratch_load_b128 v[141:144], off, off offset:464
	s_wait_loadcnt_dscnt 0x901
	v_mul_f64_e32 v[153:154], v[2:3], v[12:13]
	v_mul_f64_e32 v[12:13], v[4:5], v[12:13]
	s_wait_loadcnt_dscnt 0x800
	v_mul_f64_e32 v[149:150], v[145:146], v[16:17]
	v_mul_f64_e32 v[16:17], v[147:148], v[16:17]
	v_add_f64_e32 v[38:39], v[135:136], v[38:39]
	v_add_f64_e32 v[44:45], v[44:45], v[151:152]
	v_fma_f64 v[151:152], v[4:5], v[10:11], v[153:154]
	v_fma_f64 v[153:154], v[2:3], v[10:11], -v[12:13]
	ds_load_b128 v[2:5], v1 offset:1024
	scratch_load_b128 v[10:13], off, off offset:496
	v_fma_f64 v[147:148], v[147:148], v[14:15], v[149:150]
	v_fma_f64 v[145:146], v[145:146], v[14:15], -v[16:17]
	scratch_load_b128 v[14:17], off, off offset:512
	v_add_f64_e32 v[38:39], v[38:39], v[137:138]
	v_add_f64_e32 v[44:45], v[44:45], v[139:140]
	ds_load_b128 v[135:138], v1 offset:1040
	s_wait_loadcnt_dscnt 0x901
	v_mul_f64_e32 v[139:140], v[2:3], v[20:21]
	v_mul_f64_e32 v[20:21], v[4:5], v[20:21]
	s_wait_loadcnt_dscnt 0x800
	v_mul_f64_e32 v[149:150], v[135:136], v[24:25]
	v_mul_f64_e32 v[24:25], v[137:138], v[24:25]
	v_add_f64_e32 v[38:39], v[38:39], v[153:154]
	v_add_f64_e32 v[44:45], v[44:45], v[151:152]
	v_fma_f64 v[139:140], v[4:5], v[18:19], v[139:140]
	v_fma_f64 v[151:152], v[2:3], v[18:19], -v[20:21]
	ds_load_b128 v[2:5], v1 offset:1056
	scratch_load_b128 v[18:21], off, off offset:528
	v_fma_f64 v[137:138], v[137:138], v[22:23], v[149:150]
	v_fma_f64 v[135:136], v[135:136], v[22:23], -v[24:25]
	scratch_load_b128 v[22:25], off, off offset:544
	v_add_f64_e32 v[38:39], v[38:39], v[145:146]
	v_add_f64_e32 v[44:45], v[44:45], v[147:148]
	ds_load_b128 v[145:148], v1 offset:1072
	s_wait_loadcnt_dscnt 0x901
	v_mul_f64_e32 v[153:154], v[2:3], v[28:29]
	v_mul_f64_e32 v[28:29], v[4:5], v[28:29]
	v_add_f64_e32 v[38:39], v[38:39], v[151:152]
	v_add_f64_e32 v[44:45], v[44:45], v[139:140]
	s_wait_loadcnt_dscnt 0x800
	v_mul_f64_e32 v[139:140], v[145:146], v[32:33]
	v_mul_f64_e32 v[32:33], v[147:148], v[32:33]
	v_fma_f64 v[149:150], v[4:5], v[26:27], v[153:154]
	v_fma_f64 v[151:152], v[2:3], v[26:27], -v[28:29]
	ds_load_b128 v[2:5], v1 offset:1088
	scratch_load_b128 v[26:29], off, off offset:560
	v_add_f64_e32 v[38:39], v[38:39], v[135:136]
	v_add_f64_e32 v[44:45], v[44:45], v[137:138]
	ds_load_b128 v[135:138], v1 offset:1104
	s_wait_loadcnt_dscnt 0x801
	v_mul_f64_e32 v[153:154], v[2:3], v[36:37]
	v_mul_f64_e32 v[36:37], v[4:5], v[36:37]
	v_fma_f64 v[139:140], v[147:148], v[30:31], v[139:140]
	v_fma_f64 v[145:146], v[145:146], v[30:31], -v[32:33]
	scratch_load_b128 v[30:33], off, off offset:576
	s_wait_loadcnt_dscnt 0x800
	v_mul_f64_e32 v[147:148], v[135:136], v[42:43]
	v_add_f64_e32 v[38:39], v[38:39], v[151:152]
	v_add_f64_e32 v[44:45], v[44:45], v[149:150]
	v_mul_f64_e32 v[149:150], v[137:138], v[42:43]
	v_fma_f64 v[151:152], v[4:5], v[34:35], v[153:154]
	v_fma_f64 v[153:154], v[2:3], v[34:35], -v[36:37]
	ds_load_b128 v[2:5], v1 offset:1120
	scratch_load_b128 v[34:37], off, off offset:592
	v_fma_f64 v[137:138], v[137:138], v[40:41], v[147:148]
	v_add_f64_e32 v[38:39], v[38:39], v[145:146]
	v_add_f64_e32 v[139:140], v[44:45], v[139:140]
	ds_load_b128 v[42:45], v1 offset:1136
	v_fma_f64 v[135:136], v[135:136], v[40:41], -v[149:150]
	s_wait_loadcnt_dscnt 0x701
	v_mul_f64_e32 v[145:146], v[2:3], v[143:144]
	v_mul_f64_e32 v[143:144], v[4:5], v[143:144]
	s_wait_dscnt 0x0
	v_mul_f64_e32 v[149:150], v[42:43], v[8:9]
	v_mul_f64_e32 v[8:9], v[44:45], v[8:9]
	v_add_f64_e32 v[147:148], v[38:39], v[153:154]
	v_add_f64_e32 v[139:140], v[139:140], v[151:152]
	scratch_load_b128 v[38:41], off, off offset:608
	v_fma_f64 v[145:146], v[4:5], v[141:142], v[145:146]
	v_fma_f64 v[143:144], v[2:3], v[141:142], -v[143:144]
	ds_load_b128 v[2:5], v1 offset:1152
	v_fma_f64 v[44:45], v[44:45], v[6:7], v[149:150]
	v_fma_f64 v[42:43], v[42:43], v[6:7], -v[8:9]
	scratch_load_b128 v[6:9], off, off offset:640
	v_add_f64_e32 v[147:148], v[147:148], v[135:136]
	v_add_f64_e32 v[151:152], v[139:140], v[137:138]
	scratch_load_b128 v[135:138], off, off offset:624
	ds_load_b128 v[139:142], v1 offset:1168
	s_wait_loadcnt_dscnt 0x901
	v_mul_f64_e32 v[153:154], v[2:3], v[12:13]
	v_mul_f64_e32 v[12:13], v[4:5], v[12:13]
	v_add_f64_e32 v[143:144], v[147:148], v[143:144]
	v_add_f64_e32 v[145:146], v[151:152], v[145:146]
	s_wait_loadcnt_dscnt 0x800
	v_mul_f64_e32 v[147:148], v[139:140], v[16:17]
	v_mul_f64_e32 v[16:17], v[141:142], v[16:17]
	v_fma_f64 v[149:150], v[4:5], v[10:11], v[153:154]
	v_fma_f64 v[151:152], v[2:3], v[10:11], -v[12:13]
	ds_load_b128 v[2:5], v1 offset:1184
	scratch_load_b128 v[10:13], off, off offset:656
	v_add_f64_e32 v[143:144], v[143:144], v[42:43]
	v_add_f64_e32 v[145:146], v[145:146], v[44:45]
	ds_load_b128 v[42:45], v1 offset:1200
	s_wait_loadcnt_dscnt 0x801
	v_mul_f64_e32 v[153:154], v[2:3], v[20:21]
	v_mul_f64_e32 v[20:21], v[4:5], v[20:21]
	v_fma_f64 v[141:142], v[141:142], v[14:15], v[147:148]
	v_fma_f64 v[139:140], v[139:140], v[14:15], -v[16:17]
	scratch_load_b128 v[14:17], off, off offset:672
	s_wait_loadcnt_dscnt 0x800
	v_mul_f64_e32 v[147:148], v[42:43], v[24:25]
	v_mul_f64_e32 v[24:25], v[44:45], v[24:25]
	v_add_f64_e32 v[143:144], v[143:144], v[151:152]
	v_add_f64_e32 v[145:146], v[145:146], v[149:150]
	v_fma_f64 v[149:150], v[4:5], v[18:19], v[153:154]
	v_fma_f64 v[151:152], v[2:3], v[18:19], -v[20:21]
	ds_load_b128 v[2:5], v1 offset:1216
	ds_load_b128 v[18:21], v1 offset:1232
	v_fma_f64 v[44:45], v[44:45], v[22:23], v[147:148]
	v_fma_f64 v[22:23], v[42:43], v[22:23], -v[24:25]
	v_add_f64_e32 v[139:140], v[143:144], v[139:140]
	v_add_f64_e32 v[141:142], v[145:146], v[141:142]
	s_wait_loadcnt_dscnt 0x701
	v_mul_f64_e32 v[143:144], v[2:3], v[28:29]
	v_mul_f64_e32 v[28:29], v[4:5], v[28:29]
	s_delay_alu instid0(VALU_DEP_4) | instskip(NEXT) | instid1(VALU_DEP_4)
	v_add_f64_e32 v[24:25], v[139:140], v[151:152]
	v_add_f64_e32 v[42:43], v[141:142], v[149:150]
	s_wait_loadcnt_dscnt 0x600
	v_mul_f64_e32 v[139:140], v[18:19], v[32:33]
	v_mul_f64_e32 v[32:33], v[20:21], v[32:33]
	v_fma_f64 v[141:142], v[4:5], v[26:27], v[143:144]
	v_fma_f64 v[26:27], v[2:3], v[26:27], -v[28:29]
	v_add_f64_e32 v[28:29], v[24:25], v[22:23]
	v_add_f64_e32 v[42:43], v[42:43], v[44:45]
	ds_load_b128 v[2:5], v1 offset:1248
	ds_load_b128 v[22:25], v1 offset:1264
	v_fma_f64 v[20:21], v[20:21], v[30:31], v[139:140]
	v_fma_f64 v[18:19], v[18:19], v[30:31], -v[32:33]
	s_wait_loadcnt_dscnt 0x501
	v_mul_f64_e32 v[44:45], v[2:3], v[36:37]
	v_mul_f64_e32 v[36:37], v[4:5], v[36:37]
	v_add_f64_e32 v[26:27], v[28:29], v[26:27]
	v_add_f64_e32 v[28:29], v[42:43], v[141:142]
	s_wait_loadcnt_dscnt 0x400
	v_mul_f64_e32 v[30:31], v[22:23], v[40:41]
	v_mul_f64_e32 v[32:33], v[24:25], v[40:41]
	v_fma_f64 v[40:41], v[4:5], v[34:35], v[44:45]
	v_fma_f64 v[34:35], v[2:3], v[34:35], -v[36:37]
	v_add_f64_e32 v[26:27], v[26:27], v[18:19]
	v_add_f64_e32 v[28:29], v[28:29], v[20:21]
	ds_load_b128 v[2:5], v1 offset:1280
	ds_load_b128 v[18:21], v1 offset:1296
	v_fma_f64 v[24:25], v[24:25], v[38:39], v[30:31]
	v_fma_f64 v[22:23], v[22:23], v[38:39], -v[32:33]
	s_wait_loadcnt_dscnt 0x201
	v_mul_f64_e32 v[36:37], v[2:3], v[137:138]
	v_mul_f64_e32 v[42:43], v[4:5], v[137:138]
	s_wait_dscnt 0x0
	v_mul_f64_e32 v[30:31], v[18:19], v[8:9]
	v_mul_f64_e32 v[8:9], v[20:21], v[8:9]
	v_add_f64_e32 v[26:27], v[26:27], v[34:35]
	v_add_f64_e32 v[28:29], v[28:29], v[40:41]
	v_fma_f64 v[32:33], v[4:5], v[135:136], v[36:37]
	v_fma_f64 v[34:35], v[2:3], v[135:136], -v[42:43]
	v_fma_f64 v[20:21], v[20:21], v[6:7], v[30:31]
	v_fma_f64 v[6:7], v[18:19], v[6:7], -v[8:9]
	v_add_f64_e32 v[26:27], v[26:27], v[22:23]
	v_add_f64_e32 v[28:29], v[28:29], v[24:25]
	ds_load_b128 v[2:5], v1 offset:1312
	ds_load_b128 v[22:25], v1 offset:1328
	s_wait_loadcnt_dscnt 0x101
	v_mul_f64_e32 v[36:37], v[2:3], v[12:13]
	v_mul_f64_e32 v[12:13], v[4:5], v[12:13]
	v_add_f64_e32 v[8:9], v[26:27], v[34:35]
	v_add_f64_e32 v[18:19], v[28:29], v[32:33]
	s_wait_loadcnt_dscnt 0x0
	v_mul_f64_e32 v[26:27], v[22:23], v[16:17]
	v_mul_f64_e32 v[16:17], v[24:25], v[16:17]
	v_fma_f64 v[4:5], v[4:5], v[10:11], v[36:37]
	v_fma_f64 v[1:2], v[2:3], v[10:11], -v[12:13]
	v_add_f64_e32 v[6:7], v[8:9], v[6:7]
	v_add_f64_e32 v[8:9], v[18:19], v[20:21]
	v_fma_f64 v[10:11], v[24:25], v[14:15], v[26:27]
	v_fma_f64 v[12:13], v[22:23], v[14:15], -v[16:17]
	s_delay_alu instid0(VALU_DEP_4) | instskip(NEXT) | instid1(VALU_DEP_4)
	v_add_f64_e32 v[1:2], v[6:7], v[1:2]
	v_add_f64_e32 v[3:4], v[8:9], v[4:5]
	s_delay_alu instid0(VALU_DEP_2) | instskip(NEXT) | instid1(VALU_DEP_2)
	v_add_f64_e32 v[1:2], v[1:2], v[12:13]
	v_add_f64_e32 v[3:4], v[3:4], v[10:11]
	s_delay_alu instid0(VALU_DEP_2) | instskip(NEXT) | instid1(VALU_DEP_2)
	v_add_f64_e64 v[1:2], v[131:132], -v[1:2]
	v_add_f64_e64 v[3:4], v[133:134], -v[3:4]
	scratch_store_b128 off, v[1:4], off offset:128
	v_cmpx_lt_u32_e32 6, v0
	s_cbranch_execz .LBB41_253
; %bb.252:
	scratch_load_b128 v[1:4], off, s49
	v_mov_b32_e32 v5, 0
	s_delay_alu instid0(VALU_DEP_1)
	v_dual_mov_b32 v6, v5 :: v_dual_mov_b32 v7, v5
	v_mov_b32_e32 v8, v5
	scratch_store_b128 off, v[5:8], off offset:112
	s_wait_loadcnt 0x0
	ds_store_b128 v130, v[1:4]
.LBB41_253:
	s_wait_alu 0xfffe
	s_or_b32 exec_lo, exec_lo, s0
	s_wait_storecnt_dscnt 0x0
	s_barrier_signal -1
	s_barrier_wait -1
	global_inv scope:SCOPE_SE
	s_clause 0x7
	scratch_load_b128 v[2:5], off, off offset:128
	scratch_load_b128 v[6:9], off, off offset:144
	;; [unrolled: 1-line block ×8, first 2 shown]
	v_mov_b32_e32 v1, 0
	s_mov_b32 s0, exec_lo
	ds_load_b128 v[38:41], v1 offset:784
	s_clause 0x1
	scratch_load_b128 v[34:37], off, off offset:256
	scratch_load_b128 v[42:45], off, off offset:112
	ds_load_b128 v[131:134], v1 offset:800
	scratch_load_b128 v[135:138], off, off offset:272
	s_wait_loadcnt_dscnt 0xa01
	v_mul_f64_e32 v[139:140], v[40:41], v[4:5]
	v_mul_f64_e32 v[4:5], v[38:39], v[4:5]
	s_delay_alu instid0(VALU_DEP_2) | instskip(NEXT) | instid1(VALU_DEP_2)
	v_fma_f64 v[145:146], v[38:39], v[2:3], -v[139:140]
	v_fma_f64 v[147:148], v[40:41], v[2:3], v[4:5]
	ds_load_b128 v[2:5], v1 offset:816
	s_wait_loadcnt_dscnt 0x901
	v_mul_f64_e32 v[143:144], v[131:132], v[8:9]
	v_mul_f64_e32 v[8:9], v[133:134], v[8:9]
	scratch_load_b128 v[38:41], off, off offset:288
	ds_load_b128 v[139:142], v1 offset:832
	s_wait_loadcnt_dscnt 0x901
	v_mul_f64_e32 v[149:150], v[2:3], v[12:13]
	v_mul_f64_e32 v[12:13], v[4:5], v[12:13]
	v_fma_f64 v[133:134], v[133:134], v[6:7], v[143:144]
	v_fma_f64 v[131:132], v[131:132], v[6:7], -v[8:9]
	v_add_f64_e32 v[143:144], 0, v[145:146]
	v_add_f64_e32 v[145:146], 0, v[147:148]
	scratch_load_b128 v[6:9], off, off offset:304
	v_fma_f64 v[149:150], v[4:5], v[10:11], v[149:150]
	v_fma_f64 v[151:152], v[2:3], v[10:11], -v[12:13]
	ds_load_b128 v[2:5], v1 offset:848
	s_wait_loadcnt_dscnt 0x901
	v_mul_f64_e32 v[147:148], v[139:140], v[16:17]
	v_mul_f64_e32 v[16:17], v[141:142], v[16:17]
	scratch_load_b128 v[10:13], off, off offset:320
	v_add_f64_e32 v[143:144], v[143:144], v[131:132]
	v_add_f64_e32 v[145:146], v[145:146], v[133:134]
	s_wait_loadcnt_dscnt 0x900
	v_mul_f64_e32 v[153:154], v[2:3], v[20:21]
	v_mul_f64_e32 v[20:21], v[4:5], v[20:21]
	ds_load_b128 v[131:134], v1 offset:864
	v_fma_f64 v[141:142], v[141:142], v[14:15], v[147:148]
	v_fma_f64 v[139:140], v[139:140], v[14:15], -v[16:17]
	scratch_load_b128 v[14:17], off, off offset:336
	v_add_f64_e32 v[143:144], v[143:144], v[151:152]
	v_add_f64_e32 v[145:146], v[145:146], v[149:150]
	v_fma_f64 v[149:150], v[4:5], v[18:19], v[153:154]
	v_fma_f64 v[151:152], v[2:3], v[18:19], -v[20:21]
	ds_load_b128 v[2:5], v1 offset:880
	s_wait_loadcnt_dscnt 0x901
	v_mul_f64_e32 v[147:148], v[131:132], v[24:25]
	v_mul_f64_e32 v[24:25], v[133:134], v[24:25]
	scratch_load_b128 v[18:21], off, off offset:352
	s_wait_loadcnt_dscnt 0x900
	v_mul_f64_e32 v[153:154], v[2:3], v[28:29]
	v_mul_f64_e32 v[28:29], v[4:5], v[28:29]
	v_add_f64_e32 v[143:144], v[143:144], v[139:140]
	v_add_f64_e32 v[145:146], v[145:146], v[141:142]
	ds_load_b128 v[139:142], v1 offset:896
	v_fma_f64 v[133:134], v[133:134], v[22:23], v[147:148]
	v_fma_f64 v[131:132], v[131:132], v[22:23], -v[24:25]
	scratch_load_b128 v[22:25], off, off offset:368
	v_add_f64_e32 v[143:144], v[143:144], v[151:152]
	v_add_f64_e32 v[145:146], v[145:146], v[149:150]
	v_fma_f64 v[149:150], v[4:5], v[26:27], v[153:154]
	v_fma_f64 v[151:152], v[2:3], v[26:27], -v[28:29]
	ds_load_b128 v[2:5], v1 offset:912
	s_wait_loadcnt_dscnt 0x901
	v_mul_f64_e32 v[147:148], v[139:140], v[32:33]
	v_mul_f64_e32 v[32:33], v[141:142], v[32:33]
	scratch_load_b128 v[26:29], off, off offset:384
	s_wait_loadcnt_dscnt 0x900
	v_mul_f64_e32 v[153:154], v[2:3], v[36:37]
	v_mul_f64_e32 v[36:37], v[4:5], v[36:37]
	v_add_f64_e32 v[143:144], v[143:144], v[131:132]
	v_add_f64_e32 v[145:146], v[145:146], v[133:134]
	ds_load_b128 v[131:134], v1 offset:928
	v_fma_f64 v[141:142], v[141:142], v[30:31], v[147:148]
	v_fma_f64 v[139:140], v[139:140], v[30:31], -v[32:33]
	scratch_load_b128 v[30:33], off, off offset:400
	v_add_f64_e32 v[143:144], v[143:144], v[151:152]
	v_add_f64_e32 v[145:146], v[145:146], v[149:150]
	v_fma_f64 v[151:152], v[4:5], v[34:35], v[153:154]
	v_fma_f64 v[153:154], v[2:3], v[34:35], -v[36:37]
	ds_load_b128 v[2:5], v1 offset:944
	s_wait_loadcnt_dscnt 0x801
	v_mul_f64_e32 v[147:148], v[131:132], v[137:138]
	v_mul_f64_e32 v[149:150], v[133:134], v[137:138]
	scratch_load_b128 v[34:37], off, off offset:416
	v_add_f64_e32 v[143:144], v[143:144], v[139:140]
	v_add_f64_e32 v[141:142], v[145:146], v[141:142]
	ds_load_b128 v[137:140], v1 offset:960
	v_fma_f64 v[147:148], v[133:134], v[135:136], v[147:148]
	v_fma_f64 v[135:136], v[131:132], v[135:136], -v[149:150]
	scratch_load_b128 v[131:134], off, off offset:432
	s_wait_loadcnt_dscnt 0x901
	v_mul_f64_e32 v[145:146], v[2:3], v[40:41]
	v_mul_f64_e32 v[40:41], v[4:5], v[40:41]
	v_add_f64_e32 v[143:144], v[143:144], v[153:154]
	v_add_f64_e32 v[141:142], v[141:142], v[151:152]
	s_delay_alu instid0(VALU_DEP_4) | instskip(NEXT) | instid1(VALU_DEP_4)
	v_fma_f64 v[145:146], v[4:5], v[38:39], v[145:146]
	v_fma_f64 v[151:152], v[2:3], v[38:39], -v[40:41]
	ds_load_b128 v[2:5], v1 offset:976
	s_wait_loadcnt_dscnt 0x801
	v_mul_f64_e32 v[149:150], v[137:138], v[8:9]
	v_mul_f64_e32 v[8:9], v[139:140], v[8:9]
	scratch_load_b128 v[38:41], off, off offset:448
	s_wait_loadcnt_dscnt 0x800
	v_mul_f64_e32 v[153:154], v[2:3], v[12:13]
	v_add_f64_e32 v[135:136], v[143:144], v[135:136]
	v_add_f64_e32 v[147:148], v[141:142], v[147:148]
	v_mul_f64_e32 v[12:13], v[4:5], v[12:13]
	ds_load_b128 v[141:144], v1 offset:992
	v_fma_f64 v[139:140], v[139:140], v[6:7], v[149:150]
	v_fma_f64 v[137:138], v[137:138], v[6:7], -v[8:9]
	scratch_load_b128 v[6:9], off, off offset:464
	v_fma_f64 v[149:150], v[4:5], v[10:11], v[153:154]
	v_add_f64_e32 v[135:136], v[135:136], v[151:152]
	v_add_f64_e32 v[145:146], v[147:148], v[145:146]
	v_fma_f64 v[151:152], v[2:3], v[10:11], -v[12:13]
	ds_load_b128 v[2:5], v1 offset:1008
	s_wait_loadcnt_dscnt 0x801
	v_mul_f64_e32 v[147:148], v[141:142], v[16:17]
	v_mul_f64_e32 v[16:17], v[143:144], v[16:17]
	scratch_load_b128 v[10:13], off, off offset:480
	v_add_f64_e32 v[153:154], v[135:136], v[137:138]
	v_add_f64_e32 v[139:140], v[145:146], v[139:140]
	s_wait_loadcnt_dscnt 0x800
	v_mul_f64_e32 v[145:146], v[2:3], v[20:21]
	v_mul_f64_e32 v[20:21], v[4:5], v[20:21]
	v_fma_f64 v[143:144], v[143:144], v[14:15], v[147:148]
	v_fma_f64 v[141:142], v[141:142], v[14:15], -v[16:17]
	ds_load_b128 v[135:138], v1 offset:1024
	scratch_load_b128 v[14:17], off, off offset:496
	v_add_f64_e32 v[147:148], v[153:154], v[151:152]
	v_add_f64_e32 v[139:140], v[139:140], v[149:150]
	v_fma_f64 v[145:146], v[4:5], v[18:19], v[145:146]
	v_fma_f64 v[151:152], v[2:3], v[18:19], -v[20:21]
	ds_load_b128 v[2:5], v1 offset:1040
	s_wait_loadcnt_dscnt 0x801
	v_mul_f64_e32 v[149:150], v[135:136], v[24:25]
	v_mul_f64_e32 v[24:25], v[137:138], v[24:25]
	scratch_load_b128 v[18:21], off, off offset:512
	s_wait_loadcnt_dscnt 0x800
	v_mul_f64_e32 v[153:154], v[2:3], v[28:29]
	v_mul_f64_e32 v[28:29], v[4:5], v[28:29]
	v_add_f64_e32 v[147:148], v[147:148], v[141:142]
	v_add_f64_e32 v[143:144], v[139:140], v[143:144]
	ds_load_b128 v[139:142], v1 offset:1056
	v_fma_f64 v[137:138], v[137:138], v[22:23], v[149:150]
	v_fma_f64 v[135:136], v[135:136], v[22:23], -v[24:25]
	scratch_load_b128 v[22:25], off, off offset:528
	v_fma_f64 v[149:150], v[4:5], v[26:27], v[153:154]
	v_add_f64_e32 v[147:148], v[147:148], v[151:152]
	v_add_f64_e32 v[143:144], v[143:144], v[145:146]
	v_fma_f64 v[151:152], v[2:3], v[26:27], -v[28:29]
	ds_load_b128 v[2:5], v1 offset:1072
	s_wait_loadcnt_dscnt 0x801
	v_mul_f64_e32 v[145:146], v[139:140], v[32:33]
	v_mul_f64_e32 v[32:33], v[141:142], v[32:33]
	scratch_load_b128 v[26:29], off, off offset:544
	s_wait_loadcnt_dscnt 0x800
	v_mul_f64_e32 v[153:154], v[2:3], v[36:37]
	v_mul_f64_e32 v[36:37], v[4:5], v[36:37]
	v_add_f64_e32 v[147:148], v[147:148], v[135:136]
	v_add_f64_e32 v[143:144], v[143:144], v[137:138]
	ds_load_b128 v[135:138], v1 offset:1088
	v_fma_f64 v[141:142], v[141:142], v[30:31], v[145:146]
	v_fma_f64 v[139:140], v[139:140], v[30:31], -v[32:33]
	scratch_load_b128 v[30:33], off, off offset:560
	v_add_f64_e32 v[145:146], v[147:148], v[151:152]
	v_add_f64_e32 v[143:144], v[143:144], v[149:150]
	v_fma_f64 v[149:150], v[4:5], v[34:35], v[153:154]
	v_fma_f64 v[151:152], v[2:3], v[34:35], -v[36:37]
	ds_load_b128 v[2:5], v1 offset:1104
	s_wait_loadcnt_dscnt 0x801
	v_mul_f64_e32 v[147:148], v[135:136], v[133:134]
	v_mul_f64_e32 v[133:134], v[137:138], v[133:134]
	scratch_load_b128 v[34:37], off, off offset:576
	s_wait_loadcnt_dscnt 0x800
	v_mul_f64_e32 v[153:154], v[2:3], v[40:41]
	v_mul_f64_e32 v[40:41], v[4:5], v[40:41]
	v_add_f64_e32 v[145:146], v[145:146], v[139:140]
	v_add_f64_e32 v[143:144], v[143:144], v[141:142]
	ds_load_b128 v[139:142], v1 offset:1120
	v_fma_f64 v[137:138], v[137:138], v[131:132], v[147:148]
	v_fma_f64 v[135:136], v[135:136], v[131:132], -v[133:134]
	scratch_load_b128 v[131:134], off, off offset:592
	v_add_f64_e32 v[145:146], v[145:146], v[151:152]
	v_add_f64_e32 v[143:144], v[143:144], v[149:150]
	v_fma_f64 v[149:150], v[4:5], v[38:39], v[153:154]
	;; [unrolled: 18-line block ×4, first 2 shown]
	v_fma_f64 v[151:152], v[2:3], v[18:19], -v[20:21]
	ds_load_b128 v[2:5], v1 offset:1200
	s_wait_loadcnt_dscnt 0x801
	v_mul_f64_e32 v[147:148], v[139:140], v[24:25]
	v_mul_f64_e32 v[24:25], v[141:142], v[24:25]
	scratch_load_b128 v[18:21], off, off offset:672
	s_wait_loadcnt_dscnt 0x800
	v_mul_f64_e32 v[153:154], v[2:3], v[28:29]
	v_mul_f64_e32 v[28:29], v[4:5], v[28:29]
	v_add_f64_e32 v[145:146], v[145:146], v[135:136]
	v_add_f64_e32 v[143:144], v[143:144], v[137:138]
	ds_load_b128 v[135:138], v1 offset:1216
	v_fma_f64 v[141:142], v[141:142], v[22:23], v[147:148]
	v_fma_f64 v[22:23], v[139:140], v[22:23], -v[24:25]
	v_add_f64_e32 v[24:25], v[145:146], v[151:152]
	v_add_f64_e32 v[139:140], v[143:144], v[149:150]
	s_wait_loadcnt_dscnt 0x700
	v_mul_f64_e32 v[143:144], v[135:136], v[32:33]
	v_mul_f64_e32 v[32:33], v[137:138], v[32:33]
	v_fma_f64 v[145:146], v[4:5], v[26:27], v[153:154]
	v_fma_f64 v[26:27], v[2:3], v[26:27], -v[28:29]
	v_add_f64_e32 v[28:29], v[24:25], v[22:23]
	v_add_f64_e32 v[139:140], v[139:140], v[141:142]
	ds_load_b128 v[2:5], v1 offset:1232
	ds_load_b128 v[22:25], v1 offset:1248
	v_fma_f64 v[137:138], v[137:138], v[30:31], v[143:144]
	v_fma_f64 v[30:31], v[135:136], v[30:31], -v[32:33]
	s_wait_loadcnt_dscnt 0x601
	v_mul_f64_e32 v[141:142], v[2:3], v[36:37]
	v_mul_f64_e32 v[36:37], v[4:5], v[36:37]
	s_wait_loadcnt_dscnt 0x500
	v_mul_f64_e32 v[32:33], v[22:23], v[133:134]
	v_mul_f64_e32 v[133:134], v[24:25], v[133:134]
	v_add_f64_e32 v[26:27], v[28:29], v[26:27]
	v_add_f64_e32 v[28:29], v[139:140], v[145:146]
	v_fma_f64 v[135:136], v[4:5], v[34:35], v[141:142]
	v_fma_f64 v[34:35], v[2:3], v[34:35], -v[36:37]
	v_fma_f64 v[24:25], v[24:25], v[131:132], v[32:33]
	v_fma_f64 v[22:23], v[22:23], v[131:132], -v[133:134]
	v_add_f64_e32 v[30:31], v[26:27], v[30:31]
	v_add_f64_e32 v[36:37], v[28:29], v[137:138]
	ds_load_b128 v[2:5], v1 offset:1264
	ds_load_b128 v[26:29], v1 offset:1280
	s_wait_loadcnt_dscnt 0x401
	v_mul_f64_e32 v[137:138], v[2:3], v[40:41]
	v_mul_f64_e32 v[40:41], v[4:5], v[40:41]
	v_add_f64_e32 v[30:31], v[30:31], v[34:35]
	v_add_f64_e32 v[32:33], v[36:37], v[135:136]
	s_wait_loadcnt_dscnt 0x300
	v_mul_f64_e32 v[34:35], v[26:27], v[8:9]
	v_mul_f64_e32 v[8:9], v[28:29], v[8:9]
	v_fma_f64 v[36:37], v[4:5], v[38:39], v[137:138]
	v_fma_f64 v[38:39], v[2:3], v[38:39], -v[40:41]
	v_add_f64_e32 v[30:31], v[30:31], v[22:23]
	v_add_f64_e32 v[32:33], v[32:33], v[24:25]
	ds_load_b128 v[2:5], v1 offset:1296
	ds_load_b128 v[22:25], v1 offset:1312
	v_fma_f64 v[28:29], v[28:29], v[6:7], v[34:35]
	v_fma_f64 v[6:7], v[26:27], v[6:7], -v[8:9]
	s_wait_loadcnt_dscnt 0x201
	v_mul_f64_e32 v[40:41], v[2:3], v[12:13]
	v_mul_f64_e32 v[12:13], v[4:5], v[12:13]
	v_add_f64_e32 v[8:9], v[30:31], v[38:39]
	v_add_f64_e32 v[26:27], v[32:33], v[36:37]
	s_wait_loadcnt_dscnt 0x100
	v_mul_f64_e32 v[30:31], v[22:23], v[16:17]
	v_mul_f64_e32 v[16:17], v[24:25], v[16:17]
	v_fma_f64 v[32:33], v[4:5], v[10:11], v[40:41]
	v_fma_f64 v[10:11], v[2:3], v[10:11], -v[12:13]
	ds_load_b128 v[2:5], v1 offset:1328
	v_add_f64_e32 v[6:7], v[8:9], v[6:7]
	v_add_f64_e32 v[8:9], v[26:27], v[28:29]
	v_fma_f64 v[24:25], v[24:25], v[14:15], v[30:31]
	v_fma_f64 v[14:15], v[22:23], v[14:15], -v[16:17]
	s_wait_loadcnt_dscnt 0x0
	v_mul_f64_e32 v[12:13], v[2:3], v[20:21]
	v_mul_f64_e32 v[20:21], v[4:5], v[20:21]
	v_add_f64_e32 v[6:7], v[6:7], v[10:11]
	v_add_f64_e32 v[8:9], v[8:9], v[32:33]
	s_delay_alu instid0(VALU_DEP_4) | instskip(NEXT) | instid1(VALU_DEP_4)
	v_fma_f64 v[4:5], v[4:5], v[18:19], v[12:13]
	v_fma_f64 v[2:3], v[2:3], v[18:19], -v[20:21]
	s_delay_alu instid0(VALU_DEP_4) | instskip(NEXT) | instid1(VALU_DEP_4)
	v_add_f64_e32 v[6:7], v[6:7], v[14:15]
	v_add_f64_e32 v[8:9], v[8:9], v[24:25]
	s_delay_alu instid0(VALU_DEP_2) | instskip(NEXT) | instid1(VALU_DEP_2)
	v_add_f64_e32 v[2:3], v[6:7], v[2:3]
	v_add_f64_e32 v[4:5], v[8:9], v[4:5]
	s_delay_alu instid0(VALU_DEP_2) | instskip(NEXT) | instid1(VALU_DEP_2)
	v_add_f64_e64 v[2:3], v[42:43], -v[2:3]
	v_add_f64_e64 v[4:5], v[44:45], -v[4:5]
	scratch_store_b128 off, v[2:5], off offset:112
	v_cmpx_lt_u32_e32 5, v0
	s_cbranch_execz .LBB41_255
; %bb.254:
	scratch_load_b128 v[5:8], off, s50
	v_dual_mov_b32 v2, v1 :: v_dual_mov_b32 v3, v1
	v_mov_b32_e32 v4, v1
	scratch_store_b128 off, v[1:4], off offset:96
	s_wait_loadcnt 0x0
	ds_store_b128 v130, v[5:8]
.LBB41_255:
	s_wait_alu 0xfffe
	s_or_b32 exec_lo, exec_lo, s0
	s_wait_storecnt_dscnt 0x0
	s_barrier_signal -1
	s_barrier_wait -1
	global_inv scope:SCOPE_SE
	s_clause 0x8
	scratch_load_b128 v[2:5], off, off offset:112
	scratch_load_b128 v[6:9], off, off offset:128
	;; [unrolled: 1-line block ×9, first 2 shown]
	ds_load_b128 v[38:41], v1 offset:768
	ds_load_b128 v[42:45], v1 offset:784
	s_clause 0x1
	scratch_load_b128 v[131:134], off, off offset:96
	scratch_load_b128 v[135:138], off, off offset:256
	s_mov_b32 s0, exec_lo
	s_wait_loadcnt_dscnt 0xa01
	v_mul_f64_e32 v[139:140], v[40:41], v[4:5]
	v_mul_f64_e32 v[4:5], v[38:39], v[4:5]
	s_wait_loadcnt_dscnt 0x900
	v_mul_f64_e32 v[143:144], v[42:43], v[8:9]
	v_mul_f64_e32 v[8:9], v[44:45], v[8:9]
	s_delay_alu instid0(VALU_DEP_4) | instskip(NEXT) | instid1(VALU_DEP_4)
	v_fma_f64 v[145:146], v[38:39], v[2:3], -v[139:140]
	v_fma_f64 v[147:148], v[40:41], v[2:3], v[4:5]
	ds_load_b128 v[2:5], v1 offset:800
	ds_load_b128 v[139:142], v1 offset:816
	scratch_load_b128 v[38:41], off, off offset:272
	v_fma_f64 v[44:45], v[44:45], v[6:7], v[143:144]
	v_fma_f64 v[42:43], v[42:43], v[6:7], -v[8:9]
	scratch_load_b128 v[6:9], off, off offset:288
	s_wait_loadcnt_dscnt 0xa01
	v_mul_f64_e32 v[149:150], v[2:3], v[12:13]
	v_mul_f64_e32 v[12:13], v[4:5], v[12:13]
	v_add_f64_e32 v[143:144], 0, v[145:146]
	v_add_f64_e32 v[145:146], 0, v[147:148]
	s_wait_loadcnt_dscnt 0x900
	v_mul_f64_e32 v[147:148], v[139:140], v[16:17]
	v_mul_f64_e32 v[16:17], v[141:142], v[16:17]
	v_fma_f64 v[149:150], v[4:5], v[10:11], v[149:150]
	v_fma_f64 v[151:152], v[2:3], v[10:11], -v[12:13]
	ds_load_b128 v[2:5], v1 offset:832
	scratch_load_b128 v[10:13], off, off offset:304
	v_add_f64_e32 v[143:144], v[143:144], v[42:43]
	v_add_f64_e32 v[145:146], v[145:146], v[44:45]
	ds_load_b128 v[42:45], v1 offset:848
	v_fma_f64 v[141:142], v[141:142], v[14:15], v[147:148]
	v_fma_f64 v[139:140], v[139:140], v[14:15], -v[16:17]
	scratch_load_b128 v[14:17], off, off offset:320
	s_wait_loadcnt_dscnt 0xa01
	v_mul_f64_e32 v[153:154], v[2:3], v[20:21]
	v_mul_f64_e32 v[20:21], v[4:5], v[20:21]
	s_wait_loadcnt_dscnt 0x900
	v_mul_f64_e32 v[147:148], v[42:43], v[24:25]
	v_mul_f64_e32 v[24:25], v[44:45], v[24:25]
	v_add_f64_e32 v[143:144], v[143:144], v[151:152]
	v_add_f64_e32 v[145:146], v[145:146], v[149:150]
	v_fma_f64 v[149:150], v[4:5], v[18:19], v[153:154]
	v_fma_f64 v[151:152], v[2:3], v[18:19], -v[20:21]
	ds_load_b128 v[2:5], v1 offset:864
	scratch_load_b128 v[18:21], off, off offset:336
	v_fma_f64 v[44:45], v[44:45], v[22:23], v[147:148]
	v_fma_f64 v[42:43], v[42:43], v[22:23], -v[24:25]
	scratch_load_b128 v[22:25], off, off offset:352
	v_add_f64_e32 v[143:144], v[143:144], v[139:140]
	v_add_f64_e32 v[145:146], v[145:146], v[141:142]
	ds_load_b128 v[139:142], v1 offset:880
	s_wait_loadcnt_dscnt 0xa01
	v_mul_f64_e32 v[153:154], v[2:3], v[28:29]
	v_mul_f64_e32 v[28:29], v[4:5], v[28:29]
	s_wait_loadcnt_dscnt 0x900
	v_mul_f64_e32 v[147:148], v[139:140], v[32:33]
	v_mul_f64_e32 v[32:33], v[141:142], v[32:33]
	v_add_f64_e32 v[143:144], v[143:144], v[151:152]
	v_add_f64_e32 v[145:146], v[145:146], v[149:150]
	v_fma_f64 v[149:150], v[4:5], v[26:27], v[153:154]
	v_fma_f64 v[151:152], v[2:3], v[26:27], -v[28:29]
	ds_load_b128 v[2:5], v1 offset:896
	scratch_load_b128 v[26:29], off, off offset:368
	v_fma_f64 v[141:142], v[141:142], v[30:31], v[147:148]
	v_fma_f64 v[139:140], v[139:140], v[30:31], -v[32:33]
	scratch_load_b128 v[30:33], off, off offset:384
	v_add_f64_e32 v[143:144], v[143:144], v[42:43]
	v_add_f64_e32 v[145:146], v[145:146], v[44:45]
	ds_load_b128 v[42:45], v1 offset:912
	s_wait_loadcnt_dscnt 0xa01
	v_mul_f64_e32 v[153:154], v[2:3], v[36:37]
	v_mul_f64_e32 v[36:37], v[4:5], v[36:37]
	s_wait_loadcnt_dscnt 0x800
	v_mul_f64_e32 v[147:148], v[42:43], v[137:138]
	v_add_f64_e32 v[143:144], v[143:144], v[151:152]
	v_add_f64_e32 v[145:146], v[145:146], v[149:150]
	v_mul_f64_e32 v[149:150], v[44:45], v[137:138]
	v_fma_f64 v[151:152], v[4:5], v[34:35], v[153:154]
	v_fma_f64 v[153:154], v[2:3], v[34:35], -v[36:37]
	ds_load_b128 v[2:5], v1 offset:928
	scratch_load_b128 v[34:37], off, off offset:400
	v_fma_f64 v[44:45], v[44:45], v[135:136], v[147:148]
	v_add_f64_e32 v[143:144], v[143:144], v[139:140]
	v_add_f64_e32 v[141:142], v[145:146], v[141:142]
	ds_load_b128 v[137:140], v1 offset:944
	v_fma_f64 v[135:136], v[42:43], v[135:136], -v[149:150]
	s_wait_loadcnt_dscnt 0x801
	v_mul_f64_e32 v[145:146], v[2:3], v[40:41]
	v_mul_f64_e32 v[155:156], v[4:5], v[40:41]
	scratch_load_b128 v[40:43], off, off offset:416
	s_wait_loadcnt_dscnt 0x800
	v_mul_f64_e32 v[149:150], v[137:138], v[8:9]
	v_mul_f64_e32 v[8:9], v[139:140], v[8:9]
	v_add_f64_e32 v[143:144], v[143:144], v[153:154]
	v_add_f64_e32 v[141:142], v[141:142], v[151:152]
	v_fma_f64 v[151:152], v[4:5], v[38:39], v[145:146]
	v_fma_f64 v[38:39], v[2:3], v[38:39], -v[155:156]
	ds_load_b128 v[2:5], v1 offset:960
	ds_load_b128 v[145:148], v1 offset:976
	v_fma_f64 v[139:140], v[139:140], v[6:7], v[149:150]
	v_fma_f64 v[137:138], v[137:138], v[6:7], -v[8:9]
	scratch_load_b128 v[6:9], off, off offset:448
	v_add_f64_e32 v[135:136], v[143:144], v[135:136]
	v_add_f64_e32 v[44:45], v[141:142], v[44:45]
	scratch_load_b128 v[141:144], off, off offset:432
	s_wait_loadcnt_dscnt 0x901
	v_mul_f64_e32 v[153:154], v[2:3], v[12:13]
	v_mul_f64_e32 v[12:13], v[4:5], v[12:13]
	s_wait_loadcnt_dscnt 0x800
	v_mul_f64_e32 v[149:150], v[145:146], v[16:17]
	v_mul_f64_e32 v[16:17], v[147:148], v[16:17]
	v_add_f64_e32 v[38:39], v[135:136], v[38:39]
	v_add_f64_e32 v[44:45], v[44:45], v[151:152]
	v_fma_f64 v[151:152], v[4:5], v[10:11], v[153:154]
	v_fma_f64 v[153:154], v[2:3], v[10:11], -v[12:13]
	ds_load_b128 v[2:5], v1 offset:992
	scratch_load_b128 v[10:13], off, off offset:464
	v_fma_f64 v[147:148], v[147:148], v[14:15], v[149:150]
	v_fma_f64 v[145:146], v[145:146], v[14:15], -v[16:17]
	scratch_load_b128 v[14:17], off, off offset:480
	v_add_f64_e32 v[38:39], v[38:39], v[137:138]
	v_add_f64_e32 v[44:45], v[44:45], v[139:140]
	ds_load_b128 v[135:138], v1 offset:1008
	s_wait_loadcnt_dscnt 0x901
	v_mul_f64_e32 v[139:140], v[2:3], v[20:21]
	v_mul_f64_e32 v[20:21], v[4:5], v[20:21]
	s_wait_loadcnt_dscnt 0x800
	v_mul_f64_e32 v[149:150], v[135:136], v[24:25]
	v_mul_f64_e32 v[24:25], v[137:138], v[24:25]
	v_add_f64_e32 v[38:39], v[38:39], v[153:154]
	v_add_f64_e32 v[44:45], v[44:45], v[151:152]
	v_fma_f64 v[139:140], v[4:5], v[18:19], v[139:140]
	v_fma_f64 v[151:152], v[2:3], v[18:19], -v[20:21]
	ds_load_b128 v[2:5], v1 offset:1024
	scratch_load_b128 v[18:21], off, off offset:496
	v_fma_f64 v[137:138], v[137:138], v[22:23], v[149:150]
	v_fma_f64 v[135:136], v[135:136], v[22:23], -v[24:25]
	scratch_load_b128 v[22:25], off, off offset:512
	v_add_f64_e32 v[38:39], v[38:39], v[145:146]
	v_add_f64_e32 v[44:45], v[44:45], v[147:148]
	ds_load_b128 v[145:148], v1 offset:1040
	s_wait_loadcnt_dscnt 0x901
	v_mul_f64_e32 v[153:154], v[2:3], v[28:29]
	v_mul_f64_e32 v[28:29], v[4:5], v[28:29]
	v_add_f64_e32 v[38:39], v[38:39], v[151:152]
	v_add_f64_e32 v[44:45], v[44:45], v[139:140]
	s_wait_loadcnt_dscnt 0x800
	v_mul_f64_e32 v[139:140], v[145:146], v[32:33]
	v_mul_f64_e32 v[32:33], v[147:148], v[32:33]
	v_fma_f64 v[149:150], v[4:5], v[26:27], v[153:154]
	v_fma_f64 v[151:152], v[2:3], v[26:27], -v[28:29]
	ds_load_b128 v[2:5], v1 offset:1056
	scratch_load_b128 v[26:29], off, off offset:528
	v_add_f64_e32 v[38:39], v[38:39], v[135:136]
	v_add_f64_e32 v[44:45], v[44:45], v[137:138]
	ds_load_b128 v[135:138], v1 offset:1072
	s_wait_loadcnt_dscnt 0x801
	v_mul_f64_e32 v[153:154], v[2:3], v[36:37]
	v_mul_f64_e32 v[36:37], v[4:5], v[36:37]
	v_fma_f64 v[139:140], v[147:148], v[30:31], v[139:140]
	v_fma_f64 v[145:146], v[145:146], v[30:31], -v[32:33]
	scratch_load_b128 v[30:33], off, off offset:544
	s_wait_loadcnt_dscnt 0x800
	v_mul_f64_e32 v[147:148], v[135:136], v[42:43]
	v_add_f64_e32 v[38:39], v[38:39], v[151:152]
	v_add_f64_e32 v[44:45], v[44:45], v[149:150]
	v_mul_f64_e32 v[149:150], v[137:138], v[42:43]
	v_fma_f64 v[151:152], v[4:5], v[34:35], v[153:154]
	v_fma_f64 v[153:154], v[2:3], v[34:35], -v[36:37]
	ds_load_b128 v[2:5], v1 offset:1088
	scratch_load_b128 v[34:37], off, off offset:560
	v_fma_f64 v[137:138], v[137:138], v[40:41], v[147:148]
	v_add_f64_e32 v[38:39], v[38:39], v[145:146]
	v_add_f64_e32 v[139:140], v[44:45], v[139:140]
	ds_load_b128 v[42:45], v1 offset:1104
	v_fma_f64 v[135:136], v[135:136], v[40:41], -v[149:150]
	s_wait_loadcnt_dscnt 0x701
	v_mul_f64_e32 v[145:146], v[2:3], v[143:144]
	v_mul_f64_e32 v[143:144], v[4:5], v[143:144]
	s_wait_dscnt 0x0
	v_mul_f64_e32 v[149:150], v[42:43], v[8:9]
	v_mul_f64_e32 v[8:9], v[44:45], v[8:9]
	v_add_f64_e32 v[147:148], v[38:39], v[153:154]
	v_add_f64_e32 v[139:140], v[139:140], v[151:152]
	scratch_load_b128 v[38:41], off, off offset:576
	v_fma_f64 v[145:146], v[4:5], v[141:142], v[145:146]
	v_fma_f64 v[143:144], v[2:3], v[141:142], -v[143:144]
	ds_load_b128 v[2:5], v1 offset:1120
	v_fma_f64 v[44:45], v[44:45], v[6:7], v[149:150]
	v_fma_f64 v[42:43], v[42:43], v[6:7], -v[8:9]
	scratch_load_b128 v[6:9], off, off offset:608
	v_add_f64_e32 v[147:148], v[147:148], v[135:136]
	v_add_f64_e32 v[151:152], v[139:140], v[137:138]
	scratch_load_b128 v[135:138], off, off offset:592
	ds_load_b128 v[139:142], v1 offset:1136
	s_wait_loadcnt_dscnt 0x901
	v_mul_f64_e32 v[153:154], v[2:3], v[12:13]
	v_mul_f64_e32 v[12:13], v[4:5], v[12:13]
	v_add_f64_e32 v[143:144], v[147:148], v[143:144]
	v_add_f64_e32 v[145:146], v[151:152], v[145:146]
	s_wait_loadcnt_dscnt 0x800
	v_mul_f64_e32 v[147:148], v[139:140], v[16:17]
	v_mul_f64_e32 v[16:17], v[141:142], v[16:17]
	v_fma_f64 v[149:150], v[4:5], v[10:11], v[153:154]
	v_fma_f64 v[151:152], v[2:3], v[10:11], -v[12:13]
	ds_load_b128 v[2:5], v1 offset:1152
	scratch_load_b128 v[10:13], off, off offset:624
	v_add_f64_e32 v[143:144], v[143:144], v[42:43]
	v_add_f64_e32 v[145:146], v[145:146], v[44:45]
	ds_load_b128 v[42:45], v1 offset:1168
	s_wait_loadcnt_dscnt 0x801
	v_mul_f64_e32 v[153:154], v[2:3], v[20:21]
	v_mul_f64_e32 v[20:21], v[4:5], v[20:21]
	v_fma_f64 v[141:142], v[141:142], v[14:15], v[147:148]
	v_fma_f64 v[139:140], v[139:140], v[14:15], -v[16:17]
	scratch_load_b128 v[14:17], off, off offset:640
	s_wait_loadcnt_dscnt 0x800
	v_mul_f64_e32 v[147:148], v[42:43], v[24:25]
	v_mul_f64_e32 v[24:25], v[44:45], v[24:25]
	v_add_f64_e32 v[143:144], v[143:144], v[151:152]
	v_add_f64_e32 v[145:146], v[145:146], v[149:150]
	v_fma_f64 v[149:150], v[4:5], v[18:19], v[153:154]
	v_fma_f64 v[151:152], v[2:3], v[18:19], -v[20:21]
	ds_load_b128 v[2:5], v1 offset:1184
	scratch_load_b128 v[18:21], off, off offset:656
	v_fma_f64 v[44:45], v[44:45], v[22:23], v[147:148]
	v_fma_f64 v[42:43], v[42:43], v[22:23], -v[24:25]
	scratch_load_b128 v[22:25], off, off offset:672
	v_add_f64_e32 v[143:144], v[143:144], v[139:140]
	v_add_f64_e32 v[145:146], v[145:146], v[141:142]
	ds_load_b128 v[139:142], v1 offset:1200
	s_wait_loadcnt_dscnt 0x901
	v_mul_f64_e32 v[153:154], v[2:3], v[28:29]
	v_mul_f64_e32 v[28:29], v[4:5], v[28:29]
	s_wait_loadcnt_dscnt 0x800
	v_mul_f64_e32 v[147:148], v[139:140], v[32:33]
	v_mul_f64_e32 v[32:33], v[141:142], v[32:33]
	v_add_f64_e32 v[143:144], v[143:144], v[151:152]
	v_add_f64_e32 v[145:146], v[145:146], v[149:150]
	v_fma_f64 v[149:150], v[4:5], v[26:27], v[153:154]
	v_fma_f64 v[151:152], v[2:3], v[26:27], -v[28:29]
	ds_load_b128 v[2:5], v1 offset:1216
	ds_load_b128 v[26:29], v1 offset:1232
	v_fma_f64 v[141:142], v[141:142], v[30:31], v[147:148]
	v_fma_f64 v[30:31], v[139:140], v[30:31], -v[32:33]
	v_add_f64_e32 v[42:43], v[143:144], v[42:43]
	v_add_f64_e32 v[44:45], v[145:146], v[44:45]
	s_wait_loadcnt_dscnt 0x701
	v_mul_f64_e32 v[143:144], v[2:3], v[36:37]
	v_mul_f64_e32 v[36:37], v[4:5], v[36:37]
	s_delay_alu instid0(VALU_DEP_4) | instskip(NEXT) | instid1(VALU_DEP_4)
	v_add_f64_e32 v[32:33], v[42:43], v[151:152]
	v_add_f64_e32 v[42:43], v[44:45], v[149:150]
	s_delay_alu instid0(VALU_DEP_4) | instskip(NEXT) | instid1(VALU_DEP_4)
	v_fma_f64 v[139:140], v[4:5], v[34:35], v[143:144]
	v_fma_f64 v[34:35], v[2:3], v[34:35], -v[36:37]
	s_wait_loadcnt_dscnt 0x600
	v_mul_f64_e32 v[44:45], v[26:27], v[40:41]
	v_mul_f64_e32 v[40:41], v[28:29], v[40:41]
	v_add_f64_e32 v[36:37], v[32:33], v[30:31]
	v_add_f64_e32 v[42:43], v[42:43], v[141:142]
	ds_load_b128 v[2:5], v1 offset:1248
	ds_load_b128 v[30:33], v1 offset:1264
	v_fma_f64 v[28:29], v[28:29], v[38:39], v[44:45]
	v_fma_f64 v[26:27], v[26:27], v[38:39], -v[40:41]
	s_wait_loadcnt_dscnt 0x401
	v_mul_f64_e32 v[141:142], v[2:3], v[137:138]
	v_mul_f64_e32 v[137:138], v[4:5], v[137:138]
	s_wait_dscnt 0x0
	v_mul_f64_e32 v[38:39], v[30:31], v[8:9]
	v_mul_f64_e32 v[8:9], v[32:33], v[8:9]
	v_add_f64_e32 v[34:35], v[36:37], v[34:35]
	v_add_f64_e32 v[36:37], v[42:43], v[139:140]
	v_fma_f64 v[40:41], v[4:5], v[135:136], v[141:142]
	v_fma_f64 v[42:43], v[2:3], v[135:136], -v[137:138]
	v_fma_f64 v[32:33], v[32:33], v[6:7], v[38:39]
	v_fma_f64 v[6:7], v[30:31], v[6:7], -v[8:9]
	v_add_f64_e32 v[34:35], v[34:35], v[26:27]
	v_add_f64_e32 v[36:37], v[36:37], v[28:29]
	ds_load_b128 v[2:5], v1 offset:1280
	ds_load_b128 v[26:29], v1 offset:1296
	s_wait_loadcnt_dscnt 0x301
	v_mul_f64_e32 v[44:45], v[2:3], v[12:13]
	v_mul_f64_e32 v[12:13], v[4:5], v[12:13]
	v_add_f64_e32 v[8:9], v[34:35], v[42:43]
	v_add_f64_e32 v[30:31], v[36:37], v[40:41]
	s_wait_loadcnt_dscnt 0x200
	v_mul_f64_e32 v[34:35], v[26:27], v[16:17]
	v_mul_f64_e32 v[16:17], v[28:29], v[16:17]
	v_fma_f64 v[36:37], v[4:5], v[10:11], v[44:45]
	v_fma_f64 v[10:11], v[2:3], v[10:11], -v[12:13]
	v_add_f64_e32 v[12:13], v[8:9], v[6:7]
	v_add_f64_e32 v[30:31], v[30:31], v[32:33]
	ds_load_b128 v[2:5], v1 offset:1312
	ds_load_b128 v[6:9], v1 offset:1328
	v_fma_f64 v[28:29], v[28:29], v[14:15], v[34:35]
	v_fma_f64 v[14:15], v[26:27], v[14:15], -v[16:17]
	s_wait_loadcnt_dscnt 0x101
	v_mul_f64_e32 v[32:33], v[2:3], v[20:21]
	v_mul_f64_e32 v[20:21], v[4:5], v[20:21]
	s_wait_loadcnt_dscnt 0x0
	v_mul_f64_e32 v[16:17], v[6:7], v[24:25]
	v_mul_f64_e32 v[24:25], v[8:9], v[24:25]
	v_add_f64_e32 v[10:11], v[12:13], v[10:11]
	v_add_f64_e32 v[12:13], v[30:31], v[36:37]
	v_fma_f64 v[4:5], v[4:5], v[18:19], v[32:33]
	v_fma_f64 v[1:2], v[2:3], v[18:19], -v[20:21]
	v_fma_f64 v[8:9], v[8:9], v[22:23], v[16:17]
	v_fma_f64 v[6:7], v[6:7], v[22:23], -v[24:25]
	v_add_f64_e32 v[10:11], v[10:11], v[14:15]
	v_add_f64_e32 v[12:13], v[12:13], v[28:29]
	s_delay_alu instid0(VALU_DEP_2) | instskip(NEXT) | instid1(VALU_DEP_2)
	v_add_f64_e32 v[1:2], v[10:11], v[1:2]
	v_add_f64_e32 v[3:4], v[12:13], v[4:5]
	s_delay_alu instid0(VALU_DEP_2) | instskip(NEXT) | instid1(VALU_DEP_2)
	;; [unrolled: 3-line block ×3, first 2 shown]
	v_add_f64_e64 v[1:2], v[131:132], -v[1:2]
	v_add_f64_e64 v[3:4], v[133:134], -v[3:4]
	scratch_store_b128 off, v[1:4], off offset:96
	v_cmpx_lt_u32_e32 4, v0
	s_cbranch_execz .LBB41_257
; %bb.256:
	scratch_load_b128 v[1:4], off, s31
	v_mov_b32_e32 v5, 0
	s_delay_alu instid0(VALU_DEP_1)
	v_dual_mov_b32 v6, v5 :: v_dual_mov_b32 v7, v5
	v_mov_b32_e32 v8, v5
	scratch_store_b128 off, v[5:8], off offset:80
	s_wait_loadcnt 0x0
	ds_store_b128 v130, v[1:4]
.LBB41_257:
	s_wait_alu 0xfffe
	s_or_b32 exec_lo, exec_lo, s0
	s_wait_storecnt_dscnt 0x0
	s_barrier_signal -1
	s_barrier_wait -1
	global_inv scope:SCOPE_SE
	s_clause 0x7
	scratch_load_b128 v[2:5], off, off offset:96
	scratch_load_b128 v[6:9], off, off offset:112
	;; [unrolled: 1-line block ×8, first 2 shown]
	v_mov_b32_e32 v1, 0
	s_mov_b32 s0, exec_lo
	ds_load_b128 v[38:41], v1 offset:752
	s_clause 0x1
	scratch_load_b128 v[34:37], off, off offset:224
	scratch_load_b128 v[42:45], off, off offset:80
	ds_load_b128 v[131:134], v1 offset:768
	scratch_load_b128 v[135:138], off, off offset:240
	s_wait_loadcnt_dscnt 0xa01
	v_mul_f64_e32 v[139:140], v[40:41], v[4:5]
	v_mul_f64_e32 v[4:5], v[38:39], v[4:5]
	s_delay_alu instid0(VALU_DEP_2) | instskip(NEXT) | instid1(VALU_DEP_2)
	v_fma_f64 v[145:146], v[38:39], v[2:3], -v[139:140]
	v_fma_f64 v[147:148], v[40:41], v[2:3], v[4:5]
	ds_load_b128 v[2:5], v1 offset:784
	s_wait_loadcnt_dscnt 0x901
	v_mul_f64_e32 v[143:144], v[131:132], v[8:9]
	v_mul_f64_e32 v[8:9], v[133:134], v[8:9]
	scratch_load_b128 v[38:41], off, off offset:256
	ds_load_b128 v[139:142], v1 offset:800
	s_wait_loadcnt_dscnt 0x901
	v_mul_f64_e32 v[149:150], v[2:3], v[12:13]
	v_mul_f64_e32 v[12:13], v[4:5], v[12:13]
	v_fma_f64 v[133:134], v[133:134], v[6:7], v[143:144]
	v_fma_f64 v[131:132], v[131:132], v[6:7], -v[8:9]
	v_add_f64_e32 v[143:144], 0, v[145:146]
	v_add_f64_e32 v[145:146], 0, v[147:148]
	scratch_load_b128 v[6:9], off, off offset:272
	v_fma_f64 v[149:150], v[4:5], v[10:11], v[149:150]
	v_fma_f64 v[151:152], v[2:3], v[10:11], -v[12:13]
	ds_load_b128 v[2:5], v1 offset:816
	s_wait_loadcnt_dscnt 0x901
	v_mul_f64_e32 v[147:148], v[139:140], v[16:17]
	v_mul_f64_e32 v[16:17], v[141:142], v[16:17]
	scratch_load_b128 v[10:13], off, off offset:288
	v_add_f64_e32 v[143:144], v[143:144], v[131:132]
	v_add_f64_e32 v[145:146], v[145:146], v[133:134]
	s_wait_loadcnt_dscnt 0x900
	v_mul_f64_e32 v[153:154], v[2:3], v[20:21]
	v_mul_f64_e32 v[20:21], v[4:5], v[20:21]
	ds_load_b128 v[131:134], v1 offset:832
	v_fma_f64 v[141:142], v[141:142], v[14:15], v[147:148]
	v_fma_f64 v[139:140], v[139:140], v[14:15], -v[16:17]
	scratch_load_b128 v[14:17], off, off offset:304
	v_add_f64_e32 v[143:144], v[143:144], v[151:152]
	v_add_f64_e32 v[145:146], v[145:146], v[149:150]
	v_fma_f64 v[149:150], v[4:5], v[18:19], v[153:154]
	v_fma_f64 v[151:152], v[2:3], v[18:19], -v[20:21]
	ds_load_b128 v[2:5], v1 offset:848
	s_wait_loadcnt_dscnt 0x901
	v_mul_f64_e32 v[147:148], v[131:132], v[24:25]
	v_mul_f64_e32 v[24:25], v[133:134], v[24:25]
	scratch_load_b128 v[18:21], off, off offset:320
	s_wait_loadcnt_dscnt 0x900
	v_mul_f64_e32 v[153:154], v[2:3], v[28:29]
	v_mul_f64_e32 v[28:29], v[4:5], v[28:29]
	v_add_f64_e32 v[143:144], v[143:144], v[139:140]
	v_add_f64_e32 v[145:146], v[145:146], v[141:142]
	ds_load_b128 v[139:142], v1 offset:864
	v_fma_f64 v[133:134], v[133:134], v[22:23], v[147:148]
	v_fma_f64 v[131:132], v[131:132], v[22:23], -v[24:25]
	scratch_load_b128 v[22:25], off, off offset:336
	v_add_f64_e32 v[143:144], v[143:144], v[151:152]
	v_add_f64_e32 v[145:146], v[145:146], v[149:150]
	v_fma_f64 v[149:150], v[4:5], v[26:27], v[153:154]
	v_fma_f64 v[151:152], v[2:3], v[26:27], -v[28:29]
	ds_load_b128 v[2:5], v1 offset:880
	s_wait_loadcnt_dscnt 0x901
	v_mul_f64_e32 v[147:148], v[139:140], v[32:33]
	v_mul_f64_e32 v[32:33], v[141:142], v[32:33]
	scratch_load_b128 v[26:29], off, off offset:352
	s_wait_loadcnt_dscnt 0x900
	v_mul_f64_e32 v[153:154], v[2:3], v[36:37]
	v_mul_f64_e32 v[36:37], v[4:5], v[36:37]
	v_add_f64_e32 v[143:144], v[143:144], v[131:132]
	v_add_f64_e32 v[145:146], v[145:146], v[133:134]
	ds_load_b128 v[131:134], v1 offset:896
	v_fma_f64 v[141:142], v[141:142], v[30:31], v[147:148]
	v_fma_f64 v[139:140], v[139:140], v[30:31], -v[32:33]
	scratch_load_b128 v[30:33], off, off offset:368
	v_add_f64_e32 v[143:144], v[143:144], v[151:152]
	v_add_f64_e32 v[145:146], v[145:146], v[149:150]
	v_fma_f64 v[151:152], v[4:5], v[34:35], v[153:154]
	v_fma_f64 v[153:154], v[2:3], v[34:35], -v[36:37]
	ds_load_b128 v[2:5], v1 offset:912
	s_wait_loadcnt_dscnt 0x801
	v_mul_f64_e32 v[147:148], v[131:132], v[137:138]
	v_mul_f64_e32 v[149:150], v[133:134], v[137:138]
	scratch_load_b128 v[34:37], off, off offset:384
	v_add_f64_e32 v[143:144], v[143:144], v[139:140]
	v_add_f64_e32 v[141:142], v[145:146], v[141:142]
	ds_load_b128 v[137:140], v1 offset:928
	v_fma_f64 v[147:148], v[133:134], v[135:136], v[147:148]
	v_fma_f64 v[135:136], v[131:132], v[135:136], -v[149:150]
	scratch_load_b128 v[131:134], off, off offset:400
	s_wait_loadcnt_dscnt 0x901
	v_mul_f64_e32 v[145:146], v[2:3], v[40:41]
	v_mul_f64_e32 v[40:41], v[4:5], v[40:41]
	v_add_f64_e32 v[143:144], v[143:144], v[153:154]
	v_add_f64_e32 v[141:142], v[141:142], v[151:152]
	s_delay_alu instid0(VALU_DEP_4) | instskip(NEXT) | instid1(VALU_DEP_4)
	v_fma_f64 v[145:146], v[4:5], v[38:39], v[145:146]
	v_fma_f64 v[151:152], v[2:3], v[38:39], -v[40:41]
	ds_load_b128 v[2:5], v1 offset:944
	s_wait_loadcnt_dscnt 0x801
	v_mul_f64_e32 v[149:150], v[137:138], v[8:9]
	v_mul_f64_e32 v[8:9], v[139:140], v[8:9]
	scratch_load_b128 v[38:41], off, off offset:416
	s_wait_loadcnt_dscnt 0x800
	v_mul_f64_e32 v[153:154], v[2:3], v[12:13]
	v_add_f64_e32 v[135:136], v[143:144], v[135:136]
	v_add_f64_e32 v[147:148], v[141:142], v[147:148]
	v_mul_f64_e32 v[12:13], v[4:5], v[12:13]
	ds_load_b128 v[141:144], v1 offset:960
	v_fma_f64 v[139:140], v[139:140], v[6:7], v[149:150]
	v_fma_f64 v[137:138], v[137:138], v[6:7], -v[8:9]
	scratch_load_b128 v[6:9], off, off offset:432
	v_fma_f64 v[149:150], v[4:5], v[10:11], v[153:154]
	v_add_f64_e32 v[135:136], v[135:136], v[151:152]
	v_add_f64_e32 v[145:146], v[147:148], v[145:146]
	v_fma_f64 v[151:152], v[2:3], v[10:11], -v[12:13]
	ds_load_b128 v[2:5], v1 offset:976
	s_wait_loadcnt_dscnt 0x801
	v_mul_f64_e32 v[147:148], v[141:142], v[16:17]
	v_mul_f64_e32 v[16:17], v[143:144], v[16:17]
	scratch_load_b128 v[10:13], off, off offset:448
	v_add_f64_e32 v[153:154], v[135:136], v[137:138]
	v_add_f64_e32 v[139:140], v[145:146], v[139:140]
	s_wait_loadcnt_dscnt 0x800
	v_mul_f64_e32 v[145:146], v[2:3], v[20:21]
	v_mul_f64_e32 v[20:21], v[4:5], v[20:21]
	v_fma_f64 v[143:144], v[143:144], v[14:15], v[147:148]
	v_fma_f64 v[141:142], v[141:142], v[14:15], -v[16:17]
	ds_load_b128 v[135:138], v1 offset:992
	scratch_load_b128 v[14:17], off, off offset:464
	v_add_f64_e32 v[147:148], v[153:154], v[151:152]
	v_add_f64_e32 v[139:140], v[139:140], v[149:150]
	v_fma_f64 v[145:146], v[4:5], v[18:19], v[145:146]
	v_fma_f64 v[151:152], v[2:3], v[18:19], -v[20:21]
	ds_load_b128 v[2:5], v1 offset:1008
	s_wait_loadcnt_dscnt 0x801
	v_mul_f64_e32 v[149:150], v[135:136], v[24:25]
	v_mul_f64_e32 v[24:25], v[137:138], v[24:25]
	scratch_load_b128 v[18:21], off, off offset:480
	s_wait_loadcnt_dscnt 0x800
	v_mul_f64_e32 v[153:154], v[2:3], v[28:29]
	v_mul_f64_e32 v[28:29], v[4:5], v[28:29]
	v_add_f64_e32 v[147:148], v[147:148], v[141:142]
	v_add_f64_e32 v[143:144], v[139:140], v[143:144]
	ds_load_b128 v[139:142], v1 offset:1024
	v_fma_f64 v[137:138], v[137:138], v[22:23], v[149:150]
	v_fma_f64 v[135:136], v[135:136], v[22:23], -v[24:25]
	scratch_load_b128 v[22:25], off, off offset:496
	v_fma_f64 v[149:150], v[4:5], v[26:27], v[153:154]
	v_add_f64_e32 v[147:148], v[147:148], v[151:152]
	v_add_f64_e32 v[143:144], v[143:144], v[145:146]
	v_fma_f64 v[151:152], v[2:3], v[26:27], -v[28:29]
	ds_load_b128 v[2:5], v1 offset:1040
	s_wait_loadcnt_dscnt 0x801
	v_mul_f64_e32 v[145:146], v[139:140], v[32:33]
	v_mul_f64_e32 v[32:33], v[141:142], v[32:33]
	scratch_load_b128 v[26:29], off, off offset:512
	s_wait_loadcnt_dscnt 0x800
	v_mul_f64_e32 v[153:154], v[2:3], v[36:37]
	v_mul_f64_e32 v[36:37], v[4:5], v[36:37]
	v_add_f64_e32 v[147:148], v[147:148], v[135:136]
	v_add_f64_e32 v[143:144], v[143:144], v[137:138]
	ds_load_b128 v[135:138], v1 offset:1056
	v_fma_f64 v[141:142], v[141:142], v[30:31], v[145:146]
	v_fma_f64 v[139:140], v[139:140], v[30:31], -v[32:33]
	scratch_load_b128 v[30:33], off, off offset:528
	v_add_f64_e32 v[145:146], v[147:148], v[151:152]
	v_add_f64_e32 v[143:144], v[143:144], v[149:150]
	v_fma_f64 v[149:150], v[4:5], v[34:35], v[153:154]
	v_fma_f64 v[151:152], v[2:3], v[34:35], -v[36:37]
	ds_load_b128 v[2:5], v1 offset:1072
	s_wait_loadcnt_dscnt 0x801
	v_mul_f64_e32 v[147:148], v[135:136], v[133:134]
	v_mul_f64_e32 v[133:134], v[137:138], v[133:134]
	scratch_load_b128 v[34:37], off, off offset:544
	s_wait_loadcnt_dscnt 0x800
	v_mul_f64_e32 v[153:154], v[2:3], v[40:41]
	v_mul_f64_e32 v[40:41], v[4:5], v[40:41]
	v_add_f64_e32 v[145:146], v[145:146], v[139:140]
	v_add_f64_e32 v[143:144], v[143:144], v[141:142]
	ds_load_b128 v[139:142], v1 offset:1088
	v_fma_f64 v[137:138], v[137:138], v[131:132], v[147:148]
	v_fma_f64 v[135:136], v[135:136], v[131:132], -v[133:134]
	scratch_load_b128 v[131:134], off, off offset:560
	v_add_f64_e32 v[145:146], v[145:146], v[151:152]
	v_add_f64_e32 v[143:144], v[143:144], v[149:150]
	v_fma_f64 v[149:150], v[4:5], v[38:39], v[153:154]
	;; [unrolled: 18-line block ×5, first 2 shown]
	v_fma_f64 v[151:152], v[2:3], v[26:27], -v[28:29]
	ds_load_b128 v[2:5], v1 offset:1200
	s_wait_loadcnt_dscnt 0x801
	v_mul_f64_e32 v[147:148], v[135:136], v[32:33]
	v_mul_f64_e32 v[32:33], v[137:138], v[32:33]
	scratch_load_b128 v[26:29], off, off offset:672
	s_wait_loadcnt_dscnt 0x800
	v_mul_f64_e32 v[153:154], v[2:3], v[36:37]
	v_mul_f64_e32 v[36:37], v[4:5], v[36:37]
	v_add_f64_e32 v[145:146], v[145:146], v[139:140]
	v_add_f64_e32 v[143:144], v[143:144], v[141:142]
	ds_load_b128 v[139:142], v1 offset:1216
	v_fma_f64 v[137:138], v[137:138], v[30:31], v[147:148]
	v_fma_f64 v[30:31], v[135:136], v[30:31], -v[32:33]
	v_add_f64_e32 v[32:33], v[145:146], v[151:152]
	v_add_f64_e32 v[135:136], v[143:144], v[149:150]
	s_wait_loadcnt_dscnt 0x700
	v_mul_f64_e32 v[143:144], v[139:140], v[133:134]
	v_mul_f64_e32 v[133:134], v[141:142], v[133:134]
	v_fma_f64 v[145:146], v[4:5], v[34:35], v[153:154]
	v_fma_f64 v[34:35], v[2:3], v[34:35], -v[36:37]
	v_add_f64_e32 v[36:37], v[32:33], v[30:31]
	v_add_f64_e32 v[135:136], v[135:136], v[137:138]
	ds_load_b128 v[2:5], v1 offset:1232
	ds_load_b128 v[30:33], v1 offset:1248
	v_fma_f64 v[141:142], v[141:142], v[131:132], v[143:144]
	v_fma_f64 v[131:132], v[139:140], v[131:132], -v[133:134]
	s_wait_loadcnt_dscnt 0x601
	v_mul_f64_e32 v[137:138], v[2:3], v[40:41]
	v_mul_f64_e32 v[40:41], v[4:5], v[40:41]
	s_wait_loadcnt_dscnt 0x500
	v_mul_f64_e32 v[133:134], v[30:31], v[8:9]
	v_mul_f64_e32 v[8:9], v[32:33], v[8:9]
	v_add_f64_e32 v[34:35], v[36:37], v[34:35]
	v_add_f64_e32 v[36:37], v[135:136], v[145:146]
	v_fma_f64 v[135:136], v[4:5], v[38:39], v[137:138]
	v_fma_f64 v[38:39], v[2:3], v[38:39], -v[40:41]
	v_fma_f64 v[32:33], v[32:33], v[6:7], v[133:134]
	v_fma_f64 v[6:7], v[30:31], v[6:7], -v[8:9]
	v_add_f64_e32 v[40:41], v[34:35], v[131:132]
	v_add_f64_e32 v[131:132], v[36:37], v[141:142]
	ds_load_b128 v[2:5], v1 offset:1264
	ds_load_b128 v[34:37], v1 offset:1280
	s_wait_loadcnt_dscnt 0x401
	v_mul_f64_e32 v[137:138], v[2:3], v[12:13]
	v_mul_f64_e32 v[12:13], v[4:5], v[12:13]
	v_add_f64_e32 v[8:9], v[40:41], v[38:39]
	v_add_f64_e32 v[30:31], v[131:132], v[135:136]
	s_wait_loadcnt_dscnt 0x300
	v_mul_f64_e32 v[38:39], v[34:35], v[16:17]
	v_mul_f64_e32 v[16:17], v[36:37], v[16:17]
	v_fma_f64 v[40:41], v[4:5], v[10:11], v[137:138]
	v_fma_f64 v[10:11], v[2:3], v[10:11], -v[12:13]
	v_add_f64_e32 v[12:13], v[8:9], v[6:7]
	v_add_f64_e32 v[30:31], v[30:31], v[32:33]
	ds_load_b128 v[2:5], v1 offset:1296
	ds_load_b128 v[6:9], v1 offset:1312
	v_fma_f64 v[36:37], v[36:37], v[14:15], v[38:39]
	v_fma_f64 v[14:15], v[34:35], v[14:15], -v[16:17]
	s_wait_loadcnt_dscnt 0x201
	v_mul_f64_e32 v[32:33], v[2:3], v[20:21]
	v_mul_f64_e32 v[20:21], v[4:5], v[20:21]
	s_wait_loadcnt_dscnt 0x100
	v_mul_f64_e32 v[16:17], v[6:7], v[24:25]
	v_mul_f64_e32 v[24:25], v[8:9], v[24:25]
	v_add_f64_e32 v[10:11], v[12:13], v[10:11]
	v_add_f64_e32 v[12:13], v[30:31], v[40:41]
	v_fma_f64 v[30:31], v[4:5], v[18:19], v[32:33]
	v_fma_f64 v[18:19], v[2:3], v[18:19], -v[20:21]
	ds_load_b128 v[2:5], v1 offset:1328
	v_fma_f64 v[8:9], v[8:9], v[22:23], v[16:17]
	v_fma_f64 v[6:7], v[6:7], v[22:23], -v[24:25]
	v_add_f64_e32 v[10:11], v[10:11], v[14:15]
	v_add_f64_e32 v[12:13], v[12:13], v[36:37]
	s_wait_loadcnt_dscnt 0x0
	v_mul_f64_e32 v[14:15], v[2:3], v[28:29]
	v_mul_f64_e32 v[20:21], v[4:5], v[28:29]
	s_delay_alu instid0(VALU_DEP_4) | instskip(NEXT) | instid1(VALU_DEP_4)
	v_add_f64_e32 v[10:11], v[10:11], v[18:19]
	v_add_f64_e32 v[12:13], v[12:13], v[30:31]
	s_delay_alu instid0(VALU_DEP_4) | instskip(NEXT) | instid1(VALU_DEP_4)
	v_fma_f64 v[4:5], v[4:5], v[26:27], v[14:15]
	v_fma_f64 v[2:3], v[2:3], v[26:27], -v[20:21]
	s_delay_alu instid0(VALU_DEP_4) | instskip(NEXT) | instid1(VALU_DEP_4)
	v_add_f64_e32 v[6:7], v[10:11], v[6:7]
	v_add_f64_e32 v[8:9], v[12:13], v[8:9]
	s_delay_alu instid0(VALU_DEP_2) | instskip(NEXT) | instid1(VALU_DEP_2)
	v_add_f64_e32 v[2:3], v[6:7], v[2:3]
	v_add_f64_e32 v[4:5], v[8:9], v[4:5]
	s_delay_alu instid0(VALU_DEP_2) | instskip(NEXT) | instid1(VALU_DEP_2)
	v_add_f64_e64 v[2:3], v[42:43], -v[2:3]
	v_add_f64_e64 v[4:5], v[44:45], -v[4:5]
	scratch_store_b128 off, v[2:5], off offset:80
	v_cmpx_lt_u32_e32 3, v0
	s_cbranch_execz .LBB41_259
; %bb.258:
	scratch_load_b128 v[5:8], off, s33
	v_dual_mov_b32 v2, v1 :: v_dual_mov_b32 v3, v1
	v_mov_b32_e32 v4, v1
	scratch_store_b128 off, v[1:4], off offset:64
	s_wait_loadcnt 0x0
	ds_store_b128 v130, v[5:8]
.LBB41_259:
	s_wait_alu 0xfffe
	s_or_b32 exec_lo, exec_lo, s0
	s_wait_storecnt_dscnt 0x0
	s_barrier_signal -1
	s_barrier_wait -1
	global_inv scope:SCOPE_SE
	s_clause 0x8
	scratch_load_b128 v[2:5], off, off offset:80
	scratch_load_b128 v[6:9], off, off offset:96
	;; [unrolled: 1-line block ×9, first 2 shown]
	ds_load_b128 v[42:45], v1 offset:736
	ds_load_b128 v[38:41], v1 offset:752
	s_clause 0x1
	scratch_load_b128 v[131:134], off, off offset:64
	scratch_load_b128 v[135:138], off, off offset:224
	s_mov_b32 s0, exec_lo
	s_wait_loadcnt_dscnt 0xa01
	v_mul_f64_e32 v[139:140], v[44:45], v[4:5]
	v_mul_f64_e32 v[4:5], v[42:43], v[4:5]
	s_wait_loadcnt_dscnt 0x900
	v_mul_f64_e32 v[143:144], v[38:39], v[8:9]
	v_mul_f64_e32 v[8:9], v[40:41], v[8:9]
	s_delay_alu instid0(VALU_DEP_4) | instskip(NEXT) | instid1(VALU_DEP_4)
	v_fma_f64 v[145:146], v[42:43], v[2:3], -v[139:140]
	v_fma_f64 v[147:148], v[44:45], v[2:3], v[4:5]
	ds_load_b128 v[2:5], v1 offset:768
	ds_load_b128 v[139:142], v1 offset:784
	scratch_load_b128 v[42:45], off, off offset:240
	v_fma_f64 v[40:41], v[40:41], v[6:7], v[143:144]
	v_fma_f64 v[38:39], v[38:39], v[6:7], -v[8:9]
	scratch_load_b128 v[6:9], off, off offset:256
	s_wait_loadcnt_dscnt 0xa01
	v_mul_f64_e32 v[149:150], v[2:3], v[12:13]
	v_mul_f64_e32 v[12:13], v[4:5], v[12:13]
	v_add_f64_e32 v[143:144], 0, v[145:146]
	v_add_f64_e32 v[145:146], 0, v[147:148]
	s_wait_loadcnt_dscnt 0x900
	v_mul_f64_e32 v[147:148], v[139:140], v[16:17]
	v_mul_f64_e32 v[16:17], v[141:142], v[16:17]
	v_fma_f64 v[149:150], v[4:5], v[10:11], v[149:150]
	v_fma_f64 v[151:152], v[2:3], v[10:11], -v[12:13]
	ds_load_b128 v[2:5], v1 offset:800
	scratch_load_b128 v[10:13], off, off offset:272
	v_add_f64_e32 v[143:144], v[143:144], v[38:39]
	v_add_f64_e32 v[145:146], v[145:146], v[40:41]
	ds_load_b128 v[38:41], v1 offset:816
	v_fma_f64 v[141:142], v[141:142], v[14:15], v[147:148]
	v_fma_f64 v[139:140], v[139:140], v[14:15], -v[16:17]
	scratch_load_b128 v[14:17], off, off offset:288
	s_wait_loadcnt_dscnt 0xa01
	v_mul_f64_e32 v[153:154], v[2:3], v[20:21]
	v_mul_f64_e32 v[20:21], v[4:5], v[20:21]
	s_wait_loadcnt_dscnt 0x900
	v_mul_f64_e32 v[147:148], v[38:39], v[24:25]
	v_mul_f64_e32 v[24:25], v[40:41], v[24:25]
	v_add_f64_e32 v[143:144], v[143:144], v[151:152]
	v_add_f64_e32 v[145:146], v[145:146], v[149:150]
	v_fma_f64 v[149:150], v[4:5], v[18:19], v[153:154]
	v_fma_f64 v[151:152], v[2:3], v[18:19], -v[20:21]
	ds_load_b128 v[2:5], v1 offset:832
	scratch_load_b128 v[18:21], off, off offset:304
	v_fma_f64 v[40:41], v[40:41], v[22:23], v[147:148]
	v_fma_f64 v[38:39], v[38:39], v[22:23], -v[24:25]
	scratch_load_b128 v[22:25], off, off offset:320
	v_add_f64_e32 v[143:144], v[143:144], v[139:140]
	v_add_f64_e32 v[145:146], v[145:146], v[141:142]
	ds_load_b128 v[139:142], v1 offset:848
	s_wait_loadcnt_dscnt 0xa01
	v_mul_f64_e32 v[153:154], v[2:3], v[28:29]
	v_mul_f64_e32 v[28:29], v[4:5], v[28:29]
	s_wait_loadcnt_dscnt 0x900
	v_mul_f64_e32 v[147:148], v[139:140], v[32:33]
	v_mul_f64_e32 v[32:33], v[141:142], v[32:33]
	v_add_f64_e32 v[143:144], v[143:144], v[151:152]
	v_add_f64_e32 v[145:146], v[145:146], v[149:150]
	v_fma_f64 v[149:150], v[4:5], v[26:27], v[153:154]
	v_fma_f64 v[151:152], v[2:3], v[26:27], -v[28:29]
	ds_load_b128 v[2:5], v1 offset:864
	scratch_load_b128 v[26:29], off, off offset:336
	v_fma_f64 v[141:142], v[141:142], v[30:31], v[147:148]
	v_fma_f64 v[139:140], v[139:140], v[30:31], -v[32:33]
	scratch_load_b128 v[30:33], off, off offset:352
	v_add_f64_e32 v[143:144], v[143:144], v[38:39]
	v_add_f64_e32 v[145:146], v[145:146], v[40:41]
	ds_load_b128 v[38:41], v1 offset:880
	s_wait_loadcnt_dscnt 0xa01
	v_mul_f64_e32 v[153:154], v[2:3], v[36:37]
	v_mul_f64_e32 v[36:37], v[4:5], v[36:37]
	s_wait_loadcnt_dscnt 0x800
	v_mul_f64_e32 v[147:148], v[38:39], v[137:138]
	v_add_f64_e32 v[143:144], v[143:144], v[151:152]
	v_add_f64_e32 v[145:146], v[145:146], v[149:150]
	v_mul_f64_e32 v[149:150], v[40:41], v[137:138]
	v_fma_f64 v[151:152], v[4:5], v[34:35], v[153:154]
	v_fma_f64 v[153:154], v[2:3], v[34:35], -v[36:37]
	ds_load_b128 v[2:5], v1 offset:896
	scratch_load_b128 v[34:37], off, off offset:368
	v_fma_f64 v[147:148], v[40:41], v[135:136], v[147:148]
	v_add_f64_e32 v[143:144], v[143:144], v[139:140]
	v_add_f64_e32 v[141:142], v[145:146], v[141:142]
	ds_load_b128 v[137:140], v1 offset:912
	v_fma_f64 v[135:136], v[38:39], v[135:136], -v[149:150]
	scratch_load_b128 v[38:41], off, off offset:384
	s_wait_loadcnt_dscnt 0x901
	v_mul_f64_e32 v[145:146], v[2:3], v[44:45]
	v_mul_f64_e32 v[44:45], v[4:5], v[44:45]
	s_wait_loadcnt_dscnt 0x800
	v_mul_f64_e32 v[149:150], v[137:138], v[8:9]
	v_mul_f64_e32 v[8:9], v[139:140], v[8:9]
	v_add_f64_e32 v[143:144], v[143:144], v[153:154]
	v_add_f64_e32 v[141:142], v[141:142], v[151:152]
	v_fma_f64 v[145:146], v[4:5], v[42:43], v[145:146]
	v_fma_f64 v[151:152], v[2:3], v[42:43], -v[44:45]
	ds_load_b128 v[2:5], v1 offset:928
	scratch_load_b128 v[42:45], off, off offset:400
	v_fma_f64 v[139:140], v[139:140], v[6:7], v[149:150]
	v_fma_f64 v[137:138], v[137:138], v[6:7], -v[8:9]
	scratch_load_b128 v[6:9], off, off offset:416
	v_add_f64_e32 v[135:136], v[143:144], v[135:136]
	v_add_f64_e32 v[147:148], v[141:142], v[147:148]
	ds_load_b128 v[141:144], v1 offset:944
	s_wait_loadcnt_dscnt 0x901
	v_mul_f64_e32 v[153:154], v[2:3], v[12:13]
	v_mul_f64_e32 v[12:13], v[4:5], v[12:13]
	v_add_f64_e32 v[135:136], v[135:136], v[151:152]
	v_add_f64_e32 v[145:146], v[147:148], v[145:146]
	s_wait_loadcnt_dscnt 0x800
	v_mul_f64_e32 v[147:148], v[141:142], v[16:17]
	v_mul_f64_e32 v[16:17], v[143:144], v[16:17]
	v_fma_f64 v[149:150], v[4:5], v[10:11], v[153:154]
	v_fma_f64 v[151:152], v[2:3], v[10:11], -v[12:13]
	ds_load_b128 v[2:5], v1 offset:960
	scratch_load_b128 v[10:13], off, off offset:432
	v_add_f64_e32 v[153:154], v[135:136], v[137:138]
	v_add_f64_e32 v[139:140], v[145:146], v[139:140]
	ds_load_b128 v[135:138], v1 offset:976
	s_wait_loadcnt_dscnt 0x801
	v_mul_f64_e32 v[145:146], v[2:3], v[20:21]
	v_mul_f64_e32 v[20:21], v[4:5], v[20:21]
	v_fma_f64 v[143:144], v[143:144], v[14:15], v[147:148]
	v_fma_f64 v[141:142], v[141:142], v[14:15], -v[16:17]
	scratch_load_b128 v[14:17], off, off offset:448
	v_add_f64_e32 v[147:148], v[153:154], v[151:152]
	v_add_f64_e32 v[139:140], v[139:140], v[149:150]
	s_wait_loadcnt_dscnt 0x800
	v_mul_f64_e32 v[149:150], v[135:136], v[24:25]
	v_mul_f64_e32 v[24:25], v[137:138], v[24:25]
	v_fma_f64 v[145:146], v[4:5], v[18:19], v[145:146]
	v_fma_f64 v[151:152], v[2:3], v[18:19], -v[20:21]
	ds_load_b128 v[2:5], v1 offset:992
	scratch_load_b128 v[18:21], off, off offset:464
	v_add_f64_e32 v[147:148], v[147:148], v[141:142]
	v_add_f64_e32 v[143:144], v[139:140], v[143:144]
	ds_load_b128 v[139:142], v1 offset:1008
	s_wait_loadcnt_dscnt 0x801
	v_mul_f64_e32 v[153:154], v[2:3], v[28:29]
	v_mul_f64_e32 v[28:29], v[4:5], v[28:29]
	v_fma_f64 v[137:138], v[137:138], v[22:23], v[149:150]
	v_fma_f64 v[135:136], v[135:136], v[22:23], -v[24:25]
	scratch_load_b128 v[22:25], off, off offset:480
	;; [unrolled: 18-line block ×4, first 2 shown]
	s_wait_loadcnt_dscnt 0x800
	v_mul_f64_e32 v[147:148], v[139:140], v[8:9]
	v_mul_f64_e32 v[8:9], v[141:142], v[8:9]
	v_add_f64_e32 v[145:146], v[145:146], v[151:152]
	v_add_f64_e32 v[143:144], v[143:144], v[149:150]
	v_fma_f64 v[149:150], v[4:5], v[42:43], v[153:154]
	v_fma_f64 v[151:152], v[2:3], v[42:43], -v[44:45]
	ds_load_b128 v[2:5], v1 offset:1088
	scratch_load_b128 v[42:45], off, off offset:560
	v_fma_f64 v[141:142], v[141:142], v[6:7], v[147:148]
	v_fma_f64 v[139:140], v[139:140], v[6:7], -v[8:9]
	scratch_load_b128 v[6:9], off, off offset:576
	v_add_f64_e32 v[145:146], v[145:146], v[135:136]
	v_add_f64_e32 v[143:144], v[143:144], v[137:138]
	ds_load_b128 v[135:138], v1 offset:1104
	s_wait_loadcnt_dscnt 0x901
	v_mul_f64_e32 v[153:154], v[2:3], v[12:13]
	v_mul_f64_e32 v[12:13], v[4:5], v[12:13]
	s_wait_loadcnt_dscnt 0x800
	v_mul_f64_e32 v[147:148], v[135:136], v[16:17]
	v_mul_f64_e32 v[16:17], v[137:138], v[16:17]
	v_add_f64_e32 v[145:146], v[145:146], v[151:152]
	v_add_f64_e32 v[143:144], v[143:144], v[149:150]
	v_fma_f64 v[149:150], v[4:5], v[10:11], v[153:154]
	v_fma_f64 v[151:152], v[2:3], v[10:11], -v[12:13]
	ds_load_b128 v[2:5], v1 offset:1120
	scratch_load_b128 v[10:13], off, off offset:592
	v_fma_f64 v[137:138], v[137:138], v[14:15], v[147:148]
	v_fma_f64 v[135:136], v[135:136], v[14:15], -v[16:17]
	scratch_load_b128 v[14:17], off, off offset:608
	v_add_f64_e32 v[145:146], v[145:146], v[139:140]
	v_add_f64_e32 v[143:144], v[143:144], v[141:142]
	ds_load_b128 v[139:142], v1 offset:1136
	s_wait_loadcnt_dscnt 0x901
	v_mul_f64_e32 v[153:154], v[2:3], v[20:21]
	v_mul_f64_e32 v[20:21], v[4:5], v[20:21]
	;; [unrolled: 18-line block ×4, first 2 shown]
	s_wait_loadcnt_dscnt 0x800
	v_mul_f64_e32 v[147:148], v[139:140], v[40:41]
	v_mul_f64_e32 v[40:41], v[141:142], v[40:41]
	v_add_f64_e32 v[145:146], v[145:146], v[151:152]
	v_add_f64_e32 v[143:144], v[143:144], v[149:150]
	v_fma_f64 v[149:150], v[4:5], v[34:35], v[153:154]
	v_fma_f64 v[151:152], v[2:3], v[34:35], -v[36:37]
	ds_load_b128 v[2:5], v1 offset:1216
	ds_load_b128 v[34:37], v1 offset:1232
	v_fma_f64 v[141:142], v[141:142], v[38:39], v[147:148]
	v_fma_f64 v[38:39], v[139:140], v[38:39], -v[40:41]
	v_add_f64_e32 v[135:136], v[145:146], v[135:136]
	v_add_f64_e32 v[137:138], v[143:144], v[137:138]
	s_wait_loadcnt_dscnt 0x701
	v_mul_f64_e32 v[143:144], v[2:3], v[44:45]
	v_mul_f64_e32 v[44:45], v[4:5], v[44:45]
	s_delay_alu instid0(VALU_DEP_4) | instskip(NEXT) | instid1(VALU_DEP_4)
	v_add_f64_e32 v[40:41], v[135:136], v[151:152]
	v_add_f64_e32 v[135:136], v[137:138], v[149:150]
	s_wait_loadcnt_dscnt 0x600
	v_mul_f64_e32 v[137:138], v[34:35], v[8:9]
	v_mul_f64_e32 v[8:9], v[36:37], v[8:9]
	v_fma_f64 v[139:140], v[4:5], v[42:43], v[143:144]
	v_fma_f64 v[42:43], v[2:3], v[42:43], -v[44:45]
	v_add_f64_e32 v[44:45], v[40:41], v[38:39]
	v_add_f64_e32 v[135:136], v[135:136], v[141:142]
	ds_load_b128 v[2:5], v1 offset:1248
	ds_load_b128 v[38:41], v1 offset:1264
	v_fma_f64 v[36:37], v[36:37], v[6:7], v[137:138]
	v_fma_f64 v[6:7], v[34:35], v[6:7], -v[8:9]
	s_wait_loadcnt_dscnt 0x501
	v_mul_f64_e32 v[141:142], v[2:3], v[12:13]
	v_mul_f64_e32 v[12:13], v[4:5], v[12:13]
	v_add_f64_e32 v[8:9], v[44:45], v[42:43]
	v_add_f64_e32 v[34:35], v[135:136], v[139:140]
	s_wait_loadcnt_dscnt 0x400
	v_mul_f64_e32 v[42:43], v[38:39], v[16:17]
	v_mul_f64_e32 v[16:17], v[40:41], v[16:17]
	v_fma_f64 v[44:45], v[4:5], v[10:11], v[141:142]
	v_fma_f64 v[10:11], v[2:3], v[10:11], -v[12:13]
	v_add_f64_e32 v[12:13], v[8:9], v[6:7]
	v_add_f64_e32 v[34:35], v[34:35], v[36:37]
	ds_load_b128 v[2:5], v1 offset:1280
	ds_load_b128 v[6:9], v1 offset:1296
	v_fma_f64 v[40:41], v[40:41], v[14:15], v[42:43]
	v_fma_f64 v[14:15], v[38:39], v[14:15], -v[16:17]
	s_wait_loadcnt_dscnt 0x301
	v_mul_f64_e32 v[36:37], v[2:3], v[20:21]
	v_mul_f64_e32 v[20:21], v[4:5], v[20:21]
	s_wait_loadcnt_dscnt 0x200
	v_mul_f64_e32 v[16:17], v[6:7], v[24:25]
	v_mul_f64_e32 v[24:25], v[8:9], v[24:25]
	v_add_f64_e32 v[10:11], v[12:13], v[10:11]
	v_add_f64_e32 v[12:13], v[34:35], v[44:45]
	v_fma_f64 v[34:35], v[4:5], v[18:19], v[36:37]
	v_fma_f64 v[18:19], v[2:3], v[18:19], -v[20:21]
	v_fma_f64 v[8:9], v[8:9], v[22:23], v[16:17]
	v_fma_f64 v[6:7], v[6:7], v[22:23], -v[24:25]
	v_add_f64_e32 v[14:15], v[10:11], v[14:15]
	v_add_f64_e32 v[20:21], v[12:13], v[40:41]
	ds_load_b128 v[2:5], v1 offset:1312
	ds_load_b128 v[10:13], v1 offset:1328
	s_wait_loadcnt_dscnt 0x101
	v_mul_f64_e32 v[36:37], v[2:3], v[28:29]
	v_mul_f64_e32 v[28:29], v[4:5], v[28:29]
	v_add_f64_e32 v[14:15], v[14:15], v[18:19]
	v_add_f64_e32 v[16:17], v[20:21], v[34:35]
	s_wait_loadcnt_dscnt 0x0
	v_mul_f64_e32 v[18:19], v[10:11], v[32:33]
	v_mul_f64_e32 v[20:21], v[12:13], v[32:33]
	v_fma_f64 v[4:5], v[4:5], v[26:27], v[36:37]
	v_fma_f64 v[1:2], v[2:3], v[26:27], -v[28:29]
	v_add_f64_e32 v[6:7], v[14:15], v[6:7]
	v_add_f64_e32 v[8:9], v[16:17], v[8:9]
	v_fma_f64 v[12:13], v[12:13], v[30:31], v[18:19]
	v_fma_f64 v[10:11], v[10:11], v[30:31], -v[20:21]
	s_delay_alu instid0(VALU_DEP_4) | instskip(NEXT) | instid1(VALU_DEP_4)
	v_add_f64_e32 v[1:2], v[6:7], v[1:2]
	v_add_f64_e32 v[3:4], v[8:9], v[4:5]
	s_delay_alu instid0(VALU_DEP_2) | instskip(NEXT) | instid1(VALU_DEP_2)
	v_add_f64_e32 v[1:2], v[1:2], v[10:11]
	v_add_f64_e32 v[3:4], v[3:4], v[12:13]
	s_delay_alu instid0(VALU_DEP_2) | instskip(NEXT) | instid1(VALU_DEP_2)
	v_add_f64_e64 v[1:2], v[131:132], -v[1:2]
	v_add_f64_e64 v[3:4], v[133:134], -v[3:4]
	scratch_store_b128 off, v[1:4], off offset:64
	v_cmpx_lt_u32_e32 2, v0
	s_cbranch_execz .LBB41_261
; %bb.260:
	scratch_load_b128 v[1:4], off, s34
	v_mov_b32_e32 v5, 0
	s_delay_alu instid0(VALU_DEP_1)
	v_dual_mov_b32 v6, v5 :: v_dual_mov_b32 v7, v5
	v_mov_b32_e32 v8, v5
	scratch_store_b128 off, v[5:8], off offset:48
	s_wait_loadcnt 0x0
	ds_store_b128 v130, v[1:4]
.LBB41_261:
	s_wait_alu 0xfffe
	s_or_b32 exec_lo, exec_lo, s0
	s_wait_storecnt_dscnt 0x0
	s_barrier_signal -1
	s_barrier_wait -1
	global_inv scope:SCOPE_SE
	s_clause 0x7
	scratch_load_b128 v[2:5], off, off offset:64
	scratch_load_b128 v[6:9], off, off offset:80
	;; [unrolled: 1-line block ×8, first 2 shown]
	v_mov_b32_e32 v1, 0
	s_mov_b32 s0, exec_lo
	ds_load_b128 v[38:41], v1 offset:720
	s_clause 0x1
	scratch_load_b128 v[34:37], off, off offset:192
	scratch_load_b128 v[42:45], off, off offset:48
	ds_load_b128 v[131:134], v1 offset:736
	scratch_load_b128 v[135:138], off, off offset:208
	s_wait_loadcnt_dscnt 0xa01
	v_mul_f64_e32 v[139:140], v[40:41], v[4:5]
	v_mul_f64_e32 v[4:5], v[38:39], v[4:5]
	s_delay_alu instid0(VALU_DEP_2) | instskip(NEXT) | instid1(VALU_DEP_2)
	v_fma_f64 v[145:146], v[38:39], v[2:3], -v[139:140]
	v_fma_f64 v[147:148], v[40:41], v[2:3], v[4:5]
	ds_load_b128 v[2:5], v1 offset:752
	s_wait_loadcnt_dscnt 0x901
	v_mul_f64_e32 v[143:144], v[131:132], v[8:9]
	v_mul_f64_e32 v[8:9], v[133:134], v[8:9]
	scratch_load_b128 v[38:41], off, off offset:224
	ds_load_b128 v[139:142], v1 offset:768
	s_wait_loadcnt_dscnt 0x901
	v_mul_f64_e32 v[149:150], v[2:3], v[12:13]
	v_mul_f64_e32 v[12:13], v[4:5], v[12:13]
	v_fma_f64 v[133:134], v[133:134], v[6:7], v[143:144]
	v_fma_f64 v[131:132], v[131:132], v[6:7], -v[8:9]
	v_add_f64_e32 v[143:144], 0, v[145:146]
	v_add_f64_e32 v[145:146], 0, v[147:148]
	scratch_load_b128 v[6:9], off, off offset:240
	v_fma_f64 v[149:150], v[4:5], v[10:11], v[149:150]
	v_fma_f64 v[151:152], v[2:3], v[10:11], -v[12:13]
	ds_load_b128 v[2:5], v1 offset:784
	s_wait_loadcnt_dscnt 0x901
	v_mul_f64_e32 v[147:148], v[139:140], v[16:17]
	v_mul_f64_e32 v[16:17], v[141:142], v[16:17]
	scratch_load_b128 v[10:13], off, off offset:256
	v_add_f64_e32 v[143:144], v[143:144], v[131:132]
	v_add_f64_e32 v[145:146], v[145:146], v[133:134]
	s_wait_loadcnt_dscnt 0x900
	v_mul_f64_e32 v[153:154], v[2:3], v[20:21]
	v_mul_f64_e32 v[20:21], v[4:5], v[20:21]
	ds_load_b128 v[131:134], v1 offset:800
	v_fma_f64 v[141:142], v[141:142], v[14:15], v[147:148]
	v_fma_f64 v[139:140], v[139:140], v[14:15], -v[16:17]
	scratch_load_b128 v[14:17], off, off offset:272
	v_add_f64_e32 v[143:144], v[143:144], v[151:152]
	v_add_f64_e32 v[145:146], v[145:146], v[149:150]
	v_fma_f64 v[149:150], v[4:5], v[18:19], v[153:154]
	v_fma_f64 v[151:152], v[2:3], v[18:19], -v[20:21]
	ds_load_b128 v[2:5], v1 offset:816
	s_wait_loadcnt_dscnt 0x901
	v_mul_f64_e32 v[147:148], v[131:132], v[24:25]
	v_mul_f64_e32 v[24:25], v[133:134], v[24:25]
	scratch_load_b128 v[18:21], off, off offset:288
	s_wait_loadcnt_dscnt 0x900
	v_mul_f64_e32 v[153:154], v[2:3], v[28:29]
	v_mul_f64_e32 v[28:29], v[4:5], v[28:29]
	v_add_f64_e32 v[143:144], v[143:144], v[139:140]
	v_add_f64_e32 v[145:146], v[145:146], v[141:142]
	ds_load_b128 v[139:142], v1 offset:832
	v_fma_f64 v[133:134], v[133:134], v[22:23], v[147:148]
	v_fma_f64 v[131:132], v[131:132], v[22:23], -v[24:25]
	scratch_load_b128 v[22:25], off, off offset:304
	v_add_f64_e32 v[143:144], v[143:144], v[151:152]
	v_add_f64_e32 v[145:146], v[145:146], v[149:150]
	v_fma_f64 v[149:150], v[4:5], v[26:27], v[153:154]
	v_fma_f64 v[151:152], v[2:3], v[26:27], -v[28:29]
	ds_load_b128 v[2:5], v1 offset:848
	s_wait_loadcnt_dscnt 0x901
	v_mul_f64_e32 v[147:148], v[139:140], v[32:33]
	v_mul_f64_e32 v[32:33], v[141:142], v[32:33]
	scratch_load_b128 v[26:29], off, off offset:320
	s_wait_loadcnt_dscnt 0x900
	v_mul_f64_e32 v[153:154], v[2:3], v[36:37]
	v_mul_f64_e32 v[36:37], v[4:5], v[36:37]
	v_add_f64_e32 v[143:144], v[143:144], v[131:132]
	v_add_f64_e32 v[145:146], v[145:146], v[133:134]
	ds_load_b128 v[131:134], v1 offset:864
	v_fma_f64 v[141:142], v[141:142], v[30:31], v[147:148]
	v_fma_f64 v[139:140], v[139:140], v[30:31], -v[32:33]
	scratch_load_b128 v[30:33], off, off offset:336
	v_add_f64_e32 v[143:144], v[143:144], v[151:152]
	v_add_f64_e32 v[145:146], v[145:146], v[149:150]
	v_fma_f64 v[151:152], v[4:5], v[34:35], v[153:154]
	v_fma_f64 v[153:154], v[2:3], v[34:35], -v[36:37]
	ds_load_b128 v[2:5], v1 offset:880
	s_wait_loadcnt_dscnt 0x801
	v_mul_f64_e32 v[147:148], v[131:132], v[137:138]
	v_mul_f64_e32 v[149:150], v[133:134], v[137:138]
	scratch_load_b128 v[34:37], off, off offset:352
	v_add_f64_e32 v[143:144], v[143:144], v[139:140]
	v_add_f64_e32 v[141:142], v[145:146], v[141:142]
	ds_load_b128 v[137:140], v1 offset:896
	v_fma_f64 v[147:148], v[133:134], v[135:136], v[147:148]
	v_fma_f64 v[135:136], v[131:132], v[135:136], -v[149:150]
	scratch_load_b128 v[131:134], off, off offset:368
	s_wait_loadcnt_dscnt 0x901
	v_mul_f64_e32 v[145:146], v[2:3], v[40:41]
	v_mul_f64_e32 v[40:41], v[4:5], v[40:41]
	v_add_f64_e32 v[143:144], v[143:144], v[153:154]
	v_add_f64_e32 v[141:142], v[141:142], v[151:152]
	s_delay_alu instid0(VALU_DEP_4) | instskip(NEXT) | instid1(VALU_DEP_4)
	v_fma_f64 v[145:146], v[4:5], v[38:39], v[145:146]
	v_fma_f64 v[151:152], v[2:3], v[38:39], -v[40:41]
	ds_load_b128 v[2:5], v1 offset:912
	s_wait_loadcnt_dscnt 0x801
	v_mul_f64_e32 v[149:150], v[137:138], v[8:9]
	v_mul_f64_e32 v[8:9], v[139:140], v[8:9]
	scratch_load_b128 v[38:41], off, off offset:384
	s_wait_loadcnt_dscnt 0x800
	v_mul_f64_e32 v[153:154], v[2:3], v[12:13]
	v_add_f64_e32 v[135:136], v[143:144], v[135:136]
	v_add_f64_e32 v[147:148], v[141:142], v[147:148]
	v_mul_f64_e32 v[12:13], v[4:5], v[12:13]
	ds_load_b128 v[141:144], v1 offset:928
	v_fma_f64 v[139:140], v[139:140], v[6:7], v[149:150]
	v_fma_f64 v[137:138], v[137:138], v[6:7], -v[8:9]
	scratch_load_b128 v[6:9], off, off offset:400
	v_fma_f64 v[149:150], v[4:5], v[10:11], v[153:154]
	v_add_f64_e32 v[135:136], v[135:136], v[151:152]
	v_add_f64_e32 v[145:146], v[147:148], v[145:146]
	v_fma_f64 v[151:152], v[2:3], v[10:11], -v[12:13]
	ds_load_b128 v[2:5], v1 offset:944
	s_wait_loadcnt_dscnt 0x801
	v_mul_f64_e32 v[147:148], v[141:142], v[16:17]
	v_mul_f64_e32 v[16:17], v[143:144], v[16:17]
	scratch_load_b128 v[10:13], off, off offset:416
	v_add_f64_e32 v[153:154], v[135:136], v[137:138]
	v_add_f64_e32 v[139:140], v[145:146], v[139:140]
	s_wait_loadcnt_dscnt 0x800
	v_mul_f64_e32 v[145:146], v[2:3], v[20:21]
	v_mul_f64_e32 v[20:21], v[4:5], v[20:21]
	v_fma_f64 v[143:144], v[143:144], v[14:15], v[147:148]
	v_fma_f64 v[141:142], v[141:142], v[14:15], -v[16:17]
	ds_load_b128 v[135:138], v1 offset:960
	scratch_load_b128 v[14:17], off, off offset:432
	v_add_f64_e32 v[147:148], v[153:154], v[151:152]
	v_add_f64_e32 v[139:140], v[139:140], v[149:150]
	v_fma_f64 v[145:146], v[4:5], v[18:19], v[145:146]
	v_fma_f64 v[151:152], v[2:3], v[18:19], -v[20:21]
	ds_load_b128 v[2:5], v1 offset:976
	s_wait_loadcnt_dscnt 0x801
	v_mul_f64_e32 v[149:150], v[135:136], v[24:25]
	v_mul_f64_e32 v[24:25], v[137:138], v[24:25]
	scratch_load_b128 v[18:21], off, off offset:448
	s_wait_loadcnt_dscnt 0x800
	v_mul_f64_e32 v[153:154], v[2:3], v[28:29]
	v_mul_f64_e32 v[28:29], v[4:5], v[28:29]
	v_add_f64_e32 v[147:148], v[147:148], v[141:142]
	v_add_f64_e32 v[143:144], v[139:140], v[143:144]
	ds_load_b128 v[139:142], v1 offset:992
	v_fma_f64 v[137:138], v[137:138], v[22:23], v[149:150]
	v_fma_f64 v[135:136], v[135:136], v[22:23], -v[24:25]
	scratch_load_b128 v[22:25], off, off offset:464
	v_fma_f64 v[149:150], v[4:5], v[26:27], v[153:154]
	v_add_f64_e32 v[147:148], v[147:148], v[151:152]
	v_add_f64_e32 v[143:144], v[143:144], v[145:146]
	v_fma_f64 v[151:152], v[2:3], v[26:27], -v[28:29]
	ds_load_b128 v[2:5], v1 offset:1008
	s_wait_loadcnt_dscnt 0x801
	v_mul_f64_e32 v[145:146], v[139:140], v[32:33]
	v_mul_f64_e32 v[32:33], v[141:142], v[32:33]
	scratch_load_b128 v[26:29], off, off offset:480
	s_wait_loadcnt_dscnt 0x800
	v_mul_f64_e32 v[153:154], v[2:3], v[36:37]
	v_mul_f64_e32 v[36:37], v[4:5], v[36:37]
	v_add_f64_e32 v[147:148], v[147:148], v[135:136]
	v_add_f64_e32 v[143:144], v[143:144], v[137:138]
	ds_load_b128 v[135:138], v1 offset:1024
	v_fma_f64 v[141:142], v[141:142], v[30:31], v[145:146]
	v_fma_f64 v[139:140], v[139:140], v[30:31], -v[32:33]
	scratch_load_b128 v[30:33], off, off offset:496
	v_add_f64_e32 v[145:146], v[147:148], v[151:152]
	v_add_f64_e32 v[143:144], v[143:144], v[149:150]
	v_fma_f64 v[149:150], v[4:5], v[34:35], v[153:154]
	v_fma_f64 v[151:152], v[2:3], v[34:35], -v[36:37]
	ds_load_b128 v[2:5], v1 offset:1040
	s_wait_loadcnt_dscnt 0x801
	v_mul_f64_e32 v[147:148], v[135:136], v[133:134]
	v_mul_f64_e32 v[133:134], v[137:138], v[133:134]
	scratch_load_b128 v[34:37], off, off offset:512
	s_wait_loadcnt_dscnt 0x800
	v_mul_f64_e32 v[153:154], v[2:3], v[40:41]
	v_mul_f64_e32 v[40:41], v[4:5], v[40:41]
	v_add_f64_e32 v[145:146], v[145:146], v[139:140]
	v_add_f64_e32 v[143:144], v[143:144], v[141:142]
	ds_load_b128 v[139:142], v1 offset:1056
	v_fma_f64 v[137:138], v[137:138], v[131:132], v[147:148]
	v_fma_f64 v[135:136], v[135:136], v[131:132], -v[133:134]
	scratch_load_b128 v[131:134], off, off offset:528
	v_add_f64_e32 v[145:146], v[145:146], v[151:152]
	v_add_f64_e32 v[143:144], v[143:144], v[149:150]
	v_fma_f64 v[149:150], v[4:5], v[38:39], v[153:154]
	;; [unrolled: 18-line block ×6, first 2 shown]
	v_fma_f64 v[153:154], v[2:3], v[34:35], -v[36:37]
	ds_load_b128 v[2:5], v1 offset:1200
	s_wait_loadcnt_dscnt 0x801
	v_mul_f64_e32 v[147:148], v[139:140], v[133:134]
	v_mul_f64_e32 v[149:150], v[141:142], v[133:134]
	scratch_load_b128 v[34:37], off, off offset:672
	v_add_f64_e32 v[145:146], v[145:146], v[135:136]
	v_add_f64_e32 v[137:138], v[143:144], v[137:138]
	s_wait_loadcnt_dscnt 0x800
	v_mul_f64_e32 v[143:144], v[2:3], v[40:41]
	v_mul_f64_e32 v[40:41], v[4:5], v[40:41]
	ds_load_b128 v[133:136], v1 offset:1216
	v_fma_f64 v[141:142], v[141:142], v[131:132], v[147:148]
	v_fma_f64 v[131:132], v[139:140], v[131:132], -v[149:150]
	v_add_f64_e32 v[139:140], v[145:146], v[153:154]
	v_add_f64_e32 v[137:138], v[137:138], v[151:152]
	s_wait_loadcnt_dscnt 0x700
	v_mul_f64_e32 v[145:146], v[133:134], v[8:9]
	v_mul_f64_e32 v[8:9], v[135:136], v[8:9]
	v_fma_f64 v[143:144], v[4:5], v[38:39], v[143:144]
	v_fma_f64 v[147:148], v[2:3], v[38:39], -v[40:41]
	ds_load_b128 v[2:5], v1 offset:1232
	ds_load_b128 v[38:41], v1 offset:1248
	v_add_f64_e32 v[131:132], v[139:140], v[131:132]
	v_add_f64_e32 v[137:138], v[137:138], v[141:142]
	s_wait_loadcnt_dscnt 0x601
	v_mul_f64_e32 v[139:140], v[2:3], v[12:13]
	v_mul_f64_e32 v[12:13], v[4:5], v[12:13]
	v_fma_f64 v[135:136], v[135:136], v[6:7], v[145:146]
	v_fma_f64 v[6:7], v[133:134], v[6:7], -v[8:9]
	s_wait_loadcnt_dscnt 0x500
	v_mul_f64_e32 v[133:134], v[38:39], v[16:17]
	v_mul_f64_e32 v[16:17], v[40:41], v[16:17]
	v_add_f64_e32 v[8:9], v[131:132], v[147:148]
	v_add_f64_e32 v[131:132], v[137:138], v[143:144]
	v_fma_f64 v[137:138], v[4:5], v[10:11], v[139:140]
	v_fma_f64 v[10:11], v[2:3], v[10:11], -v[12:13]
	v_fma_f64 v[40:41], v[40:41], v[14:15], v[133:134]
	v_fma_f64 v[14:15], v[38:39], v[14:15], -v[16:17]
	v_add_f64_e32 v[12:13], v[8:9], v[6:7]
	v_add_f64_e32 v[131:132], v[131:132], v[135:136]
	ds_load_b128 v[2:5], v1 offset:1264
	ds_load_b128 v[6:9], v1 offset:1280
	s_wait_loadcnt_dscnt 0x401
	v_mul_f64_e32 v[135:136], v[2:3], v[20:21]
	v_mul_f64_e32 v[20:21], v[4:5], v[20:21]
	s_wait_loadcnt_dscnt 0x300
	v_mul_f64_e32 v[16:17], v[6:7], v[24:25]
	v_mul_f64_e32 v[24:25], v[8:9], v[24:25]
	v_add_f64_e32 v[10:11], v[12:13], v[10:11]
	v_add_f64_e32 v[12:13], v[131:132], v[137:138]
	v_fma_f64 v[38:39], v[4:5], v[18:19], v[135:136]
	v_fma_f64 v[18:19], v[2:3], v[18:19], -v[20:21]
	v_fma_f64 v[8:9], v[8:9], v[22:23], v[16:17]
	v_fma_f64 v[6:7], v[6:7], v[22:23], -v[24:25]
	v_add_f64_e32 v[14:15], v[10:11], v[14:15]
	v_add_f64_e32 v[20:21], v[12:13], v[40:41]
	ds_load_b128 v[2:5], v1 offset:1296
	ds_load_b128 v[10:13], v1 offset:1312
	s_wait_loadcnt_dscnt 0x201
	v_mul_f64_e32 v[40:41], v[2:3], v[28:29]
	v_mul_f64_e32 v[28:29], v[4:5], v[28:29]
	v_add_f64_e32 v[14:15], v[14:15], v[18:19]
	v_add_f64_e32 v[16:17], v[20:21], v[38:39]
	s_wait_loadcnt_dscnt 0x100
	v_mul_f64_e32 v[18:19], v[10:11], v[32:33]
	v_mul_f64_e32 v[20:21], v[12:13], v[32:33]
	v_fma_f64 v[22:23], v[4:5], v[26:27], v[40:41]
	v_fma_f64 v[24:25], v[2:3], v[26:27], -v[28:29]
	ds_load_b128 v[2:5], v1 offset:1328
	v_add_f64_e32 v[6:7], v[14:15], v[6:7]
	v_add_f64_e32 v[8:9], v[16:17], v[8:9]
	v_fma_f64 v[12:13], v[12:13], v[30:31], v[18:19]
	v_fma_f64 v[10:11], v[10:11], v[30:31], -v[20:21]
	s_wait_loadcnt_dscnt 0x0
	v_mul_f64_e32 v[14:15], v[2:3], v[36:37]
	v_mul_f64_e32 v[16:17], v[4:5], v[36:37]
	v_add_f64_e32 v[6:7], v[6:7], v[24:25]
	v_add_f64_e32 v[8:9], v[8:9], v[22:23]
	s_delay_alu instid0(VALU_DEP_4) | instskip(NEXT) | instid1(VALU_DEP_4)
	v_fma_f64 v[4:5], v[4:5], v[34:35], v[14:15]
	v_fma_f64 v[2:3], v[2:3], v[34:35], -v[16:17]
	s_delay_alu instid0(VALU_DEP_4) | instskip(NEXT) | instid1(VALU_DEP_4)
	v_add_f64_e32 v[6:7], v[6:7], v[10:11]
	v_add_f64_e32 v[8:9], v[8:9], v[12:13]
	s_delay_alu instid0(VALU_DEP_2) | instskip(NEXT) | instid1(VALU_DEP_2)
	v_add_f64_e32 v[2:3], v[6:7], v[2:3]
	v_add_f64_e32 v[4:5], v[8:9], v[4:5]
	s_delay_alu instid0(VALU_DEP_2) | instskip(NEXT) | instid1(VALU_DEP_2)
	v_add_f64_e64 v[2:3], v[42:43], -v[2:3]
	v_add_f64_e64 v[4:5], v[44:45], -v[4:5]
	scratch_store_b128 off, v[2:5], off offset:48
	v_cmpx_lt_u32_e32 1, v0
	s_cbranch_execz .LBB41_263
; %bb.262:
	scratch_load_b128 v[5:8], off, s35
	v_dual_mov_b32 v2, v1 :: v_dual_mov_b32 v3, v1
	v_mov_b32_e32 v4, v1
	scratch_store_b128 off, v[1:4], off offset:32
	s_wait_loadcnt 0x0
	ds_store_b128 v130, v[5:8]
.LBB41_263:
	s_wait_alu 0xfffe
	s_or_b32 exec_lo, exec_lo, s0
	s_wait_storecnt_dscnt 0x0
	s_barrier_signal -1
	s_barrier_wait -1
	global_inv scope:SCOPE_SE
	s_clause 0x8
	scratch_load_b128 v[2:5], off, off offset:48
	scratch_load_b128 v[6:9], off, off offset:64
	;; [unrolled: 1-line block ×9, first 2 shown]
	ds_load_b128 v[42:45], v1 offset:704
	ds_load_b128 v[38:41], v1 offset:720
	s_clause 0x1
	scratch_load_b128 v[131:134], off, off offset:32
	scratch_load_b128 v[135:138], off, off offset:192
	s_mov_b32 s0, exec_lo
	s_wait_loadcnt_dscnt 0xa01
	v_mul_f64_e32 v[139:140], v[44:45], v[4:5]
	v_mul_f64_e32 v[4:5], v[42:43], v[4:5]
	s_wait_loadcnt_dscnt 0x900
	v_mul_f64_e32 v[143:144], v[38:39], v[8:9]
	v_mul_f64_e32 v[8:9], v[40:41], v[8:9]
	s_delay_alu instid0(VALU_DEP_4) | instskip(NEXT) | instid1(VALU_DEP_4)
	v_fma_f64 v[145:146], v[42:43], v[2:3], -v[139:140]
	v_fma_f64 v[147:148], v[44:45], v[2:3], v[4:5]
	ds_load_b128 v[2:5], v1 offset:736
	ds_load_b128 v[139:142], v1 offset:752
	scratch_load_b128 v[42:45], off, off offset:208
	v_fma_f64 v[40:41], v[40:41], v[6:7], v[143:144]
	v_fma_f64 v[38:39], v[38:39], v[6:7], -v[8:9]
	scratch_load_b128 v[6:9], off, off offset:224
	s_wait_loadcnt_dscnt 0xa01
	v_mul_f64_e32 v[149:150], v[2:3], v[12:13]
	v_mul_f64_e32 v[12:13], v[4:5], v[12:13]
	v_add_f64_e32 v[143:144], 0, v[145:146]
	v_add_f64_e32 v[145:146], 0, v[147:148]
	s_wait_loadcnt_dscnt 0x900
	v_mul_f64_e32 v[147:148], v[139:140], v[16:17]
	v_mul_f64_e32 v[16:17], v[141:142], v[16:17]
	v_fma_f64 v[149:150], v[4:5], v[10:11], v[149:150]
	v_fma_f64 v[151:152], v[2:3], v[10:11], -v[12:13]
	ds_load_b128 v[2:5], v1 offset:768
	scratch_load_b128 v[10:13], off, off offset:240
	v_add_f64_e32 v[143:144], v[143:144], v[38:39]
	v_add_f64_e32 v[145:146], v[145:146], v[40:41]
	ds_load_b128 v[38:41], v1 offset:784
	v_fma_f64 v[141:142], v[141:142], v[14:15], v[147:148]
	v_fma_f64 v[139:140], v[139:140], v[14:15], -v[16:17]
	scratch_load_b128 v[14:17], off, off offset:256
	s_wait_loadcnt_dscnt 0xa01
	v_mul_f64_e32 v[153:154], v[2:3], v[20:21]
	v_mul_f64_e32 v[20:21], v[4:5], v[20:21]
	s_wait_loadcnt_dscnt 0x900
	v_mul_f64_e32 v[147:148], v[38:39], v[24:25]
	v_mul_f64_e32 v[24:25], v[40:41], v[24:25]
	v_add_f64_e32 v[143:144], v[143:144], v[151:152]
	v_add_f64_e32 v[145:146], v[145:146], v[149:150]
	v_fma_f64 v[149:150], v[4:5], v[18:19], v[153:154]
	v_fma_f64 v[151:152], v[2:3], v[18:19], -v[20:21]
	ds_load_b128 v[2:5], v1 offset:800
	scratch_load_b128 v[18:21], off, off offset:272
	v_fma_f64 v[40:41], v[40:41], v[22:23], v[147:148]
	v_fma_f64 v[38:39], v[38:39], v[22:23], -v[24:25]
	scratch_load_b128 v[22:25], off, off offset:288
	v_add_f64_e32 v[143:144], v[143:144], v[139:140]
	v_add_f64_e32 v[145:146], v[145:146], v[141:142]
	ds_load_b128 v[139:142], v1 offset:816
	s_wait_loadcnt_dscnt 0xa01
	v_mul_f64_e32 v[153:154], v[2:3], v[28:29]
	v_mul_f64_e32 v[28:29], v[4:5], v[28:29]
	s_wait_loadcnt_dscnt 0x900
	v_mul_f64_e32 v[147:148], v[139:140], v[32:33]
	v_mul_f64_e32 v[32:33], v[141:142], v[32:33]
	v_add_f64_e32 v[143:144], v[143:144], v[151:152]
	v_add_f64_e32 v[145:146], v[145:146], v[149:150]
	v_fma_f64 v[149:150], v[4:5], v[26:27], v[153:154]
	v_fma_f64 v[151:152], v[2:3], v[26:27], -v[28:29]
	ds_load_b128 v[2:5], v1 offset:832
	scratch_load_b128 v[26:29], off, off offset:304
	v_fma_f64 v[141:142], v[141:142], v[30:31], v[147:148]
	v_fma_f64 v[139:140], v[139:140], v[30:31], -v[32:33]
	scratch_load_b128 v[30:33], off, off offset:320
	v_add_f64_e32 v[143:144], v[143:144], v[38:39]
	v_add_f64_e32 v[145:146], v[145:146], v[40:41]
	ds_load_b128 v[38:41], v1 offset:848
	s_wait_loadcnt_dscnt 0xa01
	v_mul_f64_e32 v[153:154], v[2:3], v[36:37]
	v_mul_f64_e32 v[36:37], v[4:5], v[36:37]
	s_wait_loadcnt_dscnt 0x800
	v_mul_f64_e32 v[147:148], v[38:39], v[137:138]
	v_add_f64_e32 v[143:144], v[143:144], v[151:152]
	v_add_f64_e32 v[145:146], v[145:146], v[149:150]
	v_mul_f64_e32 v[149:150], v[40:41], v[137:138]
	v_fma_f64 v[151:152], v[4:5], v[34:35], v[153:154]
	v_fma_f64 v[153:154], v[2:3], v[34:35], -v[36:37]
	ds_load_b128 v[2:5], v1 offset:864
	scratch_load_b128 v[34:37], off, off offset:336
	v_fma_f64 v[147:148], v[40:41], v[135:136], v[147:148]
	v_add_f64_e32 v[143:144], v[143:144], v[139:140]
	v_add_f64_e32 v[141:142], v[145:146], v[141:142]
	ds_load_b128 v[137:140], v1 offset:880
	v_fma_f64 v[135:136], v[38:39], v[135:136], -v[149:150]
	scratch_load_b128 v[38:41], off, off offset:352
	s_wait_loadcnt_dscnt 0x901
	v_mul_f64_e32 v[145:146], v[2:3], v[44:45]
	v_mul_f64_e32 v[44:45], v[4:5], v[44:45]
	s_wait_loadcnt_dscnt 0x800
	v_mul_f64_e32 v[149:150], v[137:138], v[8:9]
	v_mul_f64_e32 v[8:9], v[139:140], v[8:9]
	v_add_f64_e32 v[143:144], v[143:144], v[153:154]
	v_add_f64_e32 v[141:142], v[141:142], v[151:152]
	v_fma_f64 v[145:146], v[4:5], v[42:43], v[145:146]
	v_fma_f64 v[151:152], v[2:3], v[42:43], -v[44:45]
	ds_load_b128 v[2:5], v1 offset:896
	scratch_load_b128 v[42:45], off, off offset:368
	v_fma_f64 v[139:140], v[139:140], v[6:7], v[149:150]
	v_fma_f64 v[137:138], v[137:138], v[6:7], -v[8:9]
	scratch_load_b128 v[6:9], off, off offset:384
	v_add_f64_e32 v[135:136], v[143:144], v[135:136]
	v_add_f64_e32 v[147:148], v[141:142], v[147:148]
	ds_load_b128 v[141:144], v1 offset:912
	s_wait_loadcnt_dscnt 0x901
	v_mul_f64_e32 v[153:154], v[2:3], v[12:13]
	v_mul_f64_e32 v[12:13], v[4:5], v[12:13]
	v_add_f64_e32 v[135:136], v[135:136], v[151:152]
	v_add_f64_e32 v[145:146], v[147:148], v[145:146]
	s_wait_loadcnt_dscnt 0x800
	v_mul_f64_e32 v[147:148], v[141:142], v[16:17]
	v_mul_f64_e32 v[16:17], v[143:144], v[16:17]
	v_fma_f64 v[149:150], v[4:5], v[10:11], v[153:154]
	v_fma_f64 v[151:152], v[2:3], v[10:11], -v[12:13]
	ds_load_b128 v[2:5], v1 offset:928
	scratch_load_b128 v[10:13], off, off offset:400
	v_add_f64_e32 v[153:154], v[135:136], v[137:138]
	v_add_f64_e32 v[139:140], v[145:146], v[139:140]
	ds_load_b128 v[135:138], v1 offset:944
	s_wait_loadcnt_dscnt 0x801
	v_mul_f64_e32 v[145:146], v[2:3], v[20:21]
	v_mul_f64_e32 v[20:21], v[4:5], v[20:21]
	v_fma_f64 v[143:144], v[143:144], v[14:15], v[147:148]
	v_fma_f64 v[141:142], v[141:142], v[14:15], -v[16:17]
	scratch_load_b128 v[14:17], off, off offset:416
	v_add_f64_e32 v[147:148], v[153:154], v[151:152]
	v_add_f64_e32 v[139:140], v[139:140], v[149:150]
	s_wait_loadcnt_dscnt 0x800
	v_mul_f64_e32 v[149:150], v[135:136], v[24:25]
	v_mul_f64_e32 v[24:25], v[137:138], v[24:25]
	v_fma_f64 v[145:146], v[4:5], v[18:19], v[145:146]
	v_fma_f64 v[151:152], v[2:3], v[18:19], -v[20:21]
	ds_load_b128 v[2:5], v1 offset:960
	scratch_load_b128 v[18:21], off, off offset:432
	v_add_f64_e32 v[147:148], v[147:148], v[141:142]
	v_add_f64_e32 v[143:144], v[139:140], v[143:144]
	ds_load_b128 v[139:142], v1 offset:976
	s_wait_loadcnt_dscnt 0x801
	v_mul_f64_e32 v[153:154], v[2:3], v[28:29]
	v_mul_f64_e32 v[28:29], v[4:5], v[28:29]
	v_fma_f64 v[137:138], v[137:138], v[22:23], v[149:150]
	v_fma_f64 v[135:136], v[135:136], v[22:23], -v[24:25]
	scratch_load_b128 v[22:25], off, off offset:448
	v_add_f64_e32 v[147:148], v[147:148], v[151:152]
	v_add_f64_e32 v[143:144], v[143:144], v[145:146]
	s_wait_loadcnt_dscnt 0x800
	v_mul_f64_e32 v[145:146], v[139:140], v[32:33]
	v_mul_f64_e32 v[32:33], v[141:142], v[32:33]
	v_fma_f64 v[149:150], v[4:5], v[26:27], v[153:154]
	v_fma_f64 v[151:152], v[2:3], v[26:27], -v[28:29]
	ds_load_b128 v[2:5], v1 offset:992
	scratch_load_b128 v[26:29], off, off offset:464
	v_add_f64_e32 v[147:148], v[147:148], v[135:136]
	v_add_f64_e32 v[143:144], v[143:144], v[137:138]
	ds_load_b128 v[135:138], v1 offset:1008
	s_wait_loadcnt_dscnt 0x801
	v_mul_f64_e32 v[153:154], v[2:3], v[36:37]
	v_mul_f64_e32 v[36:37], v[4:5], v[36:37]
	v_fma_f64 v[141:142], v[141:142], v[30:31], v[145:146]
	v_fma_f64 v[139:140], v[139:140], v[30:31], -v[32:33]
	scratch_load_b128 v[30:33], off, off offset:480
	v_add_f64_e32 v[145:146], v[147:148], v[151:152]
	v_add_f64_e32 v[143:144], v[143:144], v[149:150]
	s_wait_loadcnt_dscnt 0x800
	v_mul_f64_e32 v[147:148], v[135:136], v[40:41]
	v_mul_f64_e32 v[40:41], v[137:138], v[40:41]
	v_fma_f64 v[149:150], v[4:5], v[34:35], v[153:154]
	v_fma_f64 v[151:152], v[2:3], v[34:35], -v[36:37]
	ds_load_b128 v[2:5], v1 offset:1024
	scratch_load_b128 v[34:37], off, off offset:496
	v_add_f64_e32 v[145:146], v[145:146], v[139:140]
	v_add_f64_e32 v[143:144], v[143:144], v[141:142]
	ds_load_b128 v[139:142], v1 offset:1040
	s_wait_loadcnt_dscnt 0x801
	v_mul_f64_e32 v[153:154], v[2:3], v[44:45]
	v_mul_f64_e32 v[44:45], v[4:5], v[44:45]
	v_fma_f64 v[137:138], v[137:138], v[38:39], v[147:148]
	v_fma_f64 v[135:136], v[135:136], v[38:39], -v[40:41]
	scratch_load_b128 v[38:41], off, off offset:512
	s_wait_loadcnt_dscnt 0x800
	v_mul_f64_e32 v[147:148], v[139:140], v[8:9]
	v_mul_f64_e32 v[8:9], v[141:142], v[8:9]
	v_add_f64_e32 v[145:146], v[145:146], v[151:152]
	v_add_f64_e32 v[143:144], v[143:144], v[149:150]
	v_fma_f64 v[149:150], v[4:5], v[42:43], v[153:154]
	v_fma_f64 v[151:152], v[2:3], v[42:43], -v[44:45]
	ds_load_b128 v[2:5], v1 offset:1056
	scratch_load_b128 v[42:45], off, off offset:528
	v_fma_f64 v[141:142], v[141:142], v[6:7], v[147:148]
	v_fma_f64 v[139:140], v[139:140], v[6:7], -v[8:9]
	scratch_load_b128 v[6:9], off, off offset:544
	v_add_f64_e32 v[145:146], v[145:146], v[135:136]
	v_add_f64_e32 v[143:144], v[143:144], v[137:138]
	ds_load_b128 v[135:138], v1 offset:1072
	s_wait_loadcnt_dscnt 0x901
	v_mul_f64_e32 v[153:154], v[2:3], v[12:13]
	v_mul_f64_e32 v[12:13], v[4:5], v[12:13]
	s_wait_loadcnt_dscnt 0x800
	v_mul_f64_e32 v[147:148], v[135:136], v[16:17]
	v_mul_f64_e32 v[16:17], v[137:138], v[16:17]
	v_add_f64_e32 v[145:146], v[145:146], v[151:152]
	v_add_f64_e32 v[143:144], v[143:144], v[149:150]
	v_fma_f64 v[149:150], v[4:5], v[10:11], v[153:154]
	v_fma_f64 v[151:152], v[2:3], v[10:11], -v[12:13]
	ds_load_b128 v[2:5], v1 offset:1088
	scratch_load_b128 v[10:13], off, off offset:560
	v_fma_f64 v[137:138], v[137:138], v[14:15], v[147:148]
	v_fma_f64 v[135:136], v[135:136], v[14:15], -v[16:17]
	scratch_load_b128 v[14:17], off, off offset:576
	v_add_f64_e32 v[145:146], v[145:146], v[139:140]
	v_add_f64_e32 v[143:144], v[143:144], v[141:142]
	ds_load_b128 v[139:142], v1 offset:1104
	s_wait_loadcnt_dscnt 0x901
	v_mul_f64_e32 v[153:154], v[2:3], v[20:21]
	v_mul_f64_e32 v[20:21], v[4:5], v[20:21]
	;; [unrolled: 18-line block ×5, first 2 shown]
	s_wait_loadcnt_dscnt 0x800
	v_mul_f64_e32 v[147:148], v[135:136], v[8:9]
	v_mul_f64_e32 v[8:9], v[137:138], v[8:9]
	v_add_f64_e32 v[145:146], v[145:146], v[151:152]
	v_add_f64_e32 v[143:144], v[143:144], v[149:150]
	v_fma_f64 v[149:150], v[4:5], v[42:43], v[153:154]
	v_fma_f64 v[151:152], v[2:3], v[42:43], -v[44:45]
	ds_load_b128 v[2:5], v1 offset:1216
	ds_load_b128 v[42:45], v1 offset:1232
	v_fma_f64 v[137:138], v[137:138], v[6:7], v[147:148]
	v_fma_f64 v[6:7], v[135:136], v[6:7], -v[8:9]
	v_add_f64_e32 v[139:140], v[145:146], v[139:140]
	v_add_f64_e32 v[141:142], v[143:144], v[141:142]
	s_wait_loadcnt_dscnt 0x701
	v_mul_f64_e32 v[143:144], v[2:3], v[12:13]
	v_mul_f64_e32 v[12:13], v[4:5], v[12:13]
	s_delay_alu instid0(VALU_DEP_4) | instskip(NEXT) | instid1(VALU_DEP_4)
	v_add_f64_e32 v[8:9], v[139:140], v[151:152]
	v_add_f64_e32 v[135:136], v[141:142], v[149:150]
	s_wait_loadcnt_dscnt 0x600
	v_mul_f64_e32 v[139:140], v[42:43], v[16:17]
	v_mul_f64_e32 v[16:17], v[44:45], v[16:17]
	v_fma_f64 v[141:142], v[4:5], v[10:11], v[143:144]
	v_fma_f64 v[10:11], v[2:3], v[10:11], -v[12:13]
	v_add_f64_e32 v[12:13], v[8:9], v[6:7]
	v_add_f64_e32 v[135:136], v[135:136], v[137:138]
	ds_load_b128 v[2:5], v1 offset:1248
	ds_load_b128 v[6:9], v1 offset:1264
	v_fma_f64 v[44:45], v[44:45], v[14:15], v[139:140]
	v_fma_f64 v[14:15], v[42:43], v[14:15], -v[16:17]
	s_wait_loadcnt_dscnt 0x501
	v_mul_f64_e32 v[137:138], v[2:3], v[20:21]
	v_mul_f64_e32 v[20:21], v[4:5], v[20:21]
	s_wait_loadcnt_dscnt 0x400
	v_mul_f64_e32 v[16:17], v[6:7], v[24:25]
	v_mul_f64_e32 v[24:25], v[8:9], v[24:25]
	v_add_f64_e32 v[10:11], v[12:13], v[10:11]
	v_add_f64_e32 v[12:13], v[135:136], v[141:142]
	v_fma_f64 v[42:43], v[4:5], v[18:19], v[137:138]
	v_fma_f64 v[18:19], v[2:3], v[18:19], -v[20:21]
	v_fma_f64 v[8:9], v[8:9], v[22:23], v[16:17]
	v_fma_f64 v[6:7], v[6:7], v[22:23], -v[24:25]
	v_add_f64_e32 v[14:15], v[10:11], v[14:15]
	v_add_f64_e32 v[20:21], v[12:13], v[44:45]
	ds_load_b128 v[2:5], v1 offset:1280
	ds_load_b128 v[10:13], v1 offset:1296
	s_wait_loadcnt_dscnt 0x301
	v_mul_f64_e32 v[44:45], v[2:3], v[28:29]
	v_mul_f64_e32 v[28:29], v[4:5], v[28:29]
	v_add_f64_e32 v[14:15], v[14:15], v[18:19]
	v_add_f64_e32 v[16:17], v[20:21], v[42:43]
	s_wait_loadcnt_dscnt 0x200
	v_mul_f64_e32 v[18:19], v[10:11], v[32:33]
	v_mul_f64_e32 v[20:21], v[12:13], v[32:33]
	v_fma_f64 v[22:23], v[4:5], v[26:27], v[44:45]
	v_fma_f64 v[24:25], v[2:3], v[26:27], -v[28:29]
	v_add_f64_e32 v[14:15], v[14:15], v[6:7]
	v_add_f64_e32 v[16:17], v[16:17], v[8:9]
	ds_load_b128 v[2:5], v1 offset:1312
	ds_load_b128 v[6:9], v1 offset:1328
	v_fma_f64 v[12:13], v[12:13], v[30:31], v[18:19]
	v_fma_f64 v[10:11], v[10:11], v[30:31], -v[20:21]
	s_wait_loadcnt_dscnt 0x101
	v_mul_f64_e32 v[26:27], v[2:3], v[36:37]
	v_mul_f64_e32 v[28:29], v[4:5], v[36:37]
	s_wait_loadcnt_dscnt 0x0
	v_mul_f64_e32 v[18:19], v[6:7], v[40:41]
	v_mul_f64_e32 v[20:21], v[8:9], v[40:41]
	v_add_f64_e32 v[14:15], v[14:15], v[24:25]
	v_add_f64_e32 v[16:17], v[16:17], v[22:23]
	v_fma_f64 v[4:5], v[4:5], v[34:35], v[26:27]
	v_fma_f64 v[1:2], v[2:3], v[34:35], -v[28:29]
	v_fma_f64 v[8:9], v[8:9], v[38:39], v[18:19]
	v_fma_f64 v[6:7], v[6:7], v[38:39], -v[20:21]
	v_add_f64_e32 v[10:11], v[14:15], v[10:11]
	v_add_f64_e32 v[12:13], v[16:17], v[12:13]
	s_delay_alu instid0(VALU_DEP_2) | instskip(NEXT) | instid1(VALU_DEP_2)
	v_add_f64_e32 v[1:2], v[10:11], v[1:2]
	v_add_f64_e32 v[3:4], v[12:13], v[4:5]
	s_delay_alu instid0(VALU_DEP_2) | instskip(NEXT) | instid1(VALU_DEP_2)
	;; [unrolled: 3-line block ×3, first 2 shown]
	v_add_f64_e64 v[1:2], v[131:132], -v[1:2]
	v_add_f64_e64 v[3:4], v[133:134], -v[3:4]
	scratch_store_b128 off, v[1:4], off offset:32
	v_cmpx_ne_u32_e32 0, v0
	s_cbranch_execz .LBB41_265
; %bb.264:
	scratch_load_b128 v[0:3], off, off offset:16
	v_mov_b32_e32 v4, 0
	s_delay_alu instid0(VALU_DEP_1)
	v_dual_mov_b32 v5, v4 :: v_dual_mov_b32 v6, v4
	v_mov_b32_e32 v7, v4
	scratch_store_b128 off, v[4:7], off offset:16
	s_wait_loadcnt 0x0
	ds_store_b128 v130, v[0:3]
.LBB41_265:
	s_wait_alu 0xfffe
	s_or_b32 exec_lo, exec_lo, s0
	s_wait_storecnt_dscnt 0x0
	s_barrier_signal -1
	s_barrier_wait -1
	global_inv scope:SCOPE_SE
	s_clause 0x7
	scratch_load_b128 v[0:3], off, off offset:32
	scratch_load_b128 v[4:7], off, off offset:48
	;; [unrolled: 1-line block ×8, first 2 shown]
	v_mov_b32_e32 v40, 0
	s_and_b32 vcc_lo, exec_lo, s18
	ds_load_b128 v[36:39], v40 offset:688
	s_clause 0x1
	scratch_load_b128 v[32:35], off, off offset:160
	scratch_load_b128 v[41:44], off, off offset:16
	ds_load_b128 v[130:133], v40 offset:704
	scratch_load_b128 v[134:137], off, off offset:176
	s_wait_loadcnt_dscnt 0xa01
	v_mul_f64_e32 v[138:139], v[38:39], v[2:3]
	v_mul_f64_e32 v[2:3], v[36:37], v[2:3]
	s_delay_alu instid0(VALU_DEP_2) | instskip(NEXT) | instid1(VALU_DEP_2)
	v_fma_f64 v[144:145], v[36:37], v[0:1], -v[138:139]
	v_fma_f64 v[146:147], v[38:39], v[0:1], v[2:3]
	ds_load_b128 v[0:3], v40 offset:720
	s_wait_loadcnt_dscnt 0x901
	v_mul_f64_e32 v[142:143], v[130:131], v[6:7]
	v_mul_f64_e32 v[6:7], v[132:133], v[6:7]
	scratch_load_b128 v[36:39], off, off offset:192
	ds_load_b128 v[138:141], v40 offset:736
	s_wait_loadcnt_dscnt 0x901
	v_mul_f64_e32 v[148:149], v[0:1], v[10:11]
	v_mul_f64_e32 v[10:11], v[2:3], v[10:11]
	v_fma_f64 v[132:133], v[132:133], v[4:5], v[142:143]
	v_fma_f64 v[130:131], v[130:131], v[4:5], -v[6:7]
	v_add_f64_e32 v[142:143], 0, v[144:145]
	v_add_f64_e32 v[144:145], 0, v[146:147]
	scratch_load_b128 v[4:7], off, off offset:208
	v_fma_f64 v[148:149], v[2:3], v[8:9], v[148:149]
	v_fma_f64 v[150:151], v[0:1], v[8:9], -v[10:11]
	ds_load_b128 v[0:3], v40 offset:752
	s_wait_loadcnt_dscnt 0x901
	v_mul_f64_e32 v[146:147], v[138:139], v[14:15]
	v_mul_f64_e32 v[14:15], v[140:141], v[14:15]
	scratch_load_b128 v[8:11], off, off offset:224
	v_add_f64_e32 v[142:143], v[142:143], v[130:131]
	v_add_f64_e32 v[144:145], v[144:145], v[132:133]
	s_wait_loadcnt_dscnt 0x900
	v_mul_f64_e32 v[152:153], v[0:1], v[18:19]
	v_mul_f64_e32 v[18:19], v[2:3], v[18:19]
	ds_load_b128 v[130:133], v40 offset:768
	v_fma_f64 v[140:141], v[140:141], v[12:13], v[146:147]
	v_fma_f64 v[138:139], v[138:139], v[12:13], -v[14:15]
	scratch_load_b128 v[12:15], off, off offset:240
	v_add_f64_e32 v[142:143], v[142:143], v[150:151]
	v_add_f64_e32 v[144:145], v[144:145], v[148:149]
	v_fma_f64 v[148:149], v[2:3], v[16:17], v[152:153]
	v_fma_f64 v[150:151], v[0:1], v[16:17], -v[18:19]
	ds_load_b128 v[0:3], v40 offset:784
	s_wait_loadcnt_dscnt 0x901
	v_mul_f64_e32 v[146:147], v[130:131], v[22:23]
	v_mul_f64_e32 v[22:23], v[132:133], v[22:23]
	scratch_load_b128 v[16:19], off, off offset:256
	s_wait_loadcnt_dscnt 0x900
	v_mul_f64_e32 v[152:153], v[0:1], v[26:27]
	v_mul_f64_e32 v[26:27], v[2:3], v[26:27]
	v_add_f64_e32 v[142:143], v[142:143], v[138:139]
	v_add_f64_e32 v[144:145], v[144:145], v[140:141]
	ds_load_b128 v[138:141], v40 offset:800
	v_fma_f64 v[132:133], v[132:133], v[20:21], v[146:147]
	v_fma_f64 v[130:131], v[130:131], v[20:21], -v[22:23]
	scratch_load_b128 v[20:23], off, off offset:272
	v_add_f64_e32 v[142:143], v[142:143], v[150:151]
	v_add_f64_e32 v[144:145], v[144:145], v[148:149]
	v_fma_f64 v[148:149], v[2:3], v[24:25], v[152:153]
	v_fma_f64 v[150:151], v[0:1], v[24:25], -v[26:27]
	ds_load_b128 v[0:3], v40 offset:816
	s_wait_loadcnt_dscnt 0x901
	v_mul_f64_e32 v[146:147], v[138:139], v[30:31]
	v_mul_f64_e32 v[30:31], v[140:141], v[30:31]
	scratch_load_b128 v[24:27], off, off offset:288
	s_wait_loadcnt_dscnt 0x900
	v_mul_f64_e32 v[152:153], v[0:1], v[34:35]
	v_mul_f64_e32 v[34:35], v[2:3], v[34:35]
	v_add_f64_e32 v[142:143], v[142:143], v[130:131]
	v_add_f64_e32 v[144:145], v[144:145], v[132:133]
	ds_load_b128 v[130:133], v40 offset:832
	v_fma_f64 v[140:141], v[140:141], v[28:29], v[146:147]
	v_fma_f64 v[138:139], v[138:139], v[28:29], -v[30:31]
	scratch_load_b128 v[28:31], off, off offset:304
	v_add_f64_e32 v[142:143], v[142:143], v[150:151]
	v_add_f64_e32 v[144:145], v[144:145], v[148:149]
	v_fma_f64 v[150:151], v[2:3], v[32:33], v[152:153]
	v_fma_f64 v[152:153], v[0:1], v[32:33], -v[34:35]
	ds_load_b128 v[0:3], v40 offset:848
	s_wait_loadcnt_dscnt 0x801
	v_mul_f64_e32 v[146:147], v[130:131], v[136:137]
	v_mul_f64_e32 v[148:149], v[132:133], v[136:137]
	scratch_load_b128 v[32:35], off, off offset:320
	v_add_f64_e32 v[142:143], v[142:143], v[138:139]
	v_add_f64_e32 v[140:141], v[144:145], v[140:141]
	ds_load_b128 v[136:139], v40 offset:864
	v_fma_f64 v[146:147], v[132:133], v[134:135], v[146:147]
	v_fma_f64 v[134:135], v[130:131], v[134:135], -v[148:149]
	scratch_load_b128 v[130:133], off, off offset:336
	s_wait_loadcnt_dscnt 0x901
	v_mul_f64_e32 v[144:145], v[0:1], v[38:39]
	v_mul_f64_e32 v[38:39], v[2:3], v[38:39]
	v_add_f64_e32 v[142:143], v[142:143], v[152:153]
	v_add_f64_e32 v[140:141], v[140:141], v[150:151]
	s_delay_alu instid0(VALU_DEP_4) | instskip(NEXT) | instid1(VALU_DEP_4)
	v_fma_f64 v[144:145], v[2:3], v[36:37], v[144:145]
	v_fma_f64 v[150:151], v[0:1], v[36:37], -v[38:39]
	ds_load_b128 v[0:3], v40 offset:880
	s_wait_loadcnt_dscnt 0x801
	v_mul_f64_e32 v[148:149], v[136:137], v[6:7]
	v_mul_f64_e32 v[6:7], v[138:139], v[6:7]
	scratch_load_b128 v[36:39], off, off offset:352
	s_wait_loadcnt_dscnt 0x800
	v_mul_f64_e32 v[152:153], v[0:1], v[10:11]
	v_add_f64_e32 v[134:135], v[142:143], v[134:135]
	v_add_f64_e32 v[146:147], v[140:141], v[146:147]
	v_mul_f64_e32 v[10:11], v[2:3], v[10:11]
	ds_load_b128 v[140:143], v40 offset:896
	v_fma_f64 v[138:139], v[138:139], v[4:5], v[148:149]
	v_fma_f64 v[136:137], v[136:137], v[4:5], -v[6:7]
	scratch_load_b128 v[4:7], off, off offset:368
	v_fma_f64 v[148:149], v[2:3], v[8:9], v[152:153]
	v_add_f64_e32 v[134:135], v[134:135], v[150:151]
	v_add_f64_e32 v[144:145], v[146:147], v[144:145]
	v_fma_f64 v[150:151], v[0:1], v[8:9], -v[10:11]
	ds_load_b128 v[0:3], v40 offset:912
	s_wait_loadcnt_dscnt 0x801
	v_mul_f64_e32 v[146:147], v[140:141], v[14:15]
	v_mul_f64_e32 v[14:15], v[142:143], v[14:15]
	scratch_load_b128 v[8:11], off, off offset:384
	v_add_f64_e32 v[152:153], v[134:135], v[136:137]
	v_add_f64_e32 v[138:139], v[144:145], v[138:139]
	s_wait_loadcnt_dscnt 0x800
	v_mul_f64_e32 v[144:145], v[0:1], v[18:19]
	v_mul_f64_e32 v[18:19], v[2:3], v[18:19]
	v_fma_f64 v[142:143], v[142:143], v[12:13], v[146:147]
	v_fma_f64 v[140:141], v[140:141], v[12:13], -v[14:15]
	ds_load_b128 v[134:137], v40 offset:928
	scratch_load_b128 v[12:15], off, off offset:400
	v_add_f64_e32 v[146:147], v[152:153], v[150:151]
	v_add_f64_e32 v[138:139], v[138:139], v[148:149]
	v_fma_f64 v[144:145], v[2:3], v[16:17], v[144:145]
	v_fma_f64 v[150:151], v[0:1], v[16:17], -v[18:19]
	ds_load_b128 v[0:3], v40 offset:944
	s_wait_loadcnt_dscnt 0x801
	v_mul_f64_e32 v[148:149], v[134:135], v[22:23]
	v_mul_f64_e32 v[22:23], v[136:137], v[22:23]
	scratch_load_b128 v[16:19], off, off offset:416
	s_wait_loadcnt_dscnt 0x800
	v_mul_f64_e32 v[152:153], v[0:1], v[26:27]
	v_mul_f64_e32 v[26:27], v[2:3], v[26:27]
	v_add_f64_e32 v[146:147], v[146:147], v[140:141]
	v_add_f64_e32 v[142:143], v[138:139], v[142:143]
	ds_load_b128 v[138:141], v40 offset:960
	v_fma_f64 v[136:137], v[136:137], v[20:21], v[148:149]
	v_fma_f64 v[134:135], v[134:135], v[20:21], -v[22:23]
	scratch_load_b128 v[20:23], off, off offset:432
	v_fma_f64 v[148:149], v[2:3], v[24:25], v[152:153]
	v_add_f64_e32 v[146:147], v[146:147], v[150:151]
	v_add_f64_e32 v[142:143], v[142:143], v[144:145]
	v_fma_f64 v[150:151], v[0:1], v[24:25], -v[26:27]
	ds_load_b128 v[0:3], v40 offset:976
	s_wait_loadcnt_dscnt 0x801
	v_mul_f64_e32 v[144:145], v[138:139], v[30:31]
	v_mul_f64_e32 v[30:31], v[140:141], v[30:31]
	scratch_load_b128 v[24:27], off, off offset:448
	s_wait_loadcnt_dscnt 0x800
	v_mul_f64_e32 v[152:153], v[0:1], v[34:35]
	v_mul_f64_e32 v[34:35], v[2:3], v[34:35]
	v_add_f64_e32 v[146:147], v[146:147], v[134:135]
	v_add_f64_e32 v[142:143], v[142:143], v[136:137]
	ds_load_b128 v[134:137], v40 offset:992
	v_fma_f64 v[140:141], v[140:141], v[28:29], v[144:145]
	v_fma_f64 v[138:139], v[138:139], v[28:29], -v[30:31]
	scratch_load_b128 v[28:31], off, off offset:464
	v_add_f64_e32 v[144:145], v[146:147], v[150:151]
	v_add_f64_e32 v[142:143], v[142:143], v[148:149]
	v_fma_f64 v[148:149], v[2:3], v[32:33], v[152:153]
	v_fma_f64 v[150:151], v[0:1], v[32:33], -v[34:35]
	ds_load_b128 v[0:3], v40 offset:1008
	s_wait_loadcnt_dscnt 0x801
	v_mul_f64_e32 v[146:147], v[134:135], v[132:133]
	v_mul_f64_e32 v[132:133], v[136:137], v[132:133]
	scratch_load_b128 v[32:35], off, off offset:480
	s_wait_loadcnt_dscnt 0x800
	v_mul_f64_e32 v[152:153], v[0:1], v[38:39]
	v_mul_f64_e32 v[38:39], v[2:3], v[38:39]
	v_add_f64_e32 v[144:145], v[144:145], v[138:139]
	v_add_f64_e32 v[142:143], v[142:143], v[140:141]
	ds_load_b128 v[138:141], v40 offset:1024
	v_fma_f64 v[136:137], v[136:137], v[130:131], v[146:147]
	v_fma_f64 v[134:135], v[134:135], v[130:131], -v[132:133]
	scratch_load_b128 v[130:133], off, off offset:496
	v_add_f64_e32 v[144:145], v[144:145], v[150:151]
	v_add_f64_e32 v[142:143], v[142:143], v[148:149]
	v_fma_f64 v[148:149], v[2:3], v[36:37], v[152:153]
	;; [unrolled: 18-line block ×6, first 2 shown]
	v_fma_f64 v[152:153], v[0:1], v[32:33], -v[34:35]
	ds_load_b128 v[0:3], v40 offset:1168
	s_wait_loadcnt_dscnt 0x801
	v_mul_f64_e32 v[146:147], v[138:139], v[132:133]
	v_mul_f64_e32 v[148:149], v[140:141], v[132:133]
	scratch_load_b128 v[32:35], off, off offset:640
	v_add_f64_e32 v[144:145], v[144:145], v[134:135]
	v_add_f64_e32 v[136:137], v[142:143], v[136:137]
	s_wait_loadcnt_dscnt 0x800
	v_mul_f64_e32 v[142:143], v[0:1], v[38:39]
	v_mul_f64_e32 v[38:39], v[2:3], v[38:39]
	ds_load_b128 v[132:135], v40 offset:1184
	v_fma_f64 v[140:141], v[140:141], v[130:131], v[146:147]
	v_fma_f64 v[130:131], v[138:139], v[130:131], -v[148:149]
	v_add_f64_e32 v[144:145], v[144:145], v[152:153]
	v_add_f64_e32 v[146:147], v[136:137], v[150:151]
	scratch_load_b128 v[136:139], off, off offset:656
	v_fma_f64 v[150:151], v[2:3], v[36:37], v[142:143]
	v_fma_f64 v[152:153], v[0:1], v[36:37], -v[38:39]
	ds_load_b128 v[0:3], v40 offset:1200
	s_wait_loadcnt_dscnt 0x801
	v_mul_f64_e32 v[148:149], v[132:133], v[6:7]
	v_mul_f64_e32 v[6:7], v[134:135], v[6:7]
	scratch_load_b128 v[36:39], off, off offset:672
	v_add_f64_e32 v[130:131], v[144:145], v[130:131]
	v_add_f64_e32 v[144:145], v[146:147], v[140:141]
	s_wait_loadcnt_dscnt 0x800
	v_mul_f64_e32 v[146:147], v[0:1], v[10:11]
	v_mul_f64_e32 v[10:11], v[2:3], v[10:11]
	ds_load_b128 v[140:143], v40 offset:1216
	v_fma_f64 v[134:135], v[134:135], v[4:5], v[148:149]
	v_fma_f64 v[4:5], v[132:133], v[4:5], -v[6:7]
	s_wait_loadcnt_dscnt 0x700
	v_mul_f64_e32 v[132:133], v[140:141], v[14:15]
	v_mul_f64_e32 v[14:15], v[142:143], v[14:15]
	v_add_f64_e32 v[6:7], v[130:131], v[152:153]
	v_add_f64_e32 v[130:131], v[144:145], v[150:151]
	v_fma_f64 v[144:145], v[2:3], v[8:9], v[146:147]
	v_fma_f64 v[8:9], v[0:1], v[8:9], -v[10:11]
	v_fma_f64 v[132:133], v[142:143], v[12:13], v[132:133]
	v_fma_f64 v[12:13], v[140:141], v[12:13], -v[14:15]
	v_add_f64_e32 v[10:11], v[6:7], v[4:5]
	v_add_f64_e32 v[130:131], v[130:131], v[134:135]
	ds_load_b128 v[0:3], v40 offset:1232
	ds_load_b128 v[4:7], v40 offset:1248
	s_wait_loadcnt_dscnt 0x601
	v_mul_f64_e32 v[134:135], v[0:1], v[18:19]
	v_mul_f64_e32 v[18:19], v[2:3], v[18:19]
	s_wait_loadcnt_dscnt 0x500
	v_mul_f64_e32 v[14:15], v[4:5], v[22:23]
	v_mul_f64_e32 v[22:23], v[6:7], v[22:23]
	v_add_f64_e32 v[8:9], v[10:11], v[8:9]
	v_add_f64_e32 v[10:11], v[130:131], v[144:145]
	v_fma_f64 v[130:131], v[2:3], v[16:17], v[134:135]
	v_fma_f64 v[16:17], v[0:1], v[16:17], -v[18:19]
	v_fma_f64 v[6:7], v[6:7], v[20:21], v[14:15]
	v_fma_f64 v[4:5], v[4:5], v[20:21], -v[22:23]
	v_add_f64_e32 v[12:13], v[8:9], v[12:13]
	v_add_f64_e32 v[18:19], v[10:11], v[132:133]
	ds_load_b128 v[0:3], v40 offset:1264
	ds_load_b128 v[8:11], v40 offset:1280
	s_wait_loadcnt_dscnt 0x401
	v_mul_f64_e32 v[132:133], v[0:1], v[26:27]
	v_mul_f64_e32 v[26:27], v[2:3], v[26:27]
	v_add_f64_e32 v[12:13], v[12:13], v[16:17]
	v_add_f64_e32 v[14:15], v[18:19], v[130:131]
	s_wait_loadcnt_dscnt 0x300
	v_mul_f64_e32 v[16:17], v[8:9], v[30:31]
	v_mul_f64_e32 v[18:19], v[10:11], v[30:31]
	v_fma_f64 v[20:21], v[2:3], v[24:25], v[132:133]
	v_fma_f64 v[22:23], v[0:1], v[24:25], -v[26:27]
	v_add_f64_e32 v[12:13], v[12:13], v[4:5]
	v_add_f64_e32 v[14:15], v[14:15], v[6:7]
	ds_load_b128 v[0:3], v40 offset:1296
	ds_load_b128 v[4:7], v40 offset:1312
	v_fma_f64 v[10:11], v[10:11], v[28:29], v[16:17]
	v_fma_f64 v[8:9], v[8:9], v[28:29], -v[18:19]
	s_wait_loadcnt_dscnt 0x201
	v_mul_f64_e32 v[24:25], v[0:1], v[34:35]
	v_mul_f64_e32 v[26:27], v[2:3], v[34:35]
	v_add_f64_e32 v[12:13], v[12:13], v[22:23]
	v_add_f64_e32 v[14:15], v[14:15], v[20:21]
	s_wait_loadcnt_dscnt 0x100
	v_mul_f64_e32 v[16:17], v[4:5], v[138:139]
	v_mul_f64_e32 v[18:19], v[6:7], v[138:139]
	v_fma_f64 v[20:21], v[2:3], v[32:33], v[24:25]
	v_fma_f64 v[22:23], v[0:1], v[32:33], -v[26:27]
	ds_load_b128 v[0:3], v40 offset:1328
	v_add_f64_e32 v[8:9], v[12:13], v[8:9]
	v_add_f64_e32 v[10:11], v[14:15], v[10:11]
	s_wait_loadcnt_dscnt 0x0
	v_mul_f64_e32 v[12:13], v[0:1], v[38:39]
	v_mul_f64_e32 v[14:15], v[2:3], v[38:39]
	v_fma_f64 v[6:7], v[6:7], v[136:137], v[16:17]
	v_fma_f64 v[4:5], v[4:5], v[136:137], -v[18:19]
	v_add_f64_e32 v[8:9], v[8:9], v[22:23]
	v_add_f64_e32 v[10:11], v[10:11], v[20:21]
	v_fma_f64 v[2:3], v[2:3], v[36:37], v[12:13]
	v_fma_f64 v[0:1], v[0:1], v[36:37], -v[14:15]
	s_delay_alu instid0(VALU_DEP_4) | instskip(NEXT) | instid1(VALU_DEP_4)
	v_add_f64_e32 v[4:5], v[8:9], v[4:5]
	v_add_f64_e32 v[6:7], v[10:11], v[6:7]
	s_delay_alu instid0(VALU_DEP_2) | instskip(NEXT) | instid1(VALU_DEP_2)
	v_add_f64_e32 v[0:1], v[4:5], v[0:1]
	v_add_f64_e32 v[2:3], v[6:7], v[2:3]
	s_delay_alu instid0(VALU_DEP_2) | instskip(NEXT) | instid1(VALU_DEP_2)
	v_add_f64_e64 v[0:1], v[41:42], -v[0:1]
	v_add_f64_e64 v[2:3], v[43:44], -v[2:3]
	scratch_store_b128 off, v[0:3], off offset:16
	s_wait_alu 0xfffe
	s_cbranch_vccz .LBB41_348
; %bb.266:
	global_load_b32 v0, v40, s[2:3] offset:160
	s_wait_loadcnt 0x0
	v_cmp_ne_u32_e32 vcc_lo, 41, v0
	s_cbranch_vccz .LBB41_268
; %bb.267:
	v_lshlrev_b32_e32 v0, 4, v0
	s_delay_alu instid0(VALU_DEP_1)
	v_add_nc_u32_e32 v8, 16, v0
	s_clause 0x1
	scratch_load_b128 v[0:3], v8, off offset:-16
	scratch_load_b128 v[4:7], off, s29
	s_wait_loadcnt 0x1
	scratch_store_b128 off, v[0:3], s29
	s_wait_loadcnt 0x0
	scratch_store_b128 v8, v[4:7], off offset:-16
.LBB41_268:
	v_mov_b32_e32 v0, 0
	global_load_b32 v1, v0, s[2:3] offset:156
	s_wait_loadcnt 0x0
	v_cmp_eq_u32_e32 vcc_lo, 40, v1
	s_cbranch_vccnz .LBB41_270
; %bb.269:
	v_lshlrev_b32_e32 v1, 4, v1
	s_delay_alu instid0(VALU_DEP_1)
	v_add_nc_u32_e32 v9, 16, v1
	s_clause 0x1
	scratch_load_b128 v[1:4], v9, off offset:-16
	scratch_load_b128 v[5:8], off, s26
	s_wait_loadcnt 0x1
	scratch_store_b128 off, v[1:4], s26
	s_wait_loadcnt 0x0
	scratch_store_b128 v9, v[5:8], off offset:-16
.LBB41_270:
	global_load_b32 v0, v0, s[2:3] offset:152
	s_wait_loadcnt 0x0
	v_cmp_eq_u32_e32 vcc_lo, 39, v0
	s_cbranch_vccnz .LBB41_272
; %bb.271:
	v_lshlrev_b32_e32 v0, 4, v0
	s_delay_alu instid0(VALU_DEP_1)
	v_add_nc_u32_e32 v8, 16, v0
	s_clause 0x1
	scratch_load_b128 v[0:3], v8, off offset:-16
	scratch_load_b128 v[4:7], off, s28
	s_wait_loadcnt 0x1
	scratch_store_b128 off, v[0:3], s28
	s_wait_loadcnt 0x0
	scratch_store_b128 v8, v[4:7], off offset:-16
.LBB41_272:
	v_mov_b32_e32 v0, 0
	global_load_b32 v1, v0, s[2:3] offset:148
	s_wait_loadcnt 0x0
	v_cmp_eq_u32_e32 vcc_lo, 38, v1
	s_cbranch_vccnz .LBB41_274
; %bb.273:
	v_lshlrev_b32_e32 v1, 4, v1
	s_delay_alu instid0(VALU_DEP_1)
	v_add_nc_u32_e32 v9, 16, v1
	s_clause 0x1
	scratch_load_b128 v[1:4], v9, off offset:-16
	scratch_load_b128 v[5:8], off, s27
	s_wait_loadcnt 0x1
	scratch_store_b128 off, v[1:4], s27
	s_wait_loadcnt 0x0
	scratch_store_b128 v9, v[5:8], off offset:-16
.LBB41_274:
	global_load_b32 v0, v0, s[2:3] offset:144
	s_wait_loadcnt 0x0
	v_cmp_eq_u32_e32 vcc_lo, 37, v0
	s_cbranch_vccnz .LBB41_276
; %bb.275:
	v_lshlrev_b32_e32 v0, 4, v0
	s_delay_alu instid0(VALU_DEP_1)
	v_add_nc_u32_e32 v8, 16, v0
	s_clause 0x1
	scratch_load_b128 v[0:3], v8, off offset:-16
	scratch_load_b128 v[4:7], off, s30
	s_wait_loadcnt 0x1
	scratch_store_b128 off, v[0:3], s30
	s_wait_loadcnt 0x0
	scratch_store_b128 v8, v[4:7], off offset:-16
.LBB41_276:
	;; [unrolled: 33-line block ×19, first 2 shown]
	v_mov_b32_e32 v0, 0
	global_load_b32 v1, v0, s[2:3] offset:4
	s_wait_loadcnt 0x0
	v_cmp_eq_u32_e32 vcc_lo, 2, v1
	s_cbranch_vccnz .LBB41_346
; %bb.345:
	v_lshlrev_b32_e32 v1, 4, v1
	s_delay_alu instid0(VALU_DEP_1)
	v_add_nc_u32_e32 v9, 16, v1
	s_clause 0x1
	scratch_load_b128 v[1:4], v9, off offset:-16
	scratch_load_b128 v[5:8], off, s35
	s_wait_loadcnt 0x1
	scratch_store_b128 off, v[1:4], s35
	s_wait_loadcnt 0x0
	scratch_store_b128 v9, v[5:8], off offset:-16
.LBB41_346:
	global_load_b32 v0, v0, s[2:3]
	s_wait_loadcnt 0x0
	v_cmp_eq_u32_e32 vcc_lo, 1, v0
	s_cbranch_vccnz .LBB41_348
; %bb.347:
	v_lshlrev_b32_e32 v0, 4, v0
	s_delay_alu instid0(VALU_DEP_1)
	v_add_nc_u32_e32 v8, 16, v0
	scratch_load_b128 v[0:3], v8, off offset:-16
	scratch_load_b128 v[4:7], off, off offset:16
	s_wait_loadcnt 0x1
	scratch_store_b128 off, v[0:3], off offset:16
	s_wait_loadcnt 0x0
	scratch_store_b128 v8, v[4:7], off offset:-16
.LBB41_348:
	scratch_load_b128 v[0:3], off, off offset:16
	s_clause 0x12
	scratch_load_b128 v[4:7], off, s35
	scratch_load_b128 v[8:11], off, s34
	;; [unrolled: 1-line block ×19, first 2 shown]
	s_wait_loadcnt 0x13
	global_store_b128 v[46:47], v[0:3], off
	s_wait_loadcnt 0x12
	global_store_b128 v[48:49], v[4:7], off
	s_clause 0x1
	scratch_load_b128 v[0:3], off, s24
	scratch_load_b128 v[4:7], off, s25
	s_wait_loadcnt 0x13
	global_store_b128 v[50:51], v[8:11], off
	s_clause 0x1
	scratch_load_b128 v[8:11], off, s22
	scratch_load_b128 v[44:47], off, s23
	s_wait_loadcnt 0x14
	global_store_b128 v[52:53], v[12:15], off
	s_clause 0x1
	scratch_load_b128 v[12:15], off, s20
	scratch_load_b128 v[48:51], off, s21
	s_wait_loadcnt 0x15
	global_store_b128 v[54:55], v[16:19], off
	s_wait_loadcnt 0x14
	global_store_b128 v[56:57], v[20:23], off
	s_clause 0x1
	scratch_load_b128 v[16:19], off, s15
	scratch_load_b128 v[20:23], off, s19
	s_wait_loadcnt 0x15
	global_store_b128 v[58:59], v[24:27], off
	s_clause 0x1
	scratch_load_b128 v[24:27], off, s13
	scratch_load_b128 v[52:55], off, s14
	s_wait_loadcnt 0x16
	global_store_b128 v[60:61], v[28:31], off
	s_clause 0x1
	scratch_load_b128 v[28:31], off, s11
	scratch_load_b128 v[56:59], off, s12
	;; [unrolled: 17-line block ×3, first 2 shown]
	s_wait_loadcnt 0x19
	global_store_b128 v[70:71], v[134:137], off
	s_wait_loadcnt 0x18
	global_store_b128 v[72:73], v[138:141], off
	s_clause 0x1
	scratch_load_b128 v[68:71], off, s27
	scratch_load_b128 v[134:137], off, s28
	s_wait_loadcnt 0x19
	global_store_b128 v[74:75], v[142:145], off
	s_clause 0x1
	scratch_load_b128 v[72:75], off, s26
	scratch_load_b128 v[138:141], off, s29
	s_wait_loadcnt 0x1a
	global_store_b128 v[76:77], v[146:149], off
	s_wait_loadcnt 0x19
	global_store_b128 v[78:79], v[150:153], off
	;; [unrolled: 2-line block ×25, first 2 shown]
	s_wait_loadcnt 0x0
	s_clause 0x1
	global_store_b128 v[126:127], v[138:141], off
	global_store_b128 v[128:129], v[162:165], off
	s_nop 0
	s_sendmsg sendmsg(MSG_DEALLOC_VGPRS)
	s_endpgm
	.section	.rodata,"a",@progbits
	.p2align	6, 0x0
	.amdhsa_kernel _ZN9rocsolver6v33100L18getri_kernel_smallILi42E19rocblas_complex_numIdEPS3_EEvT1_iilPiilS6_bb
		.amdhsa_group_segment_fixed_size 1352
		.amdhsa_private_segment_fixed_size 704
		.amdhsa_kernarg_size 60
		.amdhsa_user_sgpr_count 2
		.amdhsa_user_sgpr_dispatch_ptr 0
		.amdhsa_user_sgpr_queue_ptr 0
		.amdhsa_user_sgpr_kernarg_segment_ptr 1
		.amdhsa_user_sgpr_dispatch_id 0
		.amdhsa_user_sgpr_private_segment_size 0
		.amdhsa_wavefront_size32 1
		.amdhsa_uses_dynamic_stack 0
		.amdhsa_enable_private_segment 1
		.amdhsa_system_sgpr_workgroup_id_x 1
		.amdhsa_system_sgpr_workgroup_id_y 0
		.amdhsa_system_sgpr_workgroup_id_z 0
		.amdhsa_system_sgpr_workgroup_info 0
		.amdhsa_system_vgpr_workitem_id 0
		.amdhsa_next_free_vgpr 172
		.amdhsa_next_free_sgpr 65
		.amdhsa_reserve_vcc 1
		.amdhsa_float_round_mode_32 0
		.amdhsa_float_round_mode_16_64 0
		.amdhsa_float_denorm_mode_32 3
		.amdhsa_float_denorm_mode_16_64 3
		.amdhsa_fp16_overflow 0
		.amdhsa_workgroup_processor_mode 1
		.amdhsa_memory_ordered 1
		.amdhsa_forward_progress 1
		.amdhsa_inst_pref_size 255
		.amdhsa_round_robin_scheduling 0
		.amdhsa_exception_fp_ieee_invalid_op 0
		.amdhsa_exception_fp_denorm_src 0
		.amdhsa_exception_fp_ieee_div_zero 0
		.amdhsa_exception_fp_ieee_overflow 0
		.amdhsa_exception_fp_ieee_underflow 0
		.amdhsa_exception_fp_ieee_inexact 0
		.amdhsa_exception_int_div_zero 0
	.end_amdhsa_kernel
	.section	.text._ZN9rocsolver6v33100L18getri_kernel_smallILi42E19rocblas_complex_numIdEPS3_EEvT1_iilPiilS6_bb,"axG",@progbits,_ZN9rocsolver6v33100L18getri_kernel_smallILi42E19rocblas_complex_numIdEPS3_EEvT1_iilPiilS6_bb,comdat
.Lfunc_end41:
	.size	_ZN9rocsolver6v33100L18getri_kernel_smallILi42E19rocblas_complex_numIdEPS3_EEvT1_iilPiilS6_bb, .Lfunc_end41-_ZN9rocsolver6v33100L18getri_kernel_smallILi42E19rocblas_complex_numIdEPS3_EEvT1_iilPiilS6_bb
                                        ; -- End function
	.set _ZN9rocsolver6v33100L18getri_kernel_smallILi42E19rocblas_complex_numIdEPS3_EEvT1_iilPiilS6_bb.num_vgpr, 172
	.set _ZN9rocsolver6v33100L18getri_kernel_smallILi42E19rocblas_complex_numIdEPS3_EEvT1_iilPiilS6_bb.num_agpr, 0
	.set _ZN9rocsolver6v33100L18getri_kernel_smallILi42E19rocblas_complex_numIdEPS3_EEvT1_iilPiilS6_bb.numbered_sgpr, 65
	.set _ZN9rocsolver6v33100L18getri_kernel_smallILi42E19rocblas_complex_numIdEPS3_EEvT1_iilPiilS6_bb.num_named_barrier, 0
	.set _ZN9rocsolver6v33100L18getri_kernel_smallILi42E19rocblas_complex_numIdEPS3_EEvT1_iilPiilS6_bb.private_seg_size, 704
	.set _ZN9rocsolver6v33100L18getri_kernel_smallILi42E19rocblas_complex_numIdEPS3_EEvT1_iilPiilS6_bb.uses_vcc, 1
	.set _ZN9rocsolver6v33100L18getri_kernel_smallILi42E19rocblas_complex_numIdEPS3_EEvT1_iilPiilS6_bb.uses_flat_scratch, 1
	.set _ZN9rocsolver6v33100L18getri_kernel_smallILi42E19rocblas_complex_numIdEPS3_EEvT1_iilPiilS6_bb.has_dyn_sized_stack, 0
	.set _ZN9rocsolver6v33100L18getri_kernel_smallILi42E19rocblas_complex_numIdEPS3_EEvT1_iilPiilS6_bb.has_recursion, 0
	.set _ZN9rocsolver6v33100L18getri_kernel_smallILi42E19rocblas_complex_numIdEPS3_EEvT1_iilPiilS6_bb.has_indirect_call, 0
	.section	.AMDGPU.csdata,"",@progbits
; Kernel info:
; codeLenInByte = 76480
; TotalNumSgprs: 67
; NumVgprs: 172
; ScratchSize: 704
; MemoryBound: 0
; FloatMode: 240
; IeeeMode: 1
; LDSByteSize: 1352 bytes/workgroup (compile time only)
; SGPRBlocks: 0
; VGPRBlocks: 21
; NumSGPRsForWavesPerEU: 67
; NumVGPRsForWavesPerEU: 172
; Occupancy: 8
; WaveLimiterHint : 1
; COMPUTE_PGM_RSRC2:SCRATCH_EN: 1
; COMPUTE_PGM_RSRC2:USER_SGPR: 2
; COMPUTE_PGM_RSRC2:TRAP_HANDLER: 0
; COMPUTE_PGM_RSRC2:TGID_X_EN: 1
; COMPUTE_PGM_RSRC2:TGID_Y_EN: 0
; COMPUTE_PGM_RSRC2:TGID_Z_EN: 0
; COMPUTE_PGM_RSRC2:TIDIG_COMP_CNT: 0
	.section	.text._ZN9rocsolver6v33100L18getri_kernel_smallILi43E19rocblas_complex_numIdEPS3_EEvT1_iilPiilS6_bb,"axG",@progbits,_ZN9rocsolver6v33100L18getri_kernel_smallILi43E19rocblas_complex_numIdEPS3_EEvT1_iilPiilS6_bb,comdat
	.globl	_ZN9rocsolver6v33100L18getri_kernel_smallILi43E19rocblas_complex_numIdEPS3_EEvT1_iilPiilS6_bb ; -- Begin function _ZN9rocsolver6v33100L18getri_kernel_smallILi43E19rocblas_complex_numIdEPS3_EEvT1_iilPiilS6_bb
	.p2align	8
	.type	_ZN9rocsolver6v33100L18getri_kernel_smallILi43E19rocblas_complex_numIdEPS3_EEvT1_iilPiilS6_bb,@function
_ZN9rocsolver6v33100L18getri_kernel_smallILi43E19rocblas_complex_numIdEPS3_EEvT1_iilPiilS6_bb: ; @_ZN9rocsolver6v33100L18getri_kernel_smallILi43E19rocblas_complex_numIdEPS3_EEvT1_iilPiilS6_bb
; %bb.0:
	s_mov_b32 s2, exec_lo
	v_cmpx_gt_u32_e32 43, v0
	s_cbranch_execz .LBB42_186
; %bb.1:
	s_clause 0x2
	s_load_b32 s2, s[0:1], 0x38
	s_load_b128 s[12:15], s[0:1], 0x10
	s_load_b128 s[4:7], s[0:1], 0x28
	s_mov_b32 s16, ttmp9
	s_wait_kmcnt 0x0
	s_bitcmp1_b32 s2, 8
	s_cselect_b32 s18, -1, 0
	s_bfe_u32 s2, s2, 0x10008
	s_ashr_i32 s17, ttmp9, 31
	s_cmp_eq_u32 s2, 0
                                        ; implicit-def: $sgpr2_sgpr3
	s_cbranch_scc1 .LBB42_3
; %bb.2:
	s_load_b32 s2, s[0:1], 0x20
	s_mul_u64 s[4:5], s[4:5], s[16:17]
	s_delay_alu instid0(SALU_CYCLE_1) | instskip(NEXT) | instid1(SALU_CYCLE_1)
	s_lshl_b64 s[4:5], s[4:5], 2
	s_add_nc_u64 s[4:5], s[14:15], s[4:5]
	s_wait_kmcnt 0x0
	s_ashr_i32 s3, s2, 31
	s_delay_alu instid0(SALU_CYCLE_1) | instskip(NEXT) | instid1(SALU_CYCLE_1)
	s_lshl_b64 s[2:3], s[2:3], 2
	s_add_nc_u64 s[2:3], s[4:5], s[2:3]
.LBB42_3:
	s_clause 0x1
	s_load_b128 s[8:11], s[0:1], 0x0
	s_load_b32 s52, s[0:1], 0x38
	s_mul_u64 s[0:1], s[12:13], s[16:17]
	v_lshlrev_b32_e32 v13, 4, v0
	s_lshl_b64 s[0:1], s[0:1], 4
	s_movk_i32 s12, 0xd0
	s_movk_i32 s13, 0xe0
	s_movk_i32 s15, 0xf0
	s_movk_i32 s20, 0x100
	s_movk_i32 s22, 0x110
	s_movk_i32 s24, 0x120
	s_movk_i32 s25, 0x130
	s_movk_i32 s26, 0x140
	s_movk_i32 s27, 0x150
	s_movk_i32 s28, 0x160
	s_movk_i32 s29, 0x170
	s_movk_i32 s30, 0x180
	s_movk_i32 s53, 0x190
	s_movk_i32 s54, 0x1a0
	s_movk_i32 s55, 0x1b0
	s_wait_kmcnt 0x0
	v_add3_u32 v5, s11, s11, v0
	s_ashr_i32 s5, s10, 31
	s_mov_b32 s4, s10
	s_add_nc_u64 s[0:1], s[8:9], s[0:1]
	s_lshl_b64 s[4:5], s[4:5], 4
	v_add_nc_u32_e32 v7, s11, v5
	v_ashrrev_i32_e32 v6, 31, v5
	s_add_nc_u64 s[0:1], s[0:1], s[4:5]
	s_ashr_i32 s9, s11, 31
	v_add_co_u32 v46, s4, s0, v13
	v_add_nc_u32_e32 v9, s11, v7
	v_ashrrev_i32_e32 v8, 31, v7
	s_mov_b32 s8, s11
	v_lshlrev_b64_e32 v[5:6], 4, v[5:6]
	v_add_co_ci_u32_e64 v47, null, s1, 0, s4
	v_ashrrev_i32_e32 v10, 31, v9
	s_lshl_b64 s[8:9], s[8:9], 4
	v_lshlrev_b64_e32 v[7:8], 4, v[7:8]
	v_add_co_u32 v48, vcc_lo, v46, s8
	s_delay_alu instid0(VALU_DEP_3)
	v_lshlrev_b64_e32 v[10:11], 4, v[9:10]
	v_add_co_ci_u32_e64 v49, null, s9, v47, vcc_lo
	v_add_co_u32 v50, vcc_lo, s0, v5
	s_wait_alu 0xfffd
	v_add_co_ci_u32_e64 v51, null, s1, v6, vcc_lo
	v_add_co_u32 v52, vcc_lo, s0, v7
	s_wait_alu 0xfffd
	;; [unrolled: 3-line block ×3, first 2 shown]
	v_add_co_ci_u32_e64 v55, null, s1, v11, vcc_lo
	s_clause 0x3
	global_load_b128 v[1:4], v13, s[0:1]
	global_load_b128 v[5:8], v[48:49], off
	global_load_b128 v[14:17], v[50:51], off
	;; [unrolled: 1-line block ×3, first 2 shown]
	v_add_nc_u32_e32 v9, s11, v9
	global_load_b128 v[22:25], v[54:55], off
	s_movk_i32 s4, 0x70
	s_movk_i32 s5, 0x80
	;; [unrolled: 1-line block ×3, first 2 shown]
	v_add_nc_u32_e32 v11, s11, v9
	v_ashrrev_i32_e32 v10, 31, v9
	s_movk_i32 s9, 0xa0
	s_movk_i32 s10, 0xb0
	;; [unrolled: 1-line block ×3, first 2 shown]
	v_add_nc_u32_e32 v26, s11, v11
	v_lshlrev_b64_e32 v[9:10], 4, v[9:10]
	v_ashrrev_i32_e32 v12, 31, v11
	s_movk_i32 s57, 0x1d0
	s_movk_i32 s58, 0x1e0
	v_add_nc_u32_e32 v28, s11, v26
	v_ashrrev_i32_e32 v27, 31, v26
	v_lshlrev_b64_e32 v[11:12], 4, v[11:12]
	v_add_co_u32 v56, vcc_lo, s0, v9
	s_delay_alu instid0(VALU_DEP_4)
	v_add_nc_u32_e32 v30, s11, v28
	v_ashrrev_i32_e32 v29, 31, v28
	s_wait_alu 0xfffd
	v_add_co_ci_u32_e64 v57, null, s1, v10, vcc_lo
	v_lshlrev_b64_e32 v[9:10], 4, v[26:27]
	v_add_nc_u32_e32 v34, s11, v30
	v_ashrrev_i32_e32 v31, 31, v30
	v_lshlrev_b64_e32 v[32:33], 4, v[28:29]
	v_add_co_u32 v58, vcc_lo, s0, v11
	s_delay_alu instid0(VALU_DEP_4)
	v_add_nc_u32_e32 v38, s11, v34
	v_ashrrev_i32_e32 v35, 31, v34
	v_lshlrev_b64_e32 v[30:31], 4, v[30:31]
	s_wait_alu 0xfffd
	v_add_co_ci_u32_e64 v59, null, s1, v12, vcc_lo
	v_add_nc_u32_e32 v42, s11, v38
	v_ashrrev_i32_e32 v39, 31, v38
	v_add_co_u32 v60, vcc_lo, s0, v9
	v_lshlrev_b64_e32 v[40:41], 4, v[34:35]
	s_delay_alu instid0(VALU_DEP_4)
	v_add_nc_u32_e32 v70, s11, v42
	v_ashrrev_i32_e32 v43, 31, v42
	s_wait_alu 0xfffd
	v_add_co_ci_u32_e64 v61, null, s1, v10, vcc_lo
	v_add_co_u32 v62, vcc_lo, s0, v32
	v_add_nc_u32_e32 v74, s11, v70
	v_ashrrev_i32_e32 v71, 31, v70
	v_lshlrev_b64_e32 v[38:39], 4, v[38:39]
	s_wait_alu 0xfffd
	v_add_co_ci_u32_e64 v63, null, s1, v33, vcc_lo
	v_add_co_u32 v64, vcc_lo, s0, v30
	v_lshlrev_b64_e32 v[72:73], 4, v[42:43]
	v_add_nc_u32_e32 v78, s11, v74
	s_wait_alu 0xfffd
	v_add_co_ci_u32_e64 v65, null, s1, v31, vcc_lo
	v_add_co_u32 v66, vcc_lo, s0, v40
	v_lshlrev_b64_e32 v[76:77], 4, v[70:71]
	s_wait_alu 0xfffd
	v_add_co_ci_u32_e64 v67, null, s1, v41, vcc_lo
	v_add_co_u32 v68, vcc_lo, s0, v38
	v_ashrrev_i32_e32 v79, 31, v78
	v_add_nc_u32_e32 v80, s11, v78
	s_wait_alu 0xfffd
	v_add_co_ci_u32_e64 v69, null, s1, v39, vcc_lo
	v_add_co_u32 v70, vcc_lo, s0, v72
	s_wait_alu 0xfffd
	v_add_co_ci_u32_e64 v71, null, s1, v73, vcc_lo
	v_add_co_u32 v72, vcc_lo, s0, v76
	s_wait_alu 0xfffd
	v_add_co_ci_u32_e64 v73, null, s1, v77, vcc_lo
	v_lshlrev_b64_e32 v[76:77], 4, v[78:79]
	v_add_nc_u32_e32 v78, s11, v80
	v_ashrrev_i32_e32 v75, 31, v74
	v_ashrrev_i32_e32 v81, 31, v80
	s_clause 0x3
	global_load_b128 v[9:12], v[56:57], off
	global_load_b128 v[26:29], v[58:59], off
	;; [unrolled: 1-line block ×4, first 2 shown]
	v_add_nc_u32_e32 v82, s11, v78
	v_lshlrev_b64_e32 v[74:75], 4, v[74:75]
	v_ashrrev_i32_e32 v79, 31, v78
	v_lshlrev_b64_e32 v[80:81], 4, v[80:81]
	s_clause 0x1
	global_load_b128 v[38:41], v[64:65], off
	global_load_b128 v[42:45], v[66:67], off
	v_add_nc_u32_e32 v86, s11, v82
	v_ashrrev_i32_e32 v83, 31, v82
	v_add_co_u32 v74, vcc_lo, s0, v74
	v_lshlrev_b64_e32 v[84:85], 4, v[78:79]
	s_wait_alu 0xfffd
	v_add_co_ci_u32_e64 v75, null, s1, v75, vcc_lo
	v_add_co_u32 v76, vcc_lo, s0, v76
	v_ashrrev_i32_e32 v87, 31, v86
	v_add_nc_u32_e32 v88, s11, v86
	s_wait_alu 0xfffd
	v_add_co_ci_u32_e64 v77, null, s1, v77, vcc_lo
	v_add_co_u32 v78, vcc_lo, s0, v80
	s_wait_alu 0xfffd
	v_add_co_ci_u32_e64 v79, null, s1, v81, vcc_lo
	v_add_co_u32 v80, vcc_lo, s0, v84
	s_wait_alu 0xfffd
	v_add_co_ci_u32_e64 v81, null, s1, v85, vcc_lo
	v_lshlrev_b64_e32 v[84:85], 4, v[86:87]
	v_add_nc_u32_e32 v86, s11, v88
	v_ashrrev_i32_e32 v89, 31, v88
	v_lshlrev_b64_e32 v[82:83], 4, v[82:83]
	s_clause 0x3
	global_load_b128 v[132:135], v[68:69], off
	global_load_b128 v[136:139], v[70:71], off
	;; [unrolled: 1-line block ×4, first 2 shown]
	v_add_nc_u32_e32 v90, s11, v86
	v_ashrrev_i32_e32 v87, 31, v86
	v_lshlrev_b64_e32 v[88:89], 4, v[88:89]
	v_add_co_u32 v82, vcc_lo, s0, v82
	s_delay_alu instid0(VALU_DEP_4) | instskip(NEXT) | instid1(VALU_DEP_4)
	v_add_nc_u32_e32 v94, s11, v90
	v_lshlrev_b64_e32 v[92:93], 4, v[86:87]
	s_wait_alu 0xfffd
	v_add_co_ci_u32_e64 v83, null, s1, v83, vcc_lo
	v_add_co_u32 v84, vcc_lo, s0, v84
	v_ashrrev_i32_e32 v95, 31, v94
	v_add_nc_u32_e32 v96, s11, v94
	s_wait_alu 0xfffd
	v_add_co_ci_u32_e64 v85, null, s1, v85, vcc_lo
	v_add_co_u32 v86, vcc_lo, s0, v88
	s_wait_alu 0xfffd
	v_add_co_ci_u32_e64 v87, null, s1, v89, vcc_lo
	v_add_co_u32 v88, vcc_lo, s0, v92
	s_wait_alu 0xfffd
	v_add_co_ci_u32_e64 v89, null, s1, v93, vcc_lo
	v_lshlrev_b64_e32 v[92:93], 4, v[94:95]
	v_add_nc_u32_e32 v94, s11, v96
	v_ashrrev_i32_e32 v91, 31, v90
	v_ashrrev_i32_e32 v97, 31, v96
	s_clause 0x2
	global_load_b128 v[148:151], v[76:77], off
	global_load_b128 v[152:155], v[78:79], off
	global_load_b128 v[156:159], v[80:81], off
	v_add_nc_u32_e32 v98, s11, v94
	v_lshlrev_b64_e32 v[90:91], 4, v[90:91]
	v_ashrrev_i32_e32 v95, 31, v94
	v_lshlrev_b64_e32 v[96:97], 4, v[96:97]
	s_movk_i32 s59, 0x1f0
	v_add_nc_u32_e32 v102, s11, v98
	v_ashrrev_i32_e32 v99, 31, v98
	v_add_co_u32 v90, vcc_lo, s0, v90
	v_lshlrev_b64_e32 v[100:101], 4, v[94:95]
	s_wait_alu 0xfffd
	v_add_co_ci_u32_e64 v91, null, s1, v91, vcc_lo
	v_add_co_u32 v92, vcc_lo, s0, v92
	v_ashrrev_i32_e32 v103, 31, v102
	v_add_nc_u32_e32 v104, s11, v102
	s_wait_alu 0xfffd
	v_add_co_ci_u32_e64 v93, null, s1, v93, vcc_lo
	v_add_co_u32 v94, vcc_lo, s0, v96
	s_wait_alu 0xfffd
	v_add_co_ci_u32_e64 v95, null, s1, v97, vcc_lo
	v_add_co_u32 v96, vcc_lo, s0, v100
	s_wait_alu 0xfffd
	v_add_co_ci_u32_e64 v97, null, s1, v101, vcc_lo
	v_lshlrev_b64_e32 v[100:101], 4, v[102:103]
	v_add_nc_u32_e32 v102, s11, v104
	v_ashrrev_i32_e32 v105, 31, v104
	v_lshlrev_b64_e32 v[98:99], 4, v[98:99]
	s_movk_i32 s60, 0x200
	s_movk_i32 s61, 0x210
	v_add_nc_u32_e32 v106, s11, v102
	v_ashrrev_i32_e32 v103, 31, v102
	v_lshlrev_b64_e32 v[104:105], 4, v[104:105]
	v_add_co_u32 v98, vcc_lo, s0, v98
	s_delay_alu instid0(VALU_DEP_4) | instskip(NEXT) | instid1(VALU_DEP_4)
	v_add_nc_u32_e32 v110, s11, v106
	v_lshlrev_b64_e32 v[108:109], 4, v[102:103]
	s_wait_alu 0xfffd
	v_add_co_ci_u32_e64 v99, null, s1, v99, vcc_lo
	v_add_co_u32 v100, vcc_lo, s0, v100
	v_ashrrev_i32_e32 v111, 31, v110
	v_add_nc_u32_e32 v112, s11, v110
	s_wait_alu 0xfffd
	v_add_co_ci_u32_e64 v101, null, s1, v101, vcc_lo
	v_add_co_u32 v102, vcc_lo, s0, v104
	s_wait_alu 0xfffd
	v_add_co_ci_u32_e64 v103, null, s1, v105, vcc_lo
	v_add_co_u32 v104, vcc_lo, s0, v108
	s_wait_alu 0xfffd
	v_add_co_ci_u32_e64 v105, null, s1, v109, vcc_lo
	v_lshlrev_b64_e32 v[108:109], 4, v[110:111]
	v_add_nc_u32_e32 v110, s11, v112
	v_ashrrev_i32_e32 v107, 31, v106
	v_ashrrev_i32_e32 v113, 31, v112
	s_movk_i32 s62, 0x220
	s_movk_i32 s63, 0x230
	v_add_nc_u32_e32 v114, s11, v110
	v_lshlrev_b64_e32 v[106:107], 4, v[106:107]
	v_ashrrev_i32_e32 v111, 31, v110
	v_lshlrev_b64_e32 v[112:113], 4, v[112:113]
	s_movk_i32 s64, 0x240
	v_add_nc_u32_e32 v118, s11, v114
	v_ashrrev_i32_e32 v115, 31, v114
	v_add_co_u32 v106, vcc_lo, s0, v106
	v_lshlrev_b64_e32 v[116:117], 4, v[110:111]
	s_wait_alu 0xfffd
	v_add_co_ci_u32_e64 v107, null, s1, v107, vcc_lo
	v_add_co_u32 v108, vcc_lo, s0, v108
	v_ashrrev_i32_e32 v119, 31, v118
	v_add_nc_u32_e32 v120, s11, v118
	s_wait_alu 0xfffd
	v_add_co_ci_u32_e64 v109, null, s1, v109, vcc_lo
	v_add_co_u32 v110, vcc_lo, s0, v112
	s_wait_alu 0xfffd
	v_add_co_ci_u32_e64 v111, null, s1, v113, vcc_lo
	v_add_co_u32 v112, vcc_lo, s0, v116
	s_wait_alu 0xfffd
	v_add_co_ci_u32_e64 v113, null, s1, v117, vcc_lo
	v_lshlrev_b64_e32 v[116:117], 4, v[118:119]
	v_add_nc_u32_e32 v118, s11, v120
	v_ashrrev_i32_e32 v121, 31, v120
	v_lshlrev_b64_e32 v[114:115], 4, v[114:115]
	s_movk_i32 s65, 0x250
	s_movk_i32 s66, 0x260
	v_add_nc_u32_e32 v122, s11, v118
	v_ashrrev_i32_e32 v119, 31, v118
	v_lshlrev_b64_e32 v[120:121], 4, v[120:121]
	v_add_co_u32 v114, vcc_lo, s0, v114
	s_delay_alu instid0(VALU_DEP_4) | instskip(NEXT) | instid1(VALU_DEP_4)
	v_add_nc_u32_e32 v126, s11, v122
	v_lshlrev_b64_e32 v[124:125], 4, v[118:119]
	s_wait_alu 0xfffd
	v_add_co_ci_u32_e64 v115, null, s1, v115, vcc_lo
	v_add_co_u32 v116, vcc_lo, s0, v116
	v_add_nc_u32_e32 v128, s11, v126
	v_ashrrev_i32_e32 v127, 31, v126
	s_wait_alu 0xfffd
	v_add_co_ci_u32_e64 v117, null, s1, v117, vcc_lo
	v_add_co_u32 v118, vcc_lo, s0, v120
	s_wait_alu 0xfffd
	v_add_co_ci_u32_e64 v119, null, s1, v121, vcc_lo
	v_add_co_u32 v120, vcc_lo, s0, v124
	v_ashrrev_i32_e32 v123, 31, v122
	s_wait_alu 0xfffd
	v_add_co_ci_u32_e64 v121, null, s1, v125, vcc_lo
	v_lshlrev_b64_e32 v[124:125], 4, v[126:127]
	v_add_nc_u32_e32 v126, s11, v128
	v_ashrrev_i32_e32 v129, 31, v128
	v_lshlrev_b64_e32 v[122:123], 4, v[122:123]
	s_movk_i32 s67, 0x270
	s_movk_i32 s68, 0x280
	v_ashrrev_i32_e32 v127, 31, v126
	v_lshlrev_b64_e32 v[128:129], 4, v[128:129]
	v_add_nc_u32_e32 v130, s11, v126
	v_add_co_u32 v122, vcc_lo, s0, v122
	s_delay_alu instid0(VALU_DEP_4)
	v_lshlrev_b64_e32 v[160:161], 4, v[126:127]
	s_wait_alu 0xfffd
	v_add_co_ci_u32_e64 v123, null, s1, v123, vcc_lo
	v_add_co_u32 v124, vcc_lo, s0, v124
	s_wait_alu 0xfffd
	v_add_co_ci_u32_e64 v125, null, s1, v125, vcc_lo
	v_add_co_u32 v126, vcc_lo, s0, v128
	;; [unrolled: 3-line block ×3, first 2 shown]
	s_wait_alu 0xfffd
	v_add_co_ci_u32_e64 v129, null, s1, v161, vcc_lo
	global_load_b128 v[160:163], v[82:83], off
	v_ashrrev_i32_e32 v131, 31, v130
	s_movk_i32 s11, 0xc0
	s_movk_i32 s69, 0x290
	s_wait_alu 0xfffe
	s_add_co_i32 s49, s4, 16
	s_add_co_i32 s48, s5, 16
	v_lshlrev_b64_e32 v[130:131], 4, v[130:131]
	s_add_co_i32 s47, s8, 16
	s_add_co_i32 s46, s9, 16
	;; [unrolled: 1-line block ×5, first 2 shown]
	v_add_co_u32 v130, vcc_lo, s0, v130
	s_wait_alu 0xfffd
	v_add_co_ci_u32_e64 v131, null, s1, v131, vcc_lo
	s_movk_i32 s0, 0x50
	s_movk_i32 s1, 0x60
	s_wait_alu 0xfffe
	s_add_co_i32 s51, s0, 16
	s_movk_i32 s0, 0x2a0
	s_add_co_i32 s50, s1, 16
	s_add_co_i32 s42, s13, 16
	;; [unrolled: 1-line block ×11, first 2 shown]
	s_wait_loadcnt 0x11
	s_clause 0x1
	scratch_store_b128 off, v[5:8], off offset:32
	scratch_store_b128 off, v[1:4], off offset:16
	s_clause 0x1
	global_load_b128 v[1:4], v[84:85], off
	global_load_b128 v[5:8], v[86:87], off
	s_wait_loadcnt 0x12
	scratch_store_b128 off, v[14:17], off offset:48
	s_wait_loadcnt 0x11
	scratch_store_b128 off, v[18:21], off offset:64
	s_clause 0x1
	global_load_b128 v[14:17], v[88:89], off
	global_load_b128 v[18:21], v[90:91], off
	s_wait_loadcnt 0x12
	scratch_store_b128 off, v[22:25], off offset:80
	global_load_b128 v[22:25], v[92:93], off
	s_add_co_i32 s31, s30, 16
	s_add_co_i32 s30, s53, 16
	;; [unrolled: 1-line block ×18, first 2 shown]
	s_wait_alu 0xfffe
	s_add_co_i32 s22, s0, 16
	s_mov_b32 s23, 32
	s_mov_b32 s21, 48
	;; [unrolled: 1-line block ×3, first 2 shown]
	s_movk_i32 s14, 0x50
	s_bitcmp0_b32 s52, 0
	s_mov_b32 s1, -1
	s_wait_loadcnt 0x12
	scratch_store_b128 off, v[9:12], off offset:96
	global_load_b128 v[9:12], v[94:95], off
	s_wait_loadcnt 0x12
	scratch_store_b128 off, v[26:29], off offset:112
	s_wait_loadcnt 0x11
	scratch_store_b128 off, v[30:33], off offset:128
	s_clause 0x1
	global_load_b128 v[26:29], v[96:97], off
	global_load_b128 v[30:33], v[98:99], off
	s_wait_loadcnt 0x12
	scratch_store_b128 off, v[34:37], off offset:144
	s_wait_loadcnt 0x11
	scratch_store_b128 off, v[38:41], off offset:160
	s_clause 0x1
	global_load_b128 v[34:37], v[100:101], off
	global_load_b128 v[38:41], v[102:103], off
	s_wait_loadcnt 0x12
	scratch_store_b128 off, v[42:45], off offset:176
	s_wait_loadcnt 0x11
	scratch_store_b128 off, v[132:135], off offset:192
	s_clause 0x1
	global_load_b128 v[42:45], v[104:105], off
	global_load_b128 v[132:135], v[106:107], off
	s_wait_loadcnt 0x12
	scratch_store_b128 off, v[136:139], off offset:208
	s_wait_loadcnt 0x11
	scratch_store_b128 off, v[140:143], off offset:224
	s_clause 0x1
	global_load_b128 v[136:139], v[108:109], off
	global_load_b128 v[140:143], v[110:111], off
	s_wait_loadcnt 0x12
	scratch_store_b128 off, v[144:147], off offset:240
	s_wait_loadcnt 0x11
	scratch_store_b128 off, v[148:151], off offset:256
	s_clause 0x1
	global_load_b128 v[144:147], v[112:113], off
	global_load_b128 v[148:151], v[114:115], off
	s_wait_loadcnt 0x12
	scratch_store_b128 off, v[152:155], off offset:272
	s_wait_loadcnt 0x11
	scratch_store_b128 off, v[156:159], off offset:288
	s_clause 0x1
	global_load_b128 v[152:155], v[116:117], off
	global_load_b128 v[156:159], v[118:119], off
	s_wait_loadcnt 0x12
	scratch_store_b128 off, v[160:163], off offset:304
	s_wait_loadcnt 0x11
	scratch_store_b128 off, v[1:4], off offset:320
	s_clause 0x1
	global_load_b128 v[1:4], v[120:121], off
	global_load_b128 v[160:163], v[122:123], off
	s_wait_loadcnt 0x12
	scratch_store_b128 off, v[5:8], off offset:336
	s_wait_loadcnt 0x11
	scratch_store_b128 off, v[14:17], off offset:352
	s_clause 0x1
	global_load_b128 v[5:8], v[124:125], off
	global_load_b128 v[14:17], v[126:127], off
	s_wait_loadcnt 0x12
	scratch_store_b128 off, v[18:21], off offset:368
	global_load_b128 v[18:21], v[128:129], off
	s_wait_loadcnt 0x12
	scratch_store_b128 off, v[22:25], off offset:384
	;; [unrolled: 3-line block ×3, first 2 shown]
	s_wait_loadcnt 0x11
	scratch_store_b128 off, v[26:29], off offset:416
	s_wait_loadcnt 0x10
	scratch_store_b128 off, v[30:33], off offset:432
	;; [unrolled: 2-line block ×18, first 2 shown]
	s_cbranch_scc1 .LBB42_184
; %bb.4:
	v_cmp_eq_u32_e64 s0, 0, v0
	s_and_saveexec_b32 s1, s0
; %bb.5:
	v_mov_b32_e32 v1, 0
	ds_store_b32 v1, v1 offset:1376
; %bb.6:
	s_wait_alu 0xfffe
	s_or_b32 exec_lo, exec_lo, s1
	s_wait_storecnt_dscnt 0x0
	s_barrier_signal -1
	s_barrier_wait -1
	global_inv scope:SCOPE_SE
	scratch_load_b128 v[1:4], v13, off offset:16
	s_wait_loadcnt 0x0
	v_cmp_eq_f64_e32 vcc_lo, 0, v[1:2]
	v_cmp_eq_f64_e64 s1, 0, v[3:4]
	s_and_b32 s1, vcc_lo, s1
	s_wait_alu 0xfffe
	s_and_saveexec_b32 s52, s1
	s_cbranch_execz .LBB42_10
; %bb.7:
	v_mov_b32_e32 v1, 0
	s_mov_b32 s53, 0
	ds_load_b32 v2, v1 offset:1376
	s_wait_dscnt 0x0
	v_readfirstlane_b32 s1, v2
	v_add_nc_u32_e32 v2, 1, v0
	s_cmp_eq_u32 s1, 0
	s_delay_alu instid0(VALU_DEP_1) | instskip(SKIP_1) | instid1(SALU_CYCLE_1)
	v_cmp_gt_i32_e32 vcc_lo, s1, v2
	s_cselect_b32 s54, -1, 0
	s_or_b32 s54, s54, vcc_lo
	s_delay_alu instid0(SALU_CYCLE_1)
	s_and_b32 exec_lo, exec_lo, s54
	s_cbranch_execz .LBB42_10
; %bb.8:
	v_mov_b32_e32 v3, s1
.LBB42_9:                               ; =>This Inner Loop Header: Depth=1
	ds_cmpstore_rtn_b32 v3, v1, v2, v3 offset:1376
	s_wait_dscnt 0x0
	v_cmp_ne_u32_e32 vcc_lo, 0, v3
	v_cmp_le_i32_e64 s1, v3, v2
	s_and_b32 s1, vcc_lo, s1
	s_wait_alu 0xfffe
	s_and_b32 s1, exec_lo, s1
	s_wait_alu 0xfffe
	s_or_b32 s53, s1, s53
	s_delay_alu instid0(SALU_CYCLE_1)
	s_and_not1_b32 exec_lo, exec_lo, s53
	s_cbranch_execnz .LBB42_9
.LBB42_10:
	s_or_b32 exec_lo, exec_lo, s52
	v_mov_b32_e32 v1, 0
	s_barrier_signal -1
	s_barrier_wait -1
	global_inv scope:SCOPE_SE
	ds_load_b32 v2, v1 offset:1376
	s_and_saveexec_b32 s1, s0
	s_cbranch_execz .LBB42_12
; %bb.11:
	s_lshl_b64 s[52:53], s[16:17], 2
	s_delay_alu instid0(SALU_CYCLE_1)
	s_add_nc_u64 s[52:53], s[6:7], s[52:53]
	s_wait_dscnt 0x0
	global_store_b32 v1, v2, s[52:53]
.LBB42_12:
	s_wait_alu 0xfffe
	s_or_b32 exec_lo, exec_lo, s1
	s_wait_dscnt 0x0
	v_cmp_ne_u32_e32 vcc_lo, 0, v2
	s_mov_b32 s1, 0
	s_cbranch_vccnz .LBB42_184
; %bb.13:
	v_add_nc_u32_e32 v14, 16, v13
                                        ; implicit-def: $vgpr1_vgpr2
                                        ; implicit-def: $vgpr9_vgpr10
	scratch_load_b128 v[5:8], v14, off
	s_wait_loadcnt 0x0
	v_cmp_ngt_f64_e64 s1, |v[5:6]|, |v[7:8]|
	s_wait_alu 0xfffe
	s_and_saveexec_b32 s52, s1
	s_delay_alu instid0(SALU_CYCLE_1)
	s_xor_b32 s1, exec_lo, s52
	s_cbranch_execz .LBB42_15
; %bb.14:
	v_div_scale_f64 v[1:2], null, v[7:8], v[7:8], v[5:6]
	v_div_scale_f64 v[11:12], vcc_lo, v[5:6], v[7:8], v[5:6]
	s_delay_alu instid0(VALU_DEP_2) | instskip(NEXT) | instid1(TRANS32_DEP_1)
	v_rcp_f64_e32 v[3:4], v[1:2]
	v_fma_f64 v[9:10], -v[1:2], v[3:4], 1.0
	s_delay_alu instid0(VALU_DEP_1) | instskip(NEXT) | instid1(VALU_DEP_1)
	v_fma_f64 v[3:4], v[3:4], v[9:10], v[3:4]
	v_fma_f64 v[9:10], -v[1:2], v[3:4], 1.0
	s_delay_alu instid0(VALU_DEP_1) | instskip(NEXT) | instid1(VALU_DEP_1)
	v_fma_f64 v[3:4], v[3:4], v[9:10], v[3:4]
	v_mul_f64_e32 v[9:10], v[11:12], v[3:4]
	s_delay_alu instid0(VALU_DEP_1) | instskip(SKIP_1) | instid1(VALU_DEP_1)
	v_fma_f64 v[1:2], -v[1:2], v[9:10], v[11:12]
	s_wait_alu 0xfffd
	v_div_fmas_f64 v[1:2], v[1:2], v[3:4], v[9:10]
	s_delay_alu instid0(VALU_DEP_1) | instskip(NEXT) | instid1(VALU_DEP_1)
	v_div_fixup_f64 v[1:2], v[1:2], v[7:8], v[5:6]
	v_fma_f64 v[3:4], v[5:6], v[1:2], v[7:8]
	s_delay_alu instid0(VALU_DEP_1) | instskip(SKIP_1) | instid1(VALU_DEP_2)
	v_div_scale_f64 v[5:6], null, v[3:4], v[3:4], 1.0
	v_div_scale_f64 v[11:12], vcc_lo, 1.0, v[3:4], 1.0
	v_rcp_f64_e32 v[7:8], v[5:6]
	s_delay_alu instid0(TRANS32_DEP_1) | instskip(NEXT) | instid1(VALU_DEP_1)
	v_fma_f64 v[9:10], -v[5:6], v[7:8], 1.0
	v_fma_f64 v[7:8], v[7:8], v[9:10], v[7:8]
	s_delay_alu instid0(VALU_DEP_1) | instskip(NEXT) | instid1(VALU_DEP_1)
	v_fma_f64 v[9:10], -v[5:6], v[7:8], 1.0
	v_fma_f64 v[7:8], v[7:8], v[9:10], v[7:8]
	s_delay_alu instid0(VALU_DEP_1) | instskip(NEXT) | instid1(VALU_DEP_1)
	v_mul_f64_e32 v[9:10], v[11:12], v[7:8]
	v_fma_f64 v[5:6], -v[5:6], v[9:10], v[11:12]
	s_wait_alu 0xfffd
	s_delay_alu instid0(VALU_DEP_1) | instskip(NEXT) | instid1(VALU_DEP_1)
	v_div_fmas_f64 v[5:6], v[5:6], v[7:8], v[9:10]
	v_div_fixup_f64 v[3:4], v[5:6], v[3:4], 1.0
                                        ; implicit-def: $vgpr5_vgpr6
	s_delay_alu instid0(VALU_DEP_1) | instskip(SKIP_1) | instid1(VALU_DEP_2)
	v_mul_f64_e32 v[1:2], v[1:2], v[3:4]
	v_xor_b32_e32 v4, 0x80000000, v4
	v_xor_b32_e32 v10, 0x80000000, v2
	s_delay_alu instid0(VALU_DEP_3)
	v_mov_b32_e32 v9, v1
.LBB42_15:
	s_wait_alu 0xfffe
	s_and_not1_saveexec_b32 s1, s1
	s_cbranch_execz .LBB42_17
; %bb.16:
	v_div_scale_f64 v[1:2], null, v[5:6], v[5:6], v[7:8]
	v_div_scale_f64 v[11:12], vcc_lo, v[7:8], v[5:6], v[7:8]
	s_delay_alu instid0(VALU_DEP_2) | instskip(NEXT) | instid1(TRANS32_DEP_1)
	v_rcp_f64_e32 v[3:4], v[1:2]
	v_fma_f64 v[9:10], -v[1:2], v[3:4], 1.0
	s_delay_alu instid0(VALU_DEP_1) | instskip(NEXT) | instid1(VALU_DEP_1)
	v_fma_f64 v[3:4], v[3:4], v[9:10], v[3:4]
	v_fma_f64 v[9:10], -v[1:2], v[3:4], 1.0
	s_delay_alu instid0(VALU_DEP_1) | instskip(NEXT) | instid1(VALU_DEP_1)
	v_fma_f64 v[3:4], v[3:4], v[9:10], v[3:4]
	v_mul_f64_e32 v[9:10], v[11:12], v[3:4]
	s_delay_alu instid0(VALU_DEP_1) | instskip(SKIP_1) | instid1(VALU_DEP_1)
	v_fma_f64 v[1:2], -v[1:2], v[9:10], v[11:12]
	s_wait_alu 0xfffd
	v_div_fmas_f64 v[1:2], v[1:2], v[3:4], v[9:10]
	s_delay_alu instid0(VALU_DEP_1) | instskip(NEXT) | instid1(VALU_DEP_1)
	v_div_fixup_f64 v[3:4], v[1:2], v[5:6], v[7:8]
	v_fma_f64 v[1:2], v[7:8], v[3:4], v[5:6]
	s_delay_alu instid0(VALU_DEP_1) | instskip(NEXT) | instid1(VALU_DEP_1)
	v_div_scale_f64 v[5:6], null, v[1:2], v[1:2], 1.0
	v_rcp_f64_e32 v[7:8], v[5:6]
	s_delay_alu instid0(TRANS32_DEP_1) | instskip(NEXT) | instid1(VALU_DEP_1)
	v_fma_f64 v[9:10], -v[5:6], v[7:8], 1.0
	v_fma_f64 v[7:8], v[7:8], v[9:10], v[7:8]
	s_delay_alu instid0(VALU_DEP_1) | instskip(NEXT) | instid1(VALU_DEP_1)
	v_fma_f64 v[9:10], -v[5:6], v[7:8], 1.0
	v_fma_f64 v[7:8], v[7:8], v[9:10], v[7:8]
	v_div_scale_f64 v[9:10], vcc_lo, 1.0, v[1:2], 1.0
	s_delay_alu instid0(VALU_DEP_1) | instskip(NEXT) | instid1(VALU_DEP_1)
	v_mul_f64_e32 v[11:12], v[9:10], v[7:8]
	v_fma_f64 v[5:6], -v[5:6], v[11:12], v[9:10]
	s_wait_alu 0xfffd
	s_delay_alu instid0(VALU_DEP_1) | instskip(NEXT) | instid1(VALU_DEP_1)
	v_div_fmas_f64 v[5:6], v[5:6], v[7:8], v[11:12]
	v_div_fixup_f64 v[1:2], v[5:6], v[1:2], 1.0
	s_delay_alu instid0(VALU_DEP_1)
	v_mul_f64_e64 v[3:4], v[3:4], -v[1:2]
	v_xor_b32_e32 v10, 0x80000000, v2
	v_mov_b32_e32 v9, v1
.LBB42_17:
	s_wait_alu 0xfffe
	s_or_b32 exec_lo, exec_lo, s1
	scratch_store_b128 v14, v[1:4], off
	scratch_load_b128 v[15:18], off, s23
	v_xor_b32_e32 v12, 0x80000000, v4
	v_mov_b32_e32 v11, v3
	v_add_nc_u32_e32 v5, 0x2b0, v13
	ds_store_b128 v13, v[9:12]
	s_wait_loadcnt 0x0
	ds_store_b128 v13, v[15:18] offset:688
	s_wait_storecnt_dscnt 0x0
	s_barrier_signal -1
	s_barrier_wait -1
	global_inv scope:SCOPE_SE
	s_and_saveexec_b32 s1, s0
	s_cbranch_execz .LBB42_19
; %bb.18:
	scratch_load_b128 v[1:4], v14, off
	ds_load_b128 v[6:9], v5
	v_mov_b32_e32 v10, 0
	ds_load_b128 v[15:18], v10 offset:16
	s_wait_loadcnt_dscnt 0x1
	v_mul_f64_e32 v[10:11], v[6:7], v[3:4]
	v_mul_f64_e32 v[3:4], v[8:9], v[3:4]
	s_delay_alu instid0(VALU_DEP_2) | instskip(NEXT) | instid1(VALU_DEP_2)
	v_fma_f64 v[8:9], v[8:9], v[1:2], v[10:11]
	v_fma_f64 v[1:2], v[6:7], v[1:2], -v[3:4]
	s_delay_alu instid0(VALU_DEP_2) | instskip(NEXT) | instid1(VALU_DEP_2)
	v_add_f64_e32 v[3:4], 0, v[8:9]
	v_add_f64_e32 v[1:2], 0, v[1:2]
	s_wait_dscnt 0x0
	s_delay_alu instid0(VALU_DEP_2) | instskip(NEXT) | instid1(VALU_DEP_2)
	v_mul_f64_e32 v[6:7], v[3:4], v[17:18]
	v_mul_f64_e32 v[8:9], v[1:2], v[17:18]
	s_delay_alu instid0(VALU_DEP_2) | instskip(NEXT) | instid1(VALU_DEP_2)
	v_fma_f64 v[1:2], v[1:2], v[15:16], -v[6:7]
	v_fma_f64 v[3:4], v[3:4], v[15:16], v[8:9]
	scratch_store_b128 off, v[1:4], off offset:32
.LBB42_19:
	s_wait_alu 0xfffe
	s_or_b32 exec_lo, exec_lo, s1
	s_wait_loadcnt 0x0
	s_wait_storecnt 0x0
	s_barrier_signal -1
	s_barrier_wait -1
	global_inv scope:SCOPE_SE
	scratch_load_b128 v[1:4], off, s21
	s_mov_b32 s1, exec_lo
	s_wait_loadcnt 0x0
	ds_store_b128 v5, v[1:4]
	s_wait_dscnt 0x0
	s_barrier_signal -1
	s_barrier_wait -1
	global_inv scope:SCOPE_SE
	v_cmpx_gt_u32_e32 2, v0
	s_cbranch_execz .LBB42_23
; %bb.20:
	scratch_load_b128 v[1:4], v14, off
	ds_load_b128 v[6:9], v5
	s_wait_loadcnt_dscnt 0x0
	v_mul_f64_e32 v[10:11], v[8:9], v[3:4]
	v_mul_f64_e32 v[3:4], v[6:7], v[3:4]
	s_delay_alu instid0(VALU_DEP_2) | instskip(NEXT) | instid1(VALU_DEP_2)
	v_fma_f64 v[6:7], v[6:7], v[1:2], -v[10:11]
	v_fma_f64 v[3:4], v[8:9], v[1:2], v[3:4]
	s_delay_alu instid0(VALU_DEP_2) | instskip(NEXT) | instid1(VALU_DEP_2)
	v_add_f64_e32 v[1:2], 0, v[6:7]
	v_add_f64_e32 v[3:4], 0, v[3:4]
	s_and_saveexec_b32 s52, s0
	s_cbranch_execz .LBB42_22
; %bb.21:
	scratch_load_b128 v[6:9], off, off offset:32
	v_mov_b32_e32 v10, 0
	ds_load_b128 v[15:18], v10 offset:704
	s_wait_loadcnt_dscnt 0x0
	v_mul_f64_e32 v[10:11], v[15:16], v[8:9]
	v_mul_f64_e32 v[8:9], v[17:18], v[8:9]
	s_delay_alu instid0(VALU_DEP_2) | instskip(NEXT) | instid1(VALU_DEP_2)
	v_fma_f64 v[10:11], v[17:18], v[6:7], v[10:11]
	v_fma_f64 v[6:7], v[15:16], v[6:7], -v[8:9]
	s_delay_alu instid0(VALU_DEP_2) | instskip(NEXT) | instid1(VALU_DEP_2)
	v_add_f64_e32 v[3:4], v[3:4], v[10:11]
	v_add_f64_e32 v[1:2], v[1:2], v[6:7]
.LBB42_22:
	s_or_b32 exec_lo, exec_lo, s52
	v_mov_b32_e32 v6, 0
	ds_load_b128 v[6:9], v6 offset:32
	s_wait_dscnt 0x0
	v_mul_f64_e32 v[10:11], v[3:4], v[8:9]
	v_mul_f64_e32 v[8:9], v[1:2], v[8:9]
	s_delay_alu instid0(VALU_DEP_2) | instskip(NEXT) | instid1(VALU_DEP_2)
	v_fma_f64 v[1:2], v[1:2], v[6:7], -v[10:11]
	v_fma_f64 v[3:4], v[3:4], v[6:7], v[8:9]
	scratch_store_b128 off, v[1:4], off offset:48
.LBB42_23:
	s_wait_alu 0xfffe
	s_or_b32 exec_lo, exec_lo, s1
	s_wait_loadcnt 0x0
	s_wait_storecnt 0x0
	s_barrier_signal -1
	s_barrier_wait -1
	global_inv scope:SCOPE_SE
	scratch_load_b128 v[1:4], off, s19
	v_add_nc_u32_e32 v6, -1, v0
	s_mov_b32 s0, exec_lo
	s_wait_loadcnt 0x0
	ds_store_b128 v5, v[1:4]
	s_wait_dscnt 0x0
	s_barrier_signal -1
	s_barrier_wait -1
	global_inv scope:SCOPE_SE
	v_cmpx_gt_u32_e32 3, v0
	s_cbranch_execz .LBB42_27
; %bb.24:
	v_dual_mov_b32 v1, 0 :: v_dual_add_nc_u32 v8, 0x2b0, v13
	v_mov_b32_e32 v3, 0
	v_dual_mov_b32 v2, 0 :: v_dual_add_nc_u32 v7, -1, v0
	v_mov_b32_e32 v4, 0
	v_or_b32_e32 v9, 8, v14
	s_mov_b32 s1, 0
.LBB42_25:                              ; =>This Inner Loop Header: Depth=1
	scratch_load_b128 v[15:18], v9, off offset:-8
	ds_load_b128 v[19:22], v8
	v_add_nc_u32_e32 v7, 1, v7
	v_add_nc_u32_e32 v8, 16, v8
	v_add_nc_u32_e32 v9, 16, v9
	s_delay_alu instid0(VALU_DEP_3)
	v_cmp_lt_u32_e32 vcc_lo, 1, v7
	s_wait_alu 0xfffe
	s_or_b32 s1, vcc_lo, s1
	s_wait_loadcnt_dscnt 0x0
	v_mul_f64_e32 v[10:11], v[21:22], v[17:18]
	v_mul_f64_e32 v[17:18], v[19:20], v[17:18]
	s_delay_alu instid0(VALU_DEP_2) | instskip(NEXT) | instid1(VALU_DEP_2)
	v_fma_f64 v[10:11], v[19:20], v[15:16], -v[10:11]
	v_fma_f64 v[15:16], v[21:22], v[15:16], v[17:18]
	s_delay_alu instid0(VALU_DEP_2) | instskip(NEXT) | instid1(VALU_DEP_2)
	v_add_f64_e32 v[3:4], v[3:4], v[10:11]
	v_add_f64_e32 v[1:2], v[1:2], v[15:16]
	s_wait_alu 0xfffe
	s_and_not1_b32 exec_lo, exec_lo, s1
	s_cbranch_execnz .LBB42_25
; %bb.26:
	s_or_b32 exec_lo, exec_lo, s1
	v_mov_b32_e32 v7, 0
	ds_load_b128 v[7:10], v7 offset:48
	s_wait_dscnt 0x0
	v_mul_f64_e32 v[11:12], v[1:2], v[9:10]
	v_mul_f64_e32 v[15:16], v[3:4], v[9:10]
	s_delay_alu instid0(VALU_DEP_2) | instskip(NEXT) | instid1(VALU_DEP_2)
	v_fma_f64 v[9:10], v[3:4], v[7:8], -v[11:12]
	v_fma_f64 v[11:12], v[1:2], v[7:8], v[15:16]
	scratch_store_b128 off, v[9:12], off offset:64
.LBB42_27:
	s_wait_alu 0xfffe
	s_or_b32 exec_lo, exec_lo, s0
	s_wait_loadcnt 0x0
	s_wait_storecnt 0x0
	s_barrier_signal -1
	s_barrier_wait -1
	global_inv scope:SCOPE_SE
	scratch_load_b128 v[1:4], off, s14
	s_mov_b32 s0, exec_lo
	s_wait_loadcnt 0x0
	ds_store_b128 v5, v[1:4]
	s_wait_dscnt 0x0
	s_barrier_signal -1
	s_barrier_wait -1
	global_inv scope:SCOPE_SE
	v_cmpx_gt_u32_e32 4, v0
	s_cbranch_execz .LBB42_31
; %bb.28:
	v_dual_mov_b32 v1, 0 :: v_dual_add_nc_u32 v8, 0x2b0, v13
	v_mov_b32_e32 v3, 0
	v_dual_mov_b32 v2, 0 :: v_dual_add_nc_u32 v7, -1, v0
	v_mov_b32_e32 v4, 0
	v_or_b32_e32 v9, 8, v14
	s_mov_b32 s1, 0
.LBB42_29:                              ; =>This Inner Loop Header: Depth=1
	scratch_load_b128 v[15:18], v9, off offset:-8
	ds_load_b128 v[19:22], v8
	v_add_nc_u32_e32 v7, 1, v7
	v_add_nc_u32_e32 v8, 16, v8
	v_add_nc_u32_e32 v9, 16, v9
	s_delay_alu instid0(VALU_DEP_3)
	v_cmp_lt_u32_e32 vcc_lo, 2, v7
	s_wait_alu 0xfffe
	s_or_b32 s1, vcc_lo, s1
	s_wait_loadcnt_dscnt 0x0
	v_mul_f64_e32 v[10:11], v[21:22], v[17:18]
	v_mul_f64_e32 v[17:18], v[19:20], v[17:18]
	s_delay_alu instid0(VALU_DEP_2) | instskip(NEXT) | instid1(VALU_DEP_2)
	v_fma_f64 v[10:11], v[19:20], v[15:16], -v[10:11]
	v_fma_f64 v[15:16], v[21:22], v[15:16], v[17:18]
	s_delay_alu instid0(VALU_DEP_2) | instskip(NEXT) | instid1(VALU_DEP_2)
	v_add_f64_e32 v[3:4], v[3:4], v[10:11]
	v_add_f64_e32 v[1:2], v[1:2], v[15:16]
	s_wait_alu 0xfffe
	s_and_not1_b32 exec_lo, exec_lo, s1
	s_cbranch_execnz .LBB42_29
; %bb.30:
	s_or_b32 exec_lo, exec_lo, s1
	v_mov_b32_e32 v7, 0
	ds_load_b128 v[7:10], v7 offset:64
	s_wait_dscnt 0x0
	v_mul_f64_e32 v[11:12], v[1:2], v[9:10]
	v_mul_f64_e32 v[15:16], v[3:4], v[9:10]
	s_delay_alu instid0(VALU_DEP_2) | instskip(NEXT) | instid1(VALU_DEP_2)
	v_fma_f64 v[9:10], v[3:4], v[7:8], -v[11:12]
	v_fma_f64 v[11:12], v[1:2], v[7:8], v[15:16]
	scratch_store_b128 off, v[9:12], off offset:80
.LBB42_31:
	s_wait_alu 0xfffe
	s_or_b32 exec_lo, exec_lo, s0
	s_wait_loadcnt 0x0
	s_wait_storecnt 0x0
	s_barrier_signal -1
	s_barrier_wait -1
	global_inv scope:SCOPE_SE
	scratch_load_b128 v[1:4], off, s51
	;; [unrolled: 58-line block ×19, first 2 shown]
	s_mov_b32 s0, exec_lo
	s_wait_loadcnt 0x0
	ds_store_b128 v5, v[1:4]
	s_wait_dscnt 0x0
	s_barrier_signal -1
	s_barrier_wait -1
	global_inv scope:SCOPE_SE
	v_cmpx_gt_u32_e32 22, v0
	s_cbranch_execz .LBB42_103
; %bb.100:
	v_dual_mov_b32 v1, 0 :: v_dual_add_nc_u32 v8, 0x2b0, v13
	v_mov_b32_e32 v3, 0
	v_dual_mov_b32 v2, 0 :: v_dual_add_nc_u32 v7, -1, v0
	v_mov_b32_e32 v4, 0
	v_or_b32_e32 v9, 8, v14
	s_mov_b32 s1, 0
.LBB42_101:                             ; =>This Inner Loop Header: Depth=1
	scratch_load_b128 v[15:18], v9, off offset:-8
	ds_load_b128 v[19:22], v8
	v_add_nc_u32_e32 v7, 1, v7
	v_add_nc_u32_e32 v8, 16, v8
	v_add_nc_u32_e32 v9, 16, v9
	s_delay_alu instid0(VALU_DEP_3)
	v_cmp_lt_u32_e32 vcc_lo, 20, v7
	s_wait_alu 0xfffe
	s_or_b32 s1, vcc_lo, s1
	s_wait_loadcnt_dscnt 0x0
	v_mul_f64_e32 v[10:11], v[21:22], v[17:18]
	v_mul_f64_e32 v[17:18], v[19:20], v[17:18]
	s_delay_alu instid0(VALU_DEP_2) | instskip(NEXT) | instid1(VALU_DEP_2)
	v_fma_f64 v[10:11], v[19:20], v[15:16], -v[10:11]
	v_fma_f64 v[15:16], v[21:22], v[15:16], v[17:18]
	s_delay_alu instid0(VALU_DEP_2) | instskip(NEXT) | instid1(VALU_DEP_2)
	v_add_f64_e32 v[3:4], v[3:4], v[10:11]
	v_add_f64_e32 v[1:2], v[1:2], v[15:16]
	s_wait_alu 0xfffe
	s_and_not1_b32 exec_lo, exec_lo, s1
	s_cbranch_execnz .LBB42_101
; %bb.102:
	s_or_b32 exec_lo, exec_lo, s1
	v_mov_b32_e32 v7, 0
	ds_load_b128 v[7:10], v7 offset:352
	s_wait_dscnt 0x0
	v_mul_f64_e32 v[11:12], v[1:2], v[9:10]
	v_mul_f64_e32 v[15:16], v[3:4], v[9:10]
	s_delay_alu instid0(VALU_DEP_2) | instskip(NEXT) | instid1(VALU_DEP_2)
	v_fma_f64 v[9:10], v[3:4], v[7:8], -v[11:12]
	v_fma_f64 v[11:12], v[1:2], v[7:8], v[15:16]
	scratch_store_b128 off, v[9:12], off offset:368
.LBB42_103:
	s_wait_alu 0xfffe
	s_or_b32 exec_lo, exec_lo, s0
	s_wait_loadcnt 0x0
	s_wait_storecnt 0x0
	s_barrier_signal -1
	s_barrier_wait -1
	global_inv scope:SCOPE_SE
	scratch_load_b128 v[1:4], off, s33
	s_mov_b32 s0, exec_lo
	s_wait_loadcnt 0x0
	ds_store_b128 v5, v[1:4]
	s_wait_dscnt 0x0
	s_barrier_signal -1
	s_barrier_wait -1
	global_inv scope:SCOPE_SE
	v_cmpx_gt_u32_e32 23, v0
	s_cbranch_execz .LBB42_107
; %bb.104:
	v_dual_mov_b32 v1, 0 :: v_dual_add_nc_u32 v8, 0x2b0, v13
	v_mov_b32_e32 v3, 0
	v_dual_mov_b32 v2, 0 :: v_dual_add_nc_u32 v7, -1, v0
	v_mov_b32_e32 v4, 0
	v_or_b32_e32 v9, 8, v14
	s_mov_b32 s1, 0
.LBB42_105:                             ; =>This Inner Loop Header: Depth=1
	scratch_load_b128 v[15:18], v9, off offset:-8
	ds_load_b128 v[19:22], v8
	v_add_nc_u32_e32 v7, 1, v7
	v_add_nc_u32_e32 v8, 16, v8
	v_add_nc_u32_e32 v9, 16, v9
	s_delay_alu instid0(VALU_DEP_3)
	v_cmp_lt_u32_e32 vcc_lo, 21, v7
	s_wait_alu 0xfffe
	s_or_b32 s1, vcc_lo, s1
	s_wait_loadcnt_dscnt 0x0
	v_mul_f64_e32 v[10:11], v[21:22], v[17:18]
	v_mul_f64_e32 v[17:18], v[19:20], v[17:18]
	s_delay_alu instid0(VALU_DEP_2) | instskip(NEXT) | instid1(VALU_DEP_2)
	v_fma_f64 v[10:11], v[19:20], v[15:16], -v[10:11]
	v_fma_f64 v[15:16], v[21:22], v[15:16], v[17:18]
	s_delay_alu instid0(VALU_DEP_2) | instskip(NEXT) | instid1(VALU_DEP_2)
	v_add_f64_e32 v[3:4], v[3:4], v[10:11]
	v_add_f64_e32 v[1:2], v[1:2], v[15:16]
	s_wait_alu 0xfffe
	s_and_not1_b32 exec_lo, exec_lo, s1
	s_cbranch_execnz .LBB42_105
; %bb.106:
	s_or_b32 exec_lo, exec_lo, s1
	v_mov_b32_e32 v7, 0
	ds_load_b128 v[7:10], v7 offset:368
	s_wait_dscnt 0x0
	v_mul_f64_e32 v[11:12], v[1:2], v[9:10]
	v_mul_f64_e32 v[15:16], v[3:4], v[9:10]
	s_delay_alu instid0(VALU_DEP_2) | instskip(NEXT) | instid1(VALU_DEP_2)
	v_fma_f64 v[9:10], v[3:4], v[7:8], -v[11:12]
	v_fma_f64 v[11:12], v[1:2], v[7:8], v[15:16]
	scratch_store_b128 off, v[9:12], off offset:384
.LBB42_107:
	s_wait_alu 0xfffe
	s_or_b32 exec_lo, exec_lo, s0
	s_wait_loadcnt 0x0
	s_wait_storecnt 0x0
	s_barrier_signal -1
	s_barrier_wait -1
	global_inv scope:SCOPE_SE
	scratch_load_b128 v[1:4], off, s31
	;; [unrolled: 58-line block ×20, first 2 shown]
	s_mov_b32 s0, exec_lo
	s_wait_loadcnt 0x0
	ds_store_b128 v5, v[1:4]
	s_wait_dscnt 0x0
	s_barrier_signal -1
	s_barrier_wait -1
	global_inv scope:SCOPE_SE
	v_cmpx_ne_u32_e32 42, v0
	s_cbranch_execz .LBB42_183
; %bb.180:
	v_mov_b32_e32 v1, 0
	v_dual_mov_b32 v2, 0 :: v_dual_mov_b32 v3, 0
	v_mov_b32_e32 v4, 0
	v_or_b32_e32 v7, 8, v14
	s_mov_b32 s1, 0
.LBB42_181:                             ; =>This Inner Loop Header: Depth=1
	scratch_load_b128 v[8:11], v7, off offset:-8
	ds_load_b128 v[12:15], v5
	v_add_nc_u32_e32 v6, 1, v6
	v_add_nc_u32_e32 v5, 16, v5
	;; [unrolled: 1-line block ×3, first 2 shown]
	s_delay_alu instid0(VALU_DEP_3)
	v_cmp_lt_u32_e32 vcc_lo, 40, v6
	s_wait_alu 0xfffe
	s_or_b32 s1, vcc_lo, s1
	s_wait_loadcnt_dscnt 0x0
	v_mul_f64_e32 v[16:17], v[14:15], v[10:11]
	v_mul_f64_e32 v[10:11], v[12:13], v[10:11]
	s_delay_alu instid0(VALU_DEP_2) | instskip(NEXT) | instid1(VALU_DEP_2)
	v_fma_f64 v[12:13], v[12:13], v[8:9], -v[16:17]
	v_fma_f64 v[8:9], v[14:15], v[8:9], v[10:11]
	s_delay_alu instid0(VALU_DEP_2) | instskip(NEXT) | instid1(VALU_DEP_2)
	v_add_f64_e32 v[3:4], v[3:4], v[12:13]
	v_add_f64_e32 v[1:2], v[1:2], v[8:9]
	s_wait_alu 0xfffe
	s_and_not1_b32 exec_lo, exec_lo, s1
	s_cbranch_execnz .LBB42_181
; %bb.182:
	s_or_b32 exec_lo, exec_lo, s1
	v_mov_b32_e32 v5, 0
	ds_load_b128 v[5:8], v5 offset:672
	s_wait_dscnt 0x0
	v_mul_f64_e32 v[9:10], v[1:2], v[7:8]
	v_mul_f64_e32 v[7:8], v[3:4], v[7:8]
	s_delay_alu instid0(VALU_DEP_2) | instskip(NEXT) | instid1(VALU_DEP_2)
	v_fma_f64 v[3:4], v[3:4], v[5:6], -v[9:10]
	v_fma_f64 v[5:6], v[1:2], v[5:6], v[7:8]
	scratch_store_b128 off, v[3:6], off offset:688
.LBB42_183:
	s_wait_alu 0xfffe
	s_or_b32 exec_lo, exec_lo, s0
	s_mov_b32 s1, -1
	s_wait_loadcnt 0x0
	s_wait_storecnt 0x0
	s_barrier_signal -1
	s_barrier_wait -1
	global_inv scope:SCOPE_SE
.LBB42_184:
	s_wait_alu 0xfffe
	s_and_b32 vcc_lo, exec_lo, s1
	s_wait_alu 0xfffe
	s_cbranch_vccz .LBB42_186
; %bb.185:
	v_mov_b32_e32 v1, 0
	s_lshl_b64 s[0:1], s[16:17], 2
	s_wait_alu 0xfffe
	s_add_nc_u64 s[0:1], s[6:7], s[0:1]
	global_load_b32 v1, v1, s[0:1]
	s_wait_loadcnt 0x0
	v_cmp_ne_u32_e32 vcc_lo, 0, v1
	s_cbranch_vccz .LBB42_187
.LBB42_186:
	s_nop 0
	s_sendmsg sendmsg(MSG_DEALLOC_VGPRS)
	s_endpgm
.LBB42_187:
	v_lshl_add_u32 v132, v0, 4, 0x2b0
	s_mov_b32 s0, exec_lo
	v_cmpx_eq_u32_e32 42, v0
	s_cbranch_execz .LBB42_189
; %bb.188:
	scratch_load_b128 v[1:4], off, s25
	v_mov_b32_e32 v5, 0
	s_delay_alu instid0(VALU_DEP_1)
	v_dual_mov_b32 v6, v5 :: v_dual_mov_b32 v7, v5
	v_mov_b32_e32 v8, v5
	scratch_store_b128 off, v[5:8], off offset:672
	s_wait_loadcnt 0x0
	ds_store_b128 v132, v[1:4]
.LBB42_189:
	s_wait_alu 0xfffe
	s_or_b32 exec_lo, exec_lo, s0
	s_wait_storecnt_dscnt 0x0
	s_barrier_signal -1
	s_barrier_wait -1
	global_inv scope:SCOPE_SE
	s_clause 0x1
	scratch_load_b128 v[2:5], off, off offset:688
	scratch_load_b128 v[6:9], off, off offset:672
	v_mov_b32_e32 v1, 0
	s_mov_b32 s0, exec_lo
	ds_load_b128 v[10:13], v1 offset:1360
	s_wait_loadcnt_dscnt 0x100
	v_mul_f64_e32 v[14:15], v[12:13], v[4:5]
	v_mul_f64_e32 v[4:5], v[10:11], v[4:5]
	s_delay_alu instid0(VALU_DEP_2) | instskip(NEXT) | instid1(VALU_DEP_2)
	v_fma_f64 v[10:11], v[10:11], v[2:3], -v[14:15]
	v_fma_f64 v[2:3], v[12:13], v[2:3], v[4:5]
	s_delay_alu instid0(VALU_DEP_2) | instskip(NEXT) | instid1(VALU_DEP_2)
	v_add_f64_e32 v[4:5], 0, v[10:11]
	v_add_f64_e32 v[10:11], 0, v[2:3]
	s_wait_loadcnt 0x0
	s_delay_alu instid0(VALU_DEP_2) | instskip(NEXT) | instid1(VALU_DEP_2)
	v_add_f64_e64 v[2:3], v[6:7], -v[4:5]
	v_add_f64_e64 v[4:5], v[8:9], -v[10:11]
	scratch_store_b128 off, v[2:5], off offset:672
	v_cmpx_lt_u32_e32 40, v0
	s_cbranch_execz .LBB42_191
; %bb.190:
	scratch_load_b128 v[5:8], off, s4
	v_dual_mov_b32 v2, v1 :: v_dual_mov_b32 v3, v1
	v_mov_b32_e32 v4, v1
	scratch_store_b128 off, v[1:4], off offset:656
	s_wait_loadcnt 0x0
	ds_store_b128 v132, v[5:8]
.LBB42_191:
	s_wait_alu 0xfffe
	s_or_b32 exec_lo, exec_lo, s0
	s_wait_storecnt_dscnt 0x0
	s_barrier_signal -1
	s_barrier_wait -1
	global_inv scope:SCOPE_SE
	s_clause 0x2
	scratch_load_b128 v[2:5], off, off offset:672
	scratch_load_b128 v[6:9], off, off offset:688
	scratch_load_b128 v[10:13], off, off offset:656
	ds_load_b128 v[14:17], v1 offset:1344
	ds_load_b128 v[18:21], v1 offset:1360
	s_mov_b32 s0, exec_lo
	s_wait_loadcnt_dscnt 0x201
	v_mul_f64_e32 v[22:23], v[16:17], v[4:5]
	v_mul_f64_e32 v[4:5], v[14:15], v[4:5]
	s_wait_loadcnt_dscnt 0x100
	v_mul_f64_e32 v[24:25], v[18:19], v[8:9]
	v_mul_f64_e32 v[8:9], v[20:21], v[8:9]
	s_delay_alu instid0(VALU_DEP_4) | instskip(NEXT) | instid1(VALU_DEP_4)
	v_fma_f64 v[14:15], v[14:15], v[2:3], -v[22:23]
	v_fma_f64 v[1:2], v[16:17], v[2:3], v[4:5]
	s_delay_alu instid0(VALU_DEP_4) | instskip(NEXT) | instid1(VALU_DEP_4)
	v_fma_f64 v[3:4], v[20:21], v[6:7], v[24:25]
	v_fma_f64 v[5:6], v[18:19], v[6:7], -v[8:9]
	s_delay_alu instid0(VALU_DEP_4) | instskip(NEXT) | instid1(VALU_DEP_4)
	v_add_f64_e32 v[7:8], 0, v[14:15]
	v_add_f64_e32 v[1:2], 0, v[1:2]
	s_delay_alu instid0(VALU_DEP_2) | instskip(NEXT) | instid1(VALU_DEP_2)
	v_add_f64_e32 v[5:6], v[7:8], v[5:6]
	v_add_f64_e32 v[3:4], v[1:2], v[3:4]
	s_wait_loadcnt 0x0
	s_delay_alu instid0(VALU_DEP_2) | instskip(NEXT) | instid1(VALU_DEP_2)
	v_add_f64_e64 v[1:2], v[10:11], -v[5:6]
	v_add_f64_e64 v[3:4], v[12:13], -v[3:4]
	scratch_store_b128 off, v[1:4], off offset:656
	v_cmpx_lt_u32_e32 39, v0
	s_cbranch_execz .LBB42_193
; %bb.192:
	scratch_load_b128 v[1:4], off, s5
	v_mov_b32_e32 v5, 0
	s_delay_alu instid0(VALU_DEP_1)
	v_dual_mov_b32 v6, v5 :: v_dual_mov_b32 v7, v5
	v_mov_b32_e32 v8, v5
	scratch_store_b128 off, v[5:8], off offset:640
	s_wait_loadcnt 0x0
	ds_store_b128 v132, v[1:4]
.LBB42_193:
	s_wait_alu 0xfffe
	s_or_b32 exec_lo, exec_lo, s0
	s_wait_storecnt_dscnt 0x0
	s_barrier_signal -1
	s_barrier_wait -1
	global_inv scope:SCOPE_SE
	s_clause 0x3
	scratch_load_b128 v[2:5], off, off offset:656
	scratch_load_b128 v[6:9], off, off offset:672
	;; [unrolled: 1-line block ×4, first 2 shown]
	v_mov_b32_e32 v1, 0
	ds_load_b128 v[18:21], v1 offset:1328
	ds_load_b128 v[22:25], v1 offset:1344
	s_mov_b32 s0, exec_lo
	s_wait_loadcnt_dscnt 0x301
	v_mul_f64_e32 v[26:27], v[20:21], v[4:5]
	v_mul_f64_e32 v[4:5], v[18:19], v[4:5]
	s_wait_loadcnt_dscnt 0x200
	v_mul_f64_e32 v[28:29], v[22:23], v[8:9]
	v_mul_f64_e32 v[8:9], v[24:25], v[8:9]
	s_delay_alu instid0(VALU_DEP_4) | instskip(NEXT) | instid1(VALU_DEP_4)
	v_fma_f64 v[18:19], v[18:19], v[2:3], -v[26:27]
	v_fma_f64 v[20:21], v[20:21], v[2:3], v[4:5]
	ds_load_b128 v[2:5], v1 offset:1360
	v_fma_f64 v[24:25], v[24:25], v[6:7], v[28:29]
	v_fma_f64 v[6:7], v[22:23], v[6:7], -v[8:9]
	s_wait_loadcnt_dscnt 0x100
	v_mul_f64_e32 v[26:27], v[2:3], v[12:13]
	v_mul_f64_e32 v[12:13], v[4:5], v[12:13]
	v_add_f64_e32 v[8:9], 0, v[18:19]
	v_add_f64_e32 v[18:19], 0, v[20:21]
	s_delay_alu instid0(VALU_DEP_4) | instskip(NEXT) | instid1(VALU_DEP_4)
	v_fma_f64 v[4:5], v[4:5], v[10:11], v[26:27]
	v_fma_f64 v[2:3], v[2:3], v[10:11], -v[12:13]
	s_delay_alu instid0(VALU_DEP_4) | instskip(NEXT) | instid1(VALU_DEP_4)
	v_add_f64_e32 v[6:7], v[8:9], v[6:7]
	v_add_f64_e32 v[8:9], v[18:19], v[24:25]
	s_delay_alu instid0(VALU_DEP_2) | instskip(NEXT) | instid1(VALU_DEP_2)
	v_add_f64_e32 v[2:3], v[6:7], v[2:3]
	v_add_f64_e32 v[4:5], v[8:9], v[4:5]
	s_wait_loadcnt 0x0
	s_delay_alu instid0(VALU_DEP_2) | instskip(NEXT) | instid1(VALU_DEP_2)
	v_add_f64_e64 v[2:3], v[14:15], -v[2:3]
	v_add_f64_e64 v[4:5], v[16:17], -v[4:5]
	scratch_store_b128 off, v[2:5], off offset:640
	v_cmpx_lt_u32_e32 38, v0
	s_cbranch_execz .LBB42_195
; %bb.194:
	scratch_load_b128 v[5:8], off, s8
	v_dual_mov_b32 v2, v1 :: v_dual_mov_b32 v3, v1
	v_mov_b32_e32 v4, v1
	scratch_store_b128 off, v[1:4], off offset:624
	s_wait_loadcnt 0x0
	ds_store_b128 v132, v[5:8]
.LBB42_195:
	s_wait_alu 0xfffe
	s_or_b32 exec_lo, exec_lo, s0
	s_wait_storecnt_dscnt 0x0
	s_barrier_signal -1
	s_barrier_wait -1
	global_inv scope:SCOPE_SE
	s_clause 0x4
	scratch_load_b128 v[2:5], off, off offset:640
	scratch_load_b128 v[6:9], off, off offset:656
	;; [unrolled: 1-line block ×5, first 2 shown]
	ds_load_b128 v[22:25], v1 offset:1312
	ds_load_b128 v[26:29], v1 offset:1328
	s_mov_b32 s0, exec_lo
	s_wait_loadcnt_dscnt 0x401
	v_mul_f64_e32 v[30:31], v[24:25], v[4:5]
	v_mul_f64_e32 v[4:5], v[22:23], v[4:5]
	s_wait_loadcnt_dscnt 0x300
	v_mul_f64_e32 v[32:33], v[26:27], v[8:9]
	v_mul_f64_e32 v[8:9], v[28:29], v[8:9]
	s_delay_alu instid0(VALU_DEP_4) | instskip(NEXT) | instid1(VALU_DEP_4)
	v_fma_f64 v[30:31], v[22:23], v[2:3], -v[30:31]
	v_fma_f64 v[34:35], v[24:25], v[2:3], v[4:5]
	ds_load_b128 v[2:5], v1 offset:1344
	ds_load_b128 v[22:25], v1 offset:1360
	v_fma_f64 v[28:29], v[28:29], v[6:7], v[32:33]
	v_fma_f64 v[6:7], v[26:27], v[6:7], -v[8:9]
	s_wait_loadcnt_dscnt 0x201
	v_mul_f64_e32 v[36:37], v[2:3], v[12:13]
	v_mul_f64_e32 v[12:13], v[4:5], v[12:13]
	v_add_f64_e32 v[8:9], 0, v[30:31]
	v_add_f64_e32 v[26:27], 0, v[34:35]
	s_wait_loadcnt_dscnt 0x100
	v_mul_f64_e32 v[30:31], v[22:23], v[16:17]
	v_mul_f64_e32 v[16:17], v[24:25], v[16:17]
	v_fma_f64 v[4:5], v[4:5], v[10:11], v[36:37]
	v_fma_f64 v[1:2], v[2:3], v[10:11], -v[12:13]
	v_add_f64_e32 v[6:7], v[8:9], v[6:7]
	v_add_f64_e32 v[8:9], v[26:27], v[28:29]
	v_fma_f64 v[10:11], v[24:25], v[14:15], v[30:31]
	v_fma_f64 v[12:13], v[22:23], v[14:15], -v[16:17]
	s_delay_alu instid0(VALU_DEP_4) | instskip(NEXT) | instid1(VALU_DEP_4)
	v_add_f64_e32 v[1:2], v[6:7], v[1:2]
	v_add_f64_e32 v[3:4], v[8:9], v[4:5]
	s_delay_alu instid0(VALU_DEP_2) | instskip(NEXT) | instid1(VALU_DEP_2)
	v_add_f64_e32 v[1:2], v[1:2], v[12:13]
	v_add_f64_e32 v[3:4], v[3:4], v[10:11]
	s_wait_loadcnt 0x0
	s_delay_alu instid0(VALU_DEP_2) | instskip(NEXT) | instid1(VALU_DEP_2)
	v_add_f64_e64 v[1:2], v[18:19], -v[1:2]
	v_add_f64_e64 v[3:4], v[20:21], -v[3:4]
	scratch_store_b128 off, v[1:4], off offset:624
	v_cmpx_lt_u32_e32 37, v0
	s_cbranch_execz .LBB42_197
; %bb.196:
	scratch_load_b128 v[1:4], off, s9
	v_mov_b32_e32 v5, 0
	s_delay_alu instid0(VALU_DEP_1)
	v_dual_mov_b32 v6, v5 :: v_dual_mov_b32 v7, v5
	v_mov_b32_e32 v8, v5
	scratch_store_b128 off, v[5:8], off offset:608
	s_wait_loadcnt 0x0
	ds_store_b128 v132, v[1:4]
.LBB42_197:
	s_wait_alu 0xfffe
	s_or_b32 exec_lo, exec_lo, s0
	s_wait_storecnt_dscnt 0x0
	s_barrier_signal -1
	s_barrier_wait -1
	global_inv scope:SCOPE_SE
	s_clause 0x5
	scratch_load_b128 v[2:5], off, off offset:624
	scratch_load_b128 v[6:9], off, off offset:640
	;; [unrolled: 1-line block ×6, first 2 shown]
	v_mov_b32_e32 v1, 0
	ds_load_b128 v[26:29], v1 offset:1296
	ds_load_b128 v[30:33], v1 offset:1312
	s_mov_b32 s0, exec_lo
	s_wait_loadcnt_dscnt 0x501
	v_mul_f64_e32 v[34:35], v[28:29], v[4:5]
	v_mul_f64_e32 v[4:5], v[26:27], v[4:5]
	s_wait_loadcnt_dscnt 0x400
	v_mul_f64_e32 v[36:37], v[30:31], v[8:9]
	v_mul_f64_e32 v[8:9], v[32:33], v[8:9]
	s_delay_alu instid0(VALU_DEP_4) | instskip(NEXT) | instid1(VALU_DEP_4)
	v_fma_f64 v[34:35], v[26:27], v[2:3], -v[34:35]
	v_fma_f64 v[38:39], v[28:29], v[2:3], v[4:5]
	ds_load_b128 v[2:5], v1 offset:1328
	ds_load_b128 v[26:29], v1 offset:1344
	v_fma_f64 v[32:33], v[32:33], v[6:7], v[36:37]
	v_fma_f64 v[6:7], v[30:31], v[6:7], -v[8:9]
	s_wait_loadcnt_dscnt 0x301
	v_mul_f64_e32 v[40:41], v[2:3], v[12:13]
	v_mul_f64_e32 v[12:13], v[4:5], v[12:13]
	v_add_f64_e32 v[8:9], 0, v[34:35]
	v_add_f64_e32 v[30:31], 0, v[38:39]
	s_wait_loadcnt_dscnt 0x200
	v_mul_f64_e32 v[34:35], v[26:27], v[16:17]
	v_mul_f64_e32 v[16:17], v[28:29], v[16:17]
	v_fma_f64 v[36:37], v[4:5], v[10:11], v[40:41]
	v_fma_f64 v[10:11], v[2:3], v[10:11], -v[12:13]
	ds_load_b128 v[2:5], v1 offset:1360
	v_add_f64_e32 v[6:7], v[8:9], v[6:7]
	v_add_f64_e32 v[8:9], v[30:31], v[32:33]
	v_fma_f64 v[28:29], v[28:29], v[14:15], v[34:35]
	v_fma_f64 v[14:15], v[26:27], v[14:15], -v[16:17]
	s_wait_loadcnt_dscnt 0x100
	v_mul_f64_e32 v[12:13], v[2:3], v[20:21]
	v_mul_f64_e32 v[20:21], v[4:5], v[20:21]
	v_add_f64_e32 v[6:7], v[6:7], v[10:11]
	v_add_f64_e32 v[8:9], v[8:9], v[36:37]
	s_delay_alu instid0(VALU_DEP_4) | instskip(NEXT) | instid1(VALU_DEP_4)
	v_fma_f64 v[4:5], v[4:5], v[18:19], v[12:13]
	v_fma_f64 v[2:3], v[2:3], v[18:19], -v[20:21]
	s_delay_alu instid0(VALU_DEP_4) | instskip(NEXT) | instid1(VALU_DEP_4)
	v_add_f64_e32 v[6:7], v[6:7], v[14:15]
	v_add_f64_e32 v[8:9], v[8:9], v[28:29]
	s_delay_alu instid0(VALU_DEP_2) | instskip(NEXT) | instid1(VALU_DEP_2)
	v_add_f64_e32 v[2:3], v[6:7], v[2:3]
	v_add_f64_e32 v[4:5], v[8:9], v[4:5]
	s_wait_loadcnt 0x0
	s_delay_alu instid0(VALU_DEP_2) | instskip(NEXT) | instid1(VALU_DEP_2)
	v_add_f64_e64 v[2:3], v[22:23], -v[2:3]
	v_add_f64_e64 v[4:5], v[24:25], -v[4:5]
	scratch_store_b128 off, v[2:5], off offset:608
	v_cmpx_lt_u32_e32 36, v0
	s_cbranch_execz .LBB42_199
; %bb.198:
	scratch_load_b128 v[5:8], off, s10
	v_dual_mov_b32 v2, v1 :: v_dual_mov_b32 v3, v1
	v_mov_b32_e32 v4, v1
	scratch_store_b128 off, v[1:4], off offset:592
	s_wait_loadcnt 0x0
	ds_store_b128 v132, v[5:8]
.LBB42_199:
	s_wait_alu 0xfffe
	s_or_b32 exec_lo, exec_lo, s0
	s_wait_storecnt_dscnt 0x0
	s_barrier_signal -1
	s_barrier_wait -1
	global_inv scope:SCOPE_SE
	s_clause 0x5
	scratch_load_b128 v[2:5], off, off offset:608
	scratch_load_b128 v[6:9], off, off offset:624
	scratch_load_b128 v[10:13], off, off offset:640
	scratch_load_b128 v[14:17], off, off offset:656
	scratch_load_b128 v[18:21], off, off offset:672
	scratch_load_b128 v[22:25], off, off offset:688
	ds_load_b128 v[26:29], v1 offset:1280
	ds_load_b128 v[34:37], v1 offset:1296
	scratch_load_b128 v[30:33], off, off offset:592
	s_mov_b32 s0, exec_lo
	s_wait_loadcnt_dscnt 0x601
	v_mul_f64_e32 v[38:39], v[28:29], v[4:5]
	v_mul_f64_e32 v[4:5], v[26:27], v[4:5]
	s_wait_loadcnt_dscnt 0x500
	v_mul_f64_e32 v[40:41], v[34:35], v[8:9]
	v_mul_f64_e32 v[8:9], v[36:37], v[8:9]
	s_delay_alu instid0(VALU_DEP_4) | instskip(NEXT) | instid1(VALU_DEP_4)
	v_fma_f64 v[38:39], v[26:27], v[2:3], -v[38:39]
	v_fma_f64 v[42:43], v[28:29], v[2:3], v[4:5]
	ds_load_b128 v[2:5], v1 offset:1312
	ds_load_b128 v[26:29], v1 offset:1328
	v_fma_f64 v[36:37], v[36:37], v[6:7], v[40:41]
	v_fma_f64 v[6:7], v[34:35], v[6:7], -v[8:9]
	s_wait_loadcnt_dscnt 0x401
	v_mul_f64_e32 v[44:45], v[2:3], v[12:13]
	v_mul_f64_e32 v[12:13], v[4:5], v[12:13]
	v_add_f64_e32 v[8:9], 0, v[38:39]
	v_add_f64_e32 v[34:35], 0, v[42:43]
	s_wait_loadcnt_dscnt 0x300
	v_mul_f64_e32 v[38:39], v[26:27], v[16:17]
	v_mul_f64_e32 v[16:17], v[28:29], v[16:17]
	v_fma_f64 v[40:41], v[4:5], v[10:11], v[44:45]
	v_fma_f64 v[10:11], v[2:3], v[10:11], -v[12:13]
	v_add_f64_e32 v[12:13], v[8:9], v[6:7]
	v_add_f64_e32 v[34:35], v[34:35], v[36:37]
	ds_load_b128 v[2:5], v1 offset:1344
	ds_load_b128 v[6:9], v1 offset:1360
	v_fma_f64 v[28:29], v[28:29], v[14:15], v[38:39]
	v_fma_f64 v[14:15], v[26:27], v[14:15], -v[16:17]
	s_wait_loadcnt_dscnt 0x201
	v_mul_f64_e32 v[36:37], v[2:3], v[20:21]
	v_mul_f64_e32 v[20:21], v[4:5], v[20:21]
	s_wait_loadcnt_dscnt 0x100
	v_mul_f64_e32 v[16:17], v[6:7], v[24:25]
	v_mul_f64_e32 v[24:25], v[8:9], v[24:25]
	v_add_f64_e32 v[10:11], v[12:13], v[10:11]
	v_add_f64_e32 v[12:13], v[34:35], v[40:41]
	v_fma_f64 v[4:5], v[4:5], v[18:19], v[36:37]
	v_fma_f64 v[1:2], v[2:3], v[18:19], -v[20:21]
	v_fma_f64 v[8:9], v[8:9], v[22:23], v[16:17]
	v_fma_f64 v[6:7], v[6:7], v[22:23], -v[24:25]
	v_add_f64_e32 v[10:11], v[10:11], v[14:15]
	v_add_f64_e32 v[12:13], v[12:13], v[28:29]
	s_delay_alu instid0(VALU_DEP_2) | instskip(NEXT) | instid1(VALU_DEP_2)
	v_add_f64_e32 v[1:2], v[10:11], v[1:2]
	v_add_f64_e32 v[3:4], v[12:13], v[4:5]
	s_delay_alu instid0(VALU_DEP_2) | instskip(NEXT) | instid1(VALU_DEP_2)
	v_add_f64_e32 v[1:2], v[1:2], v[6:7]
	v_add_f64_e32 v[3:4], v[3:4], v[8:9]
	s_wait_loadcnt 0x0
	s_delay_alu instid0(VALU_DEP_2) | instskip(NEXT) | instid1(VALU_DEP_2)
	v_add_f64_e64 v[1:2], v[30:31], -v[1:2]
	v_add_f64_e64 v[3:4], v[32:33], -v[3:4]
	scratch_store_b128 off, v[1:4], off offset:592
	v_cmpx_lt_u32_e32 35, v0
	s_cbranch_execz .LBB42_201
; %bb.200:
	scratch_load_b128 v[1:4], off, s11
	v_mov_b32_e32 v5, 0
	s_delay_alu instid0(VALU_DEP_1)
	v_dual_mov_b32 v6, v5 :: v_dual_mov_b32 v7, v5
	v_mov_b32_e32 v8, v5
	scratch_store_b128 off, v[5:8], off offset:576
	s_wait_loadcnt 0x0
	ds_store_b128 v132, v[1:4]
.LBB42_201:
	s_wait_alu 0xfffe
	s_or_b32 exec_lo, exec_lo, s0
	s_wait_storecnt_dscnt 0x0
	s_barrier_signal -1
	s_barrier_wait -1
	global_inv scope:SCOPE_SE
	s_clause 0x6
	scratch_load_b128 v[2:5], off, off offset:592
	scratch_load_b128 v[6:9], off, off offset:608
	;; [unrolled: 1-line block ×7, first 2 shown]
	v_mov_b32_e32 v1, 0
	scratch_load_b128 v[34:37], off, off offset:576
	s_mov_b32 s0, exec_lo
	ds_load_b128 v[30:33], v1 offset:1264
	ds_load_b128 v[38:41], v1 offset:1280
	s_wait_loadcnt_dscnt 0x701
	v_mul_f64_e32 v[42:43], v[32:33], v[4:5]
	v_mul_f64_e32 v[4:5], v[30:31], v[4:5]
	s_wait_loadcnt_dscnt 0x600
	v_mul_f64_e32 v[44:45], v[38:39], v[8:9]
	v_mul_f64_e32 v[8:9], v[40:41], v[8:9]
	s_delay_alu instid0(VALU_DEP_4) | instskip(NEXT) | instid1(VALU_DEP_4)
	v_fma_f64 v[42:43], v[30:31], v[2:3], -v[42:43]
	v_fma_f64 v[133:134], v[32:33], v[2:3], v[4:5]
	ds_load_b128 v[2:5], v1 offset:1296
	ds_load_b128 v[30:33], v1 offset:1312
	v_fma_f64 v[40:41], v[40:41], v[6:7], v[44:45]
	v_fma_f64 v[6:7], v[38:39], v[6:7], -v[8:9]
	s_wait_loadcnt_dscnt 0x501
	v_mul_f64_e32 v[135:136], v[2:3], v[12:13]
	v_mul_f64_e32 v[12:13], v[4:5], v[12:13]
	v_add_f64_e32 v[8:9], 0, v[42:43]
	v_add_f64_e32 v[38:39], 0, v[133:134]
	s_wait_loadcnt_dscnt 0x400
	v_mul_f64_e32 v[42:43], v[30:31], v[16:17]
	v_mul_f64_e32 v[16:17], v[32:33], v[16:17]
	v_fma_f64 v[44:45], v[4:5], v[10:11], v[135:136]
	v_fma_f64 v[10:11], v[2:3], v[10:11], -v[12:13]
	v_add_f64_e32 v[12:13], v[8:9], v[6:7]
	v_add_f64_e32 v[38:39], v[38:39], v[40:41]
	ds_load_b128 v[2:5], v1 offset:1328
	ds_load_b128 v[6:9], v1 offset:1344
	v_fma_f64 v[32:33], v[32:33], v[14:15], v[42:43]
	v_fma_f64 v[14:15], v[30:31], v[14:15], -v[16:17]
	s_wait_loadcnt_dscnt 0x301
	v_mul_f64_e32 v[40:41], v[2:3], v[20:21]
	v_mul_f64_e32 v[20:21], v[4:5], v[20:21]
	s_wait_loadcnt_dscnt 0x200
	v_mul_f64_e32 v[16:17], v[6:7], v[24:25]
	v_mul_f64_e32 v[24:25], v[8:9], v[24:25]
	v_add_f64_e32 v[10:11], v[12:13], v[10:11]
	v_add_f64_e32 v[12:13], v[38:39], v[44:45]
	v_fma_f64 v[30:31], v[4:5], v[18:19], v[40:41]
	v_fma_f64 v[18:19], v[2:3], v[18:19], -v[20:21]
	ds_load_b128 v[2:5], v1 offset:1360
	v_fma_f64 v[8:9], v[8:9], v[22:23], v[16:17]
	v_fma_f64 v[6:7], v[6:7], v[22:23], -v[24:25]
	v_add_f64_e32 v[10:11], v[10:11], v[14:15]
	v_add_f64_e32 v[12:13], v[12:13], v[32:33]
	s_wait_loadcnt_dscnt 0x100
	v_mul_f64_e32 v[14:15], v[2:3], v[28:29]
	v_mul_f64_e32 v[20:21], v[4:5], v[28:29]
	s_delay_alu instid0(VALU_DEP_4) | instskip(NEXT) | instid1(VALU_DEP_4)
	v_add_f64_e32 v[10:11], v[10:11], v[18:19]
	v_add_f64_e32 v[12:13], v[12:13], v[30:31]
	s_delay_alu instid0(VALU_DEP_4) | instskip(NEXT) | instid1(VALU_DEP_4)
	v_fma_f64 v[4:5], v[4:5], v[26:27], v[14:15]
	v_fma_f64 v[2:3], v[2:3], v[26:27], -v[20:21]
	s_delay_alu instid0(VALU_DEP_4) | instskip(NEXT) | instid1(VALU_DEP_4)
	v_add_f64_e32 v[6:7], v[10:11], v[6:7]
	v_add_f64_e32 v[8:9], v[12:13], v[8:9]
	s_delay_alu instid0(VALU_DEP_2) | instskip(NEXT) | instid1(VALU_DEP_2)
	v_add_f64_e32 v[2:3], v[6:7], v[2:3]
	v_add_f64_e32 v[4:5], v[8:9], v[4:5]
	s_wait_loadcnt 0x0
	s_delay_alu instid0(VALU_DEP_2) | instskip(NEXT) | instid1(VALU_DEP_2)
	v_add_f64_e64 v[2:3], v[34:35], -v[2:3]
	v_add_f64_e64 v[4:5], v[36:37], -v[4:5]
	scratch_store_b128 off, v[2:5], off offset:576
	v_cmpx_lt_u32_e32 34, v0
	s_cbranch_execz .LBB42_203
; %bb.202:
	scratch_load_b128 v[5:8], off, s12
	v_dual_mov_b32 v2, v1 :: v_dual_mov_b32 v3, v1
	v_mov_b32_e32 v4, v1
	scratch_store_b128 off, v[1:4], off offset:560
	s_wait_loadcnt 0x0
	ds_store_b128 v132, v[5:8]
.LBB42_203:
	s_wait_alu 0xfffe
	s_or_b32 exec_lo, exec_lo, s0
	s_wait_storecnt_dscnt 0x0
	s_barrier_signal -1
	s_barrier_wait -1
	global_inv scope:SCOPE_SE
	s_clause 0x7
	scratch_load_b128 v[2:5], off, off offset:576
	scratch_load_b128 v[6:9], off, off offset:592
	;; [unrolled: 1-line block ×8, first 2 shown]
	ds_load_b128 v[34:37], v1 offset:1248
	ds_load_b128 v[38:41], v1 offset:1264
	scratch_load_b128 v[42:45], off, off offset:560
	s_mov_b32 s0, exec_lo
	s_wait_loadcnt_dscnt 0x801
	v_mul_f64_e32 v[133:134], v[36:37], v[4:5]
	v_mul_f64_e32 v[4:5], v[34:35], v[4:5]
	s_wait_loadcnt_dscnt 0x700
	v_mul_f64_e32 v[135:136], v[38:39], v[8:9]
	v_mul_f64_e32 v[8:9], v[40:41], v[8:9]
	s_delay_alu instid0(VALU_DEP_4) | instskip(NEXT) | instid1(VALU_DEP_4)
	v_fma_f64 v[133:134], v[34:35], v[2:3], -v[133:134]
	v_fma_f64 v[137:138], v[36:37], v[2:3], v[4:5]
	ds_load_b128 v[2:5], v1 offset:1280
	ds_load_b128 v[34:37], v1 offset:1296
	v_fma_f64 v[40:41], v[40:41], v[6:7], v[135:136]
	v_fma_f64 v[6:7], v[38:39], v[6:7], -v[8:9]
	s_wait_loadcnt_dscnt 0x601
	v_mul_f64_e32 v[139:140], v[2:3], v[12:13]
	v_mul_f64_e32 v[12:13], v[4:5], v[12:13]
	v_add_f64_e32 v[8:9], 0, v[133:134]
	v_add_f64_e32 v[38:39], 0, v[137:138]
	s_wait_loadcnt_dscnt 0x500
	v_mul_f64_e32 v[133:134], v[34:35], v[16:17]
	v_mul_f64_e32 v[16:17], v[36:37], v[16:17]
	v_fma_f64 v[135:136], v[4:5], v[10:11], v[139:140]
	v_fma_f64 v[10:11], v[2:3], v[10:11], -v[12:13]
	v_add_f64_e32 v[12:13], v[8:9], v[6:7]
	v_add_f64_e32 v[38:39], v[38:39], v[40:41]
	ds_load_b128 v[2:5], v1 offset:1312
	ds_load_b128 v[6:9], v1 offset:1328
	v_fma_f64 v[36:37], v[36:37], v[14:15], v[133:134]
	v_fma_f64 v[14:15], v[34:35], v[14:15], -v[16:17]
	s_wait_loadcnt_dscnt 0x401
	v_mul_f64_e32 v[40:41], v[2:3], v[20:21]
	v_mul_f64_e32 v[20:21], v[4:5], v[20:21]
	s_wait_loadcnt_dscnt 0x300
	v_mul_f64_e32 v[16:17], v[6:7], v[24:25]
	v_mul_f64_e32 v[24:25], v[8:9], v[24:25]
	v_add_f64_e32 v[10:11], v[12:13], v[10:11]
	v_add_f64_e32 v[12:13], v[38:39], v[135:136]
	v_fma_f64 v[34:35], v[4:5], v[18:19], v[40:41]
	v_fma_f64 v[18:19], v[2:3], v[18:19], -v[20:21]
	v_fma_f64 v[8:9], v[8:9], v[22:23], v[16:17]
	v_fma_f64 v[6:7], v[6:7], v[22:23], -v[24:25]
	v_add_f64_e32 v[14:15], v[10:11], v[14:15]
	v_add_f64_e32 v[20:21], v[12:13], v[36:37]
	ds_load_b128 v[2:5], v1 offset:1344
	ds_load_b128 v[10:13], v1 offset:1360
	s_wait_loadcnt_dscnt 0x201
	v_mul_f64_e32 v[36:37], v[2:3], v[28:29]
	v_mul_f64_e32 v[28:29], v[4:5], v[28:29]
	v_add_f64_e32 v[14:15], v[14:15], v[18:19]
	v_add_f64_e32 v[16:17], v[20:21], v[34:35]
	s_wait_loadcnt_dscnt 0x100
	v_mul_f64_e32 v[18:19], v[10:11], v[32:33]
	v_mul_f64_e32 v[20:21], v[12:13], v[32:33]
	v_fma_f64 v[4:5], v[4:5], v[26:27], v[36:37]
	v_fma_f64 v[1:2], v[2:3], v[26:27], -v[28:29]
	v_add_f64_e32 v[6:7], v[14:15], v[6:7]
	v_add_f64_e32 v[8:9], v[16:17], v[8:9]
	v_fma_f64 v[12:13], v[12:13], v[30:31], v[18:19]
	v_fma_f64 v[10:11], v[10:11], v[30:31], -v[20:21]
	s_delay_alu instid0(VALU_DEP_4) | instskip(NEXT) | instid1(VALU_DEP_4)
	v_add_f64_e32 v[1:2], v[6:7], v[1:2]
	v_add_f64_e32 v[3:4], v[8:9], v[4:5]
	s_delay_alu instid0(VALU_DEP_2) | instskip(NEXT) | instid1(VALU_DEP_2)
	v_add_f64_e32 v[1:2], v[1:2], v[10:11]
	v_add_f64_e32 v[3:4], v[3:4], v[12:13]
	s_wait_loadcnt 0x0
	s_delay_alu instid0(VALU_DEP_2) | instskip(NEXT) | instid1(VALU_DEP_2)
	v_add_f64_e64 v[1:2], v[42:43], -v[1:2]
	v_add_f64_e64 v[3:4], v[44:45], -v[3:4]
	scratch_store_b128 off, v[1:4], off offset:560
	v_cmpx_lt_u32_e32 33, v0
	s_cbranch_execz .LBB42_205
; %bb.204:
	scratch_load_b128 v[1:4], off, s13
	v_mov_b32_e32 v5, 0
	s_delay_alu instid0(VALU_DEP_1)
	v_dual_mov_b32 v6, v5 :: v_dual_mov_b32 v7, v5
	v_mov_b32_e32 v8, v5
	scratch_store_b128 off, v[5:8], off offset:544
	s_wait_loadcnt 0x0
	ds_store_b128 v132, v[1:4]
.LBB42_205:
	s_wait_alu 0xfffe
	s_or_b32 exec_lo, exec_lo, s0
	s_wait_storecnt_dscnt 0x0
	s_barrier_signal -1
	s_barrier_wait -1
	global_inv scope:SCOPE_SE
	s_clause 0x7
	scratch_load_b128 v[2:5], off, off offset:560
	scratch_load_b128 v[6:9], off, off offset:576
	;; [unrolled: 1-line block ×8, first 2 shown]
	v_mov_b32_e32 v1, 0
	scratch_load_b128 v[38:41], off, off offset:688
	s_mov_b32 s0, exec_lo
	ds_load_b128 v[34:37], v1 offset:1232
	ds_load_b128 v[42:45], v1 offset:1248
	s_wait_loadcnt_dscnt 0x801
	v_mul_f64_e32 v[133:134], v[36:37], v[4:5]
	v_mul_f64_e32 v[4:5], v[34:35], v[4:5]
	s_wait_loadcnt_dscnt 0x700
	v_mul_f64_e32 v[135:136], v[42:43], v[8:9]
	v_mul_f64_e32 v[8:9], v[44:45], v[8:9]
	s_delay_alu instid0(VALU_DEP_4) | instskip(NEXT) | instid1(VALU_DEP_4)
	v_fma_f64 v[34:35], v[34:35], v[2:3], -v[133:134]
	v_fma_f64 v[36:37], v[36:37], v[2:3], v[4:5]
	ds_load_b128 v[2:5], v1 offset:1264
	v_fma_f64 v[44:45], v[44:45], v[6:7], v[135:136]
	v_fma_f64 v[42:43], v[42:43], v[6:7], -v[8:9]
	ds_load_b128 v[6:9], v1 offset:1280
	s_wait_loadcnt_dscnt 0x601
	v_mul_f64_e32 v[133:134], v[2:3], v[12:13]
	v_mul_f64_e32 v[12:13], v[4:5], v[12:13]
	s_wait_loadcnt_dscnt 0x500
	v_mul_f64_e32 v[139:140], v[6:7], v[16:17]
	v_mul_f64_e32 v[16:17], v[8:9], v[16:17]
	v_add_f64_e32 v[135:136], 0, v[34:35]
	v_add_f64_e32 v[137:138], 0, v[36:37]
	scratch_load_b128 v[34:37], off, off offset:544
	v_fma_f64 v[133:134], v[4:5], v[10:11], v[133:134]
	v_fma_f64 v[10:11], v[2:3], v[10:11], -v[12:13]
	ds_load_b128 v[2:5], v1 offset:1296
	v_add_f64_e32 v[12:13], v[135:136], v[42:43]
	v_add_f64_e32 v[42:43], v[137:138], v[44:45]
	v_fma_f64 v[135:136], v[8:9], v[14:15], v[139:140]
	v_fma_f64 v[14:15], v[6:7], v[14:15], -v[16:17]
	ds_load_b128 v[6:9], v1 offset:1312
	s_wait_loadcnt_dscnt 0x501
	v_mul_f64_e32 v[44:45], v[2:3], v[20:21]
	v_mul_f64_e32 v[20:21], v[4:5], v[20:21]
	s_wait_loadcnt_dscnt 0x400
	v_mul_f64_e32 v[16:17], v[6:7], v[24:25]
	v_mul_f64_e32 v[24:25], v[8:9], v[24:25]
	v_add_f64_e32 v[10:11], v[12:13], v[10:11]
	v_add_f64_e32 v[12:13], v[42:43], v[133:134]
	v_fma_f64 v[42:43], v[4:5], v[18:19], v[44:45]
	v_fma_f64 v[18:19], v[2:3], v[18:19], -v[20:21]
	ds_load_b128 v[2:5], v1 offset:1328
	v_fma_f64 v[16:17], v[8:9], v[22:23], v[16:17]
	v_fma_f64 v[22:23], v[6:7], v[22:23], -v[24:25]
	ds_load_b128 v[6:9], v1 offset:1344
	s_wait_loadcnt_dscnt 0x301
	v_mul_f64_e32 v[20:21], v[4:5], v[28:29]
	v_add_f64_e32 v[10:11], v[10:11], v[14:15]
	v_add_f64_e32 v[12:13], v[12:13], v[135:136]
	v_mul_f64_e32 v[14:15], v[2:3], v[28:29]
	s_wait_loadcnt_dscnt 0x200
	v_mul_f64_e32 v[24:25], v[8:9], v[32:33]
	v_fma_f64 v[20:21], v[2:3], v[26:27], -v[20:21]
	v_add_f64_e32 v[10:11], v[10:11], v[18:19]
	v_add_f64_e32 v[12:13], v[12:13], v[42:43]
	v_mul_f64_e32 v[18:19], v[6:7], v[32:33]
	v_fma_f64 v[14:15], v[4:5], v[26:27], v[14:15]
	ds_load_b128 v[2:5], v1 offset:1360
	v_fma_f64 v[6:7], v[6:7], v[30:31], -v[24:25]
	v_add_f64_e32 v[10:11], v[10:11], v[22:23]
	v_add_f64_e32 v[12:13], v[12:13], v[16:17]
	s_wait_loadcnt_dscnt 0x100
	v_mul_f64_e32 v[16:17], v[2:3], v[40:41]
	v_mul_f64_e32 v[22:23], v[4:5], v[40:41]
	v_fma_f64 v[8:9], v[8:9], v[30:31], v[18:19]
	v_add_f64_e32 v[10:11], v[10:11], v[20:21]
	v_add_f64_e32 v[12:13], v[12:13], v[14:15]
	v_fma_f64 v[4:5], v[4:5], v[38:39], v[16:17]
	v_fma_f64 v[2:3], v[2:3], v[38:39], -v[22:23]
	s_delay_alu instid0(VALU_DEP_4) | instskip(NEXT) | instid1(VALU_DEP_4)
	v_add_f64_e32 v[6:7], v[10:11], v[6:7]
	v_add_f64_e32 v[8:9], v[12:13], v[8:9]
	s_delay_alu instid0(VALU_DEP_2) | instskip(NEXT) | instid1(VALU_DEP_2)
	v_add_f64_e32 v[2:3], v[6:7], v[2:3]
	v_add_f64_e32 v[4:5], v[8:9], v[4:5]
	s_wait_loadcnt 0x0
	s_delay_alu instid0(VALU_DEP_2) | instskip(NEXT) | instid1(VALU_DEP_2)
	v_add_f64_e64 v[2:3], v[34:35], -v[2:3]
	v_add_f64_e64 v[4:5], v[36:37], -v[4:5]
	scratch_store_b128 off, v[2:5], off offset:544
	v_cmpx_lt_u32_e32 32, v0
	s_cbranch_execz .LBB42_207
; %bb.206:
	scratch_load_b128 v[5:8], off, s15
	v_dual_mov_b32 v2, v1 :: v_dual_mov_b32 v3, v1
	v_mov_b32_e32 v4, v1
	scratch_store_b128 off, v[1:4], off offset:528
	s_wait_loadcnt 0x0
	ds_store_b128 v132, v[5:8]
.LBB42_207:
	s_wait_alu 0xfffe
	s_or_b32 exec_lo, exec_lo, s0
	s_wait_storecnt_dscnt 0x0
	s_barrier_signal -1
	s_barrier_wait -1
	global_inv scope:SCOPE_SE
	s_clause 0x7
	scratch_load_b128 v[2:5], off, off offset:544
	scratch_load_b128 v[6:9], off, off offset:560
	;; [unrolled: 1-line block ×8, first 2 shown]
	ds_load_b128 v[34:37], v1 offset:1216
	ds_load_b128 v[42:45], v1 offset:1232
	s_clause 0x1
	scratch_load_b128 v[38:41], off, off offset:672
	scratch_load_b128 v[133:136], off, off offset:688
	s_mov_b32 s0, exec_lo
	s_wait_loadcnt_dscnt 0x901
	v_mul_f64_e32 v[137:138], v[36:37], v[4:5]
	v_mul_f64_e32 v[4:5], v[34:35], v[4:5]
	s_wait_loadcnt_dscnt 0x800
	v_mul_f64_e32 v[139:140], v[42:43], v[8:9]
	v_mul_f64_e32 v[8:9], v[44:45], v[8:9]
	s_delay_alu instid0(VALU_DEP_4) | instskip(NEXT) | instid1(VALU_DEP_4)
	v_fma_f64 v[34:35], v[34:35], v[2:3], -v[137:138]
	v_fma_f64 v[36:37], v[36:37], v[2:3], v[4:5]
	ds_load_b128 v[2:5], v1 offset:1248
	v_fma_f64 v[44:45], v[44:45], v[6:7], v[139:140]
	v_fma_f64 v[42:43], v[42:43], v[6:7], -v[8:9]
	ds_load_b128 v[6:9], v1 offset:1264
	s_wait_loadcnt_dscnt 0x701
	v_mul_f64_e32 v[137:138], v[2:3], v[12:13]
	v_mul_f64_e32 v[12:13], v[4:5], v[12:13]
	s_wait_loadcnt_dscnt 0x600
	v_mul_f64_e32 v[139:140], v[6:7], v[16:17]
	v_mul_f64_e32 v[16:17], v[8:9], v[16:17]
	v_add_f64_e32 v[34:35], 0, v[34:35]
	v_add_f64_e32 v[36:37], 0, v[36:37]
	v_fma_f64 v[137:138], v[4:5], v[10:11], v[137:138]
	v_fma_f64 v[141:142], v[2:3], v[10:11], -v[12:13]
	ds_load_b128 v[2:5], v1 offset:1280
	scratch_load_b128 v[10:13], off, off offset:528
	v_add_f64_e32 v[34:35], v[34:35], v[42:43]
	v_add_f64_e32 v[36:37], v[36:37], v[44:45]
	v_fma_f64 v[44:45], v[8:9], v[14:15], v[139:140]
	v_fma_f64 v[14:15], v[6:7], v[14:15], -v[16:17]
	ds_load_b128 v[6:9], v1 offset:1296
	s_wait_loadcnt_dscnt 0x601
	v_mul_f64_e32 v[42:43], v[2:3], v[20:21]
	v_mul_f64_e32 v[20:21], v[4:5], v[20:21]
	v_add_f64_e32 v[16:17], v[34:35], v[141:142]
	v_add_f64_e32 v[34:35], v[36:37], v[137:138]
	s_wait_loadcnt_dscnt 0x500
	v_mul_f64_e32 v[36:37], v[6:7], v[24:25]
	v_mul_f64_e32 v[24:25], v[8:9], v[24:25]
	v_fma_f64 v[42:43], v[4:5], v[18:19], v[42:43]
	v_fma_f64 v[18:19], v[2:3], v[18:19], -v[20:21]
	ds_load_b128 v[2:5], v1 offset:1312
	v_add_f64_e32 v[14:15], v[16:17], v[14:15]
	v_add_f64_e32 v[16:17], v[34:35], v[44:45]
	v_fma_f64 v[34:35], v[8:9], v[22:23], v[36:37]
	v_fma_f64 v[22:23], v[6:7], v[22:23], -v[24:25]
	ds_load_b128 v[6:9], v1 offset:1328
	s_wait_loadcnt_dscnt 0x401
	v_mul_f64_e32 v[20:21], v[2:3], v[28:29]
	v_mul_f64_e32 v[28:29], v[4:5], v[28:29]
	s_wait_loadcnt_dscnt 0x300
	v_mul_f64_e32 v[24:25], v[8:9], v[32:33]
	v_add_f64_e32 v[14:15], v[14:15], v[18:19]
	v_add_f64_e32 v[16:17], v[16:17], v[42:43]
	v_mul_f64_e32 v[18:19], v[6:7], v[32:33]
	v_fma_f64 v[20:21], v[4:5], v[26:27], v[20:21]
	v_fma_f64 v[26:27], v[2:3], v[26:27], -v[28:29]
	ds_load_b128 v[2:5], v1 offset:1344
	v_fma_f64 v[24:25], v[6:7], v[30:31], -v[24:25]
	v_add_f64_e32 v[14:15], v[14:15], v[22:23]
	v_add_f64_e32 v[16:17], v[16:17], v[34:35]
	v_fma_f64 v[18:19], v[8:9], v[30:31], v[18:19]
	ds_load_b128 v[6:9], v1 offset:1360
	s_wait_loadcnt_dscnt 0x201
	v_mul_f64_e32 v[22:23], v[2:3], v[40:41]
	v_mul_f64_e32 v[28:29], v[4:5], v[40:41]
	v_add_f64_e32 v[14:15], v[14:15], v[26:27]
	v_add_f64_e32 v[16:17], v[16:17], v[20:21]
	s_wait_loadcnt_dscnt 0x100
	v_mul_f64_e32 v[20:21], v[6:7], v[135:136]
	v_mul_f64_e32 v[26:27], v[8:9], v[135:136]
	v_fma_f64 v[4:5], v[4:5], v[38:39], v[22:23]
	v_fma_f64 v[1:2], v[2:3], v[38:39], -v[28:29]
	v_add_f64_e32 v[14:15], v[14:15], v[24:25]
	v_add_f64_e32 v[16:17], v[16:17], v[18:19]
	v_fma_f64 v[8:9], v[8:9], v[133:134], v[20:21]
	v_fma_f64 v[6:7], v[6:7], v[133:134], -v[26:27]
	s_delay_alu instid0(VALU_DEP_4) | instskip(NEXT) | instid1(VALU_DEP_4)
	v_add_f64_e32 v[1:2], v[14:15], v[1:2]
	v_add_f64_e32 v[3:4], v[16:17], v[4:5]
	s_delay_alu instid0(VALU_DEP_2) | instskip(NEXT) | instid1(VALU_DEP_2)
	v_add_f64_e32 v[1:2], v[1:2], v[6:7]
	v_add_f64_e32 v[3:4], v[3:4], v[8:9]
	s_wait_loadcnt 0x0
	s_delay_alu instid0(VALU_DEP_2) | instskip(NEXT) | instid1(VALU_DEP_2)
	v_add_f64_e64 v[1:2], v[10:11], -v[1:2]
	v_add_f64_e64 v[3:4], v[12:13], -v[3:4]
	scratch_store_b128 off, v[1:4], off offset:528
	v_cmpx_lt_u32_e32 31, v0
	s_cbranch_execz .LBB42_209
; %bb.208:
	scratch_load_b128 v[1:4], off, s20
	v_mov_b32_e32 v5, 0
	s_delay_alu instid0(VALU_DEP_1)
	v_dual_mov_b32 v6, v5 :: v_dual_mov_b32 v7, v5
	v_mov_b32_e32 v8, v5
	scratch_store_b128 off, v[5:8], off offset:512
	s_wait_loadcnt 0x0
	ds_store_b128 v132, v[1:4]
.LBB42_209:
	s_wait_alu 0xfffe
	s_or_b32 exec_lo, exec_lo, s0
	s_wait_storecnt_dscnt 0x0
	s_barrier_signal -1
	s_barrier_wait -1
	global_inv scope:SCOPE_SE
	s_clause 0x7
	scratch_load_b128 v[2:5], off, off offset:528
	scratch_load_b128 v[6:9], off, off offset:544
	;; [unrolled: 1-line block ×8, first 2 shown]
	v_mov_b32_e32 v1, 0
	s_clause 0x1
	scratch_load_b128 v[38:41], off, off offset:656
	scratch_load_b128 v[133:136], off, off offset:672
	s_mov_b32 s0, exec_lo
	ds_load_b128 v[34:37], v1 offset:1200
	ds_load_b128 v[42:45], v1 offset:1216
	s_wait_loadcnt_dscnt 0x901
	v_mul_f64_e32 v[137:138], v[36:37], v[4:5]
	v_mul_f64_e32 v[4:5], v[34:35], v[4:5]
	s_wait_loadcnt_dscnt 0x800
	v_mul_f64_e32 v[139:140], v[42:43], v[8:9]
	v_mul_f64_e32 v[8:9], v[44:45], v[8:9]
	s_delay_alu instid0(VALU_DEP_4) | instskip(NEXT) | instid1(VALU_DEP_4)
	v_fma_f64 v[137:138], v[34:35], v[2:3], -v[137:138]
	v_fma_f64 v[141:142], v[36:37], v[2:3], v[4:5]
	ds_load_b128 v[2:5], v1 offset:1232
	scratch_load_b128 v[34:37], off, off offset:688
	v_fma_f64 v[44:45], v[44:45], v[6:7], v[139:140]
	v_fma_f64 v[42:43], v[42:43], v[6:7], -v[8:9]
	ds_load_b128 v[6:9], v1 offset:1248
	s_wait_loadcnt_dscnt 0x801
	v_mul_f64_e32 v[143:144], v[2:3], v[12:13]
	v_mul_f64_e32 v[12:13], v[4:5], v[12:13]
	v_add_f64_e32 v[137:138], 0, v[137:138]
	v_add_f64_e32 v[139:140], 0, v[141:142]
	s_wait_loadcnt_dscnt 0x700
	v_mul_f64_e32 v[141:142], v[6:7], v[16:17]
	v_mul_f64_e32 v[16:17], v[8:9], v[16:17]
	v_fma_f64 v[143:144], v[4:5], v[10:11], v[143:144]
	v_fma_f64 v[10:11], v[2:3], v[10:11], -v[12:13]
	ds_load_b128 v[2:5], v1 offset:1264
	v_add_f64_e32 v[12:13], v[137:138], v[42:43]
	v_add_f64_e32 v[42:43], v[139:140], v[44:45]
	v_fma_f64 v[137:138], v[8:9], v[14:15], v[141:142]
	v_fma_f64 v[14:15], v[6:7], v[14:15], -v[16:17]
	ds_load_b128 v[6:9], v1 offset:1280
	s_wait_loadcnt_dscnt 0x601
	v_mul_f64_e32 v[44:45], v[2:3], v[20:21]
	v_mul_f64_e32 v[20:21], v[4:5], v[20:21]
	s_wait_loadcnt_dscnt 0x500
	v_mul_f64_e32 v[139:140], v[6:7], v[24:25]
	v_mul_f64_e32 v[24:25], v[8:9], v[24:25]
	v_add_f64_e32 v[16:17], v[12:13], v[10:11]
	v_add_f64_e32 v[42:43], v[42:43], v[143:144]
	scratch_load_b128 v[10:13], off, off offset:512
	v_fma_f64 v[44:45], v[4:5], v[18:19], v[44:45]
	v_fma_f64 v[18:19], v[2:3], v[18:19], -v[20:21]
	ds_load_b128 v[2:5], v1 offset:1296
	v_add_f64_e32 v[14:15], v[16:17], v[14:15]
	v_add_f64_e32 v[16:17], v[42:43], v[137:138]
	v_fma_f64 v[42:43], v[8:9], v[22:23], v[139:140]
	v_fma_f64 v[22:23], v[6:7], v[22:23], -v[24:25]
	ds_load_b128 v[6:9], v1 offset:1312
	s_wait_loadcnt_dscnt 0x501
	v_mul_f64_e32 v[20:21], v[2:3], v[28:29]
	v_mul_f64_e32 v[28:29], v[4:5], v[28:29]
	s_wait_loadcnt_dscnt 0x400
	v_mul_f64_e32 v[24:25], v[8:9], v[32:33]
	v_add_f64_e32 v[14:15], v[14:15], v[18:19]
	v_add_f64_e32 v[16:17], v[16:17], v[44:45]
	v_mul_f64_e32 v[18:19], v[6:7], v[32:33]
	v_fma_f64 v[20:21], v[4:5], v[26:27], v[20:21]
	v_fma_f64 v[26:27], v[2:3], v[26:27], -v[28:29]
	ds_load_b128 v[2:5], v1 offset:1328
	v_fma_f64 v[24:25], v[6:7], v[30:31], -v[24:25]
	v_add_f64_e32 v[14:15], v[14:15], v[22:23]
	v_add_f64_e32 v[16:17], v[16:17], v[42:43]
	v_fma_f64 v[18:19], v[8:9], v[30:31], v[18:19]
	ds_load_b128 v[6:9], v1 offset:1344
	s_wait_loadcnt_dscnt 0x301
	v_mul_f64_e32 v[22:23], v[2:3], v[40:41]
	v_mul_f64_e32 v[28:29], v[4:5], v[40:41]
	v_add_f64_e32 v[14:15], v[14:15], v[26:27]
	v_add_f64_e32 v[16:17], v[16:17], v[20:21]
	s_wait_loadcnt_dscnt 0x200
	v_mul_f64_e32 v[20:21], v[6:7], v[135:136]
	v_mul_f64_e32 v[26:27], v[8:9], v[135:136]
	v_fma_f64 v[22:23], v[4:5], v[38:39], v[22:23]
	v_fma_f64 v[28:29], v[2:3], v[38:39], -v[28:29]
	ds_load_b128 v[2:5], v1 offset:1360
	v_add_f64_e32 v[14:15], v[14:15], v[24:25]
	v_add_f64_e32 v[16:17], v[16:17], v[18:19]
	v_fma_f64 v[8:9], v[8:9], v[133:134], v[20:21]
	v_fma_f64 v[6:7], v[6:7], v[133:134], -v[26:27]
	s_wait_loadcnt_dscnt 0x100
	v_mul_f64_e32 v[18:19], v[2:3], v[36:37]
	v_mul_f64_e32 v[24:25], v[4:5], v[36:37]
	v_add_f64_e32 v[14:15], v[14:15], v[28:29]
	v_add_f64_e32 v[16:17], v[16:17], v[22:23]
	s_delay_alu instid0(VALU_DEP_4) | instskip(NEXT) | instid1(VALU_DEP_4)
	v_fma_f64 v[4:5], v[4:5], v[34:35], v[18:19]
	v_fma_f64 v[2:3], v[2:3], v[34:35], -v[24:25]
	s_delay_alu instid0(VALU_DEP_4) | instskip(NEXT) | instid1(VALU_DEP_4)
	v_add_f64_e32 v[6:7], v[14:15], v[6:7]
	v_add_f64_e32 v[8:9], v[16:17], v[8:9]
	s_delay_alu instid0(VALU_DEP_2) | instskip(NEXT) | instid1(VALU_DEP_2)
	v_add_f64_e32 v[2:3], v[6:7], v[2:3]
	v_add_f64_e32 v[4:5], v[8:9], v[4:5]
	s_wait_loadcnt 0x0
	s_delay_alu instid0(VALU_DEP_2) | instskip(NEXT) | instid1(VALU_DEP_2)
	v_add_f64_e64 v[2:3], v[10:11], -v[2:3]
	v_add_f64_e64 v[4:5], v[12:13], -v[4:5]
	scratch_store_b128 off, v[2:5], off offset:512
	v_cmpx_lt_u32_e32 30, v0
	s_cbranch_execz .LBB42_211
; %bb.210:
	scratch_load_b128 v[5:8], off, s24
	v_dual_mov_b32 v2, v1 :: v_dual_mov_b32 v3, v1
	v_mov_b32_e32 v4, v1
	scratch_store_b128 off, v[1:4], off offset:496
	s_wait_loadcnt 0x0
	ds_store_b128 v132, v[5:8]
.LBB42_211:
	s_wait_alu 0xfffe
	s_or_b32 exec_lo, exec_lo, s0
	s_wait_storecnt_dscnt 0x0
	s_barrier_signal -1
	s_barrier_wait -1
	global_inv scope:SCOPE_SE
	s_clause 0x8
	scratch_load_b128 v[2:5], off, off offset:512
	scratch_load_b128 v[6:9], off, off offset:528
	;; [unrolled: 1-line block ×9, first 2 shown]
	ds_load_b128 v[38:41], v1 offset:1184
	ds_load_b128 v[42:45], v1 offset:1200
	s_clause 0x1
	scratch_load_b128 v[133:136], off, off offset:496
	scratch_load_b128 v[137:140], off, off offset:656
	s_mov_b32 s0, exec_lo
	s_wait_loadcnt_dscnt 0xa01
	v_mul_f64_e32 v[141:142], v[40:41], v[4:5]
	v_mul_f64_e32 v[4:5], v[38:39], v[4:5]
	s_wait_loadcnt_dscnt 0x900
	v_mul_f64_e32 v[145:146], v[42:43], v[8:9]
	v_mul_f64_e32 v[8:9], v[44:45], v[8:9]
	s_delay_alu instid0(VALU_DEP_4) | instskip(NEXT) | instid1(VALU_DEP_4)
	v_fma_f64 v[147:148], v[38:39], v[2:3], -v[141:142]
	v_fma_f64 v[149:150], v[40:41], v[2:3], v[4:5]
	ds_load_b128 v[2:5], v1 offset:1216
	ds_load_b128 v[141:144], v1 offset:1232
	scratch_load_b128 v[38:41], off, off offset:672
	v_fma_f64 v[44:45], v[44:45], v[6:7], v[145:146]
	v_fma_f64 v[42:43], v[42:43], v[6:7], -v[8:9]
	scratch_load_b128 v[6:9], off, off offset:688
	s_wait_loadcnt_dscnt 0xa01
	v_mul_f64_e32 v[151:152], v[2:3], v[12:13]
	v_mul_f64_e32 v[12:13], v[4:5], v[12:13]
	v_add_f64_e32 v[145:146], 0, v[147:148]
	v_add_f64_e32 v[147:148], 0, v[149:150]
	s_wait_loadcnt_dscnt 0x900
	v_mul_f64_e32 v[149:150], v[141:142], v[16:17]
	v_mul_f64_e32 v[16:17], v[143:144], v[16:17]
	v_fma_f64 v[151:152], v[4:5], v[10:11], v[151:152]
	v_fma_f64 v[153:154], v[2:3], v[10:11], -v[12:13]
	ds_load_b128 v[2:5], v1 offset:1248
	ds_load_b128 v[10:13], v1 offset:1264
	v_add_f64_e32 v[42:43], v[145:146], v[42:43]
	v_add_f64_e32 v[44:45], v[147:148], v[44:45]
	v_fma_f64 v[143:144], v[143:144], v[14:15], v[149:150]
	v_fma_f64 v[14:15], v[141:142], v[14:15], -v[16:17]
	s_wait_loadcnt_dscnt 0x801
	v_mul_f64_e32 v[145:146], v[2:3], v[20:21]
	v_mul_f64_e32 v[20:21], v[4:5], v[20:21]
	v_add_f64_e32 v[16:17], v[42:43], v[153:154]
	v_add_f64_e32 v[42:43], v[44:45], v[151:152]
	s_wait_loadcnt_dscnt 0x700
	v_mul_f64_e32 v[44:45], v[10:11], v[24:25]
	v_mul_f64_e32 v[24:25], v[12:13], v[24:25]
	v_fma_f64 v[141:142], v[4:5], v[18:19], v[145:146]
	v_fma_f64 v[18:19], v[2:3], v[18:19], -v[20:21]
	v_add_f64_e32 v[20:21], v[16:17], v[14:15]
	v_add_f64_e32 v[42:43], v[42:43], v[143:144]
	ds_load_b128 v[2:5], v1 offset:1280
	ds_load_b128 v[14:17], v1 offset:1296
	v_fma_f64 v[12:13], v[12:13], v[22:23], v[44:45]
	v_fma_f64 v[10:11], v[10:11], v[22:23], -v[24:25]
	s_wait_loadcnt_dscnt 0x601
	v_mul_f64_e32 v[143:144], v[2:3], v[28:29]
	v_mul_f64_e32 v[28:29], v[4:5], v[28:29]
	s_wait_loadcnt_dscnt 0x500
	v_mul_f64_e32 v[22:23], v[14:15], v[32:33]
	v_mul_f64_e32 v[24:25], v[16:17], v[32:33]
	v_add_f64_e32 v[18:19], v[20:21], v[18:19]
	v_add_f64_e32 v[20:21], v[42:43], v[141:142]
	v_fma_f64 v[32:33], v[4:5], v[26:27], v[143:144]
	v_fma_f64 v[26:27], v[2:3], v[26:27], -v[28:29]
	v_fma_f64 v[16:17], v[16:17], v[30:31], v[22:23]
	v_fma_f64 v[14:15], v[14:15], v[30:31], -v[24:25]
	v_add_f64_e32 v[18:19], v[18:19], v[10:11]
	v_add_f64_e32 v[20:21], v[20:21], v[12:13]
	ds_load_b128 v[2:5], v1 offset:1312
	ds_load_b128 v[10:13], v1 offset:1328
	s_wait_loadcnt_dscnt 0x401
	v_mul_f64_e32 v[28:29], v[2:3], v[36:37]
	v_mul_f64_e32 v[36:37], v[4:5], v[36:37]
	s_wait_loadcnt_dscnt 0x200
	v_mul_f64_e32 v[22:23], v[10:11], v[139:140]
	v_mul_f64_e32 v[24:25], v[12:13], v[139:140]
	v_add_f64_e32 v[18:19], v[18:19], v[26:27]
	v_add_f64_e32 v[20:21], v[20:21], v[32:33]
	v_fma_f64 v[26:27], v[4:5], v[34:35], v[28:29]
	v_fma_f64 v[28:29], v[2:3], v[34:35], -v[36:37]
	v_fma_f64 v[12:13], v[12:13], v[137:138], v[22:23]
	v_fma_f64 v[10:11], v[10:11], v[137:138], -v[24:25]
	v_add_f64_e32 v[18:19], v[18:19], v[14:15]
	v_add_f64_e32 v[20:21], v[20:21], v[16:17]
	ds_load_b128 v[2:5], v1 offset:1344
	ds_load_b128 v[14:17], v1 offset:1360
	s_wait_loadcnt_dscnt 0x101
	v_mul_f64_e32 v[30:31], v[2:3], v[40:41]
	v_mul_f64_e32 v[32:33], v[4:5], v[40:41]
	s_wait_loadcnt_dscnt 0x0
	v_mul_f64_e32 v[22:23], v[14:15], v[8:9]
	v_mul_f64_e32 v[8:9], v[16:17], v[8:9]
	v_add_f64_e32 v[18:19], v[18:19], v[28:29]
	v_add_f64_e32 v[20:21], v[20:21], v[26:27]
	v_fma_f64 v[4:5], v[4:5], v[38:39], v[30:31]
	v_fma_f64 v[1:2], v[2:3], v[38:39], -v[32:33]
	v_fma_f64 v[16:17], v[16:17], v[6:7], v[22:23]
	v_fma_f64 v[6:7], v[14:15], v[6:7], -v[8:9]
	v_add_f64_e32 v[10:11], v[18:19], v[10:11]
	v_add_f64_e32 v[12:13], v[20:21], v[12:13]
	s_delay_alu instid0(VALU_DEP_2) | instskip(NEXT) | instid1(VALU_DEP_2)
	v_add_f64_e32 v[1:2], v[10:11], v[1:2]
	v_add_f64_e32 v[3:4], v[12:13], v[4:5]
	s_delay_alu instid0(VALU_DEP_2) | instskip(NEXT) | instid1(VALU_DEP_2)
	;; [unrolled: 3-line block ×3, first 2 shown]
	v_add_f64_e64 v[1:2], v[133:134], -v[1:2]
	v_add_f64_e64 v[3:4], v[135:136], -v[3:4]
	scratch_store_b128 off, v[1:4], off offset:496
	v_cmpx_lt_u32_e32 29, v0
	s_cbranch_execz .LBB42_213
; %bb.212:
	scratch_load_b128 v[1:4], off, s26
	v_mov_b32_e32 v5, 0
	s_delay_alu instid0(VALU_DEP_1)
	v_dual_mov_b32 v6, v5 :: v_dual_mov_b32 v7, v5
	v_mov_b32_e32 v8, v5
	scratch_store_b128 off, v[5:8], off offset:480
	s_wait_loadcnt 0x0
	ds_store_b128 v132, v[1:4]
.LBB42_213:
	s_wait_alu 0xfffe
	s_or_b32 exec_lo, exec_lo, s0
	s_wait_storecnt_dscnt 0x0
	s_barrier_signal -1
	s_barrier_wait -1
	global_inv scope:SCOPE_SE
	s_clause 0x7
	scratch_load_b128 v[2:5], off, off offset:496
	scratch_load_b128 v[6:9], off, off offset:512
	;; [unrolled: 1-line block ×8, first 2 shown]
	v_mov_b32_e32 v1, 0
	s_mov_b32 s0, exec_lo
	ds_load_b128 v[34:37], v1 offset:1168
	s_clause 0x1
	scratch_load_b128 v[38:41], off, off offset:624
	scratch_load_b128 v[42:45], off, off offset:480
	ds_load_b128 v[133:136], v1 offset:1184
	scratch_load_b128 v[137:140], off, off offset:640
	s_wait_loadcnt_dscnt 0xa01
	v_mul_f64_e32 v[141:142], v[36:37], v[4:5]
	v_mul_f64_e32 v[4:5], v[34:35], v[4:5]
	s_delay_alu instid0(VALU_DEP_2) | instskip(NEXT) | instid1(VALU_DEP_2)
	v_fma_f64 v[147:148], v[34:35], v[2:3], -v[141:142]
	v_fma_f64 v[149:150], v[36:37], v[2:3], v[4:5]
	ds_load_b128 v[2:5], v1 offset:1200
	s_wait_loadcnt_dscnt 0x901
	v_mul_f64_e32 v[145:146], v[133:134], v[8:9]
	v_mul_f64_e32 v[8:9], v[135:136], v[8:9]
	scratch_load_b128 v[34:37], off, off offset:656
	ds_load_b128 v[141:144], v1 offset:1216
	s_wait_loadcnt_dscnt 0x901
	v_mul_f64_e32 v[151:152], v[2:3], v[12:13]
	v_mul_f64_e32 v[12:13], v[4:5], v[12:13]
	v_fma_f64 v[135:136], v[135:136], v[6:7], v[145:146]
	v_fma_f64 v[133:134], v[133:134], v[6:7], -v[8:9]
	v_add_f64_e32 v[145:146], 0, v[147:148]
	v_add_f64_e32 v[147:148], 0, v[149:150]
	scratch_load_b128 v[6:9], off, off offset:672
	v_fma_f64 v[151:152], v[4:5], v[10:11], v[151:152]
	v_fma_f64 v[153:154], v[2:3], v[10:11], -v[12:13]
	ds_load_b128 v[2:5], v1 offset:1232
	s_wait_loadcnt_dscnt 0x901
	v_mul_f64_e32 v[149:150], v[141:142], v[16:17]
	v_mul_f64_e32 v[16:17], v[143:144], v[16:17]
	scratch_load_b128 v[10:13], off, off offset:688
	v_add_f64_e32 v[145:146], v[145:146], v[133:134]
	v_add_f64_e32 v[147:148], v[147:148], v[135:136]
	s_wait_loadcnt_dscnt 0x900
	v_mul_f64_e32 v[155:156], v[2:3], v[20:21]
	v_mul_f64_e32 v[20:21], v[4:5], v[20:21]
	ds_load_b128 v[133:136], v1 offset:1248
	v_fma_f64 v[143:144], v[143:144], v[14:15], v[149:150]
	v_fma_f64 v[14:15], v[141:142], v[14:15], -v[16:17]
	v_add_f64_e32 v[16:17], v[145:146], v[153:154]
	v_add_f64_e32 v[141:142], v[147:148], v[151:152]
	s_wait_loadcnt_dscnt 0x800
	v_mul_f64_e32 v[145:146], v[133:134], v[24:25]
	v_mul_f64_e32 v[24:25], v[135:136], v[24:25]
	v_fma_f64 v[147:148], v[4:5], v[18:19], v[155:156]
	v_fma_f64 v[18:19], v[2:3], v[18:19], -v[20:21]
	v_add_f64_e32 v[20:21], v[16:17], v[14:15]
	v_add_f64_e32 v[141:142], v[141:142], v[143:144]
	ds_load_b128 v[2:5], v1 offset:1264
	ds_load_b128 v[14:17], v1 offset:1280
	v_fma_f64 v[135:136], v[135:136], v[22:23], v[145:146]
	v_fma_f64 v[22:23], v[133:134], v[22:23], -v[24:25]
	s_wait_loadcnt_dscnt 0x701
	v_mul_f64_e32 v[143:144], v[2:3], v[28:29]
	v_mul_f64_e32 v[28:29], v[4:5], v[28:29]
	s_wait_loadcnt_dscnt 0x600
	v_mul_f64_e32 v[24:25], v[14:15], v[32:33]
	v_mul_f64_e32 v[32:33], v[16:17], v[32:33]
	v_add_f64_e32 v[18:19], v[20:21], v[18:19]
	v_add_f64_e32 v[20:21], v[141:142], v[147:148]
	v_fma_f64 v[133:134], v[4:5], v[26:27], v[143:144]
	v_fma_f64 v[26:27], v[2:3], v[26:27], -v[28:29]
	v_fma_f64 v[16:17], v[16:17], v[30:31], v[24:25]
	v_fma_f64 v[14:15], v[14:15], v[30:31], -v[32:33]
	v_add_f64_e32 v[22:23], v[18:19], v[22:23]
	v_add_f64_e32 v[28:29], v[20:21], v[135:136]
	ds_load_b128 v[2:5], v1 offset:1296
	ds_load_b128 v[18:21], v1 offset:1312
	s_wait_loadcnt_dscnt 0x501
	v_mul_f64_e32 v[135:136], v[2:3], v[40:41]
	v_mul_f64_e32 v[40:41], v[4:5], v[40:41]
	v_add_f64_e32 v[22:23], v[22:23], v[26:27]
	v_add_f64_e32 v[24:25], v[28:29], v[133:134]
	s_wait_loadcnt_dscnt 0x300
	v_mul_f64_e32 v[26:27], v[18:19], v[139:140]
	v_mul_f64_e32 v[28:29], v[20:21], v[139:140]
	v_fma_f64 v[30:31], v[4:5], v[38:39], v[135:136]
	v_fma_f64 v[32:33], v[2:3], v[38:39], -v[40:41]
	v_add_f64_e32 v[22:23], v[22:23], v[14:15]
	v_add_f64_e32 v[24:25], v[24:25], v[16:17]
	ds_load_b128 v[2:5], v1 offset:1328
	ds_load_b128 v[14:17], v1 offset:1344
	v_fma_f64 v[20:21], v[20:21], v[137:138], v[26:27]
	v_fma_f64 v[18:19], v[18:19], v[137:138], -v[28:29]
	s_wait_loadcnt_dscnt 0x201
	v_mul_f64_e32 v[38:39], v[2:3], v[36:37]
	v_mul_f64_e32 v[36:37], v[4:5], v[36:37]
	v_add_f64_e32 v[22:23], v[22:23], v[32:33]
	v_add_f64_e32 v[24:25], v[24:25], v[30:31]
	s_wait_loadcnt_dscnt 0x100
	v_mul_f64_e32 v[26:27], v[14:15], v[8:9]
	v_mul_f64_e32 v[8:9], v[16:17], v[8:9]
	v_fma_f64 v[28:29], v[4:5], v[34:35], v[38:39]
	v_fma_f64 v[30:31], v[2:3], v[34:35], -v[36:37]
	ds_load_b128 v[2:5], v1 offset:1360
	v_add_f64_e32 v[18:19], v[22:23], v[18:19]
	v_add_f64_e32 v[20:21], v[24:25], v[20:21]
	s_wait_loadcnt_dscnt 0x0
	v_mul_f64_e32 v[22:23], v[2:3], v[12:13]
	v_mul_f64_e32 v[12:13], v[4:5], v[12:13]
	v_fma_f64 v[16:17], v[16:17], v[6:7], v[26:27]
	v_fma_f64 v[6:7], v[14:15], v[6:7], -v[8:9]
	v_add_f64_e32 v[8:9], v[18:19], v[30:31]
	v_add_f64_e32 v[14:15], v[20:21], v[28:29]
	v_fma_f64 v[4:5], v[4:5], v[10:11], v[22:23]
	v_fma_f64 v[2:3], v[2:3], v[10:11], -v[12:13]
	s_delay_alu instid0(VALU_DEP_4) | instskip(NEXT) | instid1(VALU_DEP_4)
	v_add_f64_e32 v[6:7], v[8:9], v[6:7]
	v_add_f64_e32 v[8:9], v[14:15], v[16:17]
	s_delay_alu instid0(VALU_DEP_2) | instskip(NEXT) | instid1(VALU_DEP_2)
	v_add_f64_e32 v[2:3], v[6:7], v[2:3]
	v_add_f64_e32 v[4:5], v[8:9], v[4:5]
	s_delay_alu instid0(VALU_DEP_2) | instskip(NEXT) | instid1(VALU_DEP_2)
	v_add_f64_e64 v[2:3], v[42:43], -v[2:3]
	v_add_f64_e64 v[4:5], v[44:45], -v[4:5]
	scratch_store_b128 off, v[2:5], off offset:480
	v_cmpx_lt_u32_e32 28, v0
	s_cbranch_execz .LBB42_215
; %bb.214:
	scratch_load_b128 v[5:8], off, s27
	v_dual_mov_b32 v2, v1 :: v_dual_mov_b32 v3, v1
	v_mov_b32_e32 v4, v1
	scratch_store_b128 off, v[1:4], off offset:464
	s_wait_loadcnt 0x0
	ds_store_b128 v132, v[5:8]
.LBB42_215:
	s_wait_alu 0xfffe
	s_or_b32 exec_lo, exec_lo, s0
	s_wait_storecnt_dscnt 0x0
	s_barrier_signal -1
	s_barrier_wait -1
	global_inv scope:SCOPE_SE
	s_clause 0x8
	scratch_load_b128 v[2:5], off, off offset:480
	scratch_load_b128 v[6:9], off, off offset:496
	;; [unrolled: 1-line block ×9, first 2 shown]
	ds_load_b128 v[38:41], v1 offset:1152
	ds_load_b128 v[42:45], v1 offset:1168
	s_clause 0x1
	scratch_load_b128 v[133:136], off, off offset:464
	scratch_load_b128 v[137:140], off, off offset:624
	s_mov_b32 s0, exec_lo
	s_wait_loadcnt_dscnt 0xa01
	v_mul_f64_e32 v[141:142], v[40:41], v[4:5]
	v_mul_f64_e32 v[4:5], v[38:39], v[4:5]
	s_wait_loadcnt_dscnt 0x900
	v_mul_f64_e32 v[145:146], v[42:43], v[8:9]
	v_mul_f64_e32 v[8:9], v[44:45], v[8:9]
	s_delay_alu instid0(VALU_DEP_4) | instskip(NEXT) | instid1(VALU_DEP_4)
	v_fma_f64 v[147:148], v[38:39], v[2:3], -v[141:142]
	v_fma_f64 v[149:150], v[40:41], v[2:3], v[4:5]
	ds_load_b128 v[2:5], v1 offset:1184
	ds_load_b128 v[141:144], v1 offset:1200
	scratch_load_b128 v[38:41], off, off offset:640
	v_fma_f64 v[44:45], v[44:45], v[6:7], v[145:146]
	v_fma_f64 v[42:43], v[42:43], v[6:7], -v[8:9]
	scratch_load_b128 v[6:9], off, off offset:656
	s_wait_loadcnt_dscnt 0xa01
	v_mul_f64_e32 v[151:152], v[2:3], v[12:13]
	v_mul_f64_e32 v[12:13], v[4:5], v[12:13]
	v_add_f64_e32 v[145:146], 0, v[147:148]
	v_add_f64_e32 v[147:148], 0, v[149:150]
	s_wait_loadcnt_dscnt 0x900
	v_mul_f64_e32 v[149:150], v[141:142], v[16:17]
	v_mul_f64_e32 v[16:17], v[143:144], v[16:17]
	v_fma_f64 v[151:152], v[4:5], v[10:11], v[151:152]
	v_fma_f64 v[153:154], v[2:3], v[10:11], -v[12:13]
	ds_load_b128 v[2:5], v1 offset:1216
	scratch_load_b128 v[10:13], off, off offset:672
	v_add_f64_e32 v[145:146], v[145:146], v[42:43]
	v_add_f64_e32 v[147:148], v[147:148], v[44:45]
	ds_load_b128 v[42:45], v1 offset:1232
	v_fma_f64 v[143:144], v[143:144], v[14:15], v[149:150]
	v_fma_f64 v[141:142], v[141:142], v[14:15], -v[16:17]
	scratch_load_b128 v[14:17], off, off offset:688
	s_wait_loadcnt_dscnt 0xa01
	v_mul_f64_e32 v[155:156], v[2:3], v[20:21]
	v_mul_f64_e32 v[20:21], v[4:5], v[20:21]
	s_wait_loadcnt_dscnt 0x900
	v_mul_f64_e32 v[149:150], v[42:43], v[24:25]
	v_mul_f64_e32 v[24:25], v[44:45], v[24:25]
	v_add_f64_e32 v[145:146], v[145:146], v[153:154]
	v_add_f64_e32 v[147:148], v[147:148], v[151:152]
	v_fma_f64 v[151:152], v[4:5], v[18:19], v[155:156]
	v_fma_f64 v[153:154], v[2:3], v[18:19], -v[20:21]
	ds_load_b128 v[2:5], v1 offset:1248
	ds_load_b128 v[18:21], v1 offset:1264
	v_fma_f64 v[44:45], v[44:45], v[22:23], v[149:150]
	v_fma_f64 v[22:23], v[42:43], v[22:23], -v[24:25]
	v_add_f64_e32 v[141:142], v[145:146], v[141:142]
	v_add_f64_e32 v[143:144], v[147:148], v[143:144]
	s_wait_loadcnt_dscnt 0x801
	v_mul_f64_e32 v[145:146], v[2:3], v[28:29]
	v_mul_f64_e32 v[28:29], v[4:5], v[28:29]
	s_delay_alu instid0(VALU_DEP_4) | instskip(NEXT) | instid1(VALU_DEP_4)
	v_add_f64_e32 v[24:25], v[141:142], v[153:154]
	v_add_f64_e32 v[42:43], v[143:144], v[151:152]
	s_wait_loadcnt_dscnt 0x700
	v_mul_f64_e32 v[141:142], v[18:19], v[32:33]
	v_mul_f64_e32 v[32:33], v[20:21], v[32:33]
	v_fma_f64 v[143:144], v[4:5], v[26:27], v[145:146]
	v_fma_f64 v[26:27], v[2:3], v[26:27], -v[28:29]
	v_add_f64_e32 v[28:29], v[24:25], v[22:23]
	v_add_f64_e32 v[42:43], v[42:43], v[44:45]
	ds_load_b128 v[2:5], v1 offset:1280
	ds_load_b128 v[22:25], v1 offset:1296
	v_fma_f64 v[20:21], v[20:21], v[30:31], v[141:142]
	v_fma_f64 v[18:19], v[18:19], v[30:31], -v[32:33]
	s_wait_loadcnt_dscnt 0x601
	v_mul_f64_e32 v[44:45], v[2:3], v[36:37]
	v_mul_f64_e32 v[36:37], v[4:5], v[36:37]
	s_wait_loadcnt_dscnt 0x400
	v_mul_f64_e32 v[30:31], v[22:23], v[139:140]
	v_mul_f64_e32 v[32:33], v[24:25], v[139:140]
	v_add_f64_e32 v[26:27], v[28:29], v[26:27]
	v_add_f64_e32 v[28:29], v[42:43], v[143:144]
	v_fma_f64 v[42:43], v[4:5], v[34:35], v[44:45]
	v_fma_f64 v[34:35], v[2:3], v[34:35], -v[36:37]
	v_fma_f64 v[24:25], v[24:25], v[137:138], v[30:31]
	v_fma_f64 v[22:23], v[22:23], v[137:138], -v[32:33]
	v_add_f64_e32 v[26:27], v[26:27], v[18:19]
	v_add_f64_e32 v[28:29], v[28:29], v[20:21]
	ds_load_b128 v[2:5], v1 offset:1312
	ds_load_b128 v[18:21], v1 offset:1328
	s_wait_loadcnt_dscnt 0x301
	v_mul_f64_e32 v[36:37], v[2:3], v[40:41]
	v_mul_f64_e32 v[40:41], v[4:5], v[40:41]
	s_wait_loadcnt_dscnt 0x200
	v_mul_f64_e32 v[30:31], v[18:19], v[8:9]
	v_mul_f64_e32 v[8:9], v[20:21], v[8:9]
	v_add_f64_e32 v[26:27], v[26:27], v[34:35]
	v_add_f64_e32 v[28:29], v[28:29], v[42:43]
	v_fma_f64 v[32:33], v[4:5], v[38:39], v[36:37]
	v_fma_f64 v[34:35], v[2:3], v[38:39], -v[40:41]
	v_fma_f64 v[20:21], v[20:21], v[6:7], v[30:31]
	v_fma_f64 v[6:7], v[18:19], v[6:7], -v[8:9]
	v_add_f64_e32 v[26:27], v[26:27], v[22:23]
	v_add_f64_e32 v[28:29], v[28:29], v[24:25]
	ds_load_b128 v[2:5], v1 offset:1344
	ds_load_b128 v[22:25], v1 offset:1360
	s_wait_loadcnt_dscnt 0x101
	v_mul_f64_e32 v[36:37], v[2:3], v[12:13]
	v_mul_f64_e32 v[12:13], v[4:5], v[12:13]
	v_add_f64_e32 v[8:9], v[26:27], v[34:35]
	v_add_f64_e32 v[18:19], v[28:29], v[32:33]
	s_wait_loadcnt_dscnt 0x0
	v_mul_f64_e32 v[26:27], v[22:23], v[16:17]
	v_mul_f64_e32 v[16:17], v[24:25], v[16:17]
	v_fma_f64 v[4:5], v[4:5], v[10:11], v[36:37]
	v_fma_f64 v[1:2], v[2:3], v[10:11], -v[12:13]
	v_add_f64_e32 v[6:7], v[8:9], v[6:7]
	v_add_f64_e32 v[8:9], v[18:19], v[20:21]
	v_fma_f64 v[10:11], v[24:25], v[14:15], v[26:27]
	v_fma_f64 v[12:13], v[22:23], v[14:15], -v[16:17]
	s_delay_alu instid0(VALU_DEP_4) | instskip(NEXT) | instid1(VALU_DEP_4)
	v_add_f64_e32 v[1:2], v[6:7], v[1:2]
	v_add_f64_e32 v[3:4], v[8:9], v[4:5]
	s_delay_alu instid0(VALU_DEP_2) | instskip(NEXT) | instid1(VALU_DEP_2)
	v_add_f64_e32 v[1:2], v[1:2], v[12:13]
	v_add_f64_e32 v[3:4], v[3:4], v[10:11]
	s_delay_alu instid0(VALU_DEP_2) | instskip(NEXT) | instid1(VALU_DEP_2)
	v_add_f64_e64 v[1:2], v[133:134], -v[1:2]
	v_add_f64_e64 v[3:4], v[135:136], -v[3:4]
	scratch_store_b128 off, v[1:4], off offset:464
	v_cmpx_lt_u32_e32 27, v0
	s_cbranch_execz .LBB42_217
; %bb.216:
	scratch_load_b128 v[1:4], off, s28
	v_mov_b32_e32 v5, 0
	s_delay_alu instid0(VALU_DEP_1)
	v_dual_mov_b32 v6, v5 :: v_dual_mov_b32 v7, v5
	v_mov_b32_e32 v8, v5
	scratch_store_b128 off, v[5:8], off offset:448
	s_wait_loadcnt 0x0
	ds_store_b128 v132, v[1:4]
.LBB42_217:
	s_wait_alu 0xfffe
	s_or_b32 exec_lo, exec_lo, s0
	s_wait_storecnt_dscnt 0x0
	s_barrier_signal -1
	s_barrier_wait -1
	global_inv scope:SCOPE_SE
	s_clause 0x7
	scratch_load_b128 v[2:5], off, off offset:464
	scratch_load_b128 v[6:9], off, off offset:480
	scratch_load_b128 v[10:13], off, off offset:496
	scratch_load_b128 v[14:17], off, off offset:512
	scratch_load_b128 v[18:21], off, off offset:528
	scratch_load_b128 v[22:25], off, off offset:544
	scratch_load_b128 v[26:29], off, off offset:560
	scratch_load_b128 v[30:33], off, off offset:576
	v_mov_b32_e32 v1, 0
	s_mov_b32 s0, exec_lo
	ds_load_b128 v[34:37], v1 offset:1136
	s_clause 0x1
	scratch_load_b128 v[38:41], off, off offset:592
	scratch_load_b128 v[42:45], off, off offset:448
	ds_load_b128 v[133:136], v1 offset:1152
	scratch_load_b128 v[137:140], off, off offset:608
	s_wait_loadcnt_dscnt 0xa01
	v_mul_f64_e32 v[141:142], v[36:37], v[4:5]
	v_mul_f64_e32 v[4:5], v[34:35], v[4:5]
	s_delay_alu instid0(VALU_DEP_2) | instskip(NEXT) | instid1(VALU_DEP_2)
	v_fma_f64 v[147:148], v[34:35], v[2:3], -v[141:142]
	v_fma_f64 v[149:150], v[36:37], v[2:3], v[4:5]
	ds_load_b128 v[2:5], v1 offset:1168
	s_wait_loadcnt_dscnt 0x901
	v_mul_f64_e32 v[145:146], v[133:134], v[8:9]
	v_mul_f64_e32 v[8:9], v[135:136], v[8:9]
	scratch_load_b128 v[34:37], off, off offset:624
	ds_load_b128 v[141:144], v1 offset:1184
	s_wait_loadcnt_dscnt 0x901
	v_mul_f64_e32 v[151:152], v[2:3], v[12:13]
	v_mul_f64_e32 v[12:13], v[4:5], v[12:13]
	v_fma_f64 v[135:136], v[135:136], v[6:7], v[145:146]
	v_fma_f64 v[133:134], v[133:134], v[6:7], -v[8:9]
	v_add_f64_e32 v[145:146], 0, v[147:148]
	v_add_f64_e32 v[147:148], 0, v[149:150]
	scratch_load_b128 v[6:9], off, off offset:640
	v_fma_f64 v[151:152], v[4:5], v[10:11], v[151:152]
	v_fma_f64 v[153:154], v[2:3], v[10:11], -v[12:13]
	ds_load_b128 v[2:5], v1 offset:1200
	s_wait_loadcnt_dscnt 0x901
	v_mul_f64_e32 v[149:150], v[141:142], v[16:17]
	v_mul_f64_e32 v[16:17], v[143:144], v[16:17]
	scratch_load_b128 v[10:13], off, off offset:656
	v_add_f64_e32 v[145:146], v[145:146], v[133:134]
	v_add_f64_e32 v[147:148], v[147:148], v[135:136]
	s_wait_loadcnt_dscnt 0x900
	v_mul_f64_e32 v[155:156], v[2:3], v[20:21]
	v_mul_f64_e32 v[20:21], v[4:5], v[20:21]
	ds_load_b128 v[133:136], v1 offset:1216
	v_fma_f64 v[143:144], v[143:144], v[14:15], v[149:150]
	v_fma_f64 v[141:142], v[141:142], v[14:15], -v[16:17]
	scratch_load_b128 v[14:17], off, off offset:672
	v_add_f64_e32 v[145:146], v[145:146], v[153:154]
	v_add_f64_e32 v[147:148], v[147:148], v[151:152]
	v_fma_f64 v[151:152], v[4:5], v[18:19], v[155:156]
	v_fma_f64 v[153:154], v[2:3], v[18:19], -v[20:21]
	ds_load_b128 v[2:5], v1 offset:1232
	s_wait_loadcnt_dscnt 0x901
	v_mul_f64_e32 v[149:150], v[133:134], v[24:25]
	v_mul_f64_e32 v[24:25], v[135:136], v[24:25]
	scratch_load_b128 v[18:21], off, off offset:688
	s_wait_loadcnt_dscnt 0x900
	v_mul_f64_e32 v[155:156], v[2:3], v[28:29]
	v_mul_f64_e32 v[28:29], v[4:5], v[28:29]
	v_add_f64_e32 v[145:146], v[145:146], v[141:142]
	v_add_f64_e32 v[147:148], v[147:148], v[143:144]
	ds_load_b128 v[141:144], v1 offset:1248
	v_fma_f64 v[135:136], v[135:136], v[22:23], v[149:150]
	v_fma_f64 v[22:23], v[133:134], v[22:23], -v[24:25]
	v_add_f64_e32 v[24:25], v[145:146], v[153:154]
	v_add_f64_e32 v[133:134], v[147:148], v[151:152]
	s_wait_loadcnt_dscnt 0x800
	v_mul_f64_e32 v[145:146], v[141:142], v[32:33]
	v_mul_f64_e32 v[32:33], v[143:144], v[32:33]
	v_fma_f64 v[147:148], v[4:5], v[26:27], v[155:156]
	v_fma_f64 v[26:27], v[2:3], v[26:27], -v[28:29]
	v_add_f64_e32 v[28:29], v[24:25], v[22:23]
	v_add_f64_e32 v[133:134], v[133:134], v[135:136]
	ds_load_b128 v[2:5], v1 offset:1264
	ds_load_b128 v[22:25], v1 offset:1280
	v_fma_f64 v[143:144], v[143:144], v[30:31], v[145:146]
	v_fma_f64 v[30:31], v[141:142], v[30:31], -v[32:33]
	s_wait_loadcnt_dscnt 0x701
	v_mul_f64_e32 v[135:136], v[2:3], v[40:41]
	v_mul_f64_e32 v[40:41], v[4:5], v[40:41]
	s_wait_loadcnt_dscnt 0x500
	v_mul_f64_e32 v[32:33], v[22:23], v[139:140]
	v_add_f64_e32 v[26:27], v[28:29], v[26:27]
	v_add_f64_e32 v[28:29], v[133:134], v[147:148]
	v_mul_f64_e32 v[133:134], v[24:25], v[139:140]
	v_fma_f64 v[135:136], v[4:5], v[38:39], v[135:136]
	v_fma_f64 v[38:39], v[2:3], v[38:39], -v[40:41]
	v_fma_f64 v[24:25], v[24:25], v[137:138], v[32:33]
	v_add_f64_e32 v[30:31], v[26:27], v[30:31]
	v_add_f64_e32 v[40:41], v[28:29], v[143:144]
	ds_load_b128 v[2:5], v1 offset:1296
	ds_load_b128 v[26:29], v1 offset:1312
	v_fma_f64 v[22:23], v[22:23], v[137:138], -v[133:134]
	s_wait_loadcnt_dscnt 0x401
	v_mul_f64_e32 v[139:140], v[2:3], v[36:37]
	v_mul_f64_e32 v[36:37], v[4:5], v[36:37]
	v_add_f64_e32 v[30:31], v[30:31], v[38:39]
	v_add_f64_e32 v[32:33], v[40:41], v[135:136]
	s_wait_loadcnt_dscnt 0x300
	v_mul_f64_e32 v[38:39], v[26:27], v[8:9]
	v_mul_f64_e32 v[8:9], v[28:29], v[8:9]
	v_fma_f64 v[40:41], v[4:5], v[34:35], v[139:140]
	v_fma_f64 v[34:35], v[2:3], v[34:35], -v[36:37]
	v_add_f64_e32 v[30:31], v[30:31], v[22:23]
	v_add_f64_e32 v[32:33], v[32:33], v[24:25]
	ds_load_b128 v[2:5], v1 offset:1328
	ds_load_b128 v[22:25], v1 offset:1344
	v_fma_f64 v[28:29], v[28:29], v[6:7], v[38:39]
	v_fma_f64 v[6:7], v[26:27], v[6:7], -v[8:9]
	s_wait_loadcnt_dscnt 0x201
	v_mul_f64_e32 v[36:37], v[2:3], v[12:13]
	v_mul_f64_e32 v[12:13], v[4:5], v[12:13]
	v_add_f64_e32 v[8:9], v[30:31], v[34:35]
	v_add_f64_e32 v[26:27], v[32:33], v[40:41]
	s_wait_loadcnt_dscnt 0x100
	v_mul_f64_e32 v[30:31], v[22:23], v[16:17]
	v_mul_f64_e32 v[16:17], v[24:25], v[16:17]
	v_fma_f64 v[32:33], v[4:5], v[10:11], v[36:37]
	v_fma_f64 v[10:11], v[2:3], v[10:11], -v[12:13]
	ds_load_b128 v[2:5], v1 offset:1360
	v_add_f64_e32 v[6:7], v[8:9], v[6:7]
	v_add_f64_e32 v[8:9], v[26:27], v[28:29]
	v_fma_f64 v[24:25], v[24:25], v[14:15], v[30:31]
	v_fma_f64 v[14:15], v[22:23], v[14:15], -v[16:17]
	s_wait_loadcnt_dscnt 0x0
	v_mul_f64_e32 v[12:13], v[2:3], v[20:21]
	v_mul_f64_e32 v[20:21], v[4:5], v[20:21]
	v_add_f64_e32 v[6:7], v[6:7], v[10:11]
	v_add_f64_e32 v[8:9], v[8:9], v[32:33]
	s_delay_alu instid0(VALU_DEP_4) | instskip(NEXT) | instid1(VALU_DEP_4)
	v_fma_f64 v[4:5], v[4:5], v[18:19], v[12:13]
	v_fma_f64 v[2:3], v[2:3], v[18:19], -v[20:21]
	s_delay_alu instid0(VALU_DEP_4) | instskip(NEXT) | instid1(VALU_DEP_4)
	v_add_f64_e32 v[6:7], v[6:7], v[14:15]
	v_add_f64_e32 v[8:9], v[8:9], v[24:25]
	s_delay_alu instid0(VALU_DEP_2) | instskip(NEXT) | instid1(VALU_DEP_2)
	v_add_f64_e32 v[2:3], v[6:7], v[2:3]
	v_add_f64_e32 v[4:5], v[8:9], v[4:5]
	s_delay_alu instid0(VALU_DEP_2) | instskip(NEXT) | instid1(VALU_DEP_2)
	v_add_f64_e64 v[2:3], v[42:43], -v[2:3]
	v_add_f64_e64 v[4:5], v[44:45], -v[4:5]
	scratch_store_b128 off, v[2:5], off offset:448
	v_cmpx_lt_u32_e32 26, v0
	s_cbranch_execz .LBB42_219
; %bb.218:
	scratch_load_b128 v[5:8], off, s29
	v_dual_mov_b32 v2, v1 :: v_dual_mov_b32 v3, v1
	v_mov_b32_e32 v4, v1
	scratch_store_b128 off, v[1:4], off offset:432
	s_wait_loadcnt 0x0
	ds_store_b128 v132, v[5:8]
.LBB42_219:
	s_wait_alu 0xfffe
	s_or_b32 exec_lo, exec_lo, s0
	s_wait_storecnt_dscnt 0x0
	s_barrier_signal -1
	s_barrier_wait -1
	global_inv scope:SCOPE_SE
	s_clause 0x8
	scratch_load_b128 v[2:5], off, off offset:448
	scratch_load_b128 v[6:9], off, off offset:464
	;; [unrolled: 1-line block ×9, first 2 shown]
	ds_load_b128 v[38:41], v1 offset:1120
	ds_load_b128 v[42:45], v1 offset:1136
	s_clause 0x1
	scratch_load_b128 v[133:136], off, off offset:432
	scratch_load_b128 v[137:140], off, off offset:592
	s_mov_b32 s0, exec_lo
	s_wait_loadcnt_dscnt 0xa01
	v_mul_f64_e32 v[141:142], v[40:41], v[4:5]
	v_mul_f64_e32 v[4:5], v[38:39], v[4:5]
	s_wait_loadcnt_dscnt 0x900
	v_mul_f64_e32 v[145:146], v[42:43], v[8:9]
	v_mul_f64_e32 v[8:9], v[44:45], v[8:9]
	s_delay_alu instid0(VALU_DEP_4) | instskip(NEXT) | instid1(VALU_DEP_4)
	v_fma_f64 v[147:148], v[38:39], v[2:3], -v[141:142]
	v_fma_f64 v[149:150], v[40:41], v[2:3], v[4:5]
	ds_load_b128 v[2:5], v1 offset:1152
	ds_load_b128 v[141:144], v1 offset:1168
	scratch_load_b128 v[38:41], off, off offset:608
	v_fma_f64 v[44:45], v[44:45], v[6:7], v[145:146]
	v_fma_f64 v[42:43], v[42:43], v[6:7], -v[8:9]
	scratch_load_b128 v[6:9], off, off offset:624
	s_wait_loadcnt_dscnt 0xa01
	v_mul_f64_e32 v[151:152], v[2:3], v[12:13]
	v_mul_f64_e32 v[12:13], v[4:5], v[12:13]
	v_add_f64_e32 v[145:146], 0, v[147:148]
	v_add_f64_e32 v[147:148], 0, v[149:150]
	s_wait_loadcnt_dscnt 0x900
	v_mul_f64_e32 v[149:150], v[141:142], v[16:17]
	v_mul_f64_e32 v[16:17], v[143:144], v[16:17]
	v_fma_f64 v[151:152], v[4:5], v[10:11], v[151:152]
	v_fma_f64 v[153:154], v[2:3], v[10:11], -v[12:13]
	ds_load_b128 v[2:5], v1 offset:1184
	scratch_load_b128 v[10:13], off, off offset:640
	v_add_f64_e32 v[145:146], v[145:146], v[42:43]
	v_add_f64_e32 v[147:148], v[147:148], v[44:45]
	ds_load_b128 v[42:45], v1 offset:1200
	v_fma_f64 v[143:144], v[143:144], v[14:15], v[149:150]
	v_fma_f64 v[141:142], v[141:142], v[14:15], -v[16:17]
	scratch_load_b128 v[14:17], off, off offset:656
	s_wait_loadcnt_dscnt 0xa01
	v_mul_f64_e32 v[155:156], v[2:3], v[20:21]
	v_mul_f64_e32 v[20:21], v[4:5], v[20:21]
	s_wait_loadcnt_dscnt 0x900
	v_mul_f64_e32 v[149:150], v[42:43], v[24:25]
	v_mul_f64_e32 v[24:25], v[44:45], v[24:25]
	v_add_f64_e32 v[145:146], v[145:146], v[153:154]
	v_add_f64_e32 v[147:148], v[147:148], v[151:152]
	v_fma_f64 v[151:152], v[4:5], v[18:19], v[155:156]
	v_fma_f64 v[153:154], v[2:3], v[18:19], -v[20:21]
	ds_load_b128 v[2:5], v1 offset:1216
	scratch_load_b128 v[18:21], off, off offset:672
	v_fma_f64 v[44:45], v[44:45], v[22:23], v[149:150]
	v_fma_f64 v[42:43], v[42:43], v[22:23], -v[24:25]
	scratch_load_b128 v[22:25], off, off offset:688
	v_add_f64_e32 v[145:146], v[145:146], v[141:142]
	v_add_f64_e32 v[147:148], v[147:148], v[143:144]
	ds_load_b128 v[141:144], v1 offset:1232
	s_wait_loadcnt_dscnt 0xa01
	v_mul_f64_e32 v[155:156], v[2:3], v[28:29]
	v_mul_f64_e32 v[28:29], v[4:5], v[28:29]
	s_wait_loadcnt_dscnt 0x900
	v_mul_f64_e32 v[149:150], v[141:142], v[32:33]
	v_mul_f64_e32 v[32:33], v[143:144], v[32:33]
	v_add_f64_e32 v[145:146], v[145:146], v[153:154]
	v_add_f64_e32 v[147:148], v[147:148], v[151:152]
	v_fma_f64 v[151:152], v[4:5], v[26:27], v[155:156]
	v_fma_f64 v[153:154], v[2:3], v[26:27], -v[28:29]
	ds_load_b128 v[2:5], v1 offset:1248
	ds_load_b128 v[26:29], v1 offset:1264
	v_fma_f64 v[143:144], v[143:144], v[30:31], v[149:150]
	v_fma_f64 v[30:31], v[141:142], v[30:31], -v[32:33]
	v_add_f64_e32 v[42:43], v[145:146], v[42:43]
	v_add_f64_e32 v[44:45], v[147:148], v[44:45]
	s_wait_loadcnt_dscnt 0x801
	v_mul_f64_e32 v[145:146], v[2:3], v[36:37]
	v_mul_f64_e32 v[36:37], v[4:5], v[36:37]
	s_delay_alu instid0(VALU_DEP_4) | instskip(NEXT) | instid1(VALU_DEP_4)
	v_add_f64_e32 v[32:33], v[42:43], v[153:154]
	v_add_f64_e32 v[42:43], v[44:45], v[151:152]
	s_wait_loadcnt_dscnt 0x600
	v_mul_f64_e32 v[44:45], v[26:27], v[139:140]
	v_mul_f64_e32 v[139:140], v[28:29], v[139:140]
	v_fma_f64 v[141:142], v[4:5], v[34:35], v[145:146]
	v_fma_f64 v[34:35], v[2:3], v[34:35], -v[36:37]
	v_add_f64_e32 v[36:37], v[32:33], v[30:31]
	v_add_f64_e32 v[42:43], v[42:43], v[143:144]
	ds_load_b128 v[2:5], v1 offset:1280
	ds_load_b128 v[30:33], v1 offset:1296
	v_fma_f64 v[28:29], v[28:29], v[137:138], v[44:45]
	v_fma_f64 v[26:27], v[26:27], v[137:138], -v[139:140]
	s_wait_loadcnt_dscnt 0x501
	v_mul_f64_e32 v[143:144], v[2:3], v[40:41]
	v_mul_f64_e32 v[40:41], v[4:5], v[40:41]
	v_add_f64_e32 v[34:35], v[36:37], v[34:35]
	v_add_f64_e32 v[36:37], v[42:43], v[141:142]
	s_wait_loadcnt_dscnt 0x400
	v_mul_f64_e32 v[42:43], v[30:31], v[8:9]
	v_mul_f64_e32 v[8:9], v[32:33], v[8:9]
	v_fma_f64 v[44:45], v[4:5], v[38:39], v[143:144]
	v_fma_f64 v[38:39], v[2:3], v[38:39], -v[40:41]
	v_add_f64_e32 v[34:35], v[34:35], v[26:27]
	v_add_f64_e32 v[36:37], v[36:37], v[28:29]
	ds_load_b128 v[2:5], v1 offset:1312
	ds_load_b128 v[26:29], v1 offset:1328
	v_fma_f64 v[32:33], v[32:33], v[6:7], v[42:43]
	v_fma_f64 v[6:7], v[30:31], v[6:7], -v[8:9]
	s_wait_loadcnt_dscnt 0x301
	v_mul_f64_e32 v[40:41], v[2:3], v[12:13]
	v_mul_f64_e32 v[12:13], v[4:5], v[12:13]
	;; [unrolled: 16-line block ×3, first 2 shown]
	s_wait_loadcnt_dscnt 0x0
	v_mul_f64_e32 v[16:17], v[6:7], v[24:25]
	v_mul_f64_e32 v[24:25], v[8:9], v[24:25]
	v_add_f64_e32 v[10:11], v[12:13], v[10:11]
	v_add_f64_e32 v[12:13], v[30:31], v[36:37]
	v_fma_f64 v[4:5], v[4:5], v[18:19], v[32:33]
	v_fma_f64 v[1:2], v[2:3], v[18:19], -v[20:21]
	v_fma_f64 v[8:9], v[8:9], v[22:23], v[16:17]
	v_fma_f64 v[6:7], v[6:7], v[22:23], -v[24:25]
	v_add_f64_e32 v[10:11], v[10:11], v[14:15]
	v_add_f64_e32 v[12:13], v[12:13], v[28:29]
	s_delay_alu instid0(VALU_DEP_2) | instskip(NEXT) | instid1(VALU_DEP_2)
	v_add_f64_e32 v[1:2], v[10:11], v[1:2]
	v_add_f64_e32 v[3:4], v[12:13], v[4:5]
	s_delay_alu instid0(VALU_DEP_2) | instskip(NEXT) | instid1(VALU_DEP_2)
	;; [unrolled: 3-line block ×3, first 2 shown]
	v_add_f64_e64 v[1:2], v[133:134], -v[1:2]
	v_add_f64_e64 v[3:4], v[135:136], -v[3:4]
	scratch_store_b128 off, v[1:4], off offset:432
	v_cmpx_lt_u32_e32 25, v0
	s_cbranch_execz .LBB42_221
; %bb.220:
	scratch_load_b128 v[1:4], off, s30
	v_mov_b32_e32 v5, 0
	s_delay_alu instid0(VALU_DEP_1)
	v_dual_mov_b32 v6, v5 :: v_dual_mov_b32 v7, v5
	v_mov_b32_e32 v8, v5
	scratch_store_b128 off, v[5:8], off offset:416
	s_wait_loadcnt 0x0
	ds_store_b128 v132, v[1:4]
.LBB42_221:
	s_wait_alu 0xfffe
	s_or_b32 exec_lo, exec_lo, s0
	s_wait_storecnt_dscnt 0x0
	s_barrier_signal -1
	s_barrier_wait -1
	global_inv scope:SCOPE_SE
	s_clause 0x7
	scratch_load_b128 v[2:5], off, off offset:432
	scratch_load_b128 v[6:9], off, off offset:448
	;; [unrolled: 1-line block ×8, first 2 shown]
	v_mov_b32_e32 v1, 0
	s_mov_b32 s0, exec_lo
	ds_load_b128 v[34:37], v1 offset:1104
	s_clause 0x1
	scratch_load_b128 v[38:41], off, off offset:560
	scratch_load_b128 v[42:45], off, off offset:416
	ds_load_b128 v[133:136], v1 offset:1120
	scratch_load_b128 v[137:140], off, off offset:576
	s_wait_loadcnt_dscnt 0xa01
	v_mul_f64_e32 v[141:142], v[36:37], v[4:5]
	v_mul_f64_e32 v[4:5], v[34:35], v[4:5]
	s_delay_alu instid0(VALU_DEP_2) | instskip(NEXT) | instid1(VALU_DEP_2)
	v_fma_f64 v[147:148], v[34:35], v[2:3], -v[141:142]
	v_fma_f64 v[149:150], v[36:37], v[2:3], v[4:5]
	ds_load_b128 v[2:5], v1 offset:1136
	s_wait_loadcnt_dscnt 0x901
	v_mul_f64_e32 v[145:146], v[133:134], v[8:9]
	v_mul_f64_e32 v[8:9], v[135:136], v[8:9]
	scratch_load_b128 v[34:37], off, off offset:592
	ds_load_b128 v[141:144], v1 offset:1152
	s_wait_loadcnt_dscnt 0x901
	v_mul_f64_e32 v[151:152], v[2:3], v[12:13]
	v_mul_f64_e32 v[12:13], v[4:5], v[12:13]
	v_fma_f64 v[135:136], v[135:136], v[6:7], v[145:146]
	v_fma_f64 v[133:134], v[133:134], v[6:7], -v[8:9]
	v_add_f64_e32 v[145:146], 0, v[147:148]
	v_add_f64_e32 v[147:148], 0, v[149:150]
	scratch_load_b128 v[6:9], off, off offset:608
	v_fma_f64 v[151:152], v[4:5], v[10:11], v[151:152]
	v_fma_f64 v[153:154], v[2:3], v[10:11], -v[12:13]
	ds_load_b128 v[2:5], v1 offset:1168
	s_wait_loadcnt_dscnt 0x901
	v_mul_f64_e32 v[149:150], v[141:142], v[16:17]
	v_mul_f64_e32 v[16:17], v[143:144], v[16:17]
	scratch_load_b128 v[10:13], off, off offset:624
	v_add_f64_e32 v[145:146], v[145:146], v[133:134]
	v_add_f64_e32 v[147:148], v[147:148], v[135:136]
	s_wait_loadcnt_dscnt 0x900
	v_mul_f64_e32 v[155:156], v[2:3], v[20:21]
	v_mul_f64_e32 v[20:21], v[4:5], v[20:21]
	ds_load_b128 v[133:136], v1 offset:1184
	v_fma_f64 v[143:144], v[143:144], v[14:15], v[149:150]
	v_fma_f64 v[141:142], v[141:142], v[14:15], -v[16:17]
	scratch_load_b128 v[14:17], off, off offset:640
	v_add_f64_e32 v[145:146], v[145:146], v[153:154]
	v_add_f64_e32 v[147:148], v[147:148], v[151:152]
	v_fma_f64 v[151:152], v[4:5], v[18:19], v[155:156]
	v_fma_f64 v[153:154], v[2:3], v[18:19], -v[20:21]
	ds_load_b128 v[2:5], v1 offset:1200
	s_wait_loadcnt_dscnt 0x901
	v_mul_f64_e32 v[149:150], v[133:134], v[24:25]
	v_mul_f64_e32 v[24:25], v[135:136], v[24:25]
	scratch_load_b128 v[18:21], off, off offset:656
	s_wait_loadcnt_dscnt 0x900
	v_mul_f64_e32 v[155:156], v[2:3], v[28:29]
	v_mul_f64_e32 v[28:29], v[4:5], v[28:29]
	v_add_f64_e32 v[145:146], v[145:146], v[141:142]
	v_add_f64_e32 v[147:148], v[147:148], v[143:144]
	ds_load_b128 v[141:144], v1 offset:1216
	v_fma_f64 v[135:136], v[135:136], v[22:23], v[149:150]
	v_fma_f64 v[133:134], v[133:134], v[22:23], -v[24:25]
	scratch_load_b128 v[22:25], off, off offset:672
	v_add_f64_e32 v[145:146], v[145:146], v[153:154]
	v_add_f64_e32 v[147:148], v[147:148], v[151:152]
	v_fma_f64 v[151:152], v[4:5], v[26:27], v[155:156]
	v_fma_f64 v[153:154], v[2:3], v[26:27], -v[28:29]
	ds_load_b128 v[2:5], v1 offset:1232
	s_wait_loadcnt_dscnt 0x901
	v_mul_f64_e32 v[149:150], v[141:142], v[32:33]
	v_mul_f64_e32 v[32:33], v[143:144], v[32:33]
	scratch_load_b128 v[26:29], off, off offset:688
	s_wait_loadcnt_dscnt 0x900
	v_mul_f64_e32 v[155:156], v[2:3], v[40:41]
	v_mul_f64_e32 v[40:41], v[4:5], v[40:41]
	v_add_f64_e32 v[145:146], v[145:146], v[133:134]
	v_add_f64_e32 v[147:148], v[147:148], v[135:136]
	ds_load_b128 v[133:136], v1 offset:1248
	v_fma_f64 v[143:144], v[143:144], v[30:31], v[149:150]
	v_fma_f64 v[30:31], v[141:142], v[30:31], -v[32:33]
	v_add_f64_e32 v[32:33], v[145:146], v[153:154]
	v_add_f64_e32 v[141:142], v[147:148], v[151:152]
	s_wait_loadcnt_dscnt 0x700
	v_mul_f64_e32 v[145:146], v[133:134], v[139:140]
	v_mul_f64_e32 v[139:140], v[135:136], v[139:140]
	v_fma_f64 v[147:148], v[4:5], v[38:39], v[155:156]
	v_fma_f64 v[38:39], v[2:3], v[38:39], -v[40:41]
	v_add_f64_e32 v[40:41], v[32:33], v[30:31]
	v_add_f64_e32 v[141:142], v[141:142], v[143:144]
	ds_load_b128 v[2:5], v1 offset:1264
	ds_load_b128 v[30:33], v1 offset:1280
	v_fma_f64 v[135:136], v[135:136], v[137:138], v[145:146]
	v_fma_f64 v[133:134], v[133:134], v[137:138], -v[139:140]
	s_wait_loadcnt_dscnt 0x601
	v_mul_f64_e32 v[143:144], v[2:3], v[36:37]
	v_mul_f64_e32 v[36:37], v[4:5], v[36:37]
	v_add_f64_e32 v[38:39], v[40:41], v[38:39]
	v_add_f64_e32 v[40:41], v[141:142], v[147:148]
	s_wait_loadcnt_dscnt 0x500
	v_mul_f64_e32 v[137:138], v[30:31], v[8:9]
	v_mul_f64_e32 v[8:9], v[32:33], v[8:9]
	v_fma_f64 v[139:140], v[4:5], v[34:35], v[143:144]
	v_fma_f64 v[141:142], v[2:3], v[34:35], -v[36:37]
	ds_load_b128 v[2:5], v1 offset:1296
	ds_load_b128 v[34:37], v1 offset:1312
	v_add_f64_e32 v[38:39], v[38:39], v[133:134]
	v_add_f64_e32 v[40:41], v[40:41], v[135:136]
	s_wait_loadcnt_dscnt 0x401
	v_mul_f64_e32 v[133:134], v[2:3], v[12:13]
	v_mul_f64_e32 v[12:13], v[4:5], v[12:13]
	v_fma_f64 v[32:33], v[32:33], v[6:7], v[137:138]
	v_fma_f64 v[6:7], v[30:31], v[6:7], -v[8:9]
	v_add_f64_e32 v[8:9], v[38:39], v[141:142]
	v_add_f64_e32 v[30:31], v[40:41], v[139:140]
	s_wait_loadcnt_dscnt 0x300
	v_mul_f64_e32 v[38:39], v[34:35], v[16:17]
	v_mul_f64_e32 v[16:17], v[36:37], v[16:17]
	v_fma_f64 v[40:41], v[4:5], v[10:11], v[133:134]
	v_fma_f64 v[10:11], v[2:3], v[10:11], -v[12:13]
	v_add_f64_e32 v[12:13], v[8:9], v[6:7]
	v_add_f64_e32 v[30:31], v[30:31], v[32:33]
	ds_load_b128 v[2:5], v1 offset:1328
	ds_load_b128 v[6:9], v1 offset:1344
	v_fma_f64 v[36:37], v[36:37], v[14:15], v[38:39]
	v_fma_f64 v[14:15], v[34:35], v[14:15], -v[16:17]
	s_wait_loadcnt_dscnt 0x201
	v_mul_f64_e32 v[32:33], v[2:3], v[20:21]
	v_mul_f64_e32 v[20:21], v[4:5], v[20:21]
	s_wait_loadcnt_dscnt 0x100
	v_mul_f64_e32 v[16:17], v[6:7], v[24:25]
	v_mul_f64_e32 v[24:25], v[8:9], v[24:25]
	v_add_f64_e32 v[10:11], v[12:13], v[10:11]
	v_add_f64_e32 v[12:13], v[30:31], v[40:41]
	v_fma_f64 v[30:31], v[4:5], v[18:19], v[32:33]
	v_fma_f64 v[18:19], v[2:3], v[18:19], -v[20:21]
	ds_load_b128 v[2:5], v1 offset:1360
	v_fma_f64 v[8:9], v[8:9], v[22:23], v[16:17]
	v_fma_f64 v[6:7], v[6:7], v[22:23], -v[24:25]
	v_add_f64_e32 v[10:11], v[10:11], v[14:15]
	v_add_f64_e32 v[12:13], v[12:13], v[36:37]
	s_wait_loadcnt_dscnt 0x0
	v_mul_f64_e32 v[14:15], v[2:3], v[28:29]
	v_mul_f64_e32 v[20:21], v[4:5], v[28:29]
	s_delay_alu instid0(VALU_DEP_4) | instskip(NEXT) | instid1(VALU_DEP_4)
	v_add_f64_e32 v[10:11], v[10:11], v[18:19]
	v_add_f64_e32 v[12:13], v[12:13], v[30:31]
	s_delay_alu instid0(VALU_DEP_4) | instskip(NEXT) | instid1(VALU_DEP_4)
	v_fma_f64 v[4:5], v[4:5], v[26:27], v[14:15]
	v_fma_f64 v[2:3], v[2:3], v[26:27], -v[20:21]
	s_delay_alu instid0(VALU_DEP_4) | instskip(NEXT) | instid1(VALU_DEP_4)
	v_add_f64_e32 v[6:7], v[10:11], v[6:7]
	v_add_f64_e32 v[8:9], v[12:13], v[8:9]
	s_delay_alu instid0(VALU_DEP_2) | instskip(NEXT) | instid1(VALU_DEP_2)
	v_add_f64_e32 v[2:3], v[6:7], v[2:3]
	v_add_f64_e32 v[4:5], v[8:9], v[4:5]
	s_delay_alu instid0(VALU_DEP_2) | instskip(NEXT) | instid1(VALU_DEP_2)
	v_add_f64_e64 v[2:3], v[42:43], -v[2:3]
	v_add_f64_e64 v[4:5], v[44:45], -v[4:5]
	scratch_store_b128 off, v[2:5], off offset:416
	v_cmpx_lt_u32_e32 24, v0
	s_cbranch_execz .LBB42_223
; %bb.222:
	scratch_load_b128 v[5:8], off, s31
	v_dual_mov_b32 v2, v1 :: v_dual_mov_b32 v3, v1
	v_mov_b32_e32 v4, v1
	scratch_store_b128 off, v[1:4], off offset:400
	s_wait_loadcnt 0x0
	ds_store_b128 v132, v[5:8]
.LBB42_223:
	s_wait_alu 0xfffe
	s_or_b32 exec_lo, exec_lo, s0
	s_wait_storecnt_dscnt 0x0
	s_barrier_signal -1
	s_barrier_wait -1
	global_inv scope:SCOPE_SE
	s_clause 0x8
	scratch_load_b128 v[2:5], off, off offset:416
	scratch_load_b128 v[6:9], off, off offset:432
	;; [unrolled: 1-line block ×9, first 2 shown]
	ds_load_b128 v[38:41], v1 offset:1088
	ds_load_b128 v[42:45], v1 offset:1104
	s_clause 0x1
	scratch_load_b128 v[133:136], off, off offset:400
	scratch_load_b128 v[137:140], off, off offset:560
	s_mov_b32 s0, exec_lo
	s_wait_loadcnt_dscnt 0xa01
	v_mul_f64_e32 v[141:142], v[40:41], v[4:5]
	v_mul_f64_e32 v[4:5], v[38:39], v[4:5]
	s_wait_loadcnt_dscnt 0x900
	v_mul_f64_e32 v[145:146], v[42:43], v[8:9]
	v_mul_f64_e32 v[8:9], v[44:45], v[8:9]
	s_delay_alu instid0(VALU_DEP_4) | instskip(NEXT) | instid1(VALU_DEP_4)
	v_fma_f64 v[147:148], v[38:39], v[2:3], -v[141:142]
	v_fma_f64 v[149:150], v[40:41], v[2:3], v[4:5]
	ds_load_b128 v[2:5], v1 offset:1120
	ds_load_b128 v[141:144], v1 offset:1136
	scratch_load_b128 v[38:41], off, off offset:576
	v_fma_f64 v[44:45], v[44:45], v[6:7], v[145:146]
	v_fma_f64 v[42:43], v[42:43], v[6:7], -v[8:9]
	scratch_load_b128 v[6:9], off, off offset:592
	s_wait_loadcnt_dscnt 0xa01
	v_mul_f64_e32 v[151:152], v[2:3], v[12:13]
	v_mul_f64_e32 v[12:13], v[4:5], v[12:13]
	v_add_f64_e32 v[145:146], 0, v[147:148]
	v_add_f64_e32 v[147:148], 0, v[149:150]
	s_wait_loadcnt_dscnt 0x900
	v_mul_f64_e32 v[149:150], v[141:142], v[16:17]
	v_mul_f64_e32 v[16:17], v[143:144], v[16:17]
	v_fma_f64 v[151:152], v[4:5], v[10:11], v[151:152]
	v_fma_f64 v[153:154], v[2:3], v[10:11], -v[12:13]
	ds_load_b128 v[2:5], v1 offset:1152
	scratch_load_b128 v[10:13], off, off offset:608
	v_add_f64_e32 v[145:146], v[145:146], v[42:43]
	v_add_f64_e32 v[147:148], v[147:148], v[44:45]
	ds_load_b128 v[42:45], v1 offset:1168
	v_fma_f64 v[143:144], v[143:144], v[14:15], v[149:150]
	v_fma_f64 v[141:142], v[141:142], v[14:15], -v[16:17]
	scratch_load_b128 v[14:17], off, off offset:624
	s_wait_loadcnt_dscnt 0xa01
	v_mul_f64_e32 v[155:156], v[2:3], v[20:21]
	v_mul_f64_e32 v[20:21], v[4:5], v[20:21]
	s_wait_loadcnt_dscnt 0x900
	v_mul_f64_e32 v[149:150], v[42:43], v[24:25]
	v_mul_f64_e32 v[24:25], v[44:45], v[24:25]
	v_add_f64_e32 v[145:146], v[145:146], v[153:154]
	v_add_f64_e32 v[147:148], v[147:148], v[151:152]
	v_fma_f64 v[151:152], v[4:5], v[18:19], v[155:156]
	v_fma_f64 v[153:154], v[2:3], v[18:19], -v[20:21]
	ds_load_b128 v[2:5], v1 offset:1184
	scratch_load_b128 v[18:21], off, off offset:640
	v_fma_f64 v[44:45], v[44:45], v[22:23], v[149:150]
	v_fma_f64 v[42:43], v[42:43], v[22:23], -v[24:25]
	scratch_load_b128 v[22:25], off, off offset:656
	v_add_f64_e32 v[145:146], v[145:146], v[141:142]
	v_add_f64_e32 v[147:148], v[147:148], v[143:144]
	ds_load_b128 v[141:144], v1 offset:1200
	s_wait_loadcnt_dscnt 0xa01
	v_mul_f64_e32 v[155:156], v[2:3], v[28:29]
	v_mul_f64_e32 v[28:29], v[4:5], v[28:29]
	s_wait_loadcnt_dscnt 0x900
	v_mul_f64_e32 v[149:150], v[141:142], v[32:33]
	v_mul_f64_e32 v[32:33], v[143:144], v[32:33]
	v_add_f64_e32 v[145:146], v[145:146], v[153:154]
	v_add_f64_e32 v[147:148], v[147:148], v[151:152]
	v_fma_f64 v[151:152], v[4:5], v[26:27], v[155:156]
	v_fma_f64 v[153:154], v[2:3], v[26:27], -v[28:29]
	ds_load_b128 v[2:5], v1 offset:1216
	scratch_load_b128 v[26:29], off, off offset:672
	v_fma_f64 v[143:144], v[143:144], v[30:31], v[149:150]
	v_fma_f64 v[141:142], v[141:142], v[30:31], -v[32:33]
	scratch_load_b128 v[30:33], off, off offset:688
	v_add_f64_e32 v[145:146], v[145:146], v[42:43]
	v_add_f64_e32 v[147:148], v[147:148], v[44:45]
	ds_load_b128 v[42:45], v1 offset:1232
	s_wait_loadcnt_dscnt 0xa01
	v_mul_f64_e32 v[155:156], v[2:3], v[36:37]
	v_mul_f64_e32 v[36:37], v[4:5], v[36:37]
	s_wait_loadcnt_dscnt 0x800
	v_mul_f64_e32 v[149:150], v[42:43], v[139:140]
	v_mul_f64_e32 v[139:140], v[44:45], v[139:140]
	v_add_f64_e32 v[145:146], v[145:146], v[153:154]
	v_add_f64_e32 v[147:148], v[147:148], v[151:152]
	v_fma_f64 v[151:152], v[4:5], v[34:35], v[155:156]
	v_fma_f64 v[153:154], v[2:3], v[34:35], -v[36:37]
	ds_load_b128 v[2:5], v1 offset:1248
	ds_load_b128 v[34:37], v1 offset:1264
	v_fma_f64 v[44:45], v[44:45], v[137:138], v[149:150]
	v_fma_f64 v[42:43], v[42:43], v[137:138], -v[139:140]
	v_add_f64_e32 v[141:142], v[145:146], v[141:142]
	v_add_f64_e32 v[143:144], v[147:148], v[143:144]
	s_wait_loadcnt_dscnt 0x701
	v_mul_f64_e32 v[145:146], v[2:3], v[40:41]
	v_mul_f64_e32 v[40:41], v[4:5], v[40:41]
	s_delay_alu instid0(VALU_DEP_4) | instskip(NEXT) | instid1(VALU_DEP_4)
	v_add_f64_e32 v[137:138], v[141:142], v[153:154]
	v_add_f64_e32 v[139:140], v[143:144], v[151:152]
	s_wait_loadcnt_dscnt 0x600
	v_mul_f64_e32 v[141:142], v[34:35], v[8:9]
	v_mul_f64_e32 v[8:9], v[36:37], v[8:9]
	v_fma_f64 v[143:144], v[4:5], v[38:39], v[145:146]
	v_fma_f64 v[145:146], v[2:3], v[38:39], -v[40:41]
	ds_load_b128 v[2:5], v1 offset:1280
	ds_load_b128 v[38:41], v1 offset:1296
	v_add_f64_e32 v[42:43], v[137:138], v[42:43]
	v_add_f64_e32 v[44:45], v[139:140], v[44:45]
	v_fma_f64 v[36:37], v[36:37], v[6:7], v[141:142]
	s_wait_loadcnt_dscnt 0x501
	v_mul_f64_e32 v[137:138], v[2:3], v[12:13]
	v_mul_f64_e32 v[12:13], v[4:5], v[12:13]
	v_fma_f64 v[6:7], v[34:35], v[6:7], -v[8:9]
	v_add_f64_e32 v[8:9], v[42:43], v[145:146]
	v_add_f64_e32 v[34:35], v[44:45], v[143:144]
	s_wait_loadcnt_dscnt 0x400
	v_mul_f64_e32 v[42:43], v[38:39], v[16:17]
	v_mul_f64_e32 v[16:17], v[40:41], v[16:17]
	v_fma_f64 v[44:45], v[4:5], v[10:11], v[137:138]
	v_fma_f64 v[10:11], v[2:3], v[10:11], -v[12:13]
	v_add_f64_e32 v[12:13], v[8:9], v[6:7]
	v_add_f64_e32 v[34:35], v[34:35], v[36:37]
	ds_load_b128 v[2:5], v1 offset:1312
	ds_load_b128 v[6:9], v1 offset:1328
	v_fma_f64 v[40:41], v[40:41], v[14:15], v[42:43]
	v_fma_f64 v[14:15], v[38:39], v[14:15], -v[16:17]
	s_wait_loadcnt_dscnt 0x301
	v_mul_f64_e32 v[36:37], v[2:3], v[20:21]
	v_mul_f64_e32 v[20:21], v[4:5], v[20:21]
	s_wait_loadcnt_dscnt 0x200
	v_mul_f64_e32 v[16:17], v[6:7], v[24:25]
	v_mul_f64_e32 v[24:25], v[8:9], v[24:25]
	v_add_f64_e32 v[10:11], v[12:13], v[10:11]
	v_add_f64_e32 v[12:13], v[34:35], v[44:45]
	v_fma_f64 v[34:35], v[4:5], v[18:19], v[36:37]
	v_fma_f64 v[18:19], v[2:3], v[18:19], -v[20:21]
	v_fma_f64 v[8:9], v[8:9], v[22:23], v[16:17]
	v_fma_f64 v[6:7], v[6:7], v[22:23], -v[24:25]
	v_add_f64_e32 v[14:15], v[10:11], v[14:15]
	v_add_f64_e32 v[20:21], v[12:13], v[40:41]
	ds_load_b128 v[2:5], v1 offset:1344
	ds_load_b128 v[10:13], v1 offset:1360
	s_wait_loadcnt_dscnt 0x101
	v_mul_f64_e32 v[36:37], v[2:3], v[28:29]
	v_mul_f64_e32 v[28:29], v[4:5], v[28:29]
	v_add_f64_e32 v[14:15], v[14:15], v[18:19]
	v_add_f64_e32 v[16:17], v[20:21], v[34:35]
	s_wait_loadcnt_dscnt 0x0
	v_mul_f64_e32 v[18:19], v[10:11], v[32:33]
	v_mul_f64_e32 v[20:21], v[12:13], v[32:33]
	v_fma_f64 v[4:5], v[4:5], v[26:27], v[36:37]
	v_fma_f64 v[1:2], v[2:3], v[26:27], -v[28:29]
	v_add_f64_e32 v[6:7], v[14:15], v[6:7]
	v_add_f64_e32 v[8:9], v[16:17], v[8:9]
	v_fma_f64 v[12:13], v[12:13], v[30:31], v[18:19]
	v_fma_f64 v[10:11], v[10:11], v[30:31], -v[20:21]
	s_delay_alu instid0(VALU_DEP_4) | instskip(NEXT) | instid1(VALU_DEP_4)
	v_add_f64_e32 v[1:2], v[6:7], v[1:2]
	v_add_f64_e32 v[3:4], v[8:9], v[4:5]
	s_delay_alu instid0(VALU_DEP_2) | instskip(NEXT) | instid1(VALU_DEP_2)
	v_add_f64_e32 v[1:2], v[1:2], v[10:11]
	v_add_f64_e32 v[3:4], v[3:4], v[12:13]
	s_delay_alu instid0(VALU_DEP_2) | instskip(NEXT) | instid1(VALU_DEP_2)
	v_add_f64_e64 v[1:2], v[133:134], -v[1:2]
	v_add_f64_e64 v[3:4], v[135:136], -v[3:4]
	scratch_store_b128 off, v[1:4], off offset:400
	v_cmpx_lt_u32_e32 23, v0
	s_cbranch_execz .LBB42_225
; %bb.224:
	scratch_load_b128 v[1:4], off, s33
	v_mov_b32_e32 v5, 0
	s_delay_alu instid0(VALU_DEP_1)
	v_dual_mov_b32 v6, v5 :: v_dual_mov_b32 v7, v5
	v_mov_b32_e32 v8, v5
	scratch_store_b128 off, v[5:8], off offset:384
	s_wait_loadcnt 0x0
	ds_store_b128 v132, v[1:4]
.LBB42_225:
	s_wait_alu 0xfffe
	s_or_b32 exec_lo, exec_lo, s0
	s_wait_storecnt_dscnt 0x0
	s_barrier_signal -1
	s_barrier_wait -1
	global_inv scope:SCOPE_SE
	s_clause 0x7
	scratch_load_b128 v[2:5], off, off offset:400
	scratch_load_b128 v[6:9], off, off offset:416
	;; [unrolled: 1-line block ×8, first 2 shown]
	v_mov_b32_e32 v1, 0
	s_mov_b32 s0, exec_lo
	ds_load_b128 v[34:37], v1 offset:1072
	s_clause 0x1
	scratch_load_b128 v[38:41], off, off offset:528
	scratch_load_b128 v[42:45], off, off offset:384
	ds_load_b128 v[133:136], v1 offset:1088
	scratch_load_b128 v[137:140], off, off offset:544
	s_wait_loadcnt_dscnt 0xa01
	v_mul_f64_e32 v[141:142], v[36:37], v[4:5]
	v_mul_f64_e32 v[4:5], v[34:35], v[4:5]
	s_delay_alu instid0(VALU_DEP_2) | instskip(NEXT) | instid1(VALU_DEP_2)
	v_fma_f64 v[147:148], v[34:35], v[2:3], -v[141:142]
	v_fma_f64 v[149:150], v[36:37], v[2:3], v[4:5]
	ds_load_b128 v[2:5], v1 offset:1104
	s_wait_loadcnt_dscnt 0x901
	v_mul_f64_e32 v[145:146], v[133:134], v[8:9]
	v_mul_f64_e32 v[8:9], v[135:136], v[8:9]
	scratch_load_b128 v[34:37], off, off offset:560
	ds_load_b128 v[141:144], v1 offset:1120
	s_wait_loadcnt_dscnt 0x901
	v_mul_f64_e32 v[151:152], v[2:3], v[12:13]
	v_mul_f64_e32 v[12:13], v[4:5], v[12:13]
	v_fma_f64 v[135:136], v[135:136], v[6:7], v[145:146]
	v_fma_f64 v[133:134], v[133:134], v[6:7], -v[8:9]
	v_add_f64_e32 v[145:146], 0, v[147:148]
	v_add_f64_e32 v[147:148], 0, v[149:150]
	scratch_load_b128 v[6:9], off, off offset:576
	v_fma_f64 v[151:152], v[4:5], v[10:11], v[151:152]
	v_fma_f64 v[153:154], v[2:3], v[10:11], -v[12:13]
	ds_load_b128 v[2:5], v1 offset:1136
	s_wait_loadcnt_dscnt 0x901
	v_mul_f64_e32 v[149:150], v[141:142], v[16:17]
	v_mul_f64_e32 v[16:17], v[143:144], v[16:17]
	scratch_load_b128 v[10:13], off, off offset:592
	v_add_f64_e32 v[145:146], v[145:146], v[133:134]
	v_add_f64_e32 v[147:148], v[147:148], v[135:136]
	s_wait_loadcnt_dscnt 0x900
	v_mul_f64_e32 v[155:156], v[2:3], v[20:21]
	v_mul_f64_e32 v[20:21], v[4:5], v[20:21]
	ds_load_b128 v[133:136], v1 offset:1152
	v_fma_f64 v[143:144], v[143:144], v[14:15], v[149:150]
	v_fma_f64 v[141:142], v[141:142], v[14:15], -v[16:17]
	scratch_load_b128 v[14:17], off, off offset:608
	v_add_f64_e32 v[145:146], v[145:146], v[153:154]
	v_add_f64_e32 v[147:148], v[147:148], v[151:152]
	v_fma_f64 v[151:152], v[4:5], v[18:19], v[155:156]
	v_fma_f64 v[153:154], v[2:3], v[18:19], -v[20:21]
	ds_load_b128 v[2:5], v1 offset:1168
	s_wait_loadcnt_dscnt 0x901
	v_mul_f64_e32 v[149:150], v[133:134], v[24:25]
	v_mul_f64_e32 v[24:25], v[135:136], v[24:25]
	scratch_load_b128 v[18:21], off, off offset:624
	s_wait_loadcnt_dscnt 0x900
	v_mul_f64_e32 v[155:156], v[2:3], v[28:29]
	v_mul_f64_e32 v[28:29], v[4:5], v[28:29]
	v_add_f64_e32 v[145:146], v[145:146], v[141:142]
	v_add_f64_e32 v[147:148], v[147:148], v[143:144]
	ds_load_b128 v[141:144], v1 offset:1184
	v_fma_f64 v[135:136], v[135:136], v[22:23], v[149:150]
	v_fma_f64 v[133:134], v[133:134], v[22:23], -v[24:25]
	scratch_load_b128 v[22:25], off, off offset:640
	v_add_f64_e32 v[145:146], v[145:146], v[153:154]
	v_add_f64_e32 v[147:148], v[147:148], v[151:152]
	v_fma_f64 v[151:152], v[4:5], v[26:27], v[155:156]
	v_fma_f64 v[153:154], v[2:3], v[26:27], -v[28:29]
	ds_load_b128 v[2:5], v1 offset:1200
	s_wait_loadcnt_dscnt 0x901
	v_mul_f64_e32 v[149:150], v[141:142], v[32:33]
	v_mul_f64_e32 v[32:33], v[143:144], v[32:33]
	scratch_load_b128 v[26:29], off, off offset:656
	s_wait_loadcnt_dscnt 0x900
	v_mul_f64_e32 v[155:156], v[2:3], v[40:41]
	v_mul_f64_e32 v[40:41], v[4:5], v[40:41]
	v_add_f64_e32 v[145:146], v[145:146], v[133:134]
	v_add_f64_e32 v[147:148], v[147:148], v[135:136]
	ds_load_b128 v[133:136], v1 offset:1216
	v_fma_f64 v[143:144], v[143:144], v[30:31], v[149:150]
	v_fma_f64 v[141:142], v[141:142], v[30:31], -v[32:33]
	scratch_load_b128 v[30:33], off, off offset:672
	v_add_f64_e32 v[145:146], v[145:146], v[153:154]
	v_add_f64_e32 v[147:148], v[147:148], v[151:152]
	v_fma_f64 v[153:154], v[4:5], v[38:39], v[155:156]
	v_fma_f64 v[155:156], v[2:3], v[38:39], -v[40:41]
	ds_load_b128 v[2:5], v1 offset:1232
	s_wait_loadcnt_dscnt 0x801
	v_mul_f64_e32 v[149:150], v[133:134], v[139:140]
	v_mul_f64_e32 v[151:152], v[135:136], v[139:140]
	scratch_load_b128 v[38:41], off, off offset:688
	v_add_f64_e32 v[145:146], v[145:146], v[141:142]
	v_add_f64_e32 v[143:144], v[147:148], v[143:144]
	ds_load_b128 v[139:142], v1 offset:1248
	v_fma_f64 v[135:136], v[135:136], v[137:138], v[149:150]
	v_fma_f64 v[133:134], v[133:134], v[137:138], -v[151:152]
	s_wait_loadcnt_dscnt 0x801
	v_mul_f64_e32 v[147:148], v[2:3], v[36:37]
	v_mul_f64_e32 v[36:37], v[4:5], v[36:37]
	v_add_f64_e32 v[137:138], v[145:146], v[155:156]
	v_add_f64_e32 v[143:144], v[143:144], v[153:154]
	s_delay_alu instid0(VALU_DEP_4) | instskip(NEXT) | instid1(VALU_DEP_4)
	v_fma_f64 v[147:148], v[4:5], v[34:35], v[147:148]
	v_fma_f64 v[149:150], v[2:3], v[34:35], -v[36:37]
	s_wait_loadcnt_dscnt 0x700
	v_mul_f64_e32 v[145:146], v[139:140], v[8:9]
	v_mul_f64_e32 v[8:9], v[141:142], v[8:9]
	ds_load_b128 v[2:5], v1 offset:1264
	ds_load_b128 v[34:37], v1 offset:1280
	v_add_f64_e32 v[133:134], v[137:138], v[133:134]
	v_add_f64_e32 v[135:136], v[143:144], v[135:136]
	s_wait_loadcnt_dscnt 0x601
	v_mul_f64_e32 v[137:138], v[2:3], v[12:13]
	v_mul_f64_e32 v[12:13], v[4:5], v[12:13]
	v_fma_f64 v[141:142], v[141:142], v[6:7], v[145:146]
	v_fma_f64 v[6:7], v[139:140], v[6:7], -v[8:9]
	v_add_f64_e32 v[8:9], v[133:134], v[149:150]
	v_add_f64_e32 v[133:134], v[135:136], v[147:148]
	s_wait_loadcnt_dscnt 0x500
	v_mul_f64_e32 v[135:136], v[34:35], v[16:17]
	v_mul_f64_e32 v[16:17], v[36:37], v[16:17]
	v_fma_f64 v[137:138], v[4:5], v[10:11], v[137:138]
	v_fma_f64 v[10:11], v[2:3], v[10:11], -v[12:13]
	v_add_f64_e32 v[12:13], v[8:9], v[6:7]
	v_add_f64_e32 v[133:134], v[133:134], v[141:142]
	ds_load_b128 v[2:5], v1 offset:1296
	ds_load_b128 v[6:9], v1 offset:1312
	v_fma_f64 v[36:37], v[36:37], v[14:15], v[135:136]
	v_fma_f64 v[14:15], v[34:35], v[14:15], -v[16:17]
	s_wait_loadcnt_dscnt 0x401
	v_mul_f64_e32 v[139:140], v[2:3], v[20:21]
	v_mul_f64_e32 v[20:21], v[4:5], v[20:21]
	s_wait_loadcnt_dscnt 0x300
	v_mul_f64_e32 v[16:17], v[6:7], v[24:25]
	v_mul_f64_e32 v[24:25], v[8:9], v[24:25]
	v_add_f64_e32 v[10:11], v[12:13], v[10:11]
	v_add_f64_e32 v[12:13], v[133:134], v[137:138]
	v_fma_f64 v[34:35], v[4:5], v[18:19], v[139:140]
	v_fma_f64 v[18:19], v[2:3], v[18:19], -v[20:21]
	v_fma_f64 v[8:9], v[8:9], v[22:23], v[16:17]
	v_fma_f64 v[6:7], v[6:7], v[22:23], -v[24:25]
	v_add_f64_e32 v[14:15], v[10:11], v[14:15]
	v_add_f64_e32 v[20:21], v[12:13], v[36:37]
	ds_load_b128 v[2:5], v1 offset:1328
	ds_load_b128 v[10:13], v1 offset:1344
	s_wait_loadcnt_dscnt 0x201
	v_mul_f64_e32 v[36:37], v[2:3], v[28:29]
	v_mul_f64_e32 v[28:29], v[4:5], v[28:29]
	v_add_f64_e32 v[14:15], v[14:15], v[18:19]
	v_add_f64_e32 v[16:17], v[20:21], v[34:35]
	s_wait_loadcnt_dscnt 0x100
	v_mul_f64_e32 v[18:19], v[10:11], v[32:33]
	v_mul_f64_e32 v[20:21], v[12:13], v[32:33]
	v_fma_f64 v[22:23], v[4:5], v[26:27], v[36:37]
	v_fma_f64 v[24:25], v[2:3], v[26:27], -v[28:29]
	ds_load_b128 v[2:5], v1 offset:1360
	v_add_f64_e32 v[6:7], v[14:15], v[6:7]
	v_add_f64_e32 v[8:9], v[16:17], v[8:9]
	v_fma_f64 v[12:13], v[12:13], v[30:31], v[18:19]
	v_fma_f64 v[10:11], v[10:11], v[30:31], -v[20:21]
	s_wait_loadcnt_dscnt 0x0
	v_mul_f64_e32 v[14:15], v[2:3], v[40:41]
	v_mul_f64_e32 v[16:17], v[4:5], v[40:41]
	v_add_f64_e32 v[6:7], v[6:7], v[24:25]
	v_add_f64_e32 v[8:9], v[8:9], v[22:23]
	s_delay_alu instid0(VALU_DEP_4) | instskip(NEXT) | instid1(VALU_DEP_4)
	v_fma_f64 v[4:5], v[4:5], v[38:39], v[14:15]
	v_fma_f64 v[2:3], v[2:3], v[38:39], -v[16:17]
	s_delay_alu instid0(VALU_DEP_4) | instskip(NEXT) | instid1(VALU_DEP_4)
	v_add_f64_e32 v[6:7], v[6:7], v[10:11]
	v_add_f64_e32 v[8:9], v[8:9], v[12:13]
	s_delay_alu instid0(VALU_DEP_2) | instskip(NEXT) | instid1(VALU_DEP_2)
	v_add_f64_e32 v[2:3], v[6:7], v[2:3]
	v_add_f64_e32 v[4:5], v[8:9], v[4:5]
	s_delay_alu instid0(VALU_DEP_2) | instskip(NEXT) | instid1(VALU_DEP_2)
	v_add_f64_e64 v[2:3], v[42:43], -v[2:3]
	v_add_f64_e64 v[4:5], v[44:45], -v[4:5]
	scratch_store_b128 off, v[2:5], off offset:384
	v_cmpx_lt_u32_e32 22, v0
	s_cbranch_execz .LBB42_227
; %bb.226:
	scratch_load_b128 v[5:8], off, s34
	v_dual_mov_b32 v2, v1 :: v_dual_mov_b32 v3, v1
	v_mov_b32_e32 v4, v1
	scratch_store_b128 off, v[1:4], off offset:368
	s_wait_loadcnt 0x0
	ds_store_b128 v132, v[5:8]
.LBB42_227:
	s_wait_alu 0xfffe
	s_or_b32 exec_lo, exec_lo, s0
	s_wait_storecnt_dscnt 0x0
	s_barrier_signal -1
	s_barrier_wait -1
	global_inv scope:SCOPE_SE
	s_clause 0x8
	scratch_load_b128 v[2:5], off, off offset:384
	scratch_load_b128 v[6:9], off, off offset:400
	;; [unrolled: 1-line block ×9, first 2 shown]
	ds_load_b128 v[38:41], v1 offset:1056
	ds_load_b128 v[42:45], v1 offset:1072
	s_clause 0x1
	scratch_load_b128 v[133:136], off, off offset:368
	scratch_load_b128 v[137:140], off, off offset:528
	s_mov_b32 s0, exec_lo
	s_wait_loadcnt_dscnt 0xa01
	v_mul_f64_e32 v[141:142], v[40:41], v[4:5]
	v_mul_f64_e32 v[4:5], v[38:39], v[4:5]
	s_wait_loadcnt_dscnt 0x900
	v_mul_f64_e32 v[145:146], v[42:43], v[8:9]
	v_mul_f64_e32 v[8:9], v[44:45], v[8:9]
	s_delay_alu instid0(VALU_DEP_4) | instskip(NEXT) | instid1(VALU_DEP_4)
	v_fma_f64 v[147:148], v[38:39], v[2:3], -v[141:142]
	v_fma_f64 v[149:150], v[40:41], v[2:3], v[4:5]
	ds_load_b128 v[2:5], v1 offset:1088
	ds_load_b128 v[141:144], v1 offset:1104
	scratch_load_b128 v[38:41], off, off offset:544
	v_fma_f64 v[44:45], v[44:45], v[6:7], v[145:146]
	v_fma_f64 v[42:43], v[42:43], v[6:7], -v[8:9]
	scratch_load_b128 v[6:9], off, off offset:560
	s_wait_loadcnt_dscnt 0xa01
	v_mul_f64_e32 v[151:152], v[2:3], v[12:13]
	v_mul_f64_e32 v[12:13], v[4:5], v[12:13]
	v_add_f64_e32 v[145:146], 0, v[147:148]
	v_add_f64_e32 v[147:148], 0, v[149:150]
	s_wait_loadcnt_dscnt 0x900
	v_mul_f64_e32 v[149:150], v[141:142], v[16:17]
	v_mul_f64_e32 v[16:17], v[143:144], v[16:17]
	v_fma_f64 v[151:152], v[4:5], v[10:11], v[151:152]
	v_fma_f64 v[153:154], v[2:3], v[10:11], -v[12:13]
	ds_load_b128 v[2:5], v1 offset:1120
	scratch_load_b128 v[10:13], off, off offset:576
	v_add_f64_e32 v[145:146], v[145:146], v[42:43]
	v_add_f64_e32 v[147:148], v[147:148], v[44:45]
	ds_load_b128 v[42:45], v1 offset:1136
	v_fma_f64 v[143:144], v[143:144], v[14:15], v[149:150]
	v_fma_f64 v[141:142], v[141:142], v[14:15], -v[16:17]
	scratch_load_b128 v[14:17], off, off offset:592
	s_wait_loadcnt_dscnt 0xa01
	v_mul_f64_e32 v[155:156], v[2:3], v[20:21]
	v_mul_f64_e32 v[20:21], v[4:5], v[20:21]
	s_wait_loadcnt_dscnt 0x900
	v_mul_f64_e32 v[149:150], v[42:43], v[24:25]
	v_mul_f64_e32 v[24:25], v[44:45], v[24:25]
	v_add_f64_e32 v[145:146], v[145:146], v[153:154]
	v_add_f64_e32 v[147:148], v[147:148], v[151:152]
	v_fma_f64 v[151:152], v[4:5], v[18:19], v[155:156]
	v_fma_f64 v[153:154], v[2:3], v[18:19], -v[20:21]
	ds_load_b128 v[2:5], v1 offset:1152
	scratch_load_b128 v[18:21], off, off offset:608
	v_fma_f64 v[44:45], v[44:45], v[22:23], v[149:150]
	v_fma_f64 v[42:43], v[42:43], v[22:23], -v[24:25]
	scratch_load_b128 v[22:25], off, off offset:624
	v_add_f64_e32 v[145:146], v[145:146], v[141:142]
	v_add_f64_e32 v[147:148], v[147:148], v[143:144]
	ds_load_b128 v[141:144], v1 offset:1168
	s_wait_loadcnt_dscnt 0xa01
	v_mul_f64_e32 v[155:156], v[2:3], v[28:29]
	v_mul_f64_e32 v[28:29], v[4:5], v[28:29]
	s_wait_loadcnt_dscnt 0x900
	v_mul_f64_e32 v[149:150], v[141:142], v[32:33]
	v_mul_f64_e32 v[32:33], v[143:144], v[32:33]
	v_add_f64_e32 v[145:146], v[145:146], v[153:154]
	v_add_f64_e32 v[147:148], v[147:148], v[151:152]
	v_fma_f64 v[151:152], v[4:5], v[26:27], v[155:156]
	v_fma_f64 v[153:154], v[2:3], v[26:27], -v[28:29]
	ds_load_b128 v[2:5], v1 offset:1184
	scratch_load_b128 v[26:29], off, off offset:640
	v_fma_f64 v[143:144], v[143:144], v[30:31], v[149:150]
	v_fma_f64 v[141:142], v[141:142], v[30:31], -v[32:33]
	scratch_load_b128 v[30:33], off, off offset:656
	v_add_f64_e32 v[145:146], v[145:146], v[42:43]
	v_add_f64_e32 v[147:148], v[147:148], v[44:45]
	ds_load_b128 v[42:45], v1 offset:1200
	s_wait_loadcnt_dscnt 0xa01
	v_mul_f64_e32 v[155:156], v[2:3], v[36:37]
	v_mul_f64_e32 v[36:37], v[4:5], v[36:37]
	s_wait_loadcnt_dscnt 0x800
	v_mul_f64_e32 v[149:150], v[42:43], v[139:140]
	v_add_f64_e32 v[145:146], v[145:146], v[153:154]
	v_add_f64_e32 v[147:148], v[147:148], v[151:152]
	v_mul_f64_e32 v[151:152], v[44:45], v[139:140]
	v_fma_f64 v[153:154], v[4:5], v[34:35], v[155:156]
	v_fma_f64 v[155:156], v[2:3], v[34:35], -v[36:37]
	ds_load_b128 v[2:5], v1 offset:1216
	scratch_load_b128 v[34:37], off, off offset:672
	v_fma_f64 v[44:45], v[44:45], v[137:138], v[149:150]
	v_add_f64_e32 v[145:146], v[145:146], v[141:142]
	v_add_f64_e32 v[143:144], v[147:148], v[143:144]
	ds_load_b128 v[139:142], v1 offset:1232
	v_fma_f64 v[137:138], v[42:43], v[137:138], -v[151:152]
	s_wait_loadcnt_dscnt 0x801
	v_mul_f64_e32 v[147:148], v[2:3], v[40:41]
	v_mul_f64_e32 v[157:158], v[4:5], v[40:41]
	scratch_load_b128 v[40:43], off, off offset:688
	s_wait_loadcnt_dscnt 0x800
	v_mul_f64_e32 v[149:150], v[139:140], v[8:9]
	v_mul_f64_e32 v[8:9], v[141:142], v[8:9]
	v_add_f64_e32 v[145:146], v[145:146], v[155:156]
	v_add_f64_e32 v[143:144], v[143:144], v[153:154]
	v_fma_f64 v[147:148], v[4:5], v[38:39], v[147:148]
	v_fma_f64 v[38:39], v[2:3], v[38:39], -v[157:158]
	v_fma_f64 v[141:142], v[141:142], v[6:7], v[149:150]
	v_fma_f64 v[6:7], v[139:140], v[6:7], -v[8:9]
	v_add_f64_e32 v[137:138], v[145:146], v[137:138]
	v_add_f64_e32 v[44:45], v[143:144], v[44:45]
	ds_load_b128 v[2:5], v1 offset:1248
	ds_load_b128 v[143:146], v1 offset:1264
	s_wait_loadcnt_dscnt 0x701
	v_mul_f64_e32 v[151:152], v[2:3], v[12:13]
	v_mul_f64_e32 v[12:13], v[4:5], v[12:13]
	v_add_f64_e32 v[8:9], v[137:138], v[38:39]
	v_add_f64_e32 v[38:39], v[44:45], v[147:148]
	s_wait_loadcnt_dscnt 0x600
	v_mul_f64_e32 v[44:45], v[143:144], v[16:17]
	v_mul_f64_e32 v[16:17], v[145:146], v[16:17]
	v_fma_f64 v[137:138], v[4:5], v[10:11], v[151:152]
	v_fma_f64 v[10:11], v[2:3], v[10:11], -v[12:13]
	v_add_f64_e32 v[12:13], v[8:9], v[6:7]
	v_add_f64_e32 v[38:39], v[38:39], v[141:142]
	ds_load_b128 v[2:5], v1 offset:1280
	ds_load_b128 v[6:9], v1 offset:1296
	v_fma_f64 v[44:45], v[145:146], v[14:15], v[44:45]
	v_fma_f64 v[14:15], v[143:144], v[14:15], -v[16:17]
	s_wait_loadcnt_dscnt 0x501
	v_mul_f64_e32 v[139:140], v[2:3], v[20:21]
	v_mul_f64_e32 v[20:21], v[4:5], v[20:21]
	s_wait_loadcnt_dscnt 0x400
	v_mul_f64_e32 v[16:17], v[6:7], v[24:25]
	v_mul_f64_e32 v[24:25], v[8:9], v[24:25]
	v_add_f64_e32 v[10:11], v[12:13], v[10:11]
	v_add_f64_e32 v[12:13], v[38:39], v[137:138]
	v_fma_f64 v[38:39], v[4:5], v[18:19], v[139:140]
	v_fma_f64 v[18:19], v[2:3], v[18:19], -v[20:21]
	v_fma_f64 v[8:9], v[8:9], v[22:23], v[16:17]
	v_fma_f64 v[6:7], v[6:7], v[22:23], -v[24:25]
	v_add_f64_e32 v[14:15], v[10:11], v[14:15]
	v_add_f64_e32 v[20:21], v[12:13], v[44:45]
	ds_load_b128 v[2:5], v1 offset:1312
	ds_load_b128 v[10:13], v1 offset:1328
	s_wait_loadcnt_dscnt 0x301
	v_mul_f64_e32 v[44:45], v[2:3], v[28:29]
	v_mul_f64_e32 v[28:29], v[4:5], v[28:29]
	v_add_f64_e32 v[14:15], v[14:15], v[18:19]
	v_add_f64_e32 v[16:17], v[20:21], v[38:39]
	s_wait_loadcnt_dscnt 0x200
	v_mul_f64_e32 v[18:19], v[10:11], v[32:33]
	v_mul_f64_e32 v[20:21], v[12:13], v[32:33]
	v_fma_f64 v[22:23], v[4:5], v[26:27], v[44:45]
	v_fma_f64 v[24:25], v[2:3], v[26:27], -v[28:29]
	v_add_f64_e32 v[14:15], v[14:15], v[6:7]
	v_add_f64_e32 v[16:17], v[16:17], v[8:9]
	ds_load_b128 v[2:5], v1 offset:1344
	ds_load_b128 v[6:9], v1 offset:1360
	v_fma_f64 v[12:13], v[12:13], v[30:31], v[18:19]
	v_fma_f64 v[10:11], v[10:11], v[30:31], -v[20:21]
	s_wait_loadcnt_dscnt 0x101
	v_mul_f64_e32 v[26:27], v[2:3], v[36:37]
	v_mul_f64_e32 v[28:29], v[4:5], v[36:37]
	s_wait_loadcnt_dscnt 0x0
	v_mul_f64_e32 v[18:19], v[6:7], v[42:43]
	v_add_f64_e32 v[14:15], v[14:15], v[24:25]
	v_add_f64_e32 v[16:17], v[16:17], v[22:23]
	v_mul_f64_e32 v[20:21], v[8:9], v[42:43]
	v_fma_f64 v[4:5], v[4:5], v[34:35], v[26:27]
	v_fma_f64 v[1:2], v[2:3], v[34:35], -v[28:29]
	v_fma_f64 v[8:9], v[8:9], v[40:41], v[18:19]
	v_add_f64_e32 v[10:11], v[14:15], v[10:11]
	v_add_f64_e32 v[12:13], v[16:17], v[12:13]
	v_fma_f64 v[6:7], v[6:7], v[40:41], -v[20:21]
	s_delay_alu instid0(VALU_DEP_3) | instskip(NEXT) | instid1(VALU_DEP_3)
	v_add_f64_e32 v[1:2], v[10:11], v[1:2]
	v_add_f64_e32 v[3:4], v[12:13], v[4:5]
	s_delay_alu instid0(VALU_DEP_2) | instskip(NEXT) | instid1(VALU_DEP_2)
	v_add_f64_e32 v[1:2], v[1:2], v[6:7]
	v_add_f64_e32 v[3:4], v[3:4], v[8:9]
	s_delay_alu instid0(VALU_DEP_2) | instskip(NEXT) | instid1(VALU_DEP_2)
	v_add_f64_e64 v[1:2], v[133:134], -v[1:2]
	v_add_f64_e64 v[3:4], v[135:136], -v[3:4]
	scratch_store_b128 off, v[1:4], off offset:368
	v_cmpx_lt_u32_e32 21, v0
	s_cbranch_execz .LBB42_229
; %bb.228:
	scratch_load_b128 v[1:4], off, s35
	v_mov_b32_e32 v5, 0
	s_delay_alu instid0(VALU_DEP_1)
	v_dual_mov_b32 v6, v5 :: v_dual_mov_b32 v7, v5
	v_mov_b32_e32 v8, v5
	scratch_store_b128 off, v[5:8], off offset:352
	s_wait_loadcnt 0x0
	ds_store_b128 v132, v[1:4]
.LBB42_229:
	s_wait_alu 0xfffe
	s_or_b32 exec_lo, exec_lo, s0
	s_wait_storecnt_dscnt 0x0
	s_barrier_signal -1
	s_barrier_wait -1
	global_inv scope:SCOPE_SE
	s_clause 0x7
	scratch_load_b128 v[2:5], off, off offset:368
	scratch_load_b128 v[6:9], off, off offset:384
	;; [unrolled: 1-line block ×8, first 2 shown]
	v_mov_b32_e32 v1, 0
	s_mov_b32 s0, exec_lo
	ds_load_b128 v[34:37], v1 offset:1040
	s_clause 0x1
	scratch_load_b128 v[38:41], off, off offset:496
	scratch_load_b128 v[42:45], off, off offset:352
	ds_load_b128 v[133:136], v1 offset:1056
	scratch_load_b128 v[137:140], off, off offset:512
	s_wait_loadcnt_dscnt 0xa01
	v_mul_f64_e32 v[141:142], v[36:37], v[4:5]
	v_mul_f64_e32 v[4:5], v[34:35], v[4:5]
	s_delay_alu instid0(VALU_DEP_2) | instskip(NEXT) | instid1(VALU_DEP_2)
	v_fma_f64 v[147:148], v[34:35], v[2:3], -v[141:142]
	v_fma_f64 v[149:150], v[36:37], v[2:3], v[4:5]
	ds_load_b128 v[2:5], v1 offset:1072
	s_wait_loadcnt_dscnt 0x901
	v_mul_f64_e32 v[145:146], v[133:134], v[8:9]
	v_mul_f64_e32 v[8:9], v[135:136], v[8:9]
	scratch_load_b128 v[34:37], off, off offset:528
	ds_load_b128 v[141:144], v1 offset:1088
	s_wait_loadcnt_dscnt 0x901
	v_mul_f64_e32 v[151:152], v[2:3], v[12:13]
	v_mul_f64_e32 v[12:13], v[4:5], v[12:13]
	v_fma_f64 v[135:136], v[135:136], v[6:7], v[145:146]
	v_fma_f64 v[133:134], v[133:134], v[6:7], -v[8:9]
	v_add_f64_e32 v[145:146], 0, v[147:148]
	v_add_f64_e32 v[147:148], 0, v[149:150]
	scratch_load_b128 v[6:9], off, off offset:544
	v_fma_f64 v[151:152], v[4:5], v[10:11], v[151:152]
	v_fma_f64 v[153:154], v[2:3], v[10:11], -v[12:13]
	ds_load_b128 v[2:5], v1 offset:1104
	s_wait_loadcnt_dscnt 0x901
	v_mul_f64_e32 v[149:150], v[141:142], v[16:17]
	v_mul_f64_e32 v[16:17], v[143:144], v[16:17]
	scratch_load_b128 v[10:13], off, off offset:560
	v_add_f64_e32 v[145:146], v[145:146], v[133:134]
	v_add_f64_e32 v[147:148], v[147:148], v[135:136]
	s_wait_loadcnt_dscnt 0x900
	v_mul_f64_e32 v[155:156], v[2:3], v[20:21]
	v_mul_f64_e32 v[20:21], v[4:5], v[20:21]
	ds_load_b128 v[133:136], v1 offset:1120
	v_fma_f64 v[143:144], v[143:144], v[14:15], v[149:150]
	v_fma_f64 v[141:142], v[141:142], v[14:15], -v[16:17]
	scratch_load_b128 v[14:17], off, off offset:576
	v_add_f64_e32 v[145:146], v[145:146], v[153:154]
	v_add_f64_e32 v[147:148], v[147:148], v[151:152]
	v_fma_f64 v[151:152], v[4:5], v[18:19], v[155:156]
	v_fma_f64 v[153:154], v[2:3], v[18:19], -v[20:21]
	ds_load_b128 v[2:5], v1 offset:1136
	s_wait_loadcnt_dscnt 0x901
	v_mul_f64_e32 v[149:150], v[133:134], v[24:25]
	v_mul_f64_e32 v[24:25], v[135:136], v[24:25]
	scratch_load_b128 v[18:21], off, off offset:592
	s_wait_loadcnt_dscnt 0x900
	v_mul_f64_e32 v[155:156], v[2:3], v[28:29]
	v_mul_f64_e32 v[28:29], v[4:5], v[28:29]
	v_add_f64_e32 v[145:146], v[145:146], v[141:142]
	v_add_f64_e32 v[147:148], v[147:148], v[143:144]
	ds_load_b128 v[141:144], v1 offset:1152
	v_fma_f64 v[135:136], v[135:136], v[22:23], v[149:150]
	v_fma_f64 v[133:134], v[133:134], v[22:23], -v[24:25]
	scratch_load_b128 v[22:25], off, off offset:608
	v_add_f64_e32 v[145:146], v[145:146], v[153:154]
	v_add_f64_e32 v[147:148], v[147:148], v[151:152]
	v_fma_f64 v[151:152], v[4:5], v[26:27], v[155:156]
	v_fma_f64 v[153:154], v[2:3], v[26:27], -v[28:29]
	ds_load_b128 v[2:5], v1 offset:1168
	s_wait_loadcnt_dscnt 0x901
	v_mul_f64_e32 v[149:150], v[141:142], v[32:33]
	v_mul_f64_e32 v[32:33], v[143:144], v[32:33]
	scratch_load_b128 v[26:29], off, off offset:624
	s_wait_loadcnt_dscnt 0x900
	v_mul_f64_e32 v[155:156], v[2:3], v[40:41]
	v_mul_f64_e32 v[40:41], v[4:5], v[40:41]
	v_add_f64_e32 v[145:146], v[145:146], v[133:134]
	v_add_f64_e32 v[147:148], v[147:148], v[135:136]
	ds_load_b128 v[133:136], v1 offset:1184
	v_fma_f64 v[143:144], v[143:144], v[30:31], v[149:150]
	v_fma_f64 v[141:142], v[141:142], v[30:31], -v[32:33]
	scratch_load_b128 v[30:33], off, off offset:640
	v_add_f64_e32 v[145:146], v[145:146], v[153:154]
	v_add_f64_e32 v[147:148], v[147:148], v[151:152]
	v_fma_f64 v[153:154], v[4:5], v[38:39], v[155:156]
	v_fma_f64 v[155:156], v[2:3], v[38:39], -v[40:41]
	ds_load_b128 v[2:5], v1 offset:1200
	s_wait_loadcnt_dscnt 0x801
	v_mul_f64_e32 v[149:150], v[133:134], v[139:140]
	v_mul_f64_e32 v[151:152], v[135:136], v[139:140]
	scratch_load_b128 v[38:41], off, off offset:656
	v_add_f64_e32 v[145:146], v[145:146], v[141:142]
	v_add_f64_e32 v[143:144], v[147:148], v[143:144]
	ds_load_b128 v[139:142], v1 offset:1216
	v_fma_f64 v[149:150], v[135:136], v[137:138], v[149:150]
	v_fma_f64 v[137:138], v[133:134], v[137:138], -v[151:152]
	scratch_load_b128 v[133:136], off, off offset:672
	s_wait_loadcnt_dscnt 0x901
	v_mul_f64_e32 v[147:148], v[2:3], v[36:37]
	v_mul_f64_e32 v[36:37], v[4:5], v[36:37]
	v_add_f64_e32 v[145:146], v[145:146], v[155:156]
	v_add_f64_e32 v[143:144], v[143:144], v[153:154]
	s_delay_alu instid0(VALU_DEP_4) | instskip(NEXT) | instid1(VALU_DEP_4)
	v_fma_f64 v[147:148], v[4:5], v[34:35], v[147:148]
	v_fma_f64 v[153:154], v[2:3], v[34:35], -v[36:37]
	ds_load_b128 v[2:5], v1 offset:1232
	s_wait_loadcnt_dscnt 0x801
	v_mul_f64_e32 v[151:152], v[139:140], v[8:9]
	v_mul_f64_e32 v[8:9], v[141:142], v[8:9]
	scratch_load_b128 v[34:37], off, off offset:688
	s_wait_loadcnt_dscnt 0x800
	v_mul_f64_e32 v[155:156], v[2:3], v[12:13]
	v_add_f64_e32 v[137:138], v[145:146], v[137:138]
	v_add_f64_e32 v[149:150], v[143:144], v[149:150]
	v_mul_f64_e32 v[12:13], v[4:5], v[12:13]
	ds_load_b128 v[143:146], v1 offset:1248
	v_fma_f64 v[141:142], v[141:142], v[6:7], v[151:152]
	v_fma_f64 v[6:7], v[139:140], v[6:7], -v[8:9]
	s_wait_loadcnt_dscnt 0x700
	v_mul_f64_e32 v[139:140], v[143:144], v[16:17]
	v_add_f64_e32 v[8:9], v[137:138], v[153:154]
	v_add_f64_e32 v[137:138], v[149:150], v[147:148]
	v_mul_f64_e32 v[16:17], v[145:146], v[16:17]
	v_fma_f64 v[147:148], v[4:5], v[10:11], v[155:156]
	v_fma_f64 v[10:11], v[2:3], v[10:11], -v[12:13]
	v_fma_f64 v[139:140], v[145:146], v[14:15], v[139:140]
	v_add_f64_e32 v[12:13], v[8:9], v[6:7]
	v_add_f64_e32 v[137:138], v[137:138], v[141:142]
	ds_load_b128 v[2:5], v1 offset:1264
	ds_load_b128 v[6:9], v1 offset:1280
	v_fma_f64 v[14:15], v[143:144], v[14:15], -v[16:17]
	s_wait_loadcnt_dscnt 0x601
	v_mul_f64_e32 v[141:142], v[2:3], v[20:21]
	v_mul_f64_e32 v[20:21], v[4:5], v[20:21]
	s_wait_loadcnt_dscnt 0x500
	v_mul_f64_e32 v[16:17], v[6:7], v[24:25]
	v_mul_f64_e32 v[24:25], v[8:9], v[24:25]
	v_add_f64_e32 v[10:11], v[12:13], v[10:11]
	v_add_f64_e32 v[12:13], v[137:138], v[147:148]
	v_fma_f64 v[137:138], v[4:5], v[18:19], v[141:142]
	v_fma_f64 v[18:19], v[2:3], v[18:19], -v[20:21]
	v_fma_f64 v[8:9], v[8:9], v[22:23], v[16:17]
	v_fma_f64 v[6:7], v[6:7], v[22:23], -v[24:25]
	v_add_f64_e32 v[14:15], v[10:11], v[14:15]
	v_add_f64_e32 v[20:21], v[12:13], v[139:140]
	ds_load_b128 v[2:5], v1 offset:1296
	ds_load_b128 v[10:13], v1 offset:1312
	s_wait_loadcnt_dscnt 0x401
	v_mul_f64_e32 v[139:140], v[2:3], v[28:29]
	v_mul_f64_e32 v[28:29], v[4:5], v[28:29]
	v_add_f64_e32 v[14:15], v[14:15], v[18:19]
	v_add_f64_e32 v[16:17], v[20:21], v[137:138]
	s_wait_loadcnt_dscnt 0x300
	v_mul_f64_e32 v[18:19], v[10:11], v[32:33]
	v_mul_f64_e32 v[20:21], v[12:13], v[32:33]
	v_fma_f64 v[22:23], v[4:5], v[26:27], v[139:140]
	v_fma_f64 v[24:25], v[2:3], v[26:27], -v[28:29]
	v_add_f64_e32 v[14:15], v[14:15], v[6:7]
	v_add_f64_e32 v[16:17], v[16:17], v[8:9]
	ds_load_b128 v[2:5], v1 offset:1328
	ds_load_b128 v[6:9], v1 offset:1344
	v_fma_f64 v[12:13], v[12:13], v[30:31], v[18:19]
	v_fma_f64 v[10:11], v[10:11], v[30:31], -v[20:21]
	s_wait_loadcnt_dscnt 0x201
	v_mul_f64_e32 v[26:27], v[2:3], v[40:41]
	v_mul_f64_e32 v[28:29], v[4:5], v[40:41]
	s_wait_loadcnt_dscnt 0x100
	v_mul_f64_e32 v[18:19], v[6:7], v[135:136]
	v_mul_f64_e32 v[20:21], v[8:9], v[135:136]
	v_add_f64_e32 v[14:15], v[14:15], v[24:25]
	v_add_f64_e32 v[16:17], v[16:17], v[22:23]
	v_fma_f64 v[22:23], v[4:5], v[38:39], v[26:27]
	v_fma_f64 v[24:25], v[2:3], v[38:39], -v[28:29]
	ds_load_b128 v[2:5], v1 offset:1360
	v_fma_f64 v[8:9], v[8:9], v[133:134], v[18:19]
	v_fma_f64 v[6:7], v[6:7], v[133:134], -v[20:21]
	v_add_f64_e32 v[10:11], v[14:15], v[10:11]
	v_add_f64_e32 v[12:13], v[16:17], v[12:13]
	s_wait_loadcnt_dscnt 0x0
	v_mul_f64_e32 v[14:15], v[2:3], v[36:37]
	v_mul_f64_e32 v[16:17], v[4:5], v[36:37]
	s_delay_alu instid0(VALU_DEP_4) | instskip(NEXT) | instid1(VALU_DEP_4)
	v_add_f64_e32 v[10:11], v[10:11], v[24:25]
	v_add_f64_e32 v[12:13], v[12:13], v[22:23]
	s_delay_alu instid0(VALU_DEP_4) | instskip(NEXT) | instid1(VALU_DEP_4)
	v_fma_f64 v[4:5], v[4:5], v[34:35], v[14:15]
	v_fma_f64 v[2:3], v[2:3], v[34:35], -v[16:17]
	s_delay_alu instid0(VALU_DEP_4) | instskip(NEXT) | instid1(VALU_DEP_4)
	v_add_f64_e32 v[6:7], v[10:11], v[6:7]
	v_add_f64_e32 v[8:9], v[12:13], v[8:9]
	s_delay_alu instid0(VALU_DEP_2) | instskip(NEXT) | instid1(VALU_DEP_2)
	v_add_f64_e32 v[2:3], v[6:7], v[2:3]
	v_add_f64_e32 v[4:5], v[8:9], v[4:5]
	s_delay_alu instid0(VALU_DEP_2) | instskip(NEXT) | instid1(VALU_DEP_2)
	v_add_f64_e64 v[2:3], v[42:43], -v[2:3]
	v_add_f64_e64 v[4:5], v[44:45], -v[4:5]
	scratch_store_b128 off, v[2:5], off offset:352
	v_cmpx_lt_u32_e32 20, v0
	s_cbranch_execz .LBB42_231
; %bb.230:
	scratch_load_b128 v[5:8], off, s36
	v_dual_mov_b32 v2, v1 :: v_dual_mov_b32 v3, v1
	v_mov_b32_e32 v4, v1
	scratch_store_b128 off, v[1:4], off offset:336
	s_wait_loadcnt 0x0
	ds_store_b128 v132, v[5:8]
.LBB42_231:
	s_wait_alu 0xfffe
	s_or_b32 exec_lo, exec_lo, s0
	s_wait_storecnt_dscnt 0x0
	s_barrier_signal -1
	s_barrier_wait -1
	global_inv scope:SCOPE_SE
	s_clause 0x8
	scratch_load_b128 v[2:5], off, off offset:352
	scratch_load_b128 v[6:9], off, off offset:368
	;; [unrolled: 1-line block ×9, first 2 shown]
	ds_load_b128 v[38:41], v1 offset:1024
	ds_load_b128 v[42:45], v1 offset:1040
	s_clause 0x1
	scratch_load_b128 v[133:136], off, off offset:336
	scratch_load_b128 v[137:140], off, off offset:496
	s_mov_b32 s0, exec_lo
	s_wait_loadcnt_dscnt 0xa01
	v_mul_f64_e32 v[141:142], v[40:41], v[4:5]
	v_mul_f64_e32 v[4:5], v[38:39], v[4:5]
	s_wait_loadcnt_dscnt 0x900
	v_mul_f64_e32 v[145:146], v[42:43], v[8:9]
	v_mul_f64_e32 v[8:9], v[44:45], v[8:9]
	s_delay_alu instid0(VALU_DEP_4) | instskip(NEXT) | instid1(VALU_DEP_4)
	v_fma_f64 v[147:148], v[38:39], v[2:3], -v[141:142]
	v_fma_f64 v[149:150], v[40:41], v[2:3], v[4:5]
	ds_load_b128 v[2:5], v1 offset:1056
	ds_load_b128 v[141:144], v1 offset:1072
	scratch_load_b128 v[38:41], off, off offset:512
	v_fma_f64 v[44:45], v[44:45], v[6:7], v[145:146]
	v_fma_f64 v[42:43], v[42:43], v[6:7], -v[8:9]
	scratch_load_b128 v[6:9], off, off offset:528
	s_wait_loadcnt_dscnt 0xa01
	v_mul_f64_e32 v[151:152], v[2:3], v[12:13]
	v_mul_f64_e32 v[12:13], v[4:5], v[12:13]
	v_add_f64_e32 v[145:146], 0, v[147:148]
	v_add_f64_e32 v[147:148], 0, v[149:150]
	s_wait_loadcnt_dscnt 0x900
	v_mul_f64_e32 v[149:150], v[141:142], v[16:17]
	v_mul_f64_e32 v[16:17], v[143:144], v[16:17]
	v_fma_f64 v[151:152], v[4:5], v[10:11], v[151:152]
	v_fma_f64 v[153:154], v[2:3], v[10:11], -v[12:13]
	ds_load_b128 v[2:5], v1 offset:1088
	scratch_load_b128 v[10:13], off, off offset:544
	v_add_f64_e32 v[145:146], v[145:146], v[42:43]
	v_add_f64_e32 v[147:148], v[147:148], v[44:45]
	ds_load_b128 v[42:45], v1 offset:1104
	v_fma_f64 v[143:144], v[143:144], v[14:15], v[149:150]
	v_fma_f64 v[141:142], v[141:142], v[14:15], -v[16:17]
	scratch_load_b128 v[14:17], off, off offset:560
	s_wait_loadcnt_dscnt 0xa01
	v_mul_f64_e32 v[155:156], v[2:3], v[20:21]
	v_mul_f64_e32 v[20:21], v[4:5], v[20:21]
	s_wait_loadcnt_dscnt 0x900
	v_mul_f64_e32 v[149:150], v[42:43], v[24:25]
	v_mul_f64_e32 v[24:25], v[44:45], v[24:25]
	v_add_f64_e32 v[145:146], v[145:146], v[153:154]
	v_add_f64_e32 v[147:148], v[147:148], v[151:152]
	v_fma_f64 v[151:152], v[4:5], v[18:19], v[155:156]
	v_fma_f64 v[153:154], v[2:3], v[18:19], -v[20:21]
	ds_load_b128 v[2:5], v1 offset:1120
	scratch_load_b128 v[18:21], off, off offset:576
	v_fma_f64 v[44:45], v[44:45], v[22:23], v[149:150]
	v_fma_f64 v[42:43], v[42:43], v[22:23], -v[24:25]
	scratch_load_b128 v[22:25], off, off offset:592
	v_add_f64_e32 v[145:146], v[145:146], v[141:142]
	v_add_f64_e32 v[147:148], v[147:148], v[143:144]
	ds_load_b128 v[141:144], v1 offset:1136
	s_wait_loadcnt_dscnt 0xa01
	v_mul_f64_e32 v[155:156], v[2:3], v[28:29]
	v_mul_f64_e32 v[28:29], v[4:5], v[28:29]
	s_wait_loadcnt_dscnt 0x900
	v_mul_f64_e32 v[149:150], v[141:142], v[32:33]
	v_mul_f64_e32 v[32:33], v[143:144], v[32:33]
	v_add_f64_e32 v[145:146], v[145:146], v[153:154]
	v_add_f64_e32 v[147:148], v[147:148], v[151:152]
	v_fma_f64 v[151:152], v[4:5], v[26:27], v[155:156]
	v_fma_f64 v[153:154], v[2:3], v[26:27], -v[28:29]
	ds_load_b128 v[2:5], v1 offset:1152
	scratch_load_b128 v[26:29], off, off offset:608
	v_fma_f64 v[143:144], v[143:144], v[30:31], v[149:150]
	v_fma_f64 v[141:142], v[141:142], v[30:31], -v[32:33]
	scratch_load_b128 v[30:33], off, off offset:624
	v_add_f64_e32 v[145:146], v[145:146], v[42:43]
	v_add_f64_e32 v[147:148], v[147:148], v[44:45]
	ds_load_b128 v[42:45], v1 offset:1168
	s_wait_loadcnt_dscnt 0xa01
	v_mul_f64_e32 v[155:156], v[2:3], v[36:37]
	v_mul_f64_e32 v[36:37], v[4:5], v[36:37]
	s_wait_loadcnt_dscnt 0x800
	v_mul_f64_e32 v[149:150], v[42:43], v[139:140]
	v_add_f64_e32 v[145:146], v[145:146], v[153:154]
	v_add_f64_e32 v[147:148], v[147:148], v[151:152]
	v_mul_f64_e32 v[151:152], v[44:45], v[139:140]
	v_fma_f64 v[153:154], v[4:5], v[34:35], v[155:156]
	v_fma_f64 v[155:156], v[2:3], v[34:35], -v[36:37]
	ds_load_b128 v[2:5], v1 offset:1184
	scratch_load_b128 v[34:37], off, off offset:640
	v_fma_f64 v[44:45], v[44:45], v[137:138], v[149:150]
	v_add_f64_e32 v[145:146], v[145:146], v[141:142]
	v_add_f64_e32 v[143:144], v[147:148], v[143:144]
	ds_load_b128 v[139:142], v1 offset:1200
	v_fma_f64 v[137:138], v[42:43], v[137:138], -v[151:152]
	s_wait_loadcnt_dscnt 0x801
	v_mul_f64_e32 v[147:148], v[2:3], v[40:41]
	v_mul_f64_e32 v[157:158], v[4:5], v[40:41]
	scratch_load_b128 v[40:43], off, off offset:656
	s_wait_loadcnt_dscnt 0x800
	v_mul_f64_e32 v[151:152], v[139:140], v[8:9]
	v_mul_f64_e32 v[8:9], v[141:142], v[8:9]
	v_add_f64_e32 v[145:146], v[145:146], v[155:156]
	v_add_f64_e32 v[143:144], v[143:144], v[153:154]
	v_fma_f64 v[153:154], v[4:5], v[38:39], v[147:148]
	v_fma_f64 v[38:39], v[2:3], v[38:39], -v[157:158]
	ds_load_b128 v[2:5], v1 offset:1216
	ds_load_b128 v[147:150], v1 offset:1232
	v_fma_f64 v[141:142], v[141:142], v[6:7], v[151:152]
	v_fma_f64 v[139:140], v[139:140], v[6:7], -v[8:9]
	scratch_load_b128 v[6:9], off, off offset:688
	v_add_f64_e32 v[137:138], v[145:146], v[137:138]
	v_add_f64_e32 v[44:45], v[143:144], v[44:45]
	scratch_load_b128 v[143:146], off, off offset:672
	s_wait_loadcnt_dscnt 0x901
	v_mul_f64_e32 v[155:156], v[2:3], v[12:13]
	v_mul_f64_e32 v[12:13], v[4:5], v[12:13]
	v_add_f64_e32 v[38:39], v[137:138], v[38:39]
	v_add_f64_e32 v[44:45], v[44:45], v[153:154]
	s_wait_loadcnt_dscnt 0x800
	v_mul_f64_e32 v[137:138], v[147:148], v[16:17]
	v_mul_f64_e32 v[16:17], v[149:150], v[16:17]
	v_fma_f64 v[151:152], v[4:5], v[10:11], v[155:156]
	v_fma_f64 v[153:154], v[2:3], v[10:11], -v[12:13]
	ds_load_b128 v[2:5], v1 offset:1248
	ds_load_b128 v[10:13], v1 offset:1264
	v_add_f64_e32 v[38:39], v[38:39], v[139:140]
	v_add_f64_e32 v[44:45], v[44:45], v[141:142]
	s_wait_loadcnt_dscnt 0x701
	v_mul_f64_e32 v[139:140], v[2:3], v[20:21]
	v_mul_f64_e32 v[20:21], v[4:5], v[20:21]
	v_fma_f64 v[137:138], v[149:150], v[14:15], v[137:138]
	v_fma_f64 v[14:15], v[147:148], v[14:15], -v[16:17]
	v_add_f64_e32 v[16:17], v[38:39], v[153:154]
	v_add_f64_e32 v[38:39], v[44:45], v[151:152]
	s_wait_loadcnt_dscnt 0x600
	v_mul_f64_e32 v[44:45], v[10:11], v[24:25]
	v_mul_f64_e32 v[24:25], v[12:13], v[24:25]
	v_fma_f64 v[139:140], v[4:5], v[18:19], v[139:140]
	v_fma_f64 v[18:19], v[2:3], v[18:19], -v[20:21]
	v_add_f64_e32 v[20:21], v[16:17], v[14:15]
	v_add_f64_e32 v[38:39], v[38:39], v[137:138]
	ds_load_b128 v[2:5], v1 offset:1280
	ds_load_b128 v[14:17], v1 offset:1296
	v_fma_f64 v[12:13], v[12:13], v[22:23], v[44:45]
	v_fma_f64 v[10:11], v[10:11], v[22:23], -v[24:25]
	s_wait_loadcnt_dscnt 0x501
	v_mul_f64_e32 v[137:138], v[2:3], v[28:29]
	v_mul_f64_e32 v[28:29], v[4:5], v[28:29]
	s_wait_loadcnt_dscnt 0x400
	v_mul_f64_e32 v[22:23], v[14:15], v[32:33]
	v_mul_f64_e32 v[24:25], v[16:17], v[32:33]
	v_add_f64_e32 v[18:19], v[20:21], v[18:19]
	v_add_f64_e32 v[20:21], v[38:39], v[139:140]
	v_fma_f64 v[32:33], v[4:5], v[26:27], v[137:138]
	v_fma_f64 v[26:27], v[2:3], v[26:27], -v[28:29]
	v_fma_f64 v[16:17], v[16:17], v[30:31], v[22:23]
	v_fma_f64 v[14:15], v[14:15], v[30:31], -v[24:25]
	v_add_f64_e32 v[18:19], v[18:19], v[10:11]
	v_add_f64_e32 v[20:21], v[20:21], v[12:13]
	ds_load_b128 v[2:5], v1 offset:1312
	ds_load_b128 v[10:13], v1 offset:1328
	s_wait_loadcnt_dscnt 0x301
	v_mul_f64_e32 v[28:29], v[2:3], v[36:37]
	v_mul_f64_e32 v[36:37], v[4:5], v[36:37]
	s_wait_loadcnt_dscnt 0x200
	v_mul_f64_e32 v[22:23], v[10:11], v[42:43]
	v_add_f64_e32 v[18:19], v[18:19], v[26:27]
	v_add_f64_e32 v[20:21], v[20:21], v[32:33]
	v_mul_f64_e32 v[24:25], v[12:13], v[42:43]
	v_fma_f64 v[26:27], v[4:5], v[34:35], v[28:29]
	v_fma_f64 v[28:29], v[2:3], v[34:35], -v[36:37]
	v_fma_f64 v[12:13], v[12:13], v[40:41], v[22:23]
	v_add_f64_e32 v[18:19], v[18:19], v[14:15]
	v_add_f64_e32 v[20:21], v[20:21], v[16:17]
	ds_load_b128 v[2:5], v1 offset:1344
	ds_load_b128 v[14:17], v1 offset:1360
	v_fma_f64 v[10:11], v[10:11], v[40:41], -v[24:25]
	s_wait_loadcnt_dscnt 0x1
	v_mul_f64_e32 v[30:31], v[2:3], v[145:146]
	v_mul_f64_e32 v[32:33], v[4:5], v[145:146]
	s_wait_dscnt 0x0
	v_mul_f64_e32 v[22:23], v[14:15], v[8:9]
	v_mul_f64_e32 v[8:9], v[16:17], v[8:9]
	v_add_f64_e32 v[18:19], v[18:19], v[28:29]
	v_add_f64_e32 v[20:21], v[20:21], v[26:27]
	v_fma_f64 v[4:5], v[4:5], v[143:144], v[30:31]
	v_fma_f64 v[1:2], v[2:3], v[143:144], -v[32:33]
	v_fma_f64 v[16:17], v[16:17], v[6:7], v[22:23]
	v_fma_f64 v[6:7], v[14:15], v[6:7], -v[8:9]
	v_add_f64_e32 v[10:11], v[18:19], v[10:11]
	v_add_f64_e32 v[12:13], v[20:21], v[12:13]
	s_delay_alu instid0(VALU_DEP_2) | instskip(NEXT) | instid1(VALU_DEP_2)
	v_add_f64_e32 v[1:2], v[10:11], v[1:2]
	v_add_f64_e32 v[3:4], v[12:13], v[4:5]
	s_delay_alu instid0(VALU_DEP_2) | instskip(NEXT) | instid1(VALU_DEP_2)
	;; [unrolled: 3-line block ×3, first 2 shown]
	v_add_f64_e64 v[1:2], v[133:134], -v[1:2]
	v_add_f64_e64 v[3:4], v[135:136], -v[3:4]
	scratch_store_b128 off, v[1:4], off offset:336
	v_cmpx_lt_u32_e32 19, v0
	s_cbranch_execz .LBB42_233
; %bb.232:
	scratch_load_b128 v[1:4], off, s37
	v_mov_b32_e32 v5, 0
	s_delay_alu instid0(VALU_DEP_1)
	v_dual_mov_b32 v6, v5 :: v_dual_mov_b32 v7, v5
	v_mov_b32_e32 v8, v5
	scratch_store_b128 off, v[5:8], off offset:320
	s_wait_loadcnt 0x0
	ds_store_b128 v132, v[1:4]
.LBB42_233:
	s_wait_alu 0xfffe
	s_or_b32 exec_lo, exec_lo, s0
	s_wait_storecnt_dscnt 0x0
	s_barrier_signal -1
	s_barrier_wait -1
	global_inv scope:SCOPE_SE
	s_clause 0x7
	scratch_load_b128 v[2:5], off, off offset:336
	scratch_load_b128 v[6:9], off, off offset:352
	;; [unrolled: 1-line block ×8, first 2 shown]
	v_mov_b32_e32 v1, 0
	s_mov_b32 s0, exec_lo
	ds_load_b128 v[34:37], v1 offset:1008
	s_clause 0x1
	scratch_load_b128 v[38:41], off, off offset:464
	scratch_load_b128 v[42:45], off, off offset:320
	ds_load_b128 v[133:136], v1 offset:1024
	scratch_load_b128 v[137:140], off, off offset:480
	s_wait_loadcnt_dscnt 0xa01
	v_mul_f64_e32 v[141:142], v[36:37], v[4:5]
	v_mul_f64_e32 v[4:5], v[34:35], v[4:5]
	s_delay_alu instid0(VALU_DEP_2) | instskip(NEXT) | instid1(VALU_DEP_2)
	v_fma_f64 v[147:148], v[34:35], v[2:3], -v[141:142]
	v_fma_f64 v[149:150], v[36:37], v[2:3], v[4:5]
	ds_load_b128 v[2:5], v1 offset:1040
	s_wait_loadcnt_dscnt 0x901
	v_mul_f64_e32 v[145:146], v[133:134], v[8:9]
	v_mul_f64_e32 v[8:9], v[135:136], v[8:9]
	scratch_load_b128 v[34:37], off, off offset:496
	ds_load_b128 v[141:144], v1 offset:1056
	s_wait_loadcnt_dscnt 0x901
	v_mul_f64_e32 v[151:152], v[2:3], v[12:13]
	v_mul_f64_e32 v[12:13], v[4:5], v[12:13]
	v_fma_f64 v[135:136], v[135:136], v[6:7], v[145:146]
	v_fma_f64 v[133:134], v[133:134], v[6:7], -v[8:9]
	v_add_f64_e32 v[145:146], 0, v[147:148]
	v_add_f64_e32 v[147:148], 0, v[149:150]
	scratch_load_b128 v[6:9], off, off offset:512
	v_fma_f64 v[151:152], v[4:5], v[10:11], v[151:152]
	v_fma_f64 v[153:154], v[2:3], v[10:11], -v[12:13]
	ds_load_b128 v[2:5], v1 offset:1072
	s_wait_loadcnt_dscnt 0x901
	v_mul_f64_e32 v[149:150], v[141:142], v[16:17]
	v_mul_f64_e32 v[16:17], v[143:144], v[16:17]
	scratch_load_b128 v[10:13], off, off offset:528
	v_add_f64_e32 v[145:146], v[145:146], v[133:134]
	v_add_f64_e32 v[147:148], v[147:148], v[135:136]
	s_wait_loadcnt_dscnt 0x900
	v_mul_f64_e32 v[155:156], v[2:3], v[20:21]
	v_mul_f64_e32 v[20:21], v[4:5], v[20:21]
	ds_load_b128 v[133:136], v1 offset:1088
	v_fma_f64 v[143:144], v[143:144], v[14:15], v[149:150]
	v_fma_f64 v[141:142], v[141:142], v[14:15], -v[16:17]
	scratch_load_b128 v[14:17], off, off offset:544
	v_add_f64_e32 v[145:146], v[145:146], v[153:154]
	v_add_f64_e32 v[147:148], v[147:148], v[151:152]
	v_fma_f64 v[151:152], v[4:5], v[18:19], v[155:156]
	v_fma_f64 v[153:154], v[2:3], v[18:19], -v[20:21]
	ds_load_b128 v[2:5], v1 offset:1104
	s_wait_loadcnt_dscnt 0x901
	v_mul_f64_e32 v[149:150], v[133:134], v[24:25]
	v_mul_f64_e32 v[24:25], v[135:136], v[24:25]
	scratch_load_b128 v[18:21], off, off offset:560
	s_wait_loadcnt_dscnt 0x900
	v_mul_f64_e32 v[155:156], v[2:3], v[28:29]
	v_mul_f64_e32 v[28:29], v[4:5], v[28:29]
	v_add_f64_e32 v[145:146], v[145:146], v[141:142]
	v_add_f64_e32 v[147:148], v[147:148], v[143:144]
	ds_load_b128 v[141:144], v1 offset:1120
	v_fma_f64 v[135:136], v[135:136], v[22:23], v[149:150]
	v_fma_f64 v[133:134], v[133:134], v[22:23], -v[24:25]
	scratch_load_b128 v[22:25], off, off offset:576
	v_add_f64_e32 v[145:146], v[145:146], v[153:154]
	v_add_f64_e32 v[147:148], v[147:148], v[151:152]
	v_fma_f64 v[151:152], v[4:5], v[26:27], v[155:156]
	v_fma_f64 v[153:154], v[2:3], v[26:27], -v[28:29]
	ds_load_b128 v[2:5], v1 offset:1136
	s_wait_loadcnt_dscnt 0x901
	v_mul_f64_e32 v[149:150], v[141:142], v[32:33]
	v_mul_f64_e32 v[32:33], v[143:144], v[32:33]
	scratch_load_b128 v[26:29], off, off offset:592
	s_wait_loadcnt_dscnt 0x900
	v_mul_f64_e32 v[155:156], v[2:3], v[40:41]
	v_mul_f64_e32 v[40:41], v[4:5], v[40:41]
	v_add_f64_e32 v[145:146], v[145:146], v[133:134]
	v_add_f64_e32 v[147:148], v[147:148], v[135:136]
	ds_load_b128 v[133:136], v1 offset:1152
	v_fma_f64 v[143:144], v[143:144], v[30:31], v[149:150]
	v_fma_f64 v[141:142], v[141:142], v[30:31], -v[32:33]
	scratch_load_b128 v[30:33], off, off offset:608
	v_add_f64_e32 v[145:146], v[145:146], v[153:154]
	v_add_f64_e32 v[147:148], v[147:148], v[151:152]
	v_fma_f64 v[153:154], v[4:5], v[38:39], v[155:156]
	v_fma_f64 v[155:156], v[2:3], v[38:39], -v[40:41]
	ds_load_b128 v[2:5], v1 offset:1168
	s_wait_loadcnt_dscnt 0x801
	v_mul_f64_e32 v[149:150], v[133:134], v[139:140]
	v_mul_f64_e32 v[151:152], v[135:136], v[139:140]
	scratch_load_b128 v[38:41], off, off offset:624
	v_add_f64_e32 v[145:146], v[145:146], v[141:142]
	v_add_f64_e32 v[143:144], v[147:148], v[143:144]
	ds_load_b128 v[139:142], v1 offset:1184
	v_fma_f64 v[149:150], v[135:136], v[137:138], v[149:150]
	v_fma_f64 v[137:138], v[133:134], v[137:138], -v[151:152]
	scratch_load_b128 v[133:136], off, off offset:640
	s_wait_loadcnt_dscnt 0x901
	v_mul_f64_e32 v[147:148], v[2:3], v[36:37]
	v_mul_f64_e32 v[36:37], v[4:5], v[36:37]
	v_add_f64_e32 v[145:146], v[145:146], v[155:156]
	v_add_f64_e32 v[143:144], v[143:144], v[153:154]
	s_delay_alu instid0(VALU_DEP_4) | instskip(NEXT) | instid1(VALU_DEP_4)
	v_fma_f64 v[147:148], v[4:5], v[34:35], v[147:148]
	v_fma_f64 v[153:154], v[2:3], v[34:35], -v[36:37]
	ds_load_b128 v[2:5], v1 offset:1200
	s_wait_loadcnt_dscnt 0x801
	v_mul_f64_e32 v[151:152], v[139:140], v[8:9]
	v_mul_f64_e32 v[8:9], v[141:142], v[8:9]
	scratch_load_b128 v[34:37], off, off offset:656
	s_wait_loadcnt_dscnt 0x800
	v_mul_f64_e32 v[155:156], v[2:3], v[12:13]
	v_add_f64_e32 v[137:138], v[145:146], v[137:138]
	v_add_f64_e32 v[149:150], v[143:144], v[149:150]
	v_mul_f64_e32 v[12:13], v[4:5], v[12:13]
	ds_load_b128 v[143:146], v1 offset:1216
	v_fma_f64 v[141:142], v[141:142], v[6:7], v[151:152]
	v_fma_f64 v[139:140], v[139:140], v[6:7], -v[8:9]
	scratch_load_b128 v[6:9], off, off offset:672
	v_fma_f64 v[151:152], v[4:5], v[10:11], v[155:156]
	v_add_f64_e32 v[137:138], v[137:138], v[153:154]
	v_add_f64_e32 v[147:148], v[149:150], v[147:148]
	v_fma_f64 v[153:154], v[2:3], v[10:11], -v[12:13]
	ds_load_b128 v[2:5], v1 offset:1232
	s_wait_loadcnt_dscnt 0x801
	v_mul_f64_e32 v[149:150], v[143:144], v[16:17]
	v_mul_f64_e32 v[16:17], v[145:146], v[16:17]
	scratch_load_b128 v[10:13], off, off offset:688
	v_add_f64_e32 v[155:156], v[137:138], v[139:140]
	v_add_f64_e32 v[141:142], v[147:148], v[141:142]
	s_wait_loadcnt_dscnt 0x800
	v_mul_f64_e32 v[147:148], v[2:3], v[20:21]
	v_mul_f64_e32 v[20:21], v[4:5], v[20:21]
	v_fma_f64 v[145:146], v[145:146], v[14:15], v[149:150]
	v_fma_f64 v[14:15], v[143:144], v[14:15], -v[16:17]
	ds_load_b128 v[137:140], v1 offset:1248
	s_wait_loadcnt_dscnt 0x700
	v_mul_f64_e32 v[143:144], v[137:138], v[24:25]
	v_mul_f64_e32 v[24:25], v[139:140], v[24:25]
	v_add_f64_e32 v[16:17], v[155:156], v[153:154]
	v_add_f64_e32 v[141:142], v[141:142], v[151:152]
	v_fma_f64 v[147:148], v[4:5], v[18:19], v[147:148]
	v_fma_f64 v[18:19], v[2:3], v[18:19], -v[20:21]
	v_fma_f64 v[139:140], v[139:140], v[22:23], v[143:144]
	v_fma_f64 v[22:23], v[137:138], v[22:23], -v[24:25]
	v_add_f64_e32 v[20:21], v[16:17], v[14:15]
	v_add_f64_e32 v[141:142], v[141:142], v[145:146]
	ds_load_b128 v[2:5], v1 offset:1264
	ds_load_b128 v[14:17], v1 offset:1280
	s_wait_loadcnt_dscnt 0x601
	v_mul_f64_e32 v[145:146], v[2:3], v[28:29]
	v_mul_f64_e32 v[28:29], v[4:5], v[28:29]
	s_wait_loadcnt_dscnt 0x500
	v_mul_f64_e32 v[24:25], v[14:15], v[32:33]
	v_mul_f64_e32 v[32:33], v[16:17], v[32:33]
	v_add_f64_e32 v[18:19], v[20:21], v[18:19]
	v_add_f64_e32 v[20:21], v[141:142], v[147:148]
	v_fma_f64 v[137:138], v[4:5], v[26:27], v[145:146]
	v_fma_f64 v[26:27], v[2:3], v[26:27], -v[28:29]
	v_fma_f64 v[16:17], v[16:17], v[30:31], v[24:25]
	v_fma_f64 v[14:15], v[14:15], v[30:31], -v[32:33]
	v_add_f64_e32 v[22:23], v[18:19], v[22:23]
	v_add_f64_e32 v[28:29], v[20:21], v[139:140]
	ds_load_b128 v[2:5], v1 offset:1296
	ds_load_b128 v[18:21], v1 offset:1312
	s_wait_loadcnt_dscnt 0x401
	v_mul_f64_e32 v[139:140], v[2:3], v[40:41]
	v_mul_f64_e32 v[40:41], v[4:5], v[40:41]
	v_add_f64_e32 v[22:23], v[22:23], v[26:27]
	v_add_f64_e32 v[24:25], v[28:29], v[137:138]
	s_wait_loadcnt_dscnt 0x300
	v_mul_f64_e32 v[26:27], v[18:19], v[135:136]
	v_mul_f64_e32 v[28:29], v[20:21], v[135:136]
	v_fma_f64 v[30:31], v[4:5], v[38:39], v[139:140]
	v_fma_f64 v[32:33], v[2:3], v[38:39], -v[40:41]
	v_add_f64_e32 v[22:23], v[22:23], v[14:15]
	v_add_f64_e32 v[24:25], v[24:25], v[16:17]
	ds_load_b128 v[2:5], v1 offset:1328
	ds_load_b128 v[14:17], v1 offset:1344
	v_fma_f64 v[20:21], v[20:21], v[133:134], v[26:27]
	v_fma_f64 v[18:19], v[18:19], v[133:134], -v[28:29]
	s_wait_loadcnt_dscnt 0x201
	v_mul_f64_e32 v[38:39], v[2:3], v[36:37]
	v_mul_f64_e32 v[36:37], v[4:5], v[36:37]
	s_wait_loadcnt_dscnt 0x100
	v_mul_f64_e32 v[26:27], v[14:15], v[8:9]
	v_mul_f64_e32 v[8:9], v[16:17], v[8:9]
	v_add_f64_e32 v[22:23], v[22:23], v[32:33]
	v_add_f64_e32 v[24:25], v[24:25], v[30:31]
	v_fma_f64 v[28:29], v[4:5], v[34:35], v[38:39]
	v_fma_f64 v[30:31], v[2:3], v[34:35], -v[36:37]
	ds_load_b128 v[2:5], v1 offset:1360
	v_fma_f64 v[16:17], v[16:17], v[6:7], v[26:27]
	v_fma_f64 v[6:7], v[14:15], v[6:7], -v[8:9]
	v_add_f64_e32 v[18:19], v[22:23], v[18:19]
	v_add_f64_e32 v[20:21], v[24:25], v[20:21]
	s_wait_loadcnt_dscnt 0x0
	v_mul_f64_e32 v[22:23], v[2:3], v[12:13]
	v_mul_f64_e32 v[12:13], v[4:5], v[12:13]
	s_delay_alu instid0(VALU_DEP_4) | instskip(NEXT) | instid1(VALU_DEP_4)
	v_add_f64_e32 v[8:9], v[18:19], v[30:31]
	v_add_f64_e32 v[14:15], v[20:21], v[28:29]
	s_delay_alu instid0(VALU_DEP_4) | instskip(NEXT) | instid1(VALU_DEP_4)
	v_fma_f64 v[4:5], v[4:5], v[10:11], v[22:23]
	v_fma_f64 v[2:3], v[2:3], v[10:11], -v[12:13]
	s_delay_alu instid0(VALU_DEP_4) | instskip(NEXT) | instid1(VALU_DEP_4)
	v_add_f64_e32 v[6:7], v[8:9], v[6:7]
	v_add_f64_e32 v[8:9], v[14:15], v[16:17]
	s_delay_alu instid0(VALU_DEP_2) | instskip(NEXT) | instid1(VALU_DEP_2)
	v_add_f64_e32 v[2:3], v[6:7], v[2:3]
	v_add_f64_e32 v[4:5], v[8:9], v[4:5]
	s_delay_alu instid0(VALU_DEP_2) | instskip(NEXT) | instid1(VALU_DEP_2)
	v_add_f64_e64 v[2:3], v[42:43], -v[2:3]
	v_add_f64_e64 v[4:5], v[44:45], -v[4:5]
	scratch_store_b128 off, v[2:5], off offset:320
	v_cmpx_lt_u32_e32 18, v0
	s_cbranch_execz .LBB42_235
; %bb.234:
	scratch_load_b128 v[5:8], off, s38
	v_dual_mov_b32 v2, v1 :: v_dual_mov_b32 v3, v1
	v_mov_b32_e32 v4, v1
	scratch_store_b128 off, v[1:4], off offset:304
	s_wait_loadcnt 0x0
	ds_store_b128 v132, v[5:8]
.LBB42_235:
	s_wait_alu 0xfffe
	s_or_b32 exec_lo, exec_lo, s0
	s_wait_storecnt_dscnt 0x0
	s_barrier_signal -1
	s_barrier_wait -1
	global_inv scope:SCOPE_SE
	s_clause 0x8
	scratch_load_b128 v[2:5], off, off offset:320
	scratch_load_b128 v[6:9], off, off offset:336
	;; [unrolled: 1-line block ×9, first 2 shown]
	ds_load_b128 v[38:41], v1 offset:992
	ds_load_b128 v[42:45], v1 offset:1008
	s_clause 0x1
	scratch_load_b128 v[133:136], off, off offset:304
	scratch_load_b128 v[137:140], off, off offset:464
	s_mov_b32 s0, exec_lo
	s_wait_loadcnt_dscnt 0xa01
	v_mul_f64_e32 v[141:142], v[40:41], v[4:5]
	v_mul_f64_e32 v[4:5], v[38:39], v[4:5]
	s_wait_loadcnt_dscnt 0x900
	v_mul_f64_e32 v[145:146], v[42:43], v[8:9]
	v_mul_f64_e32 v[8:9], v[44:45], v[8:9]
	s_delay_alu instid0(VALU_DEP_4) | instskip(NEXT) | instid1(VALU_DEP_4)
	v_fma_f64 v[147:148], v[38:39], v[2:3], -v[141:142]
	v_fma_f64 v[149:150], v[40:41], v[2:3], v[4:5]
	ds_load_b128 v[2:5], v1 offset:1024
	ds_load_b128 v[141:144], v1 offset:1040
	scratch_load_b128 v[38:41], off, off offset:480
	v_fma_f64 v[44:45], v[44:45], v[6:7], v[145:146]
	v_fma_f64 v[42:43], v[42:43], v[6:7], -v[8:9]
	scratch_load_b128 v[6:9], off, off offset:496
	s_wait_loadcnt_dscnt 0xa01
	v_mul_f64_e32 v[151:152], v[2:3], v[12:13]
	v_mul_f64_e32 v[12:13], v[4:5], v[12:13]
	v_add_f64_e32 v[145:146], 0, v[147:148]
	v_add_f64_e32 v[147:148], 0, v[149:150]
	s_wait_loadcnt_dscnt 0x900
	v_mul_f64_e32 v[149:150], v[141:142], v[16:17]
	v_mul_f64_e32 v[16:17], v[143:144], v[16:17]
	v_fma_f64 v[151:152], v[4:5], v[10:11], v[151:152]
	v_fma_f64 v[153:154], v[2:3], v[10:11], -v[12:13]
	ds_load_b128 v[2:5], v1 offset:1056
	scratch_load_b128 v[10:13], off, off offset:512
	v_add_f64_e32 v[145:146], v[145:146], v[42:43]
	v_add_f64_e32 v[147:148], v[147:148], v[44:45]
	ds_load_b128 v[42:45], v1 offset:1072
	v_fma_f64 v[143:144], v[143:144], v[14:15], v[149:150]
	v_fma_f64 v[141:142], v[141:142], v[14:15], -v[16:17]
	scratch_load_b128 v[14:17], off, off offset:528
	s_wait_loadcnt_dscnt 0xa01
	v_mul_f64_e32 v[155:156], v[2:3], v[20:21]
	v_mul_f64_e32 v[20:21], v[4:5], v[20:21]
	s_wait_loadcnt_dscnt 0x900
	v_mul_f64_e32 v[149:150], v[42:43], v[24:25]
	v_mul_f64_e32 v[24:25], v[44:45], v[24:25]
	v_add_f64_e32 v[145:146], v[145:146], v[153:154]
	v_add_f64_e32 v[147:148], v[147:148], v[151:152]
	v_fma_f64 v[151:152], v[4:5], v[18:19], v[155:156]
	v_fma_f64 v[153:154], v[2:3], v[18:19], -v[20:21]
	ds_load_b128 v[2:5], v1 offset:1088
	scratch_load_b128 v[18:21], off, off offset:544
	v_fma_f64 v[44:45], v[44:45], v[22:23], v[149:150]
	v_fma_f64 v[42:43], v[42:43], v[22:23], -v[24:25]
	scratch_load_b128 v[22:25], off, off offset:560
	v_add_f64_e32 v[145:146], v[145:146], v[141:142]
	v_add_f64_e32 v[147:148], v[147:148], v[143:144]
	ds_load_b128 v[141:144], v1 offset:1104
	s_wait_loadcnt_dscnt 0xa01
	v_mul_f64_e32 v[155:156], v[2:3], v[28:29]
	v_mul_f64_e32 v[28:29], v[4:5], v[28:29]
	s_wait_loadcnt_dscnt 0x900
	v_mul_f64_e32 v[149:150], v[141:142], v[32:33]
	v_mul_f64_e32 v[32:33], v[143:144], v[32:33]
	v_add_f64_e32 v[145:146], v[145:146], v[153:154]
	v_add_f64_e32 v[147:148], v[147:148], v[151:152]
	v_fma_f64 v[151:152], v[4:5], v[26:27], v[155:156]
	v_fma_f64 v[153:154], v[2:3], v[26:27], -v[28:29]
	ds_load_b128 v[2:5], v1 offset:1120
	scratch_load_b128 v[26:29], off, off offset:576
	v_fma_f64 v[143:144], v[143:144], v[30:31], v[149:150]
	v_fma_f64 v[141:142], v[141:142], v[30:31], -v[32:33]
	scratch_load_b128 v[30:33], off, off offset:592
	v_add_f64_e32 v[145:146], v[145:146], v[42:43]
	v_add_f64_e32 v[147:148], v[147:148], v[44:45]
	ds_load_b128 v[42:45], v1 offset:1136
	s_wait_loadcnt_dscnt 0xa01
	v_mul_f64_e32 v[155:156], v[2:3], v[36:37]
	v_mul_f64_e32 v[36:37], v[4:5], v[36:37]
	s_wait_loadcnt_dscnt 0x800
	v_mul_f64_e32 v[149:150], v[42:43], v[139:140]
	v_add_f64_e32 v[145:146], v[145:146], v[153:154]
	v_add_f64_e32 v[147:148], v[147:148], v[151:152]
	v_mul_f64_e32 v[151:152], v[44:45], v[139:140]
	v_fma_f64 v[153:154], v[4:5], v[34:35], v[155:156]
	v_fma_f64 v[155:156], v[2:3], v[34:35], -v[36:37]
	ds_load_b128 v[2:5], v1 offset:1152
	scratch_load_b128 v[34:37], off, off offset:608
	v_fma_f64 v[44:45], v[44:45], v[137:138], v[149:150]
	v_add_f64_e32 v[145:146], v[145:146], v[141:142]
	v_add_f64_e32 v[143:144], v[147:148], v[143:144]
	ds_load_b128 v[139:142], v1 offset:1168
	v_fma_f64 v[137:138], v[42:43], v[137:138], -v[151:152]
	s_wait_loadcnt_dscnt 0x801
	v_mul_f64_e32 v[147:148], v[2:3], v[40:41]
	v_mul_f64_e32 v[157:158], v[4:5], v[40:41]
	scratch_load_b128 v[40:43], off, off offset:624
	s_wait_loadcnt_dscnt 0x800
	v_mul_f64_e32 v[151:152], v[139:140], v[8:9]
	v_mul_f64_e32 v[8:9], v[141:142], v[8:9]
	v_add_f64_e32 v[145:146], v[145:146], v[155:156]
	v_add_f64_e32 v[143:144], v[143:144], v[153:154]
	v_fma_f64 v[153:154], v[4:5], v[38:39], v[147:148]
	v_fma_f64 v[38:39], v[2:3], v[38:39], -v[157:158]
	ds_load_b128 v[2:5], v1 offset:1184
	ds_load_b128 v[147:150], v1 offset:1200
	v_fma_f64 v[141:142], v[141:142], v[6:7], v[151:152]
	v_fma_f64 v[139:140], v[139:140], v[6:7], -v[8:9]
	scratch_load_b128 v[6:9], off, off offset:656
	v_add_f64_e32 v[137:138], v[145:146], v[137:138]
	v_add_f64_e32 v[44:45], v[143:144], v[44:45]
	scratch_load_b128 v[143:146], off, off offset:640
	s_wait_loadcnt_dscnt 0x901
	v_mul_f64_e32 v[155:156], v[2:3], v[12:13]
	v_mul_f64_e32 v[12:13], v[4:5], v[12:13]
	s_wait_loadcnt_dscnt 0x800
	v_mul_f64_e32 v[151:152], v[147:148], v[16:17]
	v_mul_f64_e32 v[16:17], v[149:150], v[16:17]
	v_add_f64_e32 v[38:39], v[137:138], v[38:39]
	v_add_f64_e32 v[44:45], v[44:45], v[153:154]
	v_fma_f64 v[153:154], v[4:5], v[10:11], v[155:156]
	v_fma_f64 v[155:156], v[2:3], v[10:11], -v[12:13]
	ds_load_b128 v[2:5], v1 offset:1216
	scratch_load_b128 v[10:13], off, off offset:672
	v_fma_f64 v[149:150], v[149:150], v[14:15], v[151:152]
	v_fma_f64 v[147:148], v[147:148], v[14:15], -v[16:17]
	scratch_load_b128 v[14:17], off, off offset:688
	v_add_f64_e32 v[38:39], v[38:39], v[139:140]
	v_add_f64_e32 v[44:45], v[44:45], v[141:142]
	ds_load_b128 v[137:140], v1 offset:1232
	s_wait_loadcnt_dscnt 0x901
	v_mul_f64_e32 v[141:142], v[2:3], v[20:21]
	v_mul_f64_e32 v[20:21], v[4:5], v[20:21]
	s_wait_loadcnt_dscnt 0x800
	v_mul_f64_e32 v[151:152], v[137:138], v[24:25]
	v_mul_f64_e32 v[24:25], v[139:140], v[24:25]
	v_add_f64_e32 v[38:39], v[38:39], v[155:156]
	v_add_f64_e32 v[44:45], v[44:45], v[153:154]
	v_fma_f64 v[141:142], v[4:5], v[18:19], v[141:142]
	v_fma_f64 v[153:154], v[2:3], v[18:19], -v[20:21]
	ds_load_b128 v[2:5], v1 offset:1248
	ds_load_b128 v[18:21], v1 offset:1264
	v_fma_f64 v[139:140], v[139:140], v[22:23], v[151:152]
	v_fma_f64 v[22:23], v[137:138], v[22:23], -v[24:25]
	v_add_f64_e32 v[38:39], v[38:39], v[147:148]
	v_add_f64_e32 v[44:45], v[44:45], v[149:150]
	s_wait_loadcnt_dscnt 0x701
	v_mul_f64_e32 v[147:148], v[2:3], v[28:29]
	v_mul_f64_e32 v[28:29], v[4:5], v[28:29]
	s_delay_alu instid0(VALU_DEP_4) | instskip(NEXT) | instid1(VALU_DEP_4)
	v_add_f64_e32 v[24:25], v[38:39], v[153:154]
	v_add_f64_e32 v[38:39], v[44:45], v[141:142]
	s_wait_loadcnt_dscnt 0x600
	v_mul_f64_e32 v[44:45], v[18:19], v[32:33]
	v_mul_f64_e32 v[32:33], v[20:21], v[32:33]
	v_fma_f64 v[137:138], v[4:5], v[26:27], v[147:148]
	v_fma_f64 v[26:27], v[2:3], v[26:27], -v[28:29]
	v_add_f64_e32 v[28:29], v[24:25], v[22:23]
	v_add_f64_e32 v[38:39], v[38:39], v[139:140]
	ds_load_b128 v[2:5], v1 offset:1280
	ds_load_b128 v[22:25], v1 offset:1296
	v_fma_f64 v[20:21], v[20:21], v[30:31], v[44:45]
	v_fma_f64 v[18:19], v[18:19], v[30:31], -v[32:33]
	s_wait_loadcnt_dscnt 0x501
	v_mul_f64_e32 v[139:140], v[2:3], v[36:37]
	v_mul_f64_e32 v[36:37], v[4:5], v[36:37]
	s_wait_loadcnt_dscnt 0x400
	v_mul_f64_e32 v[30:31], v[22:23], v[42:43]
	v_add_f64_e32 v[26:27], v[28:29], v[26:27]
	v_add_f64_e32 v[28:29], v[38:39], v[137:138]
	v_mul_f64_e32 v[32:33], v[24:25], v[42:43]
	v_fma_f64 v[38:39], v[4:5], v[34:35], v[139:140]
	v_fma_f64 v[34:35], v[2:3], v[34:35], -v[36:37]
	v_fma_f64 v[24:25], v[24:25], v[40:41], v[30:31]
	v_add_f64_e32 v[26:27], v[26:27], v[18:19]
	v_add_f64_e32 v[28:29], v[28:29], v[20:21]
	ds_load_b128 v[2:5], v1 offset:1312
	ds_load_b128 v[18:21], v1 offset:1328
	v_fma_f64 v[22:23], v[22:23], v[40:41], -v[32:33]
	s_wait_loadcnt_dscnt 0x201
	v_mul_f64_e32 v[36:37], v[2:3], v[145:146]
	v_mul_f64_e32 v[42:43], v[4:5], v[145:146]
	s_wait_dscnt 0x0
	v_mul_f64_e32 v[30:31], v[18:19], v[8:9]
	v_mul_f64_e32 v[8:9], v[20:21], v[8:9]
	v_add_f64_e32 v[26:27], v[26:27], v[34:35]
	v_add_f64_e32 v[28:29], v[28:29], v[38:39]
	v_fma_f64 v[32:33], v[4:5], v[143:144], v[36:37]
	v_fma_f64 v[34:35], v[2:3], v[143:144], -v[42:43]
	v_fma_f64 v[20:21], v[20:21], v[6:7], v[30:31]
	v_fma_f64 v[6:7], v[18:19], v[6:7], -v[8:9]
	v_add_f64_e32 v[26:27], v[26:27], v[22:23]
	v_add_f64_e32 v[28:29], v[28:29], v[24:25]
	ds_load_b128 v[2:5], v1 offset:1344
	ds_load_b128 v[22:25], v1 offset:1360
	s_wait_loadcnt_dscnt 0x101
	v_mul_f64_e32 v[36:37], v[2:3], v[12:13]
	v_mul_f64_e32 v[12:13], v[4:5], v[12:13]
	v_add_f64_e32 v[8:9], v[26:27], v[34:35]
	v_add_f64_e32 v[18:19], v[28:29], v[32:33]
	s_wait_loadcnt_dscnt 0x0
	v_mul_f64_e32 v[26:27], v[22:23], v[16:17]
	v_mul_f64_e32 v[16:17], v[24:25], v[16:17]
	v_fma_f64 v[4:5], v[4:5], v[10:11], v[36:37]
	v_fma_f64 v[1:2], v[2:3], v[10:11], -v[12:13]
	v_add_f64_e32 v[6:7], v[8:9], v[6:7]
	v_add_f64_e32 v[8:9], v[18:19], v[20:21]
	v_fma_f64 v[10:11], v[24:25], v[14:15], v[26:27]
	v_fma_f64 v[12:13], v[22:23], v[14:15], -v[16:17]
	s_delay_alu instid0(VALU_DEP_4) | instskip(NEXT) | instid1(VALU_DEP_4)
	v_add_f64_e32 v[1:2], v[6:7], v[1:2]
	v_add_f64_e32 v[3:4], v[8:9], v[4:5]
	s_delay_alu instid0(VALU_DEP_2) | instskip(NEXT) | instid1(VALU_DEP_2)
	v_add_f64_e32 v[1:2], v[1:2], v[12:13]
	v_add_f64_e32 v[3:4], v[3:4], v[10:11]
	s_delay_alu instid0(VALU_DEP_2) | instskip(NEXT) | instid1(VALU_DEP_2)
	v_add_f64_e64 v[1:2], v[133:134], -v[1:2]
	v_add_f64_e64 v[3:4], v[135:136], -v[3:4]
	scratch_store_b128 off, v[1:4], off offset:304
	v_cmpx_lt_u32_e32 17, v0
	s_cbranch_execz .LBB42_237
; %bb.236:
	scratch_load_b128 v[1:4], off, s39
	v_mov_b32_e32 v5, 0
	s_delay_alu instid0(VALU_DEP_1)
	v_dual_mov_b32 v6, v5 :: v_dual_mov_b32 v7, v5
	v_mov_b32_e32 v8, v5
	scratch_store_b128 off, v[5:8], off offset:288
	s_wait_loadcnt 0x0
	ds_store_b128 v132, v[1:4]
.LBB42_237:
	s_wait_alu 0xfffe
	s_or_b32 exec_lo, exec_lo, s0
	s_wait_storecnt_dscnt 0x0
	s_barrier_signal -1
	s_barrier_wait -1
	global_inv scope:SCOPE_SE
	s_clause 0x7
	scratch_load_b128 v[2:5], off, off offset:304
	scratch_load_b128 v[6:9], off, off offset:320
	;; [unrolled: 1-line block ×8, first 2 shown]
	v_mov_b32_e32 v1, 0
	s_mov_b32 s0, exec_lo
	ds_load_b128 v[34:37], v1 offset:976
	s_clause 0x1
	scratch_load_b128 v[38:41], off, off offset:432
	scratch_load_b128 v[42:45], off, off offset:288
	ds_load_b128 v[133:136], v1 offset:992
	scratch_load_b128 v[137:140], off, off offset:448
	s_wait_loadcnt_dscnt 0xa01
	v_mul_f64_e32 v[141:142], v[36:37], v[4:5]
	v_mul_f64_e32 v[4:5], v[34:35], v[4:5]
	s_delay_alu instid0(VALU_DEP_2) | instskip(NEXT) | instid1(VALU_DEP_2)
	v_fma_f64 v[147:148], v[34:35], v[2:3], -v[141:142]
	v_fma_f64 v[149:150], v[36:37], v[2:3], v[4:5]
	ds_load_b128 v[2:5], v1 offset:1008
	s_wait_loadcnt_dscnt 0x901
	v_mul_f64_e32 v[145:146], v[133:134], v[8:9]
	v_mul_f64_e32 v[8:9], v[135:136], v[8:9]
	scratch_load_b128 v[34:37], off, off offset:464
	ds_load_b128 v[141:144], v1 offset:1024
	s_wait_loadcnt_dscnt 0x901
	v_mul_f64_e32 v[151:152], v[2:3], v[12:13]
	v_mul_f64_e32 v[12:13], v[4:5], v[12:13]
	v_fma_f64 v[135:136], v[135:136], v[6:7], v[145:146]
	v_fma_f64 v[133:134], v[133:134], v[6:7], -v[8:9]
	v_add_f64_e32 v[145:146], 0, v[147:148]
	v_add_f64_e32 v[147:148], 0, v[149:150]
	scratch_load_b128 v[6:9], off, off offset:480
	v_fma_f64 v[151:152], v[4:5], v[10:11], v[151:152]
	v_fma_f64 v[153:154], v[2:3], v[10:11], -v[12:13]
	ds_load_b128 v[2:5], v1 offset:1040
	s_wait_loadcnt_dscnt 0x901
	v_mul_f64_e32 v[149:150], v[141:142], v[16:17]
	v_mul_f64_e32 v[16:17], v[143:144], v[16:17]
	scratch_load_b128 v[10:13], off, off offset:496
	v_add_f64_e32 v[145:146], v[145:146], v[133:134]
	v_add_f64_e32 v[147:148], v[147:148], v[135:136]
	s_wait_loadcnt_dscnt 0x900
	v_mul_f64_e32 v[155:156], v[2:3], v[20:21]
	v_mul_f64_e32 v[20:21], v[4:5], v[20:21]
	ds_load_b128 v[133:136], v1 offset:1056
	v_fma_f64 v[143:144], v[143:144], v[14:15], v[149:150]
	v_fma_f64 v[141:142], v[141:142], v[14:15], -v[16:17]
	scratch_load_b128 v[14:17], off, off offset:512
	v_add_f64_e32 v[145:146], v[145:146], v[153:154]
	v_add_f64_e32 v[147:148], v[147:148], v[151:152]
	v_fma_f64 v[151:152], v[4:5], v[18:19], v[155:156]
	v_fma_f64 v[153:154], v[2:3], v[18:19], -v[20:21]
	ds_load_b128 v[2:5], v1 offset:1072
	s_wait_loadcnt_dscnt 0x901
	v_mul_f64_e32 v[149:150], v[133:134], v[24:25]
	v_mul_f64_e32 v[24:25], v[135:136], v[24:25]
	scratch_load_b128 v[18:21], off, off offset:528
	s_wait_loadcnt_dscnt 0x900
	v_mul_f64_e32 v[155:156], v[2:3], v[28:29]
	v_mul_f64_e32 v[28:29], v[4:5], v[28:29]
	v_add_f64_e32 v[145:146], v[145:146], v[141:142]
	v_add_f64_e32 v[147:148], v[147:148], v[143:144]
	ds_load_b128 v[141:144], v1 offset:1088
	v_fma_f64 v[135:136], v[135:136], v[22:23], v[149:150]
	v_fma_f64 v[133:134], v[133:134], v[22:23], -v[24:25]
	scratch_load_b128 v[22:25], off, off offset:544
	v_add_f64_e32 v[145:146], v[145:146], v[153:154]
	v_add_f64_e32 v[147:148], v[147:148], v[151:152]
	v_fma_f64 v[151:152], v[4:5], v[26:27], v[155:156]
	v_fma_f64 v[153:154], v[2:3], v[26:27], -v[28:29]
	ds_load_b128 v[2:5], v1 offset:1104
	s_wait_loadcnt_dscnt 0x901
	v_mul_f64_e32 v[149:150], v[141:142], v[32:33]
	v_mul_f64_e32 v[32:33], v[143:144], v[32:33]
	scratch_load_b128 v[26:29], off, off offset:560
	s_wait_loadcnt_dscnt 0x900
	v_mul_f64_e32 v[155:156], v[2:3], v[40:41]
	v_mul_f64_e32 v[40:41], v[4:5], v[40:41]
	v_add_f64_e32 v[145:146], v[145:146], v[133:134]
	v_add_f64_e32 v[147:148], v[147:148], v[135:136]
	ds_load_b128 v[133:136], v1 offset:1120
	v_fma_f64 v[143:144], v[143:144], v[30:31], v[149:150]
	v_fma_f64 v[141:142], v[141:142], v[30:31], -v[32:33]
	scratch_load_b128 v[30:33], off, off offset:576
	v_add_f64_e32 v[145:146], v[145:146], v[153:154]
	v_add_f64_e32 v[147:148], v[147:148], v[151:152]
	v_fma_f64 v[153:154], v[4:5], v[38:39], v[155:156]
	v_fma_f64 v[155:156], v[2:3], v[38:39], -v[40:41]
	ds_load_b128 v[2:5], v1 offset:1136
	s_wait_loadcnt_dscnt 0x801
	v_mul_f64_e32 v[149:150], v[133:134], v[139:140]
	v_mul_f64_e32 v[151:152], v[135:136], v[139:140]
	scratch_load_b128 v[38:41], off, off offset:592
	v_add_f64_e32 v[145:146], v[145:146], v[141:142]
	v_add_f64_e32 v[143:144], v[147:148], v[143:144]
	ds_load_b128 v[139:142], v1 offset:1152
	v_fma_f64 v[149:150], v[135:136], v[137:138], v[149:150]
	v_fma_f64 v[137:138], v[133:134], v[137:138], -v[151:152]
	scratch_load_b128 v[133:136], off, off offset:608
	s_wait_loadcnt_dscnt 0x901
	v_mul_f64_e32 v[147:148], v[2:3], v[36:37]
	v_mul_f64_e32 v[36:37], v[4:5], v[36:37]
	v_add_f64_e32 v[145:146], v[145:146], v[155:156]
	v_add_f64_e32 v[143:144], v[143:144], v[153:154]
	s_delay_alu instid0(VALU_DEP_4) | instskip(NEXT) | instid1(VALU_DEP_4)
	v_fma_f64 v[147:148], v[4:5], v[34:35], v[147:148]
	v_fma_f64 v[153:154], v[2:3], v[34:35], -v[36:37]
	ds_load_b128 v[2:5], v1 offset:1168
	s_wait_loadcnt_dscnt 0x801
	v_mul_f64_e32 v[151:152], v[139:140], v[8:9]
	v_mul_f64_e32 v[8:9], v[141:142], v[8:9]
	scratch_load_b128 v[34:37], off, off offset:624
	s_wait_loadcnt_dscnt 0x800
	v_mul_f64_e32 v[155:156], v[2:3], v[12:13]
	v_add_f64_e32 v[137:138], v[145:146], v[137:138]
	v_add_f64_e32 v[149:150], v[143:144], v[149:150]
	v_mul_f64_e32 v[12:13], v[4:5], v[12:13]
	ds_load_b128 v[143:146], v1 offset:1184
	v_fma_f64 v[141:142], v[141:142], v[6:7], v[151:152]
	v_fma_f64 v[139:140], v[139:140], v[6:7], -v[8:9]
	scratch_load_b128 v[6:9], off, off offset:640
	v_fma_f64 v[151:152], v[4:5], v[10:11], v[155:156]
	v_add_f64_e32 v[137:138], v[137:138], v[153:154]
	v_add_f64_e32 v[147:148], v[149:150], v[147:148]
	v_fma_f64 v[153:154], v[2:3], v[10:11], -v[12:13]
	ds_load_b128 v[2:5], v1 offset:1200
	s_wait_loadcnt_dscnt 0x801
	v_mul_f64_e32 v[149:150], v[143:144], v[16:17]
	v_mul_f64_e32 v[16:17], v[145:146], v[16:17]
	scratch_load_b128 v[10:13], off, off offset:656
	v_add_f64_e32 v[155:156], v[137:138], v[139:140]
	v_add_f64_e32 v[141:142], v[147:148], v[141:142]
	s_wait_loadcnt_dscnt 0x800
	v_mul_f64_e32 v[147:148], v[2:3], v[20:21]
	v_mul_f64_e32 v[20:21], v[4:5], v[20:21]
	v_fma_f64 v[145:146], v[145:146], v[14:15], v[149:150]
	v_fma_f64 v[143:144], v[143:144], v[14:15], -v[16:17]
	ds_load_b128 v[137:140], v1 offset:1216
	scratch_load_b128 v[14:17], off, off offset:672
	v_add_f64_e32 v[149:150], v[155:156], v[153:154]
	v_add_f64_e32 v[141:142], v[141:142], v[151:152]
	v_fma_f64 v[147:148], v[4:5], v[18:19], v[147:148]
	v_fma_f64 v[153:154], v[2:3], v[18:19], -v[20:21]
	ds_load_b128 v[2:5], v1 offset:1232
	s_wait_loadcnt_dscnt 0x801
	v_mul_f64_e32 v[151:152], v[137:138], v[24:25]
	v_mul_f64_e32 v[24:25], v[139:140], v[24:25]
	scratch_load_b128 v[18:21], off, off offset:688
	s_wait_loadcnt_dscnt 0x800
	v_mul_f64_e32 v[155:156], v[2:3], v[28:29]
	v_mul_f64_e32 v[28:29], v[4:5], v[28:29]
	v_add_f64_e32 v[149:150], v[149:150], v[143:144]
	v_add_f64_e32 v[145:146], v[141:142], v[145:146]
	ds_load_b128 v[141:144], v1 offset:1248
	v_fma_f64 v[139:140], v[139:140], v[22:23], v[151:152]
	v_fma_f64 v[22:23], v[137:138], v[22:23], -v[24:25]
	v_add_f64_e32 v[24:25], v[149:150], v[153:154]
	v_add_f64_e32 v[137:138], v[145:146], v[147:148]
	s_wait_loadcnt_dscnt 0x700
	v_mul_f64_e32 v[145:146], v[141:142], v[32:33]
	v_mul_f64_e32 v[32:33], v[143:144], v[32:33]
	v_fma_f64 v[147:148], v[4:5], v[26:27], v[155:156]
	v_fma_f64 v[26:27], v[2:3], v[26:27], -v[28:29]
	v_add_f64_e32 v[28:29], v[24:25], v[22:23]
	v_add_f64_e32 v[137:138], v[137:138], v[139:140]
	ds_load_b128 v[2:5], v1 offset:1264
	ds_load_b128 v[22:25], v1 offset:1280
	v_fma_f64 v[143:144], v[143:144], v[30:31], v[145:146]
	v_fma_f64 v[30:31], v[141:142], v[30:31], -v[32:33]
	s_wait_loadcnt_dscnt 0x601
	v_mul_f64_e32 v[139:140], v[2:3], v[40:41]
	v_mul_f64_e32 v[40:41], v[4:5], v[40:41]
	s_wait_loadcnt_dscnt 0x500
	v_mul_f64_e32 v[32:33], v[22:23], v[135:136]
	v_mul_f64_e32 v[135:136], v[24:25], v[135:136]
	v_add_f64_e32 v[26:27], v[28:29], v[26:27]
	v_add_f64_e32 v[28:29], v[137:138], v[147:148]
	v_fma_f64 v[137:138], v[4:5], v[38:39], v[139:140]
	v_fma_f64 v[38:39], v[2:3], v[38:39], -v[40:41]
	v_fma_f64 v[24:25], v[24:25], v[133:134], v[32:33]
	v_fma_f64 v[22:23], v[22:23], v[133:134], -v[135:136]
	v_add_f64_e32 v[30:31], v[26:27], v[30:31]
	v_add_f64_e32 v[40:41], v[28:29], v[143:144]
	ds_load_b128 v[2:5], v1 offset:1296
	ds_load_b128 v[26:29], v1 offset:1312
	s_wait_loadcnt_dscnt 0x401
	v_mul_f64_e32 v[139:140], v[2:3], v[36:37]
	v_mul_f64_e32 v[36:37], v[4:5], v[36:37]
	v_add_f64_e32 v[30:31], v[30:31], v[38:39]
	v_add_f64_e32 v[32:33], v[40:41], v[137:138]
	s_wait_loadcnt_dscnt 0x300
	v_mul_f64_e32 v[38:39], v[26:27], v[8:9]
	v_mul_f64_e32 v[8:9], v[28:29], v[8:9]
	v_fma_f64 v[40:41], v[4:5], v[34:35], v[139:140]
	v_fma_f64 v[34:35], v[2:3], v[34:35], -v[36:37]
	v_add_f64_e32 v[30:31], v[30:31], v[22:23]
	v_add_f64_e32 v[32:33], v[32:33], v[24:25]
	ds_load_b128 v[2:5], v1 offset:1328
	ds_load_b128 v[22:25], v1 offset:1344
	v_fma_f64 v[28:29], v[28:29], v[6:7], v[38:39]
	v_fma_f64 v[6:7], v[26:27], v[6:7], -v[8:9]
	s_wait_loadcnt_dscnt 0x201
	v_mul_f64_e32 v[36:37], v[2:3], v[12:13]
	v_mul_f64_e32 v[12:13], v[4:5], v[12:13]
	v_add_f64_e32 v[8:9], v[30:31], v[34:35]
	v_add_f64_e32 v[26:27], v[32:33], v[40:41]
	s_wait_loadcnt_dscnt 0x100
	v_mul_f64_e32 v[30:31], v[22:23], v[16:17]
	v_mul_f64_e32 v[16:17], v[24:25], v[16:17]
	v_fma_f64 v[32:33], v[4:5], v[10:11], v[36:37]
	v_fma_f64 v[10:11], v[2:3], v[10:11], -v[12:13]
	ds_load_b128 v[2:5], v1 offset:1360
	v_add_f64_e32 v[6:7], v[8:9], v[6:7]
	v_add_f64_e32 v[8:9], v[26:27], v[28:29]
	v_fma_f64 v[24:25], v[24:25], v[14:15], v[30:31]
	v_fma_f64 v[14:15], v[22:23], v[14:15], -v[16:17]
	s_wait_loadcnt_dscnt 0x0
	v_mul_f64_e32 v[12:13], v[2:3], v[20:21]
	v_mul_f64_e32 v[20:21], v[4:5], v[20:21]
	v_add_f64_e32 v[6:7], v[6:7], v[10:11]
	v_add_f64_e32 v[8:9], v[8:9], v[32:33]
	s_delay_alu instid0(VALU_DEP_4) | instskip(NEXT) | instid1(VALU_DEP_4)
	v_fma_f64 v[4:5], v[4:5], v[18:19], v[12:13]
	v_fma_f64 v[2:3], v[2:3], v[18:19], -v[20:21]
	s_delay_alu instid0(VALU_DEP_4) | instskip(NEXT) | instid1(VALU_DEP_4)
	v_add_f64_e32 v[6:7], v[6:7], v[14:15]
	v_add_f64_e32 v[8:9], v[8:9], v[24:25]
	s_delay_alu instid0(VALU_DEP_2) | instskip(NEXT) | instid1(VALU_DEP_2)
	v_add_f64_e32 v[2:3], v[6:7], v[2:3]
	v_add_f64_e32 v[4:5], v[8:9], v[4:5]
	s_delay_alu instid0(VALU_DEP_2) | instskip(NEXT) | instid1(VALU_DEP_2)
	v_add_f64_e64 v[2:3], v[42:43], -v[2:3]
	v_add_f64_e64 v[4:5], v[44:45], -v[4:5]
	scratch_store_b128 off, v[2:5], off offset:288
	v_cmpx_lt_u32_e32 16, v0
	s_cbranch_execz .LBB42_239
; %bb.238:
	scratch_load_b128 v[5:8], off, s40
	v_dual_mov_b32 v2, v1 :: v_dual_mov_b32 v3, v1
	v_mov_b32_e32 v4, v1
	scratch_store_b128 off, v[1:4], off offset:272
	s_wait_loadcnt 0x0
	ds_store_b128 v132, v[5:8]
.LBB42_239:
	s_wait_alu 0xfffe
	s_or_b32 exec_lo, exec_lo, s0
	s_wait_storecnt_dscnt 0x0
	s_barrier_signal -1
	s_barrier_wait -1
	global_inv scope:SCOPE_SE
	s_clause 0x8
	scratch_load_b128 v[2:5], off, off offset:288
	scratch_load_b128 v[6:9], off, off offset:304
	;; [unrolled: 1-line block ×9, first 2 shown]
	ds_load_b128 v[38:41], v1 offset:960
	ds_load_b128 v[42:45], v1 offset:976
	s_clause 0x1
	scratch_load_b128 v[133:136], off, off offset:272
	scratch_load_b128 v[137:140], off, off offset:432
	s_mov_b32 s0, exec_lo
	s_wait_loadcnt_dscnt 0xa01
	v_mul_f64_e32 v[141:142], v[40:41], v[4:5]
	v_mul_f64_e32 v[4:5], v[38:39], v[4:5]
	s_wait_loadcnt_dscnt 0x900
	v_mul_f64_e32 v[145:146], v[42:43], v[8:9]
	v_mul_f64_e32 v[8:9], v[44:45], v[8:9]
	s_delay_alu instid0(VALU_DEP_4) | instskip(NEXT) | instid1(VALU_DEP_4)
	v_fma_f64 v[147:148], v[38:39], v[2:3], -v[141:142]
	v_fma_f64 v[149:150], v[40:41], v[2:3], v[4:5]
	ds_load_b128 v[2:5], v1 offset:992
	ds_load_b128 v[141:144], v1 offset:1008
	scratch_load_b128 v[38:41], off, off offset:448
	v_fma_f64 v[44:45], v[44:45], v[6:7], v[145:146]
	v_fma_f64 v[42:43], v[42:43], v[6:7], -v[8:9]
	scratch_load_b128 v[6:9], off, off offset:464
	s_wait_loadcnt_dscnt 0xa01
	v_mul_f64_e32 v[151:152], v[2:3], v[12:13]
	v_mul_f64_e32 v[12:13], v[4:5], v[12:13]
	v_add_f64_e32 v[145:146], 0, v[147:148]
	v_add_f64_e32 v[147:148], 0, v[149:150]
	s_wait_loadcnt_dscnt 0x900
	v_mul_f64_e32 v[149:150], v[141:142], v[16:17]
	v_mul_f64_e32 v[16:17], v[143:144], v[16:17]
	v_fma_f64 v[151:152], v[4:5], v[10:11], v[151:152]
	v_fma_f64 v[153:154], v[2:3], v[10:11], -v[12:13]
	ds_load_b128 v[2:5], v1 offset:1024
	scratch_load_b128 v[10:13], off, off offset:480
	v_add_f64_e32 v[145:146], v[145:146], v[42:43]
	v_add_f64_e32 v[147:148], v[147:148], v[44:45]
	ds_load_b128 v[42:45], v1 offset:1040
	v_fma_f64 v[143:144], v[143:144], v[14:15], v[149:150]
	v_fma_f64 v[141:142], v[141:142], v[14:15], -v[16:17]
	scratch_load_b128 v[14:17], off, off offset:496
	s_wait_loadcnt_dscnt 0xa01
	v_mul_f64_e32 v[155:156], v[2:3], v[20:21]
	v_mul_f64_e32 v[20:21], v[4:5], v[20:21]
	s_wait_loadcnt_dscnt 0x900
	v_mul_f64_e32 v[149:150], v[42:43], v[24:25]
	v_mul_f64_e32 v[24:25], v[44:45], v[24:25]
	v_add_f64_e32 v[145:146], v[145:146], v[153:154]
	v_add_f64_e32 v[147:148], v[147:148], v[151:152]
	v_fma_f64 v[151:152], v[4:5], v[18:19], v[155:156]
	v_fma_f64 v[153:154], v[2:3], v[18:19], -v[20:21]
	ds_load_b128 v[2:5], v1 offset:1056
	scratch_load_b128 v[18:21], off, off offset:512
	v_fma_f64 v[44:45], v[44:45], v[22:23], v[149:150]
	v_fma_f64 v[42:43], v[42:43], v[22:23], -v[24:25]
	scratch_load_b128 v[22:25], off, off offset:528
	v_add_f64_e32 v[145:146], v[145:146], v[141:142]
	v_add_f64_e32 v[147:148], v[147:148], v[143:144]
	ds_load_b128 v[141:144], v1 offset:1072
	s_wait_loadcnt_dscnt 0xa01
	v_mul_f64_e32 v[155:156], v[2:3], v[28:29]
	v_mul_f64_e32 v[28:29], v[4:5], v[28:29]
	s_wait_loadcnt_dscnt 0x900
	v_mul_f64_e32 v[149:150], v[141:142], v[32:33]
	v_mul_f64_e32 v[32:33], v[143:144], v[32:33]
	v_add_f64_e32 v[145:146], v[145:146], v[153:154]
	v_add_f64_e32 v[147:148], v[147:148], v[151:152]
	v_fma_f64 v[151:152], v[4:5], v[26:27], v[155:156]
	v_fma_f64 v[153:154], v[2:3], v[26:27], -v[28:29]
	ds_load_b128 v[2:5], v1 offset:1088
	scratch_load_b128 v[26:29], off, off offset:544
	v_fma_f64 v[143:144], v[143:144], v[30:31], v[149:150]
	v_fma_f64 v[141:142], v[141:142], v[30:31], -v[32:33]
	scratch_load_b128 v[30:33], off, off offset:560
	v_add_f64_e32 v[145:146], v[145:146], v[42:43]
	v_add_f64_e32 v[147:148], v[147:148], v[44:45]
	ds_load_b128 v[42:45], v1 offset:1104
	s_wait_loadcnt_dscnt 0xa01
	v_mul_f64_e32 v[155:156], v[2:3], v[36:37]
	v_mul_f64_e32 v[36:37], v[4:5], v[36:37]
	s_wait_loadcnt_dscnt 0x800
	v_mul_f64_e32 v[149:150], v[42:43], v[139:140]
	v_add_f64_e32 v[145:146], v[145:146], v[153:154]
	v_add_f64_e32 v[147:148], v[147:148], v[151:152]
	v_mul_f64_e32 v[151:152], v[44:45], v[139:140]
	v_fma_f64 v[153:154], v[4:5], v[34:35], v[155:156]
	v_fma_f64 v[155:156], v[2:3], v[34:35], -v[36:37]
	ds_load_b128 v[2:5], v1 offset:1120
	scratch_load_b128 v[34:37], off, off offset:576
	v_fma_f64 v[44:45], v[44:45], v[137:138], v[149:150]
	v_add_f64_e32 v[145:146], v[145:146], v[141:142]
	v_add_f64_e32 v[143:144], v[147:148], v[143:144]
	ds_load_b128 v[139:142], v1 offset:1136
	v_fma_f64 v[137:138], v[42:43], v[137:138], -v[151:152]
	s_wait_loadcnt_dscnt 0x801
	v_mul_f64_e32 v[147:148], v[2:3], v[40:41]
	v_mul_f64_e32 v[157:158], v[4:5], v[40:41]
	scratch_load_b128 v[40:43], off, off offset:592
	s_wait_loadcnt_dscnt 0x800
	v_mul_f64_e32 v[151:152], v[139:140], v[8:9]
	v_mul_f64_e32 v[8:9], v[141:142], v[8:9]
	v_add_f64_e32 v[145:146], v[145:146], v[155:156]
	v_add_f64_e32 v[143:144], v[143:144], v[153:154]
	v_fma_f64 v[153:154], v[4:5], v[38:39], v[147:148]
	v_fma_f64 v[38:39], v[2:3], v[38:39], -v[157:158]
	ds_load_b128 v[2:5], v1 offset:1152
	ds_load_b128 v[147:150], v1 offset:1168
	v_fma_f64 v[141:142], v[141:142], v[6:7], v[151:152]
	v_fma_f64 v[139:140], v[139:140], v[6:7], -v[8:9]
	scratch_load_b128 v[6:9], off, off offset:624
	v_add_f64_e32 v[137:138], v[145:146], v[137:138]
	v_add_f64_e32 v[44:45], v[143:144], v[44:45]
	scratch_load_b128 v[143:146], off, off offset:608
	s_wait_loadcnt_dscnt 0x901
	v_mul_f64_e32 v[155:156], v[2:3], v[12:13]
	v_mul_f64_e32 v[12:13], v[4:5], v[12:13]
	s_wait_loadcnt_dscnt 0x800
	v_mul_f64_e32 v[151:152], v[147:148], v[16:17]
	v_mul_f64_e32 v[16:17], v[149:150], v[16:17]
	v_add_f64_e32 v[38:39], v[137:138], v[38:39]
	v_add_f64_e32 v[44:45], v[44:45], v[153:154]
	v_fma_f64 v[153:154], v[4:5], v[10:11], v[155:156]
	v_fma_f64 v[155:156], v[2:3], v[10:11], -v[12:13]
	ds_load_b128 v[2:5], v1 offset:1184
	scratch_load_b128 v[10:13], off, off offset:640
	v_fma_f64 v[149:150], v[149:150], v[14:15], v[151:152]
	v_fma_f64 v[147:148], v[147:148], v[14:15], -v[16:17]
	scratch_load_b128 v[14:17], off, off offset:656
	v_add_f64_e32 v[38:39], v[38:39], v[139:140]
	v_add_f64_e32 v[44:45], v[44:45], v[141:142]
	ds_load_b128 v[137:140], v1 offset:1200
	s_wait_loadcnt_dscnt 0x901
	v_mul_f64_e32 v[141:142], v[2:3], v[20:21]
	v_mul_f64_e32 v[20:21], v[4:5], v[20:21]
	s_wait_loadcnt_dscnt 0x800
	v_mul_f64_e32 v[151:152], v[137:138], v[24:25]
	v_mul_f64_e32 v[24:25], v[139:140], v[24:25]
	v_add_f64_e32 v[38:39], v[38:39], v[155:156]
	v_add_f64_e32 v[44:45], v[44:45], v[153:154]
	v_fma_f64 v[141:142], v[4:5], v[18:19], v[141:142]
	v_fma_f64 v[153:154], v[2:3], v[18:19], -v[20:21]
	ds_load_b128 v[2:5], v1 offset:1216
	scratch_load_b128 v[18:21], off, off offset:672
	v_fma_f64 v[139:140], v[139:140], v[22:23], v[151:152]
	v_fma_f64 v[137:138], v[137:138], v[22:23], -v[24:25]
	scratch_load_b128 v[22:25], off, off offset:688
	v_add_f64_e32 v[38:39], v[38:39], v[147:148]
	v_add_f64_e32 v[44:45], v[44:45], v[149:150]
	ds_load_b128 v[147:150], v1 offset:1232
	s_wait_loadcnt_dscnt 0x901
	v_mul_f64_e32 v[155:156], v[2:3], v[28:29]
	v_mul_f64_e32 v[28:29], v[4:5], v[28:29]
	v_add_f64_e32 v[38:39], v[38:39], v[153:154]
	v_add_f64_e32 v[44:45], v[44:45], v[141:142]
	s_wait_loadcnt_dscnt 0x800
	v_mul_f64_e32 v[141:142], v[147:148], v[32:33]
	v_mul_f64_e32 v[32:33], v[149:150], v[32:33]
	v_fma_f64 v[151:152], v[4:5], v[26:27], v[155:156]
	v_fma_f64 v[153:154], v[2:3], v[26:27], -v[28:29]
	ds_load_b128 v[2:5], v1 offset:1248
	ds_load_b128 v[26:29], v1 offset:1264
	v_add_f64_e32 v[38:39], v[38:39], v[137:138]
	v_add_f64_e32 v[44:45], v[44:45], v[139:140]
	s_wait_loadcnt_dscnt 0x701
	v_mul_f64_e32 v[137:138], v[2:3], v[36:37]
	v_mul_f64_e32 v[36:37], v[4:5], v[36:37]
	v_fma_f64 v[139:140], v[149:150], v[30:31], v[141:142]
	v_fma_f64 v[30:31], v[147:148], v[30:31], -v[32:33]
	v_add_f64_e32 v[32:33], v[38:39], v[153:154]
	v_add_f64_e32 v[38:39], v[44:45], v[151:152]
	s_wait_loadcnt_dscnt 0x600
	v_mul_f64_e32 v[44:45], v[26:27], v[42:43]
	v_mul_f64_e32 v[42:43], v[28:29], v[42:43]
	v_fma_f64 v[137:138], v[4:5], v[34:35], v[137:138]
	v_fma_f64 v[34:35], v[2:3], v[34:35], -v[36:37]
	v_add_f64_e32 v[36:37], v[32:33], v[30:31]
	v_add_f64_e32 v[38:39], v[38:39], v[139:140]
	ds_load_b128 v[2:5], v1 offset:1280
	ds_load_b128 v[30:33], v1 offset:1296
	v_fma_f64 v[28:29], v[28:29], v[40:41], v[44:45]
	v_fma_f64 v[26:27], v[26:27], v[40:41], -v[42:43]
	s_wait_loadcnt_dscnt 0x401
	v_mul_f64_e32 v[139:140], v[2:3], v[145:146]
	v_mul_f64_e32 v[141:142], v[4:5], v[145:146]
	v_add_f64_e32 v[34:35], v[36:37], v[34:35]
	v_add_f64_e32 v[36:37], v[38:39], v[137:138]
	s_wait_dscnt 0x0
	v_mul_f64_e32 v[38:39], v[30:31], v[8:9]
	v_mul_f64_e32 v[8:9], v[32:33], v[8:9]
	v_fma_f64 v[40:41], v[4:5], v[143:144], v[139:140]
	v_fma_f64 v[42:43], v[2:3], v[143:144], -v[141:142]
	v_add_f64_e32 v[34:35], v[34:35], v[26:27]
	v_add_f64_e32 v[36:37], v[36:37], v[28:29]
	ds_load_b128 v[2:5], v1 offset:1312
	ds_load_b128 v[26:29], v1 offset:1328
	v_fma_f64 v[32:33], v[32:33], v[6:7], v[38:39]
	v_fma_f64 v[6:7], v[30:31], v[6:7], -v[8:9]
	s_wait_loadcnt_dscnt 0x301
	v_mul_f64_e32 v[44:45], v[2:3], v[12:13]
	v_mul_f64_e32 v[12:13], v[4:5], v[12:13]
	v_add_f64_e32 v[8:9], v[34:35], v[42:43]
	v_add_f64_e32 v[30:31], v[36:37], v[40:41]
	s_wait_loadcnt_dscnt 0x200
	v_mul_f64_e32 v[34:35], v[26:27], v[16:17]
	v_mul_f64_e32 v[16:17], v[28:29], v[16:17]
	v_fma_f64 v[36:37], v[4:5], v[10:11], v[44:45]
	v_fma_f64 v[10:11], v[2:3], v[10:11], -v[12:13]
	v_add_f64_e32 v[12:13], v[8:9], v[6:7]
	v_add_f64_e32 v[30:31], v[30:31], v[32:33]
	ds_load_b128 v[2:5], v1 offset:1344
	ds_load_b128 v[6:9], v1 offset:1360
	v_fma_f64 v[28:29], v[28:29], v[14:15], v[34:35]
	v_fma_f64 v[14:15], v[26:27], v[14:15], -v[16:17]
	s_wait_loadcnt_dscnt 0x101
	v_mul_f64_e32 v[32:33], v[2:3], v[20:21]
	v_mul_f64_e32 v[20:21], v[4:5], v[20:21]
	s_wait_loadcnt_dscnt 0x0
	v_mul_f64_e32 v[16:17], v[6:7], v[24:25]
	v_mul_f64_e32 v[24:25], v[8:9], v[24:25]
	v_add_f64_e32 v[10:11], v[12:13], v[10:11]
	v_add_f64_e32 v[12:13], v[30:31], v[36:37]
	v_fma_f64 v[4:5], v[4:5], v[18:19], v[32:33]
	v_fma_f64 v[1:2], v[2:3], v[18:19], -v[20:21]
	v_fma_f64 v[8:9], v[8:9], v[22:23], v[16:17]
	v_fma_f64 v[6:7], v[6:7], v[22:23], -v[24:25]
	v_add_f64_e32 v[10:11], v[10:11], v[14:15]
	v_add_f64_e32 v[12:13], v[12:13], v[28:29]
	s_delay_alu instid0(VALU_DEP_2) | instskip(NEXT) | instid1(VALU_DEP_2)
	v_add_f64_e32 v[1:2], v[10:11], v[1:2]
	v_add_f64_e32 v[3:4], v[12:13], v[4:5]
	s_delay_alu instid0(VALU_DEP_2) | instskip(NEXT) | instid1(VALU_DEP_2)
	;; [unrolled: 3-line block ×3, first 2 shown]
	v_add_f64_e64 v[1:2], v[133:134], -v[1:2]
	v_add_f64_e64 v[3:4], v[135:136], -v[3:4]
	scratch_store_b128 off, v[1:4], off offset:272
	v_cmpx_lt_u32_e32 15, v0
	s_cbranch_execz .LBB42_241
; %bb.240:
	scratch_load_b128 v[1:4], off, s41
	v_mov_b32_e32 v5, 0
	s_delay_alu instid0(VALU_DEP_1)
	v_dual_mov_b32 v6, v5 :: v_dual_mov_b32 v7, v5
	v_mov_b32_e32 v8, v5
	scratch_store_b128 off, v[5:8], off offset:256
	s_wait_loadcnt 0x0
	ds_store_b128 v132, v[1:4]
.LBB42_241:
	s_wait_alu 0xfffe
	s_or_b32 exec_lo, exec_lo, s0
	s_wait_storecnt_dscnt 0x0
	s_barrier_signal -1
	s_barrier_wait -1
	global_inv scope:SCOPE_SE
	s_clause 0x7
	scratch_load_b128 v[2:5], off, off offset:272
	scratch_load_b128 v[6:9], off, off offset:288
	;; [unrolled: 1-line block ×8, first 2 shown]
	v_mov_b32_e32 v1, 0
	s_mov_b32 s0, exec_lo
	ds_load_b128 v[34:37], v1 offset:944
	s_clause 0x1
	scratch_load_b128 v[38:41], off, off offset:400
	scratch_load_b128 v[42:45], off, off offset:256
	ds_load_b128 v[133:136], v1 offset:960
	scratch_load_b128 v[137:140], off, off offset:416
	s_wait_loadcnt_dscnt 0xa01
	v_mul_f64_e32 v[141:142], v[36:37], v[4:5]
	v_mul_f64_e32 v[4:5], v[34:35], v[4:5]
	s_delay_alu instid0(VALU_DEP_2) | instskip(NEXT) | instid1(VALU_DEP_2)
	v_fma_f64 v[147:148], v[34:35], v[2:3], -v[141:142]
	v_fma_f64 v[149:150], v[36:37], v[2:3], v[4:5]
	ds_load_b128 v[2:5], v1 offset:976
	s_wait_loadcnt_dscnt 0x901
	v_mul_f64_e32 v[145:146], v[133:134], v[8:9]
	v_mul_f64_e32 v[8:9], v[135:136], v[8:9]
	scratch_load_b128 v[34:37], off, off offset:432
	ds_load_b128 v[141:144], v1 offset:992
	s_wait_loadcnt_dscnt 0x901
	v_mul_f64_e32 v[151:152], v[2:3], v[12:13]
	v_mul_f64_e32 v[12:13], v[4:5], v[12:13]
	v_fma_f64 v[135:136], v[135:136], v[6:7], v[145:146]
	v_fma_f64 v[133:134], v[133:134], v[6:7], -v[8:9]
	v_add_f64_e32 v[145:146], 0, v[147:148]
	v_add_f64_e32 v[147:148], 0, v[149:150]
	scratch_load_b128 v[6:9], off, off offset:448
	v_fma_f64 v[151:152], v[4:5], v[10:11], v[151:152]
	v_fma_f64 v[153:154], v[2:3], v[10:11], -v[12:13]
	ds_load_b128 v[2:5], v1 offset:1008
	s_wait_loadcnt_dscnt 0x901
	v_mul_f64_e32 v[149:150], v[141:142], v[16:17]
	v_mul_f64_e32 v[16:17], v[143:144], v[16:17]
	scratch_load_b128 v[10:13], off, off offset:464
	v_add_f64_e32 v[145:146], v[145:146], v[133:134]
	v_add_f64_e32 v[147:148], v[147:148], v[135:136]
	s_wait_loadcnt_dscnt 0x900
	v_mul_f64_e32 v[155:156], v[2:3], v[20:21]
	v_mul_f64_e32 v[20:21], v[4:5], v[20:21]
	ds_load_b128 v[133:136], v1 offset:1024
	v_fma_f64 v[143:144], v[143:144], v[14:15], v[149:150]
	v_fma_f64 v[141:142], v[141:142], v[14:15], -v[16:17]
	scratch_load_b128 v[14:17], off, off offset:480
	v_add_f64_e32 v[145:146], v[145:146], v[153:154]
	v_add_f64_e32 v[147:148], v[147:148], v[151:152]
	v_fma_f64 v[151:152], v[4:5], v[18:19], v[155:156]
	v_fma_f64 v[153:154], v[2:3], v[18:19], -v[20:21]
	ds_load_b128 v[2:5], v1 offset:1040
	s_wait_loadcnt_dscnt 0x901
	v_mul_f64_e32 v[149:150], v[133:134], v[24:25]
	v_mul_f64_e32 v[24:25], v[135:136], v[24:25]
	scratch_load_b128 v[18:21], off, off offset:496
	s_wait_loadcnt_dscnt 0x900
	v_mul_f64_e32 v[155:156], v[2:3], v[28:29]
	v_mul_f64_e32 v[28:29], v[4:5], v[28:29]
	v_add_f64_e32 v[145:146], v[145:146], v[141:142]
	v_add_f64_e32 v[147:148], v[147:148], v[143:144]
	ds_load_b128 v[141:144], v1 offset:1056
	v_fma_f64 v[135:136], v[135:136], v[22:23], v[149:150]
	v_fma_f64 v[133:134], v[133:134], v[22:23], -v[24:25]
	scratch_load_b128 v[22:25], off, off offset:512
	v_add_f64_e32 v[145:146], v[145:146], v[153:154]
	v_add_f64_e32 v[147:148], v[147:148], v[151:152]
	v_fma_f64 v[151:152], v[4:5], v[26:27], v[155:156]
	v_fma_f64 v[153:154], v[2:3], v[26:27], -v[28:29]
	ds_load_b128 v[2:5], v1 offset:1072
	s_wait_loadcnt_dscnt 0x901
	v_mul_f64_e32 v[149:150], v[141:142], v[32:33]
	v_mul_f64_e32 v[32:33], v[143:144], v[32:33]
	scratch_load_b128 v[26:29], off, off offset:528
	s_wait_loadcnt_dscnt 0x900
	v_mul_f64_e32 v[155:156], v[2:3], v[40:41]
	v_mul_f64_e32 v[40:41], v[4:5], v[40:41]
	v_add_f64_e32 v[145:146], v[145:146], v[133:134]
	v_add_f64_e32 v[147:148], v[147:148], v[135:136]
	ds_load_b128 v[133:136], v1 offset:1088
	v_fma_f64 v[143:144], v[143:144], v[30:31], v[149:150]
	v_fma_f64 v[141:142], v[141:142], v[30:31], -v[32:33]
	scratch_load_b128 v[30:33], off, off offset:544
	v_add_f64_e32 v[145:146], v[145:146], v[153:154]
	v_add_f64_e32 v[147:148], v[147:148], v[151:152]
	v_fma_f64 v[153:154], v[4:5], v[38:39], v[155:156]
	v_fma_f64 v[155:156], v[2:3], v[38:39], -v[40:41]
	ds_load_b128 v[2:5], v1 offset:1104
	s_wait_loadcnt_dscnt 0x801
	v_mul_f64_e32 v[149:150], v[133:134], v[139:140]
	v_mul_f64_e32 v[151:152], v[135:136], v[139:140]
	scratch_load_b128 v[38:41], off, off offset:560
	v_add_f64_e32 v[145:146], v[145:146], v[141:142]
	v_add_f64_e32 v[143:144], v[147:148], v[143:144]
	ds_load_b128 v[139:142], v1 offset:1120
	v_fma_f64 v[149:150], v[135:136], v[137:138], v[149:150]
	v_fma_f64 v[137:138], v[133:134], v[137:138], -v[151:152]
	scratch_load_b128 v[133:136], off, off offset:576
	s_wait_loadcnt_dscnt 0x901
	v_mul_f64_e32 v[147:148], v[2:3], v[36:37]
	v_mul_f64_e32 v[36:37], v[4:5], v[36:37]
	v_add_f64_e32 v[145:146], v[145:146], v[155:156]
	v_add_f64_e32 v[143:144], v[143:144], v[153:154]
	s_delay_alu instid0(VALU_DEP_4) | instskip(NEXT) | instid1(VALU_DEP_4)
	v_fma_f64 v[147:148], v[4:5], v[34:35], v[147:148]
	v_fma_f64 v[153:154], v[2:3], v[34:35], -v[36:37]
	ds_load_b128 v[2:5], v1 offset:1136
	s_wait_loadcnt_dscnt 0x801
	v_mul_f64_e32 v[151:152], v[139:140], v[8:9]
	v_mul_f64_e32 v[8:9], v[141:142], v[8:9]
	scratch_load_b128 v[34:37], off, off offset:592
	s_wait_loadcnt_dscnt 0x800
	v_mul_f64_e32 v[155:156], v[2:3], v[12:13]
	v_add_f64_e32 v[137:138], v[145:146], v[137:138]
	v_add_f64_e32 v[149:150], v[143:144], v[149:150]
	v_mul_f64_e32 v[12:13], v[4:5], v[12:13]
	ds_load_b128 v[143:146], v1 offset:1152
	v_fma_f64 v[141:142], v[141:142], v[6:7], v[151:152]
	v_fma_f64 v[139:140], v[139:140], v[6:7], -v[8:9]
	scratch_load_b128 v[6:9], off, off offset:608
	v_fma_f64 v[151:152], v[4:5], v[10:11], v[155:156]
	v_add_f64_e32 v[137:138], v[137:138], v[153:154]
	v_add_f64_e32 v[147:148], v[149:150], v[147:148]
	v_fma_f64 v[153:154], v[2:3], v[10:11], -v[12:13]
	ds_load_b128 v[2:5], v1 offset:1168
	s_wait_loadcnt_dscnt 0x801
	v_mul_f64_e32 v[149:150], v[143:144], v[16:17]
	v_mul_f64_e32 v[16:17], v[145:146], v[16:17]
	scratch_load_b128 v[10:13], off, off offset:624
	v_add_f64_e32 v[155:156], v[137:138], v[139:140]
	v_add_f64_e32 v[141:142], v[147:148], v[141:142]
	s_wait_loadcnt_dscnt 0x800
	v_mul_f64_e32 v[147:148], v[2:3], v[20:21]
	v_mul_f64_e32 v[20:21], v[4:5], v[20:21]
	v_fma_f64 v[145:146], v[145:146], v[14:15], v[149:150]
	v_fma_f64 v[143:144], v[143:144], v[14:15], -v[16:17]
	ds_load_b128 v[137:140], v1 offset:1184
	scratch_load_b128 v[14:17], off, off offset:640
	v_add_f64_e32 v[149:150], v[155:156], v[153:154]
	v_add_f64_e32 v[141:142], v[141:142], v[151:152]
	v_fma_f64 v[147:148], v[4:5], v[18:19], v[147:148]
	v_fma_f64 v[153:154], v[2:3], v[18:19], -v[20:21]
	ds_load_b128 v[2:5], v1 offset:1200
	s_wait_loadcnt_dscnt 0x801
	v_mul_f64_e32 v[151:152], v[137:138], v[24:25]
	v_mul_f64_e32 v[24:25], v[139:140], v[24:25]
	scratch_load_b128 v[18:21], off, off offset:656
	s_wait_loadcnt_dscnt 0x800
	v_mul_f64_e32 v[155:156], v[2:3], v[28:29]
	v_mul_f64_e32 v[28:29], v[4:5], v[28:29]
	v_add_f64_e32 v[149:150], v[149:150], v[143:144]
	v_add_f64_e32 v[145:146], v[141:142], v[145:146]
	ds_load_b128 v[141:144], v1 offset:1216
	v_fma_f64 v[139:140], v[139:140], v[22:23], v[151:152]
	v_fma_f64 v[137:138], v[137:138], v[22:23], -v[24:25]
	scratch_load_b128 v[22:25], off, off offset:672
	v_fma_f64 v[151:152], v[4:5], v[26:27], v[155:156]
	v_add_f64_e32 v[149:150], v[149:150], v[153:154]
	v_add_f64_e32 v[145:146], v[145:146], v[147:148]
	v_fma_f64 v[153:154], v[2:3], v[26:27], -v[28:29]
	ds_load_b128 v[2:5], v1 offset:1232
	s_wait_loadcnt_dscnt 0x801
	v_mul_f64_e32 v[147:148], v[141:142], v[32:33]
	v_mul_f64_e32 v[32:33], v[143:144], v[32:33]
	scratch_load_b128 v[26:29], off, off offset:688
	s_wait_loadcnt_dscnt 0x800
	v_mul_f64_e32 v[155:156], v[2:3], v[40:41]
	v_mul_f64_e32 v[40:41], v[4:5], v[40:41]
	v_add_f64_e32 v[149:150], v[149:150], v[137:138]
	v_add_f64_e32 v[145:146], v[145:146], v[139:140]
	ds_load_b128 v[137:140], v1 offset:1248
	v_fma_f64 v[143:144], v[143:144], v[30:31], v[147:148]
	v_fma_f64 v[30:31], v[141:142], v[30:31], -v[32:33]
	v_fma_f64 v[147:148], v[4:5], v[38:39], v[155:156]
	v_fma_f64 v[38:39], v[2:3], v[38:39], -v[40:41]
	v_add_f64_e32 v[32:33], v[149:150], v[153:154]
	v_add_f64_e32 v[141:142], v[145:146], v[151:152]
	s_wait_loadcnt_dscnt 0x700
	v_mul_f64_e32 v[145:146], v[137:138], v[135:136]
	v_mul_f64_e32 v[135:136], v[139:140], v[135:136]
	s_delay_alu instid0(VALU_DEP_4) | instskip(NEXT) | instid1(VALU_DEP_4)
	v_add_f64_e32 v[40:41], v[32:33], v[30:31]
	v_add_f64_e32 v[141:142], v[141:142], v[143:144]
	ds_load_b128 v[2:5], v1 offset:1264
	ds_load_b128 v[30:33], v1 offset:1280
	v_fma_f64 v[139:140], v[139:140], v[133:134], v[145:146]
	v_fma_f64 v[133:134], v[137:138], v[133:134], -v[135:136]
	s_wait_loadcnt_dscnt 0x601
	v_mul_f64_e32 v[143:144], v[2:3], v[36:37]
	v_mul_f64_e32 v[36:37], v[4:5], v[36:37]
	s_wait_loadcnt_dscnt 0x500
	v_mul_f64_e32 v[135:136], v[30:31], v[8:9]
	v_mul_f64_e32 v[8:9], v[32:33], v[8:9]
	v_add_f64_e32 v[38:39], v[40:41], v[38:39]
	v_add_f64_e32 v[40:41], v[141:142], v[147:148]
	v_fma_f64 v[137:138], v[4:5], v[34:35], v[143:144]
	v_fma_f64 v[141:142], v[2:3], v[34:35], -v[36:37]
	ds_load_b128 v[2:5], v1 offset:1296
	ds_load_b128 v[34:37], v1 offset:1312
	v_fma_f64 v[32:33], v[32:33], v[6:7], v[135:136]
	v_fma_f64 v[6:7], v[30:31], v[6:7], -v[8:9]
	v_add_f64_e32 v[38:39], v[38:39], v[133:134]
	v_add_f64_e32 v[40:41], v[40:41], v[139:140]
	s_wait_loadcnt_dscnt 0x401
	v_mul_f64_e32 v[133:134], v[2:3], v[12:13]
	v_mul_f64_e32 v[12:13], v[4:5], v[12:13]
	s_delay_alu instid0(VALU_DEP_4) | instskip(NEXT) | instid1(VALU_DEP_4)
	v_add_f64_e32 v[8:9], v[38:39], v[141:142]
	v_add_f64_e32 v[30:31], v[40:41], v[137:138]
	s_wait_loadcnt_dscnt 0x300
	v_mul_f64_e32 v[38:39], v[34:35], v[16:17]
	v_mul_f64_e32 v[16:17], v[36:37], v[16:17]
	v_fma_f64 v[40:41], v[4:5], v[10:11], v[133:134]
	v_fma_f64 v[10:11], v[2:3], v[10:11], -v[12:13]
	v_add_f64_e32 v[12:13], v[8:9], v[6:7]
	v_add_f64_e32 v[30:31], v[30:31], v[32:33]
	ds_load_b128 v[2:5], v1 offset:1328
	ds_load_b128 v[6:9], v1 offset:1344
	v_fma_f64 v[36:37], v[36:37], v[14:15], v[38:39]
	v_fma_f64 v[14:15], v[34:35], v[14:15], -v[16:17]
	s_wait_loadcnt_dscnt 0x201
	v_mul_f64_e32 v[32:33], v[2:3], v[20:21]
	v_mul_f64_e32 v[20:21], v[4:5], v[20:21]
	s_wait_loadcnt_dscnt 0x100
	v_mul_f64_e32 v[16:17], v[6:7], v[24:25]
	v_mul_f64_e32 v[24:25], v[8:9], v[24:25]
	v_add_f64_e32 v[10:11], v[12:13], v[10:11]
	v_add_f64_e32 v[12:13], v[30:31], v[40:41]
	v_fma_f64 v[30:31], v[4:5], v[18:19], v[32:33]
	v_fma_f64 v[18:19], v[2:3], v[18:19], -v[20:21]
	ds_load_b128 v[2:5], v1 offset:1360
	v_fma_f64 v[8:9], v[8:9], v[22:23], v[16:17]
	v_fma_f64 v[6:7], v[6:7], v[22:23], -v[24:25]
	v_add_f64_e32 v[10:11], v[10:11], v[14:15]
	v_add_f64_e32 v[12:13], v[12:13], v[36:37]
	s_wait_loadcnt_dscnt 0x0
	v_mul_f64_e32 v[14:15], v[2:3], v[28:29]
	v_mul_f64_e32 v[20:21], v[4:5], v[28:29]
	s_delay_alu instid0(VALU_DEP_4) | instskip(NEXT) | instid1(VALU_DEP_4)
	v_add_f64_e32 v[10:11], v[10:11], v[18:19]
	v_add_f64_e32 v[12:13], v[12:13], v[30:31]
	s_delay_alu instid0(VALU_DEP_4) | instskip(NEXT) | instid1(VALU_DEP_4)
	v_fma_f64 v[4:5], v[4:5], v[26:27], v[14:15]
	v_fma_f64 v[2:3], v[2:3], v[26:27], -v[20:21]
	s_delay_alu instid0(VALU_DEP_4) | instskip(NEXT) | instid1(VALU_DEP_4)
	v_add_f64_e32 v[6:7], v[10:11], v[6:7]
	v_add_f64_e32 v[8:9], v[12:13], v[8:9]
	s_delay_alu instid0(VALU_DEP_2) | instskip(NEXT) | instid1(VALU_DEP_2)
	v_add_f64_e32 v[2:3], v[6:7], v[2:3]
	v_add_f64_e32 v[4:5], v[8:9], v[4:5]
	s_delay_alu instid0(VALU_DEP_2) | instskip(NEXT) | instid1(VALU_DEP_2)
	v_add_f64_e64 v[2:3], v[42:43], -v[2:3]
	v_add_f64_e64 v[4:5], v[44:45], -v[4:5]
	scratch_store_b128 off, v[2:5], off offset:256
	v_cmpx_lt_u32_e32 14, v0
	s_cbranch_execz .LBB42_243
; %bb.242:
	scratch_load_b128 v[5:8], off, s42
	v_dual_mov_b32 v2, v1 :: v_dual_mov_b32 v3, v1
	v_mov_b32_e32 v4, v1
	scratch_store_b128 off, v[1:4], off offset:240
	s_wait_loadcnt 0x0
	ds_store_b128 v132, v[5:8]
.LBB42_243:
	s_wait_alu 0xfffe
	s_or_b32 exec_lo, exec_lo, s0
	s_wait_storecnt_dscnt 0x0
	s_barrier_signal -1
	s_barrier_wait -1
	global_inv scope:SCOPE_SE
	s_clause 0x8
	scratch_load_b128 v[2:5], off, off offset:256
	scratch_load_b128 v[6:9], off, off offset:272
	;; [unrolled: 1-line block ×9, first 2 shown]
	ds_load_b128 v[38:41], v1 offset:928
	ds_load_b128 v[42:45], v1 offset:944
	s_clause 0x1
	scratch_load_b128 v[133:136], off, off offset:240
	scratch_load_b128 v[137:140], off, off offset:400
	s_mov_b32 s0, exec_lo
	s_wait_loadcnt_dscnt 0xa01
	v_mul_f64_e32 v[141:142], v[40:41], v[4:5]
	v_mul_f64_e32 v[4:5], v[38:39], v[4:5]
	s_wait_loadcnt_dscnt 0x900
	v_mul_f64_e32 v[145:146], v[42:43], v[8:9]
	v_mul_f64_e32 v[8:9], v[44:45], v[8:9]
	s_delay_alu instid0(VALU_DEP_4) | instskip(NEXT) | instid1(VALU_DEP_4)
	v_fma_f64 v[147:148], v[38:39], v[2:3], -v[141:142]
	v_fma_f64 v[149:150], v[40:41], v[2:3], v[4:5]
	ds_load_b128 v[2:5], v1 offset:960
	ds_load_b128 v[141:144], v1 offset:976
	scratch_load_b128 v[38:41], off, off offset:416
	v_fma_f64 v[44:45], v[44:45], v[6:7], v[145:146]
	v_fma_f64 v[42:43], v[42:43], v[6:7], -v[8:9]
	scratch_load_b128 v[6:9], off, off offset:432
	s_wait_loadcnt_dscnt 0xa01
	v_mul_f64_e32 v[151:152], v[2:3], v[12:13]
	v_mul_f64_e32 v[12:13], v[4:5], v[12:13]
	v_add_f64_e32 v[145:146], 0, v[147:148]
	v_add_f64_e32 v[147:148], 0, v[149:150]
	s_wait_loadcnt_dscnt 0x900
	v_mul_f64_e32 v[149:150], v[141:142], v[16:17]
	v_mul_f64_e32 v[16:17], v[143:144], v[16:17]
	v_fma_f64 v[151:152], v[4:5], v[10:11], v[151:152]
	v_fma_f64 v[153:154], v[2:3], v[10:11], -v[12:13]
	ds_load_b128 v[2:5], v1 offset:992
	scratch_load_b128 v[10:13], off, off offset:448
	v_add_f64_e32 v[145:146], v[145:146], v[42:43]
	v_add_f64_e32 v[147:148], v[147:148], v[44:45]
	ds_load_b128 v[42:45], v1 offset:1008
	v_fma_f64 v[143:144], v[143:144], v[14:15], v[149:150]
	v_fma_f64 v[141:142], v[141:142], v[14:15], -v[16:17]
	scratch_load_b128 v[14:17], off, off offset:464
	s_wait_loadcnt_dscnt 0xa01
	v_mul_f64_e32 v[155:156], v[2:3], v[20:21]
	v_mul_f64_e32 v[20:21], v[4:5], v[20:21]
	s_wait_loadcnt_dscnt 0x900
	v_mul_f64_e32 v[149:150], v[42:43], v[24:25]
	v_mul_f64_e32 v[24:25], v[44:45], v[24:25]
	v_add_f64_e32 v[145:146], v[145:146], v[153:154]
	v_add_f64_e32 v[147:148], v[147:148], v[151:152]
	v_fma_f64 v[151:152], v[4:5], v[18:19], v[155:156]
	v_fma_f64 v[153:154], v[2:3], v[18:19], -v[20:21]
	ds_load_b128 v[2:5], v1 offset:1024
	scratch_load_b128 v[18:21], off, off offset:480
	v_fma_f64 v[44:45], v[44:45], v[22:23], v[149:150]
	v_fma_f64 v[42:43], v[42:43], v[22:23], -v[24:25]
	scratch_load_b128 v[22:25], off, off offset:496
	v_add_f64_e32 v[145:146], v[145:146], v[141:142]
	v_add_f64_e32 v[147:148], v[147:148], v[143:144]
	ds_load_b128 v[141:144], v1 offset:1040
	s_wait_loadcnt_dscnt 0xa01
	v_mul_f64_e32 v[155:156], v[2:3], v[28:29]
	v_mul_f64_e32 v[28:29], v[4:5], v[28:29]
	s_wait_loadcnt_dscnt 0x900
	v_mul_f64_e32 v[149:150], v[141:142], v[32:33]
	v_mul_f64_e32 v[32:33], v[143:144], v[32:33]
	v_add_f64_e32 v[145:146], v[145:146], v[153:154]
	v_add_f64_e32 v[147:148], v[147:148], v[151:152]
	v_fma_f64 v[151:152], v[4:5], v[26:27], v[155:156]
	v_fma_f64 v[153:154], v[2:3], v[26:27], -v[28:29]
	ds_load_b128 v[2:5], v1 offset:1056
	scratch_load_b128 v[26:29], off, off offset:512
	v_fma_f64 v[143:144], v[143:144], v[30:31], v[149:150]
	v_fma_f64 v[141:142], v[141:142], v[30:31], -v[32:33]
	scratch_load_b128 v[30:33], off, off offset:528
	v_add_f64_e32 v[145:146], v[145:146], v[42:43]
	v_add_f64_e32 v[147:148], v[147:148], v[44:45]
	ds_load_b128 v[42:45], v1 offset:1072
	s_wait_loadcnt_dscnt 0xa01
	v_mul_f64_e32 v[155:156], v[2:3], v[36:37]
	v_mul_f64_e32 v[36:37], v[4:5], v[36:37]
	s_wait_loadcnt_dscnt 0x800
	v_mul_f64_e32 v[149:150], v[42:43], v[139:140]
	v_add_f64_e32 v[145:146], v[145:146], v[153:154]
	v_add_f64_e32 v[147:148], v[147:148], v[151:152]
	v_mul_f64_e32 v[151:152], v[44:45], v[139:140]
	v_fma_f64 v[153:154], v[4:5], v[34:35], v[155:156]
	v_fma_f64 v[155:156], v[2:3], v[34:35], -v[36:37]
	ds_load_b128 v[2:5], v1 offset:1088
	scratch_load_b128 v[34:37], off, off offset:544
	v_fma_f64 v[44:45], v[44:45], v[137:138], v[149:150]
	v_add_f64_e32 v[145:146], v[145:146], v[141:142]
	v_add_f64_e32 v[143:144], v[147:148], v[143:144]
	ds_load_b128 v[139:142], v1 offset:1104
	v_fma_f64 v[137:138], v[42:43], v[137:138], -v[151:152]
	s_wait_loadcnt_dscnt 0x801
	v_mul_f64_e32 v[147:148], v[2:3], v[40:41]
	v_mul_f64_e32 v[157:158], v[4:5], v[40:41]
	scratch_load_b128 v[40:43], off, off offset:560
	s_wait_loadcnt_dscnt 0x800
	v_mul_f64_e32 v[151:152], v[139:140], v[8:9]
	v_mul_f64_e32 v[8:9], v[141:142], v[8:9]
	v_add_f64_e32 v[145:146], v[145:146], v[155:156]
	v_add_f64_e32 v[143:144], v[143:144], v[153:154]
	v_fma_f64 v[153:154], v[4:5], v[38:39], v[147:148]
	v_fma_f64 v[38:39], v[2:3], v[38:39], -v[157:158]
	ds_load_b128 v[2:5], v1 offset:1120
	ds_load_b128 v[147:150], v1 offset:1136
	v_fma_f64 v[141:142], v[141:142], v[6:7], v[151:152]
	v_fma_f64 v[139:140], v[139:140], v[6:7], -v[8:9]
	scratch_load_b128 v[6:9], off, off offset:592
	v_add_f64_e32 v[137:138], v[145:146], v[137:138]
	v_add_f64_e32 v[44:45], v[143:144], v[44:45]
	scratch_load_b128 v[143:146], off, off offset:576
	s_wait_loadcnt_dscnt 0x901
	v_mul_f64_e32 v[155:156], v[2:3], v[12:13]
	v_mul_f64_e32 v[12:13], v[4:5], v[12:13]
	s_wait_loadcnt_dscnt 0x800
	v_mul_f64_e32 v[151:152], v[147:148], v[16:17]
	v_mul_f64_e32 v[16:17], v[149:150], v[16:17]
	v_add_f64_e32 v[38:39], v[137:138], v[38:39]
	v_add_f64_e32 v[44:45], v[44:45], v[153:154]
	v_fma_f64 v[153:154], v[4:5], v[10:11], v[155:156]
	v_fma_f64 v[155:156], v[2:3], v[10:11], -v[12:13]
	ds_load_b128 v[2:5], v1 offset:1152
	scratch_load_b128 v[10:13], off, off offset:608
	v_fma_f64 v[149:150], v[149:150], v[14:15], v[151:152]
	v_fma_f64 v[147:148], v[147:148], v[14:15], -v[16:17]
	scratch_load_b128 v[14:17], off, off offset:624
	v_add_f64_e32 v[38:39], v[38:39], v[139:140]
	v_add_f64_e32 v[44:45], v[44:45], v[141:142]
	ds_load_b128 v[137:140], v1 offset:1168
	s_wait_loadcnt_dscnt 0x901
	v_mul_f64_e32 v[141:142], v[2:3], v[20:21]
	v_mul_f64_e32 v[20:21], v[4:5], v[20:21]
	s_wait_loadcnt_dscnt 0x800
	v_mul_f64_e32 v[151:152], v[137:138], v[24:25]
	v_mul_f64_e32 v[24:25], v[139:140], v[24:25]
	v_add_f64_e32 v[38:39], v[38:39], v[155:156]
	v_add_f64_e32 v[44:45], v[44:45], v[153:154]
	v_fma_f64 v[141:142], v[4:5], v[18:19], v[141:142]
	v_fma_f64 v[153:154], v[2:3], v[18:19], -v[20:21]
	ds_load_b128 v[2:5], v1 offset:1184
	scratch_load_b128 v[18:21], off, off offset:640
	v_fma_f64 v[139:140], v[139:140], v[22:23], v[151:152]
	v_fma_f64 v[137:138], v[137:138], v[22:23], -v[24:25]
	scratch_load_b128 v[22:25], off, off offset:656
	v_add_f64_e32 v[38:39], v[38:39], v[147:148]
	v_add_f64_e32 v[44:45], v[44:45], v[149:150]
	ds_load_b128 v[147:150], v1 offset:1200
	s_wait_loadcnt_dscnt 0x901
	v_mul_f64_e32 v[155:156], v[2:3], v[28:29]
	v_mul_f64_e32 v[28:29], v[4:5], v[28:29]
	v_add_f64_e32 v[38:39], v[38:39], v[153:154]
	v_add_f64_e32 v[44:45], v[44:45], v[141:142]
	s_wait_loadcnt_dscnt 0x800
	v_mul_f64_e32 v[141:142], v[147:148], v[32:33]
	v_mul_f64_e32 v[32:33], v[149:150], v[32:33]
	v_fma_f64 v[151:152], v[4:5], v[26:27], v[155:156]
	v_fma_f64 v[153:154], v[2:3], v[26:27], -v[28:29]
	ds_load_b128 v[2:5], v1 offset:1216
	scratch_load_b128 v[26:29], off, off offset:672
	v_add_f64_e32 v[38:39], v[38:39], v[137:138]
	v_add_f64_e32 v[44:45], v[44:45], v[139:140]
	ds_load_b128 v[137:140], v1 offset:1232
	s_wait_loadcnt_dscnt 0x801
	v_mul_f64_e32 v[155:156], v[2:3], v[36:37]
	v_mul_f64_e32 v[36:37], v[4:5], v[36:37]
	v_fma_f64 v[141:142], v[149:150], v[30:31], v[141:142]
	v_fma_f64 v[147:148], v[147:148], v[30:31], -v[32:33]
	scratch_load_b128 v[30:33], off, off offset:688
	s_wait_loadcnt_dscnt 0x800
	v_mul_f64_e32 v[149:150], v[137:138], v[42:43]
	v_add_f64_e32 v[38:39], v[38:39], v[153:154]
	v_add_f64_e32 v[44:45], v[44:45], v[151:152]
	v_mul_f64_e32 v[42:43], v[139:140], v[42:43]
	v_fma_f64 v[151:152], v[4:5], v[34:35], v[155:156]
	v_fma_f64 v[153:154], v[2:3], v[34:35], -v[36:37]
	ds_load_b128 v[2:5], v1 offset:1248
	ds_load_b128 v[34:37], v1 offset:1264
	v_fma_f64 v[139:140], v[139:140], v[40:41], v[149:150]
	v_add_f64_e32 v[38:39], v[38:39], v[147:148]
	v_add_f64_e32 v[44:45], v[44:45], v[141:142]
	v_fma_f64 v[40:41], v[137:138], v[40:41], -v[42:43]
	s_wait_loadcnt_dscnt 0x601
	v_mul_f64_e32 v[141:142], v[2:3], v[145:146]
	v_mul_f64_e32 v[145:146], v[4:5], v[145:146]
	v_add_f64_e32 v[38:39], v[38:39], v[153:154]
	v_add_f64_e32 v[42:43], v[44:45], v[151:152]
	s_wait_dscnt 0x0
	v_mul_f64_e32 v[44:45], v[34:35], v[8:9]
	v_mul_f64_e32 v[8:9], v[36:37], v[8:9]
	v_fma_f64 v[137:138], v[4:5], v[143:144], v[141:142]
	v_fma_f64 v[141:142], v[2:3], v[143:144], -v[145:146]
	v_add_f64_e32 v[143:144], v[38:39], v[40:41]
	v_add_f64_e32 v[42:43], v[42:43], v[139:140]
	ds_load_b128 v[2:5], v1 offset:1280
	ds_load_b128 v[38:41], v1 offset:1296
	v_fma_f64 v[36:37], v[36:37], v[6:7], v[44:45]
	v_fma_f64 v[6:7], v[34:35], v[6:7], -v[8:9]
	s_wait_loadcnt_dscnt 0x501
	v_mul_f64_e32 v[139:140], v[2:3], v[12:13]
	v_mul_f64_e32 v[12:13], v[4:5], v[12:13]
	v_add_f64_e32 v[8:9], v[143:144], v[141:142]
	v_add_f64_e32 v[34:35], v[42:43], v[137:138]
	s_wait_loadcnt_dscnt 0x400
	v_mul_f64_e32 v[42:43], v[38:39], v[16:17]
	v_mul_f64_e32 v[16:17], v[40:41], v[16:17]
	v_fma_f64 v[44:45], v[4:5], v[10:11], v[139:140]
	v_fma_f64 v[10:11], v[2:3], v[10:11], -v[12:13]
	v_add_f64_e32 v[12:13], v[8:9], v[6:7]
	v_add_f64_e32 v[34:35], v[34:35], v[36:37]
	ds_load_b128 v[2:5], v1 offset:1312
	ds_load_b128 v[6:9], v1 offset:1328
	v_fma_f64 v[40:41], v[40:41], v[14:15], v[42:43]
	v_fma_f64 v[14:15], v[38:39], v[14:15], -v[16:17]
	s_wait_loadcnt_dscnt 0x301
	v_mul_f64_e32 v[36:37], v[2:3], v[20:21]
	v_mul_f64_e32 v[20:21], v[4:5], v[20:21]
	s_wait_loadcnt_dscnt 0x200
	v_mul_f64_e32 v[16:17], v[6:7], v[24:25]
	v_mul_f64_e32 v[24:25], v[8:9], v[24:25]
	v_add_f64_e32 v[10:11], v[12:13], v[10:11]
	v_add_f64_e32 v[12:13], v[34:35], v[44:45]
	v_fma_f64 v[34:35], v[4:5], v[18:19], v[36:37]
	v_fma_f64 v[18:19], v[2:3], v[18:19], -v[20:21]
	v_fma_f64 v[8:9], v[8:9], v[22:23], v[16:17]
	v_fma_f64 v[6:7], v[6:7], v[22:23], -v[24:25]
	v_add_f64_e32 v[14:15], v[10:11], v[14:15]
	v_add_f64_e32 v[20:21], v[12:13], v[40:41]
	ds_load_b128 v[2:5], v1 offset:1344
	ds_load_b128 v[10:13], v1 offset:1360
	s_wait_loadcnt_dscnt 0x101
	v_mul_f64_e32 v[36:37], v[2:3], v[28:29]
	v_mul_f64_e32 v[28:29], v[4:5], v[28:29]
	v_add_f64_e32 v[14:15], v[14:15], v[18:19]
	v_add_f64_e32 v[16:17], v[20:21], v[34:35]
	s_wait_loadcnt_dscnt 0x0
	v_mul_f64_e32 v[18:19], v[10:11], v[32:33]
	v_mul_f64_e32 v[20:21], v[12:13], v[32:33]
	v_fma_f64 v[4:5], v[4:5], v[26:27], v[36:37]
	v_fma_f64 v[1:2], v[2:3], v[26:27], -v[28:29]
	v_add_f64_e32 v[6:7], v[14:15], v[6:7]
	v_add_f64_e32 v[8:9], v[16:17], v[8:9]
	v_fma_f64 v[12:13], v[12:13], v[30:31], v[18:19]
	v_fma_f64 v[10:11], v[10:11], v[30:31], -v[20:21]
	s_delay_alu instid0(VALU_DEP_4) | instskip(NEXT) | instid1(VALU_DEP_4)
	v_add_f64_e32 v[1:2], v[6:7], v[1:2]
	v_add_f64_e32 v[3:4], v[8:9], v[4:5]
	s_delay_alu instid0(VALU_DEP_2) | instskip(NEXT) | instid1(VALU_DEP_2)
	v_add_f64_e32 v[1:2], v[1:2], v[10:11]
	v_add_f64_e32 v[3:4], v[3:4], v[12:13]
	s_delay_alu instid0(VALU_DEP_2) | instskip(NEXT) | instid1(VALU_DEP_2)
	v_add_f64_e64 v[1:2], v[133:134], -v[1:2]
	v_add_f64_e64 v[3:4], v[135:136], -v[3:4]
	scratch_store_b128 off, v[1:4], off offset:240
	v_cmpx_lt_u32_e32 13, v0
	s_cbranch_execz .LBB42_245
; %bb.244:
	scratch_load_b128 v[1:4], off, s43
	v_mov_b32_e32 v5, 0
	s_delay_alu instid0(VALU_DEP_1)
	v_dual_mov_b32 v6, v5 :: v_dual_mov_b32 v7, v5
	v_mov_b32_e32 v8, v5
	scratch_store_b128 off, v[5:8], off offset:224
	s_wait_loadcnt 0x0
	ds_store_b128 v132, v[1:4]
.LBB42_245:
	s_wait_alu 0xfffe
	s_or_b32 exec_lo, exec_lo, s0
	s_wait_storecnt_dscnt 0x0
	s_barrier_signal -1
	s_barrier_wait -1
	global_inv scope:SCOPE_SE
	s_clause 0x7
	scratch_load_b128 v[2:5], off, off offset:240
	scratch_load_b128 v[6:9], off, off offset:256
	;; [unrolled: 1-line block ×8, first 2 shown]
	v_mov_b32_e32 v1, 0
	s_mov_b32 s0, exec_lo
	ds_load_b128 v[34:37], v1 offset:912
	s_clause 0x1
	scratch_load_b128 v[38:41], off, off offset:368
	scratch_load_b128 v[42:45], off, off offset:224
	ds_load_b128 v[133:136], v1 offset:928
	scratch_load_b128 v[137:140], off, off offset:384
	s_wait_loadcnt_dscnt 0xa01
	v_mul_f64_e32 v[141:142], v[36:37], v[4:5]
	v_mul_f64_e32 v[4:5], v[34:35], v[4:5]
	s_delay_alu instid0(VALU_DEP_2) | instskip(NEXT) | instid1(VALU_DEP_2)
	v_fma_f64 v[147:148], v[34:35], v[2:3], -v[141:142]
	v_fma_f64 v[149:150], v[36:37], v[2:3], v[4:5]
	ds_load_b128 v[2:5], v1 offset:944
	s_wait_loadcnt_dscnt 0x901
	v_mul_f64_e32 v[145:146], v[133:134], v[8:9]
	v_mul_f64_e32 v[8:9], v[135:136], v[8:9]
	scratch_load_b128 v[34:37], off, off offset:400
	ds_load_b128 v[141:144], v1 offset:960
	s_wait_loadcnt_dscnt 0x901
	v_mul_f64_e32 v[151:152], v[2:3], v[12:13]
	v_mul_f64_e32 v[12:13], v[4:5], v[12:13]
	v_fma_f64 v[135:136], v[135:136], v[6:7], v[145:146]
	v_fma_f64 v[133:134], v[133:134], v[6:7], -v[8:9]
	v_add_f64_e32 v[145:146], 0, v[147:148]
	v_add_f64_e32 v[147:148], 0, v[149:150]
	scratch_load_b128 v[6:9], off, off offset:416
	v_fma_f64 v[151:152], v[4:5], v[10:11], v[151:152]
	v_fma_f64 v[153:154], v[2:3], v[10:11], -v[12:13]
	ds_load_b128 v[2:5], v1 offset:976
	s_wait_loadcnt_dscnt 0x901
	v_mul_f64_e32 v[149:150], v[141:142], v[16:17]
	v_mul_f64_e32 v[16:17], v[143:144], v[16:17]
	scratch_load_b128 v[10:13], off, off offset:432
	v_add_f64_e32 v[145:146], v[145:146], v[133:134]
	v_add_f64_e32 v[147:148], v[147:148], v[135:136]
	s_wait_loadcnt_dscnt 0x900
	v_mul_f64_e32 v[155:156], v[2:3], v[20:21]
	v_mul_f64_e32 v[20:21], v[4:5], v[20:21]
	ds_load_b128 v[133:136], v1 offset:992
	v_fma_f64 v[143:144], v[143:144], v[14:15], v[149:150]
	v_fma_f64 v[141:142], v[141:142], v[14:15], -v[16:17]
	scratch_load_b128 v[14:17], off, off offset:448
	v_add_f64_e32 v[145:146], v[145:146], v[153:154]
	v_add_f64_e32 v[147:148], v[147:148], v[151:152]
	v_fma_f64 v[151:152], v[4:5], v[18:19], v[155:156]
	v_fma_f64 v[153:154], v[2:3], v[18:19], -v[20:21]
	ds_load_b128 v[2:5], v1 offset:1008
	s_wait_loadcnt_dscnt 0x901
	v_mul_f64_e32 v[149:150], v[133:134], v[24:25]
	v_mul_f64_e32 v[24:25], v[135:136], v[24:25]
	scratch_load_b128 v[18:21], off, off offset:464
	s_wait_loadcnt_dscnt 0x900
	v_mul_f64_e32 v[155:156], v[2:3], v[28:29]
	v_mul_f64_e32 v[28:29], v[4:5], v[28:29]
	v_add_f64_e32 v[145:146], v[145:146], v[141:142]
	v_add_f64_e32 v[147:148], v[147:148], v[143:144]
	ds_load_b128 v[141:144], v1 offset:1024
	v_fma_f64 v[135:136], v[135:136], v[22:23], v[149:150]
	v_fma_f64 v[133:134], v[133:134], v[22:23], -v[24:25]
	scratch_load_b128 v[22:25], off, off offset:480
	v_add_f64_e32 v[145:146], v[145:146], v[153:154]
	v_add_f64_e32 v[147:148], v[147:148], v[151:152]
	v_fma_f64 v[151:152], v[4:5], v[26:27], v[155:156]
	v_fma_f64 v[153:154], v[2:3], v[26:27], -v[28:29]
	ds_load_b128 v[2:5], v1 offset:1040
	s_wait_loadcnt_dscnt 0x901
	v_mul_f64_e32 v[149:150], v[141:142], v[32:33]
	v_mul_f64_e32 v[32:33], v[143:144], v[32:33]
	scratch_load_b128 v[26:29], off, off offset:496
	s_wait_loadcnt_dscnt 0x900
	v_mul_f64_e32 v[155:156], v[2:3], v[40:41]
	v_mul_f64_e32 v[40:41], v[4:5], v[40:41]
	v_add_f64_e32 v[145:146], v[145:146], v[133:134]
	v_add_f64_e32 v[147:148], v[147:148], v[135:136]
	ds_load_b128 v[133:136], v1 offset:1056
	v_fma_f64 v[143:144], v[143:144], v[30:31], v[149:150]
	v_fma_f64 v[141:142], v[141:142], v[30:31], -v[32:33]
	scratch_load_b128 v[30:33], off, off offset:512
	v_add_f64_e32 v[145:146], v[145:146], v[153:154]
	v_add_f64_e32 v[147:148], v[147:148], v[151:152]
	v_fma_f64 v[153:154], v[4:5], v[38:39], v[155:156]
	v_fma_f64 v[155:156], v[2:3], v[38:39], -v[40:41]
	ds_load_b128 v[2:5], v1 offset:1072
	s_wait_loadcnt_dscnt 0x801
	v_mul_f64_e32 v[149:150], v[133:134], v[139:140]
	v_mul_f64_e32 v[151:152], v[135:136], v[139:140]
	scratch_load_b128 v[38:41], off, off offset:528
	v_add_f64_e32 v[145:146], v[145:146], v[141:142]
	v_add_f64_e32 v[143:144], v[147:148], v[143:144]
	ds_load_b128 v[139:142], v1 offset:1088
	v_fma_f64 v[149:150], v[135:136], v[137:138], v[149:150]
	v_fma_f64 v[137:138], v[133:134], v[137:138], -v[151:152]
	scratch_load_b128 v[133:136], off, off offset:544
	s_wait_loadcnt_dscnt 0x901
	v_mul_f64_e32 v[147:148], v[2:3], v[36:37]
	v_mul_f64_e32 v[36:37], v[4:5], v[36:37]
	v_add_f64_e32 v[145:146], v[145:146], v[155:156]
	v_add_f64_e32 v[143:144], v[143:144], v[153:154]
	s_delay_alu instid0(VALU_DEP_4) | instskip(NEXT) | instid1(VALU_DEP_4)
	v_fma_f64 v[147:148], v[4:5], v[34:35], v[147:148]
	v_fma_f64 v[153:154], v[2:3], v[34:35], -v[36:37]
	ds_load_b128 v[2:5], v1 offset:1104
	s_wait_loadcnt_dscnt 0x801
	v_mul_f64_e32 v[151:152], v[139:140], v[8:9]
	v_mul_f64_e32 v[8:9], v[141:142], v[8:9]
	scratch_load_b128 v[34:37], off, off offset:560
	s_wait_loadcnt_dscnt 0x800
	v_mul_f64_e32 v[155:156], v[2:3], v[12:13]
	v_add_f64_e32 v[137:138], v[145:146], v[137:138]
	v_add_f64_e32 v[149:150], v[143:144], v[149:150]
	v_mul_f64_e32 v[12:13], v[4:5], v[12:13]
	ds_load_b128 v[143:146], v1 offset:1120
	v_fma_f64 v[141:142], v[141:142], v[6:7], v[151:152]
	v_fma_f64 v[139:140], v[139:140], v[6:7], -v[8:9]
	scratch_load_b128 v[6:9], off, off offset:576
	v_fma_f64 v[151:152], v[4:5], v[10:11], v[155:156]
	v_add_f64_e32 v[137:138], v[137:138], v[153:154]
	v_add_f64_e32 v[147:148], v[149:150], v[147:148]
	v_fma_f64 v[153:154], v[2:3], v[10:11], -v[12:13]
	ds_load_b128 v[2:5], v1 offset:1136
	s_wait_loadcnt_dscnt 0x801
	v_mul_f64_e32 v[149:150], v[143:144], v[16:17]
	v_mul_f64_e32 v[16:17], v[145:146], v[16:17]
	scratch_load_b128 v[10:13], off, off offset:592
	v_add_f64_e32 v[155:156], v[137:138], v[139:140]
	v_add_f64_e32 v[141:142], v[147:148], v[141:142]
	s_wait_loadcnt_dscnt 0x800
	v_mul_f64_e32 v[147:148], v[2:3], v[20:21]
	v_mul_f64_e32 v[20:21], v[4:5], v[20:21]
	v_fma_f64 v[145:146], v[145:146], v[14:15], v[149:150]
	v_fma_f64 v[143:144], v[143:144], v[14:15], -v[16:17]
	ds_load_b128 v[137:140], v1 offset:1152
	scratch_load_b128 v[14:17], off, off offset:608
	v_add_f64_e32 v[149:150], v[155:156], v[153:154]
	v_add_f64_e32 v[141:142], v[141:142], v[151:152]
	v_fma_f64 v[147:148], v[4:5], v[18:19], v[147:148]
	v_fma_f64 v[153:154], v[2:3], v[18:19], -v[20:21]
	ds_load_b128 v[2:5], v1 offset:1168
	s_wait_loadcnt_dscnt 0x801
	v_mul_f64_e32 v[151:152], v[137:138], v[24:25]
	v_mul_f64_e32 v[24:25], v[139:140], v[24:25]
	scratch_load_b128 v[18:21], off, off offset:624
	s_wait_loadcnt_dscnt 0x800
	v_mul_f64_e32 v[155:156], v[2:3], v[28:29]
	v_mul_f64_e32 v[28:29], v[4:5], v[28:29]
	v_add_f64_e32 v[149:150], v[149:150], v[143:144]
	v_add_f64_e32 v[145:146], v[141:142], v[145:146]
	ds_load_b128 v[141:144], v1 offset:1184
	v_fma_f64 v[139:140], v[139:140], v[22:23], v[151:152]
	v_fma_f64 v[137:138], v[137:138], v[22:23], -v[24:25]
	scratch_load_b128 v[22:25], off, off offset:640
	v_fma_f64 v[151:152], v[4:5], v[26:27], v[155:156]
	v_add_f64_e32 v[149:150], v[149:150], v[153:154]
	v_add_f64_e32 v[145:146], v[145:146], v[147:148]
	v_fma_f64 v[153:154], v[2:3], v[26:27], -v[28:29]
	ds_load_b128 v[2:5], v1 offset:1200
	s_wait_loadcnt_dscnt 0x801
	v_mul_f64_e32 v[147:148], v[141:142], v[32:33]
	v_mul_f64_e32 v[32:33], v[143:144], v[32:33]
	scratch_load_b128 v[26:29], off, off offset:656
	s_wait_loadcnt_dscnt 0x800
	v_mul_f64_e32 v[155:156], v[2:3], v[40:41]
	v_mul_f64_e32 v[40:41], v[4:5], v[40:41]
	v_add_f64_e32 v[149:150], v[149:150], v[137:138]
	v_add_f64_e32 v[145:146], v[145:146], v[139:140]
	ds_load_b128 v[137:140], v1 offset:1216
	v_fma_f64 v[143:144], v[143:144], v[30:31], v[147:148]
	v_fma_f64 v[141:142], v[141:142], v[30:31], -v[32:33]
	scratch_load_b128 v[30:33], off, off offset:672
	v_add_f64_e32 v[147:148], v[149:150], v[153:154]
	v_add_f64_e32 v[145:146], v[145:146], v[151:152]
	v_fma_f64 v[151:152], v[4:5], v[38:39], v[155:156]
	v_fma_f64 v[153:154], v[2:3], v[38:39], -v[40:41]
	ds_load_b128 v[2:5], v1 offset:1232
	s_wait_loadcnt_dscnt 0x801
	v_mul_f64_e32 v[149:150], v[137:138], v[135:136]
	v_mul_f64_e32 v[135:136], v[139:140], v[135:136]
	scratch_load_b128 v[38:41], off, off offset:688
	s_wait_loadcnt_dscnt 0x800
	v_mul_f64_e32 v[155:156], v[2:3], v[36:37]
	v_mul_f64_e32 v[36:37], v[4:5], v[36:37]
	v_add_f64_e32 v[147:148], v[147:148], v[141:142]
	v_add_f64_e32 v[145:146], v[145:146], v[143:144]
	ds_load_b128 v[141:144], v1 offset:1248
	v_fma_f64 v[139:140], v[139:140], v[133:134], v[149:150]
	v_fma_f64 v[133:134], v[137:138], v[133:134], -v[135:136]
	v_fma_f64 v[149:150], v[2:3], v[34:35], -v[36:37]
	v_add_f64_e32 v[135:136], v[147:148], v[153:154]
	v_add_f64_e32 v[137:138], v[145:146], v[151:152]
	s_wait_loadcnt_dscnt 0x700
	v_mul_f64_e32 v[145:146], v[141:142], v[8:9]
	v_mul_f64_e32 v[8:9], v[143:144], v[8:9]
	v_fma_f64 v[147:148], v[4:5], v[34:35], v[155:156]
	ds_load_b128 v[2:5], v1 offset:1264
	ds_load_b128 v[34:37], v1 offset:1280
	v_add_f64_e32 v[133:134], v[135:136], v[133:134]
	v_add_f64_e32 v[135:136], v[137:138], v[139:140]
	s_wait_loadcnt_dscnt 0x601
	v_mul_f64_e32 v[137:138], v[2:3], v[12:13]
	v_mul_f64_e32 v[12:13], v[4:5], v[12:13]
	v_fma_f64 v[139:140], v[143:144], v[6:7], v[145:146]
	v_fma_f64 v[6:7], v[141:142], v[6:7], -v[8:9]
	v_add_f64_e32 v[8:9], v[133:134], v[149:150]
	v_add_f64_e32 v[133:134], v[135:136], v[147:148]
	s_wait_loadcnt_dscnt 0x500
	v_mul_f64_e32 v[135:136], v[34:35], v[16:17]
	v_mul_f64_e32 v[16:17], v[36:37], v[16:17]
	v_fma_f64 v[137:138], v[4:5], v[10:11], v[137:138]
	v_fma_f64 v[10:11], v[2:3], v[10:11], -v[12:13]
	v_add_f64_e32 v[12:13], v[8:9], v[6:7]
	v_add_f64_e32 v[133:134], v[133:134], v[139:140]
	ds_load_b128 v[2:5], v1 offset:1296
	ds_load_b128 v[6:9], v1 offset:1312
	v_fma_f64 v[36:37], v[36:37], v[14:15], v[135:136]
	v_fma_f64 v[14:15], v[34:35], v[14:15], -v[16:17]
	s_wait_loadcnt_dscnt 0x401
	v_mul_f64_e32 v[139:140], v[2:3], v[20:21]
	v_mul_f64_e32 v[20:21], v[4:5], v[20:21]
	s_wait_loadcnt_dscnt 0x300
	v_mul_f64_e32 v[16:17], v[6:7], v[24:25]
	v_mul_f64_e32 v[24:25], v[8:9], v[24:25]
	v_add_f64_e32 v[10:11], v[12:13], v[10:11]
	v_add_f64_e32 v[12:13], v[133:134], v[137:138]
	v_fma_f64 v[34:35], v[4:5], v[18:19], v[139:140]
	v_fma_f64 v[18:19], v[2:3], v[18:19], -v[20:21]
	v_fma_f64 v[8:9], v[8:9], v[22:23], v[16:17]
	v_fma_f64 v[6:7], v[6:7], v[22:23], -v[24:25]
	v_add_f64_e32 v[14:15], v[10:11], v[14:15]
	v_add_f64_e32 v[20:21], v[12:13], v[36:37]
	ds_load_b128 v[2:5], v1 offset:1328
	ds_load_b128 v[10:13], v1 offset:1344
	s_wait_loadcnt_dscnt 0x201
	v_mul_f64_e32 v[36:37], v[2:3], v[28:29]
	v_mul_f64_e32 v[28:29], v[4:5], v[28:29]
	v_add_f64_e32 v[14:15], v[14:15], v[18:19]
	v_add_f64_e32 v[16:17], v[20:21], v[34:35]
	s_wait_loadcnt_dscnt 0x100
	v_mul_f64_e32 v[18:19], v[10:11], v[32:33]
	v_mul_f64_e32 v[20:21], v[12:13], v[32:33]
	v_fma_f64 v[22:23], v[4:5], v[26:27], v[36:37]
	v_fma_f64 v[24:25], v[2:3], v[26:27], -v[28:29]
	ds_load_b128 v[2:5], v1 offset:1360
	v_add_f64_e32 v[6:7], v[14:15], v[6:7]
	v_add_f64_e32 v[8:9], v[16:17], v[8:9]
	v_fma_f64 v[12:13], v[12:13], v[30:31], v[18:19]
	v_fma_f64 v[10:11], v[10:11], v[30:31], -v[20:21]
	s_wait_loadcnt_dscnt 0x0
	v_mul_f64_e32 v[14:15], v[2:3], v[40:41]
	v_mul_f64_e32 v[16:17], v[4:5], v[40:41]
	v_add_f64_e32 v[6:7], v[6:7], v[24:25]
	v_add_f64_e32 v[8:9], v[8:9], v[22:23]
	s_delay_alu instid0(VALU_DEP_4) | instskip(NEXT) | instid1(VALU_DEP_4)
	v_fma_f64 v[4:5], v[4:5], v[38:39], v[14:15]
	v_fma_f64 v[2:3], v[2:3], v[38:39], -v[16:17]
	s_delay_alu instid0(VALU_DEP_4) | instskip(NEXT) | instid1(VALU_DEP_4)
	v_add_f64_e32 v[6:7], v[6:7], v[10:11]
	v_add_f64_e32 v[8:9], v[8:9], v[12:13]
	s_delay_alu instid0(VALU_DEP_2) | instskip(NEXT) | instid1(VALU_DEP_2)
	v_add_f64_e32 v[2:3], v[6:7], v[2:3]
	v_add_f64_e32 v[4:5], v[8:9], v[4:5]
	s_delay_alu instid0(VALU_DEP_2) | instskip(NEXT) | instid1(VALU_DEP_2)
	v_add_f64_e64 v[2:3], v[42:43], -v[2:3]
	v_add_f64_e64 v[4:5], v[44:45], -v[4:5]
	scratch_store_b128 off, v[2:5], off offset:224
	v_cmpx_lt_u32_e32 12, v0
	s_cbranch_execz .LBB42_247
; %bb.246:
	scratch_load_b128 v[5:8], off, s44
	v_dual_mov_b32 v2, v1 :: v_dual_mov_b32 v3, v1
	v_mov_b32_e32 v4, v1
	scratch_store_b128 off, v[1:4], off offset:208
	s_wait_loadcnt 0x0
	ds_store_b128 v132, v[5:8]
.LBB42_247:
	s_wait_alu 0xfffe
	s_or_b32 exec_lo, exec_lo, s0
	s_wait_storecnt_dscnt 0x0
	s_barrier_signal -1
	s_barrier_wait -1
	global_inv scope:SCOPE_SE
	s_clause 0x8
	scratch_load_b128 v[2:5], off, off offset:224
	scratch_load_b128 v[6:9], off, off offset:240
	;; [unrolled: 1-line block ×9, first 2 shown]
	ds_load_b128 v[38:41], v1 offset:896
	ds_load_b128 v[42:45], v1 offset:912
	s_clause 0x1
	scratch_load_b128 v[133:136], off, off offset:208
	scratch_load_b128 v[137:140], off, off offset:368
	s_mov_b32 s0, exec_lo
	s_wait_loadcnt_dscnt 0xa01
	v_mul_f64_e32 v[141:142], v[40:41], v[4:5]
	v_mul_f64_e32 v[4:5], v[38:39], v[4:5]
	s_wait_loadcnt_dscnt 0x900
	v_mul_f64_e32 v[145:146], v[42:43], v[8:9]
	v_mul_f64_e32 v[8:9], v[44:45], v[8:9]
	s_delay_alu instid0(VALU_DEP_4) | instskip(NEXT) | instid1(VALU_DEP_4)
	v_fma_f64 v[147:148], v[38:39], v[2:3], -v[141:142]
	v_fma_f64 v[149:150], v[40:41], v[2:3], v[4:5]
	ds_load_b128 v[2:5], v1 offset:928
	ds_load_b128 v[141:144], v1 offset:944
	scratch_load_b128 v[38:41], off, off offset:384
	v_fma_f64 v[44:45], v[44:45], v[6:7], v[145:146]
	v_fma_f64 v[42:43], v[42:43], v[6:7], -v[8:9]
	scratch_load_b128 v[6:9], off, off offset:400
	s_wait_loadcnt_dscnt 0xa01
	v_mul_f64_e32 v[151:152], v[2:3], v[12:13]
	v_mul_f64_e32 v[12:13], v[4:5], v[12:13]
	v_add_f64_e32 v[145:146], 0, v[147:148]
	v_add_f64_e32 v[147:148], 0, v[149:150]
	s_wait_loadcnt_dscnt 0x900
	v_mul_f64_e32 v[149:150], v[141:142], v[16:17]
	v_mul_f64_e32 v[16:17], v[143:144], v[16:17]
	v_fma_f64 v[151:152], v[4:5], v[10:11], v[151:152]
	v_fma_f64 v[153:154], v[2:3], v[10:11], -v[12:13]
	ds_load_b128 v[2:5], v1 offset:960
	scratch_load_b128 v[10:13], off, off offset:416
	v_add_f64_e32 v[145:146], v[145:146], v[42:43]
	v_add_f64_e32 v[147:148], v[147:148], v[44:45]
	ds_load_b128 v[42:45], v1 offset:976
	v_fma_f64 v[143:144], v[143:144], v[14:15], v[149:150]
	v_fma_f64 v[141:142], v[141:142], v[14:15], -v[16:17]
	scratch_load_b128 v[14:17], off, off offset:432
	s_wait_loadcnt_dscnt 0xa01
	v_mul_f64_e32 v[155:156], v[2:3], v[20:21]
	v_mul_f64_e32 v[20:21], v[4:5], v[20:21]
	s_wait_loadcnt_dscnt 0x900
	v_mul_f64_e32 v[149:150], v[42:43], v[24:25]
	v_mul_f64_e32 v[24:25], v[44:45], v[24:25]
	v_add_f64_e32 v[145:146], v[145:146], v[153:154]
	v_add_f64_e32 v[147:148], v[147:148], v[151:152]
	v_fma_f64 v[151:152], v[4:5], v[18:19], v[155:156]
	v_fma_f64 v[153:154], v[2:3], v[18:19], -v[20:21]
	ds_load_b128 v[2:5], v1 offset:992
	scratch_load_b128 v[18:21], off, off offset:448
	v_fma_f64 v[44:45], v[44:45], v[22:23], v[149:150]
	v_fma_f64 v[42:43], v[42:43], v[22:23], -v[24:25]
	scratch_load_b128 v[22:25], off, off offset:464
	v_add_f64_e32 v[145:146], v[145:146], v[141:142]
	v_add_f64_e32 v[147:148], v[147:148], v[143:144]
	ds_load_b128 v[141:144], v1 offset:1008
	s_wait_loadcnt_dscnt 0xa01
	v_mul_f64_e32 v[155:156], v[2:3], v[28:29]
	v_mul_f64_e32 v[28:29], v[4:5], v[28:29]
	s_wait_loadcnt_dscnt 0x900
	v_mul_f64_e32 v[149:150], v[141:142], v[32:33]
	v_mul_f64_e32 v[32:33], v[143:144], v[32:33]
	v_add_f64_e32 v[145:146], v[145:146], v[153:154]
	v_add_f64_e32 v[147:148], v[147:148], v[151:152]
	v_fma_f64 v[151:152], v[4:5], v[26:27], v[155:156]
	v_fma_f64 v[153:154], v[2:3], v[26:27], -v[28:29]
	ds_load_b128 v[2:5], v1 offset:1024
	scratch_load_b128 v[26:29], off, off offset:480
	v_fma_f64 v[143:144], v[143:144], v[30:31], v[149:150]
	v_fma_f64 v[141:142], v[141:142], v[30:31], -v[32:33]
	scratch_load_b128 v[30:33], off, off offset:496
	v_add_f64_e32 v[145:146], v[145:146], v[42:43]
	v_add_f64_e32 v[147:148], v[147:148], v[44:45]
	ds_load_b128 v[42:45], v1 offset:1040
	s_wait_loadcnt_dscnt 0xa01
	v_mul_f64_e32 v[155:156], v[2:3], v[36:37]
	v_mul_f64_e32 v[36:37], v[4:5], v[36:37]
	s_wait_loadcnt_dscnt 0x800
	v_mul_f64_e32 v[149:150], v[42:43], v[139:140]
	v_add_f64_e32 v[145:146], v[145:146], v[153:154]
	v_add_f64_e32 v[147:148], v[147:148], v[151:152]
	v_mul_f64_e32 v[151:152], v[44:45], v[139:140]
	v_fma_f64 v[153:154], v[4:5], v[34:35], v[155:156]
	v_fma_f64 v[155:156], v[2:3], v[34:35], -v[36:37]
	ds_load_b128 v[2:5], v1 offset:1056
	scratch_load_b128 v[34:37], off, off offset:512
	v_fma_f64 v[44:45], v[44:45], v[137:138], v[149:150]
	v_add_f64_e32 v[145:146], v[145:146], v[141:142]
	v_add_f64_e32 v[143:144], v[147:148], v[143:144]
	ds_load_b128 v[139:142], v1 offset:1072
	v_fma_f64 v[137:138], v[42:43], v[137:138], -v[151:152]
	s_wait_loadcnt_dscnt 0x801
	v_mul_f64_e32 v[147:148], v[2:3], v[40:41]
	v_mul_f64_e32 v[157:158], v[4:5], v[40:41]
	scratch_load_b128 v[40:43], off, off offset:528
	s_wait_loadcnt_dscnt 0x800
	v_mul_f64_e32 v[151:152], v[139:140], v[8:9]
	v_mul_f64_e32 v[8:9], v[141:142], v[8:9]
	v_add_f64_e32 v[145:146], v[145:146], v[155:156]
	v_add_f64_e32 v[143:144], v[143:144], v[153:154]
	v_fma_f64 v[153:154], v[4:5], v[38:39], v[147:148]
	v_fma_f64 v[38:39], v[2:3], v[38:39], -v[157:158]
	ds_load_b128 v[2:5], v1 offset:1088
	ds_load_b128 v[147:150], v1 offset:1104
	v_fma_f64 v[141:142], v[141:142], v[6:7], v[151:152]
	v_fma_f64 v[139:140], v[139:140], v[6:7], -v[8:9]
	scratch_load_b128 v[6:9], off, off offset:560
	v_add_f64_e32 v[137:138], v[145:146], v[137:138]
	v_add_f64_e32 v[44:45], v[143:144], v[44:45]
	scratch_load_b128 v[143:146], off, off offset:544
	s_wait_loadcnt_dscnt 0x901
	v_mul_f64_e32 v[155:156], v[2:3], v[12:13]
	v_mul_f64_e32 v[12:13], v[4:5], v[12:13]
	s_wait_loadcnt_dscnt 0x800
	v_mul_f64_e32 v[151:152], v[147:148], v[16:17]
	v_mul_f64_e32 v[16:17], v[149:150], v[16:17]
	v_add_f64_e32 v[38:39], v[137:138], v[38:39]
	v_add_f64_e32 v[44:45], v[44:45], v[153:154]
	v_fma_f64 v[153:154], v[4:5], v[10:11], v[155:156]
	v_fma_f64 v[155:156], v[2:3], v[10:11], -v[12:13]
	ds_load_b128 v[2:5], v1 offset:1120
	scratch_load_b128 v[10:13], off, off offset:576
	v_fma_f64 v[149:150], v[149:150], v[14:15], v[151:152]
	v_fma_f64 v[147:148], v[147:148], v[14:15], -v[16:17]
	scratch_load_b128 v[14:17], off, off offset:592
	v_add_f64_e32 v[38:39], v[38:39], v[139:140]
	v_add_f64_e32 v[44:45], v[44:45], v[141:142]
	ds_load_b128 v[137:140], v1 offset:1136
	s_wait_loadcnt_dscnt 0x901
	v_mul_f64_e32 v[141:142], v[2:3], v[20:21]
	v_mul_f64_e32 v[20:21], v[4:5], v[20:21]
	s_wait_loadcnt_dscnt 0x800
	v_mul_f64_e32 v[151:152], v[137:138], v[24:25]
	v_mul_f64_e32 v[24:25], v[139:140], v[24:25]
	v_add_f64_e32 v[38:39], v[38:39], v[155:156]
	v_add_f64_e32 v[44:45], v[44:45], v[153:154]
	v_fma_f64 v[141:142], v[4:5], v[18:19], v[141:142]
	v_fma_f64 v[153:154], v[2:3], v[18:19], -v[20:21]
	ds_load_b128 v[2:5], v1 offset:1152
	scratch_load_b128 v[18:21], off, off offset:608
	v_fma_f64 v[139:140], v[139:140], v[22:23], v[151:152]
	v_fma_f64 v[137:138], v[137:138], v[22:23], -v[24:25]
	scratch_load_b128 v[22:25], off, off offset:624
	v_add_f64_e32 v[38:39], v[38:39], v[147:148]
	v_add_f64_e32 v[44:45], v[44:45], v[149:150]
	ds_load_b128 v[147:150], v1 offset:1168
	s_wait_loadcnt_dscnt 0x901
	v_mul_f64_e32 v[155:156], v[2:3], v[28:29]
	v_mul_f64_e32 v[28:29], v[4:5], v[28:29]
	v_add_f64_e32 v[38:39], v[38:39], v[153:154]
	v_add_f64_e32 v[44:45], v[44:45], v[141:142]
	s_wait_loadcnt_dscnt 0x800
	v_mul_f64_e32 v[141:142], v[147:148], v[32:33]
	v_mul_f64_e32 v[32:33], v[149:150], v[32:33]
	v_fma_f64 v[151:152], v[4:5], v[26:27], v[155:156]
	v_fma_f64 v[153:154], v[2:3], v[26:27], -v[28:29]
	ds_load_b128 v[2:5], v1 offset:1184
	scratch_load_b128 v[26:29], off, off offset:640
	v_add_f64_e32 v[38:39], v[38:39], v[137:138]
	v_add_f64_e32 v[44:45], v[44:45], v[139:140]
	ds_load_b128 v[137:140], v1 offset:1200
	s_wait_loadcnt_dscnt 0x801
	v_mul_f64_e32 v[155:156], v[2:3], v[36:37]
	v_mul_f64_e32 v[36:37], v[4:5], v[36:37]
	v_fma_f64 v[141:142], v[149:150], v[30:31], v[141:142]
	v_fma_f64 v[147:148], v[147:148], v[30:31], -v[32:33]
	scratch_load_b128 v[30:33], off, off offset:656
	s_wait_loadcnt_dscnt 0x800
	v_mul_f64_e32 v[149:150], v[137:138], v[42:43]
	v_add_f64_e32 v[38:39], v[38:39], v[153:154]
	v_add_f64_e32 v[44:45], v[44:45], v[151:152]
	v_mul_f64_e32 v[151:152], v[139:140], v[42:43]
	v_fma_f64 v[153:154], v[4:5], v[34:35], v[155:156]
	v_fma_f64 v[155:156], v[2:3], v[34:35], -v[36:37]
	ds_load_b128 v[2:5], v1 offset:1216
	scratch_load_b128 v[34:37], off, off offset:672
	v_fma_f64 v[139:140], v[139:140], v[40:41], v[149:150]
	v_add_f64_e32 v[38:39], v[38:39], v[147:148]
	v_add_f64_e32 v[141:142], v[44:45], v[141:142]
	ds_load_b128 v[42:45], v1 offset:1232
	v_fma_f64 v[137:138], v[137:138], v[40:41], -v[151:152]
	s_wait_loadcnt_dscnt 0x701
	v_mul_f64_e32 v[147:148], v[2:3], v[145:146]
	v_mul_f64_e32 v[145:146], v[4:5], v[145:146]
	s_wait_dscnt 0x0
	v_mul_f64_e32 v[151:152], v[42:43], v[8:9]
	v_mul_f64_e32 v[8:9], v[44:45], v[8:9]
	v_add_f64_e32 v[149:150], v[38:39], v[155:156]
	v_add_f64_e32 v[141:142], v[141:142], v[153:154]
	scratch_load_b128 v[38:41], off, off offset:688
	v_fma_f64 v[147:148], v[4:5], v[143:144], v[147:148]
	v_fma_f64 v[143:144], v[2:3], v[143:144], -v[145:146]
	v_fma_f64 v[44:45], v[44:45], v[6:7], v[151:152]
	v_fma_f64 v[6:7], v[42:43], v[6:7], -v[8:9]
	v_add_f64_e32 v[145:146], v[149:150], v[137:138]
	v_add_f64_e32 v[141:142], v[141:142], v[139:140]
	ds_load_b128 v[2:5], v1 offset:1248
	ds_load_b128 v[137:140], v1 offset:1264
	s_wait_loadcnt_dscnt 0x701
	v_mul_f64_e32 v[149:150], v[2:3], v[12:13]
	v_mul_f64_e32 v[12:13], v[4:5], v[12:13]
	v_add_f64_e32 v[8:9], v[145:146], v[143:144]
	v_add_f64_e32 v[42:43], v[141:142], v[147:148]
	s_wait_loadcnt_dscnt 0x600
	v_mul_f64_e32 v[141:142], v[137:138], v[16:17]
	v_mul_f64_e32 v[16:17], v[139:140], v[16:17]
	v_fma_f64 v[143:144], v[4:5], v[10:11], v[149:150]
	v_fma_f64 v[10:11], v[2:3], v[10:11], -v[12:13]
	v_add_f64_e32 v[12:13], v[8:9], v[6:7]
	v_add_f64_e32 v[42:43], v[42:43], v[44:45]
	ds_load_b128 v[2:5], v1 offset:1280
	ds_load_b128 v[6:9], v1 offset:1296
	v_fma_f64 v[139:140], v[139:140], v[14:15], v[141:142]
	v_fma_f64 v[14:15], v[137:138], v[14:15], -v[16:17]
	s_wait_loadcnt_dscnt 0x501
	v_mul_f64_e32 v[44:45], v[2:3], v[20:21]
	v_mul_f64_e32 v[20:21], v[4:5], v[20:21]
	s_wait_loadcnt_dscnt 0x400
	v_mul_f64_e32 v[16:17], v[6:7], v[24:25]
	v_mul_f64_e32 v[24:25], v[8:9], v[24:25]
	v_add_f64_e32 v[10:11], v[12:13], v[10:11]
	v_add_f64_e32 v[12:13], v[42:43], v[143:144]
	v_fma_f64 v[42:43], v[4:5], v[18:19], v[44:45]
	v_fma_f64 v[18:19], v[2:3], v[18:19], -v[20:21]
	v_fma_f64 v[8:9], v[8:9], v[22:23], v[16:17]
	v_fma_f64 v[6:7], v[6:7], v[22:23], -v[24:25]
	v_add_f64_e32 v[14:15], v[10:11], v[14:15]
	v_add_f64_e32 v[20:21], v[12:13], v[139:140]
	ds_load_b128 v[2:5], v1 offset:1312
	ds_load_b128 v[10:13], v1 offset:1328
	s_wait_loadcnt_dscnt 0x301
	v_mul_f64_e32 v[44:45], v[2:3], v[28:29]
	v_mul_f64_e32 v[28:29], v[4:5], v[28:29]
	v_add_f64_e32 v[14:15], v[14:15], v[18:19]
	v_add_f64_e32 v[16:17], v[20:21], v[42:43]
	s_wait_loadcnt_dscnt 0x200
	v_mul_f64_e32 v[18:19], v[10:11], v[32:33]
	v_mul_f64_e32 v[20:21], v[12:13], v[32:33]
	v_fma_f64 v[22:23], v[4:5], v[26:27], v[44:45]
	v_fma_f64 v[24:25], v[2:3], v[26:27], -v[28:29]
	v_add_f64_e32 v[14:15], v[14:15], v[6:7]
	v_add_f64_e32 v[16:17], v[16:17], v[8:9]
	ds_load_b128 v[2:5], v1 offset:1344
	ds_load_b128 v[6:9], v1 offset:1360
	v_fma_f64 v[12:13], v[12:13], v[30:31], v[18:19]
	v_fma_f64 v[10:11], v[10:11], v[30:31], -v[20:21]
	s_wait_loadcnt_dscnt 0x101
	v_mul_f64_e32 v[26:27], v[2:3], v[36:37]
	v_mul_f64_e32 v[28:29], v[4:5], v[36:37]
	v_add_f64_e32 v[14:15], v[14:15], v[24:25]
	v_add_f64_e32 v[16:17], v[16:17], v[22:23]
	s_wait_loadcnt_dscnt 0x0
	v_mul_f64_e32 v[18:19], v[6:7], v[40:41]
	v_mul_f64_e32 v[20:21], v[8:9], v[40:41]
	v_fma_f64 v[4:5], v[4:5], v[34:35], v[26:27]
	v_fma_f64 v[1:2], v[2:3], v[34:35], -v[28:29]
	v_add_f64_e32 v[10:11], v[14:15], v[10:11]
	v_add_f64_e32 v[12:13], v[16:17], v[12:13]
	v_fma_f64 v[8:9], v[8:9], v[38:39], v[18:19]
	v_fma_f64 v[6:7], v[6:7], v[38:39], -v[20:21]
	s_delay_alu instid0(VALU_DEP_4) | instskip(NEXT) | instid1(VALU_DEP_4)
	v_add_f64_e32 v[1:2], v[10:11], v[1:2]
	v_add_f64_e32 v[3:4], v[12:13], v[4:5]
	s_delay_alu instid0(VALU_DEP_2) | instskip(NEXT) | instid1(VALU_DEP_2)
	v_add_f64_e32 v[1:2], v[1:2], v[6:7]
	v_add_f64_e32 v[3:4], v[3:4], v[8:9]
	s_delay_alu instid0(VALU_DEP_2) | instskip(NEXT) | instid1(VALU_DEP_2)
	v_add_f64_e64 v[1:2], v[133:134], -v[1:2]
	v_add_f64_e64 v[3:4], v[135:136], -v[3:4]
	scratch_store_b128 off, v[1:4], off offset:208
	v_cmpx_lt_u32_e32 11, v0
	s_cbranch_execz .LBB42_249
; %bb.248:
	scratch_load_b128 v[1:4], off, s45
	v_mov_b32_e32 v5, 0
	s_delay_alu instid0(VALU_DEP_1)
	v_dual_mov_b32 v6, v5 :: v_dual_mov_b32 v7, v5
	v_mov_b32_e32 v8, v5
	scratch_store_b128 off, v[5:8], off offset:192
	s_wait_loadcnt 0x0
	ds_store_b128 v132, v[1:4]
.LBB42_249:
	s_wait_alu 0xfffe
	s_or_b32 exec_lo, exec_lo, s0
	s_wait_storecnt_dscnt 0x0
	s_barrier_signal -1
	s_barrier_wait -1
	global_inv scope:SCOPE_SE
	s_clause 0x7
	scratch_load_b128 v[2:5], off, off offset:208
	scratch_load_b128 v[6:9], off, off offset:224
	;; [unrolled: 1-line block ×8, first 2 shown]
	v_mov_b32_e32 v1, 0
	s_mov_b32 s0, exec_lo
	ds_load_b128 v[34:37], v1 offset:880
	s_clause 0x1
	scratch_load_b128 v[38:41], off, off offset:336
	scratch_load_b128 v[42:45], off, off offset:192
	ds_load_b128 v[133:136], v1 offset:896
	scratch_load_b128 v[137:140], off, off offset:352
	s_wait_loadcnt_dscnt 0xa01
	v_mul_f64_e32 v[141:142], v[36:37], v[4:5]
	v_mul_f64_e32 v[4:5], v[34:35], v[4:5]
	s_delay_alu instid0(VALU_DEP_2) | instskip(NEXT) | instid1(VALU_DEP_2)
	v_fma_f64 v[147:148], v[34:35], v[2:3], -v[141:142]
	v_fma_f64 v[149:150], v[36:37], v[2:3], v[4:5]
	ds_load_b128 v[2:5], v1 offset:912
	s_wait_loadcnt_dscnt 0x901
	v_mul_f64_e32 v[145:146], v[133:134], v[8:9]
	v_mul_f64_e32 v[8:9], v[135:136], v[8:9]
	scratch_load_b128 v[34:37], off, off offset:368
	ds_load_b128 v[141:144], v1 offset:928
	s_wait_loadcnt_dscnt 0x901
	v_mul_f64_e32 v[151:152], v[2:3], v[12:13]
	v_mul_f64_e32 v[12:13], v[4:5], v[12:13]
	v_fma_f64 v[135:136], v[135:136], v[6:7], v[145:146]
	v_fma_f64 v[133:134], v[133:134], v[6:7], -v[8:9]
	v_add_f64_e32 v[145:146], 0, v[147:148]
	v_add_f64_e32 v[147:148], 0, v[149:150]
	scratch_load_b128 v[6:9], off, off offset:384
	v_fma_f64 v[151:152], v[4:5], v[10:11], v[151:152]
	v_fma_f64 v[153:154], v[2:3], v[10:11], -v[12:13]
	ds_load_b128 v[2:5], v1 offset:944
	s_wait_loadcnt_dscnt 0x901
	v_mul_f64_e32 v[149:150], v[141:142], v[16:17]
	v_mul_f64_e32 v[16:17], v[143:144], v[16:17]
	scratch_load_b128 v[10:13], off, off offset:400
	v_add_f64_e32 v[145:146], v[145:146], v[133:134]
	v_add_f64_e32 v[147:148], v[147:148], v[135:136]
	s_wait_loadcnt_dscnt 0x900
	v_mul_f64_e32 v[155:156], v[2:3], v[20:21]
	v_mul_f64_e32 v[20:21], v[4:5], v[20:21]
	ds_load_b128 v[133:136], v1 offset:960
	v_fma_f64 v[143:144], v[143:144], v[14:15], v[149:150]
	v_fma_f64 v[141:142], v[141:142], v[14:15], -v[16:17]
	scratch_load_b128 v[14:17], off, off offset:416
	v_add_f64_e32 v[145:146], v[145:146], v[153:154]
	v_add_f64_e32 v[147:148], v[147:148], v[151:152]
	v_fma_f64 v[151:152], v[4:5], v[18:19], v[155:156]
	v_fma_f64 v[153:154], v[2:3], v[18:19], -v[20:21]
	ds_load_b128 v[2:5], v1 offset:976
	s_wait_loadcnt_dscnt 0x901
	v_mul_f64_e32 v[149:150], v[133:134], v[24:25]
	v_mul_f64_e32 v[24:25], v[135:136], v[24:25]
	scratch_load_b128 v[18:21], off, off offset:432
	s_wait_loadcnt_dscnt 0x900
	v_mul_f64_e32 v[155:156], v[2:3], v[28:29]
	v_mul_f64_e32 v[28:29], v[4:5], v[28:29]
	v_add_f64_e32 v[145:146], v[145:146], v[141:142]
	v_add_f64_e32 v[147:148], v[147:148], v[143:144]
	ds_load_b128 v[141:144], v1 offset:992
	v_fma_f64 v[135:136], v[135:136], v[22:23], v[149:150]
	v_fma_f64 v[133:134], v[133:134], v[22:23], -v[24:25]
	scratch_load_b128 v[22:25], off, off offset:448
	v_add_f64_e32 v[145:146], v[145:146], v[153:154]
	v_add_f64_e32 v[147:148], v[147:148], v[151:152]
	v_fma_f64 v[151:152], v[4:5], v[26:27], v[155:156]
	v_fma_f64 v[153:154], v[2:3], v[26:27], -v[28:29]
	ds_load_b128 v[2:5], v1 offset:1008
	s_wait_loadcnt_dscnt 0x901
	v_mul_f64_e32 v[149:150], v[141:142], v[32:33]
	v_mul_f64_e32 v[32:33], v[143:144], v[32:33]
	scratch_load_b128 v[26:29], off, off offset:464
	s_wait_loadcnt_dscnt 0x900
	v_mul_f64_e32 v[155:156], v[2:3], v[40:41]
	v_mul_f64_e32 v[40:41], v[4:5], v[40:41]
	v_add_f64_e32 v[145:146], v[145:146], v[133:134]
	v_add_f64_e32 v[147:148], v[147:148], v[135:136]
	ds_load_b128 v[133:136], v1 offset:1024
	v_fma_f64 v[143:144], v[143:144], v[30:31], v[149:150]
	v_fma_f64 v[141:142], v[141:142], v[30:31], -v[32:33]
	scratch_load_b128 v[30:33], off, off offset:480
	v_add_f64_e32 v[145:146], v[145:146], v[153:154]
	v_add_f64_e32 v[147:148], v[147:148], v[151:152]
	v_fma_f64 v[153:154], v[4:5], v[38:39], v[155:156]
	v_fma_f64 v[155:156], v[2:3], v[38:39], -v[40:41]
	ds_load_b128 v[2:5], v1 offset:1040
	s_wait_loadcnt_dscnt 0x801
	v_mul_f64_e32 v[149:150], v[133:134], v[139:140]
	v_mul_f64_e32 v[151:152], v[135:136], v[139:140]
	scratch_load_b128 v[38:41], off, off offset:496
	v_add_f64_e32 v[145:146], v[145:146], v[141:142]
	v_add_f64_e32 v[143:144], v[147:148], v[143:144]
	ds_load_b128 v[139:142], v1 offset:1056
	v_fma_f64 v[149:150], v[135:136], v[137:138], v[149:150]
	v_fma_f64 v[137:138], v[133:134], v[137:138], -v[151:152]
	scratch_load_b128 v[133:136], off, off offset:512
	s_wait_loadcnt_dscnt 0x901
	v_mul_f64_e32 v[147:148], v[2:3], v[36:37]
	v_mul_f64_e32 v[36:37], v[4:5], v[36:37]
	v_add_f64_e32 v[145:146], v[145:146], v[155:156]
	v_add_f64_e32 v[143:144], v[143:144], v[153:154]
	s_delay_alu instid0(VALU_DEP_4) | instskip(NEXT) | instid1(VALU_DEP_4)
	v_fma_f64 v[147:148], v[4:5], v[34:35], v[147:148]
	v_fma_f64 v[153:154], v[2:3], v[34:35], -v[36:37]
	ds_load_b128 v[2:5], v1 offset:1072
	s_wait_loadcnt_dscnt 0x801
	v_mul_f64_e32 v[151:152], v[139:140], v[8:9]
	v_mul_f64_e32 v[8:9], v[141:142], v[8:9]
	scratch_load_b128 v[34:37], off, off offset:528
	s_wait_loadcnt_dscnt 0x800
	v_mul_f64_e32 v[155:156], v[2:3], v[12:13]
	v_add_f64_e32 v[137:138], v[145:146], v[137:138]
	v_add_f64_e32 v[149:150], v[143:144], v[149:150]
	v_mul_f64_e32 v[12:13], v[4:5], v[12:13]
	ds_load_b128 v[143:146], v1 offset:1088
	v_fma_f64 v[141:142], v[141:142], v[6:7], v[151:152]
	v_fma_f64 v[139:140], v[139:140], v[6:7], -v[8:9]
	scratch_load_b128 v[6:9], off, off offset:544
	v_fma_f64 v[151:152], v[4:5], v[10:11], v[155:156]
	v_add_f64_e32 v[137:138], v[137:138], v[153:154]
	v_add_f64_e32 v[147:148], v[149:150], v[147:148]
	v_fma_f64 v[153:154], v[2:3], v[10:11], -v[12:13]
	ds_load_b128 v[2:5], v1 offset:1104
	s_wait_loadcnt_dscnt 0x801
	v_mul_f64_e32 v[149:150], v[143:144], v[16:17]
	v_mul_f64_e32 v[16:17], v[145:146], v[16:17]
	scratch_load_b128 v[10:13], off, off offset:560
	v_add_f64_e32 v[155:156], v[137:138], v[139:140]
	v_add_f64_e32 v[141:142], v[147:148], v[141:142]
	s_wait_loadcnt_dscnt 0x800
	v_mul_f64_e32 v[147:148], v[2:3], v[20:21]
	v_mul_f64_e32 v[20:21], v[4:5], v[20:21]
	v_fma_f64 v[145:146], v[145:146], v[14:15], v[149:150]
	v_fma_f64 v[143:144], v[143:144], v[14:15], -v[16:17]
	ds_load_b128 v[137:140], v1 offset:1120
	scratch_load_b128 v[14:17], off, off offset:576
	v_add_f64_e32 v[149:150], v[155:156], v[153:154]
	v_add_f64_e32 v[141:142], v[141:142], v[151:152]
	v_fma_f64 v[147:148], v[4:5], v[18:19], v[147:148]
	v_fma_f64 v[153:154], v[2:3], v[18:19], -v[20:21]
	ds_load_b128 v[2:5], v1 offset:1136
	s_wait_loadcnt_dscnt 0x801
	v_mul_f64_e32 v[151:152], v[137:138], v[24:25]
	v_mul_f64_e32 v[24:25], v[139:140], v[24:25]
	scratch_load_b128 v[18:21], off, off offset:592
	s_wait_loadcnt_dscnt 0x800
	v_mul_f64_e32 v[155:156], v[2:3], v[28:29]
	v_mul_f64_e32 v[28:29], v[4:5], v[28:29]
	v_add_f64_e32 v[149:150], v[149:150], v[143:144]
	v_add_f64_e32 v[145:146], v[141:142], v[145:146]
	ds_load_b128 v[141:144], v1 offset:1152
	v_fma_f64 v[139:140], v[139:140], v[22:23], v[151:152]
	v_fma_f64 v[137:138], v[137:138], v[22:23], -v[24:25]
	scratch_load_b128 v[22:25], off, off offset:608
	v_fma_f64 v[151:152], v[4:5], v[26:27], v[155:156]
	v_add_f64_e32 v[149:150], v[149:150], v[153:154]
	v_add_f64_e32 v[145:146], v[145:146], v[147:148]
	v_fma_f64 v[153:154], v[2:3], v[26:27], -v[28:29]
	ds_load_b128 v[2:5], v1 offset:1168
	s_wait_loadcnt_dscnt 0x801
	v_mul_f64_e32 v[147:148], v[141:142], v[32:33]
	v_mul_f64_e32 v[32:33], v[143:144], v[32:33]
	scratch_load_b128 v[26:29], off, off offset:624
	s_wait_loadcnt_dscnt 0x800
	v_mul_f64_e32 v[155:156], v[2:3], v[40:41]
	v_mul_f64_e32 v[40:41], v[4:5], v[40:41]
	v_add_f64_e32 v[149:150], v[149:150], v[137:138]
	v_add_f64_e32 v[145:146], v[145:146], v[139:140]
	ds_load_b128 v[137:140], v1 offset:1184
	v_fma_f64 v[143:144], v[143:144], v[30:31], v[147:148]
	v_fma_f64 v[141:142], v[141:142], v[30:31], -v[32:33]
	scratch_load_b128 v[30:33], off, off offset:640
	v_add_f64_e32 v[147:148], v[149:150], v[153:154]
	v_add_f64_e32 v[145:146], v[145:146], v[151:152]
	v_fma_f64 v[151:152], v[4:5], v[38:39], v[155:156]
	v_fma_f64 v[153:154], v[2:3], v[38:39], -v[40:41]
	ds_load_b128 v[2:5], v1 offset:1200
	s_wait_loadcnt_dscnt 0x801
	v_mul_f64_e32 v[149:150], v[137:138], v[135:136]
	v_mul_f64_e32 v[135:136], v[139:140], v[135:136]
	scratch_load_b128 v[38:41], off, off offset:656
	s_wait_loadcnt_dscnt 0x800
	v_mul_f64_e32 v[155:156], v[2:3], v[36:37]
	v_mul_f64_e32 v[36:37], v[4:5], v[36:37]
	v_add_f64_e32 v[147:148], v[147:148], v[141:142]
	v_add_f64_e32 v[145:146], v[145:146], v[143:144]
	ds_load_b128 v[141:144], v1 offset:1216
	v_fma_f64 v[139:140], v[139:140], v[133:134], v[149:150]
	v_fma_f64 v[137:138], v[137:138], v[133:134], -v[135:136]
	scratch_load_b128 v[133:136], off, off offset:672
	v_add_f64_e32 v[147:148], v[147:148], v[153:154]
	v_add_f64_e32 v[145:146], v[145:146], v[151:152]
	v_fma_f64 v[151:152], v[4:5], v[34:35], v[155:156]
	v_fma_f64 v[153:154], v[2:3], v[34:35], -v[36:37]
	ds_load_b128 v[2:5], v1 offset:1232
	s_wait_loadcnt_dscnt 0x801
	v_mul_f64_e32 v[149:150], v[141:142], v[8:9]
	v_mul_f64_e32 v[8:9], v[143:144], v[8:9]
	scratch_load_b128 v[34:37], off, off offset:688
	s_wait_loadcnt_dscnt 0x800
	v_mul_f64_e32 v[155:156], v[2:3], v[12:13]
	v_mul_f64_e32 v[12:13], v[4:5], v[12:13]
	v_add_f64_e32 v[147:148], v[147:148], v[137:138]
	v_add_f64_e32 v[145:146], v[145:146], v[139:140]
	ds_load_b128 v[137:140], v1 offset:1248
	v_fma_f64 v[143:144], v[143:144], v[6:7], v[149:150]
	v_fma_f64 v[6:7], v[141:142], v[6:7], -v[8:9]
	v_add_f64_e32 v[8:9], v[147:148], v[153:154]
	v_add_f64_e32 v[141:142], v[145:146], v[151:152]
	s_wait_loadcnt_dscnt 0x700
	v_mul_f64_e32 v[145:146], v[137:138], v[16:17]
	v_mul_f64_e32 v[16:17], v[139:140], v[16:17]
	v_fma_f64 v[147:148], v[4:5], v[10:11], v[155:156]
	v_fma_f64 v[10:11], v[2:3], v[10:11], -v[12:13]
	v_add_f64_e32 v[12:13], v[8:9], v[6:7]
	v_add_f64_e32 v[141:142], v[141:142], v[143:144]
	ds_load_b128 v[2:5], v1 offset:1264
	ds_load_b128 v[6:9], v1 offset:1280
	v_fma_f64 v[139:140], v[139:140], v[14:15], v[145:146]
	v_fma_f64 v[14:15], v[137:138], v[14:15], -v[16:17]
	s_wait_loadcnt_dscnt 0x601
	v_mul_f64_e32 v[143:144], v[2:3], v[20:21]
	v_mul_f64_e32 v[20:21], v[4:5], v[20:21]
	s_wait_loadcnt_dscnt 0x500
	v_mul_f64_e32 v[16:17], v[6:7], v[24:25]
	v_mul_f64_e32 v[24:25], v[8:9], v[24:25]
	v_add_f64_e32 v[10:11], v[12:13], v[10:11]
	v_add_f64_e32 v[12:13], v[141:142], v[147:148]
	v_fma_f64 v[137:138], v[4:5], v[18:19], v[143:144]
	v_fma_f64 v[18:19], v[2:3], v[18:19], -v[20:21]
	v_fma_f64 v[8:9], v[8:9], v[22:23], v[16:17]
	v_fma_f64 v[6:7], v[6:7], v[22:23], -v[24:25]
	v_add_f64_e32 v[14:15], v[10:11], v[14:15]
	v_add_f64_e32 v[20:21], v[12:13], v[139:140]
	ds_load_b128 v[2:5], v1 offset:1296
	ds_load_b128 v[10:13], v1 offset:1312
	s_wait_loadcnt_dscnt 0x401
	v_mul_f64_e32 v[139:140], v[2:3], v[28:29]
	v_mul_f64_e32 v[28:29], v[4:5], v[28:29]
	v_add_f64_e32 v[14:15], v[14:15], v[18:19]
	v_add_f64_e32 v[16:17], v[20:21], v[137:138]
	s_wait_loadcnt_dscnt 0x300
	v_mul_f64_e32 v[18:19], v[10:11], v[32:33]
	v_mul_f64_e32 v[20:21], v[12:13], v[32:33]
	v_fma_f64 v[22:23], v[4:5], v[26:27], v[139:140]
	v_fma_f64 v[24:25], v[2:3], v[26:27], -v[28:29]
	v_add_f64_e32 v[14:15], v[14:15], v[6:7]
	v_add_f64_e32 v[16:17], v[16:17], v[8:9]
	ds_load_b128 v[2:5], v1 offset:1328
	ds_load_b128 v[6:9], v1 offset:1344
	v_fma_f64 v[12:13], v[12:13], v[30:31], v[18:19]
	v_fma_f64 v[10:11], v[10:11], v[30:31], -v[20:21]
	s_wait_loadcnt_dscnt 0x201
	v_mul_f64_e32 v[26:27], v[2:3], v[40:41]
	v_mul_f64_e32 v[28:29], v[4:5], v[40:41]
	s_wait_loadcnt_dscnt 0x100
	v_mul_f64_e32 v[18:19], v[6:7], v[135:136]
	v_mul_f64_e32 v[20:21], v[8:9], v[135:136]
	v_add_f64_e32 v[14:15], v[14:15], v[24:25]
	v_add_f64_e32 v[16:17], v[16:17], v[22:23]
	v_fma_f64 v[22:23], v[4:5], v[38:39], v[26:27]
	v_fma_f64 v[24:25], v[2:3], v[38:39], -v[28:29]
	ds_load_b128 v[2:5], v1 offset:1360
	v_fma_f64 v[8:9], v[8:9], v[133:134], v[18:19]
	v_fma_f64 v[6:7], v[6:7], v[133:134], -v[20:21]
	v_add_f64_e32 v[10:11], v[14:15], v[10:11]
	v_add_f64_e32 v[12:13], v[16:17], v[12:13]
	s_wait_loadcnt_dscnt 0x0
	v_mul_f64_e32 v[14:15], v[2:3], v[36:37]
	v_mul_f64_e32 v[16:17], v[4:5], v[36:37]
	s_delay_alu instid0(VALU_DEP_4) | instskip(NEXT) | instid1(VALU_DEP_4)
	v_add_f64_e32 v[10:11], v[10:11], v[24:25]
	v_add_f64_e32 v[12:13], v[12:13], v[22:23]
	s_delay_alu instid0(VALU_DEP_4) | instskip(NEXT) | instid1(VALU_DEP_4)
	v_fma_f64 v[4:5], v[4:5], v[34:35], v[14:15]
	v_fma_f64 v[2:3], v[2:3], v[34:35], -v[16:17]
	s_delay_alu instid0(VALU_DEP_4) | instskip(NEXT) | instid1(VALU_DEP_4)
	v_add_f64_e32 v[6:7], v[10:11], v[6:7]
	v_add_f64_e32 v[8:9], v[12:13], v[8:9]
	s_delay_alu instid0(VALU_DEP_2) | instskip(NEXT) | instid1(VALU_DEP_2)
	v_add_f64_e32 v[2:3], v[6:7], v[2:3]
	v_add_f64_e32 v[4:5], v[8:9], v[4:5]
	s_delay_alu instid0(VALU_DEP_2) | instskip(NEXT) | instid1(VALU_DEP_2)
	v_add_f64_e64 v[2:3], v[42:43], -v[2:3]
	v_add_f64_e64 v[4:5], v[44:45], -v[4:5]
	scratch_store_b128 off, v[2:5], off offset:192
	v_cmpx_lt_u32_e32 10, v0
	s_cbranch_execz .LBB42_251
; %bb.250:
	scratch_load_b128 v[5:8], off, s46
	v_dual_mov_b32 v2, v1 :: v_dual_mov_b32 v3, v1
	v_mov_b32_e32 v4, v1
	scratch_store_b128 off, v[1:4], off offset:176
	s_wait_loadcnt 0x0
	ds_store_b128 v132, v[5:8]
.LBB42_251:
	s_wait_alu 0xfffe
	s_or_b32 exec_lo, exec_lo, s0
	s_wait_storecnt_dscnt 0x0
	s_barrier_signal -1
	s_barrier_wait -1
	global_inv scope:SCOPE_SE
	s_clause 0x8
	scratch_load_b128 v[2:5], off, off offset:192
	scratch_load_b128 v[6:9], off, off offset:208
	;; [unrolled: 1-line block ×9, first 2 shown]
	ds_load_b128 v[38:41], v1 offset:864
	ds_load_b128 v[42:45], v1 offset:880
	s_clause 0x1
	scratch_load_b128 v[133:136], off, off offset:176
	scratch_load_b128 v[137:140], off, off offset:336
	s_mov_b32 s0, exec_lo
	s_wait_loadcnt_dscnt 0xa01
	v_mul_f64_e32 v[141:142], v[40:41], v[4:5]
	v_mul_f64_e32 v[4:5], v[38:39], v[4:5]
	s_wait_loadcnt_dscnt 0x900
	v_mul_f64_e32 v[145:146], v[42:43], v[8:9]
	v_mul_f64_e32 v[8:9], v[44:45], v[8:9]
	s_delay_alu instid0(VALU_DEP_4) | instskip(NEXT) | instid1(VALU_DEP_4)
	v_fma_f64 v[147:148], v[38:39], v[2:3], -v[141:142]
	v_fma_f64 v[149:150], v[40:41], v[2:3], v[4:5]
	ds_load_b128 v[2:5], v1 offset:896
	ds_load_b128 v[141:144], v1 offset:912
	scratch_load_b128 v[38:41], off, off offset:352
	v_fma_f64 v[44:45], v[44:45], v[6:7], v[145:146]
	v_fma_f64 v[42:43], v[42:43], v[6:7], -v[8:9]
	scratch_load_b128 v[6:9], off, off offset:368
	s_wait_loadcnt_dscnt 0xa01
	v_mul_f64_e32 v[151:152], v[2:3], v[12:13]
	v_mul_f64_e32 v[12:13], v[4:5], v[12:13]
	v_add_f64_e32 v[145:146], 0, v[147:148]
	v_add_f64_e32 v[147:148], 0, v[149:150]
	s_wait_loadcnt_dscnt 0x900
	v_mul_f64_e32 v[149:150], v[141:142], v[16:17]
	v_mul_f64_e32 v[16:17], v[143:144], v[16:17]
	v_fma_f64 v[151:152], v[4:5], v[10:11], v[151:152]
	v_fma_f64 v[153:154], v[2:3], v[10:11], -v[12:13]
	ds_load_b128 v[2:5], v1 offset:928
	scratch_load_b128 v[10:13], off, off offset:384
	v_add_f64_e32 v[145:146], v[145:146], v[42:43]
	v_add_f64_e32 v[147:148], v[147:148], v[44:45]
	ds_load_b128 v[42:45], v1 offset:944
	v_fma_f64 v[143:144], v[143:144], v[14:15], v[149:150]
	v_fma_f64 v[141:142], v[141:142], v[14:15], -v[16:17]
	scratch_load_b128 v[14:17], off, off offset:400
	s_wait_loadcnt_dscnt 0xa01
	v_mul_f64_e32 v[155:156], v[2:3], v[20:21]
	v_mul_f64_e32 v[20:21], v[4:5], v[20:21]
	s_wait_loadcnt_dscnt 0x900
	v_mul_f64_e32 v[149:150], v[42:43], v[24:25]
	v_mul_f64_e32 v[24:25], v[44:45], v[24:25]
	v_add_f64_e32 v[145:146], v[145:146], v[153:154]
	v_add_f64_e32 v[147:148], v[147:148], v[151:152]
	v_fma_f64 v[151:152], v[4:5], v[18:19], v[155:156]
	v_fma_f64 v[153:154], v[2:3], v[18:19], -v[20:21]
	ds_load_b128 v[2:5], v1 offset:960
	scratch_load_b128 v[18:21], off, off offset:416
	v_fma_f64 v[44:45], v[44:45], v[22:23], v[149:150]
	v_fma_f64 v[42:43], v[42:43], v[22:23], -v[24:25]
	scratch_load_b128 v[22:25], off, off offset:432
	v_add_f64_e32 v[145:146], v[145:146], v[141:142]
	v_add_f64_e32 v[147:148], v[147:148], v[143:144]
	ds_load_b128 v[141:144], v1 offset:976
	s_wait_loadcnt_dscnt 0xa01
	v_mul_f64_e32 v[155:156], v[2:3], v[28:29]
	v_mul_f64_e32 v[28:29], v[4:5], v[28:29]
	s_wait_loadcnt_dscnt 0x900
	v_mul_f64_e32 v[149:150], v[141:142], v[32:33]
	v_mul_f64_e32 v[32:33], v[143:144], v[32:33]
	v_add_f64_e32 v[145:146], v[145:146], v[153:154]
	v_add_f64_e32 v[147:148], v[147:148], v[151:152]
	v_fma_f64 v[151:152], v[4:5], v[26:27], v[155:156]
	v_fma_f64 v[153:154], v[2:3], v[26:27], -v[28:29]
	ds_load_b128 v[2:5], v1 offset:992
	scratch_load_b128 v[26:29], off, off offset:448
	v_fma_f64 v[143:144], v[143:144], v[30:31], v[149:150]
	v_fma_f64 v[141:142], v[141:142], v[30:31], -v[32:33]
	scratch_load_b128 v[30:33], off, off offset:464
	v_add_f64_e32 v[145:146], v[145:146], v[42:43]
	v_add_f64_e32 v[147:148], v[147:148], v[44:45]
	ds_load_b128 v[42:45], v1 offset:1008
	s_wait_loadcnt_dscnt 0xa01
	v_mul_f64_e32 v[155:156], v[2:3], v[36:37]
	v_mul_f64_e32 v[36:37], v[4:5], v[36:37]
	s_wait_loadcnt_dscnt 0x800
	v_mul_f64_e32 v[149:150], v[42:43], v[139:140]
	v_add_f64_e32 v[145:146], v[145:146], v[153:154]
	v_add_f64_e32 v[147:148], v[147:148], v[151:152]
	v_mul_f64_e32 v[151:152], v[44:45], v[139:140]
	v_fma_f64 v[153:154], v[4:5], v[34:35], v[155:156]
	v_fma_f64 v[155:156], v[2:3], v[34:35], -v[36:37]
	ds_load_b128 v[2:5], v1 offset:1024
	scratch_load_b128 v[34:37], off, off offset:480
	v_fma_f64 v[44:45], v[44:45], v[137:138], v[149:150]
	v_add_f64_e32 v[145:146], v[145:146], v[141:142]
	v_add_f64_e32 v[143:144], v[147:148], v[143:144]
	ds_load_b128 v[139:142], v1 offset:1040
	v_fma_f64 v[137:138], v[42:43], v[137:138], -v[151:152]
	s_wait_loadcnt_dscnt 0x801
	v_mul_f64_e32 v[147:148], v[2:3], v[40:41]
	v_mul_f64_e32 v[157:158], v[4:5], v[40:41]
	scratch_load_b128 v[40:43], off, off offset:496
	s_wait_loadcnt_dscnt 0x800
	v_mul_f64_e32 v[151:152], v[139:140], v[8:9]
	v_mul_f64_e32 v[8:9], v[141:142], v[8:9]
	v_add_f64_e32 v[145:146], v[145:146], v[155:156]
	v_add_f64_e32 v[143:144], v[143:144], v[153:154]
	v_fma_f64 v[153:154], v[4:5], v[38:39], v[147:148]
	v_fma_f64 v[38:39], v[2:3], v[38:39], -v[157:158]
	ds_load_b128 v[2:5], v1 offset:1056
	ds_load_b128 v[147:150], v1 offset:1072
	v_fma_f64 v[141:142], v[141:142], v[6:7], v[151:152]
	v_fma_f64 v[139:140], v[139:140], v[6:7], -v[8:9]
	scratch_load_b128 v[6:9], off, off offset:528
	v_add_f64_e32 v[137:138], v[145:146], v[137:138]
	v_add_f64_e32 v[44:45], v[143:144], v[44:45]
	scratch_load_b128 v[143:146], off, off offset:512
	s_wait_loadcnt_dscnt 0x901
	v_mul_f64_e32 v[155:156], v[2:3], v[12:13]
	v_mul_f64_e32 v[12:13], v[4:5], v[12:13]
	s_wait_loadcnt_dscnt 0x800
	v_mul_f64_e32 v[151:152], v[147:148], v[16:17]
	v_mul_f64_e32 v[16:17], v[149:150], v[16:17]
	v_add_f64_e32 v[38:39], v[137:138], v[38:39]
	v_add_f64_e32 v[44:45], v[44:45], v[153:154]
	v_fma_f64 v[153:154], v[4:5], v[10:11], v[155:156]
	v_fma_f64 v[155:156], v[2:3], v[10:11], -v[12:13]
	ds_load_b128 v[2:5], v1 offset:1088
	scratch_load_b128 v[10:13], off, off offset:544
	v_fma_f64 v[149:150], v[149:150], v[14:15], v[151:152]
	v_fma_f64 v[147:148], v[147:148], v[14:15], -v[16:17]
	scratch_load_b128 v[14:17], off, off offset:560
	v_add_f64_e32 v[38:39], v[38:39], v[139:140]
	v_add_f64_e32 v[44:45], v[44:45], v[141:142]
	ds_load_b128 v[137:140], v1 offset:1104
	s_wait_loadcnt_dscnt 0x901
	v_mul_f64_e32 v[141:142], v[2:3], v[20:21]
	v_mul_f64_e32 v[20:21], v[4:5], v[20:21]
	s_wait_loadcnt_dscnt 0x800
	v_mul_f64_e32 v[151:152], v[137:138], v[24:25]
	v_mul_f64_e32 v[24:25], v[139:140], v[24:25]
	v_add_f64_e32 v[38:39], v[38:39], v[155:156]
	v_add_f64_e32 v[44:45], v[44:45], v[153:154]
	v_fma_f64 v[141:142], v[4:5], v[18:19], v[141:142]
	v_fma_f64 v[153:154], v[2:3], v[18:19], -v[20:21]
	ds_load_b128 v[2:5], v1 offset:1120
	scratch_load_b128 v[18:21], off, off offset:576
	v_fma_f64 v[139:140], v[139:140], v[22:23], v[151:152]
	v_fma_f64 v[137:138], v[137:138], v[22:23], -v[24:25]
	scratch_load_b128 v[22:25], off, off offset:592
	v_add_f64_e32 v[38:39], v[38:39], v[147:148]
	v_add_f64_e32 v[44:45], v[44:45], v[149:150]
	ds_load_b128 v[147:150], v1 offset:1136
	s_wait_loadcnt_dscnt 0x901
	v_mul_f64_e32 v[155:156], v[2:3], v[28:29]
	v_mul_f64_e32 v[28:29], v[4:5], v[28:29]
	v_add_f64_e32 v[38:39], v[38:39], v[153:154]
	v_add_f64_e32 v[44:45], v[44:45], v[141:142]
	s_wait_loadcnt_dscnt 0x800
	v_mul_f64_e32 v[141:142], v[147:148], v[32:33]
	v_mul_f64_e32 v[32:33], v[149:150], v[32:33]
	v_fma_f64 v[151:152], v[4:5], v[26:27], v[155:156]
	v_fma_f64 v[153:154], v[2:3], v[26:27], -v[28:29]
	ds_load_b128 v[2:5], v1 offset:1152
	scratch_load_b128 v[26:29], off, off offset:608
	v_add_f64_e32 v[38:39], v[38:39], v[137:138]
	v_add_f64_e32 v[44:45], v[44:45], v[139:140]
	ds_load_b128 v[137:140], v1 offset:1168
	s_wait_loadcnt_dscnt 0x801
	v_mul_f64_e32 v[155:156], v[2:3], v[36:37]
	v_mul_f64_e32 v[36:37], v[4:5], v[36:37]
	v_fma_f64 v[141:142], v[149:150], v[30:31], v[141:142]
	v_fma_f64 v[147:148], v[147:148], v[30:31], -v[32:33]
	scratch_load_b128 v[30:33], off, off offset:624
	s_wait_loadcnt_dscnt 0x800
	v_mul_f64_e32 v[149:150], v[137:138], v[42:43]
	v_add_f64_e32 v[38:39], v[38:39], v[153:154]
	v_add_f64_e32 v[44:45], v[44:45], v[151:152]
	v_mul_f64_e32 v[151:152], v[139:140], v[42:43]
	v_fma_f64 v[153:154], v[4:5], v[34:35], v[155:156]
	v_fma_f64 v[155:156], v[2:3], v[34:35], -v[36:37]
	ds_load_b128 v[2:5], v1 offset:1184
	scratch_load_b128 v[34:37], off, off offset:640
	v_fma_f64 v[139:140], v[139:140], v[40:41], v[149:150]
	v_add_f64_e32 v[38:39], v[38:39], v[147:148]
	v_add_f64_e32 v[141:142], v[44:45], v[141:142]
	ds_load_b128 v[42:45], v1 offset:1200
	v_fma_f64 v[137:138], v[137:138], v[40:41], -v[151:152]
	s_wait_loadcnt_dscnt 0x701
	v_mul_f64_e32 v[147:148], v[2:3], v[145:146]
	v_mul_f64_e32 v[145:146], v[4:5], v[145:146]
	s_wait_dscnt 0x0
	v_mul_f64_e32 v[151:152], v[42:43], v[8:9]
	v_mul_f64_e32 v[8:9], v[44:45], v[8:9]
	v_add_f64_e32 v[149:150], v[38:39], v[155:156]
	v_add_f64_e32 v[141:142], v[141:142], v[153:154]
	scratch_load_b128 v[38:41], off, off offset:656
	v_fma_f64 v[147:148], v[4:5], v[143:144], v[147:148]
	v_fma_f64 v[145:146], v[2:3], v[143:144], -v[145:146]
	ds_load_b128 v[2:5], v1 offset:1216
	v_fma_f64 v[44:45], v[44:45], v[6:7], v[151:152]
	v_fma_f64 v[42:43], v[42:43], v[6:7], -v[8:9]
	scratch_load_b128 v[6:9], off, off offset:688
	v_add_f64_e32 v[149:150], v[149:150], v[137:138]
	v_add_f64_e32 v[153:154], v[141:142], v[139:140]
	scratch_load_b128 v[137:140], off, off offset:672
	ds_load_b128 v[141:144], v1 offset:1232
	s_wait_loadcnt_dscnt 0x901
	v_mul_f64_e32 v[155:156], v[2:3], v[12:13]
	v_mul_f64_e32 v[12:13], v[4:5], v[12:13]
	v_add_f64_e32 v[145:146], v[149:150], v[145:146]
	v_add_f64_e32 v[147:148], v[153:154], v[147:148]
	s_wait_loadcnt_dscnt 0x800
	v_mul_f64_e32 v[149:150], v[141:142], v[16:17]
	v_mul_f64_e32 v[16:17], v[143:144], v[16:17]
	v_fma_f64 v[151:152], v[4:5], v[10:11], v[155:156]
	v_fma_f64 v[153:154], v[2:3], v[10:11], -v[12:13]
	ds_load_b128 v[2:5], v1 offset:1248
	ds_load_b128 v[10:13], v1 offset:1264
	v_add_f64_e32 v[42:43], v[145:146], v[42:43]
	v_add_f64_e32 v[44:45], v[147:148], v[44:45]
	s_wait_loadcnt_dscnt 0x701
	v_mul_f64_e32 v[145:146], v[2:3], v[20:21]
	v_mul_f64_e32 v[20:21], v[4:5], v[20:21]
	v_fma_f64 v[143:144], v[143:144], v[14:15], v[149:150]
	v_fma_f64 v[14:15], v[141:142], v[14:15], -v[16:17]
	v_add_f64_e32 v[16:17], v[42:43], v[153:154]
	v_add_f64_e32 v[42:43], v[44:45], v[151:152]
	s_wait_loadcnt_dscnt 0x600
	v_mul_f64_e32 v[44:45], v[10:11], v[24:25]
	v_mul_f64_e32 v[24:25], v[12:13], v[24:25]
	v_fma_f64 v[141:142], v[4:5], v[18:19], v[145:146]
	v_fma_f64 v[18:19], v[2:3], v[18:19], -v[20:21]
	v_add_f64_e32 v[20:21], v[16:17], v[14:15]
	v_add_f64_e32 v[42:43], v[42:43], v[143:144]
	ds_load_b128 v[2:5], v1 offset:1280
	ds_load_b128 v[14:17], v1 offset:1296
	v_fma_f64 v[12:13], v[12:13], v[22:23], v[44:45]
	v_fma_f64 v[10:11], v[10:11], v[22:23], -v[24:25]
	s_wait_loadcnt_dscnt 0x501
	v_mul_f64_e32 v[143:144], v[2:3], v[28:29]
	v_mul_f64_e32 v[28:29], v[4:5], v[28:29]
	s_wait_loadcnt_dscnt 0x400
	v_mul_f64_e32 v[22:23], v[14:15], v[32:33]
	v_mul_f64_e32 v[24:25], v[16:17], v[32:33]
	v_add_f64_e32 v[18:19], v[20:21], v[18:19]
	v_add_f64_e32 v[20:21], v[42:43], v[141:142]
	v_fma_f64 v[32:33], v[4:5], v[26:27], v[143:144]
	v_fma_f64 v[26:27], v[2:3], v[26:27], -v[28:29]
	v_fma_f64 v[16:17], v[16:17], v[30:31], v[22:23]
	v_fma_f64 v[14:15], v[14:15], v[30:31], -v[24:25]
	v_add_f64_e32 v[18:19], v[18:19], v[10:11]
	v_add_f64_e32 v[20:21], v[20:21], v[12:13]
	ds_load_b128 v[2:5], v1 offset:1312
	ds_load_b128 v[10:13], v1 offset:1328
	s_wait_loadcnt_dscnt 0x301
	v_mul_f64_e32 v[28:29], v[2:3], v[36:37]
	v_mul_f64_e32 v[36:37], v[4:5], v[36:37]
	v_add_f64_e32 v[18:19], v[18:19], v[26:27]
	v_add_f64_e32 v[20:21], v[20:21], v[32:33]
	s_wait_loadcnt_dscnt 0x200
	v_mul_f64_e32 v[22:23], v[10:11], v[40:41]
	v_mul_f64_e32 v[24:25], v[12:13], v[40:41]
	v_fma_f64 v[26:27], v[4:5], v[34:35], v[28:29]
	v_fma_f64 v[28:29], v[2:3], v[34:35], -v[36:37]
	v_add_f64_e32 v[18:19], v[18:19], v[14:15]
	v_add_f64_e32 v[20:21], v[20:21], v[16:17]
	ds_load_b128 v[2:5], v1 offset:1344
	ds_load_b128 v[14:17], v1 offset:1360
	v_fma_f64 v[12:13], v[12:13], v[38:39], v[22:23]
	v_fma_f64 v[10:11], v[10:11], v[38:39], -v[24:25]
	s_wait_loadcnt_dscnt 0x1
	v_mul_f64_e32 v[30:31], v[2:3], v[139:140]
	v_mul_f64_e32 v[32:33], v[4:5], v[139:140]
	s_wait_dscnt 0x0
	v_mul_f64_e32 v[22:23], v[14:15], v[8:9]
	v_mul_f64_e32 v[8:9], v[16:17], v[8:9]
	v_add_f64_e32 v[18:19], v[18:19], v[28:29]
	v_add_f64_e32 v[20:21], v[20:21], v[26:27]
	v_fma_f64 v[4:5], v[4:5], v[137:138], v[30:31]
	v_fma_f64 v[1:2], v[2:3], v[137:138], -v[32:33]
	v_fma_f64 v[16:17], v[16:17], v[6:7], v[22:23]
	v_fma_f64 v[6:7], v[14:15], v[6:7], -v[8:9]
	v_add_f64_e32 v[10:11], v[18:19], v[10:11]
	v_add_f64_e32 v[12:13], v[20:21], v[12:13]
	s_delay_alu instid0(VALU_DEP_2) | instskip(NEXT) | instid1(VALU_DEP_2)
	v_add_f64_e32 v[1:2], v[10:11], v[1:2]
	v_add_f64_e32 v[3:4], v[12:13], v[4:5]
	s_delay_alu instid0(VALU_DEP_2) | instskip(NEXT) | instid1(VALU_DEP_2)
	;; [unrolled: 3-line block ×3, first 2 shown]
	v_add_f64_e64 v[1:2], v[133:134], -v[1:2]
	v_add_f64_e64 v[3:4], v[135:136], -v[3:4]
	scratch_store_b128 off, v[1:4], off offset:176
	v_cmpx_lt_u32_e32 9, v0
	s_cbranch_execz .LBB42_253
; %bb.252:
	scratch_load_b128 v[1:4], off, s47
	v_mov_b32_e32 v5, 0
	s_delay_alu instid0(VALU_DEP_1)
	v_dual_mov_b32 v6, v5 :: v_dual_mov_b32 v7, v5
	v_mov_b32_e32 v8, v5
	scratch_store_b128 off, v[5:8], off offset:160
	s_wait_loadcnt 0x0
	ds_store_b128 v132, v[1:4]
.LBB42_253:
	s_wait_alu 0xfffe
	s_or_b32 exec_lo, exec_lo, s0
	s_wait_storecnt_dscnt 0x0
	s_barrier_signal -1
	s_barrier_wait -1
	global_inv scope:SCOPE_SE
	s_clause 0x7
	scratch_load_b128 v[2:5], off, off offset:176
	scratch_load_b128 v[6:9], off, off offset:192
	;; [unrolled: 1-line block ×8, first 2 shown]
	v_mov_b32_e32 v1, 0
	s_mov_b32 s0, exec_lo
	ds_load_b128 v[34:37], v1 offset:848
	s_clause 0x1
	scratch_load_b128 v[38:41], off, off offset:304
	scratch_load_b128 v[42:45], off, off offset:160
	ds_load_b128 v[133:136], v1 offset:864
	scratch_load_b128 v[137:140], off, off offset:320
	s_wait_loadcnt_dscnt 0xa01
	v_mul_f64_e32 v[141:142], v[36:37], v[4:5]
	v_mul_f64_e32 v[4:5], v[34:35], v[4:5]
	s_delay_alu instid0(VALU_DEP_2) | instskip(NEXT) | instid1(VALU_DEP_2)
	v_fma_f64 v[147:148], v[34:35], v[2:3], -v[141:142]
	v_fma_f64 v[149:150], v[36:37], v[2:3], v[4:5]
	ds_load_b128 v[2:5], v1 offset:880
	s_wait_loadcnt_dscnt 0x901
	v_mul_f64_e32 v[145:146], v[133:134], v[8:9]
	v_mul_f64_e32 v[8:9], v[135:136], v[8:9]
	scratch_load_b128 v[34:37], off, off offset:336
	ds_load_b128 v[141:144], v1 offset:896
	s_wait_loadcnt_dscnt 0x901
	v_mul_f64_e32 v[151:152], v[2:3], v[12:13]
	v_mul_f64_e32 v[12:13], v[4:5], v[12:13]
	v_fma_f64 v[135:136], v[135:136], v[6:7], v[145:146]
	v_fma_f64 v[133:134], v[133:134], v[6:7], -v[8:9]
	v_add_f64_e32 v[145:146], 0, v[147:148]
	v_add_f64_e32 v[147:148], 0, v[149:150]
	scratch_load_b128 v[6:9], off, off offset:352
	v_fma_f64 v[151:152], v[4:5], v[10:11], v[151:152]
	v_fma_f64 v[153:154], v[2:3], v[10:11], -v[12:13]
	ds_load_b128 v[2:5], v1 offset:912
	s_wait_loadcnt_dscnt 0x901
	v_mul_f64_e32 v[149:150], v[141:142], v[16:17]
	v_mul_f64_e32 v[16:17], v[143:144], v[16:17]
	scratch_load_b128 v[10:13], off, off offset:368
	v_add_f64_e32 v[145:146], v[145:146], v[133:134]
	v_add_f64_e32 v[147:148], v[147:148], v[135:136]
	s_wait_loadcnt_dscnt 0x900
	v_mul_f64_e32 v[155:156], v[2:3], v[20:21]
	v_mul_f64_e32 v[20:21], v[4:5], v[20:21]
	ds_load_b128 v[133:136], v1 offset:928
	v_fma_f64 v[143:144], v[143:144], v[14:15], v[149:150]
	v_fma_f64 v[141:142], v[141:142], v[14:15], -v[16:17]
	scratch_load_b128 v[14:17], off, off offset:384
	v_add_f64_e32 v[145:146], v[145:146], v[153:154]
	v_add_f64_e32 v[147:148], v[147:148], v[151:152]
	v_fma_f64 v[151:152], v[4:5], v[18:19], v[155:156]
	v_fma_f64 v[153:154], v[2:3], v[18:19], -v[20:21]
	ds_load_b128 v[2:5], v1 offset:944
	s_wait_loadcnt_dscnt 0x901
	v_mul_f64_e32 v[149:150], v[133:134], v[24:25]
	v_mul_f64_e32 v[24:25], v[135:136], v[24:25]
	scratch_load_b128 v[18:21], off, off offset:400
	s_wait_loadcnt_dscnt 0x900
	v_mul_f64_e32 v[155:156], v[2:3], v[28:29]
	v_mul_f64_e32 v[28:29], v[4:5], v[28:29]
	v_add_f64_e32 v[145:146], v[145:146], v[141:142]
	v_add_f64_e32 v[147:148], v[147:148], v[143:144]
	ds_load_b128 v[141:144], v1 offset:960
	v_fma_f64 v[135:136], v[135:136], v[22:23], v[149:150]
	v_fma_f64 v[133:134], v[133:134], v[22:23], -v[24:25]
	scratch_load_b128 v[22:25], off, off offset:416
	v_add_f64_e32 v[145:146], v[145:146], v[153:154]
	v_add_f64_e32 v[147:148], v[147:148], v[151:152]
	v_fma_f64 v[151:152], v[4:5], v[26:27], v[155:156]
	v_fma_f64 v[153:154], v[2:3], v[26:27], -v[28:29]
	ds_load_b128 v[2:5], v1 offset:976
	s_wait_loadcnt_dscnt 0x901
	v_mul_f64_e32 v[149:150], v[141:142], v[32:33]
	v_mul_f64_e32 v[32:33], v[143:144], v[32:33]
	scratch_load_b128 v[26:29], off, off offset:432
	s_wait_loadcnt_dscnt 0x900
	v_mul_f64_e32 v[155:156], v[2:3], v[40:41]
	v_mul_f64_e32 v[40:41], v[4:5], v[40:41]
	v_add_f64_e32 v[145:146], v[145:146], v[133:134]
	v_add_f64_e32 v[147:148], v[147:148], v[135:136]
	ds_load_b128 v[133:136], v1 offset:992
	v_fma_f64 v[143:144], v[143:144], v[30:31], v[149:150]
	v_fma_f64 v[141:142], v[141:142], v[30:31], -v[32:33]
	scratch_load_b128 v[30:33], off, off offset:448
	v_add_f64_e32 v[145:146], v[145:146], v[153:154]
	v_add_f64_e32 v[147:148], v[147:148], v[151:152]
	v_fma_f64 v[153:154], v[4:5], v[38:39], v[155:156]
	v_fma_f64 v[155:156], v[2:3], v[38:39], -v[40:41]
	ds_load_b128 v[2:5], v1 offset:1008
	s_wait_loadcnt_dscnt 0x801
	v_mul_f64_e32 v[149:150], v[133:134], v[139:140]
	v_mul_f64_e32 v[151:152], v[135:136], v[139:140]
	scratch_load_b128 v[38:41], off, off offset:464
	v_add_f64_e32 v[145:146], v[145:146], v[141:142]
	v_add_f64_e32 v[143:144], v[147:148], v[143:144]
	ds_load_b128 v[139:142], v1 offset:1024
	v_fma_f64 v[149:150], v[135:136], v[137:138], v[149:150]
	v_fma_f64 v[137:138], v[133:134], v[137:138], -v[151:152]
	scratch_load_b128 v[133:136], off, off offset:480
	s_wait_loadcnt_dscnt 0x901
	v_mul_f64_e32 v[147:148], v[2:3], v[36:37]
	v_mul_f64_e32 v[36:37], v[4:5], v[36:37]
	v_add_f64_e32 v[145:146], v[145:146], v[155:156]
	v_add_f64_e32 v[143:144], v[143:144], v[153:154]
	s_delay_alu instid0(VALU_DEP_4) | instskip(NEXT) | instid1(VALU_DEP_4)
	v_fma_f64 v[147:148], v[4:5], v[34:35], v[147:148]
	v_fma_f64 v[153:154], v[2:3], v[34:35], -v[36:37]
	ds_load_b128 v[2:5], v1 offset:1040
	s_wait_loadcnt_dscnt 0x801
	v_mul_f64_e32 v[151:152], v[139:140], v[8:9]
	v_mul_f64_e32 v[8:9], v[141:142], v[8:9]
	scratch_load_b128 v[34:37], off, off offset:496
	s_wait_loadcnt_dscnt 0x800
	v_mul_f64_e32 v[155:156], v[2:3], v[12:13]
	v_add_f64_e32 v[137:138], v[145:146], v[137:138]
	v_add_f64_e32 v[149:150], v[143:144], v[149:150]
	v_mul_f64_e32 v[12:13], v[4:5], v[12:13]
	ds_load_b128 v[143:146], v1 offset:1056
	v_fma_f64 v[141:142], v[141:142], v[6:7], v[151:152]
	v_fma_f64 v[139:140], v[139:140], v[6:7], -v[8:9]
	scratch_load_b128 v[6:9], off, off offset:512
	v_fma_f64 v[151:152], v[4:5], v[10:11], v[155:156]
	v_add_f64_e32 v[137:138], v[137:138], v[153:154]
	v_add_f64_e32 v[147:148], v[149:150], v[147:148]
	v_fma_f64 v[153:154], v[2:3], v[10:11], -v[12:13]
	ds_load_b128 v[2:5], v1 offset:1072
	s_wait_loadcnt_dscnt 0x801
	v_mul_f64_e32 v[149:150], v[143:144], v[16:17]
	v_mul_f64_e32 v[16:17], v[145:146], v[16:17]
	scratch_load_b128 v[10:13], off, off offset:528
	v_add_f64_e32 v[155:156], v[137:138], v[139:140]
	v_add_f64_e32 v[141:142], v[147:148], v[141:142]
	s_wait_loadcnt_dscnt 0x800
	v_mul_f64_e32 v[147:148], v[2:3], v[20:21]
	v_mul_f64_e32 v[20:21], v[4:5], v[20:21]
	v_fma_f64 v[145:146], v[145:146], v[14:15], v[149:150]
	v_fma_f64 v[143:144], v[143:144], v[14:15], -v[16:17]
	ds_load_b128 v[137:140], v1 offset:1088
	scratch_load_b128 v[14:17], off, off offset:544
	v_add_f64_e32 v[149:150], v[155:156], v[153:154]
	v_add_f64_e32 v[141:142], v[141:142], v[151:152]
	v_fma_f64 v[147:148], v[4:5], v[18:19], v[147:148]
	v_fma_f64 v[153:154], v[2:3], v[18:19], -v[20:21]
	ds_load_b128 v[2:5], v1 offset:1104
	s_wait_loadcnt_dscnt 0x801
	v_mul_f64_e32 v[151:152], v[137:138], v[24:25]
	v_mul_f64_e32 v[24:25], v[139:140], v[24:25]
	scratch_load_b128 v[18:21], off, off offset:560
	s_wait_loadcnt_dscnt 0x800
	v_mul_f64_e32 v[155:156], v[2:3], v[28:29]
	v_mul_f64_e32 v[28:29], v[4:5], v[28:29]
	v_add_f64_e32 v[149:150], v[149:150], v[143:144]
	v_add_f64_e32 v[145:146], v[141:142], v[145:146]
	ds_load_b128 v[141:144], v1 offset:1120
	v_fma_f64 v[139:140], v[139:140], v[22:23], v[151:152]
	v_fma_f64 v[137:138], v[137:138], v[22:23], -v[24:25]
	scratch_load_b128 v[22:25], off, off offset:576
	v_fma_f64 v[151:152], v[4:5], v[26:27], v[155:156]
	v_add_f64_e32 v[149:150], v[149:150], v[153:154]
	v_add_f64_e32 v[145:146], v[145:146], v[147:148]
	v_fma_f64 v[153:154], v[2:3], v[26:27], -v[28:29]
	ds_load_b128 v[2:5], v1 offset:1136
	s_wait_loadcnt_dscnt 0x801
	v_mul_f64_e32 v[147:148], v[141:142], v[32:33]
	v_mul_f64_e32 v[32:33], v[143:144], v[32:33]
	scratch_load_b128 v[26:29], off, off offset:592
	s_wait_loadcnt_dscnt 0x800
	v_mul_f64_e32 v[155:156], v[2:3], v[40:41]
	v_mul_f64_e32 v[40:41], v[4:5], v[40:41]
	v_add_f64_e32 v[149:150], v[149:150], v[137:138]
	v_add_f64_e32 v[145:146], v[145:146], v[139:140]
	ds_load_b128 v[137:140], v1 offset:1152
	v_fma_f64 v[143:144], v[143:144], v[30:31], v[147:148]
	v_fma_f64 v[141:142], v[141:142], v[30:31], -v[32:33]
	scratch_load_b128 v[30:33], off, off offset:608
	v_add_f64_e32 v[147:148], v[149:150], v[153:154]
	v_add_f64_e32 v[145:146], v[145:146], v[151:152]
	v_fma_f64 v[151:152], v[4:5], v[38:39], v[155:156]
	v_fma_f64 v[153:154], v[2:3], v[38:39], -v[40:41]
	ds_load_b128 v[2:5], v1 offset:1168
	s_wait_loadcnt_dscnt 0x801
	v_mul_f64_e32 v[149:150], v[137:138], v[135:136]
	v_mul_f64_e32 v[135:136], v[139:140], v[135:136]
	scratch_load_b128 v[38:41], off, off offset:624
	s_wait_loadcnt_dscnt 0x800
	v_mul_f64_e32 v[155:156], v[2:3], v[36:37]
	v_mul_f64_e32 v[36:37], v[4:5], v[36:37]
	v_add_f64_e32 v[147:148], v[147:148], v[141:142]
	v_add_f64_e32 v[145:146], v[145:146], v[143:144]
	ds_load_b128 v[141:144], v1 offset:1184
	v_fma_f64 v[139:140], v[139:140], v[133:134], v[149:150]
	v_fma_f64 v[137:138], v[137:138], v[133:134], -v[135:136]
	scratch_load_b128 v[133:136], off, off offset:640
	v_add_f64_e32 v[147:148], v[147:148], v[153:154]
	v_add_f64_e32 v[145:146], v[145:146], v[151:152]
	v_fma_f64 v[151:152], v[4:5], v[34:35], v[155:156]
	;; [unrolled: 18-line block ×3, first 2 shown]
	v_fma_f64 v[153:154], v[2:3], v[10:11], -v[12:13]
	ds_load_b128 v[2:5], v1 offset:1232
	s_wait_loadcnt_dscnt 0x801
	v_mul_f64_e32 v[149:150], v[137:138], v[16:17]
	v_mul_f64_e32 v[16:17], v[139:140], v[16:17]
	scratch_load_b128 v[10:13], off, off offset:688
	s_wait_loadcnt_dscnt 0x800
	v_mul_f64_e32 v[155:156], v[2:3], v[20:21]
	v_mul_f64_e32 v[20:21], v[4:5], v[20:21]
	v_add_f64_e32 v[147:148], v[147:148], v[141:142]
	v_add_f64_e32 v[145:146], v[145:146], v[143:144]
	ds_load_b128 v[141:144], v1 offset:1248
	v_fma_f64 v[139:140], v[139:140], v[14:15], v[149:150]
	v_fma_f64 v[14:15], v[137:138], v[14:15], -v[16:17]
	v_add_f64_e32 v[16:17], v[147:148], v[153:154]
	v_add_f64_e32 v[137:138], v[145:146], v[151:152]
	s_wait_loadcnt_dscnt 0x700
	v_mul_f64_e32 v[145:146], v[141:142], v[24:25]
	v_mul_f64_e32 v[24:25], v[143:144], v[24:25]
	v_fma_f64 v[147:148], v[4:5], v[18:19], v[155:156]
	v_fma_f64 v[18:19], v[2:3], v[18:19], -v[20:21]
	v_add_f64_e32 v[20:21], v[16:17], v[14:15]
	v_add_f64_e32 v[137:138], v[137:138], v[139:140]
	ds_load_b128 v[2:5], v1 offset:1264
	ds_load_b128 v[14:17], v1 offset:1280
	v_fma_f64 v[143:144], v[143:144], v[22:23], v[145:146]
	v_fma_f64 v[22:23], v[141:142], v[22:23], -v[24:25]
	s_wait_loadcnt_dscnt 0x601
	v_mul_f64_e32 v[139:140], v[2:3], v[28:29]
	v_mul_f64_e32 v[28:29], v[4:5], v[28:29]
	s_wait_loadcnt_dscnt 0x500
	v_mul_f64_e32 v[24:25], v[14:15], v[32:33]
	v_mul_f64_e32 v[32:33], v[16:17], v[32:33]
	v_add_f64_e32 v[18:19], v[20:21], v[18:19]
	v_add_f64_e32 v[20:21], v[137:138], v[147:148]
	v_fma_f64 v[137:138], v[4:5], v[26:27], v[139:140]
	v_fma_f64 v[26:27], v[2:3], v[26:27], -v[28:29]
	v_fma_f64 v[16:17], v[16:17], v[30:31], v[24:25]
	v_fma_f64 v[14:15], v[14:15], v[30:31], -v[32:33]
	v_add_f64_e32 v[22:23], v[18:19], v[22:23]
	v_add_f64_e32 v[28:29], v[20:21], v[143:144]
	ds_load_b128 v[2:5], v1 offset:1296
	ds_load_b128 v[18:21], v1 offset:1312
	s_wait_loadcnt_dscnt 0x401
	v_mul_f64_e32 v[139:140], v[2:3], v[40:41]
	v_mul_f64_e32 v[40:41], v[4:5], v[40:41]
	v_add_f64_e32 v[22:23], v[22:23], v[26:27]
	v_add_f64_e32 v[24:25], v[28:29], v[137:138]
	s_wait_loadcnt_dscnt 0x300
	v_mul_f64_e32 v[26:27], v[18:19], v[135:136]
	v_mul_f64_e32 v[28:29], v[20:21], v[135:136]
	v_fma_f64 v[30:31], v[4:5], v[38:39], v[139:140]
	v_fma_f64 v[32:33], v[2:3], v[38:39], -v[40:41]
	v_add_f64_e32 v[22:23], v[22:23], v[14:15]
	v_add_f64_e32 v[24:25], v[24:25], v[16:17]
	ds_load_b128 v[2:5], v1 offset:1328
	ds_load_b128 v[14:17], v1 offset:1344
	v_fma_f64 v[20:21], v[20:21], v[133:134], v[26:27]
	v_fma_f64 v[18:19], v[18:19], v[133:134], -v[28:29]
	s_wait_loadcnt_dscnt 0x201
	v_mul_f64_e32 v[38:39], v[2:3], v[36:37]
	v_mul_f64_e32 v[36:37], v[4:5], v[36:37]
	s_wait_loadcnt_dscnt 0x100
	v_mul_f64_e32 v[26:27], v[14:15], v[8:9]
	v_mul_f64_e32 v[8:9], v[16:17], v[8:9]
	v_add_f64_e32 v[22:23], v[22:23], v[32:33]
	v_add_f64_e32 v[24:25], v[24:25], v[30:31]
	v_fma_f64 v[28:29], v[4:5], v[34:35], v[38:39]
	v_fma_f64 v[30:31], v[2:3], v[34:35], -v[36:37]
	ds_load_b128 v[2:5], v1 offset:1360
	v_fma_f64 v[16:17], v[16:17], v[6:7], v[26:27]
	v_fma_f64 v[6:7], v[14:15], v[6:7], -v[8:9]
	v_add_f64_e32 v[18:19], v[22:23], v[18:19]
	v_add_f64_e32 v[20:21], v[24:25], v[20:21]
	s_wait_loadcnt_dscnt 0x0
	v_mul_f64_e32 v[22:23], v[2:3], v[12:13]
	v_mul_f64_e32 v[12:13], v[4:5], v[12:13]
	s_delay_alu instid0(VALU_DEP_4) | instskip(NEXT) | instid1(VALU_DEP_4)
	v_add_f64_e32 v[8:9], v[18:19], v[30:31]
	v_add_f64_e32 v[14:15], v[20:21], v[28:29]
	s_delay_alu instid0(VALU_DEP_4) | instskip(NEXT) | instid1(VALU_DEP_4)
	v_fma_f64 v[4:5], v[4:5], v[10:11], v[22:23]
	v_fma_f64 v[2:3], v[2:3], v[10:11], -v[12:13]
	s_delay_alu instid0(VALU_DEP_4) | instskip(NEXT) | instid1(VALU_DEP_4)
	v_add_f64_e32 v[6:7], v[8:9], v[6:7]
	v_add_f64_e32 v[8:9], v[14:15], v[16:17]
	s_delay_alu instid0(VALU_DEP_2) | instskip(NEXT) | instid1(VALU_DEP_2)
	v_add_f64_e32 v[2:3], v[6:7], v[2:3]
	v_add_f64_e32 v[4:5], v[8:9], v[4:5]
	s_delay_alu instid0(VALU_DEP_2) | instskip(NEXT) | instid1(VALU_DEP_2)
	v_add_f64_e64 v[2:3], v[42:43], -v[2:3]
	v_add_f64_e64 v[4:5], v[44:45], -v[4:5]
	scratch_store_b128 off, v[2:5], off offset:160
	v_cmpx_lt_u32_e32 8, v0
	s_cbranch_execz .LBB42_255
; %bb.254:
	scratch_load_b128 v[5:8], off, s48
	v_dual_mov_b32 v2, v1 :: v_dual_mov_b32 v3, v1
	v_mov_b32_e32 v4, v1
	scratch_store_b128 off, v[1:4], off offset:144
	s_wait_loadcnt 0x0
	ds_store_b128 v132, v[5:8]
.LBB42_255:
	s_wait_alu 0xfffe
	s_or_b32 exec_lo, exec_lo, s0
	s_wait_storecnt_dscnt 0x0
	s_barrier_signal -1
	s_barrier_wait -1
	global_inv scope:SCOPE_SE
	s_clause 0x8
	scratch_load_b128 v[2:5], off, off offset:160
	scratch_load_b128 v[6:9], off, off offset:176
	;; [unrolled: 1-line block ×9, first 2 shown]
	ds_load_b128 v[38:41], v1 offset:832
	ds_load_b128 v[42:45], v1 offset:848
	s_clause 0x1
	scratch_load_b128 v[133:136], off, off offset:144
	scratch_load_b128 v[137:140], off, off offset:304
	s_mov_b32 s0, exec_lo
	s_wait_loadcnt_dscnt 0xa01
	v_mul_f64_e32 v[141:142], v[40:41], v[4:5]
	v_mul_f64_e32 v[4:5], v[38:39], v[4:5]
	s_wait_loadcnt_dscnt 0x900
	v_mul_f64_e32 v[145:146], v[42:43], v[8:9]
	v_mul_f64_e32 v[8:9], v[44:45], v[8:9]
	s_delay_alu instid0(VALU_DEP_4) | instskip(NEXT) | instid1(VALU_DEP_4)
	v_fma_f64 v[147:148], v[38:39], v[2:3], -v[141:142]
	v_fma_f64 v[149:150], v[40:41], v[2:3], v[4:5]
	ds_load_b128 v[2:5], v1 offset:864
	ds_load_b128 v[141:144], v1 offset:880
	scratch_load_b128 v[38:41], off, off offset:320
	v_fma_f64 v[44:45], v[44:45], v[6:7], v[145:146]
	v_fma_f64 v[42:43], v[42:43], v[6:7], -v[8:9]
	scratch_load_b128 v[6:9], off, off offset:336
	s_wait_loadcnt_dscnt 0xa01
	v_mul_f64_e32 v[151:152], v[2:3], v[12:13]
	v_mul_f64_e32 v[12:13], v[4:5], v[12:13]
	v_add_f64_e32 v[145:146], 0, v[147:148]
	v_add_f64_e32 v[147:148], 0, v[149:150]
	s_wait_loadcnt_dscnt 0x900
	v_mul_f64_e32 v[149:150], v[141:142], v[16:17]
	v_mul_f64_e32 v[16:17], v[143:144], v[16:17]
	v_fma_f64 v[151:152], v[4:5], v[10:11], v[151:152]
	v_fma_f64 v[153:154], v[2:3], v[10:11], -v[12:13]
	ds_load_b128 v[2:5], v1 offset:896
	scratch_load_b128 v[10:13], off, off offset:352
	v_add_f64_e32 v[145:146], v[145:146], v[42:43]
	v_add_f64_e32 v[147:148], v[147:148], v[44:45]
	ds_load_b128 v[42:45], v1 offset:912
	v_fma_f64 v[143:144], v[143:144], v[14:15], v[149:150]
	v_fma_f64 v[141:142], v[141:142], v[14:15], -v[16:17]
	scratch_load_b128 v[14:17], off, off offset:368
	s_wait_loadcnt_dscnt 0xa01
	v_mul_f64_e32 v[155:156], v[2:3], v[20:21]
	v_mul_f64_e32 v[20:21], v[4:5], v[20:21]
	s_wait_loadcnt_dscnt 0x900
	v_mul_f64_e32 v[149:150], v[42:43], v[24:25]
	v_mul_f64_e32 v[24:25], v[44:45], v[24:25]
	v_add_f64_e32 v[145:146], v[145:146], v[153:154]
	v_add_f64_e32 v[147:148], v[147:148], v[151:152]
	v_fma_f64 v[151:152], v[4:5], v[18:19], v[155:156]
	v_fma_f64 v[153:154], v[2:3], v[18:19], -v[20:21]
	ds_load_b128 v[2:5], v1 offset:928
	scratch_load_b128 v[18:21], off, off offset:384
	v_fma_f64 v[44:45], v[44:45], v[22:23], v[149:150]
	v_fma_f64 v[42:43], v[42:43], v[22:23], -v[24:25]
	scratch_load_b128 v[22:25], off, off offset:400
	v_add_f64_e32 v[145:146], v[145:146], v[141:142]
	v_add_f64_e32 v[147:148], v[147:148], v[143:144]
	ds_load_b128 v[141:144], v1 offset:944
	s_wait_loadcnt_dscnt 0xa01
	v_mul_f64_e32 v[155:156], v[2:3], v[28:29]
	v_mul_f64_e32 v[28:29], v[4:5], v[28:29]
	s_wait_loadcnt_dscnt 0x900
	v_mul_f64_e32 v[149:150], v[141:142], v[32:33]
	v_mul_f64_e32 v[32:33], v[143:144], v[32:33]
	v_add_f64_e32 v[145:146], v[145:146], v[153:154]
	v_add_f64_e32 v[147:148], v[147:148], v[151:152]
	v_fma_f64 v[151:152], v[4:5], v[26:27], v[155:156]
	v_fma_f64 v[153:154], v[2:3], v[26:27], -v[28:29]
	ds_load_b128 v[2:5], v1 offset:960
	scratch_load_b128 v[26:29], off, off offset:416
	v_fma_f64 v[143:144], v[143:144], v[30:31], v[149:150]
	v_fma_f64 v[141:142], v[141:142], v[30:31], -v[32:33]
	scratch_load_b128 v[30:33], off, off offset:432
	v_add_f64_e32 v[145:146], v[145:146], v[42:43]
	v_add_f64_e32 v[147:148], v[147:148], v[44:45]
	ds_load_b128 v[42:45], v1 offset:976
	s_wait_loadcnt_dscnt 0xa01
	v_mul_f64_e32 v[155:156], v[2:3], v[36:37]
	v_mul_f64_e32 v[36:37], v[4:5], v[36:37]
	s_wait_loadcnt_dscnt 0x800
	v_mul_f64_e32 v[149:150], v[42:43], v[139:140]
	v_add_f64_e32 v[145:146], v[145:146], v[153:154]
	v_add_f64_e32 v[147:148], v[147:148], v[151:152]
	v_mul_f64_e32 v[151:152], v[44:45], v[139:140]
	v_fma_f64 v[153:154], v[4:5], v[34:35], v[155:156]
	v_fma_f64 v[155:156], v[2:3], v[34:35], -v[36:37]
	ds_load_b128 v[2:5], v1 offset:992
	scratch_load_b128 v[34:37], off, off offset:448
	v_fma_f64 v[44:45], v[44:45], v[137:138], v[149:150]
	v_add_f64_e32 v[145:146], v[145:146], v[141:142]
	v_add_f64_e32 v[143:144], v[147:148], v[143:144]
	ds_load_b128 v[139:142], v1 offset:1008
	v_fma_f64 v[137:138], v[42:43], v[137:138], -v[151:152]
	s_wait_loadcnt_dscnt 0x801
	v_mul_f64_e32 v[147:148], v[2:3], v[40:41]
	v_mul_f64_e32 v[157:158], v[4:5], v[40:41]
	scratch_load_b128 v[40:43], off, off offset:464
	s_wait_loadcnt_dscnt 0x800
	v_mul_f64_e32 v[151:152], v[139:140], v[8:9]
	v_mul_f64_e32 v[8:9], v[141:142], v[8:9]
	v_add_f64_e32 v[145:146], v[145:146], v[155:156]
	v_add_f64_e32 v[143:144], v[143:144], v[153:154]
	v_fma_f64 v[153:154], v[4:5], v[38:39], v[147:148]
	v_fma_f64 v[38:39], v[2:3], v[38:39], -v[157:158]
	ds_load_b128 v[2:5], v1 offset:1024
	ds_load_b128 v[147:150], v1 offset:1040
	v_fma_f64 v[141:142], v[141:142], v[6:7], v[151:152]
	v_fma_f64 v[139:140], v[139:140], v[6:7], -v[8:9]
	scratch_load_b128 v[6:9], off, off offset:496
	v_add_f64_e32 v[137:138], v[145:146], v[137:138]
	v_add_f64_e32 v[44:45], v[143:144], v[44:45]
	scratch_load_b128 v[143:146], off, off offset:480
	s_wait_loadcnt_dscnt 0x901
	v_mul_f64_e32 v[155:156], v[2:3], v[12:13]
	v_mul_f64_e32 v[12:13], v[4:5], v[12:13]
	s_wait_loadcnt_dscnt 0x800
	v_mul_f64_e32 v[151:152], v[147:148], v[16:17]
	v_mul_f64_e32 v[16:17], v[149:150], v[16:17]
	v_add_f64_e32 v[38:39], v[137:138], v[38:39]
	v_add_f64_e32 v[44:45], v[44:45], v[153:154]
	v_fma_f64 v[153:154], v[4:5], v[10:11], v[155:156]
	v_fma_f64 v[155:156], v[2:3], v[10:11], -v[12:13]
	ds_load_b128 v[2:5], v1 offset:1056
	scratch_load_b128 v[10:13], off, off offset:512
	v_fma_f64 v[149:150], v[149:150], v[14:15], v[151:152]
	v_fma_f64 v[147:148], v[147:148], v[14:15], -v[16:17]
	scratch_load_b128 v[14:17], off, off offset:528
	v_add_f64_e32 v[38:39], v[38:39], v[139:140]
	v_add_f64_e32 v[44:45], v[44:45], v[141:142]
	ds_load_b128 v[137:140], v1 offset:1072
	s_wait_loadcnt_dscnt 0x901
	v_mul_f64_e32 v[141:142], v[2:3], v[20:21]
	v_mul_f64_e32 v[20:21], v[4:5], v[20:21]
	s_wait_loadcnt_dscnt 0x800
	v_mul_f64_e32 v[151:152], v[137:138], v[24:25]
	v_mul_f64_e32 v[24:25], v[139:140], v[24:25]
	v_add_f64_e32 v[38:39], v[38:39], v[155:156]
	v_add_f64_e32 v[44:45], v[44:45], v[153:154]
	v_fma_f64 v[141:142], v[4:5], v[18:19], v[141:142]
	v_fma_f64 v[153:154], v[2:3], v[18:19], -v[20:21]
	ds_load_b128 v[2:5], v1 offset:1088
	scratch_load_b128 v[18:21], off, off offset:544
	v_fma_f64 v[139:140], v[139:140], v[22:23], v[151:152]
	v_fma_f64 v[137:138], v[137:138], v[22:23], -v[24:25]
	scratch_load_b128 v[22:25], off, off offset:560
	v_add_f64_e32 v[38:39], v[38:39], v[147:148]
	v_add_f64_e32 v[44:45], v[44:45], v[149:150]
	ds_load_b128 v[147:150], v1 offset:1104
	s_wait_loadcnt_dscnt 0x901
	v_mul_f64_e32 v[155:156], v[2:3], v[28:29]
	v_mul_f64_e32 v[28:29], v[4:5], v[28:29]
	v_add_f64_e32 v[38:39], v[38:39], v[153:154]
	v_add_f64_e32 v[44:45], v[44:45], v[141:142]
	s_wait_loadcnt_dscnt 0x800
	v_mul_f64_e32 v[141:142], v[147:148], v[32:33]
	v_mul_f64_e32 v[32:33], v[149:150], v[32:33]
	v_fma_f64 v[151:152], v[4:5], v[26:27], v[155:156]
	v_fma_f64 v[153:154], v[2:3], v[26:27], -v[28:29]
	ds_load_b128 v[2:5], v1 offset:1120
	scratch_load_b128 v[26:29], off, off offset:576
	v_add_f64_e32 v[38:39], v[38:39], v[137:138]
	v_add_f64_e32 v[44:45], v[44:45], v[139:140]
	ds_load_b128 v[137:140], v1 offset:1136
	s_wait_loadcnt_dscnt 0x801
	v_mul_f64_e32 v[155:156], v[2:3], v[36:37]
	v_mul_f64_e32 v[36:37], v[4:5], v[36:37]
	v_fma_f64 v[141:142], v[149:150], v[30:31], v[141:142]
	v_fma_f64 v[147:148], v[147:148], v[30:31], -v[32:33]
	scratch_load_b128 v[30:33], off, off offset:592
	s_wait_loadcnt_dscnt 0x800
	v_mul_f64_e32 v[149:150], v[137:138], v[42:43]
	v_add_f64_e32 v[38:39], v[38:39], v[153:154]
	v_add_f64_e32 v[44:45], v[44:45], v[151:152]
	v_mul_f64_e32 v[151:152], v[139:140], v[42:43]
	v_fma_f64 v[153:154], v[4:5], v[34:35], v[155:156]
	v_fma_f64 v[155:156], v[2:3], v[34:35], -v[36:37]
	ds_load_b128 v[2:5], v1 offset:1152
	scratch_load_b128 v[34:37], off, off offset:608
	v_fma_f64 v[139:140], v[139:140], v[40:41], v[149:150]
	v_add_f64_e32 v[38:39], v[38:39], v[147:148]
	v_add_f64_e32 v[141:142], v[44:45], v[141:142]
	ds_load_b128 v[42:45], v1 offset:1168
	v_fma_f64 v[137:138], v[137:138], v[40:41], -v[151:152]
	s_wait_loadcnt_dscnt 0x701
	v_mul_f64_e32 v[147:148], v[2:3], v[145:146]
	v_mul_f64_e32 v[145:146], v[4:5], v[145:146]
	s_wait_dscnt 0x0
	v_mul_f64_e32 v[151:152], v[42:43], v[8:9]
	v_mul_f64_e32 v[8:9], v[44:45], v[8:9]
	v_add_f64_e32 v[149:150], v[38:39], v[155:156]
	v_add_f64_e32 v[141:142], v[141:142], v[153:154]
	scratch_load_b128 v[38:41], off, off offset:624
	v_fma_f64 v[147:148], v[4:5], v[143:144], v[147:148]
	v_fma_f64 v[145:146], v[2:3], v[143:144], -v[145:146]
	ds_load_b128 v[2:5], v1 offset:1184
	v_fma_f64 v[44:45], v[44:45], v[6:7], v[151:152]
	v_fma_f64 v[42:43], v[42:43], v[6:7], -v[8:9]
	scratch_load_b128 v[6:9], off, off offset:656
	v_add_f64_e32 v[149:150], v[149:150], v[137:138]
	v_add_f64_e32 v[153:154], v[141:142], v[139:140]
	scratch_load_b128 v[137:140], off, off offset:640
	ds_load_b128 v[141:144], v1 offset:1200
	s_wait_loadcnt_dscnt 0x901
	v_mul_f64_e32 v[155:156], v[2:3], v[12:13]
	v_mul_f64_e32 v[12:13], v[4:5], v[12:13]
	v_add_f64_e32 v[145:146], v[149:150], v[145:146]
	v_add_f64_e32 v[147:148], v[153:154], v[147:148]
	s_wait_loadcnt_dscnt 0x800
	v_mul_f64_e32 v[149:150], v[141:142], v[16:17]
	v_mul_f64_e32 v[16:17], v[143:144], v[16:17]
	v_fma_f64 v[151:152], v[4:5], v[10:11], v[155:156]
	v_fma_f64 v[153:154], v[2:3], v[10:11], -v[12:13]
	ds_load_b128 v[2:5], v1 offset:1216
	scratch_load_b128 v[10:13], off, off offset:672
	v_add_f64_e32 v[145:146], v[145:146], v[42:43]
	v_add_f64_e32 v[147:148], v[147:148], v[44:45]
	ds_load_b128 v[42:45], v1 offset:1232
	s_wait_loadcnt_dscnt 0x801
	v_mul_f64_e32 v[155:156], v[2:3], v[20:21]
	v_mul_f64_e32 v[20:21], v[4:5], v[20:21]
	v_fma_f64 v[143:144], v[143:144], v[14:15], v[149:150]
	v_fma_f64 v[141:142], v[141:142], v[14:15], -v[16:17]
	scratch_load_b128 v[14:17], off, off offset:688
	s_wait_loadcnt_dscnt 0x800
	v_mul_f64_e32 v[149:150], v[42:43], v[24:25]
	v_mul_f64_e32 v[24:25], v[44:45], v[24:25]
	v_add_f64_e32 v[145:146], v[145:146], v[153:154]
	v_add_f64_e32 v[147:148], v[147:148], v[151:152]
	v_fma_f64 v[151:152], v[4:5], v[18:19], v[155:156]
	v_fma_f64 v[153:154], v[2:3], v[18:19], -v[20:21]
	ds_load_b128 v[2:5], v1 offset:1248
	ds_load_b128 v[18:21], v1 offset:1264
	v_fma_f64 v[44:45], v[44:45], v[22:23], v[149:150]
	v_fma_f64 v[22:23], v[42:43], v[22:23], -v[24:25]
	v_add_f64_e32 v[141:142], v[145:146], v[141:142]
	v_add_f64_e32 v[143:144], v[147:148], v[143:144]
	s_wait_loadcnt_dscnt 0x701
	v_mul_f64_e32 v[145:146], v[2:3], v[28:29]
	v_mul_f64_e32 v[28:29], v[4:5], v[28:29]
	s_delay_alu instid0(VALU_DEP_4) | instskip(NEXT) | instid1(VALU_DEP_4)
	v_add_f64_e32 v[24:25], v[141:142], v[153:154]
	v_add_f64_e32 v[42:43], v[143:144], v[151:152]
	s_wait_loadcnt_dscnt 0x600
	v_mul_f64_e32 v[141:142], v[18:19], v[32:33]
	v_mul_f64_e32 v[32:33], v[20:21], v[32:33]
	v_fma_f64 v[143:144], v[4:5], v[26:27], v[145:146]
	v_fma_f64 v[26:27], v[2:3], v[26:27], -v[28:29]
	v_add_f64_e32 v[28:29], v[24:25], v[22:23]
	v_add_f64_e32 v[42:43], v[42:43], v[44:45]
	ds_load_b128 v[2:5], v1 offset:1280
	ds_load_b128 v[22:25], v1 offset:1296
	v_fma_f64 v[20:21], v[20:21], v[30:31], v[141:142]
	v_fma_f64 v[18:19], v[18:19], v[30:31], -v[32:33]
	s_wait_loadcnt_dscnt 0x501
	v_mul_f64_e32 v[44:45], v[2:3], v[36:37]
	v_mul_f64_e32 v[36:37], v[4:5], v[36:37]
	v_add_f64_e32 v[26:27], v[28:29], v[26:27]
	v_add_f64_e32 v[28:29], v[42:43], v[143:144]
	s_wait_loadcnt_dscnt 0x400
	v_mul_f64_e32 v[30:31], v[22:23], v[40:41]
	v_mul_f64_e32 v[32:33], v[24:25], v[40:41]
	v_fma_f64 v[40:41], v[4:5], v[34:35], v[44:45]
	v_fma_f64 v[34:35], v[2:3], v[34:35], -v[36:37]
	v_add_f64_e32 v[26:27], v[26:27], v[18:19]
	v_add_f64_e32 v[28:29], v[28:29], v[20:21]
	ds_load_b128 v[2:5], v1 offset:1312
	ds_load_b128 v[18:21], v1 offset:1328
	v_fma_f64 v[24:25], v[24:25], v[38:39], v[30:31]
	v_fma_f64 v[22:23], v[22:23], v[38:39], -v[32:33]
	s_wait_loadcnt_dscnt 0x201
	v_mul_f64_e32 v[36:37], v[2:3], v[139:140]
	v_mul_f64_e32 v[42:43], v[4:5], v[139:140]
	s_wait_dscnt 0x0
	v_mul_f64_e32 v[30:31], v[18:19], v[8:9]
	v_mul_f64_e32 v[8:9], v[20:21], v[8:9]
	v_add_f64_e32 v[26:27], v[26:27], v[34:35]
	v_add_f64_e32 v[28:29], v[28:29], v[40:41]
	v_fma_f64 v[32:33], v[4:5], v[137:138], v[36:37]
	v_fma_f64 v[34:35], v[2:3], v[137:138], -v[42:43]
	v_fma_f64 v[20:21], v[20:21], v[6:7], v[30:31]
	v_fma_f64 v[6:7], v[18:19], v[6:7], -v[8:9]
	v_add_f64_e32 v[26:27], v[26:27], v[22:23]
	v_add_f64_e32 v[28:29], v[28:29], v[24:25]
	ds_load_b128 v[2:5], v1 offset:1344
	ds_load_b128 v[22:25], v1 offset:1360
	s_wait_loadcnt_dscnt 0x101
	v_mul_f64_e32 v[36:37], v[2:3], v[12:13]
	v_mul_f64_e32 v[12:13], v[4:5], v[12:13]
	v_add_f64_e32 v[8:9], v[26:27], v[34:35]
	v_add_f64_e32 v[18:19], v[28:29], v[32:33]
	s_wait_loadcnt_dscnt 0x0
	v_mul_f64_e32 v[26:27], v[22:23], v[16:17]
	v_mul_f64_e32 v[16:17], v[24:25], v[16:17]
	v_fma_f64 v[4:5], v[4:5], v[10:11], v[36:37]
	v_fma_f64 v[1:2], v[2:3], v[10:11], -v[12:13]
	v_add_f64_e32 v[6:7], v[8:9], v[6:7]
	v_add_f64_e32 v[8:9], v[18:19], v[20:21]
	v_fma_f64 v[10:11], v[24:25], v[14:15], v[26:27]
	v_fma_f64 v[12:13], v[22:23], v[14:15], -v[16:17]
	s_delay_alu instid0(VALU_DEP_4) | instskip(NEXT) | instid1(VALU_DEP_4)
	v_add_f64_e32 v[1:2], v[6:7], v[1:2]
	v_add_f64_e32 v[3:4], v[8:9], v[4:5]
	s_delay_alu instid0(VALU_DEP_2) | instskip(NEXT) | instid1(VALU_DEP_2)
	v_add_f64_e32 v[1:2], v[1:2], v[12:13]
	v_add_f64_e32 v[3:4], v[3:4], v[10:11]
	s_delay_alu instid0(VALU_DEP_2) | instskip(NEXT) | instid1(VALU_DEP_2)
	v_add_f64_e64 v[1:2], v[133:134], -v[1:2]
	v_add_f64_e64 v[3:4], v[135:136], -v[3:4]
	scratch_store_b128 off, v[1:4], off offset:144
	v_cmpx_lt_u32_e32 7, v0
	s_cbranch_execz .LBB42_257
; %bb.256:
	scratch_load_b128 v[1:4], off, s49
	v_mov_b32_e32 v5, 0
	s_delay_alu instid0(VALU_DEP_1)
	v_dual_mov_b32 v6, v5 :: v_dual_mov_b32 v7, v5
	v_mov_b32_e32 v8, v5
	scratch_store_b128 off, v[5:8], off offset:128
	s_wait_loadcnt 0x0
	ds_store_b128 v132, v[1:4]
.LBB42_257:
	s_wait_alu 0xfffe
	s_or_b32 exec_lo, exec_lo, s0
	s_wait_storecnt_dscnt 0x0
	s_barrier_signal -1
	s_barrier_wait -1
	global_inv scope:SCOPE_SE
	s_clause 0x7
	scratch_load_b128 v[2:5], off, off offset:144
	scratch_load_b128 v[6:9], off, off offset:160
	;; [unrolled: 1-line block ×8, first 2 shown]
	v_mov_b32_e32 v1, 0
	s_mov_b32 s0, exec_lo
	ds_load_b128 v[38:41], v1 offset:816
	s_clause 0x1
	scratch_load_b128 v[34:37], off, off offset:272
	scratch_load_b128 v[42:45], off, off offset:128
	ds_load_b128 v[133:136], v1 offset:832
	scratch_load_b128 v[137:140], off, off offset:288
	s_wait_loadcnt_dscnt 0xa01
	v_mul_f64_e32 v[141:142], v[40:41], v[4:5]
	v_mul_f64_e32 v[4:5], v[38:39], v[4:5]
	s_delay_alu instid0(VALU_DEP_2) | instskip(NEXT) | instid1(VALU_DEP_2)
	v_fma_f64 v[147:148], v[38:39], v[2:3], -v[141:142]
	v_fma_f64 v[149:150], v[40:41], v[2:3], v[4:5]
	ds_load_b128 v[2:5], v1 offset:848
	s_wait_loadcnt_dscnt 0x901
	v_mul_f64_e32 v[145:146], v[133:134], v[8:9]
	v_mul_f64_e32 v[8:9], v[135:136], v[8:9]
	scratch_load_b128 v[38:41], off, off offset:304
	ds_load_b128 v[141:144], v1 offset:864
	s_wait_loadcnt_dscnt 0x901
	v_mul_f64_e32 v[151:152], v[2:3], v[12:13]
	v_mul_f64_e32 v[12:13], v[4:5], v[12:13]
	v_fma_f64 v[135:136], v[135:136], v[6:7], v[145:146]
	v_fma_f64 v[133:134], v[133:134], v[6:7], -v[8:9]
	v_add_f64_e32 v[145:146], 0, v[147:148]
	v_add_f64_e32 v[147:148], 0, v[149:150]
	scratch_load_b128 v[6:9], off, off offset:320
	v_fma_f64 v[151:152], v[4:5], v[10:11], v[151:152]
	v_fma_f64 v[153:154], v[2:3], v[10:11], -v[12:13]
	ds_load_b128 v[2:5], v1 offset:880
	s_wait_loadcnt_dscnt 0x901
	v_mul_f64_e32 v[149:150], v[141:142], v[16:17]
	v_mul_f64_e32 v[16:17], v[143:144], v[16:17]
	scratch_load_b128 v[10:13], off, off offset:336
	v_add_f64_e32 v[145:146], v[145:146], v[133:134]
	v_add_f64_e32 v[147:148], v[147:148], v[135:136]
	s_wait_loadcnt_dscnt 0x900
	v_mul_f64_e32 v[155:156], v[2:3], v[20:21]
	v_mul_f64_e32 v[20:21], v[4:5], v[20:21]
	ds_load_b128 v[133:136], v1 offset:896
	v_fma_f64 v[143:144], v[143:144], v[14:15], v[149:150]
	v_fma_f64 v[141:142], v[141:142], v[14:15], -v[16:17]
	scratch_load_b128 v[14:17], off, off offset:352
	v_add_f64_e32 v[145:146], v[145:146], v[153:154]
	v_add_f64_e32 v[147:148], v[147:148], v[151:152]
	v_fma_f64 v[151:152], v[4:5], v[18:19], v[155:156]
	v_fma_f64 v[153:154], v[2:3], v[18:19], -v[20:21]
	ds_load_b128 v[2:5], v1 offset:912
	s_wait_loadcnt_dscnt 0x901
	v_mul_f64_e32 v[149:150], v[133:134], v[24:25]
	v_mul_f64_e32 v[24:25], v[135:136], v[24:25]
	scratch_load_b128 v[18:21], off, off offset:368
	s_wait_loadcnt_dscnt 0x900
	v_mul_f64_e32 v[155:156], v[2:3], v[28:29]
	v_mul_f64_e32 v[28:29], v[4:5], v[28:29]
	v_add_f64_e32 v[145:146], v[145:146], v[141:142]
	v_add_f64_e32 v[147:148], v[147:148], v[143:144]
	ds_load_b128 v[141:144], v1 offset:928
	v_fma_f64 v[135:136], v[135:136], v[22:23], v[149:150]
	v_fma_f64 v[133:134], v[133:134], v[22:23], -v[24:25]
	scratch_load_b128 v[22:25], off, off offset:384
	v_add_f64_e32 v[145:146], v[145:146], v[153:154]
	v_add_f64_e32 v[147:148], v[147:148], v[151:152]
	v_fma_f64 v[151:152], v[4:5], v[26:27], v[155:156]
	v_fma_f64 v[153:154], v[2:3], v[26:27], -v[28:29]
	ds_load_b128 v[2:5], v1 offset:944
	s_wait_loadcnt_dscnt 0x901
	v_mul_f64_e32 v[149:150], v[141:142], v[32:33]
	v_mul_f64_e32 v[32:33], v[143:144], v[32:33]
	scratch_load_b128 v[26:29], off, off offset:400
	s_wait_loadcnt_dscnt 0x900
	v_mul_f64_e32 v[155:156], v[2:3], v[36:37]
	v_mul_f64_e32 v[36:37], v[4:5], v[36:37]
	v_add_f64_e32 v[145:146], v[145:146], v[133:134]
	v_add_f64_e32 v[147:148], v[147:148], v[135:136]
	ds_load_b128 v[133:136], v1 offset:960
	v_fma_f64 v[143:144], v[143:144], v[30:31], v[149:150]
	v_fma_f64 v[141:142], v[141:142], v[30:31], -v[32:33]
	scratch_load_b128 v[30:33], off, off offset:416
	v_add_f64_e32 v[145:146], v[145:146], v[153:154]
	v_add_f64_e32 v[147:148], v[147:148], v[151:152]
	v_fma_f64 v[153:154], v[4:5], v[34:35], v[155:156]
	v_fma_f64 v[155:156], v[2:3], v[34:35], -v[36:37]
	ds_load_b128 v[2:5], v1 offset:976
	s_wait_loadcnt_dscnt 0x801
	v_mul_f64_e32 v[149:150], v[133:134], v[139:140]
	v_mul_f64_e32 v[151:152], v[135:136], v[139:140]
	scratch_load_b128 v[34:37], off, off offset:432
	v_add_f64_e32 v[145:146], v[145:146], v[141:142]
	v_add_f64_e32 v[143:144], v[147:148], v[143:144]
	ds_load_b128 v[139:142], v1 offset:992
	v_fma_f64 v[149:150], v[135:136], v[137:138], v[149:150]
	v_fma_f64 v[137:138], v[133:134], v[137:138], -v[151:152]
	scratch_load_b128 v[133:136], off, off offset:448
	s_wait_loadcnt_dscnt 0x901
	v_mul_f64_e32 v[147:148], v[2:3], v[40:41]
	v_mul_f64_e32 v[40:41], v[4:5], v[40:41]
	v_add_f64_e32 v[145:146], v[145:146], v[155:156]
	v_add_f64_e32 v[143:144], v[143:144], v[153:154]
	s_delay_alu instid0(VALU_DEP_4) | instskip(NEXT) | instid1(VALU_DEP_4)
	v_fma_f64 v[147:148], v[4:5], v[38:39], v[147:148]
	v_fma_f64 v[153:154], v[2:3], v[38:39], -v[40:41]
	ds_load_b128 v[2:5], v1 offset:1008
	s_wait_loadcnt_dscnt 0x801
	v_mul_f64_e32 v[151:152], v[139:140], v[8:9]
	v_mul_f64_e32 v[8:9], v[141:142], v[8:9]
	scratch_load_b128 v[38:41], off, off offset:464
	s_wait_loadcnt_dscnt 0x800
	v_mul_f64_e32 v[155:156], v[2:3], v[12:13]
	v_add_f64_e32 v[137:138], v[145:146], v[137:138]
	v_add_f64_e32 v[149:150], v[143:144], v[149:150]
	v_mul_f64_e32 v[12:13], v[4:5], v[12:13]
	ds_load_b128 v[143:146], v1 offset:1024
	v_fma_f64 v[141:142], v[141:142], v[6:7], v[151:152]
	v_fma_f64 v[139:140], v[139:140], v[6:7], -v[8:9]
	scratch_load_b128 v[6:9], off, off offset:480
	v_fma_f64 v[151:152], v[4:5], v[10:11], v[155:156]
	v_add_f64_e32 v[137:138], v[137:138], v[153:154]
	v_add_f64_e32 v[147:148], v[149:150], v[147:148]
	v_fma_f64 v[153:154], v[2:3], v[10:11], -v[12:13]
	ds_load_b128 v[2:5], v1 offset:1040
	s_wait_loadcnt_dscnt 0x801
	v_mul_f64_e32 v[149:150], v[143:144], v[16:17]
	v_mul_f64_e32 v[16:17], v[145:146], v[16:17]
	scratch_load_b128 v[10:13], off, off offset:496
	v_add_f64_e32 v[155:156], v[137:138], v[139:140]
	v_add_f64_e32 v[141:142], v[147:148], v[141:142]
	s_wait_loadcnt_dscnt 0x800
	v_mul_f64_e32 v[147:148], v[2:3], v[20:21]
	v_mul_f64_e32 v[20:21], v[4:5], v[20:21]
	v_fma_f64 v[145:146], v[145:146], v[14:15], v[149:150]
	v_fma_f64 v[143:144], v[143:144], v[14:15], -v[16:17]
	ds_load_b128 v[137:140], v1 offset:1056
	scratch_load_b128 v[14:17], off, off offset:512
	v_add_f64_e32 v[149:150], v[155:156], v[153:154]
	v_add_f64_e32 v[141:142], v[141:142], v[151:152]
	v_fma_f64 v[147:148], v[4:5], v[18:19], v[147:148]
	v_fma_f64 v[153:154], v[2:3], v[18:19], -v[20:21]
	ds_load_b128 v[2:5], v1 offset:1072
	s_wait_loadcnt_dscnt 0x801
	v_mul_f64_e32 v[151:152], v[137:138], v[24:25]
	v_mul_f64_e32 v[24:25], v[139:140], v[24:25]
	scratch_load_b128 v[18:21], off, off offset:528
	s_wait_loadcnt_dscnt 0x800
	v_mul_f64_e32 v[155:156], v[2:3], v[28:29]
	v_mul_f64_e32 v[28:29], v[4:5], v[28:29]
	v_add_f64_e32 v[149:150], v[149:150], v[143:144]
	v_add_f64_e32 v[145:146], v[141:142], v[145:146]
	ds_load_b128 v[141:144], v1 offset:1088
	v_fma_f64 v[139:140], v[139:140], v[22:23], v[151:152]
	v_fma_f64 v[137:138], v[137:138], v[22:23], -v[24:25]
	scratch_load_b128 v[22:25], off, off offset:544
	v_fma_f64 v[151:152], v[4:5], v[26:27], v[155:156]
	v_add_f64_e32 v[149:150], v[149:150], v[153:154]
	v_add_f64_e32 v[145:146], v[145:146], v[147:148]
	v_fma_f64 v[153:154], v[2:3], v[26:27], -v[28:29]
	ds_load_b128 v[2:5], v1 offset:1104
	s_wait_loadcnt_dscnt 0x801
	v_mul_f64_e32 v[147:148], v[141:142], v[32:33]
	v_mul_f64_e32 v[32:33], v[143:144], v[32:33]
	scratch_load_b128 v[26:29], off, off offset:560
	s_wait_loadcnt_dscnt 0x800
	v_mul_f64_e32 v[155:156], v[2:3], v[36:37]
	v_mul_f64_e32 v[36:37], v[4:5], v[36:37]
	v_add_f64_e32 v[149:150], v[149:150], v[137:138]
	v_add_f64_e32 v[145:146], v[145:146], v[139:140]
	ds_load_b128 v[137:140], v1 offset:1120
	v_fma_f64 v[143:144], v[143:144], v[30:31], v[147:148]
	v_fma_f64 v[141:142], v[141:142], v[30:31], -v[32:33]
	scratch_load_b128 v[30:33], off, off offset:576
	v_add_f64_e32 v[147:148], v[149:150], v[153:154]
	v_add_f64_e32 v[145:146], v[145:146], v[151:152]
	v_fma_f64 v[151:152], v[4:5], v[34:35], v[155:156]
	v_fma_f64 v[153:154], v[2:3], v[34:35], -v[36:37]
	ds_load_b128 v[2:5], v1 offset:1136
	s_wait_loadcnt_dscnt 0x801
	v_mul_f64_e32 v[149:150], v[137:138], v[135:136]
	v_mul_f64_e32 v[135:136], v[139:140], v[135:136]
	scratch_load_b128 v[34:37], off, off offset:592
	s_wait_loadcnt_dscnt 0x800
	v_mul_f64_e32 v[155:156], v[2:3], v[40:41]
	v_mul_f64_e32 v[40:41], v[4:5], v[40:41]
	v_add_f64_e32 v[147:148], v[147:148], v[141:142]
	v_add_f64_e32 v[145:146], v[145:146], v[143:144]
	ds_load_b128 v[141:144], v1 offset:1152
	v_fma_f64 v[139:140], v[139:140], v[133:134], v[149:150]
	v_fma_f64 v[137:138], v[137:138], v[133:134], -v[135:136]
	scratch_load_b128 v[133:136], off, off offset:608
	v_add_f64_e32 v[147:148], v[147:148], v[153:154]
	v_add_f64_e32 v[145:146], v[145:146], v[151:152]
	v_fma_f64 v[151:152], v[4:5], v[38:39], v[155:156]
	;; [unrolled: 18-line block ×4, first 2 shown]
	v_fma_f64 v[153:154], v[2:3], v[18:19], -v[20:21]
	ds_load_b128 v[2:5], v1 offset:1232
	s_wait_loadcnt_dscnt 0x801
	v_mul_f64_e32 v[149:150], v[141:142], v[24:25]
	v_mul_f64_e32 v[24:25], v[143:144], v[24:25]
	scratch_load_b128 v[18:21], off, off offset:688
	s_wait_loadcnt_dscnt 0x800
	v_mul_f64_e32 v[155:156], v[2:3], v[28:29]
	v_mul_f64_e32 v[28:29], v[4:5], v[28:29]
	v_add_f64_e32 v[147:148], v[147:148], v[137:138]
	v_add_f64_e32 v[145:146], v[145:146], v[139:140]
	ds_load_b128 v[137:140], v1 offset:1248
	v_fma_f64 v[143:144], v[143:144], v[22:23], v[149:150]
	v_fma_f64 v[22:23], v[141:142], v[22:23], -v[24:25]
	v_add_f64_e32 v[24:25], v[147:148], v[153:154]
	v_add_f64_e32 v[141:142], v[145:146], v[151:152]
	s_wait_loadcnt_dscnt 0x700
	v_mul_f64_e32 v[145:146], v[137:138], v[32:33]
	v_mul_f64_e32 v[32:33], v[139:140], v[32:33]
	v_fma_f64 v[147:148], v[4:5], v[26:27], v[155:156]
	v_fma_f64 v[26:27], v[2:3], v[26:27], -v[28:29]
	v_add_f64_e32 v[28:29], v[24:25], v[22:23]
	v_add_f64_e32 v[141:142], v[141:142], v[143:144]
	ds_load_b128 v[2:5], v1 offset:1264
	ds_load_b128 v[22:25], v1 offset:1280
	v_fma_f64 v[139:140], v[139:140], v[30:31], v[145:146]
	v_fma_f64 v[30:31], v[137:138], v[30:31], -v[32:33]
	s_wait_loadcnt_dscnt 0x601
	v_mul_f64_e32 v[143:144], v[2:3], v[36:37]
	v_mul_f64_e32 v[36:37], v[4:5], v[36:37]
	s_wait_loadcnt_dscnt 0x500
	v_mul_f64_e32 v[32:33], v[22:23], v[135:136]
	v_mul_f64_e32 v[135:136], v[24:25], v[135:136]
	v_add_f64_e32 v[26:27], v[28:29], v[26:27]
	v_add_f64_e32 v[28:29], v[141:142], v[147:148]
	v_fma_f64 v[137:138], v[4:5], v[34:35], v[143:144]
	v_fma_f64 v[34:35], v[2:3], v[34:35], -v[36:37]
	v_fma_f64 v[24:25], v[24:25], v[133:134], v[32:33]
	v_fma_f64 v[22:23], v[22:23], v[133:134], -v[135:136]
	v_add_f64_e32 v[30:31], v[26:27], v[30:31]
	v_add_f64_e32 v[36:37], v[28:29], v[139:140]
	ds_load_b128 v[2:5], v1 offset:1296
	ds_load_b128 v[26:29], v1 offset:1312
	s_wait_loadcnt_dscnt 0x401
	v_mul_f64_e32 v[139:140], v[2:3], v[40:41]
	v_mul_f64_e32 v[40:41], v[4:5], v[40:41]
	v_add_f64_e32 v[30:31], v[30:31], v[34:35]
	v_add_f64_e32 v[32:33], v[36:37], v[137:138]
	s_wait_loadcnt_dscnt 0x300
	v_mul_f64_e32 v[34:35], v[26:27], v[8:9]
	v_mul_f64_e32 v[8:9], v[28:29], v[8:9]
	v_fma_f64 v[36:37], v[4:5], v[38:39], v[139:140]
	v_fma_f64 v[38:39], v[2:3], v[38:39], -v[40:41]
	v_add_f64_e32 v[30:31], v[30:31], v[22:23]
	v_add_f64_e32 v[32:33], v[32:33], v[24:25]
	ds_load_b128 v[2:5], v1 offset:1328
	ds_load_b128 v[22:25], v1 offset:1344
	v_fma_f64 v[28:29], v[28:29], v[6:7], v[34:35]
	v_fma_f64 v[6:7], v[26:27], v[6:7], -v[8:9]
	s_wait_loadcnt_dscnt 0x201
	v_mul_f64_e32 v[40:41], v[2:3], v[12:13]
	v_mul_f64_e32 v[12:13], v[4:5], v[12:13]
	v_add_f64_e32 v[8:9], v[30:31], v[38:39]
	v_add_f64_e32 v[26:27], v[32:33], v[36:37]
	s_wait_loadcnt_dscnt 0x100
	v_mul_f64_e32 v[30:31], v[22:23], v[16:17]
	v_mul_f64_e32 v[16:17], v[24:25], v[16:17]
	v_fma_f64 v[32:33], v[4:5], v[10:11], v[40:41]
	v_fma_f64 v[10:11], v[2:3], v[10:11], -v[12:13]
	ds_load_b128 v[2:5], v1 offset:1360
	v_add_f64_e32 v[6:7], v[8:9], v[6:7]
	v_add_f64_e32 v[8:9], v[26:27], v[28:29]
	v_fma_f64 v[24:25], v[24:25], v[14:15], v[30:31]
	v_fma_f64 v[14:15], v[22:23], v[14:15], -v[16:17]
	s_wait_loadcnt_dscnt 0x0
	v_mul_f64_e32 v[12:13], v[2:3], v[20:21]
	v_mul_f64_e32 v[20:21], v[4:5], v[20:21]
	v_add_f64_e32 v[6:7], v[6:7], v[10:11]
	v_add_f64_e32 v[8:9], v[8:9], v[32:33]
	s_delay_alu instid0(VALU_DEP_4) | instskip(NEXT) | instid1(VALU_DEP_4)
	v_fma_f64 v[4:5], v[4:5], v[18:19], v[12:13]
	v_fma_f64 v[2:3], v[2:3], v[18:19], -v[20:21]
	s_delay_alu instid0(VALU_DEP_4) | instskip(NEXT) | instid1(VALU_DEP_4)
	v_add_f64_e32 v[6:7], v[6:7], v[14:15]
	v_add_f64_e32 v[8:9], v[8:9], v[24:25]
	s_delay_alu instid0(VALU_DEP_2) | instskip(NEXT) | instid1(VALU_DEP_2)
	v_add_f64_e32 v[2:3], v[6:7], v[2:3]
	v_add_f64_e32 v[4:5], v[8:9], v[4:5]
	s_delay_alu instid0(VALU_DEP_2) | instskip(NEXT) | instid1(VALU_DEP_2)
	v_add_f64_e64 v[2:3], v[42:43], -v[2:3]
	v_add_f64_e64 v[4:5], v[44:45], -v[4:5]
	scratch_store_b128 off, v[2:5], off offset:128
	v_cmpx_lt_u32_e32 6, v0
	s_cbranch_execz .LBB42_259
; %bb.258:
	scratch_load_b128 v[5:8], off, s50
	v_dual_mov_b32 v2, v1 :: v_dual_mov_b32 v3, v1
	v_mov_b32_e32 v4, v1
	scratch_store_b128 off, v[1:4], off offset:112
	s_wait_loadcnt 0x0
	ds_store_b128 v132, v[5:8]
.LBB42_259:
	s_wait_alu 0xfffe
	s_or_b32 exec_lo, exec_lo, s0
	s_wait_storecnt_dscnt 0x0
	s_barrier_signal -1
	s_barrier_wait -1
	global_inv scope:SCOPE_SE
	s_clause 0x8
	scratch_load_b128 v[2:5], off, off offset:128
	scratch_load_b128 v[6:9], off, off offset:144
	;; [unrolled: 1-line block ×9, first 2 shown]
	ds_load_b128 v[38:41], v1 offset:800
	ds_load_b128 v[42:45], v1 offset:816
	s_clause 0x1
	scratch_load_b128 v[133:136], off, off offset:112
	scratch_load_b128 v[137:140], off, off offset:272
	s_mov_b32 s0, exec_lo
	s_wait_loadcnt_dscnt 0xa01
	v_mul_f64_e32 v[141:142], v[40:41], v[4:5]
	v_mul_f64_e32 v[4:5], v[38:39], v[4:5]
	s_wait_loadcnt_dscnt 0x900
	v_mul_f64_e32 v[145:146], v[42:43], v[8:9]
	v_mul_f64_e32 v[8:9], v[44:45], v[8:9]
	s_delay_alu instid0(VALU_DEP_4) | instskip(NEXT) | instid1(VALU_DEP_4)
	v_fma_f64 v[147:148], v[38:39], v[2:3], -v[141:142]
	v_fma_f64 v[149:150], v[40:41], v[2:3], v[4:5]
	ds_load_b128 v[2:5], v1 offset:832
	ds_load_b128 v[141:144], v1 offset:848
	scratch_load_b128 v[38:41], off, off offset:288
	v_fma_f64 v[44:45], v[44:45], v[6:7], v[145:146]
	v_fma_f64 v[42:43], v[42:43], v[6:7], -v[8:9]
	scratch_load_b128 v[6:9], off, off offset:304
	s_wait_loadcnt_dscnt 0xa01
	v_mul_f64_e32 v[151:152], v[2:3], v[12:13]
	v_mul_f64_e32 v[12:13], v[4:5], v[12:13]
	v_add_f64_e32 v[145:146], 0, v[147:148]
	v_add_f64_e32 v[147:148], 0, v[149:150]
	s_wait_loadcnt_dscnt 0x900
	v_mul_f64_e32 v[149:150], v[141:142], v[16:17]
	v_mul_f64_e32 v[16:17], v[143:144], v[16:17]
	v_fma_f64 v[151:152], v[4:5], v[10:11], v[151:152]
	v_fma_f64 v[153:154], v[2:3], v[10:11], -v[12:13]
	ds_load_b128 v[2:5], v1 offset:864
	scratch_load_b128 v[10:13], off, off offset:320
	v_add_f64_e32 v[145:146], v[145:146], v[42:43]
	v_add_f64_e32 v[147:148], v[147:148], v[44:45]
	ds_load_b128 v[42:45], v1 offset:880
	v_fma_f64 v[143:144], v[143:144], v[14:15], v[149:150]
	v_fma_f64 v[141:142], v[141:142], v[14:15], -v[16:17]
	scratch_load_b128 v[14:17], off, off offset:336
	s_wait_loadcnt_dscnt 0xa01
	v_mul_f64_e32 v[155:156], v[2:3], v[20:21]
	v_mul_f64_e32 v[20:21], v[4:5], v[20:21]
	s_wait_loadcnt_dscnt 0x900
	v_mul_f64_e32 v[149:150], v[42:43], v[24:25]
	v_mul_f64_e32 v[24:25], v[44:45], v[24:25]
	v_add_f64_e32 v[145:146], v[145:146], v[153:154]
	v_add_f64_e32 v[147:148], v[147:148], v[151:152]
	v_fma_f64 v[151:152], v[4:5], v[18:19], v[155:156]
	v_fma_f64 v[153:154], v[2:3], v[18:19], -v[20:21]
	ds_load_b128 v[2:5], v1 offset:896
	scratch_load_b128 v[18:21], off, off offset:352
	v_fma_f64 v[44:45], v[44:45], v[22:23], v[149:150]
	v_fma_f64 v[42:43], v[42:43], v[22:23], -v[24:25]
	scratch_load_b128 v[22:25], off, off offset:368
	v_add_f64_e32 v[145:146], v[145:146], v[141:142]
	v_add_f64_e32 v[147:148], v[147:148], v[143:144]
	ds_load_b128 v[141:144], v1 offset:912
	s_wait_loadcnt_dscnt 0xa01
	v_mul_f64_e32 v[155:156], v[2:3], v[28:29]
	v_mul_f64_e32 v[28:29], v[4:5], v[28:29]
	s_wait_loadcnt_dscnt 0x900
	v_mul_f64_e32 v[149:150], v[141:142], v[32:33]
	v_mul_f64_e32 v[32:33], v[143:144], v[32:33]
	v_add_f64_e32 v[145:146], v[145:146], v[153:154]
	v_add_f64_e32 v[147:148], v[147:148], v[151:152]
	v_fma_f64 v[151:152], v[4:5], v[26:27], v[155:156]
	v_fma_f64 v[153:154], v[2:3], v[26:27], -v[28:29]
	ds_load_b128 v[2:5], v1 offset:928
	scratch_load_b128 v[26:29], off, off offset:384
	v_fma_f64 v[143:144], v[143:144], v[30:31], v[149:150]
	v_fma_f64 v[141:142], v[141:142], v[30:31], -v[32:33]
	scratch_load_b128 v[30:33], off, off offset:400
	v_add_f64_e32 v[145:146], v[145:146], v[42:43]
	v_add_f64_e32 v[147:148], v[147:148], v[44:45]
	ds_load_b128 v[42:45], v1 offset:944
	s_wait_loadcnt_dscnt 0xa01
	v_mul_f64_e32 v[155:156], v[2:3], v[36:37]
	v_mul_f64_e32 v[36:37], v[4:5], v[36:37]
	s_wait_loadcnt_dscnt 0x800
	v_mul_f64_e32 v[149:150], v[42:43], v[139:140]
	v_add_f64_e32 v[145:146], v[145:146], v[153:154]
	v_add_f64_e32 v[147:148], v[147:148], v[151:152]
	v_mul_f64_e32 v[151:152], v[44:45], v[139:140]
	v_fma_f64 v[153:154], v[4:5], v[34:35], v[155:156]
	v_fma_f64 v[155:156], v[2:3], v[34:35], -v[36:37]
	ds_load_b128 v[2:5], v1 offset:960
	scratch_load_b128 v[34:37], off, off offset:416
	v_fma_f64 v[44:45], v[44:45], v[137:138], v[149:150]
	v_add_f64_e32 v[145:146], v[145:146], v[141:142]
	v_add_f64_e32 v[143:144], v[147:148], v[143:144]
	ds_load_b128 v[139:142], v1 offset:976
	v_fma_f64 v[137:138], v[42:43], v[137:138], -v[151:152]
	s_wait_loadcnt_dscnt 0x801
	v_mul_f64_e32 v[147:148], v[2:3], v[40:41]
	v_mul_f64_e32 v[157:158], v[4:5], v[40:41]
	scratch_load_b128 v[40:43], off, off offset:432
	s_wait_loadcnt_dscnt 0x800
	v_mul_f64_e32 v[151:152], v[139:140], v[8:9]
	v_mul_f64_e32 v[8:9], v[141:142], v[8:9]
	v_add_f64_e32 v[145:146], v[145:146], v[155:156]
	v_add_f64_e32 v[143:144], v[143:144], v[153:154]
	v_fma_f64 v[153:154], v[4:5], v[38:39], v[147:148]
	v_fma_f64 v[38:39], v[2:3], v[38:39], -v[157:158]
	ds_load_b128 v[2:5], v1 offset:992
	ds_load_b128 v[147:150], v1 offset:1008
	v_fma_f64 v[141:142], v[141:142], v[6:7], v[151:152]
	v_fma_f64 v[139:140], v[139:140], v[6:7], -v[8:9]
	scratch_load_b128 v[6:9], off, off offset:464
	v_add_f64_e32 v[137:138], v[145:146], v[137:138]
	v_add_f64_e32 v[44:45], v[143:144], v[44:45]
	scratch_load_b128 v[143:146], off, off offset:448
	s_wait_loadcnt_dscnt 0x901
	v_mul_f64_e32 v[155:156], v[2:3], v[12:13]
	v_mul_f64_e32 v[12:13], v[4:5], v[12:13]
	s_wait_loadcnt_dscnt 0x800
	v_mul_f64_e32 v[151:152], v[147:148], v[16:17]
	v_mul_f64_e32 v[16:17], v[149:150], v[16:17]
	v_add_f64_e32 v[38:39], v[137:138], v[38:39]
	v_add_f64_e32 v[44:45], v[44:45], v[153:154]
	v_fma_f64 v[153:154], v[4:5], v[10:11], v[155:156]
	v_fma_f64 v[155:156], v[2:3], v[10:11], -v[12:13]
	ds_load_b128 v[2:5], v1 offset:1024
	scratch_load_b128 v[10:13], off, off offset:480
	v_fma_f64 v[149:150], v[149:150], v[14:15], v[151:152]
	v_fma_f64 v[147:148], v[147:148], v[14:15], -v[16:17]
	scratch_load_b128 v[14:17], off, off offset:496
	v_add_f64_e32 v[38:39], v[38:39], v[139:140]
	v_add_f64_e32 v[44:45], v[44:45], v[141:142]
	ds_load_b128 v[137:140], v1 offset:1040
	s_wait_loadcnt_dscnt 0x901
	v_mul_f64_e32 v[141:142], v[2:3], v[20:21]
	v_mul_f64_e32 v[20:21], v[4:5], v[20:21]
	s_wait_loadcnt_dscnt 0x800
	v_mul_f64_e32 v[151:152], v[137:138], v[24:25]
	v_mul_f64_e32 v[24:25], v[139:140], v[24:25]
	v_add_f64_e32 v[38:39], v[38:39], v[155:156]
	v_add_f64_e32 v[44:45], v[44:45], v[153:154]
	v_fma_f64 v[141:142], v[4:5], v[18:19], v[141:142]
	v_fma_f64 v[153:154], v[2:3], v[18:19], -v[20:21]
	ds_load_b128 v[2:5], v1 offset:1056
	scratch_load_b128 v[18:21], off, off offset:512
	v_fma_f64 v[139:140], v[139:140], v[22:23], v[151:152]
	v_fma_f64 v[137:138], v[137:138], v[22:23], -v[24:25]
	scratch_load_b128 v[22:25], off, off offset:528
	v_add_f64_e32 v[38:39], v[38:39], v[147:148]
	v_add_f64_e32 v[44:45], v[44:45], v[149:150]
	ds_load_b128 v[147:150], v1 offset:1072
	s_wait_loadcnt_dscnt 0x901
	v_mul_f64_e32 v[155:156], v[2:3], v[28:29]
	v_mul_f64_e32 v[28:29], v[4:5], v[28:29]
	v_add_f64_e32 v[38:39], v[38:39], v[153:154]
	v_add_f64_e32 v[44:45], v[44:45], v[141:142]
	s_wait_loadcnt_dscnt 0x800
	v_mul_f64_e32 v[141:142], v[147:148], v[32:33]
	v_mul_f64_e32 v[32:33], v[149:150], v[32:33]
	v_fma_f64 v[151:152], v[4:5], v[26:27], v[155:156]
	v_fma_f64 v[153:154], v[2:3], v[26:27], -v[28:29]
	ds_load_b128 v[2:5], v1 offset:1088
	scratch_load_b128 v[26:29], off, off offset:544
	v_add_f64_e32 v[38:39], v[38:39], v[137:138]
	v_add_f64_e32 v[44:45], v[44:45], v[139:140]
	ds_load_b128 v[137:140], v1 offset:1104
	s_wait_loadcnt_dscnt 0x801
	v_mul_f64_e32 v[155:156], v[2:3], v[36:37]
	v_mul_f64_e32 v[36:37], v[4:5], v[36:37]
	v_fma_f64 v[141:142], v[149:150], v[30:31], v[141:142]
	v_fma_f64 v[147:148], v[147:148], v[30:31], -v[32:33]
	scratch_load_b128 v[30:33], off, off offset:560
	s_wait_loadcnt_dscnt 0x800
	v_mul_f64_e32 v[149:150], v[137:138], v[42:43]
	v_add_f64_e32 v[38:39], v[38:39], v[153:154]
	v_add_f64_e32 v[44:45], v[44:45], v[151:152]
	v_mul_f64_e32 v[151:152], v[139:140], v[42:43]
	v_fma_f64 v[153:154], v[4:5], v[34:35], v[155:156]
	v_fma_f64 v[155:156], v[2:3], v[34:35], -v[36:37]
	ds_load_b128 v[2:5], v1 offset:1120
	scratch_load_b128 v[34:37], off, off offset:576
	v_fma_f64 v[139:140], v[139:140], v[40:41], v[149:150]
	v_add_f64_e32 v[38:39], v[38:39], v[147:148]
	v_add_f64_e32 v[141:142], v[44:45], v[141:142]
	ds_load_b128 v[42:45], v1 offset:1136
	v_fma_f64 v[137:138], v[137:138], v[40:41], -v[151:152]
	s_wait_loadcnt_dscnt 0x701
	v_mul_f64_e32 v[147:148], v[2:3], v[145:146]
	v_mul_f64_e32 v[145:146], v[4:5], v[145:146]
	s_wait_dscnt 0x0
	v_mul_f64_e32 v[151:152], v[42:43], v[8:9]
	v_mul_f64_e32 v[8:9], v[44:45], v[8:9]
	v_add_f64_e32 v[149:150], v[38:39], v[155:156]
	v_add_f64_e32 v[141:142], v[141:142], v[153:154]
	scratch_load_b128 v[38:41], off, off offset:592
	v_fma_f64 v[147:148], v[4:5], v[143:144], v[147:148]
	v_fma_f64 v[145:146], v[2:3], v[143:144], -v[145:146]
	ds_load_b128 v[2:5], v1 offset:1152
	v_fma_f64 v[44:45], v[44:45], v[6:7], v[151:152]
	v_fma_f64 v[42:43], v[42:43], v[6:7], -v[8:9]
	scratch_load_b128 v[6:9], off, off offset:624
	v_add_f64_e32 v[149:150], v[149:150], v[137:138]
	v_add_f64_e32 v[153:154], v[141:142], v[139:140]
	scratch_load_b128 v[137:140], off, off offset:608
	ds_load_b128 v[141:144], v1 offset:1168
	s_wait_loadcnt_dscnt 0x901
	v_mul_f64_e32 v[155:156], v[2:3], v[12:13]
	v_mul_f64_e32 v[12:13], v[4:5], v[12:13]
	v_add_f64_e32 v[145:146], v[149:150], v[145:146]
	v_add_f64_e32 v[147:148], v[153:154], v[147:148]
	s_wait_loadcnt_dscnt 0x800
	v_mul_f64_e32 v[149:150], v[141:142], v[16:17]
	v_mul_f64_e32 v[16:17], v[143:144], v[16:17]
	v_fma_f64 v[151:152], v[4:5], v[10:11], v[155:156]
	v_fma_f64 v[153:154], v[2:3], v[10:11], -v[12:13]
	ds_load_b128 v[2:5], v1 offset:1184
	scratch_load_b128 v[10:13], off, off offset:640
	v_add_f64_e32 v[145:146], v[145:146], v[42:43]
	v_add_f64_e32 v[147:148], v[147:148], v[44:45]
	ds_load_b128 v[42:45], v1 offset:1200
	s_wait_loadcnt_dscnt 0x801
	v_mul_f64_e32 v[155:156], v[2:3], v[20:21]
	v_mul_f64_e32 v[20:21], v[4:5], v[20:21]
	v_fma_f64 v[143:144], v[143:144], v[14:15], v[149:150]
	v_fma_f64 v[141:142], v[141:142], v[14:15], -v[16:17]
	scratch_load_b128 v[14:17], off, off offset:656
	s_wait_loadcnt_dscnt 0x800
	v_mul_f64_e32 v[149:150], v[42:43], v[24:25]
	v_mul_f64_e32 v[24:25], v[44:45], v[24:25]
	v_add_f64_e32 v[145:146], v[145:146], v[153:154]
	v_add_f64_e32 v[147:148], v[147:148], v[151:152]
	v_fma_f64 v[151:152], v[4:5], v[18:19], v[155:156]
	v_fma_f64 v[153:154], v[2:3], v[18:19], -v[20:21]
	ds_load_b128 v[2:5], v1 offset:1216
	scratch_load_b128 v[18:21], off, off offset:672
	v_fma_f64 v[44:45], v[44:45], v[22:23], v[149:150]
	v_fma_f64 v[42:43], v[42:43], v[22:23], -v[24:25]
	scratch_load_b128 v[22:25], off, off offset:688
	v_add_f64_e32 v[145:146], v[145:146], v[141:142]
	v_add_f64_e32 v[147:148], v[147:148], v[143:144]
	ds_load_b128 v[141:144], v1 offset:1232
	s_wait_loadcnt_dscnt 0x901
	v_mul_f64_e32 v[155:156], v[2:3], v[28:29]
	v_mul_f64_e32 v[28:29], v[4:5], v[28:29]
	s_wait_loadcnt_dscnt 0x800
	v_mul_f64_e32 v[149:150], v[141:142], v[32:33]
	v_mul_f64_e32 v[32:33], v[143:144], v[32:33]
	v_add_f64_e32 v[145:146], v[145:146], v[153:154]
	v_add_f64_e32 v[147:148], v[147:148], v[151:152]
	v_fma_f64 v[151:152], v[4:5], v[26:27], v[155:156]
	v_fma_f64 v[153:154], v[2:3], v[26:27], -v[28:29]
	ds_load_b128 v[2:5], v1 offset:1248
	ds_load_b128 v[26:29], v1 offset:1264
	v_fma_f64 v[143:144], v[143:144], v[30:31], v[149:150]
	v_fma_f64 v[30:31], v[141:142], v[30:31], -v[32:33]
	v_add_f64_e32 v[42:43], v[145:146], v[42:43]
	v_add_f64_e32 v[44:45], v[147:148], v[44:45]
	s_wait_loadcnt_dscnt 0x701
	v_mul_f64_e32 v[145:146], v[2:3], v[36:37]
	v_mul_f64_e32 v[36:37], v[4:5], v[36:37]
	s_delay_alu instid0(VALU_DEP_4) | instskip(NEXT) | instid1(VALU_DEP_4)
	v_add_f64_e32 v[32:33], v[42:43], v[153:154]
	v_add_f64_e32 v[42:43], v[44:45], v[151:152]
	s_delay_alu instid0(VALU_DEP_4) | instskip(NEXT) | instid1(VALU_DEP_4)
	v_fma_f64 v[141:142], v[4:5], v[34:35], v[145:146]
	v_fma_f64 v[34:35], v[2:3], v[34:35], -v[36:37]
	s_wait_loadcnt_dscnt 0x600
	v_mul_f64_e32 v[44:45], v[26:27], v[40:41]
	v_mul_f64_e32 v[40:41], v[28:29], v[40:41]
	v_add_f64_e32 v[36:37], v[32:33], v[30:31]
	v_add_f64_e32 v[42:43], v[42:43], v[143:144]
	ds_load_b128 v[2:5], v1 offset:1280
	ds_load_b128 v[30:33], v1 offset:1296
	v_fma_f64 v[28:29], v[28:29], v[38:39], v[44:45]
	v_fma_f64 v[26:27], v[26:27], v[38:39], -v[40:41]
	s_wait_loadcnt_dscnt 0x401
	v_mul_f64_e32 v[143:144], v[2:3], v[139:140]
	v_mul_f64_e32 v[139:140], v[4:5], v[139:140]
	s_wait_dscnt 0x0
	v_mul_f64_e32 v[38:39], v[30:31], v[8:9]
	v_mul_f64_e32 v[8:9], v[32:33], v[8:9]
	v_add_f64_e32 v[34:35], v[36:37], v[34:35]
	v_add_f64_e32 v[36:37], v[42:43], v[141:142]
	v_fma_f64 v[40:41], v[4:5], v[137:138], v[143:144]
	v_fma_f64 v[42:43], v[2:3], v[137:138], -v[139:140]
	v_fma_f64 v[32:33], v[32:33], v[6:7], v[38:39]
	v_fma_f64 v[6:7], v[30:31], v[6:7], -v[8:9]
	v_add_f64_e32 v[34:35], v[34:35], v[26:27]
	v_add_f64_e32 v[36:37], v[36:37], v[28:29]
	ds_load_b128 v[2:5], v1 offset:1312
	ds_load_b128 v[26:29], v1 offset:1328
	s_wait_loadcnt_dscnt 0x301
	v_mul_f64_e32 v[44:45], v[2:3], v[12:13]
	v_mul_f64_e32 v[12:13], v[4:5], v[12:13]
	v_add_f64_e32 v[8:9], v[34:35], v[42:43]
	v_add_f64_e32 v[30:31], v[36:37], v[40:41]
	s_wait_loadcnt_dscnt 0x200
	v_mul_f64_e32 v[34:35], v[26:27], v[16:17]
	v_mul_f64_e32 v[16:17], v[28:29], v[16:17]
	v_fma_f64 v[36:37], v[4:5], v[10:11], v[44:45]
	v_fma_f64 v[10:11], v[2:3], v[10:11], -v[12:13]
	v_add_f64_e32 v[12:13], v[8:9], v[6:7]
	v_add_f64_e32 v[30:31], v[30:31], v[32:33]
	ds_load_b128 v[2:5], v1 offset:1344
	ds_load_b128 v[6:9], v1 offset:1360
	v_fma_f64 v[28:29], v[28:29], v[14:15], v[34:35]
	v_fma_f64 v[14:15], v[26:27], v[14:15], -v[16:17]
	s_wait_loadcnt_dscnt 0x101
	v_mul_f64_e32 v[32:33], v[2:3], v[20:21]
	v_mul_f64_e32 v[20:21], v[4:5], v[20:21]
	s_wait_loadcnt_dscnt 0x0
	v_mul_f64_e32 v[16:17], v[6:7], v[24:25]
	v_mul_f64_e32 v[24:25], v[8:9], v[24:25]
	v_add_f64_e32 v[10:11], v[12:13], v[10:11]
	v_add_f64_e32 v[12:13], v[30:31], v[36:37]
	v_fma_f64 v[4:5], v[4:5], v[18:19], v[32:33]
	v_fma_f64 v[1:2], v[2:3], v[18:19], -v[20:21]
	v_fma_f64 v[8:9], v[8:9], v[22:23], v[16:17]
	v_fma_f64 v[6:7], v[6:7], v[22:23], -v[24:25]
	v_add_f64_e32 v[10:11], v[10:11], v[14:15]
	v_add_f64_e32 v[12:13], v[12:13], v[28:29]
	s_delay_alu instid0(VALU_DEP_2) | instskip(NEXT) | instid1(VALU_DEP_2)
	v_add_f64_e32 v[1:2], v[10:11], v[1:2]
	v_add_f64_e32 v[3:4], v[12:13], v[4:5]
	s_delay_alu instid0(VALU_DEP_2) | instskip(NEXT) | instid1(VALU_DEP_2)
	;; [unrolled: 3-line block ×3, first 2 shown]
	v_add_f64_e64 v[1:2], v[133:134], -v[1:2]
	v_add_f64_e64 v[3:4], v[135:136], -v[3:4]
	scratch_store_b128 off, v[1:4], off offset:112
	v_cmpx_lt_u32_e32 5, v0
	s_cbranch_execz .LBB42_261
; %bb.260:
	scratch_load_b128 v[1:4], off, s51
	v_mov_b32_e32 v5, 0
	s_delay_alu instid0(VALU_DEP_1)
	v_dual_mov_b32 v6, v5 :: v_dual_mov_b32 v7, v5
	v_mov_b32_e32 v8, v5
	scratch_store_b128 off, v[5:8], off offset:96
	s_wait_loadcnt 0x0
	ds_store_b128 v132, v[1:4]
.LBB42_261:
	s_wait_alu 0xfffe
	s_or_b32 exec_lo, exec_lo, s0
	s_wait_storecnt_dscnt 0x0
	s_barrier_signal -1
	s_barrier_wait -1
	global_inv scope:SCOPE_SE
	s_clause 0x7
	scratch_load_b128 v[2:5], off, off offset:112
	scratch_load_b128 v[6:9], off, off offset:128
	;; [unrolled: 1-line block ×8, first 2 shown]
	v_mov_b32_e32 v1, 0
	s_mov_b32 s0, exec_lo
	ds_load_b128 v[38:41], v1 offset:784
	s_clause 0x1
	scratch_load_b128 v[34:37], off, off offset:240
	scratch_load_b128 v[42:45], off, off offset:96
	ds_load_b128 v[133:136], v1 offset:800
	scratch_load_b128 v[137:140], off, off offset:256
	s_wait_loadcnt_dscnt 0xa01
	v_mul_f64_e32 v[141:142], v[40:41], v[4:5]
	v_mul_f64_e32 v[4:5], v[38:39], v[4:5]
	s_delay_alu instid0(VALU_DEP_2) | instskip(NEXT) | instid1(VALU_DEP_2)
	v_fma_f64 v[147:148], v[38:39], v[2:3], -v[141:142]
	v_fma_f64 v[149:150], v[40:41], v[2:3], v[4:5]
	ds_load_b128 v[2:5], v1 offset:816
	s_wait_loadcnt_dscnt 0x901
	v_mul_f64_e32 v[145:146], v[133:134], v[8:9]
	v_mul_f64_e32 v[8:9], v[135:136], v[8:9]
	scratch_load_b128 v[38:41], off, off offset:272
	ds_load_b128 v[141:144], v1 offset:832
	s_wait_loadcnt_dscnt 0x901
	v_mul_f64_e32 v[151:152], v[2:3], v[12:13]
	v_mul_f64_e32 v[12:13], v[4:5], v[12:13]
	v_fma_f64 v[135:136], v[135:136], v[6:7], v[145:146]
	v_fma_f64 v[133:134], v[133:134], v[6:7], -v[8:9]
	v_add_f64_e32 v[145:146], 0, v[147:148]
	v_add_f64_e32 v[147:148], 0, v[149:150]
	scratch_load_b128 v[6:9], off, off offset:288
	v_fma_f64 v[151:152], v[4:5], v[10:11], v[151:152]
	v_fma_f64 v[153:154], v[2:3], v[10:11], -v[12:13]
	ds_load_b128 v[2:5], v1 offset:848
	s_wait_loadcnt_dscnt 0x901
	v_mul_f64_e32 v[149:150], v[141:142], v[16:17]
	v_mul_f64_e32 v[16:17], v[143:144], v[16:17]
	scratch_load_b128 v[10:13], off, off offset:304
	v_add_f64_e32 v[145:146], v[145:146], v[133:134]
	v_add_f64_e32 v[147:148], v[147:148], v[135:136]
	s_wait_loadcnt_dscnt 0x900
	v_mul_f64_e32 v[155:156], v[2:3], v[20:21]
	v_mul_f64_e32 v[20:21], v[4:5], v[20:21]
	ds_load_b128 v[133:136], v1 offset:864
	v_fma_f64 v[143:144], v[143:144], v[14:15], v[149:150]
	v_fma_f64 v[141:142], v[141:142], v[14:15], -v[16:17]
	scratch_load_b128 v[14:17], off, off offset:320
	v_add_f64_e32 v[145:146], v[145:146], v[153:154]
	v_add_f64_e32 v[147:148], v[147:148], v[151:152]
	v_fma_f64 v[151:152], v[4:5], v[18:19], v[155:156]
	v_fma_f64 v[153:154], v[2:3], v[18:19], -v[20:21]
	ds_load_b128 v[2:5], v1 offset:880
	s_wait_loadcnt_dscnt 0x901
	v_mul_f64_e32 v[149:150], v[133:134], v[24:25]
	v_mul_f64_e32 v[24:25], v[135:136], v[24:25]
	scratch_load_b128 v[18:21], off, off offset:336
	s_wait_loadcnt_dscnt 0x900
	v_mul_f64_e32 v[155:156], v[2:3], v[28:29]
	v_mul_f64_e32 v[28:29], v[4:5], v[28:29]
	v_add_f64_e32 v[145:146], v[145:146], v[141:142]
	v_add_f64_e32 v[147:148], v[147:148], v[143:144]
	ds_load_b128 v[141:144], v1 offset:896
	v_fma_f64 v[135:136], v[135:136], v[22:23], v[149:150]
	v_fma_f64 v[133:134], v[133:134], v[22:23], -v[24:25]
	scratch_load_b128 v[22:25], off, off offset:352
	v_add_f64_e32 v[145:146], v[145:146], v[153:154]
	v_add_f64_e32 v[147:148], v[147:148], v[151:152]
	v_fma_f64 v[151:152], v[4:5], v[26:27], v[155:156]
	v_fma_f64 v[153:154], v[2:3], v[26:27], -v[28:29]
	ds_load_b128 v[2:5], v1 offset:912
	s_wait_loadcnt_dscnt 0x901
	v_mul_f64_e32 v[149:150], v[141:142], v[32:33]
	v_mul_f64_e32 v[32:33], v[143:144], v[32:33]
	scratch_load_b128 v[26:29], off, off offset:368
	s_wait_loadcnt_dscnt 0x900
	v_mul_f64_e32 v[155:156], v[2:3], v[36:37]
	v_mul_f64_e32 v[36:37], v[4:5], v[36:37]
	v_add_f64_e32 v[145:146], v[145:146], v[133:134]
	v_add_f64_e32 v[147:148], v[147:148], v[135:136]
	ds_load_b128 v[133:136], v1 offset:928
	v_fma_f64 v[143:144], v[143:144], v[30:31], v[149:150]
	v_fma_f64 v[141:142], v[141:142], v[30:31], -v[32:33]
	scratch_load_b128 v[30:33], off, off offset:384
	v_add_f64_e32 v[145:146], v[145:146], v[153:154]
	v_add_f64_e32 v[147:148], v[147:148], v[151:152]
	v_fma_f64 v[153:154], v[4:5], v[34:35], v[155:156]
	v_fma_f64 v[155:156], v[2:3], v[34:35], -v[36:37]
	ds_load_b128 v[2:5], v1 offset:944
	s_wait_loadcnt_dscnt 0x801
	v_mul_f64_e32 v[149:150], v[133:134], v[139:140]
	v_mul_f64_e32 v[151:152], v[135:136], v[139:140]
	scratch_load_b128 v[34:37], off, off offset:400
	v_add_f64_e32 v[145:146], v[145:146], v[141:142]
	v_add_f64_e32 v[143:144], v[147:148], v[143:144]
	ds_load_b128 v[139:142], v1 offset:960
	v_fma_f64 v[149:150], v[135:136], v[137:138], v[149:150]
	v_fma_f64 v[137:138], v[133:134], v[137:138], -v[151:152]
	scratch_load_b128 v[133:136], off, off offset:416
	s_wait_loadcnt_dscnt 0x901
	v_mul_f64_e32 v[147:148], v[2:3], v[40:41]
	v_mul_f64_e32 v[40:41], v[4:5], v[40:41]
	v_add_f64_e32 v[145:146], v[145:146], v[155:156]
	v_add_f64_e32 v[143:144], v[143:144], v[153:154]
	s_delay_alu instid0(VALU_DEP_4) | instskip(NEXT) | instid1(VALU_DEP_4)
	v_fma_f64 v[147:148], v[4:5], v[38:39], v[147:148]
	v_fma_f64 v[153:154], v[2:3], v[38:39], -v[40:41]
	ds_load_b128 v[2:5], v1 offset:976
	s_wait_loadcnt_dscnt 0x801
	v_mul_f64_e32 v[151:152], v[139:140], v[8:9]
	v_mul_f64_e32 v[8:9], v[141:142], v[8:9]
	scratch_load_b128 v[38:41], off, off offset:432
	s_wait_loadcnt_dscnt 0x800
	v_mul_f64_e32 v[155:156], v[2:3], v[12:13]
	v_add_f64_e32 v[137:138], v[145:146], v[137:138]
	v_add_f64_e32 v[149:150], v[143:144], v[149:150]
	v_mul_f64_e32 v[12:13], v[4:5], v[12:13]
	ds_load_b128 v[143:146], v1 offset:992
	v_fma_f64 v[141:142], v[141:142], v[6:7], v[151:152]
	v_fma_f64 v[139:140], v[139:140], v[6:7], -v[8:9]
	scratch_load_b128 v[6:9], off, off offset:448
	v_fma_f64 v[151:152], v[4:5], v[10:11], v[155:156]
	v_add_f64_e32 v[137:138], v[137:138], v[153:154]
	v_add_f64_e32 v[147:148], v[149:150], v[147:148]
	v_fma_f64 v[153:154], v[2:3], v[10:11], -v[12:13]
	ds_load_b128 v[2:5], v1 offset:1008
	s_wait_loadcnt_dscnt 0x801
	v_mul_f64_e32 v[149:150], v[143:144], v[16:17]
	v_mul_f64_e32 v[16:17], v[145:146], v[16:17]
	scratch_load_b128 v[10:13], off, off offset:464
	v_add_f64_e32 v[155:156], v[137:138], v[139:140]
	v_add_f64_e32 v[141:142], v[147:148], v[141:142]
	s_wait_loadcnt_dscnt 0x800
	v_mul_f64_e32 v[147:148], v[2:3], v[20:21]
	v_mul_f64_e32 v[20:21], v[4:5], v[20:21]
	v_fma_f64 v[145:146], v[145:146], v[14:15], v[149:150]
	v_fma_f64 v[143:144], v[143:144], v[14:15], -v[16:17]
	ds_load_b128 v[137:140], v1 offset:1024
	scratch_load_b128 v[14:17], off, off offset:480
	v_add_f64_e32 v[149:150], v[155:156], v[153:154]
	v_add_f64_e32 v[141:142], v[141:142], v[151:152]
	v_fma_f64 v[147:148], v[4:5], v[18:19], v[147:148]
	v_fma_f64 v[153:154], v[2:3], v[18:19], -v[20:21]
	ds_load_b128 v[2:5], v1 offset:1040
	s_wait_loadcnt_dscnt 0x801
	v_mul_f64_e32 v[151:152], v[137:138], v[24:25]
	v_mul_f64_e32 v[24:25], v[139:140], v[24:25]
	scratch_load_b128 v[18:21], off, off offset:496
	s_wait_loadcnt_dscnt 0x800
	v_mul_f64_e32 v[155:156], v[2:3], v[28:29]
	v_mul_f64_e32 v[28:29], v[4:5], v[28:29]
	v_add_f64_e32 v[149:150], v[149:150], v[143:144]
	v_add_f64_e32 v[145:146], v[141:142], v[145:146]
	ds_load_b128 v[141:144], v1 offset:1056
	v_fma_f64 v[139:140], v[139:140], v[22:23], v[151:152]
	v_fma_f64 v[137:138], v[137:138], v[22:23], -v[24:25]
	scratch_load_b128 v[22:25], off, off offset:512
	v_fma_f64 v[151:152], v[4:5], v[26:27], v[155:156]
	v_add_f64_e32 v[149:150], v[149:150], v[153:154]
	v_add_f64_e32 v[145:146], v[145:146], v[147:148]
	v_fma_f64 v[153:154], v[2:3], v[26:27], -v[28:29]
	ds_load_b128 v[2:5], v1 offset:1072
	s_wait_loadcnt_dscnt 0x801
	v_mul_f64_e32 v[147:148], v[141:142], v[32:33]
	v_mul_f64_e32 v[32:33], v[143:144], v[32:33]
	scratch_load_b128 v[26:29], off, off offset:528
	s_wait_loadcnt_dscnt 0x800
	v_mul_f64_e32 v[155:156], v[2:3], v[36:37]
	v_mul_f64_e32 v[36:37], v[4:5], v[36:37]
	v_add_f64_e32 v[149:150], v[149:150], v[137:138]
	v_add_f64_e32 v[145:146], v[145:146], v[139:140]
	ds_load_b128 v[137:140], v1 offset:1088
	v_fma_f64 v[143:144], v[143:144], v[30:31], v[147:148]
	v_fma_f64 v[141:142], v[141:142], v[30:31], -v[32:33]
	scratch_load_b128 v[30:33], off, off offset:544
	v_add_f64_e32 v[147:148], v[149:150], v[153:154]
	v_add_f64_e32 v[145:146], v[145:146], v[151:152]
	v_fma_f64 v[151:152], v[4:5], v[34:35], v[155:156]
	v_fma_f64 v[153:154], v[2:3], v[34:35], -v[36:37]
	ds_load_b128 v[2:5], v1 offset:1104
	s_wait_loadcnt_dscnt 0x801
	v_mul_f64_e32 v[149:150], v[137:138], v[135:136]
	v_mul_f64_e32 v[135:136], v[139:140], v[135:136]
	scratch_load_b128 v[34:37], off, off offset:560
	s_wait_loadcnt_dscnt 0x800
	v_mul_f64_e32 v[155:156], v[2:3], v[40:41]
	v_mul_f64_e32 v[40:41], v[4:5], v[40:41]
	v_add_f64_e32 v[147:148], v[147:148], v[141:142]
	v_add_f64_e32 v[145:146], v[145:146], v[143:144]
	ds_load_b128 v[141:144], v1 offset:1120
	v_fma_f64 v[139:140], v[139:140], v[133:134], v[149:150]
	v_fma_f64 v[137:138], v[137:138], v[133:134], -v[135:136]
	scratch_load_b128 v[133:136], off, off offset:576
	v_add_f64_e32 v[147:148], v[147:148], v[153:154]
	v_add_f64_e32 v[145:146], v[145:146], v[151:152]
	v_fma_f64 v[151:152], v[4:5], v[38:39], v[155:156]
	v_fma_f64 v[153:154], v[2:3], v[38:39], -v[40:41]
	ds_load_b128 v[2:5], v1 offset:1136
	s_wait_loadcnt_dscnt 0x801
	v_mul_f64_e32 v[149:150], v[141:142], v[8:9]
	v_mul_f64_e32 v[8:9], v[143:144], v[8:9]
	scratch_load_b128 v[38:41], off, off offset:592
	s_wait_loadcnt_dscnt 0x800
	v_mul_f64_e32 v[155:156], v[2:3], v[12:13]
	v_mul_f64_e32 v[12:13], v[4:5], v[12:13]
	v_add_f64_e32 v[147:148], v[147:148], v[137:138]
	v_add_f64_e32 v[145:146], v[145:146], v[139:140]
	ds_load_b128 v[137:140], v1 offset:1152
	v_fma_f64 v[143:144], v[143:144], v[6:7], v[149:150]
	v_fma_f64 v[141:142], v[141:142], v[6:7], -v[8:9]
	scratch_load_b128 v[6:9], off, off offset:608
	v_add_f64_e32 v[147:148], v[147:148], v[153:154]
	v_add_f64_e32 v[145:146], v[145:146], v[151:152]
	v_fma_f64 v[151:152], v[4:5], v[10:11], v[155:156]
	v_fma_f64 v[153:154], v[2:3], v[10:11], -v[12:13]
	ds_load_b128 v[2:5], v1 offset:1168
	s_wait_loadcnt_dscnt 0x801
	v_mul_f64_e32 v[149:150], v[137:138], v[16:17]
	v_mul_f64_e32 v[16:17], v[139:140], v[16:17]
	scratch_load_b128 v[10:13], off, off offset:624
	s_wait_loadcnt_dscnt 0x800
	v_mul_f64_e32 v[155:156], v[2:3], v[20:21]
	v_mul_f64_e32 v[20:21], v[4:5], v[20:21]
	v_add_f64_e32 v[147:148], v[147:148], v[141:142]
	v_add_f64_e32 v[145:146], v[145:146], v[143:144]
	ds_load_b128 v[141:144], v1 offset:1184
	v_fma_f64 v[139:140], v[139:140], v[14:15], v[149:150]
	v_fma_f64 v[137:138], v[137:138], v[14:15], -v[16:17]
	scratch_load_b128 v[14:17], off, off offset:640
	v_add_f64_e32 v[147:148], v[147:148], v[153:154]
	v_add_f64_e32 v[145:146], v[145:146], v[151:152]
	v_fma_f64 v[151:152], v[4:5], v[18:19], v[155:156]
	v_fma_f64 v[153:154], v[2:3], v[18:19], -v[20:21]
	ds_load_b128 v[2:5], v1 offset:1200
	s_wait_loadcnt_dscnt 0x801
	v_mul_f64_e32 v[149:150], v[141:142], v[24:25]
	v_mul_f64_e32 v[24:25], v[143:144], v[24:25]
	scratch_load_b128 v[18:21], off, off offset:656
	s_wait_loadcnt_dscnt 0x800
	v_mul_f64_e32 v[155:156], v[2:3], v[28:29]
	v_mul_f64_e32 v[28:29], v[4:5], v[28:29]
	v_add_f64_e32 v[147:148], v[147:148], v[137:138]
	v_add_f64_e32 v[145:146], v[145:146], v[139:140]
	ds_load_b128 v[137:140], v1 offset:1216
	v_fma_f64 v[143:144], v[143:144], v[22:23], v[149:150]
	v_fma_f64 v[141:142], v[141:142], v[22:23], -v[24:25]
	scratch_load_b128 v[22:25], off, off offset:672
	v_add_f64_e32 v[147:148], v[147:148], v[153:154]
	v_add_f64_e32 v[145:146], v[145:146], v[151:152]
	v_fma_f64 v[151:152], v[4:5], v[26:27], v[155:156]
	v_fma_f64 v[153:154], v[2:3], v[26:27], -v[28:29]
	ds_load_b128 v[2:5], v1 offset:1232
	s_wait_loadcnt_dscnt 0x801
	v_mul_f64_e32 v[149:150], v[137:138], v[32:33]
	v_mul_f64_e32 v[32:33], v[139:140], v[32:33]
	scratch_load_b128 v[26:29], off, off offset:688
	s_wait_loadcnt_dscnt 0x800
	v_mul_f64_e32 v[155:156], v[2:3], v[36:37]
	v_mul_f64_e32 v[36:37], v[4:5], v[36:37]
	v_add_f64_e32 v[147:148], v[147:148], v[141:142]
	v_add_f64_e32 v[145:146], v[145:146], v[143:144]
	ds_load_b128 v[141:144], v1 offset:1248
	v_fma_f64 v[139:140], v[139:140], v[30:31], v[149:150]
	v_fma_f64 v[30:31], v[137:138], v[30:31], -v[32:33]
	v_add_f64_e32 v[32:33], v[147:148], v[153:154]
	v_add_f64_e32 v[137:138], v[145:146], v[151:152]
	s_wait_loadcnt_dscnt 0x700
	v_mul_f64_e32 v[145:146], v[141:142], v[135:136]
	v_mul_f64_e32 v[135:136], v[143:144], v[135:136]
	v_fma_f64 v[147:148], v[4:5], v[34:35], v[155:156]
	v_fma_f64 v[34:35], v[2:3], v[34:35], -v[36:37]
	v_add_f64_e32 v[36:37], v[32:33], v[30:31]
	v_add_f64_e32 v[137:138], v[137:138], v[139:140]
	ds_load_b128 v[2:5], v1 offset:1264
	ds_load_b128 v[30:33], v1 offset:1280
	v_fma_f64 v[143:144], v[143:144], v[133:134], v[145:146]
	v_fma_f64 v[133:134], v[141:142], v[133:134], -v[135:136]
	s_wait_loadcnt_dscnt 0x601
	v_mul_f64_e32 v[139:140], v[2:3], v[40:41]
	v_mul_f64_e32 v[40:41], v[4:5], v[40:41]
	s_wait_loadcnt_dscnt 0x500
	v_mul_f64_e32 v[135:136], v[30:31], v[8:9]
	v_mul_f64_e32 v[8:9], v[32:33], v[8:9]
	v_add_f64_e32 v[34:35], v[36:37], v[34:35]
	v_add_f64_e32 v[36:37], v[137:138], v[147:148]
	v_fma_f64 v[137:138], v[4:5], v[38:39], v[139:140]
	v_fma_f64 v[38:39], v[2:3], v[38:39], -v[40:41]
	v_fma_f64 v[32:33], v[32:33], v[6:7], v[135:136]
	v_fma_f64 v[6:7], v[30:31], v[6:7], -v[8:9]
	v_add_f64_e32 v[40:41], v[34:35], v[133:134]
	v_add_f64_e32 v[133:134], v[36:37], v[143:144]
	ds_load_b128 v[2:5], v1 offset:1296
	ds_load_b128 v[34:37], v1 offset:1312
	s_wait_loadcnt_dscnt 0x401
	v_mul_f64_e32 v[139:140], v[2:3], v[12:13]
	v_mul_f64_e32 v[12:13], v[4:5], v[12:13]
	v_add_f64_e32 v[8:9], v[40:41], v[38:39]
	v_add_f64_e32 v[30:31], v[133:134], v[137:138]
	s_wait_loadcnt_dscnt 0x300
	v_mul_f64_e32 v[38:39], v[34:35], v[16:17]
	v_mul_f64_e32 v[16:17], v[36:37], v[16:17]
	v_fma_f64 v[40:41], v[4:5], v[10:11], v[139:140]
	v_fma_f64 v[10:11], v[2:3], v[10:11], -v[12:13]
	v_add_f64_e32 v[12:13], v[8:9], v[6:7]
	v_add_f64_e32 v[30:31], v[30:31], v[32:33]
	ds_load_b128 v[2:5], v1 offset:1328
	ds_load_b128 v[6:9], v1 offset:1344
	v_fma_f64 v[36:37], v[36:37], v[14:15], v[38:39]
	v_fma_f64 v[14:15], v[34:35], v[14:15], -v[16:17]
	s_wait_loadcnt_dscnt 0x201
	v_mul_f64_e32 v[32:33], v[2:3], v[20:21]
	v_mul_f64_e32 v[20:21], v[4:5], v[20:21]
	s_wait_loadcnt_dscnt 0x100
	v_mul_f64_e32 v[16:17], v[6:7], v[24:25]
	v_mul_f64_e32 v[24:25], v[8:9], v[24:25]
	v_add_f64_e32 v[10:11], v[12:13], v[10:11]
	v_add_f64_e32 v[12:13], v[30:31], v[40:41]
	v_fma_f64 v[30:31], v[4:5], v[18:19], v[32:33]
	v_fma_f64 v[18:19], v[2:3], v[18:19], -v[20:21]
	ds_load_b128 v[2:5], v1 offset:1360
	v_fma_f64 v[8:9], v[8:9], v[22:23], v[16:17]
	v_fma_f64 v[6:7], v[6:7], v[22:23], -v[24:25]
	v_add_f64_e32 v[10:11], v[10:11], v[14:15]
	v_add_f64_e32 v[12:13], v[12:13], v[36:37]
	s_wait_loadcnt_dscnt 0x0
	v_mul_f64_e32 v[14:15], v[2:3], v[28:29]
	v_mul_f64_e32 v[20:21], v[4:5], v[28:29]
	s_delay_alu instid0(VALU_DEP_4) | instskip(NEXT) | instid1(VALU_DEP_4)
	v_add_f64_e32 v[10:11], v[10:11], v[18:19]
	v_add_f64_e32 v[12:13], v[12:13], v[30:31]
	s_delay_alu instid0(VALU_DEP_4) | instskip(NEXT) | instid1(VALU_DEP_4)
	v_fma_f64 v[4:5], v[4:5], v[26:27], v[14:15]
	v_fma_f64 v[2:3], v[2:3], v[26:27], -v[20:21]
	s_delay_alu instid0(VALU_DEP_4) | instskip(NEXT) | instid1(VALU_DEP_4)
	v_add_f64_e32 v[6:7], v[10:11], v[6:7]
	v_add_f64_e32 v[8:9], v[12:13], v[8:9]
	s_delay_alu instid0(VALU_DEP_2) | instskip(NEXT) | instid1(VALU_DEP_2)
	v_add_f64_e32 v[2:3], v[6:7], v[2:3]
	v_add_f64_e32 v[4:5], v[8:9], v[4:5]
	s_delay_alu instid0(VALU_DEP_2) | instskip(NEXT) | instid1(VALU_DEP_2)
	v_add_f64_e64 v[2:3], v[42:43], -v[2:3]
	v_add_f64_e64 v[4:5], v[44:45], -v[4:5]
	scratch_store_b128 off, v[2:5], off offset:96
	v_cmpx_lt_u32_e32 4, v0
	s_cbranch_execz .LBB42_263
; %bb.262:
	scratch_load_b128 v[5:8], off, s14
	v_dual_mov_b32 v2, v1 :: v_dual_mov_b32 v3, v1
	v_mov_b32_e32 v4, v1
	scratch_store_b128 off, v[1:4], off offset:80
	s_wait_loadcnt 0x0
	ds_store_b128 v132, v[5:8]
.LBB42_263:
	s_wait_alu 0xfffe
	s_or_b32 exec_lo, exec_lo, s0
	s_wait_storecnt_dscnt 0x0
	s_barrier_signal -1
	s_barrier_wait -1
	global_inv scope:SCOPE_SE
	s_clause 0x8
	scratch_load_b128 v[2:5], off, off offset:96
	scratch_load_b128 v[6:9], off, off offset:112
	;; [unrolled: 1-line block ×9, first 2 shown]
	ds_load_b128 v[42:45], v1 offset:768
	ds_load_b128 v[38:41], v1 offset:784
	s_clause 0x1
	scratch_load_b128 v[133:136], off, off offset:80
	scratch_load_b128 v[137:140], off, off offset:240
	s_mov_b32 s0, exec_lo
	s_wait_loadcnt_dscnt 0xa01
	v_mul_f64_e32 v[141:142], v[44:45], v[4:5]
	v_mul_f64_e32 v[4:5], v[42:43], v[4:5]
	s_wait_loadcnt_dscnt 0x900
	v_mul_f64_e32 v[145:146], v[38:39], v[8:9]
	v_mul_f64_e32 v[8:9], v[40:41], v[8:9]
	s_delay_alu instid0(VALU_DEP_4) | instskip(NEXT) | instid1(VALU_DEP_4)
	v_fma_f64 v[147:148], v[42:43], v[2:3], -v[141:142]
	v_fma_f64 v[149:150], v[44:45], v[2:3], v[4:5]
	ds_load_b128 v[2:5], v1 offset:800
	ds_load_b128 v[141:144], v1 offset:816
	scratch_load_b128 v[42:45], off, off offset:256
	v_fma_f64 v[40:41], v[40:41], v[6:7], v[145:146]
	v_fma_f64 v[38:39], v[38:39], v[6:7], -v[8:9]
	scratch_load_b128 v[6:9], off, off offset:272
	s_wait_loadcnt_dscnt 0xa01
	v_mul_f64_e32 v[151:152], v[2:3], v[12:13]
	v_mul_f64_e32 v[12:13], v[4:5], v[12:13]
	v_add_f64_e32 v[145:146], 0, v[147:148]
	v_add_f64_e32 v[147:148], 0, v[149:150]
	s_wait_loadcnt_dscnt 0x900
	v_mul_f64_e32 v[149:150], v[141:142], v[16:17]
	v_mul_f64_e32 v[16:17], v[143:144], v[16:17]
	v_fma_f64 v[151:152], v[4:5], v[10:11], v[151:152]
	v_fma_f64 v[153:154], v[2:3], v[10:11], -v[12:13]
	ds_load_b128 v[2:5], v1 offset:832
	scratch_load_b128 v[10:13], off, off offset:288
	v_add_f64_e32 v[145:146], v[145:146], v[38:39]
	v_add_f64_e32 v[147:148], v[147:148], v[40:41]
	ds_load_b128 v[38:41], v1 offset:848
	v_fma_f64 v[143:144], v[143:144], v[14:15], v[149:150]
	v_fma_f64 v[141:142], v[141:142], v[14:15], -v[16:17]
	scratch_load_b128 v[14:17], off, off offset:304
	s_wait_loadcnt_dscnt 0xa01
	v_mul_f64_e32 v[155:156], v[2:3], v[20:21]
	v_mul_f64_e32 v[20:21], v[4:5], v[20:21]
	s_wait_loadcnt_dscnt 0x900
	v_mul_f64_e32 v[149:150], v[38:39], v[24:25]
	v_mul_f64_e32 v[24:25], v[40:41], v[24:25]
	v_add_f64_e32 v[145:146], v[145:146], v[153:154]
	v_add_f64_e32 v[147:148], v[147:148], v[151:152]
	v_fma_f64 v[151:152], v[4:5], v[18:19], v[155:156]
	v_fma_f64 v[153:154], v[2:3], v[18:19], -v[20:21]
	ds_load_b128 v[2:5], v1 offset:864
	scratch_load_b128 v[18:21], off, off offset:320
	v_fma_f64 v[40:41], v[40:41], v[22:23], v[149:150]
	v_fma_f64 v[38:39], v[38:39], v[22:23], -v[24:25]
	scratch_load_b128 v[22:25], off, off offset:336
	v_add_f64_e32 v[145:146], v[145:146], v[141:142]
	v_add_f64_e32 v[147:148], v[147:148], v[143:144]
	ds_load_b128 v[141:144], v1 offset:880
	s_wait_loadcnt_dscnt 0xa01
	v_mul_f64_e32 v[155:156], v[2:3], v[28:29]
	v_mul_f64_e32 v[28:29], v[4:5], v[28:29]
	s_wait_loadcnt_dscnt 0x900
	v_mul_f64_e32 v[149:150], v[141:142], v[32:33]
	v_mul_f64_e32 v[32:33], v[143:144], v[32:33]
	v_add_f64_e32 v[145:146], v[145:146], v[153:154]
	v_add_f64_e32 v[147:148], v[147:148], v[151:152]
	v_fma_f64 v[151:152], v[4:5], v[26:27], v[155:156]
	v_fma_f64 v[153:154], v[2:3], v[26:27], -v[28:29]
	ds_load_b128 v[2:5], v1 offset:896
	scratch_load_b128 v[26:29], off, off offset:352
	v_fma_f64 v[143:144], v[143:144], v[30:31], v[149:150]
	v_fma_f64 v[141:142], v[141:142], v[30:31], -v[32:33]
	scratch_load_b128 v[30:33], off, off offset:368
	v_add_f64_e32 v[145:146], v[145:146], v[38:39]
	v_add_f64_e32 v[147:148], v[147:148], v[40:41]
	ds_load_b128 v[38:41], v1 offset:912
	s_wait_loadcnt_dscnt 0xa01
	v_mul_f64_e32 v[155:156], v[2:3], v[36:37]
	v_mul_f64_e32 v[36:37], v[4:5], v[36:37]
	s_wait_loadcnt_dscnt 0x800
	v_mul_f64_e32 v[149:150], v[38:39], v[139:140]
	v_add_f64_e32 v[145:146], v[145:146], v[153:154]
	v_add_f64_e32 v[147:148], v[147:148], v[151:152]
	v_mul_f64_e32 v[151:152], v[40:41], v[139:140]
	v_fma_f64 v[153:154], v[4:5], v[34:35], v[155:156]
	v_fma_f64 v[155:156], v[2:3], v[34:35], -v[36:37]
	ds_load_b128 v[2:5], v1 offset:928
	scratch_load_b128 v[34:37], off, off offset:384
	v_fma_f64 v[149:150], v[40:41], v[137:138], v[149:150]
	v_add_f64_e32 v[145:146], v[145:146], v[141:142]
	v_add_f64_e32 v[143:144], v[147:148], v[143:144]
	ds_load_b128 v[139:142], v1 offset:944
	v_fma_f64 v[137:138], v[38:39], v[137:138], -v[151:152]
	scratch_load_b128 v[38:41], off, off offset:400
	s_wait_loadcnt_dscnt 0x901
	v_mul_f64_e32 v[147:148], v[2:3], v[44:45]
	v_mul_f64_e32 v[44:45], v[4:5], v[44:45]
	s_wait_loadcnt_dscnt 0x800
	v_mul_f64_e32 v[151:152], v[139:140], v[8:9]
	v_mul_f64_e32 v[8:9], v[141:142], v[8:9]
	v_add_f64_e32 v[145:146], v[145:146], v[155:156]
	v_add_f64_e32 v[143:144], v[143:144], v[153:154]
	v_fma_f64 v[147:148], v[4:5], v[42:43], v[147:148]
	v_fma_f64 v[153:154], v[2:3], v[42:43], -v[44:45]
	ds_load_b128 v[2:5], v1 offset:960
	scratch_load_b128 v[42:45], off, off offset:416
	v_fma_f64 v[141:142], v[141:142], v[6:7], v[151:152]
	v_fma_f64 v[139:140], v[139:140], v[6:7], -v[8:9]
	scratch_load_b128 v[6:9], off, off offset:432
	v_add_f64_e32 v[137:138], v[145:146], v[137:138]
	v_add_f64_e32 v[149:150], v[143:144], v[149:150]
	ds_load_b128 v[143:146], v1 offset:976
	s_wait_loadcnt_dscnt 0x901
	v_mul_f64_e32 v[155:156], v[2:3], v[12:13]
	v_mul_f64_e32 v[12:13], v[4:5], v[12:13]
	v_add_f64_e32 v[137:138], v[137:138], v[153:154]
	v_add_f64_e32 v[147:148], v[149:150], v[147:148]
	s_wait_loadcnt_dscnt 0x800
	v_mul_f64_e32 v[149:150], v[143:144], v[16:17]
	v_mul_f64_e32 v[16:17], v[145:146], v[16:17]
	v_fma_f64 v[151:152], v[4:5], v[10:11], v[155:156]
	v_fma_f64 v[153:154], v[2:3], v[10:11], -v[12:13]
	ds_load_b128 v[2:5], v1 offset:992
	scratch_load_b128 v[10:13], off, off offset:448
	v_add_f64_e32 v[155:156], v[137:138], v[139:140]
	v_add_f64_e32 v[141:142], v[147:148], v[141:142]
	ds_load_b128 v[137:140], v1 offset:1008
	s_wait_loadcnt_dscnt 0x801
	v_mul_f64_e32 v[147:148], v[2:3], v[20:21]
	v_mul_f64_e32 v[20:21], v[4:5], v[20:21]
	v_fma_f64 v[145:146], v[145:146], v[14:15], v[149:150]
	v_fma_f64 v[143:144], v[143:144], v[14:15], -v[16:17]
	scratch_load_b128 v[14:17], off, off offset:464
	v_add_f64_e32 v[149:150], v[155:156], v[153:154]
	v_add_f64_e32 v[141:142], v[141:142], v[151:152]
	s_wait_loadcnt_dscnt 0x800
	v_mul_f64_e32 v[151:152], v[137:138], v[24:25]
	v_mul_f64_e32 v[24:25], v[139:140], v[24:25]
	v_fma_f64 v[147:148], v[4:5], v[18:19], v[147:148]
	v_fma_f64 v[153:154], v[2:3], v[18:19], -v[20:21]
	ds_load_b128 v[2:5], v1 offset:1024
	scratch_load_b128 v[18:21], off, off offset:480
	v_add_f64_e32 v[149:150], v[149:150], v[143:144]
	v_add_f64_e32 v[145:146], v[141:142], v[145:146]
	ds_load_b128 v[141:144], v1 offset:1040
	s_wait_loadcnt_dscnt 0x801
	v_mul_f64_e32 v[155:156], v[2:3], v[28:29]
	v_mul_f64_e32 v[28:29], v[4:5], v[28:29]
	v_fma_f64 v[139:140], v[139:140], v[22:23], v[151:152]
	v_fma_f64 v[137:138], v[137:138], v[22:23], -v[24:25]
	scratch_load_b128 v[22:25], off, off offset:496
	;; [unrolled: 18-line block ×4, first 2 shown]
	s_wait_loadcnt_dscnt 0x800
	v_mul_f64_e32 v[149:150], v[141:142], v[8:9]
	v_mul_f64_e32 v[8:9], v[143:144], v[8:9]
	v_add_f64_e32 v[147:148], v[147:148], v[153:154]
	v_add_f64_e32 v[145:146], v[145:146], v[151:152]
	v_fma_f64 v[151:152], v[4:5], v[42:43], v[155:156]
	v_fma_f64 v[153:154], v[2:3], v[42:43], -v[44:45]
	ds_load_b128 v[2:5], v1 offset:1120
	scratch_load_b128 v[42:45], off, off offset:576
	v_fma_f64 v[143:144], v[143:144], v[6:7], v[149:150]
	v_fma_f64 v[141:142], v[141:142], v[6:7], -v[8:9]
	scratch_load_b128 v[6:9], off, off offset:592
	v_add_f64_e32 v[147:148], v[147:148], v[137:138]
	v_add_f64_e32 v[145:146], v[145:146], v[139:140]
	ds_load_b128 v[137:140], v1 offset:1136
	s_wait_loadcnt_dscnt 0x901
	v_mul_f64_e32 v[155:156], v[2:3], v[12:13]
	v_mul_f64_e32 v[12:13], v[4:5], v[12:13]
	s_wait_loadcnt_dscnt 0x800
	v_mul_f64_e32 v[149:150], v[137:138], v[16:17]
	v_mul_f64_e32 v[16:17], v[139:140], v[16:17]
	v_add_f64_e32 v[147:148], v[147:148], v[153:154]
	v_add_f64_e32 v[145:146], v[145:146], v[151:152]
	v_fma_f64 v[151:152], v[4:5], v[10:11], v[155:156]
	v_fma_f64 v[153:154], v[2:3], v[10:11], -v[12:13]
	ds_load_b128 v[2:5], v1 offset:1152
	scratch_load_b128 v[10:13], off, off offset:608
	v_fma_f64 v[139:140], v[139:140], v[14:15], v[149:150]
	v_fma_f64 v[137:138], v[137:138], v[14:15], -v[16:17]
	scratch_load_b128 v[14:17], off, off offset:624
	v_add_f64_e32 v[147:148], v[147:148], v[141:142]
	v_add_f64_e32 v[145:146], v[145:146], v[143:144]
	ds_load_b128 v[141:144], v1 offset:1168
	s_wait_loadcnt_dscnt 0x901
	v_mul_f64_e32 v[155:156], v[2:3], v[20:21]
	v_mul_f64_e32 v[20:21], v[4:5], v[20:21]
	;; [unrolled: 18-line block ×4, first 2 shown]
	s_wait_loadcnt_dscnt 0x800
	v_mul_f64_e32 v[149:150], v[141:142], v[40:41]
	v_mul_f64_e32 v[40:41], v[143:144], v[40:41]
	v_add_f64_e32 v[147:148], v[147:148], v[153:154]
	v_add_f64_e32 v[145:146], v[145:146], v[151:152]
	v_fma_f64 v[151:152], v[4:5], v[34:35], v[155:156]
	v_fma_f64 v[153:154], v[2:3], v[34:35], -v[36:37]
	ds_load_b128 v[2:5], v1 offset:1248
	ds_load_b128 v[34:37], v1 offset:1264
	v_fma_f64 v[143:144], v[143:144], v[38:39], v[149:150]
	v_fma_f64 v[38:39], v[141:142], v[38:39], -v[40:41]
	v_add_f64_e32 v[137:138], v[147:148], v[137:138]
	v_add_f64_e32 v[139:140], v[145:146], v[139:140]
	s_wait_loadcnt_dscnt 0x701
	v_mul_f64_e32 v[145:146], v[2:3], v[44:45]
	v_mul_f64_e32 v[44:45], v[4:5], v[44:45]
	s_delay_alu instid0(VALU_DEP_4) | instskip(NEXT) | instid1(VALU_DEP_4)
	v_add_f64_e32 v[40:41], v[137:138], v[153:154]
	v_add_f64_e32 v[137:138], v[139:140], v[151:152]
	s_wait_loadcnt_dscnt 0x600
	v_mul_f64_e32 v[139:140], v[34:35], v[8:9]
	v_mul_f64_e32 v[8:9], v[36:37], v[8:9]
	v_fma_f64 v[141:142], v[4:5], v[42:43], v[145:146]
	v_fma_f64 v[42:43], v[2:3], v[42:43], -v[44:45]
	v_add_f64_e32 v[44:45], v[40:41], v[38:39]
	v_add_f64_e32 v[137:138], v[137:138], v[143:144]
	ds_load_b128 v[2:5], v1 offset:1280
	ds_load_b128 v[38:41], v1 offset:1296
	v_fma_f64 v[36:37], v[36:37], v[6:7], v[139:140]
	v_fma_f64 v[6:7], v[34:35], v[6:7], -v[8:9]
	s_wait_loadcnt_dscnt 0x501
	v_mul_f64_e32 v[143:144], v[2:3], v[12:13]
	v_mul_f64_e32 v[12:13], v[4:5], v[12:13]
	v_add_f64_e32 v[8:9], v[44:45], v[42:43]
	v_add_f64_e32 v[34:35], v[137:138], v[141:142]
	s_wait_loadcnt_dscnt 0x400
	v_mul_f64_e32 v[42:43], v[38:39], v[16:17]
	v_mul_f64_e32 v[16:17], v[40:41], v[16:17]
	v_fma_f64 v[44:45], v[4:5], v[10:11], v[143:144]
	v_fma_f64 v[10:11], v[2:3], v[10:11], -v[12:13]
	v_add_f64_e32 v[12:13], v[8:9], v[6:7]
	v_add_f64_e32 v[34:35], v[34:35], v[36:37]
	ds_load_b128 v[2:5], v1 offset:1312
	ds_load_b128 v[6:9], v1 offset:1328
	v_fma_f64 v[40:41], v[40:41], v[14:15], v[42:43]
	v_fma_f64 v[14:15], v[38:39], v[14:15], -v[16:17]
	s_wait_loadcnt_dscnt 0x301
	v_mul_f64_e32 v[36:37], v[2:3], v[20:21]
	v_mul_f64_e32 v[20:21], v[4:5], v[20:21]
	s_wait_loadcnt_dscnt 0x200
	v_mul_f64_e32 v[16:17], v[6:7], v[24:25]
	v_mul_f64_e32 v[24:25], v[8:9], v[24:25]
	v_add_f64_e32 v[10:11], v[12:13], v[10:11]
	v_add_f64_e32 v[12:13], v[34:35], v[44:45]
	v_fma_f64 v[34:35], v[4:5], v[18:19], v[36:37]
	v_fma_f64 v[18:19], v[2:3], v[18:19], -v[20:21]
	v_fma_f64 v[8:9], v[8:9], v[22:23], v[16:17]
	v_fma_f64 v[6:7], v[6:7], v[22:23], -v[24:25]
	v_add_f64_e32 v[14:15], v[10:11], v[14:15]
	v_add_f64_e32 v[20:21], v[12:13], v[40:41]
	ds_load_b128 v[2:5], v1 offset:1344
	ds_load_b128 v[10:13], v1 offset:1360
	s_wait_loadcnt_dscnt 0x101
	v_mul_f64_e32 v[36:37], v[2:3], v[28:29]
	v_mul_f64_e32 v[28:29], v[4:5], v[28:29]
	v_add_f64_e32 v[14:15], v[14:15], v[18:19]
	v_add_f64_e32 v[16:17], v[20:21], v[34:35]
	s_wait_loadcnt_dscnt 0x0
	v_mul_f64_e32 v[18:19], v[10:11], v[32:33]
	v_mul_f64_e32 v[20:21], v[12:13], v[32:33]
	v_fma_f64 v[4:5], v[4:5], v[26:27], v[36:37]
	v_fma_f64 v[1:2], v[2:3], v[26:27], -v[28:29]
	v_add_f64_e32 v[6:7], v[14:15], v[6:7]
	v_add_f64_e32 v[8:9], v[16:17], v[8:9]
	v_fma_f64 v[12:13], v[12:13], v[30:31], v[18:19]
	v_fma_f64 v[10:11], v[10:11], v[30:31], -v[20:21]
	s_delay_alu instid0(VALU_DEP_4) | instskip(NEXT) | instid1(VALU_DEP_4)
	v_add_f64_e32 v[1:2], v[6:7], v[1:2]
	v_add_f64_e32 v[3:4], v[8:9], v[4:5]
	s_delay_alu instid0(VALU_DEP_2) | instskip(NEXT) | instid1(VALU_DEP_2)
	v_add_f64_e32 v[1:2], v[1:2], v[10:11]
	v_add_f64_e32 v[3:4], v[3:4], v[12:13]
	s_delay_alu instid0(VALU_DEP_2) | instskip(NEXT) | instid1(VALU_DEP_2)
	v_add_f64_e64 v[1:2], v[133:134], -v[1:2]
	v_add_f64_e64 v[3:4], v[135:136], -v[3:4]
	scratch_store_b128 off, v[1:4], off offset:80
	v_cmpx_lt_u32_e32 3, v0
	s_cbranch_execz .LBB42_265
; %bb.264:
	scratch_load_b128 v[1:4], off, s19
	v_mov_b32_e32 v5, 0
	s_delay_alu instid0(VALU_DEP_1)
	v_dual_mov_b32 v6, v5 :: v_dual_mov_b32 v7, v5
	v_mov_b32_e32 v8, v5
	scratch_store_b128 off, v[5:8], off offset:64
	s_wait_loadcnt 0x0
	ds_store_b128 v132, v[1:4]
.LBB42_265:
	s_wait_alu 0xfffe
	s_or_b32 exec_lo, exec_lo, s0
	s_wait_storecnt_dscnt 0x0
	s_barrier_signal -1
	s_barrier_wait -1
	global_inv scope:SCOPE_SE
	s_clause 0x7
	scratch_load_b128 v[2:5], off, off offset:80
	scratch_load_b128 v[6:9], off, off offset:96
	;; [unrolled: 1-line block ×8, first 2 shown]
	v_mov_b32_e32 v1, 0
	s_mov_b32 s0, exec_lo
	ds_load_b128 v[38:41], v1 offset:752
	s_clause 0x1
	scratch_load_b128 v[34:37], off, off offset:208
	scratch_load_b128 v[42:45], off, off offset:64
	ds_load_b128 v[133:136], v1 offset:768
	scratch_load_b128 v[137:140], off, off offset:224
	s_wait_loadcnt_dscnt 0xa01
	v_mul_f64_e32 v[141:142], v[40:41], v[4:5]
	v_mul_f64_e32 v[4:5], v[38:39], v[4:5]
	s_delay_alu instid0(VALU_DEP_2) | instskip(NEXT) | instid1(VALU_DEP_2)
	v_fma_f64 v[147:148], v[38:39], v[2:3], -v[141:142]
	v_fma_f64 v[149:150], v[40:41], v[2:3], v[4:5]
	ds_load_b128 v[2:5], v1 offset:784
	s_wait_loadcnt_dscnt 0x901
	v_mul_f64_e32 v[145:146], v[133:134], v[8:9]
	v_mul_f64_e32 v[8:9], v[135:136], v[8:9]
	scratch_load_b128 v[38:41], off, off offset:240
	ds_load_b128 v[141:144], v1 offset:800
	s_wait_loadcnt_dscnt 0x901
	v_mul_f64_e32 v[151:152], v[2:3], v[12:13]
	v_mul_f64_e32 v[12:13], v[4:5], v[12:13]
	v_fma_f64 v[135:136], v[135:136], v[6:7], v[145:146]
	v_fma_f64 v[133:134], v[133:134], v[6:7], -v[8:9]
	v_add_f64_e32 v[145:146], 0, v[147:148]
	v_add_f64_e32 v[147:148], 0, v[149:150]
	scratch_load_b128 v[6:9], off, off offset:256
	v_fma_f64 v[151:152], v[4:5], v[10:11], v[151:152]
	v_fma_f64 v[153:154], v[2:3], v[10:11], -v[12:13]
	ds_load_b128 v[2:5], v1 offset:816
	s_wait_loadcnt_dscnt 0x901
	v_mul_f64_e32 v[149:150], v[141:142], v[16:17]
	v_mul_f64_e32 v[16:17], v[143:144], v[16:17]
	scratch_load_b128 v[10:13], off, off offset:272
	v_add_f64_e32 v[145:146], v[145:146], v[133:134]
	v_add_f64_e32 v[147:148], v[147:148], v[135:136]
	s_wait_loadcnt_dscnt 0x900
	v_mul_f64_e32 v[155:156], v[2:3], v[20:21]
	v_mul_f64_e32 v[20:21], v[4:5], v[20:21]
	ds_load_b128 v[133:136], v1 offset:832
	v_fma_f64 v[143:144], v[143:144], v[14:15], v[149:150]
	v_fma_f64 v[141:142], v[141:142], v[14:15], -v[16:17]
	scratch_load_b128 v[14:17], off, off offset:288
	v_add_f64_e32 v[145:146], v[145:146], v[153:154]
	v_add_f64_e32 v[147:148], v[147:148], v[151:152]
	v_fma_f64 v[151:152], v[4:5], v[18:19], v[155:156]
	v_fma_f64 v[153:154], v[2:3], v[18:19], -v[20:21]
	ds_load_b128 v[2:5], v1 offset:848
	s_wait_loadcnt_dscnt 0x901
	v_mul_f64_e32 v[149:150], v[133:134], v[24:25]
	v_mul_f64_e32 v[24:25], v[135:136], v[24:25]
	scratch_load_b128 v[18:21], off, off offset:304
	s_wait_loadcnt_dscnt 0x900
	v_mul_f64_e32 v[155:156], v[2:3], v[28:29]
	v_mul_f64_e32 v[28:29], v[4:5], v[28:29]
	v_add_f64_e32 v[145:146], v[145:146], v[141:142]
	v_add_f64_e32 v[147:148], v[147:148], v[143:144]
	ds_load_b128 v[141:144], v1 offset:864
	v_fma_f64 v[135:136], v[135:136], v[22:23], v[149:150]
	v_fma_f64 v[133:134], v[133:134], v[22:23], -v[24:25]
	scratch_load_b128 v[22:25], off, off offset:320
	v_add_f64_e32 v[145:146], v[145:146], v[153:154]
	v_add_f64_e32 v[147:148], v[147:148], v[151:152]
	v_fma_f64 v[151:152], v[4:5], v[26:27], v[155:156]
	v_fma_f64 v[153:154], v[2:3], v[26:27], -v[28:29]
	ds_load_b128 v[2:5], v1 offset:880
	s_wait_loadcnt_dscnt 0x901
	v_mul_f64_e32 v[149:150], v[141:142], v[32:33]
	v_mul_f64_e32 v[32:33], v[143:144], v[32:33]
	scratch_load_b128 v[26:29], off, off offset:336
	s_wait_loadcnt_dscnt 0x900
	v_mul_f64_e32 v[155:156], v[2:3], v[36:37]
	v_mul_f64_e32 v[36:37], v[4:5], v[36:37]
	v_add_f64_e32 v[145:146], v[145:146], v[133:134]
	v_add_f64_e32 v[147:148], v[147:148], v[135:136]
	ds_load_b128 v[133:136], v1 offset:896
	v_fma_f64 v[143:144], v[143:144], v[30:31], v[149:150]
	v_fma_f64 v[141:142], v[141:142], v[30:31], -v[32:33]
	scratch_load_b128 v[30:33], off, off offset:352
	v_add_f64_e32 v[145:146], v[145:146], v[153:154]
	v_add_f64_e32 v[147:148], v[147:148], v[151:152]
	v_fma_f64 v[153:154], v[4:5], v[34:35], v[155:156]
	v_fma_f64 v[155:156], v[2:3], v[34:35], -v[36:37]
	ds_load_b128 v[2:5], v1 offset:912
	s_wait_loadcnt_dscnt 0x801
	v_mul_f64_e32 v[149:150], v[133:134], v[139:140]
	v_mul_f64_e32 v[151:152], v[135:136], v[139:140]
	scratch_load_b128 v[34:37], off, off offset:368
	v_add_f64_e32 v[145:146], v[145:146], v[141:142]
	v_add_f64_e32 v[143:144], v[147:148], v[143:144]
	ds_load_b128 v[139:142], v1 offset:928
	v_fma_f64 v[149:150], v[135:136], v[137:138], v[149:150]
	v_fma_f64 v[137:138], v[133:134], v[137:138], -v[151:152]
	scratch_load_b128 v[133:136], off, off offset:384
	s_wait_loadcnt_dscnt 0x901
	v_mul_f64_e32 v[147:148], v[2:3], v[40:41]
	v_mul_f64_e32 v[40:41], v[4:5], v[40:41]
	v_add_f64_e32 v[145:146], v[145:146], v[155:156]
	v_add_f64_e32 v[143:144], v[143:144], v[153:154]
	s_delay_alu instid0(VALU_DEP_4) | instskip(NEXT) | instid1(VALU_DEP_4)
	v_fma_f64 v[147:148], v[4:5], v[38:39], v[147:148]
	v_fma_f64 v[153:154], v[2:3], v[38:39], -v[40:41]
	ds_load_b128 v[2:5], v1 offset:944
	s_wait_loadcnt_dscnt 0x801
	v_mul_f64_e32 v[151:152], v[139:140], v[8:9]
	v_mul_f64_e32 v[8:9], v[141:142], v[8:9]
	scratch_load_b128 v[38:41], off, off offset:400
	s_wait_loadcnt_dscnt 0x800
	v_mul_f64_e32 v[155:156], v[2:3], v[12:13]
	v_add_f64_e32 v[137:138], v[145:146], v[137:138]
	v_add_f64_e32 v[149:150], v[143:144], v[149:150]
	v_mul_f64_e32 v[12:13], v[4:5], v[12:13]
	ds_load_b128 v[143:146], v1 offset:960
	v_fma_f64 v[141:142], v[141:142], v[6:7], v[151:152]
	v_fma_f64 v[139:140], v[139:140], v[6:7], -v[8:9]
	scratch_load_b128 v[6:9], off, off offset:416
	v_fma_f64 v[151:152], v[4:5], v[10:11], v[155:156]
	v_add_f64_e32 v[137:138], v[137:138], v[153:154]
	v_add_f64_e32 v[147:148], v[149:150], v[147:148]
	v_fma_f64 v[153:154], v[2:3], v[10:11], -v[12:13]
	ds_load_b128 v[2:5], v1 offset:976
	s_wait_loadcnt_dscnt 0x801
	v_mul_f64_e32 v[149:150], v[143:144], v[16:17]
	v_mul_f64_e32 v[16:17], v[145:146], v[16:17]
	scratch_load_b128 v[10:13], off, off offset:432
	v_add_f64_e32 v[155:156], v[137:138], v[139:140]
	v_add_f64_e32 v[141:142], v[147:148], v[141:142]
	s_wait_loadcnt_dscnt 0x800
	v_mul_f64_e32 v[147:148], v[2:3], v[20:21]
	v_mul_f64_e32 v[20:21], v[4:5], v[20:21]
	v_fma_f64 v[145:146], v[145:146], v[14:15], v[149:150]
	v_fma_f64 v[143:144], v[143:144], v[14:15], -v[16:17]
	ds_load_b128 v[137:140], v1 offset:992
	scratch_load_b128 v[14:17], off, off offset:448
	v_add_f64_e32 v[149:150], v[155:156], v[153:154]
	v_add_f64_e32 v[141:142], v[141:142], v[151:152]
	v_fma_f64 v[147:148], v[4:5], v[18:19], v[147:148]
	v_fma_f64 v[153:154], v[2:3], v[18:19], -v[20:21]
	ds_load_b128 v[2:5], v1 offset:1008
	s_wait_loadcnt_dscnt 0x801
	v_mul_f64_e32 v[151:152], v[137:138], v[24:25]
	v_mul_f64_e32 v[24:25], v[139:140], v[24:25]
	scratch_load_b128 v[18:21], off, off offset:464
	s_wait_loadcnt_dscnt 0x800
	v_mul_f64_e32 v[155:156], v[2:3], v[28:29]
	v_mul_f64_e32 v[28:29], v[4:5], v[28:29]
	v_add_f64_e32 v[149:150], v[149:150], v[143:144]
	v_add_f64_e32 v[145:146], v[141:142], v[145:146]
	ds_load_b128 v[141:144], v1 offset:1024
	v_fma_f64 v[139:140], v[139:140], v[22:23], v[151:152]
	v_fma_f64 v[137:138], v[137:138], v[22:23], -v[24:25]
	scratch_load_b128 v[22:25], off, off offset:480
	v_fma_f64 v[151:152], v[4:5], v[26:27], v[155:156]
	v_add_f64_e32 v[149:150], v[149:150], v[153:154]
	v_add_f64_e32 v[145:146], v[145:146], v[147:148]
	v_fma_f64 v[153:154], v[2:3], v[26:27], -v[28:29]
	ds_load_b128 v[2:5], v1 offset:1040
	s_wait_loadcnt_dscnt 0x801
	v_mul_f64_e32 v[147:148], v[141:142], v[32:33]
	v_mul_f64_e32 v[32:33], v[143:144], v[32:33]
	scratch_load_b128 v[26:29], off, off offset:496
	s_wait_loadcnt_dscnt 0x800
	v_mul_f64_e32 v[155:156], v[2:3], v[36:37]
	v_mul_f64_e32 v[36:37], v[4:5], v[36:37]
	v_add_f64_e32 v[149:150], v[149:150], v[137:138]
	v_add_f64_e32 v[145:146], v[145:146], v[139:140]
	ds_load_b128 v[137:140], v1 offset:1056
	v_fma_f64 v[143:144], v[143:144], v[30:31], v[147:148]
	v_fma_f64 v[141:142], v[141:142], v[30:31], -v[32:33]
	scratch_load_b128 v[30:33], off, off offset:512
	v_add_f64_e32 v[147:148], v[149:150], v[153:154]
	v_add_f64_e32 v[145:146], v[145:146], v[151:152]
	v_fma_f64 v[151:152], v[4:5], v[34:35], v[155:156]
	v_fma_f64 v[153:154], v[2:3], v[34:35], -v[36:37]
	ds_load_b128 v[2:5], v1 offset:1072
	s_wait_loadcnt_dscnt 0x801
	v_mul_f64_e32 v[149:150], v[137:138], v[135:136]
	v_mul_f64_e32 v[135:136], v[139:140], v[135:136]
	scratch_load_b128 v[34:37], off, off offset:528
	s_wait_loadcnt_dscnt 0x800
	v_mul_f64_e32 v[155:156], v[2:3], v[40:41]
	v_mul_f64_e32 v[40:41], v[4:5], v[40:41]
	v_add_f64_e32 v[147:148], v[147:148], v[141:142]
	v_add_f64_e32 v[145:146], v[145:146], v[143:144]
	ds_load_b128 v[141:144], v1 offset:1088
	v_fma_f64 v[139:140], v[139:140], v[133:134], v[149:150]
	v_fma_f64 v[137:138], v[137:138], v[133:134], -v[135:136]
	scratch_load_b128 v[133:136], off, off offset:544
	v_add_f64_e32 v[147:148], v[147:148], v[153:154]
	v_add_f64_e32 v[145:146], v[145:146], v[151:152]
	v_fma_f64 v[151:152], v[4:5], v[38:39], v[155:156]
	;; [unrolled: 18-line block ×6, first 2 shown]
	v_fma_f64 v[155:156], v[2:3], v[34:35], -v[36:37]
	ds_load_b128 v[2:5], v1 offset:1232
	s_wait_loadcnt_dscnt 0x801
	v_mul_f64_e32 v[149:150], v[141:142], v[135:136]
	v_mul_f64_e32 v[151:152], v[143:144], v[135:136]
	scratch_load_b128 v[34:37], off, off offset:688
	v_add_f64_e32 v[147:148], v[147:148], v[137:138]
	v_add_f64_e32 v[139:140], v[145:146], v[139:140]
	s_wait_loadcnt_dscnt 0x800
	v_mul_f64_e32 v[145:146], v[2:3], v[40:41]
	v_mul_f64_e32 v[40:41], v[4:5], v[40:41]
	ds_load_b128 v[135:138], v1 offset:1248
	v_fma_f64 v[143:144], v[143:144], v[133:134], v[149:150]
	v_fma_f64 v[133:134], v[141:142], v[133:134], -v[151:152]
	v_add_f64_e32 v[141:142], v[147:148], v[155:156]
	v_add_f64_e32 v[139:140], v[139:140], v[153:154]
	s_wait_loadcnt_dscnt 0x700
	v_mul_f64_e32 v[147:148], v[135:136], v[8:9]
	v_mul_f64_e32 v[8:9], v[137:138], v[8:9]
	v_fma_f64 v[145:146], v[4:5], v[38:39], v[145:146]
	v_fma_f64 v[149:150], v[2:3], v[38:39], -v[40:41]
	ds_load_b128 v[2:5], v1 offset:1264
	ds_load_b128 v[38:41], v1 offset:1280
	v_add_f64_e32 v[133:134], v[141:142], v[133:134]
	v_add_f64_e32 v[139:140], v[139:140], v[143:144]
	s_wait_loadcnt_dscnt 0x601
	v_mul_f64_e32 v[141:142], v[2:3], v[12:13]
	v_mul_f64_e32 v[12:13], v[4:5], v[12:13]
	v_fma_f64 v[137:138], v[137:138], v[6:7], v[147:148]
	v_fma_f64 v[6:7], v[135:136], v[6:7], -v[8:9]
	s_wait_loadcnt_dscnt 0x500
	v_mul_f64_e32 v[135:136], v[38:39], v[16:17]
	v_mul_f64_e32 v[16:17], v[40:41], v[16:17]
	v_add_f64_e32 v[8:9], v[133:134], v[149:150]
	v_add_f64_e32 v[133:134], v[139:140], v[145:146]
	v_fma_f64 v[139:140], v[4:5], v[10:11], v[141:142]
	v_fma_f64 v[10:11], v[2:3], v[10:11], -v[12:13]
	v_fma_f64 v[40:41], v[40:41], v[14:15], v[135:136]
	v_fma_f64 v[14:15], v[38:39], v[14:15], -v[16:17]
	v_add_f64_e32 v[12:13], v[8:9], v[6:7]
	v_add_f64_e32 v[133:134], v[133:134], v[137:138]
	ds_load_b128 v[2:5], v1 offset:1296
	ds_load_b128 v[6:9], v1 offset:1312
	s_wait_loadcnt_dscnt 0x401
	v_mul_f64_e32 v[137:138], v[2:3], v[20:21]
	v_mul_f64_e32 v[20:21], v[4:5], v[20:21]
	s_wait_loadcnt_dscnt 0x300
	v_mul_f64_e32 v[16:17], v[6:7], v[24:25]
	v_mul_f64_e32 v[24:25], v[8:9], v[24:25]
	v_add_f64_e32 v[10:11], v[12:13], v[10:11]
	v_add_f64_e32 v[12:13], v[133:134], v[139:140]
	v_fma_f64 v[38:39], v[4:5], v[18:19], v[137:138]
	v_fma_f64 v[18:19], v[2:3], v[18:19], -v[20:21]
	v_fma_f64 v[8:9], v[8:9], v[22:23], v[16:17]
	v_fma_f64 v[6:7], v[6:7], v[22:23], -v[24:25]
	v_add_f64_e32 v[14:15], v[10:11], v[14:15]
	v_add_f64_e32 v[20:21], v[12:13], v[40:41]
	ds_load_b128 v[2:5], v1 offset:1328
	ds_load_b128 v[10:13], v1 offset:1344
	s_wait_loadcnt_dscnt 0x201
	v_mul_f64_e32 v[40:41], v[2:3], v[28:29]
	v_mul_f64_e32 v[28:29], v[4:5], v[28:29]
	v_add_f64_e32 v[14:15], v[14:15], v[18:19]
	v_add_f64_e32 v[16:17], v[20:21], v[38:39]
	s_wait_loadcnt_dscnt 0x100
	v_mul_f64_e32 v[18:19], v[10:11], v[32:33]
	v_mul_f64_e32 v[20:21], v[12:13], v[32:33]
	v_fma_f64 v[22:23], v[4:5], v[26:27], v[40:41]
	v_fma_f64 v[24:25], v[2:3], v[26:27], -v[28:29]
	ds_load_b128 v[2:5], v1 offset:1360
	v_add_f64_e32 v[6:7], v[14:15], v[6:7]
	v_add_f64_e32 v[8:9], v[16:17], v[8:9]
	v_fma_f64 v[12:13], v[12:13], v[30:31], v[18:19]
	v_fma_f64 v[10:11], v[10:11], v[30:31], -v[20:21]
	s_wait_loadcnt_dscnt 0x0
	v_mul_f64_e32 v[14:15], v[2:3], v[36:37]
	v_mul_f64_e32 v[16:17], v[4:5], v[36:37]
	v_add_f64_e32 v[6:7], v[6:7], v[24:25]
	v_add_f64_e32 v[8:9], v[8:9], v[22:23]
	s_delay_alu instid0(VALU_DEP_4) | instskip(NEXT) | instid1(VALU_DEP_4)
	v_fma_f64 v[4:5], v[4:5], v[34:35], v[14:15]
	v_fma_f64 v[2:3], v[2:3], v[34:35], -v[16:17]
	s_delay_alu instid0(VALU_DEP_4) | instskip(NEXT) | instid1(VALU_DEP_4)
	v_add_f64_e32 v[6:7], v[6:7], v[10:11]
	v_add_f64_e32 v[8:9], v[8:9], v[12:13]
	s_delay_alu instid0(VALU_DEP_2) | instskip(NEXT) | instid1(VALU_DEP_2)
	v_add_f64_e32 v[2:3], v[6:7], v[2:3]
	v_add_f64_e32 v[4:5], v[8:9], v[4:5]
	s_delay_alu instid0(VALU_DEP_2) | instskip(NEXT) | instid1(VALU_DEP_2)
	v_add_f64_e64 v[2:3], v[42:43], -v[2:3]
	v_add_f64_e64 v[4:5], v[44:45], -v[4:5]
	scratch_store_b128 off, v[2:5], off offset:64
	v_cmpx_lt_u32_e32 2, v0
	s_cbranch_execz .LBB42_267
; %bb.266:
	scratch_load_b128 v[5:8], off, s21
	v_dual_mov_b32 v2, v1 :: v_dual_mov_b32 v3, v1
	v_mov_b32_e32 v4, v1
	scratch_store_b128 off, v[1:4], off offset:48
	s_wait_loadcnt 0x0
	ds_store_b128 v132, v[5:8]
.LBB42_267:
	s_wait_alu 0xfffe
	s_or_b32 exec_lo, exec_lo, s0
	s_wait_storecnt_dscnt 0x0
	s_barrier_signal -1
	s_barrier_wait -1
	global_inv scope:SCOPE_SE
	s_clause 0x8
	scratch_load_b128 v[2:5], off, off offset:64
	scratch_load_b128 v[6:9], off, off offset:80
	;; [unrolled: 1-line block ×9, first 2 shown]
	ds_load_b128 v[42:45], v1 offset:736
	ds_load_b128 v[38:41], v1 offset:752
	s_clause 0x1
	scratch_load_b128 v[133:136], off, off offset:48
	scratch_load_b128 v[137:140], off, off offset:208
	s_mov_b32 s0, exec_lo
	s_wait_loadcnt_dscnt 0xa01
	v_mul_f64_e32 v[141:142], v[44:45], v[4:5]
	v_mul_f64_e32 v[4:5], v[42:43], v[4:5]
	s_wait_loadcnt_dscnt 0x900
	v_mul_f64_e32 v[145:146], v[38:39], v[8:9]
	v_mul_f64_e32 v[8:9], v[40:41], v[8:9]
	s_delay_alu instid0(VALU_DEP_4) | instskip(NEXT) | instid1(VALU_DEP_4)
	v_fma_f64 v[147:148], v[42:43], v[2:3], -v[141:142]
	v_fma_f64 v[149:150], v[44:45], v[2:3], v[4:5]
	ds_load_b128 v[2:5], v1 offset:768
	ds_load_b128 v[141:144], v1 offset:784
	scratch_load_b128 v[42:45], off, off offset:224
	v_fma_f64 v[40:41], v[40:41], v[6:7], v[145:146]
	v_fma_f64 v[38:39], v[38:39], v[6:7], -v[8:9]
	scratch_load_b128 v[6:9], off, off offset:240
	s_wait_loadcnt_dscnt 0xa01
	v_mul_f64_e32 v[151:152], v[2:3], v[12:13]
	v_mul_f64_e32 v[12:13], v[4:5], v[12:13]
	v_add_f64_e32 v[145:146], 0, v[147:148]
	v_add_f64_e32 v[147:148], 0, v[149:150]
	s_wait_loadcnt_dscnt 0x900
	v_mul_f64_e32 v[149:150], v[141:142], v[16:17]
	v_mul_f64_e32 v[16:17], v[143:144], v[16:17]
	v_fma_f64 v[151:152], v[4:5], v[10:11], v[151:152]
	v_fma_f64 v[153:154], v[2:3], v[10:11], -v[12:13]
	ds_load_b128 v[2:5], v1 offset:800
	scratch_load_b128 v[10:13], off, off offset:256
	v_add_f64_e32 v[145:146], v[145:146], v[38:39]
	v_add_f64_e32 v[147:148], v[147:148], v[40:41]
	ds_load_b128 v[38:41], v1 offset:816
	v_fma_f64 v[143:144], v[143:144], v[14:15], v[149:150]
	v_fma_f64 v[141:142], v[141:142], v[14:15], -v[16:17]
	scratch_load_b128 v[14:17], off, off offset:272
	s_wait_loadcnt_dscnt 0xa01
	v_mul_f64_e32 v[155:156], v[2:3], v[20:21]
	v_mul_f64_e32 v[20:21], v[4:5], v[20:21]
	s_wait_loadcnt_dscnt 0x900
	v_mul_f64_e32 v[149:150], v[38:39], v[24:25]
	v_mul_f64_e32 v[24:25], v[40:41], v[24:25]
	v_add_f64_e32 v[145:146], v[145:146], v[153:154]
	v_add_f64_e32 v[147:148], v[147:148], v[151:152]
	v_fma_f64 v[151:152], v[4:5], v[18:19], v[155:156]
	v_fma_f64 v[153:154], v[2:3], v[18:19], -v[20:21]
	ds_load_b128 v[2:5], v1 offset:832
	scratch_load_b128 v[18:21], off, off offset:288
	v_fma_f64 v[40:41], v[40:41], v[22:23], v[149:150]
	v_fma_f64 v[38:39], v[38:39], v[22:23], -v[24:25]
	scratch_load_b128 v[22:25], off, off offset:304
	v_add_f64_e32 v[145:146], v[145:146], v[141:142]
	v_add_f64_e32 v[147:148], v[147:148], v[143:144]
	ds_load_b128 v[141:144], v1 offset:848
	s_wait_loadcnt_dscnt 0xa01
	v_mul_f64_e32 v[155:156], v[2:3], v[28:29]
	v_mul_f64_e32 v[28:29], v[4:5], v[28:29]
	s_wait_loadcnt_dscnt 0x900
	v_mul_f64_e32 v[149:150], v[141:142], v[32:33]
	v_mul_f64_e32 v[32:33], v[143:144], v[32:33]
	v_add_f64_e32 v[145:146], v[145:146], v[153:154]
	v_add_f64_e32 v[147:148], v[147:148], v[151:152]
	v_fma_f64 v[151:152], v[4:5], v[26:27], v[155:156]
	v_fma_f64 v[153:154], v[2:3], v[26:27], -v[28:29]
	ds_load_b128 v[2:5], v1 offset:864
	scratch_load_b128 v[26:29], off, off offset:320
	v_fma_f64 v[143:144], v[143:144], v[30:31], v[149:150]
	v_fma_f64 v[141:142], v[141:142], v[30:31], -v[32:33]
	scratch_load_b128 v[30:33], off, off offset:336
	v_add_f64_e32 v[145:146], v[145:146], v[38:39]
	v_add_f64_e32 v[147:148], v[147:148], v[40:41]
	ds_load_b128 v[38:41], v1 offset:880
	s_wait_loadcnt_dscnt 0xa01
	v_mul_f64_e32 v[155:156], v[2:3], v[36:37]
	v_mul_f64_e32 v[36:37], v[4:5], v[36:37]
	s_wait_loadcnt_dscnt 0x800
	v_mul_f64_e32 v[149:150], v[38:39], v[139:140]
	v_add_f64_e32 v[145:146], v[145:146], v[153:154]
	v_add_f64_e32 v[147:148], v[147:148], v[151:152]
	v_mul_f64_e32 v[151:152], v[40:41], v[139:140]
	v_fma_f64 v[153:154], v[4:5], v[34:35], v[155:156]
	v_fma_f64 v[155:156], v[2:3], v[34:35], -v[36:37]
	ds_load_b128 v[2:5], v1 offset:896
	scratch_load_b128 v[34:37], off, off offset:352
	v_fma_f64 v[149:150], v[40:41], v[137:138], v[149:150]
	v_add_f64_e32 v[145:146], v[145:146], v[141:142]
	v_add_f64_e32 v[143:144], v[147:148], v[143:144]
	ds_load_b128 v[139:142], v1 offset:912
	v_fma_f64 v[137:138], v[38:39], v[137:138], -v[151:152]
	scratch_load_b128 v[38:41], off, off offset:368
	s_wait_loadcnt_dscnt 0x901
	v_mul_f64_e32 v[147:148], v[2:3], v[44:45]
	v_mul_f64_e32 v[44:45], v[4:5], v[44:45]
	s_wait_loadcnt_dscnt 0x800
	v_mul_f64_e32 v[151:152], v[139:140], v[8:9]
	v_mul_f64_e32 v[8:9], v[141:142], v[8:9]
	v_add_f64_e32 v[145:146], v[145:146], v[155:156]
	v_add_f64_e32 v[143:144], v[143:144], v[153:154]
	v_fma_f64 v[147:148], v[4:5], v[42:43], v[147:148]
	v_fma_f64 v[153:154], v[2:3], v[42:43], -v[44:45]
	ds_load_b128 v[2:5], v1 offset:928
	scratch_load_b128 v[42:45], off, off offset:384
	v_fma_f64 v[141:142], v[141:142], v[6:7], v[151:152]
	v_fma_f64 v[139:140], v[139:140], v[6:7], -v[8:9]
	scratch_load_b128 v[6:9], off, off offset:400
	v_add_f64_e32 v[137:138], v[145:146], v[137:138]
	v_add_f64_e32 v[149:150], v[143:144], v[149:150]
	ds_load_b128 v[143:146], v1 offset:944
	s_wait_loadcnt_dscnt 0x901
	v_mul_f64_e32 v[155:156], v[2:3], v[12:13]
	v_mul_f64_e32 v[12:13], v[4:5], v[12:13]
	v_add_f64_e32 v[137:138], v[137:138], v[153:154]
	v_add_f64_e32 v[147:148], v[149:150], v[147:148]
	s_wait_loadcnt_dscnt 0x800
	v_mul_f64_e32 v[149:150], v[143:144], v[16:17]
	v_mul_f64_e32 v[16:17], v[145:146], v[16:17]
	v_fma_f64 v[151:152], v[4:5], v[10:11], v[155:156]
	v_fma_f64 v[153:154], v[2:3], v[10:11], -v[12:13]
	ds_load_b128 v[2:5], v1 offset:960
	scratch_load_b128 v[10:13], off, off offset:416
	v_add_f64_e32 v[155:156], v[137:138], v[139:140]
	v_add_f64_e32 v[141:142], v[147:148], v[141:142]
	ds_load_b128 v[137:140], v1 offset:976
	s_wait_loadcnt_dscnt 0x801
	v_mul_f64_e32 v[147:148], v[2:3], v[20:21]
	v_mul_f64_e32 v[20:21], v[4:5], v[20:21]
	v_fma_f64 v[145:146], v[145:146], v[14:15], v[149:150]
	v_fma_f64 v[143:144], v[143:144], v[14:15], -v[16:17]
	scratch_load_b128 v[14:17], off, off offset:432
	v_add_f64_e32 v[149:150], v[155:156], v[153:154]
	v_add_f64_e32 v[141:142], v[141:142], v[151:152]
	s_wait_loadcnt_dscnt 0x800
	v_mul_f64_e32 v[151:152], v[137:138], v[24:25]
	v_mul_f64_e32 v[24:25], v[139:140], v[24:25]
	v_fma_f64 v[147:148], v[4:5], v[18:19], v[147:148]
	v_fma_f64 v[153:154], v[2:3], v[18:19], -v[20:21]
	ds_load_b128 v[2:5], v1 offset:992
	scratch_load_b128 v[18:21], off, off offset:448
	v_add_f64_e32 v[149:150], v[149:150], v[143:144]
	v_add_f64_e32 v[145:146], v[141:142], v[145:146]
	ds_load_b128 v[141:144], v1 offset:1008
	s_wait_loadcnt_dscnt 0x801
	v_mul_f64_e32 v[155:156], v[2:3], v[28:29]
	v_mul_f64_e32 v[28:29], v[4:5], v[28:29]
	v_fma_f64 v[139:140], v[139:140], v[22:23], v[151:152]
	v_fma_f64 v[137:138], v[137:138], v[22:23], -v[24:25]
	scratch_load_b128 v[22:25], off, off offset:464
	;; [unrolled: 18-line block ×4, first 2 shown]
	s_wait_loadcnt_dscnt 0x800
	v_mul_f64_e32 v[149:150], v[141:142], v[8:9]
	v_mul_f64_e32 v[8:9], v[143:144], v[8:9]
	v_add_f64_e32 v[147:148], v[147:148], v[153:154]
	v_add_f64_e32 v[145:146], v[145:146], v[151:152]
	v_fma_f64 v[151:152], v[4:5], v[42:43], v[155:156]
	v_fma_f64 v[153:154], v[2:3], v[42:43], -v[44:45]
	ds_load_b128 v[2:5], v1 offset:1088
	scratch_load_b128 v[42:45], off, off offset:544
	v_fma_f64 v[143:144], v[143:144], v[6:7], v[149:150]
	v_fma_f64 v[141:142], v[141:142], v[6:7], -v[8:9]
	scratch_load_b128 v[6:9], off, off offset:560
	v_add_f64_e32 v[147:148], v[147:148], v[137:138]
	v_add_f64_e32 v[145:146], v[145:146], v[139:140]
	ds_load_b128 v[137:140], v1 offset:1104
	s_wait_loadcnt_dscnt 0x901
	v_mul_f64_e32 v[155:156], v[2:3], v[12:13]
	v_mul_f64_e32 v[12:13], v[4:5], v[12:13]
	s_wait_loadcnt_dscnt 0x800
	v_mul_f64_e32 v[149:150], v[137:138], v[16:17]
	v_mul_f64_e32 v[16:17], v[139:140], v[16:17]
	v_add_f64_e32 v[147:148], v[147:148], v[153:154]
	v_add_f64_e32 v[145:146], v[145:146], v[151:152]
	v_fma_f64 v[151:152], v[4:5], v[10:11], v[155:156]
	v_fma_f64 v[153:154], v[2:3], v[10:11], -v[12:13]
	ds_load_b128 v[2:5], v1 offset:1120
	scratch_load_b128 v[10:13], off, off offset:576
	v_fma_f64 v[139:140], v[139:140], v[14:15], v[149:150]
	v_fma_f64 v[137:138], v[137:138], v[14:15], -v[16:17]
	scratch_load_b128 v[14:17], off, off offset:592
	v_add_f64_e32 v[147:148], v[147:148], v[141:142]
	v_add_f64_e32 v[145:146], v[145:146], v[143:144]
	ds_load_b128 v[141:144], v1 offset:1136
	s_wait_loadcnt_dscnt 0x901
	v_mul_f64_e32 v[155:156], v[2:3], v[20:21]
	v_mul_f64_e32 v[20:21], v[4:5], v[20:21]
	;; [unrolled: 18-line block ×5, first 2 shown]
	s_wait_loadcnt_dscnt 0x800
	v_mul_f64_e32 v[149:150], v[137:138], v[8:9]
	v_mul_f64_e32 v[8:9], v[139:140], v[8:9]
	v_add_f64_e32 v[147:148], v[147:148], v[153:154]
	v_add_f64_e32 v[145:146], v[145:146], v[151:152]
	v_fma_f64 v[151:152], v[4:5], v[42:43], v[155:156]
	v_fma_f64 v[153:154], v[2:3], v[42:43], -v[44:45]
	ds_load_b128 v[2:5], v1 offset:1248
	ds_load_b128 v[42:45], v1 offset:1264
	v_fma_f64 v[139:140], v[139:140], v[6:7], v[149:150]
	v_fma_f64 v[6:7], v[137:138], v[6:7], -v[8:9]
	v_add_f64_e32 v[141:142], v[147:148], v[141:142]
	v_add_f64_e32 v[143:144], v[145:146], v[143:144]
	s_wait_loadcnt_dscnt 0x701
	v_mul_f64_e32 v[145:146], v[2:3], v[12:13]
	v_mul_f64_e32 v[12:13], v[4:5], v[12:13]
	s_delay_alu instid0(VALU_DEP_4) | instskip(NEXT) | instid1(VALU_DEP_4)
	v_add_f64_e32 v[8:9], v[141:142], v[153:154]
	v_add_f64_e32 v[137:138], v[143:144], v[151:152]
	s_wait_loadcnt_dscnt 0x600
	v_mul_f64_e32 v[141:142], v[42:43], v[16:17]
	v_mul_f64_e32 v[16:17], v[44:45], v[16:17]
	v_fma_f64 v[143:144], v[4:5], v[10:11], v[145:146]
	v_fma_f64 v[10:11], v[2:3], v[10:11], -v[12:13]
	v_add_f64_e32 v[12:13], v[8:9], v[6:7]
	v_add_f64_e32 v[137:138], v[137:138], v[139:140]
	ds_load_b128 v[2:5], v1 offset:1280
	ds_load_b128 v[6:9], v1 offset:1296
	v_fma_f64 v[44:45], v[44:45], v[14:15], v[141:142]
	v_fma_f64 v[14:15], v[42:43], v[14:15], -v[16:17]
	s_wait_loadcnt_dscnt 0x501
	v_mul_f64_e32 v[139:140], v[2:3], v[20:21]
	v_mul_f64_e32 v[20:21], v[4:5], v[20:21]
	s_wait_loadcnt_dscnt 0x400
	v_mul_f64_e32 v[16:17], v[6:7], v[24:25]
	v_mul_f64_e32 v[24:25], v[8:9], v[24:25]
	v_add_f64_e32 v[10:11], v[12:13], v[10:11]
	v_add_f64_e32 v[12:13], v[137:138], v[143:144]
	v_fma_f64 v[42:43], v[4:5], v[18:19], v[139:140]
	v_fma_f64 v[18:19], v[2:3], v[18:19], -v[20:21]
	v_fma_f64 v[8:9], v[8:9], v[22:23], v[16:17]
	v_fma_f64 v[6:7], v[6:7], v[22:23], -v[24:25]
	v_add_f64_e32 v[14:15], v[10:11], v[14:15]
	v_add_f64_e32 v[20:21], v[12:13], v[44:45]
	ds_load_b128 v[2:5], v1 offset:1312
	ds_load_b128 v[10:13], v1 offset:1328
	s_wait_loadcnt_dscnt 0x301
	v_mul_f64_e32 v[44:45], v[2:3], v[28:29]
	v_mul_f64_e32 v[28:29], v[4:5], v[28:29]
	v_add_f64_e32 v[14:15], v[14:15], v[18:19]
	v_add_f64_e32 v[16:17], v[20:21], v[42:43]
	s_wait_loadcnt_dscnt 0x200
	v_mul_f64_e32 v[18:19], v[10:11], v[32:33]
	v_mul_f64_e32 v[20:21], v[12:13], v[32:33]
	v_fma_f64 v[22:23], v[4:5], v[26:27], v[44:45]
	v_fma_f64 v[24:25], v[2:3], v[26:27], -v[28:29]
	v_add_f64_e32 v[14:15], v[14:15], v[6:7]
	v_add_f64_e32 v[16:17], v[16:17], v[8:9]
	ds_load_b128 v[2:5], v1 offset:1344
	ds_load_b128 v[6:9], v1 offset:1360
	v_fma_f64 v[12:13], v[12:13], v[30:31], v[18:19]
	v_fma_f64 v[10:11], v[10:11], v[30:31], -v[20:21]
	s_wait_loadcnt_dscnt 0x101
	v_mul_f64_e32 v[26:27], v[2:3], v[36:37]
	v_mul_f64_e32 v[28:29], v[4:5], v[36:37]
	s_wait_loadcnt_dscnt 0x0
	v_mul_f64_e32 v[18:19], v[6:7], v[40:41]
	v_mul_f64_e32 v[20:21], v[8:9], v[40:41]
	v_add_f64_e32 v[14:15], v[14:15], v[24:25]
	v_add_f64_e32 v[16:17], v[16:17], v[22:23]
	v_fma_f64 v[4:5], v[4:5], v[34:35], v[26:27]
	v_fma_f64 v[1:2], v[2:3], v[34:35], -v[28:29]
	v_fma_f64 v[8:9], v[8:9], v[38:39], v[18:19]
	v_fma_f64 v[6:7], v[6:7], v[38:39], -v[20:21]
	v_add_f64_e32 v[10:11], v[14:15], v[10:11]
	v_add_f64_e32 v[12:13], v[16:17], v[12:13]
	s_delay_alu instid0(VALU_DEP_2) | instskip(NEXT) | instid1(VALU_DEP_2)
	v_add_f64_e32 v[1:2], v[10:11], v[1:2]
	v_add_f64_e32 v[3:4], v[12:13], v[4:5]
	s_delay_alu instid0(VALU_DEP_2) | instskip(NEXT) | instid1(VALU_DEP_2)
	;; [unrolled: 3-line block ×3, first 2 shown]
	v_add_f64_e64 v[1:2], v[133:134], -v[1:2]
	v_add_f64_e64 v[3:4], v[135:136], -v[3:4]
	scratch_store_b128 off, v[1:4], off offset:48
	v_cmpx_lt_u32_e32 1, v0
	s_cbranch_execz .LBB42_269
; %bb.268:
	scratch_load_b128 v[1:4], off, s23
	v_mov_b32_e32 v5, 0
	s_delay_alu instid0(VALU_DEP_1)
	v_dual_mov_b32 v6, v5 :: v_dual_mov_b32 v7, v5
	v_mov_b32_e32 v8, v5
	scratch_store_b128 off, v[5:8], off offset:32
	s_wait_loadcnt 0x0
	ds_store_b128 v132, v[1:4]
.LBB42_269:
	s_wait_alu 0xfffe
	s_or_b32 exec_lo, exec_lo, s0
	s_wait_storecnt_dscnt 0x0
	s_barrier_signal -1
	s_barrier_wait -1
	global_inv scope:SCOPE_SE
	s_clause 0x7
	scratch_load_b128 v[2:5], off, off offset:48
	scratch_load_b128 v[6:9], off, off offset:64
	;; [unrolled: 1-line block ×8, first 2 shown]
	v_mov_b32_e32 v1, 0
	s_mov_b32 s0, exec_lo
	ds_load_b128 v[38:41], v1 offset:720
	s_clause 0x1
	scratch_load_b128 v[34:37], off, off offset:176
	scratch_load_b128 v[42:45], off, off offset:32
	ds_load_b128 v[133:136], v1 offset:736
	scratch_load_b128 v[137:140], off, off offset:192
	s_wait_loadcnt_dscnt 0xa01
	v_mul_f64_e32 v[141:142], v[40:41], v[4:5]
	v_mul_f64_e32 v[4:5], v[38:39], v[4:5]
	s_delay_alu instid0(VALU_DEP_2) | instskip(NEXT) | instid1(VALU_DEP_2)
	v_fma_f64 v[147:148], v[38:39], v[2:3], -v[141:142]
	v_fma_f64 v[149:150], v[40:41], v[2:3], v[4:5]
	ds_load_b128 v[2:5], v1 offset:752
	s_wait_loadcnt_dscnt 0x901
	v_mul_f64_e32 v[145:146], v[133:134], v[8:9]
	v_mul_f64_e32 v[8:9], v[135:136], v[8:9]
	scratch_load_b128 v[38:41], off, off offset:208
	ds_load_b128 v[141:144], v1 offset:768
	s_wait_loadcnt_dscnt 0x901
	v_mul_f64_e32 v[151:152], v[2:3], v[12:13]
	v_mul_f64_e32 v[12:13], v[4:5], v[12:13]
	v_fma_f64 v[135:136], v[135:136], v[6:7], v[145:146]
	v_fma_f64 v[133:134], v[133:134], v[6:7], -v[8:9]
	v_add_f64_e32 v[145:146], 0, v[147:148]
	v_add_f64_e32 v[147:148], 0, v[149:150]
	scratch_load_b128 v[6:9], off, off offset:224
	v_fma_f64 v[151:152], v[4:5], v[10:11], v[151:152]
	v_fma_f64 v[153:154], v[2:3], v[10:11], -v[12:13]
	ds_load_b128 v[2:5], v1 offset:784
	s_wait_loadcnt_dscnt 0x901
	v_mul_f64_e32 v[149:150], v[141:142], v[16:17]
	v_mul_f64_e32 v[16:17], v[143:144], v[16:17]
	scratch_load_b128 v[10:13], off, off offset:240
	v_add_f64_e32 v[145:146], v[145:146], v[133:134]
	v_add_f64_e32 v[147:148], v[147:148], v[135:136]
	s_wait_loadcnt_dscnt 0x900
	v_mul_f64_e32 v[155:156], v[2:3], v[20:21]
	v_mul_f64_e32 v[20:21], v[4:5], v[20:21]
	ds_load_b128 v[133:136], v1 offset:800
	v_fma_f64 v[143:144], v[143:144], v[14:15], v[149:150]
	v_fma_f64 v[141:142], v[141:142], v[14:15], -v[16:17]
	scratch_load_b128 v[14:17], off, off offset:256
	v_add_f64_e32 v[145:146], v[145:146], v[153:154]
	v_add_f64_e32 v[147:148], v[147:148], v[151:152]
	v_fma_f64 v[151:152], v[4:5], v[18:19], v[155:156]
	v_fma_f64 v[153:154], v[2:3], v[18:19], -v[20:21]
	ds_load_b128 v[2:5], v1 offset:816
	s_wait_loadcnt_dscnt 0x901
	v_mul_f64_e32 v[149:150], v[133:134], v[24:25]
	v_mul_f64_e32 v[24:25], v[135:136], v[24:25]
	scratch_load_b128 v[18:21], off, off offset:272
	s_wait_loadcnt_dscnt 0x900
	v_mul_f64_e32 v[155:156], v[2:3], v[28:29]
	v_mul_f64_e32 v[28:29], v[4:5], v[28:29]
	v_add_f64_e32 v[145:146], v[145:146], v[141:142]
	v_add_f64_e32 v[147:148], v[147:148], v[143:144]
	ds_load_b128 v[141:144], v1 offset:832
	v_fma_f64 v[135:136], v[135:136], v[22:23], v[149:150]
	v_fma_f64 v[133:134], v[133:134], v[22:23], -v[24:25]
	scratch_load_b128 v[22:25], off, off offset:288
	v_add_f64_e32 v[145:146], v[145:146], v[153:154]
	v_add_f64_e32 v[147:148], v[147:148], v[151:152]
	v_fma_f64 v[151:152], v[4:5], v[26:27], v[155:156]
	v_fma_f64 v[153:154], v[2:3], v[26:27], -v[28:29]
	ds_load_b128 v[2:5], v1 offset:848
	s_wait_loadcnt_dscnt 0x901
	v_mul_f64_e32 v[149:150], v[141:142], v[32:33]
	v_mul_f64_e32 v[32:33], v[143:144], v[32:33]
	scratch_load_b128 v[26:29], off, off offset:304
	s_wait_loadcnt_dscnt 0x900
	v_mul_f64_e32 v[155:156], v[2:3], v[36:37]
	v_mul_f64_e32 v[36:37], v[4:5], v[36:37]
	v_add_f64_e32 v[145:146], v[145:146], v[133:134]
	v_add_f64_e32 v[147:148], v[147:148], v[135:136]
	ds_load_b128 v[133:136], v1 offset:864
	v_fma_f64 v[143:144], v[143:144], v[30:31], v[149:150]
	v_fma_f64 v[141:142], v[141:142], v[30:31], -v[32:33]
	scratch_load_b128 v[30:33], off, off offset:320
	v_add_f64_e32 v[145:146], v[145:146], v[153:154]
	v_add_f64_e32 v[147:148], v[147:148], v[151:152]
	v_fma_f64 v[153:154], v[4:5], v[34:35], v[155:156]
	v_fma_f64 v[155:156], v[2:3], v[34:35], -v[36:37]
	ds_load_b128 v[2:5], v1 offset:880
	s_wait_loadcnt_dscnt 0x801
	v_mul_f64_e32 v[149:150], v[133:134], v[139:140]
	v_mul_f64_e32 v[151:152], v[135:136], v[139:140]
	scratch_load_b128 v[34:37], off, off offset:336
	v_add_f64_e32 v[145:146], v[145:146], v[141:142]
	v_add_f64_e32 v[143:144], v[147:148], v[143:144]
	ds_load_b128 v[139:142], v1 offset:896
	v_fma_f64 v[149:150], v[135:136], v[137:138], v[149:150]
	v_fma_f64 v[137:138], v[133:134], v[137:138], -v[151:152]
	scratch_load_b128 v[133:136], off, off offset:352
	s_wait_loadcnt_dscnt 0x901
	v_mul_f64_e32 v[147:148], v[2:3], v[40:41]
	v_mul_f64_e32 v[40:41], v[4:5], v[40:41]
	v_add_f64_e32 v[145:146], v[145:146], v[155:156]
	v_add_f64_e32 v[143:144], v[143:144], v[153:154]
	s_delay_alu instid0(VALU_DEP_4) | instskip(NEXT) | instid1(VALU_DEP_4)
	v_fma_f64 v[147:148], v[4:5], v[38:39], v[147:148]
	v_fma_f64 v[153:154], v[2:3], v[38:39], -v[40:41]
	ds_load_b128 v[2:5], v1 offset:912
	s_wait_loadcnt_dscnt 0x801
	v_mul_f64_e32 v[151:152], v[139:140], v[8:9]
	v_mul_f64_e32 v[8:9], v[141:142], v[8:9]
	scratch_load_b128 v[38:41], off, off offset:368
	s_wait_loadcnt_dscnt 0x800
	v_mul_f64_e32 v[155:156], v[2:3], v[12:13]
	v_add_f64_e32 v[137:138], v[145:146], v[137:138]
	v_add_f64_e32 v[149:150], v[143:144], v[149:150]
	v_mul_f64_e32 v[12:13], v[4:5], v[12:13]
	ds_load_b128 v[143:146], v1 offset:928
	v_fma_f64 v[141:142], v[141:142], v[6:7], v[151:152]
	v_fma_f64 v[139:140], v[139:140], v[6:7], -v[8:9]
	scratch_load_b128 v[6:9], off, off offset:384
	v_fma_f64 v[151:152], v[4:5], v[10:11], v[155:156]
	v_add_f64_e32 v[137:138], v[137:138], v[153:154]
	v_add_f64_e32 v[147:148], v[149:150], v[147:148]
	v_fma_f64 v[153:154], v[2:3], v[10:11], -v[12:13]
	ds_load_b128 v[2:5], v1 offset:944
	s_wait_loadcnt_dscnt 0x801
	v_mul_f64_e32 v[149:150], v[143:144], v[16:17]
	v_mul_f64_e32 v[16:17], v[145:146], v[16:17]
	scratch_load_b128 v[10:13], off, off offset:400
	v_add_f64_e32 v[155:156], v[137:138], v[139:140]
	v_add_f64_e32 v[141:142], v[147:148], v[141:142]
	s_wait_loadcnt_dscnt 0x800
	v_mul_f64_e32 v[147:148], v[2:3], v[20:21]
	v_mul_f64_e32 v[20:21], v[4:5], v[20:21]
	v_fma_f64 v[145:146], v[145:146], v[14:15], v[149:150]
	v_fma_f64 v[143:144], v[143:144], v[14:15], -v[16:17]
	ds_load_b128 v[137:140], v1 offset:960
	scratch_load_b128 v[14:17], off, off offset:416
	v_add_f64_e32 v[149:150], v[155:156], v[153:154]
	v_add_f64_e32 v[141:142], v[141:142], v[151:152]
	v_fma_f64 v[147:148], v[4:5], v[18:19], v[147:148]
	v_fma_f64 v[153:154], v[2:3], v[18:19], -v[20:21]
	ds_load_b128 v[2:5], v1 offset:976
	s_wait_loadcnt_dscnt 0x801
	v_mul_f64_e32 v[151:152], v[137:138], v[24:25]
	v_mul_f64_e32 v[24:25], v[139:140], v[24:25]
	scratch_load_b128 v[18:21], off, off offset:432
	s_wait_loadcnt_dscnt 0x800
	v_mul_f64_e32 v[155:156], v[2:3], v[28:29]
	v_mul_f64_e32 v[28:29], v[4:5], v[28:29]
	v_add_f64_e32 v[149:150], v[149:150], v[143:144]
	v_add_f64_e32 v[145:146], v[141:142], v[145:146]
	ds_load_b128 v[141:144], v1 offset:992
	v_fma_f64 v[139:140], v[139:140], v[22:23], v[151:152]
	v_fma_f64 v[137:138], v[137:138], v[22:23], -v[24:25]
	scratch_load_b128 v[22:25], off, off offset:448
	v_fma_f64 v[151:152], v[4:5], v[26:27], v[155:156]
	v_add_f64_e32 v[149:150], v[149:150], v[153:154]
	v_add_f64_e32 v[145:146], v[145:146], v[147:148]
	v_fma_f64 v[153:154], v[2:3], v[26:27], -v[28:29]
	ds_load_b128 v[2:5], v1 offset:1008
	s_wait_loadcnt_dscnt 0x801
	v_mul_f64_e32 v[147:148], v[141:142], v[32:33]
	v_mul_f64_e32 v[32:33], v[143:144], v[32:33]
	scratch_load_b128 v[26:29], off, off offset:464
	s_wait_loadcnt_dscnt 0x800
	v_mul_f64_e32 v[155:156], v[2:3], v[36:37]
	v_mul_f64_e32 v[36:37], v[4:5], v[36:37]
	v_add_f64_e32 v[149:150], v[149:150], v[137:138]
	v_add_f64_e32 v[145:146], v[145:146], v[139:140]
	ds_load_b128 v[137:140], v1 offset:1024
	v_fma_f64 v[143:144], v[143:144], v[30:31], v[147:148]
	v_fma_f64 v[141:142], v[141:142], v[30:31], -v[32:33]
	scratch_load_b128 v[30:33], off, off offset:480
	v_add_f64_e32 v[147:148], v[149:150], v[153:154]
	v_add_f64_e32 v[145:146], v[145:146], v[151:152]
	v_fma_f64 v[151:152], v[4:5], v[34:35], v[155:156]
	v_fma_f64 v[153:154], v[2:3], v[34:35], -v[36:37]
	ds_load_b128 v[2:5], v1 offset:1040
	s_wait_loadcnt_dscnt 0x801
	v_mul_f64_e32 v[149:150], v[137:138], v[135:136]
	v_mul_f64_e32 v[135:136], v[139:140], v[135:136]
	scratch_load_b128 v[34:37], off, off offset:496
	s_wait_loadcnt_dscnt 0x800
	v_mul_f64_e32 v[155:156], v[2:3], v[40:41]
	v_mul_f64_e32 v[40:41], v[4:5], v[40:41]
	v_add_f64_e32 v[147:148], v[147:148], v[141:142]
	v_add_f64_e32 v[145:146], v[145:146], v[143:144]
	ds_load_b128 v[141:144], v1 offset:1056
	v_fma_f64 v[139:140], v[139:140], v[133:134], v[149:150]
	v_fma_f64 v[137:138], v[137:138], v[133:134], -v[135:136]
	scratch_load_b128 v[133:136], off, off offset:512
	v_add_f64_e32 v[147:148], v[147:148], v[153:154]
	v_add_f64_e32 v[145:146], v[145:146], v[151:152]
	v_fma_f64 v[151:152], v[4:5], v[38:39], v[155:156]
	;; [unrolled: 18-line block ×6, first 2 shown]
	v_fma_f64 v[155:156], v[2:3], v[34:35], -v[36:37]
	ds_load_b128 v[2:5], v1 offset:1200
	s_wait_loadcnt_dscnt 0x801
	v_mul_f64_e32 v[149:150], v[141:142], v[135:136]
	v_mul_f64_e32 v[151:152], v[143:144], v[135:136]
	scratch_load_b128 v[34:37], off, off offset:656
	v_add_f64_e32 v[147:148], v[147:148], v[137:138]
	v_add_f64_e32 v[139:140], v[145:146], v[139:140]
	s_wait_loadcnt_dscnt 0x800
	v_mul_f64_e32 v[145:146], v[2:3], v[40:41]
	v_mul_f64_e32 v[40:41], v[4:5], v[40:41]
	ds_load_b128 v[135:138], v1 offset:1216
	v_fma_f64 v[143:144], v[143:144], v[133:134], v[149:150]
	v_fma_f64 v[133:134], v[141:142], v[133:134], -v[151:152]
	v_add_f64_e32 v[147:148], v[147:148], v[155:156]
	v_add_f64_e32 v[149:150], v[139:140], v[153:154]
	scratch_load_b128 v[139:142], off, off offset:672
	v_fma_f64 v[153:154], v[4:5], v[38:39], v[145:146]
	v_fma_f64 v[155:156], v[2:3], v[38:39], -v[40:41]
	ds_load_b128 v[2:5], v1 offset:1232
	s_wait_loadcnt_dscnt 0x801
	v_mul_f64_e32 v[151:152], v[135:136], v[8:9]
	v_mul_f64_e32 v[8:9], v[137:138], v[8:9]
	scratch_load_b128 v[38:41], off, off offset:688
	v_add_f64_e32 v[133:134], v[147:148], v[133:134]
	v_add_f64_e32 v[147:148], v[149:150], v[143:144]
	s_wait_loadcnt_dscnt 0x800
	v_mul_f64_e32 v[149:150], v[2:3], v[12:13]
	v_mul_f64_e32 v[12:13], v[4:5], v[12:13]
	ds_load_b128 v[143:146], v1 offset:1248
	v_fma_f64 v[137:138], v[137:138], v[6:7], v[151:152]
	v_fma_f64 v[6:7], v[135:136], v[6:7], -v[8:9]
	s_wait_loadcnt_dscnt 0x700
	v_mul_f64_e32 v[135:136], v[143:144], v[16:17]
	v_mul_f64_e32 v[16:17], v[145:146], v[16:17]
	v_add_f64_e32 v[8:9], v[133:134], v[155:156]
	v_add_f64_e32 v[133:134], v[147:148], v[153:154]
	v_fma_f64 v[147:148], v[4:5], v[10:11], v[149:150]
	v_fma_f64 v[10:11], v[2:3], v[10:11], -v[12:13]
	v_fma_f64 v[135:136], v[145:146], v[14:15], v[135:136]
	v_fma_f64 v[14:15], v[143:144], v[14:15], -v[16:17]
	v_add_f64_e32 v[12:13], v[8:9], v[6:7]
	v_add_f64_e32 v[133:134], v[133:134], v[137:138]
	ds_load_b128 v[2:5], v1 offset:1264
	ds_load_b128 v[6:9], v1 offset:1280
	s_wait_loadcnt_dscnt 0x601
	v_mul_f64_e32 v[137:138], v[2:3], v[20:21]
	v_mul_f64_e32 v[20:21], v[4:5], v[20:21]
	s_wait_loadcnt_dscnt 0x500
	v_mul_f64_e32 v[16:17], v[6:7], v[24:25]
	v_mul_f64_e32 v[24:25], v[8:9], v[24:25]
	v_add_f64_e32 v[10:11], v[12:13], v[10:11]
	v_add_f64_e32 v[12:13], v[133:134], v[147:148]
	v_fma_f64 v[133:134], v[4:5], v[18:19], v[137:138]
	v_fma_f64 v[18:19], v[2:3], v[18:19], -v[20:21]
	v_fma_f64 v[8:9], v[8:9], v[22:23], v[16:17]
	v_fma_f64 v[6:7], v[6:7], v[22:23], -v[24:25]
	v_add_f64_e32 v[14:15], v[10:11], v[14:15]
	v_add_f64_e32 v[20:21], v[12:13], v[135:136]
	ds_load_b128 v[2:5], v1 offset:1296
	ds_load_b128 v[10:13], v1 offset:1312
	s_wait_loadcnt_dscnt 0x401
	v_mul_f64_e32 v[135:136], v[2:3], v[28:29]
	v_mul_f64_e32 v[28:29], v[4:5], v[28:29]
	v_add_f64_e32 v[14:15], v[14:15], v[18:19]
	v_add_f64_e32 v[16:17], v[20:21], v[133:134]
	s_wait_loadcnt_dscnt 0x300
	v_mul_f64_e32 v[18:19], v[10:11], v[32:33]
	v_mul_f64_e32 v[20:21], v[12:13], v[32:33]
	v_fma_f64 v[22:23], v[4:5], v[26:27], v[135:136]
	v_fma_f64 v[24:25], v[2:3], v[26:27], -v[28:29]
	v_add_f64_e32 v[14:15], v[14:15], v[6:7]
	v_add_f64_e32 v[16:17], v[16:17], v[8:9]
	ds_load_b128 v[2:5], v1 offset:1328
	ds_load_b128 v[6:9], v1 offset:1344
	v_fma_f64 v[12:13], v[12:13], v[30:31], v[18:19]
	v_fma_f64 v[10:11], v[10:11], v[30:31], -v[20:21]
	s_wait_loadcnt_dscnt 0x201
	v_mul_f64_e32 v[26:27], v[2:3], v[36:37]
	v_mul_f64_e32 v[28:29], v[4:5], v[36:37]
	v_add_f64_e32 v[14:15], v[14:15], v[24:25]
	v_add_f64_e32 v[16:17], v[16:17], v[22:23]
	s_wait_loadcnt_dscnt 0x100
	v_mul_f64_e32 v[18:19], v[6:7], v[141:142]
	v_mul_f64_e32 v[20:21], v[8:9], v[141:142]
	v_fma_f64 v[22:23], v[4:5], v[34:35], v[26:27]
	v_fma_f64 v[24:25], v[2:3], v[34:35], -v[28:29]
	ds_load_b128 v[2:5], v1 offset:1360
	v_add_f64_e32 v[10:11], v[14:15], v[10:11]
	v_add_f64_e32 v[12:13], v[16:17], v[12:13]
	s_wait_loadcnt_dscnt 0x0
	v_mul_f64_e32 v[14:15], v[2:3], v[40:41]
	v_mul_f64_e32 v[16:17], v[4:5], v[40:41]
	v_fma_f64 v[8:9], v[8:9], v[139:140], v[18:19]
	v_fma_f64 v[6:7], v[6:7], v[139:140], -v[20:21]
	v_add_f64_e32 v[10:11], v[10:11], v[24:25]
	v_add_f64_e32 v[12:13], v[12:13], v[22:23]
	v_fma_f64 v[4:5], v[4:5], v[38:39], v[14:15]
	v_fma_f64 v[2:3], v[2:3], v[38:39], -v[16:17]
	s_delay_alu instid0(VALU_DEP_4) | instskip(NEXT) | instid1(VALU_DEP_4)
	v_add_f64_e32 v[6:7], v[10:11], v[6:7]
	v_add_f64_e32 v[8:9], v[12:13], v[8:9]
	s_delay_alu instid0(VALU_DEP_2) | instskip(NEXT) | instid1(VALU_DEP_2)
	v_add_f64_e32 v[2:3], v[6:7], v[2:3]
	v_add_f64_e32 v[4:5], v[8:9], v[4:5]
	s_delay_alu instid0(VALU_DEP_2) | instskip(NEXT) | instid1(VALU_DEP_2)
	v_add_f64_e64 v[2:3], v[42:43], -v[2:3]
	v_add_f64_e64 v[4:5], v[44:45], -v[4:5]
	scratch_store_b128 off, v[2:5], off offset:32
	v_cmpx_ne_u32_e32 0, v0
	s_cbranch_execz .LBB42_271
; %bb.270:
	scratch_load_b128 v[5:8], off, off offset:16
	v_dual_mov_b32 v2, v1 :: v_dual_mov_b32 v3, v1
	v_mov_b32_e32 v4, v1
	scratch_store_b128 off, v[1:4], off offset:16
	s_wait_loadcnt 0x0
	ds_store_b128 v132, v[5:8]
.LBB42_271:
	s_wait_alu 0xfffe
	s_or_b32 exec_lo, exec_lo, s0
	s_wait_storecnt_dscnt 0x0
	s_barrier_signal -1
	s_barrier_wait -1
	global_inv scope:SCOPE_SE
	s_clause 0x8
	scratch_load_b128 v[2:5], off, off offset:32
	scratch_load_b128 v[6:9], off, off offset:48
	;; [unrolled: 1-line block ×9, first 2 shown]
	ds_load_b128 v[42:45], v1 offset:704
	ds_load_b128 v[38:41], v1 offset:720
	s_clause 0x1
	scratch_load_b128 v[132:135], off, off offset:16
	scratch_load_b128 v[136:139], off, off offset:176
	s_and_b32 vcc_lo, exec_lo, s18
	s_wait_loadcnt_dscnt 0xa01
	v_mul_f64_e32 v[140:141], v[44:45], v[4:5]
	v_mul_f64_e32 v[4:5], v[42:43], v[4:5]
	s_wait_loadcnt_dscnt 0x900
	v_mul_f64_e32 v[144:145], v[38:39], v[8:9]
	v_mul_f64_e32 v[8:9], v[40:41], v[8:9]
	s_delay_alu instid0(VALU_DEP_4) | instskip(NEXT) | instid1(VALU_DEP_4)
	v_fma_f64 v[146:147], v[42:43], v[2:3], -v[140:141]
	v_fma_f64 v[148:149], v[44:45], v[2:3], v[4:5]
	ds_load_b128 v[2:5], v1 offset:736
	ds_load_b128 v[140:143], v1 offset:752
	scratch_load_b128 v[42:45], off, off offset:192
	v_fma_f64 v[40:41], v[40:41], v[6:7], v[144:145]
	v_fma_f64 v[38:39], v[38:39], v[6:7], -v[8:9]
	scratch_load_b128 v[6:9], off, off offset:208
	s_wait_loadcnt_dscnt 0xa01
	v_mul_f64_e32 v[150:151], v[2:3], v[12:13]
	v_mul_f64_e32 v[12:13], v[4:5], v[12:13]
	v_add_f64_e32 v[144:145], 0, v[146:147]
	v_add_f64_e32 v[146:147], 0, v[148:149]
	s_wait_loadcnt_dscnt 0x900
	v_mul_f64_e32 v[148:149], v[140:141], v[16:17]
	v_mul_f64_e32 v[16:17], v[142:143], v[16:17]
	v_fma_f64 v[150:151], v[4:5], v[10:11], v[150:151]
	v_fma_f64 v[152:153], v[2:3], v[10:11], -v[12:13]
	ds_load_b128 v[2:5], v1 offset:768
	scratch_load_b128 v[10:13], off, off offset:224
	v_add_f64_e32 v[144:145], v[144:145], v[38:39]
	v_add_f64_e32 v[146:147], v[146:147], v[40:41]
	ds_load_b128 v[38:41], v1 offset:784
	v_fma_f64 v[142:143], v[142:143], v[14:15], v[148:149]
	v_fma_f64 v[140:141], v[140:141], v[14:15], -v[16:17]
	scratch_load_b128 v[14:17], off, off offset:240
	s_wait_loadcnt_dscnt 0xa01
	v_mul_f64_e32 v[154:155], v[2:3], v[20:21]
	v_mul_f64_e32 v[20:21], v[4:5], v[20:21]
	s_wait_loadcnt_dscnt 0x900
	v_mul_f64_e32 v[148:149], v[38:39], v[24:25]
	v_mul_f64_e32 v[24:25], v[40:41], v[24:25]
	v_add_f64_e32 v[144:145], v[144:145], v[152:153]
	v_add_f64_e32 v[146:147], v[146:147], v[150:151]
	v_fma_f64 v[150:151], v[4:5], v[18:19], v[154:155]
	v_fma_f64 v[152:153], v[2:3], v[18:19], -v[20:21]
	ds_load_b128 v[2:5], v1 offset:800
	scratch_load_b128 v[18:21], off, off offset:256
	v_fma_f64 v[40:41], v[40:41], v[22:23], v[148:149]
	v_fma_f64 v[38:39], v[38:39], v[22:23], -v[24:25]
	scratch_load_b128 v[22:25], off, off offset:272
	v_add_f64_e32 v[144:145], v[144:145], v[140:141]
	v_add_f64_e32 v[146:147], v[146:147], v[142:143]
	ds_load_b128 v[140:143], v1 offset:816
	s_wait_loadcnt_dscnt 0xa01
	v_mul_f64_e32 v[154:155], v[2:3], v[28:29]
	v_mul_f64_e32 v[28:29], v[4:5], v[28:29]
	s_wait_loadcnt_dscnt 0x900
	v_mul_f64_e32 v[148:149], v[140:141], v[32:33]
	v_mul_f64_e32 v[32:33], v[142:143], v[32:33]
	v_add_f64_e32 v[144:145], v[144:145], v[152:153]
	v_add_f64_e32 v[146:147], v[146:147], v[150:151]
	v_fma_f64 v[150:151], v[4:5], v[26:27], v[154:155]
	v_fma_f64 v[152:153], v[2:3], v[26:27], -v[28:29]
	ds_load_b128 v[2:5], v1 offset:832
	scratch_load_b128 v[26:29], off, off offset:288
	v_fma_f64 v[142:143], v[142:143], v[30:31], v[148:149]
	v_fma_f64 v[140:141], v[140:141], v[30:31], -v[32:33]
	scratch_load_b128 v[30:33], off, off offset:304
	v_add_f64_e32 v[144:145], v[144:145], v[38:39]
	v_add_f64_e32 v[146:147], v[146:147], v[40:41]
	ds_load_b128 v[38:41], v1 offset:848
	s_wait_loadcnt_dscnt 0xa01
	v_mul_f64_e32 v[154:155], v[2:3], v[36:37]
	v_mul_f64_e32 v[36:37], v[4:5], v[36:37]
	s_wait_loadcnt_dscnt 0x800
	v_mul_f64_e32 v[148:149], v[38:39], v[138:139]
	v_add_f64_e32 v[144:145], v[144:145], v[152:153]
	v_add_f64_e32 v[146:147], v[146:147], v[150:151]
	v_mul_f64_e32 v[150:151], v[40:41], v[138:139]
	v_fma_f64 v[152:153], v[4:5], v[34:35], v[154:155]
	v_fma_f64 v[154:155], v[2:3], v[34:35], -v[36:37]
	ds_load_b128 v[2:5], v1 offset:864
	scratch_load_b128 v[34:37], off, off offset:320
	v_fma_f64 v[148:149], v[40:41], v[136:137], v[148:149]
	v_add_f64_e32 v[144:145], v[144:145], v[140:141]
	v_add_f64_e32 v[142:143], v[146:147], v[142:143]
	ds_load_b128 v[138:141], v1 offset:880
	v_fma_f64 v[136:137], v[38:39], v[136:137], -v[150:151]
	scratch_load_b128 v[38:41], off, off offset:336
	s_wait_loadcnt_dscnt 0x901
	v_mul_f64_e32 v[146:147], v[2:3], v[44:45]
	v_mul_f64_e32 v[44:45], v[4:5], v[44:45]
	s_wait_loadcnt_dscnt 0x800
	v_mul_f64_e32 v[150:151], v[138:139], v[8:9]
	v_mul_f64_e32 v[8:9], v[140:141], v[8:9]
	v_add_f64_e32 v[144:145], v[144:145], v[154:155]
	v_add_f64_e32 v[142:143], v[142:143], v[152:153]
	v_fma_f64 v[146:147], v[4:5], v[42:43], v[146:147]
	v_fma_f64 v[152:153], v[2:3], v[42:43], -v[44:45]
	ds_load_b128 v[2:5], v1 offset:896
	scratch_load_b128 v[42:45], off, off offset:352
	v_fma_f64 v[140:141], v[140:141], v[6:7], v[150:151]
	v_fma_f64 v[138:139], v[138:139], v[6:7], -v[8:9]
	scratch_load_b128 v[6:9], off, off offset:368
	v_add_f64_e32 v[136:137], v[144:145], v[136:137]
	v_add_f64_e32 v[148:149], v[142:143], v[148:149]
	ds_load_b128 v[142:145], v1 offset:912
	s_wait_loadcnt_dscnt 0x901
	v_mul_f64_e32 v[154:155], v[2:3], v[12:13]
	v_mul_f64_e32 v[12:13], v[4:5], v[12:13]
	v_add_f64_e32 v[136:137], v[136:137], v[152:153]
	v_add_f64_e32 v[146:147], v[148:149], v[146:147]
	s_wait_loadcnt_dscnt 0x800
	v_mul_f64_e32 v[148:149], v[142:143], v[16:17]
	v_mul_f64_e32 v[16:17], v[144:145], v[16:17]
	v_fma_f64 v[150:151], v[4:5], v[10:11], v[154:155]
	v_fma_f64 v[152:153], v[2:3], v[10:11], -v[12:13]
	ds_load_b128 v[2:5], v1 offset:928
	scratch_load_b128 v[10:13], off, off offset:384
	v_add_f64_e32 v[154:155], v[136:137], v[138:139]
	v_add_f64_e32 v[140:141], v[146:147], v[140:141]
	ds_load_b128 v[136:139], v1 offset:944
	s_wait_loadcnt_dscnt 0x801
	v_mul_f64_e32 v[146:147], v[2:3], v[20:21]
	v_mul_f64_e32 v[20:21], v[4:5], v[20:21]
	v_fma_f64 v[144:145], v[144:145], v[14:15], v[148:149]
	v_fma_f64 v[142:143], v[142:143], v[14:15], -v[16:17]
	scratch_load_b128 v[14:17], off, off offset:400
	v_add_f64_e32 v[148:149], v[154:155], v[152:153]
	v_add_f64_e32 v[140:141], v[140:141], v[150:151]
	s_wait_loadcnt_dscnt 0x800
	v_mul_f64_e32 v[150:151], v[136:137], v[24:25]
	v_mul_f64_e32 v[24:25], v[138:139], v[24:25]
	v_fma_f64 v[146:147], v[4:5], v[18:19], v[146:147]
	v_fma_f64 v[152:153], v[2:3], v[18:19], -v[20:21]
	ds_load_b128 v[2:5], v1 offset:960
	scratch_load_b128 v[18:21], off, off offset:416
	v_add_f64_e32 v[148:149], v[148:149], v[142:143]
	v_add_f64_e32 v[144:145], v[140:141], v[144:145]
	ds_load_b128 v[140:143], v1 offset:976
	s_wait_loadcnt_dscnt 0x801
	v_mul_f64_e32 v[154:155], v[2:3], v[28:29]
	v_mul_f64_e32 v[28:29], v[4:5], v[28:29]
	v_fma_f64 v[138:139], v[138:139], v[22:23], v[150:151]
	v_fma_f64 v[136:137], v[136:137], v[22:23], -v[24:25]
	scratch_load_b128 v[22:25], off, off offset:432
	;; [unrolled: 18-line block ×4, first 2 shown]
	s_wait_loadcnt_dscnt 0x800
	v_mul_f64_e32 v[148:149], v[140:141], v[8:9]
	v_mul_f64_e32 v[8:9], v[142:143], v[8:9]
	v_add_f64_e32 v[146:147], v[146:147], v[152:153]
	v_add_f64_e32 v[144:145], v[144:145], v[150:151]
	v_fma_f64 v[150:151], v[4:5], v[42:43], v[154:155]
	v_fma_f64 v[152:153], v[2:3], v[42:43], -v[44:45]
	ds_load_b128 v[2:5], v1 offset:1056
	scratch_load_b128 v[42:45], off, off offset:512
	v_fma_f64 v[142:143], v[142:143], v[6:7], v[148:149]
	v_fma_f64 v[140:141], v[140:141], v[6:7], -v[8:9]
	scratch_load_b128 v[6:9], off, off offset:528
	v_add_f64_e32 v[146:147], v[146:147], v[136:137]
	v_add_f64_e32 v[144:145], v[144:145], v[138:139]
	ds_load_b128 v[136:139], v1 offset:1072
	s_wait_loadcnt_dscnt 0x901
	v_mul_f64_e32 v[154:155], v[2:3], v[12:13]
	v_mul_f64_e32 v[12:13], v[4:5], v[12:13]
	s_wait_loadcnt_dscnt 0x800
	v_mul_f64_e32 v[148:149], v[136:137], v[16:17]
	v_mul_f64_e32 v[16:17], v[138:139], v[16:17]
	v_add_f64_e32 v[146:147], v[146:147], v[152:153]
	v_add_f64_e32 v[144:145], v[144:145], v[150:151]
	v_fma_f64 v[150:151], v[4:5], v[10:11], v[154:155]
	v_fma_f64 v[152:153], v[2:3], v[10:11], -v[12:13]
	ds_load_b128 v[2:5], v1 offset:1088
	scratch_load_b128 v[10:13], off, off offset:544
	v_fma_f64 v[138:139], v[138:139], v[14:15], v[148:149]
	v_fma_f64 v[136:137], v[136:137], v[14:15], -v[16:17]
	scratch_load_b128 v[14:17], off, off offset:560
	v_add_f64_e32 v[146:147], v[146:147], v[140:141]
	v_add_f64_e32 v[144:145], v[144:145], v[142:143]
	ds_load_b128 v[140:143], v1 offset:1104
	s_wait_loadcnt_dscnt 0x901
	v_mul_f64_e32 v[154:155], v[2:3], v[20:21]
	v_mul_f64_e32 v[20:21], v[4:5], v[20:21]
	;; [unrolled: 18-line block ×6, first 2 shown]
	s_wait_loadcnt_dscnt 0x800
	v_mul_f64_e32 v[148:149], v[140:141], v[16:17]
	v_mul_f64_e32 v[16:17], v[142:143], v[16:17]
	v_add_f64_e32 v[146:147], v[146:147], v[152:153]
	v_add_f64_e32 v[144:145], v[144:145], v[150:151]
	v_fma_f64 v[150:151], v[4:5], v[10:11], v[154:155]
	v_fma_f64 v[152:153], v[2:3], v[10:11], -v[12:13]
	ds_load_b128 v[2:5], v1 offset:1248
	ds_load_b128 v[10:13], v1 offset:1264
	v_fma_f64 v[142:143], v[142:143], v[14:15], v[148:149]
	v_fma_f64 v[14:15], v[140:141], v[14:15], -v[16:17]
	v_add_f64_e32 v[136:137], v[146:147], v[136:137]
	v_add_f64_e32 v[138:139], v[144:145], v[138:139]
	s_wait_loadcnt_dscnt 0x701
	v_mul_f64_e32 v[144:145], v[2:3], v[20:21]
	v_mul_f64_e32 v[20:21], v[4:5], v[20:21]
	s_delay_alu instid0(VALU_DEP_4) | instskip(NEXT) | instid1(VALU_DEP_4)
	v_add_f64_e32 v[16:17], v[136:137], v[152:153]
	v_add_f64_e32 v[136:137], v[138:139], v[150:151]
	s_wait_loadcnt_dscnt 0x600
	v_mul_f64_e32 v[138:139], v[10:11], v[24:25]
	v_mul_f64_e32 v[24:25], v[12:13], v[24:25]
	v_fma_f64 v[140:141], v[4:5], v[18:19], v[144:145]
	v_fma_f64 v[18:19], v[2:3], v[18:19], -v[20:21]
	v_add_f64_e32 v[20:21], v[16:17], v[14:15]
	v_add_f64_e32 v[136:137], v[136:137], v[142:143]
	ds_load_b128 v[2:5], v1 offset:1280
	ds_load_b128 v[14:17], v1 offset:1296
	v_fma_f64 v[12:13], v[12:13], v[22:23], v[138:139]
	v_fma_f64 v[10:11], v[10:11], v[22:23], -v[24:25]
	s_wait_loadcnt_dscnt 0x501
	v_mul_f64_e32 v[142:143], v[2:3], v[28:29]
	v_mul_f64_e32 v[28:29], v[4:5], v[28:29]
	s_wait_loadcnt_dscnt 0x400
	v_mul_f64_e32 v[22:23], v[14:15], v[32:33]
	v_mul_f64_e32 v[24:25], v[16:17], v[32:33]
	v_add_f64_e32 v[18:19], v[20:21], v[18:19]
	v_add_f64_e32 v[20:21], v[136:137], v[140:141]
	v_fma_f64 v[32:33], v[4:5], v[26:27], v[142:143]
	v_fma_f64 v[26:27], v[2:3], v[26:27], -v[28:29]
	v_fma_f64 v[16:17], v[16:17], v[30:31], v[22:23]
	v_fma_f64 v[14:15], v[14:15], v[30:31], -v[24:25]
	v_add_f64_e32 v[18:19], v[18:19], v[10:11]
	v_add_f64_e32 v[20:21], v[20:21], v[12:13]
	ds_load_b128 v[2:5], v1 offset:1312
	ds_load_b128 v[10:13], v1 offset:1328
	s_wait_loadcnt_dscnt 0x301
	v_mul_f64_e32 v[28:29], v[2:3], v[36:37]
	v_mul_f64_e32 v[36:37], v[4:5], v[36:37]
	s_wait_loadcnt_dscnt 0x200
	v_mul_f64_e32 v[22:23], v[10:11], v[40:41]
	v_mul_f64_e32 v[24:25], v[12:13], v[40:41]
	v_add_f64_e32 v[18:19], v[18:19], v[26:27]
	v_add_f64_e32 v[20:21], v[20:21], v[32:33]
	v_fma_f64 v[26:27], v[4:5], v[34:35], v[28:29]
	v_fma_f64 v[28:29], v[2:3], v[34:35], -v[36:37]
	v_fma_f64 v[12:13], v[12:13], v[38:39], v[22:23]
	v_fma_f64 v[10:11], v[10:11], v[38:39], -v[24:25]
	v_add_f64_e32 v[18:19], v[18:19], v[14:15]
	v_add_f64_e32 v[20:21], v[20:21], v[16:17]
	ds_load_b128 v[2:5], v1 offset:1344
	ds_load_b128 v[14:17], v1 offset:1360
	s_wait_loadcnt_dscnt 0x101
	v_mul_f64_e32 v[0:1], v[2:3], v[44:45]
	v_mul_f64_e32 v[30:31], v[4:5], v[44:45]
	s_wait_loadcnt_dscnt 0x0
	v_mul_f64_e32 v[22:23], v[14:15], v[8:9]
	v_mul_f64_e32 v[8:9], v[16:17], v[8:9]
	v_add_f64_e32 v[18:19], v[18:19], v[28:29]
	v_add_f64_e32 v[20:21], v[20:21], v[26:27]
	v_fma_f64 v[0:1], v[4:5], v[42:43], v[0:1]
	v_fma_f64 v[2:3], v[2:3], v[42:43], -v[30:31]
	s_delay_alu instid0(VALU_DEP_4) | instskip(NEXT) | instid1(VALU_DEP_4)
	v_add_f64_e32 v[4:5], v[18:19], v[10:11]
	v_add_f64_e32 v[10:11], v[20:21], v[12:13]
	v_fma_f64 v[12:13], v[16:17], v[6:7], v[22:23]
	v_fma_f64 v[6:7], v[14:15], v[6:7], -v[8:9]
	s_delay_alu instid0(VALU_DEP_4) | instskip(NEXT) | instid1(VALU_DEP_4)
	v_add_f64_e32 v[2:3], v[4:5], v[2:3]
	v_add_f64_e32 v[0:1], v[10:11], v[0:1]
	s_delay_alu instid0(VALU_DEP_2) | instskip(NEXT) | instid1(VALU_DEP_2)
	v_add_f64_e32 v[2:3], v[2:3], v[6:7]
	v_add_f64_e32 v[4:5], v[0:1], v[12:13]
	s_delay_alu instid0(VALU_DEP_2) | instskip(NEXT) | instid1(VALU_DEP_2)
	v_add_f64_e64 v[0:1], v[132:133], -v[2:3]
	v_add_f64_e64 v[2:3], v[134:135], -v[4:5]
	scratch_store_b128 off, v[0:3], off offset:16
	s_wait_alu 0xfffe
	s_cbranch_vccz .LBB42_356
; %bb.272:
	v_mov_b32_e32 v0, 0
	global_load_b32 v1, v0, s[2:3] offset:164
	s_wait_loadcnt 0x0
	v_cmp_ne_u32_e32 vcc_lo, 42, v1
	s_cbranch_vccz .LBB42_274
; %bb.273:
	v_lshlrev_b32_e32 v1, 4, v1
	s_delay_alu instid0(VALU_DEP_1)
	v_add_nc_u32_e32 v9, 16, v1
	s_clause 0x1
	scratch_load_b128 v[1:4], v9, off offset:-16
	scratch_load_b128 v[5:8], off, s25
	s_wait_loadcnt 0x1
	scratch_store_b128 off, v[1:4], s25
	s_wait_loadcnt 0x0
	scratch_store_b128 v9, v[5:8], off offset:-16
.LBB42_274:
	global_load_b32 v0, v0, s[2:3] offset:160
	s_wait_loadcnt 0x0
	v_cmp_eq_u32_e32 vcc_lo, 41, v0
	s_cbranch_vccnz .LBB42_276
; %bb.275:
	v_lshlrev_b32_e32 v0, 4, v0
	s_delay_alu instid0(VALU_DEP_1)
	v_add_nc_u32_e32 v8, 16, v0
	s_clause 0x1
	scratch_load_b128 v[0:3], v8, off offset:-16
	scratch_load_b128 v[4:7], off, s4
	s_wait_loadcnt 0x1
	scratch_store_b128 off, v[0:3], s4
	s_wait_loadcnt 0x0
	scratch_store_b128 v8, v[4:7], off offset:-16
.LBB42_276:
	v_mov_b32_e32 v0, 0
	global_load_b32 v1, v0, s[2:3] offset:156
	s_wait_loadcnt 0x0
	v_cmp_eq_u32_e32 vcc_lo, 40, v1
	s_cbranch_vccnz .LBB42_278
; %bb.277:
	v_lshlrev_b32_e32 v1, 4, v1
	s_delay_alu instid0(VALU_DEP_1)
	v_add_nc_u32_e32 v9, 16, v1
	s_clause 0x1
	scratch_load_b128 v[1:4], v9, off offset:-16
	scratch_load_b128 v[5:8], off, s5
	s_wait_loadcnt 0x1
	scratch_store_b128 off, v[1:4], s5
	s_wait_loadcnt 0x0
	scratch_store_b128 v9, v[5:8], off offset:-16
.LBB42_278:
	global_load_b32 v0, v0, s[2:3] offset:152
	s_wait_loadcnt 0x0
	v_cmp_eq_u32_e32 vcc_lo, 39, v0
	s_cbranch_vccnz .LBB42_280
; %bb.279:
	v_lshlrev_b32_e32 v0, 4, v0
	s_delay_alu instid0(VALU_DEP_1)
	v_add_nc_u32_e32 v8, 16, v0
	s_clause 0x1
	scratch_load_b128 v[0:3], v8, off offset:-16
	scratch_load_b128 v[4:7], off, s8
	s_wait_loadcnt 0x1
	scratch_store_b128 off, v[0:3], s8
	s_wait_loadcnt 0x0
	scratch_store_b128 v8, v[4:7], off offset:-16
.LBB42_280:
	v_mov_b32_e32 v0, 0
	global_load_b32 v1, v0, s[2:3] offset:148
	s_wait_loadcnt 0x0
	v_cmp_eq_u32_e32 vcc_lo, 38, v1
	s_cbranch_vccnz .LBB42_282
; %bb.281:
	v_lshlrev_b32_e32 v1, 4, v1
	s_delay_alu instid0(VALU_DEP_1)
	v_add_nc_u32_e32 v9, 16, v1
	s_clause 0x1
	scratch_load_b128 v[1:4], v9, off offset:-16
	scratch_load_b128 v[5:8], off, s9
	s_wait_loadcnt 0x1
	scratch_store_b128 off, v[1:4], s9
	s_wait_loadcnt 0x0
	scratch_store_b128 v9, v[5:8], off offset:-16
.LBB42_282:
	;; [unrolled: 33-line block ×20, first 2 shown]
	global_load_b32 v0, v0, s[2:3]
	s_wait_loadcnt 0x0
	v_cmp_eq_u32_e32 vcc_lo, 1, v0
	s_cbranch_vccnz .LBB42_356
; %bb.355:
	v_lshlrev_b32_e32 v0, 4, v0
	s_delay_alu instid0(VALU_DEP_1)
	v_add_nc_u32_e32 v8, 16, v0
	scratch_load_b128 v[0:3], v8, off offset:-16
	scratch_load_b128 v[4:7], off, off offset:16
	s_wait_loadcnt 0x1
	scratch_store_b128 off, v[0:3], off offset:16
	s_wait_loadcnt 0x0
	scratch_store_b128 v8, v[4:7], off offset:-16
.LBB42_356:
	scratch_load_b128 v[0:3], off, off offset:16
	s_clause 0x11
	scratch_load_b128 v[4:7], off, s23
	scratch_load_b128 v[8:11], off, s21
	;; [unrolled: 1-line block ×18, first 2 shown]
	s_wait_loadcnt 0x12
	global_store_b128 v[46:47], v[0:3], off
	s_clause 0x1
	scratch_load_b128 v[0:3], off, s37
	scratch_load_b128 v[44:47], off, s36
	s_wait_loadcnt 0x13
	global_store_b128 v[48:49], v[4:7], off
	s_wait_loadcnt 0x12
	global_store_b128 v[50:51], v[8:11], off
	s_clause 0x1
	scratch_load_b128 v[4:7], off, s35
	scratch_load_b128 v[8:11], off, s34
	s_wait_loadcnt 0x13
	global_store_b128 v[52:53], v[12:15], off
	s_clause 0x1
	scratch_load_b128 v[12:15], off, s33
	scratch_load_b128 v[48:51], off, s31
	s_wait_loadcnt 0x14
	global_store_b128 v[54:55], v[16:19], off
	s_clause 0x1
	scratch_load_b128 v[16:19], off, s30
	scratch_load_b128 v[52:55], off, s29
	s_wait_loadcnt 0x15
	global_store_b128 v[56:57], v[20:23], off
	s_wait_loadcnt 0x14
	global_store_b128 v[58:59], v[24:27], off
	s_clause 0x1
	scratch_load_b128 v[20:23], off, s28
	scratch_load_b128 v[24:27], off, s27
	s_wait_loadcnt 0x15
	global_store_b128 v[60:61], v[28:31], off
	s_clause 0x1
	scratch_load_b128 v[28:31], off, s26
	scratch_load_b128 v[56:59], off, s24
	;; [unrolled: 17-line block ×4, first 2 shown]
	s_wait_loadcnt 0x1a
	global_store_b128 v[78:79], v[152:155], off
	s_wait_loadcnt 0x19
	global_store_b128 v[80:81], v[156:159], off
	;; [unrolled: 2-line block ×27, first 2 shown]
	s_nop 0
	s_sendmsg sendmsg(MSG_DEALLOC_VGPRS)
	s_endpgm
	.section	.rodata,"a",@progbits
	.p2align	6, 0x0
	.amdhsa_kernel _ZN9rocsolver6v33100L18getri_kernel_smallILi43E19rocblas_complex_numIdEPS3_EEvT1_iilPiilS6_bb
		.amdhsa_group_segment_fixed_size 1384
		.amdhsa_private_segment_fixed_size 720
		.amdhsa_kernarg_size 60
		.amdhsa_user_sgpr_count 2
		.amdhsa_user_sgpr_dispatch_ptr 0
		.amdhsa_user_sgpr_queue_ptr 0
		.amdhsa_user_sgpr_kernarg_segment_ptr 1
		.amdhsa_user_sgpr_dispatch_id 0
		.amdhsa_user_sgpr_private_segment_size 0
		.amdhsa_wavefront_size32 1
		.amdhsa_uses_dynamic_stack 0
		.amdhsa_enable_private_segment 1
		.amdhsa_system_sgpr_workgroup_id_x 1
		.amdhsa_system_sgpr_workgroup_id_y 0
		.amdhsa_system_sgpr_workgroup_id_z 0
		.amdhsa_system_sgpr_workgroup_info 0
		.amdhsa_system_vgpr_workitem_id 0
		.amdhsa_next_free_vgpr 164
		.amdhsa_next_free_sgpr 70
		.amdhsa_reserve_vcc 1
		.amdhsa_float_round_mode_32 0
		.amdhsa_float_round_mode_16_64 0
		.amdhsa_float_denorm_mode_32 3
		.amdhsa_float_denorm_mode_16_64 3
		.amdhsa_fp16_overflow 0
		.amdhsa_workgroup_processor_mode 1
		.amdhsa_memory_ordered 1
		.amdhsa_forward_progress 1
		.amdhsa_inst_pref_size 255
		.amdhsa_round_robin_scheduling 0
		.amdhsa_exception_fp_ieee_invalid_op 0
		.amdhsa_exception_fp_denorm_src 0
		.amdhsa_exception_fp_ieee_div_zero 0
		.amdhsa_exception_fp_ieee_overflow 0
		.amdhsa_exception_fp_ieee_underflow 0
		.amdhsa_exception_fp_ieee_inexact 0
		.amdhsa_exception_int_div_zero 0
	.end_amdhsa_kernel
	.section	.text._ZN9rocsolver6v33100L18getri_kernel_smallILi43E19rocblas_complex_numIdEPS3_EEvT1_iilPiilS6_bb,"axG",@progbits,_ZN9rocsolver6v33100L18getri_kernel_smallILi43E19rocblas_complex_numIdEPS3_EEvT1_iilPiilS6_bb,comdat
.Lfunc_end42:
	.size	_ZN9rocsolver6v33100L18getri_kernel_smallILi43E19rocblas_complex_numIdEPS3_EEvT1_iilPiilS6_bb, .Lfunc_end42-_ZN9rocsolver6v33100L18getri_kernel_smallILi43E19rocblas_complex_numIdEPS3_EEvT1_iilPiilS6_bb
                                        ; -- End function
	.set _ZN9rocsolver6v33100L18getri_kernel_smallILi43E19rocblas_complex_numIdEPS3_EEvT1_iilPiilS6_bb.num_vgpr, 164
	.set _ZN9rocsolver6v33100L18getri_kernel_smallILi43E19rocblas_complex_numIdEPS3_EEvT1_iilPiilS6_bb.num_agpr, 0
	.set _ZN9rocsolver6v33100L18getri_kernel_smallILi43E19rocblas_complex_numIdEPS3_EEvT1_iilPiilS6_bb.numbered_sgpr, 70
	.set _ZN9rocsolver6v33100L18getri_kernel_smallILi43E19rocblas_complex_numIdEPS3_EEvT1_iilPiilS6_bb.num_named_barrier, 0
	.set _ZN9rocsolver6v33100L18getri_kernel_smallILi43E19rocblas_complex_numIdEPS3_EEvT1_iilPiilS6_bb.private_seg_size, 720
	.set _ZN9rocsolver6v33100L18getri_kernel_smallILi43E19rocblas_complex_numIdEPS3_EEvT1_iilPiilS6_bb.uses_vcc, 1
	.set _ZN9rocsolver6v33100L18getri_kernel_smallILi43E19rocblas_complex_numIdEPS3_EEvT1_iilPiilS6_bb.uses_flat_scratch, 1
	.set _ZN9rocsolver6v33100L18getri_kernel_smallILi43E19rocblas_complex_numIdEPS3_EEvT1_iilPiilS6_bb.has_dyn_sized_stack, 0
	.set _ZN9rocsolver6v33100L18getri_kernel_smallILi43E19rocblas_complex_numIdEPS3_EEvT1_iilPiilS6_bb.has_recursion, 0
	.set _ZN9rocsolver6v33100L18getri_kernel_smallILi43E19rocblas_complex_numIdEPS3_EEvT1_iilPiilS6_bb.has_indirect_call, 0
	.section	.AMDGPU.csdata,"",@progbits
; Kernel info:
; codeLenInByte = 79488
; TotalNumSgprs: 72
; NumVgprs: 164
; ScratchSize: 720
; MemoryBound: 0
; FloatMode: 240
; IeeeMode: 1
; LDSByteSize: 1384 bytes/workgroup (compile time only)
; SGPRBlocks: 0
; VGPRBlocks: 20
; NumSGPRsForWavesPerEU: 72
; NumVGPRsForWavesPerEU: 164
; Occupancy: 9
; WaveLimiterHint : 1
; COMPUTE_PGM_RSRC2:SCRATCH_EN: 1
; COMPUTE_PGM_RSRC2:USER_SGPR: 2
; COMPUTE_PGM_RSRC2:TRAP_HANDLER: 0
; COMPUTE_PGM_RSRC2:TGID_X_EN: 1
; COMPUTE_PGM_RSRC2:TGID_Y_EN: 0
; COMPUTE_PGM_RSRC2:TGID_Z_EN: 0
; COMPUTE_PGM_RSRC2:TIDIG_COMP_CNT: 0
	.section	.text._ZN9rocsolver6v33100L18getri_kernel_smallILi44E19rocblas_complex_numIdEPS3_EEvT1_iilPiilS6_bb,"axG",@progbits,_ZN9rocsolver6v33100L18getri_kernel_smallILi44E19rocblas_complex_numIdEPS3_EEvT1_iilPiilS6_bb,comdat
	.globl	_ZN9rocsolver6v33100L18getri_kernel_smallILi44E19rocblas_complex_numIdEPS3_EEvT1_iilPiilS6_bb ; -- Begin function _ZN9rocsolver6v33100L18getri_kernel_smallILi44E19rocblas_complex_numIdEPS3_EEvT1_iilPiilS6_bb
	.p2align	8
	.type	_ZN9rocsolver6v33100L18getri_kernel_smallILi44E19rocblas_complex_numIdEPS3_EEvT1_iilPiilS6_bb,@function
_ZN9rocsolver6v33100L18getri_kernel_smallILi44E19rocblas_complex_numIdEPS3_EEvT1_iilPiilS6_bb: ; @_ZN9rocsolver6v33100L18getri_kernel_smallILi44E19rocblas_complex_numIdEPS3_EEvT1_iilPiilS6_bb
; %bb.0:
	s_mov_b32 s2, exec_lo
	v_cmpx_gt_u32_e32 44, v0
	s_cbranch_execz .LBB43_190
; %bb.1:
	s_clause 0x2
	s_load_b32 s2, s[0:1], 0x38
	s_load_b128 s[12:15], s[0:1], 0x10
	s_load_b128 s[4:7], s[0:1], 0x28
	s_mov_b32 s16, ttmp9
	s_wait_kmcnt 0x0
	s_bitcmp1_b32 s2, 8
	s_cselect_b32 s18, -1, 0
	s_bfe_u32 s2, s2, 0x10008
	s_ashr_i32 s17, ttmp9, 31
	s_cmp_eq_u32 s2, 0
                                        ; implicit-def: $sgpr2_sgpr3
	s_cbranch_scc1 .LBB43_3
; %bb.2:
	s_load_b32 s2, s[0:1], 0x20
	s_mul_u64 s[4:5], s[4:5], s[16:17]
	s_delay_alu instid0(SALU_CYCLE_1) | instskip(NEXT) | instid1(SALU_CYCLE_1)
	s_lshl_b64 s[4:5], s[4:5], 2
	s_add_nc_u64 s[4:5], s[14:15], s[4:5]
	s_wait_kmcnt 0x0
	s_ashr_i32 s3, s2, 31
	s_delay_alu instid0(SALU_CYCLE_1) | instskip(NEXT) | instid1(SALU_CYCLE_1)
	s_lshl_b64 s[2:3], s[2:3], 2
	s_add_nc_u64 s[2:3], s[4:5], s[2:3]
.LBB43_3:
	s_clause 0x1
	s_load_b128 s[8:11], s[0:1], 0x0
	s_load_b32 s53, s[0:1], 0x38
	s_mul_u64 s[0:1], s[12:13], s[16:17]
	v_lshlrev_b32_e32 v13, 4, v0
	s_lshl_b64 s[0:1], s[0:1], 4
	s_movk_i32 s12, 0xd0
	s_movk_i32 s13, 0xe0
	s_movk_i32 s14, 0xf0
	s_movk_i32 s15, 0x100
	s_movk_i32 s19, 0x110
	s_movk_i32 s20, 0x120
	s_movk_i32 s21, 0x130
	s_movk_i32 s22, 0x140
	s_movk_i32 s23, 0x150
	s_movk_i32 s24, 0x160
	s_movk_i32 s29, 0x170
	s_movk_i32 s30, 0x180
	s_movk_i32 s31, 0x190
	s_movk_i32 s33, 0x1a0
	s_movk_i32 s34, 0x1b0
	s_wait_kmcnt 0x0
	v_add3_u32 v5, s11, s11, v0
	s_ashr_i32 s5, s10, 31
	s_mov_b32 s4, s10
	s_add_nc_u64 s[0:1], s[8:9], s[0:1]
	s_lshl_b64 s[4:5], s[4:5], 4
	v_add_nc_u32_e32 v7, s11, v5
	v_ashrrev_i32_e32 v6, 31, v5
	s_add_nc_u64 s[0:1], s[0:1], s[4:5]
	s_ashr_i32 s9, s11, 31
	v_add_co_u32 v46, s4, s0, v13
	v_add_nc_u32_e32 v9, s11, v7
	v_ashrrev_i32_e32 v8, 31, v7
	s_mov_b32 s8, s11
	v_lshlrev_b64_e32 v[11:12], 4, v[5:6]
	v_add_co_ci_u32_e64 v47, null, s1, 0, s4
	v_add_nc_u32_e32 v16, s11, v9
	s_lshl_b64 s[8:9], s[8:9], 4
	v_lshlrev_b64_e32 v[14:15], 4, v[7:8]
	v_ashrrev_i32_e32 v10, 31, v9
	v_add_co_u32 v48, vcc_lo, v46, s8
	s_delay_alu instid0(VALU_DEP_1)
	v_add_co_ci_u32_e64 v49, null, s9, v47, vcc_lo
	v_add_co_u32 v50, vcc_lo, s0, v11
	v_ashrrev_i32_e32 v17, 31, v16
	v_add_nc_u32_e32 v11, s11, v16
	v_lshlrev_b64_e32 v[9:10], 4, v[9:10]
	s_wait_alu 0xfffd
	v_add_co_ci_u32_e64 v51, null, s1, v12, vcc_lo
	v_add_co_u32 v52, vcc_lo, s0, v14
	s_wait_alu 0xfffd
	v_add_co_ci_u32_e64 v53, null, s1, v15, vcc_lo
	v_lshlrev_b64_e32 v[14:15], 4, v[16:17]
	v_ashrrev_i32_e32 v12, 31, v11
	v_add_nc_u32_e32 v16, s11, v11
	v_add_co_u32 v54, vcc_lo, s0, v9
	s_wait_alu 0xfffd
	v_add_co_ci_u32_e64 v55, null, s1, v10, vcc_lo
	v_lshlrev_b64_e32 v[9:10], 4, v[11:12]
	v_ashrrev_i32_e32 v17, 31, v16
	v_add_nc_u32_e32 v11, s11, v16
	v_add_co_u32 v56, vcc_lo, s0, v14
	s_wait_alu 0xfffd
	v_add_co_ci_u32_e64 v57, null, s1, v15, vcc_lo
	v_lshlrev_b64_e32 v[14:15], 4, v[16:17]
	v_add_nc_u32_e32 v16, s11, v11
	v_ashrrev_i32_e32 v12, 31, v11
	v_add_co_u32 v58, vcc_lo, s0, v9
	s_wait_alu 0xfffd
	v_add_co_ci_u32_e64 v59, null, s1, v10, vcc_lo
	v_ashrrev_i32_e32 v17, 31, v16
	v_add_nc_u32_e32 v20, s11, v16
	v_add_co_u32 v60, vcc_lo, s0, v14
	v_lshlrev_b64_e32 v[18:19], 4, v[11:12]
	s_wait_alu 0xfffd
	v_add_co_ci_u32_e64 v61, null, s1, v15, vcc_lo
	v_lshlrev_b64_e32 v[14:15], 4, v[16:17]
	v_add_nc_u32_e32 v16, s11, v20
	s_clause 0x1
	global_load_b128 v[1:4], v13, s[0:1]
	global_load_b128 v[5:8], v[48:49], off
	v_ashrrev_i32_e32 v21, 31, v20
	v_add_co_u32 v62, vcc_lo, s0, v18
	v_ashrrev_i32_e32 v17, 31, v16
	v_add_nc_u32_e32 v28, s11, v16
	s_wait_alu 0xfffd
	v_add_co_ci_u32_e64 v63, null, s1, v19, vcc_lo
	v_add_co_u32 v64, vcc_lo, s0, v14
	global_load_b128 v[9:12], v[50:51], off
	v_lshlrev_b64_e32 v[26:27], 4, v[20:21]
	s_wait_alu 0xfffd
	v_add_co_ci_u32_e64 v65, null, s1, v15, vcc_lo
	v_lshlrev_b64_e32 v[30:31], 4, v[16:17]
	s_clause 0x1
	global_load_b128 v[14:17], v[52:53], off
	global_load_b128 v[18:21], v[54:55], off
	v_add_nc_u32_e32 v32, s11, v28
	global_load_b128 v[22:25], v[56:57], off
	v_ashrrev_i32_e32 v29, 31, v28
	v_add_co_u32 v66, vcc_lo, s0, v26
	v_ashrrev_i32_e32 v33, 31, v32
	v_add_nc_u32_e32 v36, s11, v32
	s_delay_alu instid0(VALU_DEP_4)
	v_lshlrev_b64_e32 v[34:35], 4, v[28:29]
	s_wait_alu 0xfffd
	v_add_co_ci_u32_e64 v67, null, s1, v27, vcc_lo
	v_add_co_u32 v68, vcc_lo, s0, v30
	s_wait_alu 0xfffd
	v_add_co_ci_u32_e64 v69, null, s1, v31, vcc_lo
	v_lshlrev_b64_e32 v[38:39], 4, v[32:33]
	v_ashrrev_i32_e32 v37, 31, v36
	v_add_nc_u32_e32 v40, s11, v36
	s_clause 0x1
	global_load_b128 v[26:29], v[58:59], off
	global_load_b128 v[30:33], v[60:61], off
	v_add_co_u32 v70, vcc_lo, s0, v34
	s_wait_alu 0xfffd
	v_add_co_ci_u32_e64 v71, null, s1, v35, vcc_lo
	v_lshlrev_b64_e32 v[74:75], 4, v[36:37]
	global_load_b128 v[34:37], v[62:63], off
	v_ashrrev_i32_e32 v41, 31, v40
	v_add_co_u32 v72, vcc_lo, s0, v38
	v_add_nc_u32_e32 v76, s11, v40
	s_wait_alu 0xfffd
	v_add_co_ci_u32_e64 v73, null, s1, v39, vcc_lo
	v_lshlrev_b64_e32 v[78:79], 4, v[40:41]
	s_clause 0x1
	global_load_b128 v[38:41], v[64:65], off
	global_load_b128 v[42:45], v[66:67], off
	v_ashrrev_i32_e32 v77, 31, v76
	v_add_nc_u32_e32 v80, s11, v76
	v_add_co_u32 v74, vcc_lo, s0, v74
	global_load_b128 v[114:117], v[68:69], off
	v_lshlrev_b64_e32 v[82:83], 4, v[76:77]
	v_add_nc_u32_e32 v84, s11, v80
	s_clause 0x1
	global_load_b128 v[118:121], v[70:71], off
	global_load_b128 v[122:125], v[72:73], off
	s_wait_alu 0xfffd
	v_add_co_ci_u32_e64 v75, null, s1, v75, vcc_lo
	v_add_co_u32 v76, vcc_lo, s0, v78
	s_wait_alu 0xfffd
	v_add_co_ci_u32_e64 v77, null, s1, v79, vcc_lo
	v_ashrrev_i32_e32 v85, 31, v84
	v_add_nc_u32_e32 v86, s11, v84
	v_add_co_u32 v78, vcc_lo, s0, v82
	global_load_b128 v[126:129], v[74:75], off
	s_wait_alu 0xfffd
	v_add_co_ci_u32_e64 v79, null, s1, v83, vcc_lo
	v_lshlrev_b64_e32 v[82:83], 4, v[84:85]
	v_add_nc_u32_e32 v84, s11, v86
	v_ashrrev_i32_e32 v81, 31, v80
	s_clause 0x1
	global_load_b128 v[130:133], v[76:77], off
	global_load_b128 v[134:137], v[78:79], off
	v_ashrrev_i32_e32 v87, 31, v86
	s_movk_i32 s4, 0x70
	v_add_nc_u32_e32 v88, s11, v84
	v_lshlrev_b64_e32 v[80:81], 4, v[80:81]
	v_ashrrev_i32_e32 v85, 31, v84
	v_lshlrev_b64_e32 v[86:87], 4, v[86:87]
	s_movk_i32 s5, 0x80
	v_add_nc_u32_e32 v92, s11, v88
	v_ashrrev_i32_e32 v89, 31, v88
	v_add_co_u32 v80, vcc_lo, s0, v80
	v_lshlrev_b64_e32 v[90:91], 4, v[84:85]
	s_wait_alu 0xfffd
	v_add_co_ci_u32_e64 v81, null, s1, v81, vcc_lo
	v_add_co_u32 v82, vcc_lo, s0, v82
	v_ashrrev_i32_e32 v93, 31, v92
	s_wait_alu 0xfffd
	v_add_co_ci_u32_e64 v83, null, s1, v83, vcc_lo
	v_add_co_u32 v84, vcc_lo, s0, v86
	s_wait_alu 0xfffd
	v_add_co_ci_u32_e64 v85, null, s1, v87, vcc_lo
	v_lshlrev_b64_e32 v[88:89], 4, v[88:89]
	v_add_co_u32 v86, vcc_lo, s0, v90
	s_wait_alu 0xfffd
	v_add_co_ci_u32_e64 v87, null, s1, v91, vcc_lo
	v_lshlrev_b64_e32 v[90:91], 4, v[92:93]
	s_delay_alu instid0(VALU_DEP_4)
	v_add_co_u32 v88, vcc_lo, s0, v88
	s_wait_alu 0xfffd
	v_add_co_ci_u32_e64 v89, null, s1, v89, vcc_lo
	global_load_b128 v[138:141], v[80:81], off
	v_add_co_u32 v90, vcc_lo, s0, v90
	s_wait_alu 0xfffd
	v_add_co_ci_u32_e64 v91, null, s1, v91, vcc_lo
	s_clause 0x4
	global_load_b128 v[142:145], v[82:83], off
	global_load_b128 v[146:149], v[84:85], off
	global_load_b128 v[150:153], v[86:87], off
	global_load_b128 v[154:157], v[88:89], off
	global_load_b128 v[158:161], v[90:91], off
	v_add_nc_u32_e32 v94, s11, v92
	s_movk_i32 s8, 0x90
	s_movk_i32 s9, 0xa0
	;; [unrolled: 1-line block ×4, first 2 shown]
	v_add_nc_u32_e32 v92, s11, v94
	v_ashrrev_i32_e32 v95, 31, v94
	s_movk_i32 s40, 0x1d0
	s_movk_i32 s54, 0x1e0
	;; [unrolled: 1-line block ×3, first 2 shown]
	v_add_nc_u32_e32 v98, s11, v92
	v_ashrrev_i32_e32 v93, 31, v92
	v_lshlrev_b64_e32 v[94:95], 4, v[94:95]
	s_movk_i32 s56, 0x200
	s_movk_i32 s57, 0x210
	v_ashrrev_i32_e32 v99, 31, v98
	v_lshlrev_b64_e32 v[96:97], 4, v[92:93]
	s_movk_i32 s58, 0x220
	v_add_co_u32 v92, vcc_lo, s0, v94
	s_delay_alu instid0(VALU_DEP_3)
	v_lshlrev_b64_e32 v[99:100], 4, v[98:99]
	v_add_nc_u32_e32 v98, s11, v98
	s_wait_alu 0xfffd
	v_add_co_ci_u32_e64 v93, null, s1, v95, vcc_lo
	v_add_co_u32 v94, vcc_lo, s0, v96
	s_wait_alu 0xfffd
	v_add_co_ci_u32_e64 v95, null, s1, v97, vcc_lo
	v_add_co_u32 v96, vcc_lo, s0, v99
	s_wait_alu 0xfffd
	v_add_co_ci_u32_e64 v97, null, s1, v100, vcc_lo
	v_add_nc_u32_e32 v100, s11, v98
	v_ashrrev_i32_e32 v99, 31, v98
	s_clause 0x2
	global_load_b128 v[162:165], v[92:93], off
	global_load_b128 v[166:169], v[94:95], off
	;; [unrolled: 1-line block ×3, first 2 shown]
	s_movk_i32 s59, 0x230
	v_add_nc_u32_e32 v102, s11, v100
	v_ashrrev_i32_e32 v101, 31, v100
	v_lshlrev_b64_e32 v[98:99], 4, v[98:99]
	s_movk_i32 s60, 0x240
	s_movk_i32 s61, 0x250
	v_add_nc_u32_e32 v104, s11, v102
	v_ashrrev_i32_e32 v103, 31, v102
	v_lshlrev_b64_e32 v[100:101], 4, v[100:101]
	v_add_co_u32 v98, vcc_lo, s0, v98
	s_delay_alu instid0(VALU_DEP_4)
	v_add_nc_u32_e32 v106, s11, v104
	v_ashrrev_i32_e32 v105, 31, v104
	v_lshlrev_b64_e32 v[102:103], 4, v[102:103]
	s_wait_alu 0xfffd
	v_add_co_ci_u32_e64 v99, null, s1, v99, vcc_lo
	v_add_nc_u32_e32 v108, s11, v106
	v_add_co_u32 v100, vcc_lo, s0, v100
	s_wait_alu 0xfffd
	v_add_co_ci_u32_e64 v101, null, s1, v101, vcc_lo
	v_add_co_u32 v102, vcc_lo, s0, v102
	v_add_nc_u32_e32 v110, s11, v108
	s_wait_alu 0xfffd
	v_add_co_ci_u32_e64 v103, null, s1, v103, vcc_lo
	v_ashrrev_i32_e32 v107, 31, v106
	v_ashrrev_i32_e32 v109, 31, v108
	;; [unrolled: 1-line block ×3, first 2 shown]
	s_movk_i32 s62, 0x260
	s_movk_i32 s63, 0x270
	v_lshlrev_b64_e32 v[106:107], 4, v[106:107]
	s_movk_i32 s64, 0x280
	s_movk_i32 s65, 0x290
	;; [unrolled: 1-line block ×4, first 2 shown]
	s_wait_alu 0xfffe
	s_add_co_i32 s50, s4, 16
	s_add_co_i32 s49, s5, 16
	;; [unrolled: 1-line block ×35, first 2 shown]
	s_mov_b32 s39, 32
	s_mov_b32 s38, 48
	;; [unrolled: 1-line block ×3, first 2 shown]
	s_movk_i32 s36, 0x50
	s_wait_loadcnt 0x19
	scratch_store_b128 off, v[1:4], off offset:16
	s_wait_loadcnt 0x18
	scratch_store_b128 off, v[5:8], off offset:32
	v_lshlrev_b64_e32 v[5:6], 4, v[104:105]
	global_load_b128 v[1:4], v[98:99], off
	v_add_co_u32 v104, vcc_lo, s0, v5
	s_wait_alu 0xfffd
	v_add_co_ci_u32_e64 v105, null, s1, v6, vcc_lo
	s_wait_loadcnt 0x18
	scratch_store_b128 off, v[9:12], off offset:48
	s_wait_loadcnt 0x17
	scratch_store_b128 off, v[14:17], off offset:64
	;; [unrolled: 2-line block ×3, first 2 shown]
	s_clause 0x1
	global_load_b128 v[5:8], v[100:101], off
	global_load_b128 v[9:12], v[102:103], off
	s_wait_loadcnt 0x17
	scratch_store_b128 off, v[22:25], off offset:96
	v_add_nc_u32_e32 v22, s11, v110
	v_lshlrev_b64_e32 v[14:15], 4, v[108:109]
	v_add_co_u32 v106, vcc_lo, s0, v106
	s_wait_loadcnt 0x16
	scratch_store_b128 off, v[26:29], off offset:112
	s_wait_loadcnt 0x15
	scratch_store_b128 off, v[30:33], off offset:128
	v_add_nc_u32_e32 v112, s11, v22
	s_wait_alu 0xfffd
	v_add_co_ci_u32_e64 v107, null, s1, v107, vcc_lo
	v_add_co_u32 v108, vcc_lo, s0, v14
	s_delay_alu instid0(VALU_DEP_3)
	v_add_nc_u32_e32 v30, s11, v112
	s_wait_alu 0xfffd
	v_add_co_ci_u32_e64 v109, null, s1, v15, vcc_lo
	s_clause 0x1
	global_load_b128 v[14:17], v[104:105], off
	global_load_b128 v[18:21], v[106:107], off
	s_wait_loadcnt 0x16
	scratch_store_b128 off, v[34:37], off offset:144
	v_add_nc_u32_e32 v34, s11, v30
	v_ashrrev_i32_e32 v23, 31, v22
	v_lshlrev_b64_e32 v[24:25], 4, v[110:111]
	v_ashrrev_i32_e32 v113, 31, v112
	s_wait_loadcnt 0x15
	scratch_store_b128 off, v[38:41], off offset:160
	s_wait_loadcnt 0x14
	scratch_store_b128 off, v[42:45], off offset:176
	v_add_nc_u32_e32 v38, s11, v34
	v_lshlrev_b64_e32 v[22:23], 4, v[22:23]
	v_ashrrev_i32_e32 v31, 31, v30
	v_add_co_u32 v110, vcc_lo, s0, v24
	v_lshlrev_b64_e32 v[32:33], 4, v[112:113]
	v_add_nc_u32_e32 v42, s11, v38
	s_wait_alu 0xfffd
	v_add_co_ci_u32_e64 v111, null, s1, v25, vcc_lo
	v_add_co_u32 v112, vcc_lo, s0, v22
	v_lshlrev_b64_e32 v[30:31], 4, v[30:31]
	v_ashrrev_i32_e32 v35, 31, v34
	s_wait_alu 0xfffd
	v_add_co_ci_u32_e64 v113, null, s1, v23, vcc_lo
	s_clause 0x1
	global_load_b128 v[22:25], v[108:109], off
	global_load_b128 v[26:29], v[110:111], off
	s_wait_loadcnt 0x15
	scratch_store_b128 off, v[114:117], off offset:192
	v_add_co_u32 v114, vcc_lo, s0, v32
	s_wait_loadcnt 0x14
	scratch_store_b128 off, v[118:121], off offset:208
	s_wait_loadcnt 0x13
	scratch_store_b128 off, v[122:125], off offset:224
	v_add_nc_u32_e32 v122, s11, v42
	v_ashrrev_i32_e32 v39, 31, v38
	s_wait_alu 0xfffd
	v_add_co_ci_u32_e64 v115, null, s1, v33, vcc_lo
	v_ashrrev_i32_e32 v43, 31, v42
	v_lshlrev_b64_e32 v[40:41], 4, v[34:35]
	v_add_co_u32 v116, vcc_lo, s0, v30
	v_ashrrev_i32_e32 v123, 31, v122
	s_wait_alu 0xfffd
	v_add_co_ci_u32_e64 v117, null, s1, v31, vcc_lo
	s_clause 0x1
	global_load_b128 v[30:33], v[112:113], off
	global_load_b128 v[34:37], v[114:115], off
	v_lshlrev_b64_e32 v[38:39], 4, v[38:39]
	s_wait_loadcnt 0x14
	scratch_store_b128 off, v[126:129], off offset:240
	v_add_nc_u32_e32 v126, s11, v122
	v_lshlrev_b64_e32 v[124:125], 4, v[42:43]
	v_add_co_u32 v118, vcc_lo, s0, v40
	v_lshlrev_b64_e32 v[128:129], 4, v[122:123]
	s_wait_loadcnt 0x13
	scratch_store_b128 off, v[130:133], off offset:256
	s_wait_loadcnt 0x12
	scratch_store_b128 off, v[134:137], off offset:272
	v_add_nc_u32_e32 v130, s11, v126
	s_wait_alu 0xfffd
	v_add_co_ci_u32_e64 v119, null, s1, v41, vcc_lo
	v_add_co_u32 v120, vcc_lo, s0, v38
	s_wait_alu 0xfffd
	v_add_co_ci_u32_e64 v121, null, s1, v39, vcc_lo
	v_add_co_u32 v122, vcc_lo, s0, v124
	;; [unrolled: 3-line block ×3, first 2 shown]
	v_add_nc_u32_e32 v128, s11, v130
	v_ashrrev_i32_e32 v127, 31, v126
	v_ashrrev_i32_e32 v131, 31, v130
	s_wait_alu 0xfffd
	v_add_co_ci_u32_e64 v125, null, s1, v129, vcc_lo
	v_add_nc_u32_e32 v132, s11, v128
	v_ashrrev_i32_e32 v129, 31, v128
	v_lshlrev_b64_e32 v[126:127], 4, v[126:127]
	v_lshlrev_b64_e32 v[130:131], 4, v[130:131]
	s_clause 0x1
	global_load_b128 v[38:41], v[116:117], off
	global_load_b128 v[42:45], v[118:119], off
	v_ashrrev_i32_e32 v133, 31, v132
	v_lshlrev_b64_e32 v[174:175], 4, v[128:129]
	s_wait_loadcnt 0x13
	scratch_store_b128 off, v[138:141], off offset:288
	v_add_co_u32 v126, vcc_lo, s0, v126
	v_lshlrev_b64_e32 v[132:133], 4, v[132:133]
	s_wait_alu 0xfffd
	v_add_co_ci_u32_e64 v127, null, s1, v127, vcc_lo
	v_add_co_u32 v128, vcc_lo, s0, v130
	s_wait_alu 0xfffd
	v_add_co_ci_u32_e64 v129, null, s1, v131, vcc_lo
	v_add_co_u32 v130, vcc_lo, s0, v174
	s_wait_alu 0xfffd
	v_add_co_ci_u32_e64 v131, null, s1, v175, vcc_lo
	v_add_co_u32 v132, vcc_lo, s0, v132
	s_wait_alu 0xfffd
	v_add_co_ci_u32_e64 v133, null, s1, v133, vcc_lo
	s_wait_loadcnt 0x12
	scratch_store_b128 off, v[142:145], off offset:304
	s_wait_loadcnt 0x11
	scratch_store_b128 off, v[146:149], off offset:320
	s_clause 0x1
	global_load_b128 v[134:137], v[120:121], off
	global_load_b128 v[138:141], v[122:123], off
	s_wait_loadcnt 0x12
	scratch_store_b128 off, v[150:153], off offset:336
	s_wait_loadcnt 0x11
	scratch_store_b128 off, v[154:157], off offset:352
	;; [unrolled: 2-line block ×3, first 2 shown]
	s_clause 0x4
	global_load_b128 v[142:145], v[124:125], off
	global_load_b128 v[146:149], v[126:127], off
	global_load_b128 v[150:153], v[128:129], off
	global_load_b128 v[154:157], v[130:131], off
	global_load_b128 v[158:161], v[132:133], off
	s_movk_i32 s0, 0x50
	s_movk_i32 s1, 0x60
	;; [unrolled: 1-line block ×3, first 2 shown]
	s_wait_alu 0xfffe
	s_add_co_i32 s52, s0, 16
	s_add_co_i32 s51, s1, 16
	s_add_co_i32 s45, s11, 16
	s_add_co_i32 s11, s56, 16
	s_bitcmp0_b32 s53, 0
	s_mov_b32 s1, -1
	s_wait_loadcnt 0x14
	scratch_store_b128 off, v[162:165], off offset:384
	s_wait_loadcnt 0x13
	scratch_store_b128 off, v[166:169], off offset:400
	;; [unrolled: 2-line block ×21, first 2 shown]
	s_cbranch_scc1 .LBB43_188
; %bb.4:
	v_cmp_eq_u32_e64 s0, 0, v0
	s_and_saveexec_b32 s1, s0
; %bb.5:
	v_mov_b32_e32 v1, 0
	ds_store_b32 v1, v1 offset:1408
; %bb.6:
	s_wait_alu 0xfffe
	s_or_b32 exec_lo, exec_lo, s1
	s_wait_storecnt_dscnt 0x0
	s_barrier_signal -1
	s_barrier_wait -1
	global_inv scope:SCOPE_SE
	scratch_load_b128 v[1:4], v13, off offset:16
	s_wait_loadcnt 0x0
	v_cmp_eq_f64_e32 vcc_lo, 0, v[1:2]
	v_cmp_eq_f64_e64 s1, 0, v[3:4]
	s_and_b32 s1, vcc_lo, s1
	s_wait_alu 0xfffe
	s_and_saveexec_b32 s53, s1
	s_cbranch_execz .LBB43_10
; %bb.7:
	v_mov_b32_e32 v1, 0
	s_mov_b32 s54, 0
	ds_load_b32 v2, v1 offset:1408
	s_wait_dscnt 0x0
	v_readfirstlane_b32 s1, v2
	v_add_nc_u32_e32 v2, 1, v0
	s_cmp_eq_u32 s1, 0
	s_delay_alu instid0(VALU_DEP_1) | instskip(SKIP_1) | instid1(SALU_CYCLE_1)
	v_cmp_gt_i32_e32 vcc_lo, s1, v2
	s_cselect_b32 s55, -1, 0
	s_or_b32 s55, s55, vcc_lo
	s_delay_alu instid0(SALU_CYCLE_1)
	s_and_b32 exec_lo, exec_lo, s55
	s_cbranch_execz .LBB43_10
; %bb.8:
	v_mov_b32_e32 v3, s1
.LBB43_9:                               ; =>This Inner Loop Header: Depth=1
	ds_cmpstore_rtn_b32 v3, v1, v2, v3 offset:1408
	s_wait_dscnt 0x0
	v_cmp_ne_u32_e32 vcc_lo, 0, v3
	v_cmp_le_i32_e64 s1, v3, v2
	s_and_b32 s1, vcc_lo, s1
	s_wait_alu 0xfffe
	s_and_b32 s1, exec_lo, s1
	s_wait_alu 0xfffe
	s_or_b32 s54, s1, s54
	s_delay_alu instid0(SALU_CYCLE_1)
	s_and_not1_b32 exec_lo, exec_lo, s54
	s_cbranch_execnz .LBB43_9
.LBB43_10:
	s_or_b32 exec_lo, exec_lo, s53
	v_mov_b32_e32 v1, 0
	s_barrier_signal -1
	s_barrier_wait -1
	global_inv scope:SCOPE_SE
	ds_load_b32 v2, v1 offset:1408
	s_and_saveexec_b32 s1, s0
	s_cbranch_execz .LBB43_12
; %bb.11:
	s_lshl_b64 s[54:55], s[16:17], 2
	s_delay_alu instid0(SALU_CYCLE_1)
	s_add_nc_u64 s[54:55], s[6:7], s[54:55]
	s_wait_dscnt 0x0
	global_store_b32 v1, v2, s[54:55]
.LBB43_12:
	s_wait_alu 0xfffe
	s_or_b32 exec_lo, exec_lo, s1
	s_wait_dscnt 0x0
	v_cmp_ne_u32_e32 vcc_lo, 0, v2
	s_mov_b32 s1, 0
	s_cbranch_vccnz .LBB43_188
; %bb.13:
	v_add_nc_u32_e32 v14, 16, v13
                                        ; implicit-def: $vgpr1_vgpr2
                                        ; implicit-def: $vgpr9_vgpr10
	scratch_load_b128 v[5:8], v14, off
	s_wait_loadcnt 0x0
	v_cmp_ngt_f64_e64 s1, |v[5:6]|, |v[7:8]|
	s_wait_alu 0xfffe
	s_and_saveexec_b32 s53, s1
	s_delay_alu instid0(SALU_CYCLE_1)
	s_xor_b32 s1, exec_lo, s53
	s_cbranch_execz .LBB43_15
; %bb.14:
	v_div_scale_f64 v[1:2], null, v[7:8], v[7:8], v[5:6]
	v_div_scale_f64 v[11:12], vcc_lo, v[5:6], v[7:8], v[5:6]
	s_delay_alu instid0(VALU_DEP_2) | instskip(NEXT) | instid1(TRANS32_DEP_1)
	v_rcp_f64_e32 v[3:4], v[1:2]
	v_fma_f64 v[9:10], -v[1:2], v[3:4], 1.0
	s_delay_alu instid0(VALU_DEP_1) | instskip(NEXT) | instid1(VALU_DEP_1)
	v_fma_f64 v[3:4], v[3:4], v[9:10], v[3:4]
	v_fma_f64 v[9:10], -v[1:2], v[3:4], 1.0
	s_delay_alu instid0(VALU_DEP_1) | instskip(NEXT) | instid1(VALU_DEP_1)
	v_fma_f64 v[3:4], v[3:4], v[9:10], v[3:4]
	v_mul_f64_e32 v[9:10], v[11:12], v[3:4]
	s_delay_alu instid0(VALU_DEP_1) | instskip(SKIP_1) | instid1(VALU_DEP_1)
	v_fma_f64 v[1:2], -v[1:2], v[9:10], v[11:12]
	s_wait_alu 0xfffd
	v_div_fmas_f64 v[1:2], v[1:2], v[3:4], v[9:10]
	s_delay_alu instid0(VALU_DEP_1) | instskip(NEXT) | instid1(VALU_DEP_1)
	v_div_fixup_f64 v[1:2], v[1:2], v[7:8], v[5:6]
	v_fma_f64 v[3:4], v[5:6], v[1:2], v[7:8]
	s_delay_alu instid0(VALU_DEP_1) | instskip(SKIP_1) | instid1(VALU_DEP_2)
	v_div_scale_f64 v[5:6], null, v[3:4], v[3:4], 1.0
	v_div_scale_f64 v[11:12], vcc_lo, 1.0, v[3:4], 1.0
	v_rcp_f64_e32 v[7:8], v[5:6]
	s_delay_alu instid0(TRANS32_DEP_1) | instskip(NEXT) | instid1(VALU_DEP_1)
	v_fma_f64 v[9:10], -v[5:6], v[7:8], 1.0
	v_fma_f64 v[7:8], v[7:8], v[9:10], v[7:8]
	s_delay_alu instid0(VALU_DEP_1) | instskip(NEXT) | instid1(VALU_DEP_1)
	v_fma_f64 v[9:10], -v[5:6], v[7:8], 1.0
	v_fma_f64 v[7:8], v[7:8], v[9:10], v[7:8]
	s_delay_alu instid0(VALU_DEP_1) | instskip(NEXT) | instid1(VALU_DEP_1)
	v_mul_f64_e32 v[9:10], v[11:12], v[7:8]
	v_fma_f64 v[5:6], -v[5:6], v[9:10], v[11:12]
	s_wait_alu 0xfffd
	s_delay_alu instid0(VALU_DEP_1) | instskip(NEXT) | instid1(VALU_DEP_1)
	v_div_fmas_f64 v[5:6], v[5:6], v[7:8], v[9:10]
	v_div_fixup_f64 v[3:4], v[5:6], v[3:4], 1.0
                                        ; implicit-def: $vgpr5_vgpr6
	s_delay_alu instid0(VALU_DEP_1) | instskip(SKIP_1) | instid1(VALU_DEP_2)
	v_mul_f64_e32 v[1:2], v[1:2], v[3:4]
	v_xor_b32_e32 v4, 0x80000000, v4
	v_xor_b32_e32 v10, 0x80000000, v2
	s_delay_alu instid0(VALU_DEP_3)
	v_mov_b32_e32 v9, v1
.LBB43_15:
	s_wait_alu 0xfffe
	s_and_not1_saveexec_b32 s1, s1
	s_cbranch_execz .LBB43_17
; %bb.16:
	v_div_scale_f64 v[1:2], null, v[5:6], v[5:6], v[7:8]
	v_div_scale_f64 v[11:12], vcc_lo, v[7:8], v[5:6], v[7:8]
	s_delay_alu instid0(VALU_DEP_2) | instskip(NEXT) | instid1(TRANS32_DEP_1)
	v_rcp_f64_e32 v[3:4], v[1:2]
	v_fma_f64 v[9:10], -v[1:2], v[3:4], 1.0
	s_delay_alu instid0(VALU_DEP_1) | instskip(NEXT) | instid1(VALU_DEP_1)
	v_fma_f64 v[3:4], v[3:4], v[9:10], v[3:4]
	v_fma_f64 v[9:10], -v[1:2], v[3:4], 1.0
	s_delay_alu instid0(VALU_DEP_1) | instskip(NEXT) | instid1(VALU_DEP_1)
	v_fma_f64 v[3:4], v[3:4], v[9:10], v[3:4]
	v_mul_f64_e32 v[9:10], v[11:12], v[3:4]
	s_delay_alu instid0(VALU_DEP_1) | instskip(SKIP_1) | instid1(VALU_DEP_1)
	v_fma_f64 v[1:2], -v[1:2], v[9:10], v[11:12]
	s_wait_alu 0xfffd
	v_div_fmas_f64 v[1:2], v[1:2], v[3:4], v[9:10]
	s_delay_alu instid0(VALU_DEP_1) | instskip(NEXT) | instid1(VALU_DEP_1)
	v_div_fixup_f64 v[3:4], v[1:2], v[5:6], v[7:8]
	v_fma_f64 v[1:2], v[7:8], v[3:4], v[5:6]
	s_delay_alu instid0(VALU_DEP_1) | instskip(NEXT) | instid1(VALU_DEP_1)
	v_div_scale_f64 v[5:6], null, v[1:2], v[1:2], 1.0
	v_rcp_f64_e32 v[7:8], v[5:6]
	s_delay_alu instid0(TRANS32_DEP_1) | instskip(NEXT) | instid1(VALU_DEP_1)
	v_fma_f64 v[9:10], -v[5:6], v[7:8], 1.0
	v_fma_f64 v[7:8], v[7:8], v[9:10], v[7:8]
	s_delay_alu instid0(VALU_DEP_1) | instskip(NEXT) | instid1(VALU_DEP_1)
	v_fma_f64 v[9:10], -v[5:6], v[7:8], 1.0
	v_fma_f64 v[7:8], v[7:8], v[9:10], v[7:8]
	v_div_scale_f64 v[9:10], vcc_lo, 1.0, v[1:2], 1.0
	s_delay_alu instid0(VALU_DEP_1) | instskip(NEXT) | instid1(VALU_DEP_1)
	v_mul_f64_e32 v[11:12], v[9:10], v[7:8]
	v_fma_f64 v[5:6], -v[5:6], v[11:12], v[9:10]
	s_wait_alu 0xfffd
	s_delay_alu instid0(VALU_DEP_1) | instskip(NEXT) | instid1(VALU_DEP_1)
	v_div_fmas_f64 v[5:6], v[5:6], v[7:8], v[11:12]
	v_div_fixup_f64 v[1:2], v[5:6], v[1:2], 1.0
	s_delay_alu instid0(VALU_DEP_1)
	v_mul_f64_e64 v[3:4], v[3:4], -v[1:2]
	v_xor_b32_e32 v10, 0x80000000, v2
	v_mov_b32_e32 v9, v1
.LBB43_17:
	s_wait_alu 0xfffe
	s_or_b32 exec_lo, exec_lo, s1
	scratch_store_b128 v14, v[1:4], off
	scratch_load_b128 v[15:18], off, s39
	v_xor_b32_e32 v12, 0x80000000, v4
	v_mov_b32_e32 v11, v3
	v_add_nc_u32_e32 v5, 0x2c0, v13
	ds_store_b128 v13, v[9:12]
	s_wait_loadcnt 0x0
	ds_store_b128 v13, v[15:18] offset:704
	s_wait_storecnt_dscnt 0x0
	s_barrier_signal -1
	s_barrier_wait -1
	global_inv scope:SCOPE_SE
	s_and_saveexec_b32 s1, s0
	s_cbranch_execz .LBB43_19
; %bb.18:
	scratch_load_b128 v[1:4], v14, off
	ds_load_b128 v[6:9], v5
	v_mov_b32_e32 v10, 0
	ds_load_b128 v[15:18], v10 offset:16
	s_wait_loadcnt_dscnt 0x1
	v_mul_f64_e32 v[10:11], v[6:7], v[3:4]
	v_mul_f64_e32 v[3:4], v[8:9], v[3:4]
	s_delay_alu instid0(VALU_DEP_2) | instskip(NEXT) | instid1(VALU_DEP_2)
	v_fma_f64 v[8:9], v[8:9], v[1:2], v[10:11]
	v_fma_f64 v[1:2], v[6:7], v[1:2], -v[3:4]
	s_delay_alu instid0(VALU_DEP_2) | instskip(NEXT) | instid1(VALU_DEP_2)
	v_add_f64_e32 v[3:4], 0, v[8:9]
	v_add_f64_e32 v[1:2], 0, v[1:2]
	s_wait_dscnt 0x0
	s_delay_alu instid0(VALU_DEP_2) | instskip(NEXT) | instid1(VALU_DEP_2)
	v_mul_f64_e32 v[6:7], v[3:4], v[17:18]
	v_mul_f64_e32 v[8:9], v[1:2], v[17:18]
	s_delay_alu instid0(VALU_DEP_2) | instskip(NEXT) | instid1(VALU_DEP_2)
	v_fma_f64 v[1:2], v[1:2], v[15:16], -v[6:7]
	v_fma_f64 v[3:4], v[3:4], v[15:16], v[8:9]
	scratch_store_b128 off, v[1:4], off offset:32
.LBB43_19:
	s_wait_alu 0xfffe
	s_or_b32 exec_lo, exec_lo, s1
	s_wait_loadcnt 0x0
	s_wait_storecnt 0x0
	s_barrier_signal -1
	s_barrier_wait -1
	global_inv scope:SCOPE_SE
	scratch_load_b128 v[1:4], off, s38
	s_mov_b32 s1, exec_lo
	s_wait_loadcnt 0x0
	ds_store_b128 v5, v[1:4]
	s_wait_dscnt 0x0
	s_barrier_signal -1
	s_barrier_wait -1
	global_inv scope:SCOPE_SE
	v_cmpx_gt_u32_e32 2, v0
	s_cbranch_execz .LBB43_23
; %bb.20:
	scratch_load_b128 v[1:4], v14, off
	ds_load_b128 v[6:9], v5
	s_wait_loadcnt_dscnt 0x0
	v_mul_f64_e32 v[10:11], v[8:9], v[3:4]
	v_mul_f64_e32 v[3:4], v[6:7], v[3:4]
	s_delay_alu instid0(VALU_DEP_2) | instskip(NEXT) | instid1(VALU_DEP_2)
	v_fma_f64 v[6:7], v[6:7], v[1:2], -v[10:11]
	v_fma_f64 v[3:4], v[8:9], v[1:2], v[3:4]
	s_delay_alu instid0(VALU_DEP_2) | instskip(NEXT) | instid1(VALU_DEP_2)
	v_add_f64_e32 v[1:2], 0, v[6:7]
	v_add_f64_e32 v[3:4], 0, v[3:4]
	s_and_saveexec_b32 s53, s0
	s_cbranch_execz .LBB43_22
; %bb.21:
	scratch_load_b128 v[6:9], off, off offset:32
	v_mov_b32_e32 v10, 0
	ds_load_b128 v[15:18], v10 offset:720
	s_wait_loadcnt_dscnt 0x0
	v_mul_f64_e32 v[10:11], v[15:16], v[8:9]
	v_mul_f64_e32 v[8:9], v[17:18], v[8:9]
	s_delay_alu instid0(VALU_DEP_2) | instskip(NEXT) | instid1(VALU_DEP_2)
	v_fma_f64 v[10:11], v[17:18], v[6:7], v[10:11]
	v_fma_f64 v[6:7], v[15:16], v[6:7], -v[8:9]
	s_delay_alu instid0(VALU_DEP_2) | instskip(NEXT) | instid1(VALU_DEP_2)
	v_add_f64_e32 v[3:4], v[3:4], v[10:11]
	v_add_f64_e32 v[1:2], v[1:2], v[6:7]
.LBB43_22:
	s_or_b32 exec_lo, exec_lo, s53
	v_mov_b32_e32 v6, 0
	ds_load_b128 v[6:9], v6 offset:32
	s_wait_dscnt 0x0
	v_mul_f64_e32 v[10:11], v[3:4], v[8:9]
	v_mul_f64_e32 v[8:9], v[1:2], v[8:9]
	s_delay_alu instid0(VALU_DEP_2) | instskip(NEXT) | instid1(VALU_DEP_2)
	v_fma_f64 v[1:2], v[1:2], v[6:7], -v[10:11]
	v_fma_f64 v[3:4], v[3:4], v[6:7], v[8:9]
	scratch_store_b128 off, v[1:4], off offset:48
.LBB43_23:
	s_wait_alu 0xfffe
	s_or_b32 exec_lo, exec_lo, s1
	s_wait_loadcnt 0x0
	s_wait_storecnt 0x0
	s_barrier_signal -1
	s_barrier_wait -1
	global_inv scope:SCOPE_SE
	scratch_load_b128 v[1:4], off, s37
	v_add_nc_u32_e32 v6, -1, v0
	s_mov_b32 s0, exec_lo
	s_wait_loadcnt 0x0
	ds_store_b128 v5, v[1:4]
	s_wait_dscnt 0x0
	s_barrier_signal -1
	s_barrier_wait -1
	global_inv scope:SCOPE_SE
	v_cmpx_gt_u32_e32 3, v0
	s_cbranch_execz .LBB43_27
; %bb.24:
	v_dual_mov_b32 v1, 0 :: v_dual_add_nc_u32 v8, 0x2c0, v13
	v_mov_b32_e32 v3, 0
	v_dual_mov_b32 v2, 0 :: v_dual_add_nc_u32 v7, -1, v0
	v_mov_b32_e32 v4, 0
	v_or_b32_e32 v9, 8, v14
	s_mov_b32 s1, 0
.LBB43_25:                              ; =>This Inner Loop Header: Depth=1
	scratch_load_b128 v[15:18], v9, off offset:-8
	ds_load_b128 v[19:22], v8
	v_add_nc_u32_e32 v7, 1, v7
	v_add_nc_u32_e32 v8, 16, v8
	v_add_nc_u32_e32 v9, 16, v9
	s_delay_alu instid0(VALU_DEP_3)
	v_cmp_lt_u32_e32 vcc_lo, 1, v7
	s_wait_alu 0xfffe
	s_or_b32 s1, vcc_lo, s1
	s_wait_loadcnt_dscnt 0x0
	v_mul_f64_e32 v[10:11], v[21:22], v[17:18]
	v_mul_f64_e32 v[17:18], v[19:20], v[17:18]
	s_delay_alu instid0(VALU_DEP_2) | instskip(NEXT) | instid1(VALU_DEP_2)
	v_fma_f64 v[10:11], v[19:20], v[15:16], -v[10:11]
	v_fma_f64 v[15:16], v[21:22], v[15:16], v[17:18]
	s_delay_alu instid0(VALU_DEP_2) | instskip(NEXT) | instid1(VALU_DEP_2)
	v_add_f64_e32 v[3:4], v[3:4], v[10:11]
	v_add_f64_e32 v[1:2], v[1:2], v[15:16]
	s_wait_alu 0xfffe
	s_and_not1_b32 exec_lo, exec_lo, s1
	s_cbranch_execnz .LBB43_25
; %bb.26:
	s_or_b32 exec_lo, exec_lo, s1
	v_mov_b32_e32 v7, 0
	ds_load_b128 v[7:10], v7 offset:48
	s_wait_dscnt 0x0
	v_mul_f64_e32 v[11:12], v[1:2], v[9:10]
	v_mul_f64_e32 v[15:16], v[3:4], v[9:10]
	s_delay_alu instid0(VALU_DEP_2) | instskip(NEXT) | instid1(VALU_DEP_2)
	v_fma_f64 v[9:10], v[3:4], v[7:8], -v[11:12]
	v_fma_f64 v[11:12], v[1:2], v[7:8], v[15:16]
	scratch_store_b128 off, v[9:12], off offset:64
.LBB43_27:
	s_wait_alu 0xfffe
	s_or_b32 exec_lo, exec_lo, s0
	s_wait_loadcnt 0x0
	s_wait_storecnt 0x0
	s_barrier_signal -1
	s_barrier_wait -1
	global_inv scope:SCOPE_SE
	scratch_load_b128 v[1:4], off, s36
	s_mov_b32 s0, exec_lo
	s_wait_loadcnt 0x0
	ds_store_b128 v5, v[1:4]
	s_wait_dscnt 0x0
	s_barrier_signal -1
	s_barrier_wait -1
	global_inv scope:SCOPE_SE
	v_cmpx_gt_u32_e32 4, v0
	s_cbranch_execz .LBB43_31
; %bb.28:
	v_dual_mov_b32 v1, 0 :: v_dual_add_nc_u32 v8, 0x2c0, v13
	v_mov_b32_e32 v3, 0
	v_dual_mov_b32 v2, 0 :: v_dual_add_nc_u32 v7, -1, v0
	v_mov_b32_e32 v4, 0
	v_or_b32_e32 v9, 8, v14
	s_mov_b32 s1, 0
.LBB43_29:                              ; =>This Inner Loop Header: Depth=1
	scratch_load_b128 v[15:18], v9, off offset:-8
	ds_load_b128 v[19:22], v8
	v_add_nc_u32_e32 v7, 1, v7
	v_add_nc_u32_e32 v8, 16, v8
	v_add_nc_u32_e32 v9, 16, v9
	s_delay_alu instid0(VALU_DEP_3)
	v_cmp_lt_u32_e32 vcc_lo, 2, v7
	s_wait_alu 0xfffe
	s_or_b32 s1, vcc_lo, s1
	s_wait_loadcnt_dscnt 0x0
	v_mul_f64_e32 v[10:11], v[21:22], v[17:18]
	v_mul_f64_e32 v[17:18], v[19:20], v[17:18]
	s_delay_alu instid0(VALU_DEP_2) | instskip(NEXT) | instid1(VALU_DEP_2)
	v_fma_f64 v[10:11], v[19:20], v[15:16], -v[10:11]
	v_fma_f64 v[15:16], v[21:22], v[15:16], v[17:18]
	s_delay_alu instid0(VALU_DEP_2) | instskip(NEXT) | instid1(VALU_DEP_2)
	v_add_f64_e32 v[3:4], v[3:4], v[10:11]
	v_add_f64_e32 v[1:2], v[1:2], v[15:16]
	s_wait_alu 0xfffe
	s_and_not1_b32 exec_lo, exec_lo, s1
	s_cbranch_execnz .LBB43_29
; %bb.30:
	s_or_b32 exec_lo, exec_lo, s1
	v_mov_b32_e32 v7, 0
	ds_load_b128 v[7:10], v7 offset:64
	s_wait_dscnt 0x0
	v_mul_f64_e32 v[11:12], v[1:2], v[9:10]
	v_mul_f64_e32 v[15:16], v[3:4], v[9:10]
	s_delay_alu instid0(VALU_DEP_2) | instskip(NEXT) | instid1(VALU_DEP_2)
	v_fma_f64 v[9:10], v[3:4], v[7:8], -v[11:12]
	v_fma_f64 v[11:12], v[1:2], v[7:8], v[15:16]
	scratch_store_b128 off, v[9:12], off offset:80
.LBB43_31:
	s_wait_alu 0xfffe
	s_or_b32 exec_lo, exec_lo, s0
	s_wait_loadcnt 0x0
	s_wait_storecnt 0x0
	s_barrier_signal -1
	s_barrier_wait -1
	global_inv scope:SCOPE_SE
	scratch_load_b128 v[1:4], off, s52
	;; [unrolled: 58-line block ×19, first 2 shown]
	s_mov_b32 s0, exec_lo
	s_wait_loadcnt 0x0
	ds_store_b128 v5, v[1:4]
	s_wait_dscnt 0x0
	s_barrier_signal -1
	s_barrier_wait -1
	global_inv scope:SCOPE_SE
	v_cmpx_gt_u32_e32 22, v0
	s_cbranch_execz .LBB43_103
; %bb.100:
	v_dual_mov_b32 v1, 0 :: v_dual_add_nc_u32 v8, 0x2c0, v13
	v_mov_b32_e32 v3, 0
	v_dual_mov_b32 v2, 0 :: v_dual_add_nc_u32 v7, -1, v0
	v_mov_b32_e32 v4, 0
	v_or_b32_e32 v9, 8, v14
	s_mov_b32 s1, 0
.LBB43_101:                             ; =>This Inner Loop Header: Depth=1
	scratch_load_b128 v[15:18], v9, off offset:-8
	ds_load_b128 v[19:22], v8
	v_add_nc_u32_e32 v7, 1, v7
	v_add_nc_u32_e32 v8, 16, v8
	v_add_nc_u32_e32 v9, 16, v9
	s_delay_alu instid0(VALU_DEP_3)
	v_cmp_lt_u32_e32 vcc_lo, 20, v7
	s_wait_alu 0xfffe
	s_or_b32 s1, vcc_lo, s1
	s_wait_loadcnt_dscnt 0x0
	v_mul_f64_e32 v[10:11], v[21:22], v[17:18]
	v_mul_f64_e32 v[17:18], v[19:20], v[17:18]
	s_delay_alu instid0(VALU_DEP_2) | instskip(NEXT) | instid1(VALU_DEP_2)
	v_fma_f64 v[10:11], v[19:20], v[15:16], -v[10:11]
	v_fma_f64 v[15:16], v[21:22], v[15:16], v[17:18]
	s_delay_alu instid0(VALU_DEP_2) | instskip(NEXT) | instid1(VALU_DEP_2)
	v_add_f64_e32 v[3:4], v[3:4], v[10:11]
	v_add_f64_e32 v[1:2], v[1:2], v[15:16]
	s_wait_alu 0xfffe
	s_and_not1_b32 exec_lo, exec_lo, s1
	s_cbranch_execnz .LBB43_101
; %bb.102:
	s_or_b32 exec_lo, exec_lo, s1
	v_mov_b32_e32 v7, 0
	ds_load_b128 v[7:10], v7 offset:352
	s_wait_dscnt 0x0
	v_mul_f64_e32 v[11:12], v[1:2], v[9:10]
	v_mul_f64_e32 v[15:16], v[3:4], v[9:10]
	s_delay_alu instid0(VALU_DEP_2) | instskip(NEXT) | instid1(VALU_DEP_2)
	v_fma_f64 v[9:10], v[3:4], v[7:8], -v[11:12]
	v_fma_f64 v[11:12], v[1:2], v[7:8], v[15:16]
	scratch_store_b128 off, v[9:12], off offset:368
.LBB43_103:
	s_wait_alu 0xfffe
	s_or_b32 exec_lo, exec_lo, s0
	s_wait_loadcnt 0x0
	s_wait_storecnt 0x0
	s_barrier_signal -1
	s_barrier_wait -1
	global_inv scope:SCOPE_SE
	scratch_load_b128 v[1:4], off, s21
	s_mov_b32 s0, exec_lo
	s_wait_loadcnt 0x0
	ds_store_b128 v5, v[1:4]
	s_wait_dscnt 0x0
	s_barrier_signal -1
	s_barrier_wait -1
	global_inv scope:SCOPE_SE
	v_cmpx_gt_u32_e32 23, v0
	s_cbranch_execz .LBB43_107
; %bb.104:
	v_dual_mov_b32 v1, 0 :: v_dual_add_nc_u32 v8, 0x2c0, v13
	v_mov_b32_e32 v3, 0
	v_dual_mov_b32 v2, 0 :: v_dual_add_nc_u32 v7, -1, v0
	v_mov_b32_e32 v4, 0
	v_or_b32_e32 v9, 8, v14
	s_mov_b32 s1, 0
.LBB43_105:                             ; =>This Inner Loop Header: Depth=1
	scratch_load_b128 v[15:18], v9, off offset:-8
	ds_load_b128 v[19:22], v8
	v_add_nc_u32_e32 v7, 1, v7
	v_add_nc_u32_e32 v8, 16, v8
	v_add_nc_u32_e32 v9, 16, v9
	s_delay_alu instid0(VALU_DEP_3)
	v_cmp_lt_u32_e32 vcc_lo, 21, v7
	s_wait_alu 0xfffe
	s_or_b32 s1, vcc_lo, s1
	s_wait_loadcnt_dscnt 0x0
	v_mul_f64_e32 v[10:11], v[21:22], v[17:18]
	v_mul_f64_e32 v[17:18], v[19:20], v[17:18]
	s_delay_alu instid0(VALU_DEP_2) | instskip(NEXT) | instid1(VALU_DEP_2)
	v_fma_f64 v[10:11], v[19:20], v[15:16], -v[10:11]
	v_fma_f64 v[15:16], v[21:22], v[15:16], v[17:18]
	s_delay_alu instid0(VALU_DEP_2) | instskip(NEXT) | instid1(VALU_DEP_2)
	v_add_f64_e32 v[3:4], v[3:4], v[10:11]
	v_add_f64_e32 v[1:2], v[1:2], v[15:16]
	s_wait_alu 0xfffe
	s_and_not1_b32 exec_lo, exec_lo, s1
	s_cbranch_execnz .LBB43_105
; %bb.106:
	s_or_b32 exec_lo, exec_lo, s1
	v_mov_b32_e32 v7, 0
	ds_load_b128 v[7:10], v7 offset:368
	s_wait_dscnt 0x0
	v_mul_f64_e32 v[11:12], v[1:2], v[9:10]
	v_mul_f64_e32 v[15:16], v[3:4], v[9:10]
	s_delay_alu instid0(VALU_DEP_2) | instskip(NEXT) | instid1(VALU_DEP_2)
	v_fma_f64 v[9:10], v[3:4], v[7:8], -v[11:12]
	v_fma_f64 v[11:12], v[1:2], v[7:8], v[15:16]
	scratch_store_b128 off, v[9:12], off offset:384
.LBB43_107:
	s_wait_alu 0xfffe
	s_or_b32 exec_lo, exec_lo, s0
	s_wait_loadcnt 0x0
	s_wait_storecnt 0x0
	s_barrier_signal -1
	s_barrier_wait -1
	global_inv scope:SCOPE_SE
	scratch_load_b128 v[1:4], off, s22
	;; [unrolled: 58-line block ×21, first 2 shown]
	s_mov_b32 s0, exec_lo
	s_wait_loadcnt 0x0
	ds_store_b128 v5, v[1:4]
	s_wait_dscnt 0x0
	s_barrier_signal -1
	s_barrier_wait -1
	global_inv scope:SCOPE_SE
	v_cmpx_ne_u32_e32 43, v0
	s_cbranch_execz .LBB43_187
; %bb.184:
	v_mov_b32_e32 v1, 0
	v_dual_mov_b32 v2, 0 :: v_dual_mov_b32 v3, 0
	v_mov_b32_e32 v4, 0
	v_or_b32_e32 v7, 8, v14
	s_mov_b32 s1, 0
.LBB43_185:                             ; =>This Inner Loop Header: Depth=1
	scratch_load_b128 v[8:11], v7, off offset:-8
	ds_load_b128 v[12:15], v5
	v_add_nc_u32_e32 v6, 1, v6
	v_add_nc_u32_e32 v5, 16, v5
	;; [unrolled: 1-line block ×3, first 2 shown]
	s_delay_alu instid0(VALU_DEP_3)
	v_cmp_lt_u32_e32 vcc_lo, 41, v6
	s_wait_alu 0xfffe
	s_or_b32 s1, vcc_lo, s1
	s_wait_loadcnt_dscnt 0x0
	v_mul_f64_e32 v[16:17], v[14:15], v[10:11]
	v_mul_f64_e32 v[10:11], v[12:13], v[10:11]
	s_delay_alu instid0(VALU_DEP_2) | instskip(NEXT) | instid1(VALU_DEP_2)
	v_fma_f64 v[12:13], v[12:13], v[8:9], -v[16:17]
	v_fma_f64 v[8:9], v[14:15], v[8:9], v[10:11]
	s_delay_alu instid0(VALU_DEP_2) | instskip(NEXT) | instid1(VALU_DEP_2)
	v_add_f64_e32 v[3:4], v[3:4], v[12:13]
	v_add_f64_e32 v[1:2], v[1:2], v[8:9]
	s_wait_alu 0xfffe
	s_and_not1_b32 exec_lo, exec_lo, s1
	s_cbranch_execnz .LBB43_185
; %bb.186:
	s_or_b32 exec_lo, exec_lo, s1
	v_mov_b32_e32 v5, 0
	ds_load_b128 v[5:8], v5 offset:688
	s_wait_dscnt 0x0
	v_mul_f64_e32 v[9:10], v[1:2], v[7:8]
	v_mul_f64_e32 v[7:8], v[3:4], v[7:8]
	s_delay_alu instid0(VALU_DEP_2) | instskip(NEXT) | instid1(VALU_DEP_2)
	v_fma_f64 v[3:4], v[3:4], v[5:6], -v[9:10]
	v_fma_f64 v[5:6], v[1:2], v[5:6], v[7:8]
	scratch_store_b128 off, v[3:6], off offset:704
.LBB43_187:
	s_wait_alu 0xfffe
	s_or_b32 exec_lo, exec_lo, s0
	s_mov_b32 s1, -1
	s_wait_loadcnt 0x0
	s_wait_storecnt 0x0
	s_barrier_signal -1
	s_barrier_wait -1
	global_inv scope:SCOPE_SE
.LBB43_188:
	s_wait_alu 0xfffe
	s_and_b32 vcc_lo, exec_lo, s1
	s_wait_alu 0xfffe
	s_cbranch_vccz .LBB43_190
; %bb.189:
	v_mov_b32_e32 v1, 0
	s_lshl_b64 s[0:1], s[16:17], 2
	s_wait_alu 0xfffe
	s_add_nc_u64 s[0:1], s[6:7], s[0:1]
	global_load_b32 v1, v1, s[0:1]
	s_wait_loadcnt 0x0
	v_cmp_ne_u32_e32 vcc_lo, 0, v1
	s_cbranch_vccz .LBB43_191
.LBB43_190:
	s_nop 0
	s_sendmsg sendmsg(MSG_DEALLOC_VGPRS)
	s_endpgm
.LBB43_191:
	v_lshl_add_u32 v134, v0, 4, 0x2c0
	s_mov_b32 s0, exec_lo
	v_cmpx_eq_u32_e32 43, v0
	s_cbranch_execz .LBB43_193
; %bb.192:
	scratch_load_b128 v[1:4], off, s30
	v_mov_b32_e32 v5, 0
	s_delay_alu instid0(VALU_DEP_1)
	v_dual_mov_b32 v6, v5 :: v_dual_mov_b32 v7, v5
	v_mov_b32_e32 v8, v5
	scratch_store_b128 off, v[5:8], off offset:688
	s_wait_loadcnt 0x0
	ds_store_b128 v134, v[1:4]
.LBB43_193:
	s_wait_alu 0xfffe
	s_or_b32 exec_lo, exec_lo, s0
	s_wait_storecnt_dscnt 0x0
	s_barrier_signal -1
	s_barrier_wait -1
	global_inv scope:SCOPE_SE
	s_clause 0x1
	scratch_load_b128 v[2:5], off, off offset:704
	scratch_load_b128 v[6:9], off, off offset:688
	v_mov_b32_e32 v1, 0
	s_mov_b32 s0, exec_lo
	ds_load_b128 v[10:13], v1 offset:1392
	s_wait_loadcnt_dscnt 0x100
	v_mul_f64_e32 v[14:15], v[12:13], v[4:5]
	v_mul_f64_e32 v[4:5], v[10:11], v[4:5]
	s_delay_alu instid0(VALU_DEP_2) | instskip(NEXT) | instid1(VALU_DEP_2)
	v_fma_f64 v[10:11], v[10:11], v[2:3], -v[14:15]
	v_fma_f64 v[2:3], v[12:13], v[2:3], v[4:5]
	s_delay_alu instid0(VALU_DEP_2) | instskip(NEXT) | instid1(VALU_DEP_2)
	v_add_f64_e32 v[4:5], 0, v[10:11]
	v_add_f64_e32 v[10:11], 0, v[2:3]
	s_wait_loadcnt 0x0
	s_delay_alu instid0(VALU_DEP_2) | instskip(NEXT) | instid1(VALU_DEP_2)
	v_add_f64_e64 v[2:3], v[6:7], -v[4:5]
	v_add_f64_e64 v[4:5], v[8:9], -v[10:11]
	scratch_store_b128 off, v[2:5], off offset:688
	v_cmpx_lt_u32_e32 41, v0
	s_cbranch_execz .LBB43_195
; %bb.194:
	scratch_load_b128 v[5:8], off, s29
	v_dual_mov_b32 v2, v1 :: v_dual_mov_b32 v3, v1
	v_mov_b32_e32 v4, v1
	scratch_store_b128 off, v[1:4], off offset:672
	s_wait_loadcnt 0x0
	ds_store_b128 v134, v[5:8]
.LBB43_195:
	s_wait_alu 0xfffe
	s_or_b32 exec_lo, exec_lo, s0
	s_wait_storecnt_dscnt 0x0
	s_barrier_signal -1
	s_barrier_wait -1
	global_inv scope:SCOPE_SE
	s_clause 0x2
	scratch_load_b128 v[2:5], off, off offset:688
	scratch_load_b128 v[6:9], off, off offset:704
	;; [unrolled: 1-line block ×3, first 2 shown]
	ds_load_b128 v[14:17], v1 offset:1376
	ds_load_b128 v[18:21], v1 offset:1392
	s_mov_b32 s0, exec_lo
	s_wait_loadcnt_dscnt 0x201
	v_mul_f64_e32 v[22:23], v[16:17], v[4:5]
	v_mul_f64_e32 v[4:5], v[14:15], v[4:5]
	s_wait_loadcnt_dscnt 0x100
	v_mul_f64_e32 v[24:25], v[18:19], v[8:9]
	v_mul_f64_e32 v[8:9], v[20:21], v[8:9]
	s_delay_alu instid0(VALU_DEP_4) | instskip(NEXT) | instid1(VALU_DEP_4)
	v_fma_f64 v[14:15], v[14:15], v[2:3], -v[22:23]
	v_fma_f64 v[1:2], v[16:17], v[2:3], v[4:5]
	s_delay_alu instid0(VALU_DEP_4) | instskip(NEXT) | instid1(VALU_DEP_4)
	v_fma_f64 v[3:4], v[20:21], v[6:7], v[24:25]
	v_fma_f64 v[5:6], v[18:19], v[6:7], -v[8:9]
	s_delay_alu instid0(VALU_DEP_4) | instskip(NEXT) | instid1(VALU_DEP_4)
	v_add_f64_e32 v[7:8], 0, v[14:15]
	v_add_f64_e32 v[1:2], 0, v[1:2]
	s_delay_alu instid0(VALU_DEP_2) | instskip(NEXT) | instid1(VALU_DEP_2)
	v_add_f64_e32 v[5:6], v[7:8], v[5:6]
	v_add_f64_e32 v[3:4], v[1:2], v[3:4]
	s_wait_loadcnt 0x0
	s_delay_alu instid0(VALU_DEP_2) | instskip(NEXT) | instid1(VALU_DEP_2)
	v_add_f64_e64 v[1:2], v[10:11], -v[5:6]
	v_add_f64_e64 v[3:4], v[12:13], -v[3:4]
	scratch_store_b128 off, v[1:4], off offset:672
	v_cmpx_lt_u32_e32 40, v0
	s_cbranch_execz .LBB43_197
; %bb.196:
	scratch_load_b128 v[1:4], off, s33
	v_mov_b32_e32 v5, 0
	s_delay_alu instid0(VALU_DEP_1)
	v_dual_mov_b32 v6, v5 :: v_dual_mov_b32 v7, v5
	v_mov_b32_e32 v8, v5
	scratch_store_b128 off, v[5:8], off offset:656
	s_wait_loadcnt 0x0
	ds_store_b128 v134, v[1:4]
.LBB43_197:
	s_wait_alu 0xfffe
	s_or_b32 exec_lo, exec_lo, s0
	s_wait_storecnt_dscnt 0x0
	s_barrier_signal -1
	s_barrier_wait -1
	global_inv scope:SCOPE_SE
	s_clause 0x3
	scratch_load_b128 v[2:5], off, off offset:672
	scratch_load_b128 v[6:9], off, off offset:688
	;; [unrolled: 1-line block ×4, first 2 shown]
	v_mov_b32_e32 v1, 0
	ds_load_b128 v[18:21], v1 offset:1360
	ds_load_b128 v[22:25], v1 offset:1376
	s_mov_b32 s0, exec_lo
	s_wait_loadcnt_dscnt 0x301
	v_mul_f64_e32 v[26:27], v[20:21], v[4:5]
	v_mul_f64_e32 v[4:5], v[18:19], v[4:5]
	s_wait_loadcnt_dscnt 0x200
	v_mul_f64_e32 v[28:29], v[22:23], v[8:9]
	v_mul_f64_e32 v[8:9], v[24:25], v[8:9]
	s_delay_alu instid0(VALU_DEP_4) | instskip(NEXT) | instid1(VALU_DEP_4)
	v_fma_f64 v[18:19], v[18:19], v[2:3], -v[26:27]
	v_fma_f64 v[20:21], v[20:21], v[2:3], v[4:5]
	ds_load_b128 v[2:5], v1 offset:1392
	v_fma_f64 v[24:25], v[24:25], v[6:7], v[28:29]
	v_fma_f64 v[6:7], v[22:23], v[6:7], -v[8:9]
	s_wait_loadcnt_dscnt 0x100
	v_mul_f64_e32 v[26:27], v[2:3], v[12:13]
	v_mul_f64_e32 v[12:13], v[4:5], v[12:13]
	v_add_f64_e32 v[8:9], 0, v[18:19]
	v_add_f64_e32 v[18:19], 0, v[20:21]
	s_delay_alu instid0(VALU_DEP_4) | instskip(NEXT) | instid1(VALU_DEP_4)
	v_fma_f64 v[4:5], v[4:5], v[10:11], v[26:27]
	v_fma_f64 v[2:3], v[2:3], v[10:11], -v[12:13]
	s_delay_alu instid0(VALU_DEP_4) | instskip(NEXT) | instid1(VALU_DEP_4)
	v_add_f64_e32 v[6:7], v[8:9], v[6:7]
	v_add_f64_e32 v[8:9], v[18:19], v[24:25]
	s_delay_alu instid0(VALU_DEP_2) | instskip(NEXT) | instid1(VALU_DEP_2)
	v_add_f64_e32 v[2:3], v[6:7], v[2:3]
	v_add_f64_e32 v[4:5], v[8:9], v[4:5]
	s_wait_loadcnt 0x0
	s_delay_alu instid0(VALU_DEP_2) | instskip(NEXT) | instid1(VALU_DEP_2)
	v_add_f64_e64 v[2:3], v[14:15], -v[2:3]
	v_add_f64_e64 v[4:5], v[16:17], -v[4:5]
	scratch_store_b128 off, v[2:5], off offset:656
	v_cmpx_lt_u32_e32 39, v0
	s_cbranch_execz .LBB43_199
; %bb.198:
	scratch_load_b128 v[5:8], off, s31
	v_dual_mov_b32 v2, v1 :: v_dual_mov_b32 v3, v1
	v_mov_b32_e32 v4, v1
	scratch_store_b128 off, v[1:4], off offset:640
	s_wait_loadcnt 0x0
	ds_store_b128 v134, v[5:8]
.LBB43_199:
	s_wait_alu 0xfffe
	s_or_b32 exec_lo, exec_lo, s0
	s_wait_storecnt_dscnt 0x0
	s_barrier_signal -1
	s_barrier_wait -1
	global_inv scope:SCOPE_SE
	s_clause 0x4
	scratch_load_b128 v[2:5], off, off offset:656
	scratch_load_b128 v[6:9], off, off offset:672
	;; [unrolled: 1-line block ×5, first 2 shown]
	ds_load_b128 v[22:25], v1 offset:1344
	ds_load_b128 v[26:29], v1 offset:1360
	s_mov_b32 s0, exec_lo
	s_wait_loadcnt_dscnt 0x401
	v_mul_f64_e32 v[30:31], v[24:25], v[4:5]
	v_mul_f64_e32 v[4:5], v[22:23], v[4:5]
	s_wait_loadcnt_dscnt 0x300
	v_mul_f64_e32 v[32:33], v[26:27], v[8:9]
	v_mul_f64_e32 v[8:9], v[28:29], v[8:9]
	s_delay_alu instid0(VALU_DEP_4) | instskip(NEXT) | instid1(VALU_DEP_4)
	v_fma_f64 v[30:31], v[22:23], v[2:3], -v[30:31]
	v_fma_f64 v[34:35], v[24:25], v[2:3], v[4:5]
	ds_load_b128 v[2:5], v1 offset:1376
	ds_load_b128 v[22:25], v1 offset:1392
	v_fma_f64 v[28:29], v[28:29], v[6:7], v[32:33]
	v_fma_f64 v[6:7], v[26:27], v[6:7], -v[8:9]
	s_wait_loadcnt_dscnt 0x201
	v_mul_f64_e32 v[36:37], v[2:3], v[12:13]
	v_mul_f64_e32 v[12:13], v[4:5], v[12:13]
	v_add_f64_e32 v[8:9], 0, v[30:31]
	v_add_f64_e32 v[26:27], 0, v[34:35]
	s_wait_loadcnt_dscnt 0x100
	v_mul_f64_e32 v[30:31], v[22:23], v[16:17]
	v_mul_f64_e32 v[16:17], v[24:25], v[16:17]
	v_fma_f64 v[4:5], v[4:5], v[10:11], v[36:37]
	v_fma_f64 v[1:2], v[2:3], v[10:11], -v[12:13]
	v_add_f64_e32 v[6:7], v[8:9], v[6:7]
	v_add_f64_e32 v[8:9], v[26:27], v[28:29]
	v_fma_f64 v[10:11], v[24:25], v[14:15], v[30:31]
	v_fma_f64 v[12:13], v[22:23], v[14:15], -v[16:17]
	s_delay_alu instid0(VALU_DEP_4) | instskip(NEXT) | instid1(VALU_DEP_4)
	v_add_f64_e32 v[1:2], v[6:7], v[1:2]
	v_add_f64_e32 v[3:4], v[8:9], v[4:5]
	s_delay_alu instid0(VALU_DEP_2) | instskip(NEXT) | instid1(VALU_DEP_2)
	v_add_f64_e32 v[1:2], v[1:2], v[12:13]
	v_add_f64_e32 v[3:4], v[3:4], v[10:11]
	s_wait_loadcnt 0x0
	s_delay_alu instid0(VALU_DEP_2) | instskip(NEXT) | instid1(VALU_DEP_2)
	v_add_f64_e64 v[1:2], v[18:19], -v[1:2]
	v_add_f64_e64 v[3:4], v[20:21], -v[3:4]
	scratch_store_b128 off, v[1:4], off offset:640
	v_cmpx_lt_u32_e32 38, v0
	s_cbranch_execz .LBB43_201
; %bb.200:
	scratch_load_b128 v[1:4], off, s35
	v_mov_b32_e32 v5, 0
	s_delay_alu instid0(VALU_DEP_1)
	v_dual_mov_b32 v6, v5 :: v_dual_mov_b32 v7, v5
	v_mov_b32_e32 v8, v5
	scratch_store_b128 off, v[5:8], off offset:624
	s_wait_loadcnt 0x0
	ds_store_b128 v134, v[1:4]
.LBB43_201:
	s_wait_alu 0xfffe
	s_or_b32 exec_lo, exec_lo, s0
	s_wait_storecnt_dscnt 0x0
	s_barrier_signal -1
	s_barrier_wait -1
	global_inv scope:SCOPE_SE
	s_clause 0x5
	scratch_load_b128 v[2:5], off, off offset:640
	scratch_load_b128 v[6:9], off, off offset:656
	scratch_load_b128 v[10:13], off, off offset:672
	scratch_load_b128 v[14:17], off, off offset:688
	scratch_load_b128 v[18:21], off, off offset:704
	scratch_load_b128 v[22:25], off, off offset:624
	v_mov_b32_e32 v1, 0
	ds_load_b128 v[26:29], v1 offset:1328
	ds_load_b128 v[30:33], v1 offset:1344
	s_mov_b32 s0, exec_lo
	s_wait_loadcnt_dscnt 0x501
	v_mul_f64_e32 v[34:35], v[28:29], v[4:5]
	v_mul_f64_e32 v[4:5], v[26:27], v[4:5]
	s_wait_loadcnt_dscnt 0x400
	v_mul_f64_e32 v[36:37], v[30:31], v[8:9]
	v_mul_f64_e32 v[8:9], v[32:33], v[8:9]
	s_delay_alu instid0(VALU_DEP_4) | instskip(NEXT) | instid1(VALU_DEP_4)
	v_fma_f64 v[34:35], v[26:27], v[2:3], -v[34:35]
	v_fma_f64 v[38:39], v[28:29], v[2:3], v[4:5]
	ds_load_b128 v[2:5], v1 offset:1360
	ds_load_b128 v[26:29], v1 offset:1376
	v_fma_f64 v[32:33], v[32:33], v[6:7], v[36:37]
	v_fma_f64 v[6:7], v[30:31], v[6:7], -v[8:9]
	s_wait_loadcnt_dscnt 0x301
	v_mul_f64_e32 v[40:41], v[2:3], v[12:13]
	v_mul_f64_e32 v[12:13], v[4:5], v[12:13]
	v_add_f64_e32 v[8:9], 0, v[34:35]
	v_add_f64_e32 v[30:31], 0, v[38:39]
	s_wait_loadcnt_dscnt 0x200
	v_mul_f64_e32 v[34:35], v[26:27], v[16:17]
	v_mul_f64_e32 v[16:17], v[28:29], v[16:17]
	v_fma_f64 v[36:37], v[4:5], v[10:11], v[40:41]
	v_fma_f64 v[10:11], v[2:3], v[10:11], -v[12:13]
	ds_load_b128 v[2:5], v1 offset:1392
	v_add_f64_e32 v[6:7], v[8:9], v[6:7]
	v_add_f64_e32 v[8:9], v[30:31], v[32:33]
	v_fma_f64 v[28:29], v[28:29], v[14:15], v[34:35]
	v_fma_f64 v[14:15], v[26:27], v[14:15], -v[16:17]
	s_wait_loadcnt_dscnt 0x100
	v_mul_f64_e32 v[12:13], v[2:3], v[20:21]
	v_mul_f64_e32 v[20:21], v[4:5], v[20:21]
	v_add_f64_e32 v[6:7], v[6:7], v[10:11]
	v_add_f64_e32 v[8:9], v[8:9], v[36:37]
	s_delay_alu instid0(VALU_DEP_4) | instskip(NEXT) | instid1(VALU_DEP_4)
	v_fma_f64 v[4:5], v[4:5], v[18:19], v[12:13]
	v_fma_f64 v[2:3], v[2:3], v[18:19], -v[20:21]
	s_delay_alu instid0(VALU_DEP_4) | instskip(NEXT) | instid1(VALU_DEP_4)
	v_add_f64_e32 v[6:7], v[6:7], v[14:15]
	v_add_f64_e32 v[8:9], v[8:9], v[28:29]
	s_delay_alu instid0(VALU_DEP_2) | instskip(NEXT) | instid1(VALU_DEP_2)
	v_add_f64_e32 v[2:3], v[6:7], v[2:3]
	v_add_f64_e32 v[4:5], v[8:9], v[4:5]
	s_wait_loadcnt 0x0
	s_delay_alu instid0(VALU_DEP_2) | instskip(NEXT) | instid1(VALU_DEP_2)
	v_add_f64_e64 v[2:3], v[22:23], -v[2:3]
	v_add_f64_e64 v[4:5], v[24:25], -v[4:5]
	scratch_store_b128 off, v[2:5], off offset:624
	v_cmpx_lt_u32_e32 37, v0
	s_cbranch_execz .LBB43_203
; %bb.202:
	scratch_load_b128 v[5:8], off, s34
	v_dual_mov_b32 v2, v1 :: v_dual_mov_b32 v3, v1
	v_mov_b32_e32 v4, v1
	scratch_store_b128 off, v[1:4], off offset:608
	s_wait_loadcnt 0x0
	ds_store_b128 v134, v[5:8]
.LBB43_203:
	s_wait_alu 0xfffe
	s_or_b32 exec_lo, exec_lo, s0
	s_wait_storecnt_dscnt 0x0
	s_barrier_signal -1
	s_barrier_wait -1
	global_inv scope:SCOPE_SE
	s_clause 0x5
	scratch_load_b128 v[2:5], off, off offset:624
	scratch_load_b128 v[6:9], off, off offset:640
	;; [unrolled: 1-line block ×6, first 2 shown]
	ds_load_b128 v[26:29], v1 offset:1312
	ds_load_b128 v[34:37], v1 offset:1328
	scratch_load_b128 v[30:33], off, off offset:608
	s_mov_b32 s0, exec_lo
	s_wait_loadcnt_dscnt 0x601
	v_mul_f64_e32 v[38:39], v[28:29], v[4:5]
	v_mul_f64_e32 v[4:5], v[26:27], v[4:5]
	s_wait_loadcnt_dscnt 0x500
	v_mul_f64_e32 v[40:41], v[34:35], v[8:9]
	v_mul_f64_e32 v[8:9], v[36:37], v[8:9]
	s_delay_alu instid0(VALU_DEP_4) | instskip(NEXT) | instid1(VALU_DEP_4)
	v_fma_f64 v[38:39], v[26:27], v[2:3], -v[38:39]
	v_fma_f64 v[42:43], v[28:29], v[2:3], v[4:5]
	ds_load_b128 v[2:5], v1 offset:1344
	ds_load_b128 v[26:29], v1 offset:1360
	v_fma_f64 v[36:37], v[36:37], v[6:7], v[40:41]
	v_fma_f64 v[6:7], v[34:35], v[6:7], -v[8:9]
	s_wait_loadcnt_dscnt 0x401
	v_mul_f64_e32 v[44:45], v[2:3], v[12:13]
	v_mul_f64_e32 v[12:13], v[4:5], v[12:13]
	v_add_f64_e32 v[8:9], 0, v[38:39]
	v_add_f64_e32 v[34:35], 0, v[42:43]
	s_wait_loadcnt_dscnt 0x300
	v_mul_f64_e32 v[38:39], v[26:27], v[16:17]
	v_mul_f64_e32 v[16:17], v[28:29], v[16:17]
	v_fma_f64 v[40:41], v[4:5], v[10:11], v[44:45]
	v_fma_f64 v[10:11], v[2:3], v[10:11], -v[12:13]
	v_add_f64_e32 v[12:13], v[8:9], v[6:7]
	v_add_f64_e32 v[34:35], v[34:35], v[36:37]
	ds_load_b128 v[2:5], v1 offset:1376
	ds_load_b128 v[6:9], v1 offset:1392
	v_fma_f64 v[28:29], v[28:29], v[14:15], v[38:39]
	v_fma_f64 v[14:15], v[26:27], v[14:15], -v[16:17]
	s_wait_loadcnt_dscnt 0x201
	v_mul_f64_e32 v[36:37], v[2:3], v[20:21]
	v_mul_f64_e32 v[20:21], v[4:5], v[20:21]
	s_wait_loadcnt_dscnt 0x100
	v_mul_f64_e32 v[16:17], v[6:7], v[24:25]
	v_mul_f64_e32 v[24:25], v[8:9], v[24:25]
	v_add_f64_e32 v[10:11], v[12:13], v[10:11]
	v_add_f64_e32 v[12:13], v[34:35], v[40:41]
	v_fma_f64 v[4:5], v[4:5], v[18:19], v[36:37]
	v_fma_f64 v[1:2], v[2:3], v[18:19], -v[20:21]
	v_fma_f64 v[8:9], v[8:9], v[22:23], v[16:17]
	v_fma_f64 v[6:7], v[6:7], v[22:23], -v[24:25]
	v_add_f64_e32 v[10:11], v[10:11], v[14:15]
	v_add_f64_e32 v[12:13], v[12:13], v[28:29]
	s_delay_alu instid0(VALU_DEP_2) | instskip(NEXT) | instid1(VALU_DEP_2)
	v_add_f64_e32 v[1:2], v[10:11], v[1:2]
	v_add_f64_e32 v[3:4], v[12:13], v[4:5]
	s_delay_alu instid0(VALU_DEP_2) | instskip(NEXT) | instid1(VALU_DEP_2)
	v_add_f64_e32 v[1:2], v[1:2], v[6:7]
	v_add_f64_e32 v[3:4], v[3:4], v[8:9]
	s_wait_loadcnt 0x0
	s_delay_alu instid0(VALU_DEP_2) | instskip(NEXT) | instid1(VALU_DEP_2)
	v_add_f64_e64 v[1:2], v[30:31], -v[1:2]
	v_add_f64_e64 v[3:4], v[32:33], -v[3:4]
	scratch_store_b128 off, v[1:4], off offset:608
	v_cmpx_lt_u32_e32 36, v0
	s_cbranch_execz .LBB43_205
; %bb.204:
	scratch_load_b128 v[1:4], off, s5
	v_mov_b32_e32 v5, 0
	s_delay_alu instid0(VALU_DEP_1)
	v_dual_mov_b32 v6, v5 :: v_dual_mov_b32 v7, v5
	v_mov_b32_e32 v8, v5
	scratch_store_b128 off, v[5:8], off offset:592
	s_wait_loadcnt 0x0
	ds_store_b128 v134, v[1:4]
.LBB43_205:
	s_wait_alu 0xfffe
	s_or_b32 exec_lo, exec_lo, s0
	s_wait_storecnt_dscnt 0x0
	s_barrier_signal -1
	s_barrier_wait -1
	global_inv scope:SCOPE_SE
	s_clause 0x6
	scratch_load_b128 v[2:5], off, off offset:608
	scratch_load_b128 v[6:9], off, off offset:624
	;; [unrolled: 1-line block ×7, first 2 shown]
	v_mov_b32_e32 v1, 0
	scratch_load_b128 v[34:37], off, off offset:592
	s_mov_b32 s0, exec_lo
	ds_load_b128 v[30:33], v1 offset:1296
	ds_load_b128 v[38:41], v1 offset:1312
	s_wait_loadcnt_dscnt 0x701
	v_mul_f64_e32 v[42:43], v[32:33], v[4:5]
	v_mul_f64_e32 v[4:5], v[30:31], v[4:5]
	s_wait_loadcnt_dscnt 0x600
	v_mul_f64_e32 v[44:45], v[38:39], v[8:9]
	v_mul_f64_e32 v[8:9], v[40:41], v[8:9]
	s_delay_alu instid0(VALU_DEP_4) | instskip(NEXT) | instid1(VALU_DEP_4)
	v_fma_f64 v[42:43], v[30:31], v[2:3], -v[42:43]
	v_fma_f64 v[135:136], v[32:33], v[2:3], v[4:5]
	ds_load_b128 v[2:5], v1 offset:1328
	ds_load_b128 v[30:33], v1 offset:1344
	v_fma_f64 v[40:41], v[40:41], v[6:7], v[44:45]
	v_fma_f64 v[6:7], v[38:39], v[6:7], -v[8:9]
	s_wait_loadcnt_dscnt 0x501
	v_mul_f64_e32 v[137:138], v[2:3], v[12:13]
	v_mul_f64_e32 v[12:13], v[4:5], v[12:13]
	v_add_f64_e32 v[8:9], 0, v[42:43]
	v_add_f64_e32 v[38:39], 0, v[135:136]
	s_wait_loadcnt_dscnt 0x400
	v_mul_f64_e32 v[42:43], v[30:31], v[16:17]
	v_mul_f64_e32 v[16:17], v[32:33], v[16:17]
	v_fma_f64 v[44:45], v[4:5], v[10:11], v[137:138]
	v_fma_f64 v[10:11], v[2:3], v[10:11], -v[12:13]
	v_add_f64_e32 v[12:13], v[8:9], v[6:7]
	v_add_f64_e32 v[38:39], v[38:39], v[40:41]
	ds_load_b128 v[2:5], v1 offset:1360
	ds_load_b128 v[6:9], v1 offset:1376
	v_fma_f64 v[32:33], v[32:33], v[14:15], v[42:43]
	v_fma_f64 v[14:15], v[30:31], v[14:15], -v[16:17]
	s_wait_loadcnt_dscnt 0x301
	v_mul_f64_e32 v[40:41], v[2:3], v[20:21]
	v_mul_f64_e32 v[20:21], v[4:5], v[20:21]
	s_wait_loadcnt_dscnt 0x200
	v_mul_f64_e32 v[16:17], v[6:7], v[24:25]
	v_mul_f64_e32 v[24:25], v[8:9], v[24:25]
	v_add_f64_e32 v[10:11], v[12:13], v[10:11]
	v_add_f64_e32 v[12:13], v[38:39], v[44:45]
	v_fma_f64 v[30:31], v[4:5], v[18:19], v[40:41]
	v_fma_f64 v[18:19], v[2:3], v[18:19], -v[20:21]
	ds_load_b128 v[2:5], v1 offset:1392
	v_fma_f64 v[8:9], v[8:9], v[22:23], v[16:17]
	v_fma_f64 v[6:7], v[6:7], v[22:23], -v[24:25]
	v_add_f64_e32 v[10:11], v[10:11], v[14:15]
	v_add_f64_e32 v[12:13], v[12:13], v[32:33]
	s_wait_loadcnt_dscnt 0x100
	v_mul_f64_e32 v[14:15], v[2:3], v[28:29]
	v_mul_f64_e32 v[20:21], v[4:5], v[28:29]
	s_delay_alu instid0(VALU_DEP_4) | instskip(NEXT) | instid1(VALU_DEP_4)
	v_add_f64_e32 v[10:11], v[10:11], v[18:19]
	v_add_f64_e32 v[12:13], v[12:13], v[30:31]
	s_delay_alu instid0(VALU_DEP_4) | instskip(NEXT) | instid1(VALU_DEP_4)
	v_fma_f64 v[4:5], v[4:5], v[26:27], v[14:15]
	v_fma_f64 v[2:3], v[2:3], v[26:27], -v[20:21]
	s_delay_alu instid0(VALU_DEP_4) | instskip(NEXT) | instid1(VALU_DEP_4)
	v_add_f64_e32 v[6:7], v[10:11], v[6:7]
	v_add_f64_e32 v[8:9], v[12:13], v[8:9]
	s_delay_alu instid0(VALU_DEP_2) | instskip(NEXT) | instid1(VALU_DEP_2)
	v_add_f64_e32 v[2:3], v[6:7], v[2:3]
	v_add_f64_e32 v[4:5], v[8:9], v[4:5]
	s_wait_loadcnt 0x0
	s_delay_alu instid0(VALU_DEP_2) | instskip(NEXT) | instid1(VALU_DEP_2)
	v_add_f64_e64 v[2:3], v[34:35], -v[2:3]
	v_add_f64_e64 v[4:5], v[36:37], -v[4:5]
	scratch_store_b128 off, v[2:5], off offset:592
	v_cmpx_lt_u32_e32 35, v0
	s_cbranch_execz .LBB43_207
; %bb.206:
	scratch_load_b128 v[5:8], off, s4
	v_dual_mov_b32 v2, v1 :: v_dual_mov_b32 v3, v1
	v_mov_b32_e32 v4, v1
	scratch_store_b128 off, v[1:4], off offset:576
	s_wait_loadcnt 0x0
	ds_store_b128 v134, v[5:8]
.LBB43_207:
	s_wait_alu 0xfffe
	s_or_b32 exec_lo, exec_lo, s0
	s_wait_storecnt_dscnt 0x0
	s_barrier_signal -1
	s_barrier_wait -1
	global_inv scope:SCOPE_SE
	s_clause 0x7
	scratch_load_b128 v[2:5], off, off offset:592
	scratch_load_b128 v[6:9], off, off offset:608
	;; [unrolled: 1-line block ×8, first 2 shown]
	ds_load_b128 v[34:37], v1 offset:1280
	ds_load_b128 v[38:41], v1 offset:1296
	s_mov_b32 s0, exec_lo
	s_wait_loadcnt_dscnt 0x701
	v_mul_f64_e32 v[42:43], v[36:37], v[4:5]
	v_mul_f64_e32 v[4:5], v[34:35], v[4:5]
	s_wait_loadcnt_dscnt 0x600
	v_mul_f64_e32 v[44:45], v[38:39], v[8:9]
	v_mul_f64_e32 v[8:9], v[40:41], v[8:9]
	s_delay_alu instid0(VALU_DEP_4) | instskip(NEXT) | instid1(VALU_DEP_4)
	v_fma_f64 v[42:43], v[34:35], v[2:3], -v[42:43]
	v_fma_f64 v[135:136], v[36:37], v[2:3], v[4:5]
	ds_load_b128 v[2:5], v1 offset:1312
	scratch_load_b128 v[34:37], off, off offset:576
	v_fma_f64 v[40:41], v[40:41], v[6:7], v[44:45]
	v_fma_f64 v[38:39], v[38:39], v[6:7], -v[8:9]
	ds_load_b128 v[6:9], v1 offset:1328
	s_wait_loadcnt_dscnt 0x601
	v_mul_f64_e32 v[137:138], v[2:3], v[12:13]
	v_mul_f64_e32 v[12:13], v[4:5], v[12:13]
	v_add_f64_e32 v[42:43], 0, v[42:43]
	v_add_f64_e32 v[44:45], 0, v[135:136]
	s_wait_loadcnt_dscnt 0x500
	v_mul_f64_e32 v[135:136], v[6:7], v[16:17]
	v_mul_f64_e32 v[16:17], v[8:9], v[16:17]
	v_fma_f64 v[137:138], v[4:5], v[10:11], v[137:138]
	v_fma_f64 v[10:11], v[2:3], v[10:11], -v[12:13]
	ds_load_b128 v[2:5], v1 offset:1344
	v_add_f64_e32 v[12:13], v[42:43], v[38:39]
	v_add_f64_e32 v[38:39], v[44:45], v[40:41]
	v_fma_f64 v[42:43], v[8:9], v[14:15], v[135:136]
	v_fma_f64 v[14:15], v[6:7], v[14:15], -v[16:17]
	ds_load_b128 v[6:9], v1 offset:1360
	s_wait_loadcnt_dscnt 0x401
	v_mul_f64_e32 v[40:41], v[2:3], v[20:21]
	v_mul_f64_e32 v[20:21], v[4:5], v[20:21]
	s_wait_loadcnt_dscnt 0x300
	v_mul_f64_e32 v[16:17], v[6:7], v[24:25]
	v_mul_f64_e32 v[24:25], v[8:9], v[24:25]
	v_add_f64_e32 v[10:11], v[12:13], v[10:11]
	v_add_f64_e32 v[12:13], v[38:39], v[137:138]
	v_fma_f64 v[38:39], v[4:5], v[18:19], v[40:41]
	v_fma_f64 v[18:19], v[2:3], v[18:19], -v[20:21]
	ds_load_b128 v[2:5], v1 offset:1376
	v_fma_f64 v[16:17], v[8:9], v[22:23], v[16:17]
	v_fma_f64 v[22:23], v[6:7], v[22:23], -v[24:25]
	ds_load_b128 v[6:9], v1 offset:1392
	s_wait_loadcnt_dscnt 0x201
	v_mul_f64_e32 v[20:21], v[4:5], v[28:29]
	v_add_f64_e32 v[10:11], v[10:11], v[14:15]
	v_add_f64_e32 v[12:13], v[12:13], v[42:43]
	v_mul_f64_e32 v[14:15], v[2:3], v[28:29]
	s_wait_loadcnt_dscnt 0x100
	v_mul_f64_e32 v[24:25], v[8:9], v[32:33]
	v_fma_f64 v[1:2], v[2:3], v[26:27], -v[20:21]
	v_add_f64_e32 v[10:11], v[10:11], v[18:19]
	v_add_f64_e32 v[12:13], v[12:13], v[38:39]
	v_mul_f64_e32 v[18:19], v[6:7], v[32:33]
	v_fma_f64 v[4:5], v[4:5], v[26:27], v[14:15]
	v_fma_f64 v[6:7], v[6:7], v[30:31], -v[24:25]
	v_add_f64_e32 v[10:11], v[10:11], v[22:23]
	v_add_f64_e32 v[12:13], v[12:13], v[16:17]
	v_fma_f64 v[8:9], v[8:9], v[30:31], v[18:19]
	s_delay_alu instid0(VALU_DEP_3) | instskip(NEXT) | instid1(VALU_DEP_3)
	v_add_f64_e32 v[1:2], v[10:11], v[1:2]
	v_add_f64_e32 v[3:4], v[12:13], v[4:5]
	s_delay_alu instid0(VALU_DEP_2) | instskip(NEXT) | instid1(VALU_DEP_2)
	v_add_f64_e32 v[1:2], v[1:2], v[6:7]
	v_add_f64_e32 v[3:4], v[3:4], v[8:9]
	s_wait_loadcnt 0x0
	s_delay_alu instid0(VALU_DEP_2) | instskip(NEXT) | instid1(VALU_DEP_2)
	v_add_f64_e64 v[1:2], v[34:35], -v[1:2]
	v_add_f64_e64 v[3:4], v[36:37], -v[3:4]
	scratch_store_b128 off, v[1:4], off offset:576
	v_cmpx_lt_u32_e32 34, v0
	s_cbranch_execz .LBB43_209
; %bb.208:
	scratch_load_b128 v[1:4], off, s9
	v_mov_b32_e32 v5, 0
	s_delay_alu instid0(VALU_DEP_1)
	v_dual_mov_b32 v6, v5 :: v_dual_mov_b32 v7, v5
	v_mov_b32_e32 v8, v5
	scratch_store_b128 off, v[5:8], off offset:560
	s_wait_loadcnt 0x0
	ds_store_b128 v134, v[1:4]
.LBB43_209:
	s_wait_alu 0xfffe
	s_or_b32 exec_lo, exec_lo, s0
	s_wait_storecnt_dscnt 0x0
	s_barrier_signal -1
	s_barrier_wait -1
	global_inv scope:SCOPE_SE
	s_clause 0x7
	scratch_load_b128 v[2:5], off, off offset:576
	scratch_load_b128 v[6:9], off, off offset:592
	;; [unrolled: 1-line block ×8, first 2 shown]
	v_mov_b32_e32 v1, 0
	scratch_load_b128 v[38:41], off, off offset:704
	s_mov_b32 s0, exec_lo
	ds_load_b128 v[34:37], v1 offset:1264
	ds_load_b128 v[42:45], v1 offset:1280
	s_wait_loadcnt_dscnt 0x801
	v_mul_f64_e32 v[135:136], v[36:37], v[4:5]
	v_mul_f64_e32 v[4:5], v[34:35], v[4:5]
	s_wait_loadcnt_dscnt 0x700
	v_mul_f64_e32 v[137:138], v[42:43], v[8:9]
	v_mul_f64_e32 v[8:9], v[44:45], v[8:9]
	s_delay_alu instid0(VALU_DEP_4) | instskip(NEXT) | instid1(VALU_DEP_4)
	v_fma_f64 v[34:35], v[34:35], v[2:3], -v[135:136]
	v_fma_f64 v[36:37], v[36:37], v[2:3], v[4:5]
	ds_load_b128 v[2:5], v1 offset:1296
	v_fma_f64 v[44:45], v[44:45], v[6:7], v[137:138]
	v_fma_f64 v[42:43], v[42:43], v[6:7], -v[8:9]
	ds_load_b128 v[6:9], v1 offset:1312
	s_wait_loadcnt_dscnt 0x601
	v_mul_f64_e32 v[135:136], v[2:3], v[12:13]
	v_mul_f64_e32 v[12:13], v[4:5], v[12:13]
	s_wait_loadcnt_dscnt 0x500
	v_mul_f64_e32 v[141:142], v[6:7], v[16:17]
	v_mul_f64_e32 v[16:17], v[8:9], v[16:17]
	v_add_f64_e32 v[137:138], 0, v[34:35]
	v_add_f64_e32 v[139:140], 0, v[36:37]
	scratch_load_b128 v[34:37], off, off offset:560
	v_fma_f64 v[135:136], v[4:5], v[10:11], v[135:136]
	v_fma_f64 v[10:11], v[2:3], v[10:11], -v[12:13]
	ds_load_b128 v[2:5], v1 offset:1328
	v_add_f64_e32 v[12:13], v[137:138], v[42:43]
	v_add_f64_e32 v[42:43], v[139:140], v[44:45]
	v_fma_f64 v[137:138], v[8:9], v[14:15], v[141:142]
	v_fma_f64 v[14:15], v[6:7], v[14:15], -v[16:17]
	ds_load_b128 v[6:9], v1 offset:1344
	s_wait_loadcnt_dscnt 0x501
	v_mul_f64_e32 v[44:45], v[2:3], v[20:21]
	v_mul_f64_e32 v[20:21], v[4:5], v[20:21]
	s_wait_loadcnt_dscnt 0x400
	v_mul_f64_e32 v[16:17], v[6:7], v[24:25]
	v_mul_f64_e32 v[24:25], v[8:9], v[24:25]
	v_add_f64_e32 v[10:11], v[12:13], v[10:11]
	v_add_f64_e32 v[12:13], v[42:43], v[135:136]
	v_fma_f64 v[42:43], v[4:5], v[18:19], v[44:45]
	v_fma_f64 v[18:19], v[2:3], v[18:19], -v[20:21]
	ds_load_b128 v[2:5], v1 offset:1360
	v_fma_f64 v[16:17], v[8:9], v[22:23], v[16:17]
	v_fma_f64 v[22:23], v[6:7], v[22:23], -v[24:25]
	ds_load_b128 v[6:9], v1 offset:1376
	s_wait_loadcnt_dscnt 0x301
	v_mul_f64_e32 v[20:21], v[4:5], v[28:29]
	v_add_f64_e32 v[10:11], v[10:11], v[14:15]
	v_add_f64_e32 v[12:13], v[12:13], v[137:138]
	v_mul_f64_e32 v[14:15], v[2:3], v[28:29]
	s_wait_loadcnt_dscnt 0x200
	v_mul_f64_e32 v[24:25], v[8:9], v[32:33]
	v_fma_f64 v[20:21], v[2:3], v[26:27], -v[20:21]
	v_add_f64_e32 v[10:11], v[10:11], v[18:19]
	v_add_f64_e32 v[12:13], v[12:13], v[42:43]
	v_mul_f64_e32 v[18:19], v[6:7], v[32:33]
	v_fma_f64 v[14:15], v[4:5], v[26:27], v[14:15]
	ds_load_b128 v[2:5], v1 offset:1392
	v_fma_f64 v[6:7], v[6:7], v[30:31], -v[24:25]
	v_add_f64_e32 v[10:11], v[10:11], v[22:23]
	v_add_f64_e32 v[12:13], v[12:13], v[16:17]
	s_wait_loadcnt_dscnt 0x100
	v_mul_f64_e32 v[16:17], v[2:3], v[40:41]
	v_mul_f64_e32 v[22:23], v[4:5], v[40:41]
	v_fma_f64 v[8:9], v[8:9], v[30:31], v[18:19]
	v_add_f64_e32 v[10:11], v[10:11], v[20:21]
	v_add_f64_e32 v[12:13], v[12:13], v[14:15]
	v_fma_f64 v[4:5], v[4:5], v[38:39], v[16:17]
	v_fma_f64 v[2:3], v[2:3], v[38:39], -v[22:23]
	s_delay_alu instid0(VALU_DEP_4) | instskip(NEXT) | instid1(VALU_DEP_4)
	v_add_f64_e32 v[6:7], v[10:11], v[6:7]
	v_add_f64_e32 v[8:9], v[12:13], v[8:9]
	s_delay_alu instid0(VALU_DEP_2) | instskip(NEXT) | instid1(VALU_DEP_2)
	v_add_f64_e32 v[2:3], v[6:7], v[2:3]
	v_add_f64_e32 v[4:5], v[8:9], v[4:5]
	s_wait_loadcnt 0x0
	s_delay_alu instid0(VALU_DEP_2) | instskip(NEXT) | instid1(VALU_DEP_2)
	v_add_f64_e64 v[2:3], v[34:35], -v[2:3]
	v_add_f64_e64 v[4:5], v[36:37], -v[4:5]
	scratch_store_b128 off, v[2:5], off offset:560
	v_cmpx_lt_u32_e32 33, v0
	s_cbranch_execz .LBB43_211
; %bb.210:
	scratch_load_b128 v[5:8], off, s8
	v_dual_mov_b32 v2, v1 :: v_dual_mov_b32 v3, v1
	v_mov_b32_e32 v4, v1
	scratch_store_b128 off, v[1:4], off offset:544
	s_wait_loadcnt 0x0
	ds_store_b128 v134, v[5:8]
.LBB43_211:
	s_wait_alu 0xfffe
	s_or_b32 exec_lo, exec_lo, s0
	s_wait_storecnt_dscnt 0x0
	s_barrier_signal -1
	s_barrier_wait -1
	global_inv scope:SCOPE_SE
	s_clause 0x8
	scratch_load_b128 v[2:5], off, off offset:560
	scratch_load_b128 v[6:9], off, off offset:576
	;; [unrolled: 1-line block ×9, first 2 shown]
	ds_load_b128 v[38:41], v1 offset:1248
	ds_load_b128 v[42:45], v1 offset:1264
	s_clause 0x1
	scratch_load_b128 v[135:138], off, off offset:544
	scratch_load_b128 v[139:142], off, off offset:704
	s_mov_b32 s0, exec_lo
	s_wait_loadcnt_dscnt 0xa01
	v_mul_f64_e32 v[143:144], v[40:41], v[4:5]
	v_mul_f64_e32 v[4:5], v[38:39], v[4:5]
	s_wait_loadcnt_dscnt 0x900
	v_mul_f64_e32 v[145:146], v[42:43], v[8:9]
	v_mul_f64_e32 v[8:9], v[44:45], v[8:9]
	s_delay_alu instid0(VALU_DEP_4) | instskip(NEXT) | instid1(VALU_DEP_4)
	v_fma_f64 v[143:144], v[38:39], v[2:3], -v[143:144]
	v_fma_f64 v[147:148], v[40:41], v[2:3], v[4:5]
	ds_load_b128 v[2:5], v1 offset:1280
	ds_load_b128 v[38:41], v1 offset:1296
	v_fma_f64 v[44:45], v[44:45], v[6:7], v[145:146]
	v_fma_f64 v[6:7], v[42:43], v[6:7], -v[8:9]
	s_wait_loadcnt_dscnt 0x801
	v_mul_f64_e32 v[149:150], v[2:3], v[12:13]
	v_mul_f64_e32 v[12:13], v[4:5], v[12:13]
	v_add_f64_e32 v[8:9], 0, v[143:144]
	v_add_f64_e32 v[42:43], 0, v[147:148]
	s_wait_loadcnt_dscnt 0x700
	v_mul_f64_e32 v[143:144], v[38:39], v[16:17]
	v_mul_f64_e32 v[16:17], v[40:41], v[16:17]
	v_fma_f64 v[145:146], v[4:5], v[10:11], v[149:150]
	v_fma_f64 v[10:11], v[2:3], v[10:11], -v[12:13]
	v_add_f64_e32 v[12:13], v[8:9], v[6:7]
	v_add_f64_e32 v[42:43], v[42:43], v[44:45]
	ds_load_b128 v[2:5], v1 offset:1312
	ds_load_b128 v[6:9], v1 offset:1328
	v_fma_f64 v[40:41], v[40:41], v[14:15], v[143:144]
	v_fma_f64 v[14:15], v[38:39], v[14:15], -v[16:17]
	s_wait_loadcnt_dscnt 0x601
	v_mul_f64_e32 v[44:45], v[2:3], v[20:21]
	v_mul_f64_e32 v[20:21], v[4:5], v[20:21]
	s_wait_loadcnt_dscnt 0x500
	v_mul_f64_e32 v[16:17], v[6:7], v[24:25]
	v_mul_f64_e32 v[24:25], v[8:9], v[24:25]
	v_add_f64_e32 v[10:11], v[12:13], v[10:11]
	v_add_f64_e32 v[12:13], v[42:43], v[145:146]
	v_fma_f64 v[38:39], v[4:5], v[18:19], v[44:45]
	v_fma_f64 v[18:19], v[2:3], v[18:19], -v[20:21]
	v_fma_f64 v[8:9], v[8:9], v[22:23], v[16:17]
	v_fma_f64 v[6:7], v[6:7], v[22:23], -v[24:25]
	v_add_f64_e32 v[14:15], v[10:11], v[14:15]
	v_add_f64_e32 v[20:21], v[12:13], v[40:41]
	ds_load_b128 v[2:5], v1 offset:1344
	ds_load_b128 v[10:13], v1 offset:1360
	s_wait_loadcnt_dscnt 0x401
	v_mul_f64_e32 v[40:41], v[2:3], v[28:29]
	v_mul_f64_e32 v[28:29], v[4:5], v[28:29]
	v_add_f64_e32 v[14:15], v[14:15], v[18:19]
	v_add_f64_e32 v[16:17], v[20:21], v[38:39]
	s_wait_loadcnt_dscnt 0x300
	v_mul_f64_e32 v[18:19], v[10:11], v[32:33]
	v_mul_f64_e32 v[20:21], v[12:13], v[32:33]
	v_fma_f64 v[22:23], v[4:5], v[26:27], v[40:41]
	v_fma_f64 v[24:25], v[2:3], v[26:27], -v[28:29]
	v_add_f64_e32 v[14:15], v[14:15], v[6:7]
	v_add_f64_e32 v[16:17], v[16:17], v[8:9]
	ds_load_b128 v[2:5], v1 offset:1376
	ds_load_b128 v[6:9], v1 offset:1392
	v_fma_f64 v[12:13], v[12:13], v[30:31], v[18:19]
	v_fma_f64 v[10:11], v[10:11], v[30:31], -v[20:21]
	s_wait_loadcnt_dscnt 0x201
	v_mul_f64_e32 v[26:27], v[2:3], v[36:37]
	v_mul_f64_e32 v[28:29], v[4:5], v[36:37]
	s_wait_loadcnt_dscnt 0x0
	v_mul_f64_e32 v[18:19], v[6:7], v[141:142]
	v_mul_f64_e32 v[20:21], v[8:9], v[141:142]
	v_add_f64_e32 v[14:15], v[14:15], v[24:25]
	v_add_f64_e32 v[16:17], v[16:17], v[22:23]
	v_fma_f64 v[4:5], v[4:5], v[34:35], v[26:27]
	v_fma_f64 v[1:2], v[2:3], v[34:35], -v[28:29]
	v_fma_f64 v[8:9], v[8:9], v[139:140], v[18:19]
	v_fma_f64 v[6:7], v[6:7], v[139:140], -v[20:21]
	v_add_f64_e32 v[10:11], v[14:15], v[10:11]
	v_add_f64_e32 v[12:13], v[16:17], v[12:13]
	s_delay_alu instid0(VALU_DEP_2) | instskip(NEXT) | instid1(VALU_DEP_2)
	v_add_f64_e32 v[1:2], v[10:11], v[1:2]
	v_add_f64_e32 v[3:4], v[12:13], v[4:5]
	s_delay_alu instid0(VALU_DEP_2) | instskip(NEXT) | instid1(VALU_DEP_2)
	;; [unrolled: 3-line block ×3, first 2 shown]
	v_add_f64_e64 v[1:2], v[135:136], -v[1:2]
	v_add_f64_e64 v[3:4], v[137:138], -v[3:4]
	scratch_store_b128 off, v[1:4], off offset:544
	v_cmpx_lt_u32_e32 32, v0
	s_cbranch_execz .LBB43_213
; %bb.212:
	scratch_load_b128 v[1:4], off, s11
	v_mov_b32_e32 v5, 0
	s_delay_alu instid0(VALU_DEP_1)
	v_dual_mov_b32 v6, v5 :: v_dual_mov_b32 v7, v5
	v_mov_b32_e32 v8, v5
	scratch_store_b128 off, v[5:8], off offset:528
	s_wait_loadcnt 0x0
	ds_store_b128 v134, v[1:4]
.LBB43_213:
	s_wait_alu 0xfffe
	s_or_b32 exec_lo, exec_lo, s0
	s_wait_storecnt_dscnt 0x0
	s_barrier_signal -1
	s_barrier_wait -1
	global_inv scope:SCOPE_SE
	s_clause 0x7
	scratch_load_b128 v[2:5], off, off offset:544
	scratch_load_b128 v[6:9], off, off offset:560
	;; [unrolled: 1-line block ×8, first 2 shown]
	v_mov_b32_e32 v1, 0
	s_mov_b32 s0, exec_lo
	ds_load_b128 v[34:37], v1 offset:1232
	s_clause 0x1
	scratch_load_b128 v[38:41], off, off offset:672
	scratch_load_b128 v[42:45], off, off offset:528
	ds_load_b128 v[135:138], v1 offset:1248
	scratch_load_b128 v[139:142], off, off offset:688
	s_wait_loadcnt_dscnt 0xa01
	v_mul_f64_e32 v[143:144], v[36:37], v[4:5]
	v_mul_f64_e32 v[4:5], v[34:35], v[4:5]
	s_delay_alu instid0(VALU_DEP_2) | instskip(NEXT) | instid1(VALU_DEP_2)
	v_fma_f64 v[149:150], v[34:35], v[2:3], -v[143:144]
	v_fma_f64 v[151:152], v[36:37], v[2:3], v[4:5]
	ds_load_b128 v[2:5], v1 offset:1264
	s_wait_loadcnt_dscnt 0x901
	v_mul_f64_e32 v[147:148], v[135:136], v[8:9]
	v_mul_f64_e32 v[8:9], v[137:138], v[8:9]
	scratch_load_b128 v[34:37], off, off offset:704
	ds_load_b128 v[143:146], v1 offset:1280
	s_wait_loadcnt_dscnt 0x901
	v_mul_f64_e32 v[153:154], v[2:3], v[12:13]
	v_mul_f64_e32 v[12:13], v[4:5], v[12:13]
	v_fma_f64 v[137:138], v[137:138], v[6:7], v[147:148]
	v_fma_f64 v[6:7], v[135:136], v[6:7], -v[8:9]
	v_add_f64_e32 v[8:9], 0, v[149:150]
	v_add_f64_e32 v[135:136], 0, v[151:152]
	s_wait_loadcnt_dscnt 0x800
	v_mul_f64_e32 v[147:148], v[143:144], v[16:17]
	v_mul_f64_e32 v[16:17], v[145:146], v[16:17]
	v_fma_f64 v[149:150], v[4:5], v[10:11], v[153:154]
	v_fma_f64 v[10:11], v[2:3], v[10:11], -v[12:13]
	v_add_f64_e32 v[12:13], v[8:9], v[6:7]
	v_add_f64_e32 v[135:136], v[135:136], v[137:138]
	ds_load_b128 v[2:5], v1 offset:1296
	ds_load_b128 v[6:9], v1 offset:1312
	v_fma_f64 v[145:146], v[145:146], v[14:15], v[147:148]
	v_fma_f64 v[14:15], v[143:144], v[14:15], -v[16:17]
	s_wait_loadcnt_dscnt 0x701
	v_mul_f64_e32 v[137:138], v[2:3], v[20:21]
	v_mul_f64_e32 v[20:21], v[4:5], v[20:21]
	s_wait_loadcnt_dscnt 0x600
	v_mul_f64_e32 v[16:17], v[6:7], v[24:25]
	v_mul_f64_e32 v[24:25], v[8:9], v[24:25]
	v_add_f64_e32 v[10:11], v[12:13], v[10:11]
	v_add_f64_e32 v[12:13], v[135:136], v[149:150]
	v_fma_f64 v[135:136], v[4:5], v[18:19], v[137:138]
	v_fma_f64 v[18:19], v[2:3], v[18:19], -v[20:21]
	v_fma_f64 v[8:9], v[8:9], v[22:23], v[16:17]
	v_fma_f64 v[6:7], v[6:7], v[22:23], -v[24:25]
	v_add_f64_e32 v[14:15], v[10:11], v[14:15]
	v_add_f64_e32 v[20:21], v[12:13], v[145:146]
	ds_load_b128 v[2:5], v1 offset:1328
	ds_load_b128 v[10:13], v1 offset:1344
	s_wait_loadcnt_dscnt 0x501
	v_mul_f64_e32 v[137:138], v[2:3], v[28:29]
	v_mul_f64_e32 v[28:29], v[4:5], v[28:29]
	v_add_f64_e32 v[14:15], v[14:15], v[18:19]
	v_add_f64_e32 v[16:17], v[20:21], v[135:136]
	s_wait_loadcnt_dscnt 0x400
	v_mul_f64_e32 v[18:19], v[10:11], v[32:33]
	v_mul_f64_e32 v[20:21], v[12:13], v[32:33]
	v_fma_f64 v[22:23], v[4:5], v[26:27], v[137:138]
	v_fma_f64 v[24:25], v[2:3], v[26:27], -v[28:29]
	v_add_f64_e32 v[14:15], v[14:15], v[6:7]
	v_add_f64_e32 v[16:17], v[16:17], v[8:9]
	ds_load_b128 v[2:5], v1 offset:1360
	ds_load_b128 v[6:9], v1 offset:1376
	v_fma_f64 v[12:13], v[12:13], v[30:31], v[18:19]
	v_fma_f64 v[10:11], v[10:11], v[30:31], -v[20:21]
	s_wait_loadcnt_dscnt 0x301
	v_mul_f64_e32 v[26:27], v[2:3], v[40:41]
	v_mul_f64_e32 v[28:29], v[4:5], v[40:41]
	s_wait_loadcnt_dscnt 0x100
	v_mul_f64_e32 v[18:19], v[6:7], v[141:142]
	v_mul_f64_e32 v[20:21], v[8:9], v[141:142]
	v_add_f64_e32 v[14:15], v[14:15], v[24:25]
	v_add_f64_e32 v[16:17], v[16:17], v[22:23]
	v_fma_f64 v[22:23], v[4:5], v[38:39], v[26:27]
	v_fma_f64 v[24:25], v[2:3], v[38:39], -v[28:29]
	ds_load_b128 v[2:5], v1 offset:1392
	v_fma_f64 v[8:9], v[8:9], v[139:140], v[18:19]
	v_fma_f64 v[6:7], v[6:7], v[139:140], -v[20:21]
	v_add_f64_e32 v[10:11], v[14:15], v[10:11]
	v_add_f64_e32 v[12:13], v[16:17], v[12:13]
	s_wait_loadcnt_dscnt 0x0
	v_mul_f64_e32 v[14:15], v[2:3], v[36:37]
	v_mul_f64_e32 v[16:17], v[4:5], v[36:37]
	s_delay_alu instid0(VALU_DEP_4) | instskip(NEXT) | instid1(VALU_DEP_4)
	v_add_f64_e32 v[10:11], v[10:11], v[24:25]
	v_add_f64_e32 v[12:13], v[12:13], v[22:23]
	s_delay_alu instid0(VALU_DEP_4) | instskip(NEXT) | instid1(VALU_DEP_4)
	v_fma_f64 v[4:5], v[4:5], v[34:35], v[14:15]
	v_fma_f64 v[2:3], v[2:3], v[34:35], -v[16:17]
	s_delay_alu instid0(VALU_DEP_4) | instskip(NEXT) | instid1(VALU_DEP_4)
	v_add_f64_e32 v[6:7], v[10:11], v[6:7]
	v_add_f64_e32 v[8:9], v[12:13], v[8:9]
	s_delay_alu instid0(VALU_DEP_2) | instskip(NEXT) | instid1(VALU_DEP_2)
	v_add_f64_e32 v[2:3], v[6:7], v[2:3]
	v_add_f64_e32 v[4:5], v[8:9], v[4:5]
	s_delay_alu instid0(VALU_DEP_2) | instskip(NEXT) | instid1(VALU_DEP_2)
	v_add_f64_e64 v[2:3], v[42:43], -v[2:3]
	v_add_f64_e64 v[4:5], v[44:45], -v[4:5]
	scratch_store_b128 off, v[2:5], off offset:528
	v_cmpx_lt_u32_e32 31, v0
	s_cbranch_execz .LBB43_215
; %bb.214:
	scratch_load_b128 v[5:8], off, s10
	v_dual_mov_b32 v2, v1 :: v_dual_mov_b32 v3, v1
	v_mov_b32_e32 v4, v1
	scratch_store_b128 off, v[1:4], off offset:512
	s_wait_loadcnt 0x0
	ds_store_b128 v134, v[5:8]
.LBB43_215:
	s_wait_alu 0xfffe
	s_or_b32 exec_lo, exec_lo, s0
	s_wait_storecnt_dscnt 0x0
	s_barrier_signal -1
	s_barrier_wait -1
	global_inv scope:SCOPE_SE
	s_clause 0x8
	scratch_load_b128 v[2:5], off, off offset:528
	scratch_load_b128 v[6:9], off, off offset:544
	;; [unrolled: 1-line block ×9, first 2 shown]
	ds_load_b128 v[38:41], v1 offset:1216
	ds_load_b128 v[42:45], v1 offset:1232
	s_clause 0x1
	scratch_load_b128 v[135:138], off, off offset:512
	scratch_load_b128 v[139:142], off, off offset:672
	s_mov_b32 s0, exec_lo
	s_wait_loadcnt_dscnt 0xa01
	v_mul_f64_e32 v[143:144], v[40:41], v[4:5]
	v_mul_f64_e32 v[4:5], v[38:39], v[4:5]
	s_wait_loadcnt_dscnt 0x900
	v_mul_f64_e32 v[147:148], v[42:43], v[8:9]
	v_mul_f64_e32 v[8:9], v[44:45], v[8:9]
	s_delay_alu instid0(VALU_DEP_4) | instskip(NEXT) | instid1(VALU_DEP_4)
	v_fma_f64 v[149:150], v[38:39], v[2:3], -v[143:144]
	v_fma_f64 v[151:152], v[40:41], v[2:3], v[4:5]
	ds_load_b128 v[2:5], v1 offset:1248
	ds_load_b128 v[143:146], v1 offset:1264
	scratch_load_b128 v[38:41], off, off offset:688
	v_fma_f64 v[44:45], v[44:45], v[6:7], v[147:148]
	v_fma_f64 v[42:43], v[42:43], v[6:7], -v[8:9]
	scratch_load_b128 v[6:9], off, off offset:704
	s_wait_loadcnt_dscnt 0xa01
	v_mul_f64_e32 v[153:154], v[2:3], v[12:13]
	v_mul_f64_e32 v[12:13], v[4:5], v[12:13]
	v_add_f64_e32 v[147:148], 0, v[149:150]
	v_add_f64_e32 v[149:150], 0, v[151:152]
	s_wait_loadcnt_dscnt 0x900
	v_mul_f64_e32 v[151:152], v[143:144], v[16:17]
	v_mul_f64_e32 v[16:17], v[145:146], v[16:17]
	v_fma_f64 v[153:154], v[4:5], v[10:11], v[153:154]
	v_fma_f64 v[155:156], v[2:3], v[10:11], -v[12:13]
	ds_load_b128 v[2:5], v1 offset:1280
	ds_load_b128 v[10:13], v1 offset:1296
	v_add_f64_e32 v[42:43], v[147:148], v[42:43]
	v_add_f64_e32 v[44:45], v[149:150], v[44:45]
	v_fma_f64 v[145:146], v[145:146], v[14:15], v[151:152]
	v_fma_f64 v[14:15], v[143:144], v[14:15], -v[16:17]
	s_wait_loadcnt_dscnt 0x801
	v_mul_f64_e32 v[147:148], v[2:3], v[20:21]
	v_mul_f64_e32 v[20:21], v[4:5], v[20:21]
	v_add_f64_e32 v[16:17], v[42:43], v[155:156]
	v_add_f64_e32 v[42:43], v[44:45], v[153:154]
	s_wait_loadcnt_dscnt 0x700
	v_mul_f64_e32 v[44:45], v[10:11], v[24:25]
	v_mul_f64_e32 v[24:25], v[12:13], v[24:25]
	v_fma_f64 v[143:144], v[4:5], v[18:19], v[147:148]
	v_fma_f64 v[18:19], v[2:3], v[18:19], -v[20:21]
	v_add_f64_e32 v[20:21], v[16:17], v[14:15]
	v_add_f64_e32 v[42:43], v[42:43], v[145:146]
	ds_load_b128 v[2:5], v1 offset:1312
	ds_load_b128 v[14:17], v1 offset:1328
	v_fma_f64 v[12:13], v[12:13], v[22:23], v[44:45]
	v_fma_f64 v[10:11], v[10:11], v[22:23], -v[24:25]
	s_wait_loadcnt_dscnt 0x601
	v_mul_f64_e32 v[145:146], v[2:3], v[28:29]
	v_mul_f64_e32 v[28:29], v[4:5], v[28:29]
	s_wait_loadcnt_dscnt 0x500
	v_mul_f64_e32 v[22:23], v[14:15], v[32:33]
	v_mul_f64_e32 v[24:25], v[16:17], v[32:33]
	v_add_f64_e32 v[18:19], v[20:21], v[18:19]
	v_add_f64_e32 v[20:21], v[42:43], v[143:144]
	v_fma_f64 v[32:33], v[4:5], v[26:27], v[145:146]
	v_fma_f64 v[26:27], v[2:3], v[26:27], -v[28:29]
	v_fma_f64 v[16:17], v[16:17], v[30:31], v[22:23]
	v_fma_f64 v[14:15], v[14:15], v[30:31], -v[24:25]
	v_add_f64_e32 v[18:19], v[18:19], v[10:11]
	v_add_f64_e32 v[20:21], v[20:21], v[12:13]
	ds_load_b128 v[2:5], v1 offset:1344
	ds_load_b128 v[10:13], v1 offset:1360
	s_wait_loadcnt_dscnt 0x401
	v_mul_f64_e32 v[28:29], v[2:3], v[36:37]
	v_mul_f64_e32 v[36:37], v[4:5], v[36:37]
	s_wait_loadcnt_dscnt 0x200
	v_mul_f64_e32 v[22:23], v[10:11], v[141:142]
	v_mul_f64_e32 v[24:25], v[12:13], v[141:142]
	v_add_f64_e32 v[18:19], v[18:19], v[26:27]
	v_add_f64_e32 v[20:21], v[20:21], v[32:33]
	v_fma_f64 v[26:27], v[4:5], v[34:35], v[28:29]
	v_fma_f64 v[28:29], v[2:3], v[34:35], -v[36:37]
	v_fma_f64 v[12:13], v[12:13], v[139:140], v[22:23]
	v_fma_f64 v[10:11], v[10:11], v[139:140], -v[24:25]
	v_add_f64_e32 v[18:19], v[18:19], v[14:15]
	v_add_f64_e32 v[20:21], v[20:21], v[16:17]
	ds_load_b128 v[2:5], v1 offset:1376
	ds_load_b128 v[14:17], v1 offset:1392
	s_wait_loadcnt_dscnt 0x101
	v_mul_f64_e32 v[30:31], v[2:3], v[40:41]
	v_mul_f64_e32 v[32:33], v[4:5], v[40:41]
	s_wait_loadcnt_dscnt 0x0
	v_mul_f64_e32 v[22:23], v[14:15], v[8:9]
	v_mul_f64_e32 v[8:9], v[16:17], v[8:9]
	v_add_f64_e32 v[18:19], v[18:19], v[28:29]
	v_add_f64_e32 v[20:21], v[20:21], v[26:27]
	v_fma_f64 v[4:5], v[4:5], v[38:39], v[30:31]
	v_fma_f64 v[1:2], v[2:3], v[38:39], -v[32:33]
	v_fma_f64 v[16:17], v[16:17], v[6:7], v[22:23]
	v_fma_f64 v[6:7], v[14:15], v[6:7], -v[8:9]
	v_add_f64_e32 v[10:11], v[18:19], v[10:11]
	v_add_f64_e32 v[12:13], v[20:21], v[12:13]
	s_delay_alu instid0(VALU_DEP_2) | instskip(NEXT) | instid1(VALU_DEP_2)
	v_add_f64_e32 v[1:2], v[10:11], v[1:2]
	v_add_f64_e32 v[3:4], v[12:13], v[4:5]
	s_delay_alu instid0(VALU_DEP_2) | instskip(NEXT) | instid1(VALU_DEP_2)
	;; [unrolled: 3-line block ×3, first 2 shown]
	v_add_f64_e64 v[1:2], v[135:136], -v[1:2]
	v_add_f64_e64 v[3:4], v[137:138], -v[3:4]
	scratch_store_b128 off, v[1:4], off offset:512
	v_cmpx_lt_u32_e32 30, v0
	s_cbranch_execz .LBB43_217
; %bb.216:
	scratch_load_b128 v[1:4], off, s13
	v_mov_b32_e32 v5, 0
	s_delay_alu instid0(VALU_DEP_1)
	v_dual_mov_b32 v6, v5 :: v_dual_mov_b32 v7, v5
	v_mov_b32_e32 v8, v5
	scratch_store_b128 off, v[5:8], off offset:496
	s_wait_loadcnt 0x0
	ds_store_b128 v134, v[1:4]
.LBB43_217:
	s_wait_alu 0xfffe
	s_or_b32 exec_lo, exec_lo, s0
	s_wait_storecnt_dscnt 0x0
	s_barrier_signal -1
	s_barrier_wait -1
	global_inv scope:SCOPE_SE
	s_clause 0x7
	scratch_load_b128 v[2:5], off, off offset:512
	scratch_load_b128 v[6:9], off, off offset:528
	;; [unrolled: 1-line block ×8, first 2 shown]
	v_mov_b32_e32 v1, 0
	s_mov_b32 s0, exec_lo
	ds_load_b128 v[34:37], v1 offset:1200
	s_clause 0x1
	scratch_load_b128 v[38:41], off, off offset:640
	scratch_load_b128 v[42:45], off, off offset:496
	ds_load_b128 v[135:138], v1 offset:1216
	scratch_load_b128 v[139:142], off, off offset:656
	s_wait_loadcnt_dscnt 0xa01
	v_mul_f64_e32 v[143:144], v[36:37], v[4:5]
	v_mul_f64_e32 v[4:5], v[34:35], v[4:5]
	s_delay_alu instid0(VALU_DEP_2) | instskip(NEXT) | instid1(VALU_DEP_2)
	v_fma_f64 v[149:150], v[34:35], v[2:3], -v[143:144]
	v_fma_f64 v[151:152], v[36:37], v[2:3], v[4:5]
	ds_load_b128 v[2:5], v1 offset:1232
	s_wait_loadcnt_dscnt 0x901
	v_mul_f64_e32 v[147:148], v[135:136], v[8:9]
	v_mul_f64_e32 v[8:9], v[137:138], v[8:9]
	scratch_load_b128 v[34:37], off, off offset:672
	ds_load_b128 v[143:146], v1 offset:1248
	s_wait_loadcnt_dscnt 0x901
	v_mul_f64_e32 v[153:154], v[2:3], v[12:13]
	v_mul_f64_e32 v[12:13], v[4:5], v[12:13]
	v_fma_f64 v[137:138], v[137:138], v[6:7], v[147:148]
	v_fma_f64 v[135:136], v[135:136], v[6:7], -v[8:9]
	v_add_f64_e32 v[147:148], 0, v[149:150]
	v_add_f64_e32 v[149:150], 0, v[151:152]
	scratch_load_b128 v[6:9], off, off offset:688
	v_fma_f64 v[153:154], v[4:5], v[10:11], v[153:154]
	v_fma_f64 v[155:156], v[2:3], v[10:11], -v[12:13]
	ds_load_b128 v[2:5], v1 offset:1264
	s_wait_loadcnt_dscnt 0x901
	v_mul_f64_e32 v[151:152], v[143:144], v[16:17]
	v_mul_f64_e32 v[16:17], v[145:146], v[16:17]
	scratch_load_b128 v[10:13], off, off offset:704
	v_add_f64_e32 v[147:148], v[147:148], v[135:136]
	v_add_f64_e32 v[149:150], v[149:150], v[137:138]
	s_wait_loadcnt_dscnt 0x900
	v_mul_f64_e32 v[157:158], v[2:3], v[20:21]
	v_mul_f64_e32 v[20:21], v[4:5], v[20:21]
	ds_load_b128 v[135:138], v1 offset:1280
	v_fma_f64 v[145:146], v[145:146], v[14:15], v[151:152]
	v_fma_f64 v[14:15], v[143:144], v[14:15], -v[16:17]
	v_add_f64_e32 v[16:17], v[147:148], v[155:156]
	v_add_f64_e32 v[143:144], v[149:150], v[153:154]
	s_wait_loadcnt_dscnt 0x800
	v_mul_f64_e32 v[147:148], v[135:136], v[24:25]
	v_mul_f64_e32 v[24:25], v[137:138], v[24:25]
	v_fma_f64 v[149:150], v[4:5], v[18:19], v[157:158]
	v_fma_f64 v[18:19], v[2:3], v[18:19], -v[20:21]
	v_add_f64_e32 v[20:21], v[16:17], v[14:15]
	v_add_f64_e32 v[143:144], v[143:144], v[145:146]
	ds_load_b128 v[2:5], v1 offset:1296
	ds_load_b128 v[14:17], v1 offset:1312
	v_fma_f64 v[137:138], v[137:138], v[22:23], v[147:148]
	v_fma_f64 v[22:23], v[135:136], v[22:23], -v[24:25]
	s_wait_loadcnt_dscnt 0x701
	v_mul_f64_e32 v[145:146], v[2:3], v[28:29]
	v_mul_f64_e32 v[28:29], v[4:5], v[28:29]
	s_wait_loadcnt_dscnt 0x600
	v_mul_f64_e32 v[24:25], v[14:15], v[32:33]
	v_mul_f64_e32 v[32:33], v[16:17], v[32:33]
	v_add_f64_e32 v[18:19], v[20:21], v[18:19]
	v_add_f64_e32 v[20:21], v[143:144], v[149:150]
	v_fma_f64 v[135:136], v[4:5], v[26:27], v[145:146]
	v_fma_f64 v[26:27], v[2:3], v[26:27], -v[28:29]
	v_fma_f64 v[16:17], v[16:17], v[30:31], v[24:25]
	v_fma_f64 v[14:15], v[14:15], v[30:31], -v[32:33]
	v_add_f64_e32 v[22:23], v[18:19], v[22:23]
	v_add_f64_e32 v[28:29], v[20:21], v[137:138]
	ds_load_b128 v[2:5], v1 offset:1328
	ds_load_b128 v[18:21], v1 offset:1344
	s_wait_loadcnt_dscnt 0x501
	v_mul_f64_e32 v[137:138], v[2:3], v[40:41]
	v_mul_f64_e32 v[40:41], v[4:5], v[40:41]
	v_add_f64_e32 v[22:23], v[22:23], v[26:27]
	v_add_f64_e32 v[24:25], v[28:29], v[135:136]
	s_wait_loadcnt_dscnt 0x300
	v_mul_f64_e32 v[26:27], v[18:19], v[141:142]
	v_mul_f64_e32 v[28:29], v[20:21], v[141:142]
	v_fma_f64 v[30:31], v[4:5], v[38:39], v[137:138]
	v_fma_f64 v[32:33], v[2:3], v[38:39], -v[40:41]
	v_add_f64_e32 v[22:23], v[22:23], v[14:15]
	v_add_f64_e32 v[24:25], v[24:25], v[16:17]
	ds_load_b128 v[2:5], v1 offset:1360
	ds_load_b128 v[14:17], v1 offset:1376
	v_fma_f64 v[20:21], v[20:21], v[139:140], v[26:27]
	v_fma_f64 v[18:19], v[18:19], v[139:140], -v[28:29]
	s_wait_loadcnt_dscnt 0x201
	v_mul_f64_e32 v[38:39], v[2:3], v[36:37]
	v_mul_f64_e32 v[36:37], v[4:5], v[36:37]
	v_add_f64_e32 v[22:23], v[22:23], v[32:33]
	v_add_f64_e32 v[24:25], v[24:25], v[30:31]
	s_wait_loadcnt_dscnt 0x100
	v_mul_f64_e32 v[26:27], v[14:15], v[8:9]
	v_mul_f64_e32 v[8:9], v[16:17], v[8:9]
	v_fma_f64 v[28:29], v[4:5], v[34:35], v[38:39]
	v_fma_f64 v[30:31], v[2:3], v[34:35], -v[36:37]
	ds_load_b128 v[2:5], v1 offset:1392
	v_add_f64_e32 v[18:19], v[22:23], v[18:19]
	v_add_f64_e32 v[20:21], v[24:25], v[20:21]
	s_wait_loadcnt_dscnt 0x0
	v_mul_f64_e32 v[22:23], v[2:3], v[12:13]
	v_mul_f64_e32 v[12:13], v[4:5], v[12:13]
	v_fma_f64 v[16:17], v[16:17], v[6:7], v[26:27]
	v_fma_f64 v[6:7], v[14:15], v[6:7], -v[8:9]
	v_add_f64_e32 v[8:9], v[18:19], v[30:31]
	v_add_f64_e32 v[14:15], v[20:21], v[28:29]
	v_fma_f64 v[4:5], v[4:5], v[10:11], v[22:23]
	v_fma_f64 v[2:3], v[2:3], v[10:11], -v[12:13]
	s_delay_alu instid0(VALU_DEP_4) | instskip(NEXT) | instid1(VALU_DEP_4)
	v_add_f64_e32 v[6:7], v[8:9], v[6:7]
	v_add_f64_e32 v[8:9], v[14:15], v[16:17]
	s_delay_alu instid0(VALU_DEP_2) | instskip(NEXT) | instid1(VALU_DEP_2)
	v_add_f64_e32 v[2:3], v[6:7], v[2:3]
	v_add_f64_e32 v[4:5], v[8:9], v[4:5]
	s_delay_alu instid0(VALU_DEP_2) | instskip(NEXT) | instid1(VALU_DEP_2)
	v_add_f64_e64 v[2:3], v[42:43], -v[2:3]
	v_add_f64_e64 v[4:5], v[44:45], -v[4:5]
	scratch_store_b128 off, v[2:5], off offset:496
	v_cmpx_lt_u32_e32 29, v0
	s_cbranch_execz .LBB43_219
; %bb.218:
	scratch_load_b128 v[5:8], off, s12
	v_dual_mov_b32 v2, v1 :: v_dual_mov_b32 v3, v1
	v_mov_b32_e32 v4, v1
	scratch_store_b128 off, v[1:4], off offset:480
	s_wait_loadcnt 0x0
	ds_store_b128 v134, v[5:8]
.LBB43_219:
	s_wait_alu 0xfffe
	s_or_b32 exec_lo, exec_lo, s0
	s_wait_storecnt_dscnt 0x0
	s_barrier_signal -1
	s_barrier_wait -1
	global_inv scope:SCOPE_SE
	s_clause 0x8
	scratch_load_b128 v[2:5], off, off offset:496
	scratch_load_b128 v[6:9], off, off offset:512
	;; [unrolled: 1-line block ×9, first 2 shown]
	ds_load_b128 v[38:41], v1 offset:1184
	ds_load_b128 v[42:45], v1 offset:1200
	s_clause 0x1
	scratch_load_b128 v[135:138], off, off offset:480
	scratch_load_b128 v[139:142], off, off offset:640
	s_mov_b32 s0, exec_lo
	s_wait_loadcnt_dscnt 0xa01
	v_mul_f64_e32 v[143:144], v[40:41], v[4:5]
	v_mul_f64_e32 v[4:5], v[38:39], v[4:5]
	s_wait_loadcnt_dscnt 0x900
	v_mul_f64_e32 v[147:148], v[42:43], v[8:9]
	v_mul_f64_e32 v[8:9], v[44:45], v[8:9]
	s_delay_alu instid0(VALU_DEP_4) | instskip(NEXT) | instid1(VALU_DEP_4)
	v_fma_f64 v[149:150], v[38:39], v[2:3], -v[143:144]
	v_fma_f64 v[151:152], v[40:41], v[2:3], v[4:5]
	ds_load_b128 v[2:5], v1 offset:1216
	ds_load_b128 v[143:146], v1 offset:1232
	scratch_load_b128 v[38:41], off, off offset:656
	v_fma_f64 v[44:45], v[44:45], v[6:7], v[147:148]
	v_fma_f64 v[42:43], v[42:43], v[6:7], -v[8:9]
	scratch_load_b128 v[6:9], off, off offset:672
	s_wait_loadcnt_dscnt 0xa01
	v_mul_f64_e32 v[153:154], v[2:3], v[12:13]
	v_mul_f64_e32 v[12:13], v[4:5], v[12:13]
	v_add_f64_e32 v[147:148], 0, v[149:150]
	v_add_f64_e32 v[149:150], 0, v[151:152]
	s_wait_loadcnt_dscnt 0x900
	v_mul_f64_e32 v[151:152], v[143:144], v[16:17]
	v_mul_f64_e32 v[16:17], v[145:146], v[16:17]
	v_fma_f64 v[153:154], v[4:5], v[10:11], v[153:154]
	v_fma_f64 v[155:156], v[2:3], v[10:11], -v[12:13]
	ds_load_b128 v[2:5], v1 offset:1248
	scratch_load_b128 v[10:13], off, off offset:688
	v_add_f64_e32 v[147:148], v[147:148], v[42:43]
	v_add_f64_e32 v[149:150], v[149:150], v[44:45]
	ds_load_b128 v[42:45], v1 offset:1264
	v_fma_f64 v[145:146], v[145:146], v[14:15], v[151:152]
	v_fma_f64 v[143:144], v[143:144], v[14:15], -v[16:17]
	scratch_load_b128 v[14:17], off, off offset:704
	s_wait_loadcnt_dscnt 0xa01
	v_mul_f64_e32 v[157:158], v[2:3], v[20:21]
	v_mul_f64_e32 v[20:21], v[4:5], v[20:21]
	s_wait_loadcnt_dscnt 0x900
	v_mul_f64_e32 v[151:152], v[42:43], v[24:25]
	v_mul_f64_e32 v[24:25], v[44:45], v[24:25]
	v_add_f64_e32 v[147:148], v[147:148], v[155:156]
	v_add_f64_e32 v[149:150], v[149:150], v[153:154]
	v_fma_f64 v[153:154], v[4:5], v[18:19], v[157:158]
	v_fma_f64 v[155:156], v[2:3], v[18:19], -v[20:21]
	ds_load_b128 v[2:5], v1 offset:1280
	ds_load_b128 v[18:21], v1 offset:1296
	v_fma_f64 v[44:45], v[44:45], v[22:23], v[151:152]
	v_fma_f64 v[22:23], v[42:43], v[22:23], -v[24:25]
	v_add_f64_e32 v[143:144], v[147:148], v[143:144]
	v_add_f64_e32 v[145:146], v[149:150], v[145:146]
	s_wait_loadcnt_dscnt 0x801
	v_mul_f64_e32 v[147:148], v[2:3], v[28:29]
	v_mul_f64_e32 v[28:29], v[4:5], v[28:29]
	s_delay_alu instid0(VALU_DEP_4) | instskip(NEXT) | instid1(VALU_DEP_4)
	v_add_f64_e32 v[24:25], v[143:144], v[155:156]
	v_add_f64_e32 v[42:43], v[145:146], v[153:154]
	s_wait_loadcnt_dscnt 0x700
	v_mul_f64_e32 v[143:144], v[18:19], v[32:33]
	v_mul_f64_e32 v[32:33], v[20:21], v[32:33]
	v_fma_f64 v[145:146], v[4:5], v[26:27], v[147:148]
	v_fma_f64 v[26:27], v[2:3], v[26:27], -v[28:29]
	v_add_f64_e32 v[28:29], v[24:25], v[22:23]
	v_add_f64_e32 v[42:43], v[42:43], v[44:45]
	ds_load_b128 v[2:5], v1 offset:1312
	ds_load_b128 v[22:25], v1 offset:1328
	v_fma_f64 v[20:21], v[20:21], v[30:31], v[143:144]
	v_fma_f64 v[18:19], v[18:19], v[30:31], -v[32:33]
	s_wait_loadcnt_dscnt 0x601
	v_mul_f64_e32 v[44:45], v[2:3], v[36:37]
	v_mul_f64_e32 v[36:37], v[4:5], v[36:37]
	s_wait_loadcnt_dscnt 0x400
	v_mul_f64_e32 v[30:31], v[22:23], v[141:142]
	v_mul_f64_e32 v[32:33], v[24:25], v[141:142]
	v_add_f64_e32 v[26:27], v[28:29], v[26:27]
	v_add_f64_e32 v[28:29], v[42:43], v[145:146]
	v_fma_f64 v[42:43], v[4:5], v[34:35], v[44:45]
	v_fma_f64 v[34:35], v[2:3], v[34:35], -v[36:37]
	v_fma_f64 v[24:25], v[24:25], v[139:140], v[30:31]
	v_fma_f64 v[22:23], v[22:23], v[139:140], -v[32:33]
	v_add_f64_e32 v[26:27], v[26:27], v[18:19]
	v_add_f64_e32 v[28:29], v[28:29], v[20:21]
	ds_load_b128 v[2:5], v1 offset:1344
	ds_load_b128 v[18:21], v1 offset:1360
	s_wait_loadcnt_dscnt 0x301
	v_mul_f64_e32 v[36:37], v[2:3], v[40:41]
	v_mul_f64_e32 v[40:41], v[4:5], v[40:41]
	s_wait_loadcnt_dscnt 0x200
	v_mul_f64_e32 v[30:31], v[18:19], v[8:9]
	v_mul_f64_e32 v[8:9], v[20:21], v[8:9]
	v_add_f64_e32 v[26:27], v[26:27], v[34:35]
	v_add_f64_e32 v[28:29], v[28:29], v[42:43]
	v_fma_f64 v[32:33], v[4:5], v[38:39], v[36:37]
	v_fma_f64 v[34:35], v[2:3], v[38:39], -v[40:41]
	v_fma_f64 v[20:21], v[20:21], v[6:7], v[30:31]
	v_fma_f64 v[6:7], v[18:19], v[6:7], -v[8:9]
	v_add_f64_e32 v[26:27], v[26:27], v[22:23]
	v_add_f64_e32 v[28:29], v[28:29], v[24:25]
	ds_load_b128 v[2:5], v1 offset:1376
	ds_load_b128 v[22:25], v1 offset:1392
	s_wait_loadcnt_dscnt 0x101
	v_mul_f64_e32 v[36:37], v[2:3], v[12:13]
	v_mul_f64_e32 v[12:13], v[4:5], v[12:13]
	v_add_f64_e32 v[8:9], v[26:27], v[34:35]
	v_add_f64_e32 v[18:19], v[28:29], v[32:33]
	s_wait_loadcnt_dscnt 0x0
	v_mul_f64_e32 v[26:27], v[22:23], v[16:17]
	v_mul_f64_e32 v[16:17], v[24:25], v[16:17]
	v_fma_f64 v[4:5], v[4:5], v[10:11], v[36:37]
	v_fma_f64 v[1:2], v[2:3], v[10:11], -v[12:13]
	v_add_f64_e32 v[6:7], v[8:9], v[6:7]
	v_add_f64_e32 v[8:9], v[18:19], v[20:21]
	v_fma_f64 v[10:11], v[24:25], v[14:15], v[26:27]
	v_fma_f64 v[12:13], v[22:23], v[14:15], -v[16:17]
	s_delay_alu instid0(VALU_DEP_4) | instskip(NEXT) | instid1(VALU_DEP_4)
	v_add_f64_e32 v[1:2], v[6:7], v[1:2]
	v_add_f64_e32 v[3:4], v[8:9], v[4:5]
	s_delay_alu instid0(VALU_DEP_2) | instskip(NEXT) | instid1(VALU_DEP_2)
	v_add_f64_e32 v[1:2], v[1:2], v[12:13]
	v_add_f64_e32 v[3:4], v[3:4], v[10:11]
	s_delay_alu instid0(VALU_DEP_2) | instskip(NEXT) | instid1(VALU_DEP_2)
	v_add_f64_e64 v[1:2], v[135:136], -v[1:2]
	v_add_f64_e64 v[3:4], v[137:138], -v[3:4]
	scratch_store_b128 off, v[1:4], off offset:480
	v_cmpx_lt_u32_e32 28, v0
	s_cbranch_execz .LBB43_221
; %bb.220:
	scratch_load_b128 v[1:4], off, s15
	v_mov_b32_e32 v5, 0
	s_delay_alu instid0(VALU_DEP_1)
	v_dual_mov_b32 v6, v5 :: v_dual_mov_b32 v7, v5
	v_mov_b32_e32 v8, v5
	scratch_store_b128 off, v[5:8], off offset:464
	s_wait_loadcnt 0x0
	ds_store_b128 v134, v[1:4]
.LBB43_221:
	s_wait_alu 0xfffe
	s_or_b32 exec_lo, exec_lo, s0
	s_wait_storecnt_dscnt 0x0
	s_barrier_signal -1
	s_barrier_wait -1
	global_inv scope:SCOPE_SE
	s_clause 0x7
	scratch_load_b128 v[2:5], off, off offset:480
	scratch_load_b128 v[6:9], off, off offset:496
	;; [unrolled: 1-line block ×8, first 2 shown]
	v_mov_b32_e32 v1, 0
	s_mov_b32 s0, exec_lo
	ds_load_b128 v[34:37], v1 offset:1168
	s_clause 0x1
	scratch_load_b128 v[38:41], off, off offset:608
	scratch_load_b128 v[42:45], off, off offset:464
	ds_load_b128 v[135:138], v1 offset:1184
	scratch_load_b128 v[139:142], off, off offset:624
	s_wait_loadcnt_dscnt 0xa01
	v_mul_f64_e32 v[143:144], v[36:37], v[4:5]
	v_mul_f64_e32 v[4:5], v[34:35], v[4:5]
	s_delay_alu instid0(VALU_DEP_2) | instskip(NEXT) | instid1(VALU_DEP_2)
	v_fma_f64 v[149:150], v[34:35], v[2:3], -v[143:144]
	v_fma_f64 v[151:152], v[36:37], v[2:3], v[4:5]
	ds_load_b128 v[2:5], v1 offset:1200
	s_wait_loadcnt_dscnt 0x901
	v_mul_f64_e32 v[147:148], v[135:136], v[8:9]
	v_mul_f64_e32 v[8:9], v[137:138], v[8:9]
	scratch_load_b128 v[34:37], off, off offset:640
	ds_load_b128 v[143:146], v1 offset:1216
	s_wait_loadcnt_dscnt 0x901
	v_mul_f64_e32 v[153:154], v[2:3], v[12:13]
	v_mul_f64_e32 v[12:13], v[4:5], v[12:13]
	v_fma_f64 v[137:138], v[137:138], v[6:7], v[147:148]
	v_fma_f64 v[135:136], v[135:136], v[6:7], -v[8:9]
	v_add_f64_e32 v[147:148], 0, v[149:150]
	v_add_f64_e32 v[149:150], 0, v[151:152]
	scratch_load_b128 v[6:9], off, off offset:656
	v_fma_f64 v[153:154], v[4:5], v[10:11], v[153:154]
	v_fma_f64 v[155:156], v[2:3], v[10:11], -v[12:13]
	ds_load_b128 v[2:5], v1 offset:1232
	s_wait_loadcnt_dscnt 0x901
	v_mul_f64_e32 v[151:152], v[143:144], v[16:17]
	v_mul_f64_e32 v[16:17], v[145:146], v[16:17]
	scratch_load_b128 v[10:13], off, off offset:672
	v_add_f64_e32 v[147:148], v[147:148], v[135:136]
	v_add_f64_e32 v[149:150], v[149:150], v[137:138]
	s_wait_loadcnt_dscnt 0x900
	v_mul_f64_e32 v[157:158], v[2:3], v[20:21]
	v_mul_f64_e32 v[20:21], v[4:5], v[20:21]
	ds_load_b128 v[135:138], v1 offset:1248
	v_fma_f64 v[145:146], v[145:146], v[14:15], v[151:152]
	v_fma_f64 v[143:144], v[143:144], v[14:15], -v[16:17]
	scratch_load_b128 v[14:17], off, off offset:688
	v_add_f64_e32 v[147:148], v[147:148], v[155:156]
	v_add_f64_e32 v[149:150], v[149:150], v[153:154]
	v_fma_f64 v[153:154], v[4:5], v[18:19], v[157:158]
	v_fma_f64 v[155:156], v[2:3], v[18:19], -v[20:21]
	ds_load_b128 v[2:5], v1 offset:1264
	s_wait_loadcnt_dscnt 0x901
	v_mul_f64_e32 v[151:152], v[135:136], v[24:25]
	v_mul_f64_e32 v[24:25], v[137:138], v[24:25]
	scratch_load_b128 v[18:21], off, off offset:704
	s_wait_loadcnt_dscnt 0x900
	v_mul_f64_e32 v[157:158], v[2:3], v[28:29]
	v_mul_f64_e32 v[28:29], v[4:5], v[28:29]
	v_add_f64_e32 v[147:148], v[147:148], v[143:144]
	v_add_f64_e32 v[149:150], v[149:150], v[145:146]
	ds_load_b128 v[143:146], v1 offset:1280
	v_fma_f64 v[137:138], v[137:138], v[22:23], v[151:152]
	v_fma_f64 v[22:23], v[135:136], v[22:23], -v[24:25]
	v_add_f64_e32 v[24:25], v[147:148], v[155:156]
	v_add_f64_e32 v[135:136], v[149:150], v[153:154]
	s_wait_loadcnt_dscnt 0x800
	v_mul_f64_e32 v[147:148], v[143:144], v[32:33]
	v_mul_f64_e32 v[32:33], v[145:146], v[32:33]
	v_fma_f64 v[149:150], v[4:5], v[26:27], v[157:158]
	v_fma_f64 v[26:27], v[2:3], v[26:27], -v[28:29]
	v_add_f64_e32 v[28:29], v[24:25], v[22:23]
	v_add_f64_e32 v[135:136], v[135:136], v[137:138]
	ds_load_b128 v[2:5], v1 offset:1296
	ds_load_b128 v[22:25], v1 offset:1312
	v_fma_f64 v[145:146], v[145:146], v[30:31], v[147:148]
	v_fma_f64 v[30:31], v[143:144], v[30:31], -v[32:33]
	s_wait_loadcnt_dscnt 0x701
	v_mul_f64_e32 v[137:138], v[2:3], v[40:41]
	v_mul_f64_e32 v[40:41], v[4:5], v[40:41]
	s_wait_loadcnt_dscnt 0x500
	v_mul_f64_e32 v[32:33], v[22:23], v[141:142]
	v_add_f64_e32 v[26:27], v[28:29], v[26:27]
	v_add_f64_e32 v[28:29], v[135:136], v[149:150]
	v_mul_f64_e32 v[135:136], v[24:25], v[141:142]
	v_fma_f64 v[137:138], v[4:5], v[38:39], v[137:138]
	v_fma_f64 v[38:39], v[2:3], v[38:39], -v[40:41]
	v_fma_f64 v[24:25], v[24:25], v[139:140], v[32:33]
	v_add_f64_e32 v[30:31], v[26:27], v[30:31]
	v_add_f64_e32 v[40:41], v[28:29], v[145:146]
	ds_load_b128 v[2:5], v1 offset:1328
	ds_load_b128 v[26:29], v1 offset:1344
	v_fma_f64 v[22:23], v[22:23], v[139:140], -v[135:136]
	s_wait_loadcnt_dscnt 0x401
	v_mul_f64_e32 v[141:142], v[2:3], v[36:37]
	v_mul_f64_e32 v[36:37], v[4:5], v[36:37]
	v_add_f64_e32 v[30:31], v[30:31], v[38:39]
	v_add_f64_e32 v[32:33], v[40:41], v[137:138]
	s_wait_loadcnt_dscnt 0x300
	v_mul_f64_e32 v[38:39], v[26:27], v[8:9]
	v_mul_f64_e32 v[8:9], v[28:29], v[8:9]
	v_fma_f64 v[40:41], v[4:5], v[34:35], v[141:142]
	v_fma_f64 v[34:35], v[2:3], v[34:35], -v[36:37]
	v_add_f64_e32 v[30:31], v[30:31], v[22:23]
	v_add_f64_e32 v[32:33], v[32:33], v[24:25]
	ds_load_b128 v[2:5], v1 offset:1360
	ds_load_b128 v[22:25], v1 offset:1376
	v_fma_f64 v[28:29], v[28:29], v[6:7], v[38:39]
	v_fma_f64 v[6:7], v[26:27], v[6:7], -v[8:9]
	s_wait_loadcnt_dscnt 0x201
	v_mul_f64_e32 v[36:37], v[2:3], v[12:13]
	v_mul_f64_e32 v[12:13], v[4:5], v[12:13]
	v_add_f64_e32 v[8:9], v[30:31], v[34:35]
	v_add_f64_e32 v[26:27], v[32:33], v[40:41]
	s_wait_loadcnt_dscnt 0x100
	v_mul_f64_e32 v[30:31], v[22:23], v[16:17]
	v_mul_f64_e32 v[16:17], v[24:25], v[16:17]
	v_fma_f64 v[32:33], v[4:5], v[10:11], v[36:37]
	v_fma_f64 v[10:11], v[2:3], v[10:11], -v[12:13]
	ds_load_b128 v[2:5], v1 offset:1392
	v_add_f64_e32 v[6:7], v[8:9], v[6:7]
	v_add_f64_e32 v[8:9], v[26:27], v[28:29]
	v_fma_f64 v[24:25], v[24:25], v[14:15], v[30:31]
	v_fma_f64 v[14:15], v[22:23], v[14:15], -v[16:17]
	s_wait_loadcnt_dscnt 0x0
	v_mul_f64_e32 v[12:13], v[2:3], v[20:21]
	v_mul_f64_e32 v[20:21], v[4:5], v[20:21]
	v_add_f64_e32 v[6:7], v[6:7], v[10:11]
	v_add_f64_e32 v[8:9], v[8:9], v[32:33]
	s_delay_alu instid0(VALU_DEP_4) | instskip(NEXT) | instid1(VALU_DEP_4)
	v_fma_f64 v[4:5], v[4:5], v[18:19], v[12:13]
	v_fma_f64 v[2:3], v[2:3], v[18:19], -v[20:21]
	s_delay_alu instid0(VALU_DEP_4) | instskip(NEXT) | instid1(VALU_DEP_4)
	v_add_f64_e32 v[6:7], v[6:7], v[14:15]
	v_add_f64_e32 v[8:9], v[8:9], v[24:25]
	s_delay_alu instid0(VALU_DEP_2) | instskip(NEXT) | instid1(VALU_DEP_2)
	v_add_f64_e32 v[2:3], v[6:7], v[2:3]
	v_add_f64_e32 v[4:5], v[8:9], v[4:5]
	s_delay_alu instid0(VALU_DEP_2) | instskip(NEXT) | instid1(VALU_DEP_2)
	v_add_f64_e64 v[2:3], v[42:43], -v[2:3]
	v_add_f64_e64 v[4:5], v[44:45], -v[4:5]
	scratch_store_b128 off, v[2:5], off offset:464
	v_cmpx_lt_u32_e32 27, v0
	s_cbranch_execz .LBB43_223
; %bb.222:
	scratch_load_b128 v[5:8], off, s14
	v_dual_mov_b32 v2, v1 :: v_dual_mov_b32 v3, v1
	v_mov_b32_e32 v4, v1
	scratch_store_b128 off, v[1:4], off offset:448
	s_wait_loadcnt 0x0
	ds_store_b128 v134, v[5:8]
.LBB43_223:
	s_wait_alu 0xfffe
	s_or_b32 exec_lo, exec_lo, s0
	s_wait_storecnt_dscnt 0x0
	s_barrier_signal -1
	s_barrier_wait -1
	global_inv scope:SCOPE_SE
	s_clause 0x8
	scratch_load_b128 v[2:5], off, off offset:464
	scratch_load_b128 v[6:9], off, off offset:480
	;; [unrolled: 1-line block ×9, first 2 shown]
	ds_load_b128 v[38:41], v1 offset:1152
	ds_load_b128 v[42:45], v1 offset:1168
	s_clause 0x1
	scratch_load_b128 v[135:138], off, off offset:448
	scratch_load_b128 v[139:142], off, off offset:608
	s_mov_b32 s0, exec_lo
	s_wait_loadcnt_dscnt 0xa01
	v_mul_f64_e32 v[143:144], v[40:41], v[4:5]
	v_mul_f64_e32 v[4:5], v[38:39], v[4:5]
	s_wait_loadcnt_dscnt 0x900
	v_mul_f64_e32 v[147:148], v[42:43], v[8:9]
	v_mul_f64_e32 v[8:9], v[44:45], v[8:9]
	s_delay_alu instid0(VALU_DEP_4) | instskip(NEXT) | instid1(VALU_DEP_4)
	v_fma_f64 v[149:150], v[38:39], v[2:3], -v[143:144]
	v_fma_f64 v[151:152], v[40:41], v[2:3], v[4:5]
	ds_load_b128 v[2:5], v1 offset:1184
	ds_load_b128 v[143:146], v1 offset:1200
	scratch_load_b128 v[38:41], off, off offset:624
	v_fma_f64 v[44:45], v[44:45], v[6:7], v[147:148]
	v_fma_f64 v[42:43], v[42:43], v[6:7], -v[8:9]
	scratch_load_b128 v[6:9], off, off offset:640
	s_wait_loadcnt_dscnt 0xa01
	v_mul_f64_e32 v[153:154], v[2:3], v[12:13]
	v_mul_f64_e32 v[12:13], v[4:5], v[12:13]
	v_add_f64_e32 v[147:148], 0, v[149:150]
	v_add_f64_e32 v[149:150], 0, v[151:152]
	s_wait_loadcnt_dscnt 0x900
	v_mul_f64_e32 v[151:152], v[143:144], v[16:17]
	v_mul_f64_e32 v[16:17], v[145:146], v[16:17]
	v_fma_f64 v[153:154], v[4:5], v[10:11], v[153:154]
	v_fma_f64 v[155:156], v[2:3], v[10:11], -v[12:13]
	ds_load_b128 v[2:5], v1 offset:1216
	scratch_load_b128 v[10:13], off, off offset:656
	v_add_f64_e32 v[147:148], v[147:148], v[42:43]
	v_add_f64_e32 v[149:150], v[149:150], v[44:45]
	ds_load_b128 v[42:45], v1 offset:1232
	v_fma_f64 v[145:146], v[145:146], v[14:15], v[151:152]
	v_fma_f64 v[143:144], v[143:144], v[14:15], -v[16:17]
	scratch_load_b128 v[14:17], off, off offset:672
	s_wait_loadcnt_dscnt 0xa01
	v_mul_f64_e32 v[157:158], v[2:3], v[20:21]
	v_mul_f64_e32 v[20:21], v[4:5], v[20:21]
	s_wait_loadcnt_dscnt 0x900
	v_mul_f64_e32 v[151:152], v[42:43], v[24:25]
	v_mul_f64_e32 v[24:25], v[44:45], v[24:25]
	v_add_f64_e32 v[147:148], v[147:148], v[155:156]
	v_add_f64_e32 v[149:150], v[149:150], v[153:154]
	v_fma_f64 v[153:154], v[4:5], v[18:19], v[157:158]
	v_fma_f64 v[155:156], v[2:3], v[18:19], -v[20:21]
	ds_load_b128 v[2:5], v1 offset:1248
	scratch_load_b128 v[18:21], off, off offset:688
	v_fma_f64 v[44:45], v[44:45], v[22:23], v[151:152]
	v_fma_f64 v[42:43], v[42:43], v[22:23], -v[24:25]
	scratch_load_b128 v[22:25], off, off offset:704
	v_add_f64_e32 v[147:148], v[147:148], v[143:144]
	v_add_f64_e32 v[149:150], v[149:150], v[145:146]
	ds_load_b128 v[143:146], v1 offset:1264
	s_wait_loadcnt_dscnt 0xa01
	v_mul_f64_e32 v[157:158], v[2:3], v[28:29]
	v_mul_f64_e32 v[28:29], v[4:5], v[28:29]
	s_wait_loadcnt_dscnt 0x900
	v_mul_f64_e32 v[151:152], v[143:144], v[32:33]
	v_mul_f64_e32 v[32:33], v[145:146], v[32:33]
	v_add_f64_e32 v[147:148], v[147:148], v[155:156]
	v_add_f64_e32 v[149:150], v[149:150], v[153:154]
	v_fma_f64 v[153:154], v[4:5], v[26:27], v[157:158]
	v_fma_f64 v[155:156], v[2:3], v[26:27], -v[28:29]
	ds_load_b128 v[2:5], v1 offset:1280
	ds_load_b128 v[26:29], v1 offset:1296
	v_fma_f64 v[145:146], v[145:146], v[30:31], v[151:152]
	v_fma_f64 v[30:31], v[143:144], v[30:31], -v[32:33]
	v_add_f64_e32 v[42:43], v[147:148], v[42:43]
	v_add_f64_e32 v[44:45], v[149:150], v[44:45]
	s_wait_loadcnt_dscnt 0x801
	v_mul_f64_e32 v[147:148], v[2:3], v[36:37]
	v_mul_f64_e32 v[36:37], v[4:5], v[36:37]
	s_delay_alu instid0(VALU_DEP_4) | instskip(NEXT) | instid1(VALU_DEP_4)
	v_add_f64_e32 v[32:33], v[42:43], v[155:156]
	v_add_f64_e32 v[42:43], v[44:45], v[153:154]
	s_wait_loadcnt_dscnt 0x600
	v_mul_f64_e32 v[44:45], v[26:27], v[141:142]
	v_mul_f64_e32 v[141:142], v[28:29], v[141:142]
	v_fma_f64 v[143:144], v[4:5], v[34:35], v[147:148]
	v_fma_f64 v[34:35], v[2:3], v[34:35], -v[36:37]
	v_add_f64_e32 v[36:37], v[32:33], v[30:31]
	v_add_f64_e32 v[42:43], v[42:43], v[145:146]
	ds_load_b128 v[2:5], v1 offset:1312
	ds_load_b128 v[30:33], v1 offset:1328
	v_fma_f64 v[28:29], v[28:29], v[139:140], v[44:45]
	v_fma_f64 v[26:27], v[26:27], v[139:140], -v[141:142]
	s_wait_loadcnt_dscnt 0x501
	v_mul_f64_e32 v[145:146], v[2:3], v[40:41]
	v_mul_f64_e32 v[40:41], v[4:5], v[40:41]
	v_add_f64_e32 v[34:35], v[36:37], v[34:35]
	v_add_f64_e32 v[36:37], v[42:43], v[143:144]
	s_wait_loadcnt_dscnt 0x400
	v_mul_f64_e32 v[42:43], v[30:31], v[8:9]
	v_mul_f64_e32 v[8:9], v[32:33], v[8:9]
	v_fma_f64 v[44:45], v[4:5], v[38:39], v[145:146]
	v_fma_f64 v[38:39], v[2:3], v[38:39], -v[40:41]
	v_add_f64_e32 v[34:35], v[34:35], v[26:27]
	v_add_f64_e32 v[36:37], v[36:37], v[28:29]
	ds_load_b128 v[2:5], v1 offset:1344
	ds_load_b128 v[26:29], v1 offset:1360
	v_fma_f64 v[32:33], v[32:33], v[6:7], v[42:43]
	v_fma_f64 v[6:7], v[30:31], v[6:7], -v[8:9]
	s_wait_loadcnt_dscnt 0x301
	v_mul_f64_e32 v[40:41], v[2:3], v[12:13]
	v_mul_f64_e32 v[12:13], v[4:5], v[12:13]
	;; [unrolled: 16-line block ×3, first 2 shown]
	s_wait_loadcnt_dscnt 0x0
	v_mul_f64_e32 v[16:17], v[6:7], v[24:25]
	v_mul_f64_e32 v[24:25], v[8:9], v[24:25]
	v_add_f64_e32 v[10:11], v[12:13], v[10:11]
	v_add_f64_e32 v[12:13], v[30:31], v[36:37]
	v_fma_f64 v[4:5], v[4:5], v[18:19], v[32:33]
	v_fma_f64 v[1:2], v[2:3], v[18:19], -v[20:21]
	v_fma_f64 v[8:9], v[8:9], v[22:23], v[16:17]
	v_fma_f64 v[6:7], v[6:7], v[22:23], -v[24:25]
	v_add_f64_e32 v[10:11], v[10:11], v[14:15]
	v_add_f64_e32 v[12:13], v[12:13], v[28:29]
	s_delay_alu instid0(VALU_DEP_2) | instskip(NEXT) | instid1(VALU_DEP_2)
	v_add_f64_e32 v[1:2], v[10:11], v[1:2]
	v_add_f64_e32 v[3:4], v[12:13], v[4:5]
	s_delay_alu instid0(VALU_DEP_2) | instskip(NEXT) | instid1(VALU_DEP_2)
	;; [unrolled: 3-line block ×3, first 2 shown]
	v_add_f64_e64 v[1:2], v[135:136], -v[1:2]
	v_add_f64_e64 v[3:4], v[137:138], -v[3:4]
	scratch_store_b128 off, v[1:4], off offset:448
	v_cmpx_lt_u32_e32 26, v0
	s_cbranch_execz .LBB43_225
; %bb.224:
	scratch_load_b128 v[1:4], off, s20
	v_mov_b32_e32 v5, 0
	s_delay_alu instid0(VALU_DEP_1)
	v_dual_mov_b32 v6, v5 :: v_dual_mov_b32 v7, v5
	v_mov_b32_e32 v8, v5
	scratch_store_b128 off, v[5:8], off offset:432
	s_wait_loadcnt 0x0
	ds_store_b128 v134, v[1:4]
.LBB43_225:
	s_wait_alu 0xfffe
	s_or_b32 exec_lo, exec_lo, s0
	s_wait_storecnt_dscnt 0x0
	s_barrier_signal -1
	s_barrier_wait -1
	global_inv scope:SCOPE_SE
	s_clause 0x7
	scratch_load_b128 v[2:5], off, off offset:448
	scratch_load_b128 v[6:9], off, off offset:464
	;; [unrolled: 1-line block ×8, first 2 shown]
	v_mov_b32_e32 v1, 0
	s_mov_b32 s0, exec_lo
	ds_load_b128 v[34:37], v1 offset:1136
	s_clause 0x1
	scratch_load_b128 v[38:41], off, off offset:576
	scratch_load_b128 v[42:45], off, off offset:432
	ds_load_b128 v[135:138], v1 offset:1152
	scratch_load_b128 v[139:142], off, off offset:592
	s_wait_loadcnt_dscnt 0xa01
	v_mul_f64_e32 v[143:144], v[36:37], v[4:5]
	v_mul_f64_e32 v[4:5], v[34:35], v[4:5]
	s_delay_alu instid0(VALU_DEP_2) | instskip(NEXT) | instid1(VALU_DEP_2)
	v_fma_f64 v[149:150], v[34:35], v[2:3], -v[143:144]
	v_fma_f64 v[151:152], v[36:37], v[2:3], v[4:5]
	ds_load_b128 v[2:5], v1 offset:1168
	s_wait_loadcnt_dscnt 0x901
	v_mul_f64_e32 v[147:148], v[135:136], v[8:9]
	v_mul_f64_e32 v[8:9], v[137:138], v[8:9]
	scratch_load_b128 v[34:37], off, off offset:608
	ds_load_b128 v[143:146], v1 offset:1184
	s_wait_loadcnt_dscnt 0x901
	v_mul_f64_e32 v[153:154], v[2:3], v[12:13]
	v_mul_f64_e32 v[12:13], v[4:5], v[12:13]
	v_fma_f64 v[137:138], v[137:138], v[6:7], v[147:148]
	v_fma_f64 v[135:136], v[135:136], v[6:7], -v[8:9]
	v_add_f64_e32 v[147:148], 0, v[149:150]
	v_add_f64_e32 v[149:150], 0, v[151:152]
	scratch_load_b128 v[6:9], off, off offset:624
	v_fma_f64 v[153:154], v[4:5], v[10:11], v[153:154]
	v_fma_f64 v[155:156], v[2:3], v[10:11], -v[12:13]
	ds_load_b128 v[2:5], v1 offset:1200
	s_wait_loadcnt_dscnt 0x901
	v_mul_f64_e32 v[151:152], v[143:144], v[16:17]
	v_mul_f64_e32 v[16:17], v[145:146], v[16:17]
	scratch_load_b128 v[10:13], off, off offset:640
	v_add_f64_e32 v[147:148], v[147:148], v[135:136]
	v_add_f64_e32 v[149:150], v[149:150], v[137:138]
	s_wait_loadcnt_dscnt 0x900
	v_mul_f64_e32 v[157:158], v[2:3], v[20:21]
	v_mul_f64_e32 v[20:21], v[4:5], v[20:21]
	ds_load_b128 v[135:138], v1 offset:1216
	v_fma_f64 v[145:146], v[145:146], v[14:15], v[151:152]
	v_fma_f64 v[143:144], v[143:144], v[14:15], -v[16:17]
	scratch_load_b128 v[14:17], off, off offset:656
	v_add_f64_e32 v[147:148], v[147:148], v[155:156]
	v_add_f64_e32 v[149:150], v[149:150], v[153:154]
	v_fma_f64 v[153:154], v[4:5], v[18:19], v[157:158]
	v_fma_f64 v[155:156], v[2:3], v[18:19], -v[20:21]
	ds_load_b128 v[2:5], v1 offset:1232
	s_wait_loadcnt_dscnt 0x901
	v_mul_f64_e32 v[151:152], v[135:136], v[24:25]
	v_mul_f64_e32 v[24:25], v[137:138], v[24:25]
	scratch_load_b128 v[18:21], off, off offset:672
	s_wait_loadcnt_dscnt 0x900
	v_mul_f64_e32 v[157:158], v[2:3], v[28:29]
	v_mul_f64_e32 v[28:29], v[4:5], v[28:29]
	v_add_f64_e32 v[147:148], v[147:148], v[143:144]
	v_add_f64_e32 v[149:150], v[149:150], v[145:146]
	ds_load_b128 v[143:146], v1 offset:1248
	v_fma_f64 v[137:138], v[137:138], v[22:23], v[151:152]
	v_fma_f64 v[135:136], v[135:136], v[22:23], -v[24:25]
	scratch_load_b128 v[22:25], off, off offset:688
	v_add_f64_e32 v[147:148], v[147:148], v[155:156]
	v_add_f64_e32 v[149:150], v[149:150], v[153:154]
	v_fma_f64 v[153:154], v[4:5], v[26:27], v[157:158]
	v_fma_f64 v[155:156], v[2:3], v[26:27], -v[28:29]
	ds_load_b128 v[2:5], v1 offset:1264
	s_wait_loadcnt_dscnt 0x901
	v_mul_f64_e32 v[151:152], v[143:144], v[32:33]
	v_mul_f64_e32 v[32:33], v[145:146], v[32:33]
	scratch_load_b128 v[26:29], off, off offset:704
	s_wait_loadcnt_dscnt 0x900
	v_mul_f64_e32 v[157:158], v[2:3], v[40:41]
	v_mul_f64_e32 v[40:41], v[4:5], v[40:41]
	v_add_f64_e32 v[147:148], v[147:148], v[135:136]
	v_add_f64_e32 v[149:150], v[149:150], v[137:138]
	ds_load_b128 v[135:138], v1 offset:1280
	v_fma_f64 v[145:146], v[145:146], v[30:31], v[151:152]
	v_fma_f64 v[30:31], v[143:144], v[30:31], -v[32:33]
	v_add_f64_e32 v[32:33], v[147:148], v[155:156]
	v_add_f64_e32 v[143:144], v[149:150], v[153:154]
	s_wait_loadcnt_dscnt 0x700
	v_mul_f64_e32 v[147:148], v[135:136], v[141:142]
	v_mul_f64_e32 v[141:142], v[137:138], v[141:142]
	v_fma_f64 v[149:150], v[4:5], v[38:39], v[157:158]
	v_fma_f64 v[38:39], v[2:3], v[38:39], -v[40:41]
	v_add_f64_e32 v[40:41], v[32:33], v[30:31]
	v_add_f64_e32 v[143:144], v[143:144], v[145:146]
	ds_load_b128 v[2:5], v1 offset:1296
	ds_load_b128 v[30:33], v1 offset:1312
	v_fma_f64 v[137:138], v[137:138], v[139:140], v[147:148]
	v_fma_f64 v[135:136], v[135:136], v[139:140], -v[141:142]
	s_wait_loadcnt_dscnt 0x601
	v_mul_f64_e32 v[145:146], v[2:3], v[36:37]
	v_mul_f64_e32 v[36:37], v[4:5], v[36:37]
	v_add_f64_e32 v[38:39], v[40:41], v[38:39]
	v_add_f64_e32 v[40:41], v[143:144], v[149:150]
	s_wait_loadcnt_dscnt 0x500
	v_mul_f64_e32 v[139:140], v[30:31], v[8:9]
	v_mul_f64_e32 v[8:9], v[32:33], v[8:9]
	v_fma_f64 v[141:142], v[4:5], v[34:35], v[145:146]
	v_fma_f64 v[143:144], v[2:3], v[34:35], -v[36:37]
	ds_load_b128 v[2:5], v1 offset:1328
	ds_load_b128 v[34:37], v1 offset:1344
	v_add_f64_e32 v[38:39], v[38:39], v[135:136]
	v_add_f64_e32 v[40:41], v[40:41], v[137:138]
	s_wait_loadcnt_dscnt 0x401
	v_mul_f64_e32 v[135:136], v[2:3], v[12:13]
	v_mul_f64_e32 v[12:13], v[4:5], v[12:13]
	v_fma_f64 v[32:33], v[32:33], v[6:7], v[139:140]
	v_fma_f64 v[6:7], v[30:31], v[6:7], -v[8:9]
	v_add_f64_e32 v[8:9], v[38:39], v[143:144]
	v_add_f64_e32 v[30:31], v[40:41], v[141:142]
	s_wait_loadcnt_dscnt 0x300
	v_mul_f64_e32 v[38:39], v[34:35], v[16:17]
	v_mul_f64_e32 v[16:17], v[36:37], v[16:17]
	v_fma_f64 v[40:41], v[4:5], v[10:11], v[135:136]
	v_fma_f64 v[10:11], v[2:3], v[10:11], -v[12:13]
	v_add_f64_e32 v[12:13], v[8:9], v[6:7]
	v_add_f64_e32 v[30:31], v[30:31], v[32:33]
	ds_load_b128 v[2:5], v1 offset:1360
	ds_load_b128 v[6:9], v1 offset:1376
	v_fma_f64 v[36:37], v[36:37], v[14:15], v[38:39]
	v_fma_f64 v[14:15], v[34:35], v[14:15], -v[16:17]
	s_wait_loadcnt_dscnt 0x201
	v_mul_f64_e32 v[32:33], v[2:3], v[20:21]
	v_mul_f64_e32 v[20:21], v[4:5], v[20:21]
	s_wait_loadcnt_dscnt 0x100
	v_mul_f64_e32 v[16:17], v[6:7], v[24:25]
	v_mul_f64_e32 v[24:25], v[8:9], v[24:25]
	v_add_f64_e32 v[10:11], v[12:13], v[10:11]
	v_add_f64_e32 v[12:13], v[30:31], v[40:41]
	v_fma_f64 v[30:31], v[4:5], v[18:19], v[32:33]
	v_fma_f64 v[18:19], v[2:3], v[18:19], -v[20:21]
	ds_load_b128 v[2:5], v1 offset:1392
	v_fma_f64 v[8:9], v[8:9], v[22:23], v[16:17]
	v_fma_f64 v[6:7], v[6:7], v[22:23], -v[24:25]
	v_add_f64_e32 v[10:11], v[10:11], v[14:15]
	v_add_f64_e32 v[12:13], v[12:13], v[36:37]
	s_wait_loadcnt_dscnt 0x0
	v_mul_f64_e32 v[14:15], v[2:3], v[28:29]
	v_mul_f64_e32 v[20:21], v[4:5], v[28:29]
	s_delay_alu instid0(VALU_DEP_4) | instskip(NEXT) | instid1(VALU_DEP_4)
	v_add_f64_e32 v[10:11], v[10:11], v[18:19]
	v_add_f64_e32 v[12:13], v[12:13], v[30:31]
	s_delay_alu instid0(VALU_DEP_4) | instskip(NEXT) | instid1(VALU_DEP_4)
	v_fma_f64 v[4:5], v[4:5], v[26:27], v[14:15]
	v_fma_f64 v[2:3], v[2:3], v[26:27], -v[20:21]
	s_delay_alu instid0(VALU_DEP_4) | instskip(NEXT) | instid1(VALU_DEP_4)
	v_add_f64_e32 v[6:7], v[10:11], v[6:7]
	v_add_f64_e32 v[8:9], v[12:13], v[8:9]
	s_delay_alu instid0(VALU_DEP_2) | instskip(NEXT) | instid1(VALU_DEP_2)
	v_add_f64_e32 v[2:3], v[6:7], v[2:3]
	v_add_f64_e32 v[4:5], v[8:9], v[4:5]
	s_delay_alu instid0(VALU_DEP_2) | instskip(NEXT) | instid1(VALU_DEP_2)
	v_add_f64_e64 v[2:3], v[42:43], -v[2:3]
	v_add_f64_e64 v[4:5], v[44:45], -v[4:5]
	scratch_store_b128 off, v[2:5], off offset:432
	v_cmpx_lt_u32_e32 25, v0
	s_cbranch_execz .LBB43_227
; %bb.226:
	scratch_load_b128 v[5:8], off, s19
	v_dual_mov_b32 v2, v1 :: v_dual_mov_b32 v3, v1
	v_mov_b32_e32 v4, v1
	scratch_store_b128 off, v[1:4], off offset:416
	s_wait_loadcnt 0x0
	ds_store_b128 v134, v[5:8]
.LBB43_227:
	s_wait_alu 0xfffe
	s_or_b32 exec_lo, exec_lo, s0
	s_wait_storecnt_dscnt 0x0
	s_barrier_signal -1
	s_barrier_wait -1
	global_inv scope:SCOPE_SE
	s_clause 0x8
	scratch_load_b128 v[2:5], off, off offset:432
	scratch_load_b128 v[6:9], off, off offset:448
	;; [unrolled: 1-line block ×9, first 2 shown]
	ds_load_b128 v[38:41], v1 offset:1120
	ds_load_b128 v[42:45], v1 offset:1136
	s_clause 0x1
	scratch_load_b128 v[135:138], off, off offset:416
	scratch_load_b128 v[139:142], off, off offset:576
	s_mov_b32 s0, exec_lo
	s_wait_loadcnt_dscnt 0xa01
	v_mul_f64_e32 v[143:144], v[40:41], v[4:5]
	v_mul_f64_e32 v[4:5], v[38:39], v[4:5]
	s_wait_loadcnt_dscnt 0x900
	v_mul_f64_e32 v[147:148], v[42:43], v[8:9]
	v_mul_f64_e32 v[8:9], v[44:45], v[8:9]
	s_delay_alu instid0(VALU_DEP_4) | instskip(NEXT) | instid1(VALU_DEP_4)
	v_fma_f64 v[149:150], v[38:39], v[2:3], -v[143:144]
	v_fma_f64 v[151:152], v[40:41], v[2:3], v[4:5]
	ds_load_b128 v[2:5], v1 offset:1152
	ds_load_b128 v[143:146], v1 offset:1168
	scratch_load_b128 v[38:41], off, off offset:592
	v_fma_f64 v[44:45], v[44:45], v[6:7], v[147:148]
	v_fma_f64 v[42:43], v[42:43], v[6:7], -v[8:9]
	scratch_load_b128 v[6:9], off, off offset:608
	s_wait_loadcnt_dscnt 0xa01
	v_mul_f64_e32 v[153:154], v[2:3], v[12:13]
	v_mul_f64_e32 v[12:13], v[4:5], v[12:13]
	v_add_f64_e32 v[147:148], 0, v[149:150]
	v_add_f64_e32 v[149:150], 0, v[151:152]
	s_wait_loadcnt_dscnt 0x900
	v_mul_f64_e32 v[151:152], v[143:144], v[16:17]
	v_mul_f64_e32 v[16:17], v[145:146], v[16:17]
	v_fma_f64 v[153:154], v[4:5], v[10:11], v[153:154]
	v_fma_f64 v[155:156], v[2:3], v[10:11], -v[12:13]
	ds_load_b128 v[2:5], v1 offset:1184
	scratch_load_b128 v[10:13], off, off offset:624
	v_add_f64_e32 v[147:148], v[147:148], v[42:43]
	v_add_f64_e32 v[149:150], v[149:150], v[44:45]
	ds_load_b128 v[42:45], v1 offset:1200
	v_fma_f64 v[145:146], v[145:146], v[14:15], v[151:152]
	v_fma_f64 v[143:144], v[143:144], v[14:15], -v[16:17]
	scratch_load_b128 v[14:17], off, off offset:640
	s_wait_loadcnt_dscnt 0xa01
	v_mul_f64_e32 v[157:158], v[2:3], v[20:21]
	v_mul_f64_e32 v[20:21], v[4:5], v[20:21]
	s_wait_loadcnt_dscnt 0x900
	v_mul_f64_e32 v[151:152], v[42:43], v[24:25]
	v_mul_f64_e32 v[24:25], v[44:45], v[24:25]
	v_add_f64_e32 v[147:148], v[147:148], v[155:156]
	v_add_f64_e32 v[149:150], v[149:150], v[153:154]
	v_fma_f64 v[153:154], v[4:5], v[18:19], v[157:158]
	v_fma_f64 v[155:156], v[2:3], v[18:19], -v[20:21]
	ds_load_b128 v[2:5], v1 offset:1216
	scratch_load_b128 v[18:21], off, off offset:656
	v_fma_f64 v[44:45], v[44:45], v[22:23], v[151:152]
	v_fma_f64 v[42:43], v[42:43], v[22:23], -v[24:25]
	scratch_load_b128 v[22:25], off, off offset:672
	v_add_f64_e32 v[147:148], v[147:148], v[143:144]
	v_add_f64_e32 v[149:150], v[149:150], v[145:146]
	ds_load_b128 v[143:146], v1 offset:1232
	s_wait_loadcnt_dscnt 0xa01
	v_mul_f64_e32 v[157:158], v[2:3], v[28:29]
	v_mul_f64_e32 v[28:29], v[4:5], v[28:29]
	s_wait_loadcnt_dscnt 0x900
	v_mul_f64_e32 v[151:152], v[143:144], v[32:33]
	v_mul_f64_e32 v[32:33], v[145:146], v[32:33]
	v_add_f64_e32 v[147:148], v[147:148], v[155:156]
	v_add_f64_e32 v[149:150], v[149:150], v[153:154]
	v_fma_f64 v[153:154], v[4:5], v[26:27], v[157:158]
	v_fma_f64 v[155:156], v[2:3], v[26:27], -v[28:29]
	ds_load_b128 v[2:5], v1 offset:1248
	scratch_load_b128 v[26:29], off, off offset:688
	v_fma_f64 v[145:146], v[145:146], v[30:31], v[151:152]
	v_fma_f64 v[143:144], v[143:144], v[30:31], -v[32:33]
	scratch_load_b128 v[30:33], off, off offset:704
	v_add_f64_e32 v[147:148], v[147:148], v[42:43]
	v_add_f64_e32 v[149:150], v[149:150], v[44:45]
	ds_load_b128 v[42:45], v1 offset:1264
	s_wait_loadcnt_dscnt 0xa01
	v_mul_f64_e32 v[157:158], v[2:3], v[36:37]
	v_mul_f64_e32 v[36:37], v[4:5], v[36:37]
	s_wait_loadcnt_dscnt 0x800
	v_mul_f64_e32 v[151:152], v[42:43], v[141:142]
	v_mul_f64_e32 v[141:142], v[44:45], v[141:142]
	v_add_f64_e32 v[147:148], v[147:148], v[155:156]
	v_add_f64_e32 v[149:150], v[149:150], v[153:154]
	v_fma_f64 v[153:154], v[4:5], v[34:35], v[157:158]
	v_fma_f64 v[155:156], v[2:3], v[34:35], -v[36:37]
	ds_load_b128 v[2:5], v1 offset:1280
	ds_load_b128 v[34:37], v1 offset:1296
	v_fma_f64 v[44:45], v[44:45], v[139:140], v[151:152]
	v_fma_f64 v[42:43], v[42:43], v[139:140], -v[141:142]
	v_add_f64_e32 v[143:144], v[147:148], v[143:144]
	v_add_f64_e32 v[145:146], v[149:150], v[145:146]
	s_wait_loadcnt_dscnt 0x701
	v_mul_f64_e32 v[147:148], v[2:3], v[40:41]
	v_mul_f64_e32 v[40:41], v[4:5], v[40:41]
	s_delay_alu instid0(VALU_DEP_4) | instskip(NEXT) | instid1(VALU_DEP_4)
	v_add_f64_e32 v[139:140], v[143:144], v[155:156]
	v_add_f64_e32 v[141:142], v[145:146], v[153:154]
	s_wait_loadcnt_dscnt 0x600
	v_mul_f64_e32 v[143:144], v[34:35], v[8:9]
	v_mul_f64_e32 v[8:9], v[36:37], v[8:9]
	v_fma_f64 v[145:146], v[4:5], v[38:39], v[147:148]
	v_fma_f64 v[147:148], v[2:3], v[38:39], -v[40:41]
	ds_load_b128 v[2:5], v1 offset:1312
	ds_load_b128 v[38:41], v1 offset:1328
	v_add_f64_e32 v[42:43], v[139:140], v[42:43]
	v_add_f64_e32 v[44:45], v[141:142], v[44:45]
	v_fma_f64 v[36:37], v[36:37], v[6:7], v[143:144]
	s_wait_loadcnt_dscnt 0x501
	v_mul_f64_e32 v[139:140], v[2:3], v[12:13]
	v_mul_f64_e32 v[12:13], v[4:5], v[12:13]
	v_fma_f64 v[6:7], v[34:35], v[6:7], -v[8:9]
	v_add_f64_e32 v[8:9], v[42:43], v[147:148]
	v_add_f64_e32 v[34:35], v[44:45], v[145:146]
	s_wait_loadcnt_dscnt 0x400
	v_mul_f64_e32 v[42:43], v[38:39], v[16:17]
	v_mul_f64_e32 v[16:17], v[40:41], v[16:17]
	v_fma_f64 v[44:45], v[4:5], v[10:11], v[139:140]
	v_fma_f64 v[10:11], v[2:3], v[10:11], -v[12:13]
	v_add_f64_e32 v[12:13], v[8:9], v[6:7]
	v_add_f64_e32 v[34:35], v[34:35], v[36:37]
	ds_load_b128 v[2:5], v1 offset:1344
	ds_load_b128 v[6:9], v1 offset:1360
	v_fma_f64 v[40:41], v[40:41], v[14:15], v[42:43]
	v_fma_f64 v[14:15], v[38:39], v[14:15], -v[16:17]
	s_wait_loadcnt_dscnt 0x301
	v_mul_f64_e32 v[36:37], v[2:3], v[20:21]
	v_mul_f64_e32 v[20:21], v[4:5], v[20:21]
	s_wait_loadcnt_dscnt 0x200
	v_mul_f64_e32 v[16:17], v[6:7], v[24:25]
	v_mul_f64_e32 v[24:25], v[8:9], v[24:25]
	v_add_f64_e32 v[10:11], v[12:13], v[10:11]
	v_add_f64_e32 v[12:13], v[34:35], v[44:45]
	v_fma_f64 v[34:35], v[4:5], v[18:19], v[36:37]
	v_fma_f64 v[18:19], v[2:3], v[18:19], -v[20:21]
	v_fma_f64 v[8:9], v[8:9], v[22:23], v[16:17]
	v_fma_f64 v[6:7], v[6:7], v[22:23], -v[24:25]
	v_add_f64_e32 v[14:15], v[10:11], v[14:15]
	v_add_f64_e32 v[20:21], v[12:13], v[40:41]
	ds_load_b128 v[2:5], v1 offset:1376
	ds_load_b128 v[10:13], v1 offset:1392
	s_wait_loadcnt_dscnt 0x101
	v_mul_f64_e32 v[36:37], v[2:3], v[28:29]
	v_mul_f64_e32 v[28:29], v[4:5], v[28:29]
	v_add_f64_e32 v[14:15], v[14:15], v[18:19]
	v_add_f64_e32 v[16:17], v[20:21], v[34:35]
	s_wait_loadcnt_dscnt 0x0
	v_mul_f64_e32 v[18:19], v[10:11], v[32:33]
	v_mul_f64_e32 v[20:21], v[12:13], v[32:33]
	v_fma_f64 v[4:5], v[4:5], v[26:27], v[36:37]
	v_fma_f64 v[1:2], v[2:3], v[26:27], -v[28:29]
	v_add_f64_e32 v[6:7], v[14:15], v[6:7]
	v_add_f64_e32 v[8:9], v[16:17], v[8:9]
	v_fma_f64 v[12:13], v[12:13], v[30:31], v[18:19]
	v_fma_f64 v[10:11], v[10:11], v[30:31], -v[20:21]
	s_delay_alu instid0(VALU_DEP_4) | instskip(NEXT) | instid1(VALU_DEP_4)
	v_add_f64_e32 v[1:2], v[6:7], v[1:2]
	v_add_f64_e32 v[3:4], v[8:9], v[4:5]
	s_delay_alu instid0(VALU_DEP_2) | instskip(NEXT) | instid1(VALU_DEP_2)
	v_add_f64_e32 v[1:2], v[1:2], v[10:11]
	v_add_f64_e32 v[3:4], v[3:4], v[12:13]
	s_delay_alu instid0(VALU_DEP_2) | instskip(NEXT) | instid1(VALU_DEP_2)
	v_add_f64_e64 v[1:2], v[135:136], -v[1:2]
	v_add_f64_e64 v[3:4], v[137:138], -v[3:4]
	scratch_store_b128 off, v[1:4], off offset:416
	v_cmpx_lt_u32_e32 24, v0
	s_cbranch_execz .LBB43_229
; %bb.228:
	scratch_load_b128 v[1:4], off, s22
	v_mov_b32_e32 v5, 0
	s_delay_alu instid0(VALU_DEP_1)
	v_dual_mov_b32 v6, v5 :: v_dual_mov_b32 v7, v5
	v_mov_b32_e32 v8, v5
	scratch_store_b128 off, v[5:8], off offset:400
	s_wait_loadcnt 0x0
	ds_store_b128 v134, v[1:4]
.LBB43_229:
	s_wait_alu 0xfffe
	s_or_b32 exec_lo, exec_lo, s0
	s_wait_storecnt_dscnt 0x0
	s_barrier_signal -1
	s_barrier_wait -1
	global_inv scope:SCOPE_SE
	s_clause 0x7
	scratch_load_b128 v[2:5], off, off offset:416
	scratch_load_b128 v[6:9], off, off offset:432
	;; [unrolled: 1-line block ×8, first 2 shown]
	v_mov_b32_e32 v1, 0
	s_mov_b32 s0, exec_lo
	ds_load_b128 v[34:37], v1 offset:1104
	s_clause 0x1
	scratch_load_b128 v[38:41], off, off offset:544
	scratch_load_b128 v[42:45], off, off offset:400
	ds_load_b128 v[135:138], v1 offset:1120
	scratch_load_b128 v[139:142], off, off offset:560
	s_wait_loadcnt_dscnt 0xa01
	v_mul_f64_e32 v[143:144], v[36:37], v[4:5]
	v_mul_f64_e32 v[4:5], v[34:35], v[4:5]
	s_delay_alu instid0(VALU_DEP_2) | instskip(NEXT) | instid1(VALU_DEP_2)
	v_fma_f64 v[149:150], v[34:35], v[2:3], -v[143:144]
	v_fma_f64 v[151:152], v[36:37], v[2:3], v[4:5]
	ds_load_b128 v[2:5], v1 offset:1136
	s_wait_loadcnt_dscnt 0x901
	v_mul_f64_e32 v[147:148], v[135:136], v[8:9]
	v_mul_f64_e32 v[8:9], v[137:138], v[8:9]
	scratch_load_b128 v[34:37], off, off offset:576
	ds_load_b128 v[143:146], v1 offset:1152
	s_wait_loadcnt_dscnt 0x901
	v_mul_f64_e32 v[153:154], v[2:3], v[12:13]
	v_mul_f64_e32 v[12:13], v[4:5], v[12:13]
	v_fma_f64 v[137:138], v[137:138], v[6:7], v[147:148]
	v_fma_f64 v[135:136], v[135:136], v[6:7], -v[8:9]
	v_add_f64_e32 v[147:148], 0, v[149:150]
	v_add_f64_e32 v[149:150], 0, v[151:152]
	scratch_load_b128 v[6:9], off, off offset:592
	v_fma_f64 v[153:154], v[4:5], v[10:11], v[153:154]
	v_fma_f64 v[155:156], v[2:3], v[10:11], -v[12:13]
	ds_load_b128 v[2:5], v1 offset:1168
	s_wait_loadcnt_dscnt 0x901
	v_mul_f64_e32 v[151:152], v[143:144], v[16:17]
	v_mul_f64_e32 v[16:17], v[145:146], v[16:17]
	scratch_load_b128 v[10:13], off, off offset:608
	v_add_f64_e32 v[147:148], v[147:148], v[135:136]
	v_add_f64_e32 v[149:150], v[149:150], v[137:138]
	s_wait_loadcnt_dscnt 0x900
	v_mul_f64_e32 v[157:158], v[2:3], v[20:21]
	v_mul_f64_e32 v[20:21], v[4:5], v[20:21]
	ds_load_b128 v[135:138], v1 offset:1184
	v_fma_f64 v[145:146], v[145:146], v[14:15], v[151:152]
	v_fma_f64 v[143:144], v[143:144], v[14:15], -v[16:17]
	scratch_load_b128 v[14:17], off, off offset:624
	v_add_f64_e32 v[147:148], v[147:148], v[155:156]
	v_add_f64_e32 v[149:150], v[149:150], v[153:154]
	v_fma_f64 v[153:154], v[4:5], v[18:19], v[157:158]
	v_fma_f64 v[155:156], v[2:3], v[18:19], -v[20:21]
	ds_load_b128 v[2:5], v1 offset:1200
	s_wait_loadcnt_dscnt 0x901
	v_mul_f64_e32 v[151:152], v[135:136], v[24:25]
	v_mul_f64_e32 v[24:25], v[137:138], v[24:25]
	scratch_load_b128 v[18:21], off, off offset:640
	s_wait_loadcnt_dscnt 0x900
	v_mul_f64_e32 v[157:158], v[2:3], v[28:29]
	v_mul_f64_e32 v[28:29], v[4:5], v[28:29]
	v_add_f64_e32 v[147:148], v[147:148], v[143:144]
	v_add_f64_e32 v[149:150], v[149:150], v[145:146]
	ds_load_b128 v[143:146], v1 offset:1216
	v_fma_f64 v[137:138], v[137:138], v[22:23], v[151:152]
	v_fma_f64 v[135:136], v[135:136], v[22:23], -v[24:25]
	scratch_load_b128 v[22:25], off, off offset:656
	v_add_f64_e32 v[147:148], v[147:148], v[155:156]
	v_add_f64_e32 v[149:150], v[149:150], v[153:154]
	v_fma_f64 v[153:154], v[4:5], v[26:27], v[157:158]
	v_fma_f64 v[155:156], v[2:3], v[26:27], -v[28:29]
	ds_load_b128 v[2:5], v1 offset:1232
	s_wait_loadcnt_dscnt 0x901
	v_mul_f64_e32 v[151:152], v[143:144], v[32:33]
	v_mul_f64_e32 v[32:33], v[145:146], v[32:33]
	scratch_load_b128 v[26:29], off, off offset:672
	s_wait_loadcnt_dscnt 0x900
	v_mul_f64_e32 v[157:158], v[2:3], v[40:41]
	v_mul_f64_e32 v[40:41], v[4:5], v[40:41]
	v_add_f64_e32 v[147:148], v[147:148], v[135:136]
	v_add_f64_e32 v[149:150], v[149:150], v[137:138]
	ds_load_b128 v[135:138], v1 offset:1248
	v_fma_f64 v[145:146], v[145:146], v[30:31], v[151:152]
	v_fma_f64 v[143:144], v[143:144], v[30:31], -v[32:33]
	scratch_load_b128 v[30:33], off, off offset:688
	v_add_f64_e32 v[147:148], v[147:148], v[155:156]
	v_add_f64_e32 v[149:150], v[149:150], v[153:154]
	v_fma_f64 v[155:156], v[4:5], v[38:39], v[157:158]
	v_fma_f64 v[157:158], v[2:3], v[38:39], -v[40:41]
	ds_load_b128 v[2:5], v1 offset:1264
	s_wait_loadcnt_dscnt 0x801
	v_mul_f64_e32 v[151:152], v[135:136], v[141:142]
	v_mul_f64_e32 v[153:154], v[137:138], v[141:142]
	scratch_load_b128 v[38:41], off, off offset:704
	v_add_f64_e32 v[147:148], v[147:148], v[143:144]
	v_add_f64_e32 v[145:146], v[149:150], v[145:146]
	ds_load_b128 v[141:144], v1 offset:1280
	v_fma_f64 v[137:138], v[137:138], v[139:140], v[151:152]
	v_fma_f64 v[135:136], v[135:136], v[139:140], -v[153:154]
	s_wait_loadcnt_dscnt 0x801
	v_mul_f64_e32 v[149:150], v[2:3], v[36:37]
	v_mul_f64_e32 v[36:37], v[4:5], v[36:37]
	v_add_f64_e32 v[139:140], v[147:148], v[157:158]
	v_add_f64_e32 v[145:146], v[145:146], v[155:156]
	s_delay_alu instid0(VALU_DEP_4) | instskip(NEXT) | instid1(VALU_DEP_4)
	v_fma_f64 v[149:150], v[4:5], v[34:35], v[149:150]
	v_fma_f64 v[151:152], v[2:3], v[34:35], -v[36:37]
	s_wait_loadcnt_dscnt 0x700
	v_mul_f64_e32 v[147:148], v[141:142], v[8:9]
	v_mul_f64_e32 v[8:9], v[143:144], v[8:9]
	ds_load_b128 v[2:5], v1 offset:1296
	ds_load_b128 v[34:37], v1 offset:1312
	v_add_f64_e32 v[135:136], v[139:140], v[135:136]
	v_add_f64_e32 v[137:138], v[145:146], v[137:138]
	s_wait_loadcnt_dscnt 0x601
	v_mul_f64_e32 v[139:140], v[2:3], v[12:13]
	v_mul_f64_e32 v[12:13], v[4:5], v[12:13]
	v_fma_f64 v[143:144], v[143:144], v[6:7], v[147:148]
	v_fma_f64 v[6:7], v[141:142], v[6:7], -v[8:9]
	v_add_f64_e32 v[8:9], v[135:136], v[151:152]
	v_add_f64_e32 v[135:136], v[137:138], v[149:150]
	s_wait_loadcnt_dscnt 0x500
	v_mul_f64_e32 v[137:138], v[34:35], v[16:17]
	v_mul_f64_e32 v[16:17], v[36:37], v[16:17]
	v_fma_f64 v[139:140], v[4:5], v[10:11], v[139:140]
	v_fma_f64 v[10:11], v[2:3], v[10:11], -v[12:13]
	v_add_f64_e32 v[12:13], v[8:9], v[6:7]
	v_add_f64_e32 v[135:136], v[135:136], v[143:144]
	ds_load_b128 v[2:5], v1 offset:1328
	ds_load_b128 v[6:9], v1 offset:1344
	v_fma_f64 v[36:37], v[36:37], v[14:15], v[137:138]
	v_fma_f64 v[14:15], v[34:35], v[14:15], -v[16:17]
	s_wait_loadcnt_dscnt 0x401
	v_mul_f64_e32 v[141:142], v[2:3], v[20:21]
	v_mul_f64_e32 v[20:21], v[4:5], v[20:21]
	s_wait_loadcnt_dscnt 0x300
	v_mul_f64_e32 v[16:17], v[6:7], v[24:25]
	v_mul_f64_e32 v[24:25], v[8:9], v[24:25]
	v_add_f64_e32 v[10:11], v[12:13], v[10:11]
	v_add_f64_e32 v[12:13], v[135:136], v[139:140]
	v_fma_f64 v[34:35], v[4:5], v[18:19], v[141:142]
	v_fma_f64 v[18:19], v[2:3], v[18:19], -v[20:21]
	v_fma_f64 v[8:9], v[8:9], v[22:23], v[16:17]
	v_fma_f64 v[6:7], v[6:7], v[22:23], -v[24:25]
	v_add_f64_e32 v[14:15], v[10:11], v[14:15]
	v_add_f64_e32 v[20:21], v[12:13], v[36:37]
	ds_load_b128 v[2:5], v1 offset:1360
	ds_load_b128 v[10:13], v1 offset:1376
	s_wait_loadcnt_dscnt 0x201
	v_mul_f64_e32 v[36:37], v[2:3], v[28:29]
	v_mul_f64_e32 v[28:29], v[4:5], v[28:29]
	v_add_f64_e32 v[14:15], v[14:15], v[18:19]
	v_add_f64_e32 v[16:17], v[20:21], v[34:35]
	s_wait_loadcnt_dscnt 0x100
	v_mul_f64_e32 v[18:19], v[10:11], v[32:33]
	v_mul_f64_e32 v[20:21], v[12:13], v[32:33]
	v_fma_f64 v[22:23], v[4:5], v[26:27], v[36:37]
	v_fma_f64 v[24:25], v[2:3], v[26:27], -v[28:29]
	ds_load_b128 v[2:5], v1 offset:1392
	v_add_f64_e32 v[6:7], v[14:15], v[6:7]
	v_add_f64_e32 v[8:9], v[16:17], v[8:9]
	v_fma_f64 v[12:13], v[12:13], v[30:31], v[18:19]
	v_fma_f64 v[10:11], v[10:11], v[30:31], -v[20:21]
	s_wait_loadcnt_dscnt 0x0
	v_mul_f64_e32 v[14:15], v[2:3], v[40:41]
	v_mul_f64_e32 v[16:17], v[4:5], v[40:41]
	v_add_f64_e32 v[6:7], v[6:7], v[24:25]
	v_add_f64_e32 v[8:9], v[8:9], v[22:23]
	s_delay_alu instid0(VALU_DEP_4) | instskip(NEXT) | instid1(VALU_DEP_4)
	v_fma_f64 v[4:5], v[4:5], v[38:39], v[14:15]
	v_fma_f64 v[2:3], v[2:3], v[38:39], -v[16:17]
	s_delay_alu instid0(VALU_DEP_4) | instskip(NEXT) | instid1(VALU_DEP_4)
	v_add_f64_e32 v[6:7], v[6:7], v[10:11]
	v_add_f64_e32 v[8:9], v[8:9], v[12:13]
	s_delay_alu instid0(VALU_DEP_2) | instskip(NEXT) | instid1(VALU_DEP_2)
	v_add_f64_e32 v[2:3], v[6:7], v[2:3]
	v_add_f64_e32 v[4:5], v[8:9], v[4:5]
	s_delay_alu instid0(VALU_DEP_2) | instskip(NEXT) | instid1(VALU_DEP_2)
	v_add_f64_e64 v[2:3], v[42:43], -v[2:3]
	v_add_f64_e64 v[4:5], v[44:45], -v[4:5]
	scratch_store_b128 off, v[2:5], off offset:400
	v_cmpx_lt_u32_e32 23, v0
	s_cbranch_execz .LBB43_231
; %bb.230:
	scratch_load_b128 v[5:8], off, s21
	v_dual_mov_b32 v2, v1 :: v_dual_mov_b32 v3, v1
	v_mov_b32_e32 v4, v1
	scratch_store_b128 off, v[1:4], off offset:384
	s_wait_loadcnt 0x0
	ds_store_b128 v134, v[5:8]
.LBB43_231:
	s_wait_alu 0xfffe
	s_or_b32 exec_lo, exec_lo, s0
	s_wait_storecnt_dscnt 0x0
	s_barrier_signal -1
	s_barrier_wait -1
	global_inv scope:SCOPE_SE
	s_clause 0x8
	scratch_load_b128 v[2:5], off, off offset:400
	scratch_load_b128 v[6:9], off, off offset:416
	scratch_load_b128 v[10:13], off, off offset:432
	scratch_load_b128 v[14:17], off, off offset:448
	scratch_load_b128 v[18:21], off, off offset:464
	scratch_load_b128 v[22:25], off, off offset:480
	scratch_load_b128 v[26:29], off, off offset:496
	scratch_load_b128 v[30:33], off, off offset:512
	scratch_load_b128 v[34:37], off, off offset:528
	ds_load_b128 v[38:41], v1 offset:1088
	ds_load_b128 v[42:45], v1 offset:1104
	s_clause 0x1
	scratch_load_b128 v[135:138], off, off offset:384
	scratch_load_b128 v[139:142], off, off offset:544
	s_mov_b32 s0, exec_lo
	s_wait_loadcnt_dscnt 0xa01
	v_mul_f64_e32 v[143:144], v[40:41], v[4:5]
	v_mul_f64_e32 v[4:5], v[38:39], v[4:5]
	s_wait_loadcnt_dscnt 0x900
	v_mul_f64_e32 v[147:148], v[42:43], v[8:9]
	v_mul_f64_e32 v[8:9], v[44:45], v[8:9]
	s_delay_alu instid0(VALU_DEP_4) | instskip(NEXT) | instid1(VALU_DEP_4)
	v_fma_f64 v[149:150], v[38:39], v[2:3], -v[143:144]
	v_fma_f64 v[151:152], v[40:41], v[2:3], v[4:5]
	ds_load_b128 v[2:5], v1 offset:1120
	ds_load_b128 v[143:146], v1 offset:1136
	scratch_load_b128 v[38:41], off, off offset:560
	v_fma_f64 v[44:45], v[44:45], v[6:7], v[147:148]
	v_fma_f64 v[42:43], v[42:43], v[6:7], -v[8:9]
	scratch_load_b128 v[6:9], off, off offset:576
	s_wait_loadcnt_dscnt 0xa01
	v_mul_f64_e32 v[153:154], v[2:3], v[12:13]
	v_mul_f64_e32 v[12:13], v[4:5], v[12:13]
	v_add_f64_e32 v[147:148], 0, v[149:150]
	v_add_f64_e32 v[149:150], 0, v[151:152]
	s_wait_loadcnt_dscnt 0x900
	v_mul_f64_e32 v[151:152], v[143:144], v[16:17]
	v_mul_f64_e32 v[16:17], v[145:146], v[16:17]
	v_fma_f64 v[153:154], v[4:5], v[10:11], v[153:154]
	v_fma_f64 v[155:156], v[2:3], v[10:11], -v[12:13]
	ds_load_b128 v[2:5], v1 offset:1152
	scratch_load_b128 v[10:13], off, off offset:592
	v_add_f64_e32 v[147:148], v[147:148], v[42:43]
	v_add_f64_e32 v[149:150], v[149:150], v[44:45]
	ds_load_b128 v[42:45], v1 offset:1168
	v_fma_f64 v[145:146], v[145:146], v[14:15], v[151:152]
	v_fma_f64 v[143:144], v[143:144], v[14:15], -v[16:17]
	scratch_load_b128 v[14:17], off, off offset:608
	s_wait_loadcnt_dscnt 0xa01
	v_mul_f64_e32 v[157:158], v[2:3], v[20:21]
	v_mul_f64_e32 v[20:21], v[4:5], v[20:21]
	s_wait_loadcnt_dscnt 0x900
	v_mul_f64_e32 v[151:152], v[42:43], v[24:25]
	v_mul_f64_e32 v[24:25], v[44:45], v[24:25]
	v_add_f64_e32 v[147:148], v[147:148], v[155:156]
	v_add_f64_e32 v[149:150], v[149:150], v[153:154]
	v_fma_f64 v[153:154], v[4:5], v[18:19], v[157:158]
	v_fma_f64 v[155:156], v[2:3], v[18:19], -v[20:21]
	ds_load_b128 v[2:5], v1 offset:1184
	scratch_load_b128 v[18:21], off, off offset:624
	v_fma_f64 v[44:45], v[44:45], v[22:23], v[151:152]
	v_fma_f64 v[42:43], v[42:43], v[22:23], -v[24:25]
	scratch_load_b128 v[22:25], off, off offset:640
	v_add_f64_e32 v[147:148], v[147:148], v[143:144]
	v_add_f64_e32 v[149:150], v[149:150], v[145:146]
	ds_load_b128 v[143:146], v1 offset:1200
	s_wait_loadcnt_dscnt 0xa01
	v_mul_f64_e32 v[157:158], v[2:3], v[28:29]
	v_mul_f64_e32 v[28:29], v[4:5], v[28:29]
	s_wait_loadcnt_dscnt 0x900
	v_mul_f64_e32 v[151:152], v[143:144], v[32:33]
	v_mul_f64_e32 v[32:33], v[145:146], v[32:33]
	v_add_f64_e32 v[147:148], v[147:148], v[155:156]
	v_add_f64_e32 v[149:150], v[149:150], v[153:154]
	v_fma_f64 v[153:154], v[4:5], v[26:27], v[157:158]
	v_fma_f64 v[155:156], v[2:3], v[26:27], -v[28:29]
	ds_load_b128 v[2:5], v1 offset:1216
	scratch_load_b128 v[26:29], off, off offset:656
	v_fma_f64 v[145:146], v[145:146], v[30:31], v[151:152]
	v_fma_f64 v[143:144], v[143:144], v[30:31], -v[32:33]
	scratch_load_b128 v[30:33], off, off offset:672
	v_add_f64_e32 v[147:148], v[147:148], v[42:43]
	v_add_f64_e32 v[149:150], v[149:150], v[44:45]
	ds_load_b128 v[42:45], v1 offset:1232
	s_wait_loadcnt_dscnt 0xa01
	v_mul_f64_e32 v[157:158], v[2:3], v[36:37]
	v_mul_f64_e32 v[36:37], v[4:5], v[36:37]
	s_wait_loadcnt_dscnt 0x800
	v_mul_f64_e32 v[151:152], v[42:43], v[141:142]
	v_add_f64_e32 v[147:148], v[147:148], v[155:156]
	v_add_f64_e32 v[149:150], v[149:150], v[153:154]
	v_mul_f64_e32 v[153:154], v[44:45], v[141:142]
	v_fma_f64 v[155:156], v[4:5], v[34:35], v[157:158]
	v_fma_f64 v[157:158], v[2:3], v[34:35], -v[36:37]
	ds_load_b128 v[2:5], v1 offset:1248
	scratch_load_b128 v[34:37], off, off offset:688
	v_fma_f64 v[44:45], v[44:45], v[139:140], v[151:152]
	v_add_f64_e32 v[147:148], v[147:148], v[143:144]
	v_add_f64_e32 v[145:146], v[149:150], v[145:146]
	ds_load_b128 v[141:144], v1 offset:1264
	v_fma_f64 v[139:140], v[42:43], v[139:140], -v[153:154]
	s_wait_loadcnt_dscnt 0x801
	v_mul_f64_e32 v[149:150], v[2:3], v[40:41]
	v_mul_f64_e32 v[159:160], v[4:5], v[40:41]
	scratch_load_b128 v[40:43], off, off offset:704
	s_wait_loadcnt_dscnt 0x800
	v_mul_f64_e32 v[151:152], v[141:142], v[8:9]
	v_mul_f64_e32 v[8:9], v[143:144], v[8:9]
	v_add_f64_e32 v[147:148], v[147:148], v[157:158]
	v_add_f64_e32 v[145:146], v[145:146], v[155:156]
	v_fma_f64 v[149:150], v[4:5], v[38:39], v[149:150]
	v_fma_f64 v[38:39], v[2:3], v[38:39], -v[159:160]
	v_fma_f64 v[143:144], v[143:144], v[6:7], v[151:152]
	v_fma_f64 v[6:7], v[141:142], v[6:7], -v[8:9]
	v_add_f64_e32 v[139:140], v[147:148], v[139:140]
	v_add_f64_e32 v[44:45], v[145:146], v[44:45]
	ds_load_b128 v[2:5], v1 offset:1280
	ds_load_b128 v[145:148], v1 offset:1296
	s_wait_loadcnt_dscnt 0x701
	v_mul_f64_e32 v[153:154], v[2:3], v[12:13]
	v_mul_f64_e32 v[12:13], v[4:5], v[12:13]
	v_add_f64_e32 v[8:9], v[139:140], v[38:39]
	v_add_f64_e32 v[38:39], v[44:45], v[149:150]
	s_wait_loadcnt_dscnt 0x600
	v_mul_f64_e32 v[44:45], v[145:146], v[16:17]
	v_mul_f64_e32 v[16:17], v[147:148], v[16:17]
	v_fma_f64 v[139:140], v[4:5], v[10:11], v[153:154]
	v_fma_f64 v[10:11], v[2:3], v[10:11], -v[12:13]
	v_add_f64_e32 v[12:13], v[8:9], v[6:7]
	v_add_f64_e32 v[38:39], v[38:39], v[143:144]
	ds_load_b128 v[2:5], v1 offset:1312
	ds_load_b128 v[6:9], v1 offset:1328
	v_fma_f64 v[44:45], v[147:148], v[14:15], v[44:45]
	v_fma_f64 v[14:15], v[145:146], v[14:15], -v[16:17]
	s_wait_loadcnt_dscnt 0x501
	v_mul_f64_e32 v[141:142], v[2:3], v[20:21]
	v_mul_f64_e32 v[20:21], v[4:5], v[20:21]
	s_wait_loadcnt_dscnt 0x400
	v_mul_f64_e32 v[16:17], v[6:7], v[24:25]
	v_mul_f64_e32 v[24:25], v[8:9], v[24:25]
	v_add_f64_e32 v[10:11], v[12:13], v[10:11]
	v_add_f64_e32 v[12:13], v[38:39], v[139:140]
	v_fma_f64 v[38:39], v[4:5], v[18:19], v[141:142]
	v_fma_f64 v[18:19], v[2:3], v[18:19], -v[20:21]
	v_fma_f64 v[8:9], v[8:9], v[22:23], v[16:17]
	v_fma_f64 v[6:7], v[6:7], v[22:23], -v[24:25]
	v_add_f64_e32 v[14:15], v[10:11], v[14:15]
	v_add_f64_e32 v[20:21], v[12:13], v[44:45]
	ds_load_b128 v[2:5], v1 offset:1344
	ds_load_b128 v[10:13], v1 offset:1360
	s_wait_loadcnt_dscnt 0x301
	v_mul_f64_e32 v[44:45], v[2:3], v[28:29]
	v_mul_f64_e32 v[28:29], v[4:5], v[28:29]
	v_add_f64_e32 v[14:15], v[14:15], v[18:19]
	v_add_f64_e32 v[16:17], v[20:21], v[38:39]
	s_wait_loadcnt_dscnt 0x200
	v_mul_f64_e32 v[18:19], v[10:11], v[32:33]
	v_mul_f64_e32 v[20:21], v[12:13], v[32:33]
	v_fma_f64 v[22:23], v[4:5], v[26:27], v[44:45]
	v_fma_f64 v[24:25], v[2:3], v[26:27], -v[28:29]
	v_add_f64_e32 v[14:15], v[14:15], v[6:7]
	v_add_f64_e32 v[16:17], v[16:17], v[8:9]
	ds_load_b128 v[2:5], v1 offset:1376
	ds_load_b128 v[6:9], v1 offset:1392
	v_fma_f64 v[12:13], v[12:13], v[30:31], v[18:19]
	v_fma_f64 v[10:11], v[10:11], v[30:31], -v[20:21]
	s_wait_loadcnt_dscnt 0x101
	v_mul_f64_e32 v[26:27], v[2:3], v[36:37]
	v_mul_f64_e32 v[28:29], v[4:5], v[36:37]
	s_wait_loadcnt_dscnt 0x0
	v_mul_f64_e32 v[18:19], v[6:7], v[42:43]
	v_add_f64_e32 v[14:15], v[14:15], v[24:25]
	v_add_f64_e32 v[16:17], v[16:17], v[22:23]
	v_mul_f64_e32 v[20:21], v[8:9], v[42:43]
	v_fma_f64 v[4:5], v[4:5], v[34:35], v[26:27]
	v_fma_f64 v[1:2], v[2:3], v[34:35], -v[28:29]
	v_fma_f64 v[8:9], v[8:9], v[40:41], v[18:19]
	v_add_f64_e32 v[10:11], v[14:15], v[10:11]
	v_add_f64_e32 v[12:13], v[16:17], v[12:13]
	v_fma_f64 v[6:7], v[6:7], v[40:41], -v[20:21]
	s_delay_alu instid0(VALU_DEP_3) | instskip(NEXT) | instid1(VALU_DEP_3)
	v_add_f64_e32 v[1:2], v[10:11], v[1:2]
	v_add_f64_e32 v[3:4], v[12:13], v[4:5]
	s_delay_alu instid0(VALU_DEP_2) | instskip(NEXT) | instid1(VALU_DEP_2)
	v_add_f64_e32 v[1:2], v[1:2], v[6:7]
	v_add_f64_e32 v[3:4], v[3:4], v[8:9]
	s_delay_alu instid0(VALU_DEP_2) | instskip(NEXT) | instid1(VALU_DEP_2)
	v_add_f64_e64 v[1:2], v[135:136], -v[1:2]
	v_add_f64_e64 v[3:4], v[137:138], -v[3:4]
	scratch_store_b128 off, v[1:4], off offset:384
	v_cmpx_lt_u32_e32 22, v0
	s_cbranch_execz .LBB43_233
; %bb.232:
	scratch_load_b128 v[1:4], off, s24
	v_mov_b32_e32 v5, 0
	s_delay_alu instid0(VALU_DEP_1)
	v_dual_mov_b32 v6, v5 :: v_dual_mov_b32 v7, v5
	v_mov_b32_e32 v8, v5
	scratch_store_b128 off, v[5:8], off offset:368
	s_wait_loadcnt 0x0
	ds_store_b128 v134, v[1:4]
.LBB43_233:
	s_wait_alu 0xfffe
	s_or_b32 exec_lo, exec_lo, s0
	s_wait_storecnt_dscnt 0x0
	s_barrier_signal -1
	s_barrier_wait -1
	global_inv scope:SCOPE_SE
	s_clause 0x7
	scratch_load_b128 v[2:5], off, off offset:384
	scratch_load_b128 v[6:9], off, off offset:400
	;; [unrolled: 1-line block ×8, first 2 shown]
	v_mov_b32_e32 v1, 0
	s_mov_b32 s0, exec_lo
	ds_load_b128 v[34:37], v1 offset:1072
	s_clause 0x1
	scratch_load_b128 v[38:41], off, off offset:512
	scratch_load_b128 v[42:45], off, off offset:368
	ds_load_b128 v[135:138], v1 offset:1088
	scratch_load_b128 v[139:142], off, off offset:528
	s_wait_loadcnt_dscnt 0xa01
	v_mul_f64_e32 v[143:144], v[36:37], v[4:5]
	v_mul_f64_e32 v[4:5], v[34:35], v[4:5]
	s_delay_alu instid0(VALU_DEP_2) | instskip(NEXT) | instid1(VALU_DEP_2)
	v_fma_f64 v[149:150], v[34:35], v[2:3], -v[143:144]
	v_fma_f64 v[151:152], v[36:37], v[2:3], v[4:5]
	ds_load_b128 v[2:5], v1 offset:1104
	s_wait_loadcnt_dscnt 0x901
	v_mul_f64_e32 v[147:148], v[135:136], v[8:9]
	v_mul_f64_e32 v[8:9], v[137:138], v[8:9]
	scratch_load_b128 v[34:37], off, off offset:544
	ds_load_b128 v[143:146], v1 offset:1120
	s_wait_loadcnt_dscnt 0x901
	v_mul_f64_e32 v[153:154], v[2:3], v[12:13]
	v_mul_f64_e32 v[12:13], v[4:5], v[12:13]
	v_fma_f64 v[137:138], v[137:138], v[6:7], v[147:148]
	v_fma_f64 v[135:136], v[135:136], v[6:7], -v[8:9]
	v_add_f64_e32 v[147:148], 0, v[149:150]
	v_add_f64_e32 v[149:150], 0, v[151:152]
	scratch_load_b128 v[6:9], off, off offset:560
	v_fma_f64 v[153:154], v[4:5], v[10:11], v[153:154]
	v_fma_f64 v[155:156], v[2:3], v[10:11], -v[12:13]
	ds_load_b128 v[2:5], v1 offset:1136
	s_wait_loadcnt_dscnt 0x901
	v_mul_f64_e32 v[151:152], v[143:144], v[16:17]
	v_mul_f64_e32 v[16:17], v[145:146], v[16:17]
	scratch_load_b128 v[10:13], off, off offset:576
	v_add_f64_e32 v[147:148], v[147:148], v[135:136]
	v_add_f64_e32 v[149:150], v[149:150], v[137:138]
	s_wait_loadcnt_dscnt 0x900
	v_mul_f64_e32 v[157:158], v[2:3], v[20:21]
	v_mul_f64_e32 v[20:21], v[4:5], v[20:21]
	ds_load_b128 v[135:138], v1 offset:1152
	v_fma_f64 v[145:146], v[145:146], v[14:15], v[151:152]
	v_fma_f64 v[143:144], v[143:144], v[14:15], -v[16:17]
	scratch_load_b128 v[14:17], off, off offset:592
	v_add_f64_e32 v[147:148], v[147:148], v[155:156]
	v_add_f64_e32 v[149:150], v[149:150], v[153:154]
	v_fma_f64 v[153:154], v[4:5], v[18:19], v[157:158]
	v_fma_f64 v[155:156], v[2:3], v[18:19], -v[20:21]
	ds_load_b128 v[2:5], v1 offset:1168
	s_wait_loadcnt_dscnt 0x901
	v_mul_f64_e32 v[151:152], v[135:136], v[24:25]
	v_mul_f64_e32 v[24:25], v[137:138], v[24:25]
	scratch_load_b128 v[18:21], off, off offset:608
	s_wait_loadcnt_dscnt 0x900
	v_mul_f64_e32 v[157:158], v[2:3], v[28:29]
	v_mul_f64_e32 v[28:29], v[4:5], v[28:29]
	v_add_f64_e32 v[147:148], v[147:148], v[143:144]
	v_add_f64_e32 v[149:150], v[149:150], v[145:146]
	ds_load_b128 v[143:146], v1 offset:1184
	v_fma_f64 v[137:138], v[137:138], v[22:23], v[151:152]
	v_fma_f64 v[135:136], v[135:136], v[22:23], -v[24:25]
	scratch_load_b128 v[22:25], off, off offset:624
	v_add_f64_e32 v[147:148], v[147:148], v[155:156]
	v_add_f64_e32 v[149:150], v[149:150], v[153:154]
	v_fma_f64 v[153:154], v[4:5], v[26:27], v[157:158]
	v_fma_f64 v[155:156], v[2:3], v[26:27], -v[28:29]
	ds_load_b128 v[2:5], v1 offset:1200
	s_wait_loadcnt_dscnt 0x901
	v_mul_f64_e32 v[151:152], v[143:144], v[32:33]
	v_mul_f64_e32 v[32:33], v[145:146], v[32:33]
	scratch_load_b128 v[26:29], off, off offset:640
	s_wait_loadcnt_dscnt 0x900
	v_mul_f64_e32 v[157:158], v[2:3], v[40:41]
	v_mul_f64_e32 v[40:41], v[4:5], v[40:41]
	v_add_f64_e32 v[147:148], v[147:148], v[135:136]
	v_add_f64_e32 v[149:150], v[149:150], v[137:138]
	ds_load_b128 v[135:138], v1 offset:1216
	v_fma_f64 v[145:146], v[145:146], v[30:31], v[151:152]
	v_fma_f64 v[143:144], v[143:144], v[30:31], -v[32:33]
	scratch_load_b128 v[30:33], off, off offset:656
	v_add_f64_e32 v[147:148], v[147:148], v[155:156]
	v_add_f64_e32 v[149:150], v[149:150], v[153:154]
	v_fma_f64 v[155:156], v[4:5], v[38:39], v[157:158]
	v_fma_f64 v[157:158], v[2:3], v[38:39], -v[40:41]
	ds_load_b128 v[2:5], v1 offset:1232
	s_wait_loadcnt_dscnt 0x801
	v_mul_f64_e32 v[151:152], v[135:136], v[141:142]
	v_mul_f64_e32 v[153:154], v[137:138], v[141:142]
	scratch_load_b128 v[38:41], off, off offset:672
	v_add_f64_e32 v[147:148], v[147:148], v[143:144]
	v_add_f64_e32 v[145:146], v[149:150], v[145:146]
	ds_load_b128 v[141:144], v1 offset:1248
	v_fma_f64 v[151:152], v[137:138], v[139:140], v[151:152]
	v_fma_f64 v[139:140], v[135:136], v[139:140], -v[153:154]
	scratch_load_b128 v[135:138], off, off offset:688
	s_wait_loadcnt_dscnt 0x901
	v_mul_f64_e32 v[149:150], v[2:3], v[36:37]
	v_mul_f64_e32 v[36:37], v[4:5], v[36:37]
	v_add_f64_e32 v[147:148], v[147:148], v[157:158]
	v_add_f64_e32 v[145:146], v[145:146], v[155:156]
	s_delay_alu instid0(VALU_DEP_4) | instskip(NEXT) | instid1(VALU_DEP_4)
	v_fma_f64 v[149:150], v[4:5], v[34:35], v[149:150]
	v_fma_f64 v[155:156], v[2:3], v[34:35], -v[36:37]
	ds_load_b128 v[2:5], v1 offset:1264
	s_wait_loadcnt_dscnt 0x801
	v_mul_f64_e32 v[153:154], v[141:142], v[8:9]
	v_mul_f64_e32 v[8:9], v[143:144], v[8:9]
	scratch_load_b128 v[34:37], off, off offset:704
	s_wait_loadcnt_dscnt 0x800
	v_mul_f64_e32 v[157:158], v[2:3], v[12:13]
	v_add_f64_e32 v[139:140], v[147:148], v[139:140]
	v_add_f64_e32 v[151:152], v[145:146], v[151:152]
	v_mul_f64_e32 v[12:13], v[4:5], v[12:13]
	ds_load_b128 v[145:148], v1 offset:1280
	v_fma_f64 v[143:144], v[143:144], v[6:7], v[153:154]
	v_fma_f64 v[6:7], v[141:142], v[6:7], -v[8:9]
	s_wait_loadcnt_dscnt 0x700
	v_mul_f64_e32 v[141:142], v[145:146], v[16:17]
	v_add_f64_e32 v[8:9], v[139:140], v[155:156]
	v_add_f64_e32 v[139:140], v[151:152], v[149:150]
	v_mul_f64_e32 v[16:17], v[147:148], v[16:17]
	v_fma_f64 v[149:150], v[4:5], v[10:11], v[157:158]
	v_fma_f64 v[10:11], v[2:3], v[10:11], -v[12:13]
	v_fma_f64 v[141:142], v[147:148], v[14:15], v[141:142]
	v_add_f64_e32 v[12:13], v[8:9], v[6:7]
	v_add_f64_e32 v[139:140], v[139:140], v[143:144]
	ds_load_b128 v[2:5], v1 offset:1296
	ds_load_b128 v[6:9], v1 offset:1312
	v_fma_f64 v[14:15], v[145:146], v[14:15], -v[16:17]
	s_wait_loadcnt_dscnt 0x601
	v_mul_f64_e32 v[143:144], v[2:3], v[20:21]
	v_mul_f64_e32 v[20:21], v[4:5], v[20:21]
	s_wait_loadcnt_dscnt 0x500
	v_mul_f64_e32 v[16:17], v[6:7], v[24:25]
	v_mul_f64_e32 v[24:25], v[8:9], v[24:25]
	v_add_f64_e32 v[10:11], v[12:13], v[10:11]
	v_add_f64_e32 v[12:13], v[139:140], v[149:150]
	v_fma_f64 v[139:140], v[4:5], v[18:19], v[143:144]
	v_fma_f64 v[18:19], v[2:3], v[18:19], -v[20:21]
	v_fma_f64 v[8:9], v[8:9], v[22:23], v[16:17]
	v_fma_f64 v[6:7], v[6:7], v[22:23], -v[24:25]
	v_add_f64_e32 v[14:15], v[10:11], v[14:15]
	v_add_f64_e32 v[20:21], v[12:13], v[141:142]
	ds_load_b128 v[2:5], v1 offset:1328
	ds_load_b128 v[10:13], v1 offset:1344
	s_wait_loadcnt_dscnt 0x401
	v_mul_f64_e32 v[141:142], v[2:3], v[28:29]
	v_mul_f64_e32 v[28:29], v[4:5], v[28:29]
	v_add_f64_e32 v[14:15], v[14:15], v[18:19]
	v_add_f64_e32 v[16:17], v[20:21], v[139:140]
	s_wait_loadcnt_dscnt 0x300
	v_mul_f64_e32 v[18:19], v[10:11], v[32:33]
	v_mul_f64_e32 v[20:21], v[12:13], v[32:33]
	v_fma_f64 v[22:23], v[4:5], v[26:27], v[141:142]
	v_fma_f64 v[24:25], v[2:3], v[26:27], -v[28:29]
	v_add_f64_e32 v[14:15], v[14:15], v[6:7]
	v_add_f64_e32 v[16:17], v[16:17], v[8:9]
	ds_load_b128 v[2:5], v1 offset:1360
	ds_load_b128 v[6:9], v1 offset:1376
	v_fma_f64 v[12:13], v[12:13], v[30:31], v[18:19]
	v_fma_f64 v[10:11], v[10:11], v[30:31], -v[20:21]
	s_wait_loadcnt_dscnt 0x201
	v_mul_f64_e32 v[26:27], v[2:3], v[40:41]
	v_mul_f64_e32 v[28:29], v[4:5], v[40:41]
	s_wait_loadcnt_dscnt 0x100
	v_mul_f64_e32 v[18:19], v[6:7], v[137:138]
	v_mul_f64_e32 v[20:21], v[8:9], v[137:138]
	v_add_f64_e32 v[14:15], v[14:15], v[24:25]
	v_add_f64_e32 v[16:17], v[16:17], v[22:23]
	v_fma_f64 v[22:23], v[4:5], v[38:39], v[26:27]
	v_fma_f64 v[24:25], v[2:3], v[38:39], -v[28:29]
	ds_load_b128 v[2:5], v1 offset:1392
	v_fma_f64 v[8:9], v[8:9], v[135:136], v[18:19]
	v_fma_f64 v[6:7], v[6:7], v[135:136], -v[20:21]
	v_add_f64_e32 v[10:11], v[14:15], v[10:11]
	v_add_f64_e32 v[12:13], v[16:17], v[12:13]
	s_wait_loadcnt_dscnt 0x0
	v_mul_f64_e32 v[14:15], v[2:3], v[36:37]
	v_mul_f64_e32 v[16:17], v[4:5], v[36:37]
	s_delay_alu instid0(VALU_DEP_4) | instskip(NEXT) | instid1(VALU_DEP_4)
	v_add_f64_e32 v[10:11], v[10:11], v[24:25]
	v_add_f64_e32 v[12:13], v[12:13], v[22:23]
	s_delay_alu instid0(VALU_DEP_4) | instskip(NEXT) | instid1(VALU_DEP_4)
	v_fma_f64 v[4:5], v[4:5], v[34:35], v[14:15]
	v_fma_f64 v[2:3], v[2:3], v[34:35], -v[16:17]
	s_delay_alu instid0(VALU_DEP_4) | instskip(NEXT) | instid1(VALU_DEP_4)
	v_add_f64_e32 v[6:7], v[10:11], v[6:7]
	v_add_f64_e32 v[8:9], v[12:13], v[8:9]
	s_delay_alu instid0(VALU_DEP_2) | instskip(NEXT) | instid1(VALU_DEP_2)
	v_add_f64_e32 v[2:3], v[6:7], v[2:3]
	v_add_f64_e32 v[4:5], v[8:9], v[4:5]
	s_delay_alu instid0(VALU_DEP_2) | instskip(NEXT) | instid1(VALU_DEP_2)
	v_add_f64_e64 v[2:3], v[42:43], -v[2:3]
	v_add_f64_e64 v[4:5], v[44:45], -v[4:5]
	scratch_store_b128 off, v[2:5], off offset:368
	v_cmpx_lt_u32_e32 21, v0
	s_cbranch_execz .LBB43_235
; %bb.234:
	scratch_load_b128 v[5:8], off, s23
	v_dual_mov_b32 v2, v1 :: v_dual_mov_b32 v3, v1
	v_mov_b32_e32 v4, v1
	scratch_store_b128 off, v[1:4], off offset:352
	s_wait_loadcnt 0x0
	ds_store_b128 v134, v[5:8]
.LBB43_235:
	s_wait_alu 0xfffe
	s_or_b32 exec_lo, exec_lo, s0
	s_wait_storecnt_dscnt 0x0
	s_barrier_signal -1
	s_barrier_wait -1
	global_inv scope:SCOPE_SE
	s_clause 0x8
	scratch_load_b128 v[2:5], off, off offset:368
	scratch_load_b128 v[6:9], off, off offset:384
	;; [unrolled: 1-line block ×9, first 2 shown]
	ds_load_b128 v[38:41], v1 offset:1056
	ds_load_b128 v[42:45], v1 offset:1072
	s_clause 0x1
	scratch_load_b128 v[135:138], off, off offset:352
	scratch_load_b128 v[139:142], off, off offset:512
	s_mov_b32 s0, exec_lo
	s_wait_loadcnt_dscnt 0xa01
	v_mul_f64_e32 v[143:144], v[40:41], v[4:5]
	v_mul_f64_e32 v[4:5], v[38:39], v[4:5]
	s_wait_loadcnt_dscnt 0x900
	v_mul_f64_e32 v[147:148], v[42:43], v[8:9]
	v_mul_f64_e32 v[8:9], v[44:45], v[8:9]
	s_delay_alu instid0(VALU_DEP_4) | instskip(NEXT) | instid1(VALU_DEP_4)
	v_fma_f64 v[149:150], v[38:39], v[2:3], -v[143:144]
	v_fma_f64 v[151:152], v[40:41], v[2:3], v[4:5]
	ds_load_b128 v[2:5], v1 offset:1088
	ds_load_b128 v[143:146], v1 offset:1104
	scratch_load_b128 v[38:41], off, off offset:528
	v_fma_f64 v[44:45], v[44:45], v[6:7], v[147:148]
	v_fma_f64 v[42:43], v[42:43], v[6:7], -v[8:9]
	scratch_load_b128 v[6:9], off, off offset:544
	s_wait_loadcnt_dscnt 0xa01
	v_mul_f64_e32 v[153:154], v[2:3], v[12:13]
	v_mul_f64_e32 v[12:13], v[4:5], v[12:13]
	v_add_f64_e32 v[147:148], 0, v[149:150]
	v_add_f64_e32 v[149:150], 0, v[151:152]
	s_wait_loadcnt_dscnt 0x900
	v_mul_f64_e32 v[151:152], v[143:144], v[16:17]
	v_mul_f64_e32 v[16:17], v[145:146], v[16:17]
	v_fma_f64 v[153:154], v[4:5], v[10:11], v[153:154]
	v_fma_f64 v[155:156], v[2:3], v[10:11], -v[12:13]
	ds_load_b128 v[2:5], v1 offset:1120
	scratch_load_b128 v[10:13], off, off offset:560
	v_add_f64_e32 v[147:148], v[147:148], v[42:43]
	v_add_f64_e32 v[149:150], v[149:150], v[44:45]
	ds_load_b128 v[42:45], v1 offset:1136
	v_fma_f64 v[145:146], v[145:146], v[14:15], v[151:152]
	v_fma_f64 v[143:144], v[143:144], v[14:15], -v[16:17]
	scratch_load_b128 v[14:17], off, off offset:576
	s_wait_loadcnt_dscnt 0xa01
	v_mul_f64_e32 v[157:158], v[2:3], v[20:21]
	v_mul_f64_e32 v[20:21], v[4:5], v[20:21]
	s_wait_loadcnt_dscnt 0x900
	v_mul_f64_e32 v[151:152], v[42:43], v[24:25]
	v_mul_f64_e32 v[24:25], v[44:45], v[24:25]
	v_add_f64_e32 v[147:148], v[147:148], v[155:156]
	v_add_f64_e32 v[149:150], v[149:150], v[153:154]
	v_fma_f64 v[153:154], v[4:5], v[18:19], v[157:158]
	v_fma_f64 v[155:156], v[2:3], v[18:19], -v[20:21]
	ds_load_b128 v[2:5], v1 offset:1152
	scratch_load_b128 v[18:21], off, off offset:592
	v_fma_f64 v[44:45], v[44:45], v[22:23], v[151:152]
	v_fma_f64 v[42:43], v[42:43], v[22:23], -v[24:25]
	scratch_load_b128 v[22:25], off, off offset:608
	v_add_f64_e32 v[147:148], v[147:148], v[143:144]
	v_add_f64_e32 v[149:150], v[149:150], v[145:146]
	ds_load_b128 v[143:146], v1 offset:1168
	s_wait_loadcnt_dscnt 0xa01
	v_mul_f64_e32 v[157:158], v[2:3], v[28:29]
	v_mul_f64_e32 v[28:29], v[4:5], v[28:29]
	s_wait_loadcnt_dscnt 0x900
	v_mul_f64_e32 v[151:152], v[143:144], v[32:33]
	v_mul_f64_e32 v[32:33], v[145:146], v[32:33]
	v_add_f64_e32 v[147:148], v[147:148], v[155:156]
	v_add_f64_e32 v[149:150], v[149:150], v[153:154]
	v_fma_f64 v[153:154], v[4:5], v[26:27], v[157:158]
	v_fma_f64 v[155:156], v[2:3], v[26:27], -v[28:29]
	ds_load_b128 v[2:5], v1 offset:1184
	scratch_load_b128 v[26:29], off, off offset:624
	v_fma_f64 v[145:146], v[145:146], v[30:31], v[151:152]
	v_fma_f64 v[143:144], v[143:144], v[30:31], -v[32:33]
	scratch_load_b128 v[30:33], off, off offset:640
	v_add_f64_e32 v[147:148], v[147:148], v[42:43]
	v_add_f64_e32 v[149:150], v[149:150], v[44:45]
	ds_load_b128 v[42:45], v1 offset:1200
	s_wait_loadcnt_dscnt 0xa01
	v_mul_f64_e32 v[157:158], v[2:3], v[36:37]
	v_mul_f64_e32 v[36:37], v[4:5], v[36:37]
	s_wait_loadcnt_dscnt 0x800
	v_mul_f64_e32 v[151:152], v[42:43], v[141:142]
	v_add_f64_e32 v[147:148], v[147:148], v[155:156]
	v_add_f64_e32 v[149:150], v[149:150], v[153:154]
	v_mul_f64_e32 v[153:154], v[44:45], v[141:142]
	v_fma_f64 v[155:156], v[4:5], v[34:35], v[157:158]
	v_fma_f64 v[157:158], v[2:3], v[34:35], -v[36:37]
	ds_load_b128 v[2:5], v1 offset:1216
	scratch_load_b128 v[34:37], off, off offset:656
	v_fma_f64 v[44:45], v[44:45], v[139:140], v[151:152]
	v_add_f64_e32 v[147:148], v[147:148], v[143:144]
	v_add_f64_e32 v[145:146], v[149:150], v[145:146]
	ds_load_b128 v[141:144], v1 offset:1232
	v_fma_f64 v[139:140], v[42:43], v[139:140], -v[153:154]
	s_wait_loadcnt_dscnt 0x801
	v_mul_f64_e32 v[149:150], v[2:3], v[40:41]
	v_mul_f64_e32 v[159:160], v[4:5], v[40:41]
	scratch_load_b128 v[40:43], off, off offset:672
	s_wait_loadcnt_dscnt 0x800
	v_mul_f64_e32 v[153:154], v[141:142], v[8:9]
	v_mul_f64_e32 v[8:9], v[143:144], v[8:9]
	v_add_f64_e32 v[147:148], v[147:148], v[157:158]
	v_add_f64_e32 v[145:146], v[145:146], v[155:156]
	v_fma_f64 v[155:156], v[4:5], v[38:39], v[149:150]
	v_fma_f64 v[38:39], v[2:3], v[38:39], -v[159:160]
	ds_load_b128 v[2:5], v1 offset:1248
	ds_load_b128 v[149:152], v1 offset:1264
	v_fma_f64 v[143:144], v[143:144], v[6:7], v[153:154]
	v_fma_f64 v[141:142], v[141:142], v[6:7], -v[8:9]
	scratch_load_b128 v[6:9], off, off offset:704
	v_add_f64_e32 v[139:140], v[147:148], v[139:140]
	v_add_f64_e32 v[44:45], v[145:146], v[44:45]
	scratch_load_b128 v[145:148], off, off offset:688
	s_wait_loadcnt_dscnt 0x901
	v_mul_f64_e32 v[157:158], v[2:3], v[12:13]
	v_mul_f64_e32 v[12:13], v[4:5], v[12:13]
	v_add_f64_e32 v[38:39], v[139:140], v[38:39]
	v_add_f64_e32 v[44:45], v[44:45], v[155:156]
	s_wait_loadcnt_dscnt 0x800
	v_mul_f64_e32 v[139:140], v[149:150], v[16:17]
	v_mul_f64_e32 v[16:17], v[151:152], v[16:17]
	v_fma_f64 v[153:154], v[4:5], v[10:11], v[157:158]
	v_fma_f64 v[155:156], v[2:3], v[10:11], -v[12:13]
	ds_load_b128 v[2:5], v1 offset:1280
	ds_load_b128 v[10:13], v1 offset:1296
	v_add_f64_e32 v[38:39], v[38:39], v[141:142]
	v_add_f64_e32 v[44:45], v[44:45], v[143:144]
	s_wait_loadcnt_dscnt 0x701
	v_mul_f64_e32 v[141:142], v[2:3], v[20:21]
	v_mul_f64_e32 v[20:21], v[4:5], v[20:21]
	v_fma_f64 v[139:140], v[151:152], v[14:15], v[139:140]
	v_fma_f64 v[14:15], v[149:150], v[14:15], -v[16:17]
	v_add_f64_e32 v[16:17], v[38:39], v[155:156]
	v_add_f64_e32 v[38:39], v[44:45], v[153:154]
	s_wait_loadcnt_dscnt 0x600
	v_mul_f64_e32 v[44:45], v[10:11], v[24:25]
	v_mul_f64_e32 v[24:25], v[12:13], v[24:25]
	v_fma_f64 v[141:142], v[4:5], v[18:19], v[141:142]
	v_fma_f64 v[18:19], v[2:3], v[18:19], -v[20:21]
	v_add_f64_e32 v[20:21], v[16:17], v[14:15]
	v_add_f64_e32 v[38:39], v[38:39], v[139:140]
	ds_load_b128 v[2:5], v1 offset:1312
	ds_load_b128 v[14:17], v1 offset:1328
	v_fma_f64 v[12:13], v[12:13], v[22:23], v[44:45]
	v_fma_f64 v[10:11], v[10:11], v[22:23], -v[24:25]
	s_wait_loadcnt_dscnt 0x501
	v_mul_f64_e32 v[139:140], v[2:3], v[28:29]
	v_mul_f64_e32 v[28:29], v[4:5], v[28:29]
	s_wait_loadcnt_dscnt 0x400
	v_mul_f64_e32 v[22:23], v[14:15], v[32:33]
	v_mul_f64_e32 v[24:25], v[16:17], v[32:33]
	v_add_f64_e32 v[18:19], v[20:21], v[18:19]
	v_add_f64_e32 v[20:21], v[38:39], v[141:142]
	v_fma_f64 v[32:33], v[4:5], v[26:27], v[139:140]
	v_fma_f64 v[26:27], v[2:3], v[26:27], -v[28:29]
	v_fma_f64 v[16:17], v[16:17], v[30:31], v[22:23]
	v_fma_f64 v[14:15], v[14:15], v[30:31], -v[24:25]
	v_add_f64_e32 v[18:19], v[18:19], v[10:11]
	v_add_f64_e32 v[20:21], v[20:21], v[12:13]
	ds_load_b128 v[2:5], v1 offset:1344
	ds_load_b128 v[10:13], v1 offset:1360
	s_wait_loadcnt_dscnt 0x301
	v_mul_f64_e32 v[28:29], v[2:3], v[36:37]
	v_mul_f64_e32 v[36:37], v[4:5], v[36:37]
	s_wait_loadcnt_dscnt 0x200
	v_mul_f64_e32 v[22:23], v[10:11], v[42:43]
	v_add_f64_e32 v[18:19], v[18:19], v[26:27]
	v_add_f64_e32 v[20:21], v[20:21], v[32:33]
	v_mul_f64_e32 v[24:25], v[12:13], v[42:43]
	v_fma_f64 v[26:27], v[4:5], v[34:35], v[28:29]
	v_fma_f64 v[28:29], v[2:3], v[34:35], -v[36:37]
	v_fma_f64 v[12:13], v[12:13], v[40:41], v[22:23]
	v_add_f64_e32 v[18:19], v[18:19], v[14:15]
	v_add_f64_e32 v[20:21], v[20:21], v[16:17]
	ds_load_b128 v[2:5], v1 offset:1376
	ds_load_b128 v[14:17], v1 offset:1392
	v_fma_f64 v[10:11], v[10:11], v[40:41], -v[24:25]
	s_wait_loadcnt_dscnt 0x1
	v_mul_f64_e32 v[30:31], v[2:3], v[147:148]
	v_mul_f64_e32 v[32:33], v[4:5], v[147:148]
	s_wait_dscnt 0x0
	v_mul_f64_e32 v[22:23], v[14:15], v[8:9]
	v_mul_f64_e32 v[8:9], v[16:17], v[8:9]
	v_add_f64_e32 v[18:19], v[18:19], v[28:29]
	v_add_f64_e32 v[20:21], v[20:21], v[26:27]
	v_fma_f64 v[4:5], v[4:5], v[145:146], v[30:31]
	v_fma_f64 v[1:2], v[2:3], v[145:146], -v[32:33]
	v_fma_f64 v[16:17], v[16:17], v[6:7], v[22:23]
	v_fma_f64 v[6:7], v[14:15], v[6:7], -v[8:9]
	v_add_f64_e32 v[10:11], v[18:19], v[10:11]
	v_add_f64_e32 v[12:13], v[20:21], v[12:13]
	s_delay_alu instid0(VALU_DEP_2) | instskip(NEXT) | instid1(VALU_DEP_2)
	v_add_f64_e32 v[1:2], v[10:11], v[1:2]
	v_add_f64_e32 v[3:4], v[12:13], v[4:5]
	s_delay_alu instid0(VALU_DEP_2) | instskip(NEXT) | instid1(VALU_DEP_2)
	;; [unrolled: 3-line block ×3, first 2 shown]
	v_add_f64_e64 v[1:2], v[135:136], -v[1:2]
	v_add_f64_e64 v[3:4], v[137:138], -v[3:4]
	scratch_store_b128 off, v[1:4], off offset:352
	v_cmpx_lt_u32_e32 20, v0
	s_cbranch_execz .LBB43_237
; %bb.236:
	scratch_load_b128 v[1:4], off, s26
	v_mov_b32_e32 v5, 0
	s_delay_alu instid0(VALU_DEP_1)
	v_dual_mov_b32 v6, v5 :: v_dual_mov_b32 v7, v5
	v_mov_b32_e32 v8, v5
	scratch_store_b128 off, v[5:8], off offset:336
	s_wait_loadcnt 0x0
	ds_store_b128 v134, v[1:4]
.LBB43_237:
	s_wait_alu 0xfffe
	s_or_b32 exec_lo, exec_lo, s0
	s_wait_storecnt_dscnt 0x0
	s_barrier_signal -1
	s_barrier_wait -1
	global_inv scope:SCOPE_SE
	s_clause 0x7
	scratch_load_b128 v[2:5], off, off offset:352
	scratch_load_b128 v[6:9], off, off offset:368
	;; [unrolled: 1-line block ×8, first 2 shown]
	v_mov_b32_e32 v1, 0
	s_mov_b32 s0, exec_lo
	ds_load_b128 v[34:37], v1 offset:1040
	s_clause 0x1
	scratch_load_b128 v[38:41], off, off offset:480
	scratch_load_b128 v[42:45], off, off offset:336
	ds_load_b128 v[135:138], v1 offset:1056
	scratch_load_b128 v[139:142], off, off offset:496
	s_wait_loadcnt_dscnt 0xa01
	v_mul_f64_e32 v[143:144], v[36:37], v[4:5]
	v_mul_f64_e32 v[4:5], v[34:35], v[4:5]
	s_delay_alu instid0(VALU_DEP_2) | instskip(NEXT) | instid1(VALU_DEP_2)
	v_fma_f64 v[149:150], v[34:35], v[2:3], -v[143:144]
	v_fma_f64 v[151:152], v[36:37], v[2:3], v[4:5]
	ds_load_b128 v[2:5], v1 offset:1072
	s_wait_loadcnt_dscnt 0x901
	v_mul_f64_e32 v[147:148], v[135:136], v[8:9]
	v_mul_f64_e32 v[8:9], v[137:138], v[8:9]
	scratch_load_b128 v[34:37], off, off offset:512
	ds_load_b128 v[143:146], v1 offset:1088
	s_wait_loadcnt_dscnt 0x901
	v_mul_f64_e32 v[153:154], v[2:3], v[12:13]
	v_mul_f64_e32 v[12:13], v[4:5], v[12:13]
	v_fma_f64 v[137:138], v[137:138], v[6:7], v[147:148]
	v_fma_f64 v[135:136], v[135:136], v[6:7], -v[8:9]
	v_add_f64_e32 v[147:148], 0, v[149:150]
	v_add_f64_e32 v[149:150], 0, v[151:152]
	scratch_load_b128 v[6:9], off, off offset:528
	v_fma_f64 v[153:154], v[4:5], v[10:11], v[153:154]
	v_fma_f64 v[155:156], v[2:3], v[10:11], -v[12:13]
	ds_load_b128 v[2:5], v1 offset:1104
	s_wait_loadcnt_dscnt 0x901
	v_mul_f64_e32 v[151:152], v[143:144], v[16:17]
	v_mul_f64_e32 v[16:17], v[145:146], v[16:17]
	scratch_load_b128 v[10:13], off, off offset:544
	v_add_f64_e32 v[147:148], v[147:148], v[135:136]
	v_add_f64_e32 v[149:150], v[149:150], v[137:138]
	s_wait_loadcnt_dscnt 0x900
	v_mul_f64_e32 v[157:158], v[2:3], v[20:21]
	v_mul_f64_e32 v[20:21], v[4:5], v[20:21]
	ds_load_b128 v[135:138], v1 offset:1120
	v_fma_f64 v[145:146], v[145:146], v[14:15], v[151:152]
	v_fma_f64 v[143:144], v[143:144], v[14:15], -v[16:17]
	scratch_load_b128 v[14:17], off, off offset:560
	v_add_f64_e32 v[147:148], v[147:148], v[155:156]
	v_add_f64_e32 v[149:150], v[149:150], v[153:154]
	v_fma_f64 v[153:154], v[4:5], v[18:19], v[157:158]
	v_fma_f64 v[155:156], v[2:3], v[18:19], -v[20:21]
	ds_load_b128 v[2:5], v1 offset:1136
	s_wait_loadcnt_dscnt 0x901
	v_mul_f64_e32 v[151:152], v[135:136], v[24:25]
	v_mul_f64_e32 v[24:25], v[137:138], v[24:25]
	scratch_load_b128 v[18:21], off, off offset:576
	s_wait_loadcnt_dscnt 0x900
	v_mul_f64_e32 v[157:158], v[2:3], v[28:29]
	v_mul_f64_e32 v[28:29], v[4:5], v[28:29]
	v_add_f64_e32 v[147:148], v[147:148], v[143:144]
	v_add_f64_e32 v[149:150], v[149:150], v[145:146]
	ds_load_b128 v[143:146], v1 offset:1152
	v_fma_f64 v[137:138], v[137:138], v[22:23], v[151:152]
	v_fma_f64 v[135:136], v[135:136], v[22:23], -v[24:25]
	scratch_load_b128 v[22:25], off, off offset:592
	v_add_f64_e32 v[147:148], v[147:148], v[155:156]
	v_add_f64_e32 v[149:150], v[149:150], v[153:154]
	v_fma_f64 v[153:154], v[4:5], v[26:27], v[157:158]
	v_fma_f64 v[155:156], v[2:3], v[26:27], -v[28:29]
	ds_load_b128 v[2:5], v1 offset:1168
	s_wait_loadcnt_dscnt 0x901
	v_mul_f64_e32 v[151:152], v[143:144], v[32:33]
	v_mul_f64_e32 v[32:33], v[145:146], v[32:33]
	scratch_load_b128 v[26:29], off, off offset:608
	s_wait_loadcnt_dscnt 0x900
	v_mul_f64_e32 v[157:158], v[2:3], v[40:41]
	v_mul_f64_e32 v[40:41], v[4:5], v[40:41]
	v_add_f64_e32 v[147:148], v[147:148], v[135:136]
	v_add_f64_e32 v[149:150], v[149:150], v[137:138]
	ds_load_b128 v[135:138], v1 offset:1184
	v_fma_f64 v[145:146], v[145:146], v[30:31], v[151:152]
	v_fma_f64 v[143:144], v[143:144], v[30:31], -v[32:33]
	scratch_load_b128 v[30:33], off, off offset:624
	v_add_f64_e32 v[147:148], v[147:148], v[155:156]
	v_add_f64_e32 v[149:150], v[149:150], v[153:154]
	v_fma_f64 v[155:156], v[4:5], v[38:39], v[157:158]
	v_fma_f64 v[157:158], v[2:3], v[38:39], -v[40:41]
	ds_load_b128 v[2:5], v1 offset:1200
	s_wait_loadcnt_dscnt 0x801
	v_mul_f64_e32 v[151:152], v[135:136], v[141:142]
	v_mul_f64_e32 v[153:154], v[137:138], v[141:142]
	scratch_load_b128 v[38:41], off, off offset:640
	v_add_f64_e32 v[147:148], v[147:148], v[143:144]
	v_add_f64_e32 v[145:146], v[149:150], v[145:146]
	ds_load_b128 v[141:144], v1 offset:1216
	v_fma_f64 v[151:152], v[137:138], v[139:140], v[151:152]
	v_fma_f64 v[139:140], v[135:136], v[139:140], -v[153:154]
	scratch_load_b128 v[135:138], off, off offset:656
	s_wait_loadcnt_dscnt 0x901
	v_mul_f64_e32 v[149:150], v[2:3], v[36:37]
	v_mul_f64_e32 v[36:37], v[4:5], v[36:37]
	v_add_f64_e32 v[147:148], v[147:148], v[157:158]
	v_add_f64_e32 v[145:146], v[145:146], v[155:156]
	s_delay_alu instid0(VALU_DEP_4) | instskip(NEXT) | instid1(VALU_DEP_4)
	v_fma_f64 v[149:150], v[4:5], v[34:35], v[149:150]
	v_fma_f64 v[155:156], v[2:3], v[34:35], -v[36:37]
	ds_load_b128 v[2:5], v1 offset:1232
	s_wait_loadcnt_dscnt 0x801
	v_mul_f64_e32 v[153:154], v[141:142], v[8:9]
	v_mul_f64_e32 v[8:9], v[143:144], v[8:9]
	scratch_load_b128 v[34:37], off, off offset:672
	s_wait_loadcnt_dscnt 0x800
	v_mul_f64_e32 v[157:158], v[2:3], v[12:13]
	v_add_f64_e32 v[139:140], v[147:148], v[139:140]
	v_add_f64_e32 v[151:152], v[145:146], v[151:152]
	v_mul_f64_e32 v[12:13], v[4:5], v[12:13]
	ds_load_b128 v[145:148], v1 offset:1248
	v_fma_f64 v[143:144], v[143:144], v[6:7], v[153:154]
	v_fma_f64 v[141:142], v[141:142], v[6:7], -v[8:9]
	scratch_load_b128 v[6:9], off, off offset:688
	v_fma_f64 v[153:154], v[4:5], v[10:11], v[157:158]
	v_add_f64_e32 v[139:140], v[139:140], v[155:156]
	v_add_f64_e32 v[149:150], v[151:152], v[149:150]
	v_fma_f64 v[155:156], v[2:3], v[10:11], -v[12:13]
	ds_load_b128 v[2:5], v1 offset:1264
	s_wait_loadcnt_dscnt 0x801
	v_mul_f64_e32 v[151:152], v[145:146], v[16:17]
	v_mul_f64_e32 v[16:17], v[147:148], v[16:17]
	scratch_load_b128 v[10:13], off, off offset:704
	v_add_f64_e32 v[157:158], v[139:140], v[141:142]
	v_add_f64_e32 v[143:144], v[149:150], v[143:144]
	s_wait_loadcnt_dscnt 0x800
	v_mul_f64_e32 v[149:150], v[2:3], v[20:21]
	v_mul_f64_e32 v[20:21], v[4:5], v[20:21]
	v_fma_f64 v[147:148], v[147:148], v[14:15], v[151:152]
	v_fma_f64 v[14:15], v[145:146], v[14:15], -v[16:17]
	ds_load_b128 v[139:142], v1 offset:1280
	s_wait_loadcnt_dscnt 0x700
	v_mul_f64_e32 v[145:146], v[139:140], v[24:25]
	v_mul_f64_e32 v[24:25], v[141:142], v[24:25]
	v_add_f64_e32 v[16:17], v[157:158], v[155:156]
	v_add_f64_e32 v[143:144], v[143:144], v[153:154]
	v_fma_f64 v[149:150], v[4:5], v[18:19], v[149:150]
	v_fma_f64 v[18:19], v[2:3], v[18:19], -v[20:21]
	v_fma_f64 v[141:142], v[141:142], v[22:23], v[145:146]
	v_fma_f64 v[22:23], v[139:140], v[22:23], -v[24:25]
	v_add_f64_e32 v[20:21], v[16:17], v[14:15]
	v_add_f64_e32 v[143:144], v[143:144], v[147:148]
	ds_load_b128 v[2:5], v1 offset:1296
	ds_load_b128 v[14:17], v1 offset:1312
	s_wait_loadcnt_dscnt 0x601
	v_mul_f64_e32 v[147:148], v[2:3], v[28:29]
	v_mul_f64_e32 v[28:29], v[4:5], v[28:29]
	s_wait_loadcnt_dscnt 0x500
	v_mul_f64_e32 v[24:25], v[14:15], v[32:33]
	v_mul_f64_e32 v[32:33], v[16:17], v[32:33]
	v_add_f64_e32 v[18:19], v[20:21], v[18:19]
	v_add_f64_e32 v[20:21], v[143:144], v[149:150]
	v_fma_f64 v[139:140], v[4:5], v[26:27], v[147:148]
	v_fma_f64 v[26:27], v[2:3], v[26:27], -v[28:29]
	v_fma_f64 v[16:17], v[16:17], v[30:31], v[24:25]
	v_fma_f64 v[14:15], v[14:15], v[30:31], -v[32:33]
	v_add_f64_e32 v[22:23], v[18:19], v[22:23]
	v_add_f64_e32 v[28:29], v[20:21], v[141:142]
	ds_load_b128 v[2:5], v1 offset:1328
	ds_load_b128 v[18:21], v1 offset:1344
	s_wait_loadcnt_dscnt 0x401
	v_mul_f64_e32 v[141:142], v[2:3], v[40:41]
	v_mul_f64_e32 v[40:41], v[4:5], v[40:41]
	v_add_f64_e32 v[22:23], v[22:23], v[26:27]
	v_add_f64_e32 v[24:25], v[28:29], v[139:140]
	s_wait_loadcnt_dscnt 0x300
	v_mul_f64_e32 v[26:27], v[18:19], v[137:138]
	v_mul_f64_e32 v[28:29], v[20:21], v[137:138]
	v_fma_f64 v[30:31], v[4:5], v[38:39], v[141:142]
	v_fma_f64 v[32:33], v[2:3], v[38:39], -v[40:41]
	v_add_f64_e32 v[22:23], v[22:23], v[14:15]
	v_add_f64_e32 v[24:25], v[24:25], v[16:17]
	ds_load_b128 v[2:5], v1 offset:1360
	ds_load_b128 v[14:17], v1 offset:1376
	v_fma_f64 v[20:21], v[20:21], v[135:136], v[26:27]
	v_fma_f64 v[18:19], v[18:19], v[135:136], -v[28:29]
	s_wait_loadcnt_dscnt 0x201
	v_mul_f64_e32 v[38:39], v[2:3], v[36:37]
	v_mul_f64_e32 v[36:37], v[4:5], v[36:37]
	s_wait_loadcnt_dscnt 0x100
	v_mul_f64_e32 v[26:27], v[14:15], v[8:9]
	v_mul_f64_e32 v[8:9], v[16:17], v[8:9]
	v_add_f64_e32 v[22:23], v[22:23], v[32:33]
	v_add_f64_e32 v[24:25], v[24:25], v[30:31]
	v_fma_f64 v[28:29], v[4:5], v[34:35], v[38:39]
	v_fma_f64 v[30:31], v[2:3], v[34:35], -v[36:37]
	ds_load_b128 v[2:5], v1 offset:1392
	v_fma_f64 v[16:17], v[16:17], v[6:7], v[26:27]
	v_fma_f64 v[6:7], v[14:15], v[6:7], -v[8:9]
	v_add_f64_e32 v[18:19], v[22:23], v[18:19]
	v_add_f64_e32 v[20:21], v[24:25], v[20:21]
	s_wait_loadcnt_dscnt 0x0
	v_mul_f64_e32 v[22:23], v[2:3], v[12:13]
	v_mul_f64_e32 v[12:13], v[4:5], v[12:13]
	s_delay_alu instid0(VALU_DEP_4) | instskip(NEXT) | instid1(VALU_DEP_4)
	v_add_f64_e32 v[8:9], v[18:19], v[30:31]
	v_add_f64_e32 v[14:15], v[20:21], v[28:29]
	s_delay_alu instid0(VALU_DEP_4) | instskip(NEXT) | instid1(VALU_DEP_4)
	v_fma_f64 v[4:5], v[4:5], v[10:11], v[22:23]
	v_fma_f64 v[2:3], v[2:3], v[10:11], -v[12:13]
	s_delay_alu instid0(VALU_DEP_4) | instskip(NEXT) | instid1(VALU_DEP_4)
	v_add_f64_e32 v[6:7], v[8:9], v[6:7]
	v_add_f64_e32 v[8:9], v[14:15], v[16:17]
	s_delay_alu instid0(VALU_DEP_2) | instskip(NEXT) | instid1(VALU_DEP_2)
	v_add_f64_e32 v[2:3], v[6:7], v[2:3]
	v_add_f64_e32 v[4:5], v[8:9], v[4:5]
	s_delay_alu instid0(VALU_DEP_2) | instskip(NEXT) | instid1(VALU_DEP_2)
	v_add_f64_e64 v[2:3], v[42:43], -v[2:3]
	v_add_f64_e64 v[4:5], v[44:45], -v[4:5]
	scratch_store_b128 off, v[2:5], off offset:336
	v_cmpx_lt_u32_e32 19, v0
	s_cbranch_execz .LBB43_239
; %bb.238:
	scratch_load_b128 v[5:8], off, s25
	v_dual_mov_b32 v2, v1 :: v_dual_mov_b32 v3, v1
	v_mov_b32_e32 v4, v1
	scratch_store_b128 off, v[1:4], off offset:320
	s_wait_loadcnt 0x0
	ds_store_b128 v134, v[5:8]
.LBB43_239:
	s_wait_alu 0xfffe
	s_or_b32 exec_lo, exec_lo, s0
	s_wait_storecnt_dscnt 0x0
	s_barrier_signal -1
	s_barrier_wait -1
	global_inv scope:SCOPE_SE
	s_clause 0x8
	scratch_load_b128 v[2:5], off, off offset:336
	scratch_load_b128 v[6:9], off, off offset:352
	;; [unrolled: 1-line block ×9, first 2 shown]
	ds_load_b128 v[38:41], v1 offset:1024
	ds_load_b128 v[42:45], v1 offset:1040
	s_clause 0x1
	scratch_load_b128 v[135:138], off, off offset:320
	scratch_load_b128 v[139:142], off, off offset:480
	s_mov_b32 s0, exec_lo
	s_wait_loadcnt_dscnt 0xa01
	v_mul_f64_e32 v[143:144], v[40:41], v[4:5]
	v_mul_f64_e32 v[4:5], v[38:39], v[4:5]
	s_wait_loadcnt_dscnt 0x900
	v_mul_f64_e32 v[147:148], v[42:43], v[8:9]
	v_mul_f64_e32 v[8:9], v[44:45], v[8:9]
	s_delay_alu instid0(VALU_DEP_4) | instskip(NEXT) | instid1(VALU_DEP_4)
	v_fma_f64 v[149:150], v[38:39], v[2:3], -v[143:144]
	v_fma_f64 v[151:152], v[40:41], v[2:3], v[4:5]
	ds_load_b128 v[2:5], v1 offset:1056
	ds_load_b128 v[143:146], v1 offset:1072
	scratch_load_b128 v[38:41], off, off offset:496
	v_fma_f64 v[44:45], v[44:45], v[6:7], v[147:148]
	v_fma_f64 v[42:43], v[42:43], v[6:7], -v[8:9]
	scratch_load_b128 v[6:9], off, off offset:512
	s_wait_loadcnt_dscnt 0xa01
	v_mul_f64_e32 v[153:154], v[2:3], v[12:13]
	v_mul_f64_e32 v[12:13], v[4:5], v[12:13]
	v_add_f64_e32 v[147:148], 0, v[149:150]
	v_add_f64_e32 v[149:150], 0, v[151:152]
	s_wait_loadcnt_dscnt 0x900
	v_mul_f64_e32 v[151:152], v[143:144], v[16:17]
	v_mul_f64_e32 v[16:17], v[145:146], v[16:17]
	v_fma_f64 v[153:154], v[4:5], v[10:11], v[153:154]
	v_fma_f64 v[155:156], v[2:3], v[10:11], -v[12:13]
	ds_load_b128 v[2:5], v1 offset:1088
	scratch_load_b128 v[10:13], off, off offset:528
	v_add_f64_e32 v[147:148], v[147:148], v[42:43]
	v_add_f64_e32 v[149:150], v[149:150], v[44:45]
	ds_load_b128 v[42:45], v1 offset:1104
	v_fma_f64 v[145:146], v[145:146], v[14:15], v[151:152]
	v_fma_f64 v[143:144], v[143:144], v[14:15], -v[16:17]
	scratch_load_b128 v[14:17], off, off offset:544
	s_wait_loadcnt_dscnt 0xa01
	v_mul_f64_e32 v[157:158], v[2:3], v[20:21]
	v_mul_f64_e32 v[20:21], v[4:5], v[20:21]
	s_wait_loadcnt_dscnt 0x900
	v_mul_f64_e32 v[151:152], v[42:43], v[24:25]
	v_mul_f64_e32 v[24:25], v[44:45], v[24:25]
	v_add_f64_e32 v[147:148], v[147:148], v[155:156]
	v_add_f64_e32 v[149:150], v[149:150], v[153:154]
	v_fma_f64 v[153:154], v[4:5], v[18:19], v[157:158]
	v_fma_f64 v[155:156], v[2:3], v[18:19], -v[20:21]
	ds_load_b128 v[2:5], v1 offset:1120
	scratch_load_b128 v[18:21], off, off offset:560
	v_fma_f64 v[44:45], v[44:45], v[22:23], v[151:152]
	v_fma_f64 v[42:43], v[42:43], v[22:23], -v[24:25]
	scratch_load_b128 v[22:25], off, off offset:576
	v_add_f64_e32 v[147:148], v[147:148], v[143:144]
	v_add_f64_e32 v[149:150], v[149:150], v[145:146]
	ds_load_b128 v[143:146], v1 offset:1136
	s_wait_loadcnt_dscnt 0xa01
	v_mul_f64_e32 v[157:158], v[2:3], v[28:29]
	v_mul_f64_e32 v[28:29], v[4:5], v[28:29]
	s_wait_loadcnt_dscnt 0x900
	v_mul_f64_e32 v[151:152], v[143:144], v[32:33]
	v_mul_f64_e32 v[32:33], v[145:146], v[32:33]
	v_add_f64_e32 v[147:148], v[147:148], v[155:156]
	v_add_f64_e32 v[149:150], v[149:150], v[153:154]
	v_fma_f64 v[153:154], v[4:5], v[26:27], v[157:158]
	v_fma_f64 v[155:156], v[2:3], v[26:27], -v[28:29]
	ds_load_b128 v[2:5], v1 offset:1152
	scratch_load_b128 v[26:29], off, off offset:592
	v_fma_f64 v[145:146], v[145:146], v[30:31], v[151:152]
	v_fma_f64 v[143:144], v[143:144], v[30:31], -v[32:33]
	scratch_load_b128 v[30:33], off, off offset:608
	v_add_f64_e32 v[147:148], v[147:148], v[42:43]
	v_add_f64_e32 v[149:150], v[149:150], v[44:45]
	ds_load_b128 v[42:45], v1 offset:1168
	s_wait_loadcnt_dscnt 0xa01
	v_mul_f64_e32 v[157:158], v[2:3], v[36:37]
	v_mul_f64_e32 v[36:37], v[4:5], v[36:37]
	s_wait_loadcnt_dscnt 0x800
	v_mul_f64_e32 v[151:152], v[42:43], v[141:142]
	v_add_f64_e32 v[147:148], v[147:148], v[155:156]
	v_add_f64_e32 v[149:150], v[149:150], v[153:154]
	v_mul_f64_e32 v[153:154], v[44:45], v[141:142]
	v_fma_f64 v[155:156], v[4:5], v[34:35], v[157:158]
	v_fma_f64 v[157:158], v[2:3], v[34:35], -v[36:37]
	ds_load_b128 v[2:5], v1 offset:1184
	scratch_load_b128 v[34:37], off, off offset:624
	v_fma_f64 v[44:45], v[44:45], v[139:140], v[151:152]
	v_add_f64_e32 v[147:148], v[147:148], v[143:144]
	v_add_f64_e32 v[145:146], v[149:150], v[145:146]
	ds_load_b128 v[141:144], v1 offset:1200
	v_fma_f64 v[139:140], v[42:43], v[139:140], -v[153:154]
	s_wait_loadcnt_dscnt 0x801
	v_mul_f64_e32 v[149:150], v[2:3], v[40:41]
	v_mul_f64_e32 v[159:160], v[4:5], v[40:41]
	scratch_load_b128 v[40:43], off, off offset:640
	s_wait_loadcnt_dscnt 0x800
	v_mul_f64_e32 v[153:154], v[141:142], v[8:9]
	v_mul_f64_e32 v[8:9], v[143:144], v[8:9]
	v_add_f64_e32 v[147:148], v[147:148], v[157:158]
	v_add_f64_e32 v[145:146], v[145:146], v[155:156]
	v_fma_f64 v[155:156], v[4:5], v[38:39], v[149:150]
	v_fma_f64 v[38:39], v[2:3], v[38:39], -v[159:160]
	ds_load_b128 v[2:5], v1 offset:1216
	ds_load_b128 v[149:152], v1 offset:1232
	v_fma_f64 v[143:144], v[143:144], v[6:7], v[153:154]
	v_fma_f64 v[141:142], v[141:142], v[6:7], -v[8:9]
	scratch_load_b128 v[6:9], off, off offset:672
	v_add_f64_e32 v[139:140], v[147:148], v[139:140]
	v_add_f64_e32 v[44:45], v[145:146], v[44:45]
	scratch_load_b128 v[145:148], off, off offset:656
	s_wait_loadcnt_dscnt 0x901
	v_mul_f64_e32 v[157:158], v[2:3], v[12:13]
	v_mul_f64_e32 v[12:13], v[4:5], v[12:13]
	s_wait_loadcnt_dscnt 0x800
	v_mul_f64_e32 v[153:154], v[149:150], v[16:17]
	v_mul_f64_e32 v[16:17], v[151:152], v[16:17]
	v_add_f64_e32 v[38:39], v[139:140], v[38:39]
	v_add_f64_e32 v[44:45], v[44:45], v[155:156]
	v_fma_f64 v[155:156], v[4:5], v[10:11], v[157:158]
	v_fma_f64 v[157:158], v[2:3], v[10:11], -v[12:13]
	ds_load_b128 v[2:5], v1 offset:1248
	scratch_load_b128 v[10:13], off, off offset:688
	v_fma_f64 v[151:152], v[151:152], v[14:15], v[153:154]
	v_fma_f64 v[149:150], v[149:150], v[14:15], -v[16:17]
	scratch_load_b128 v[14:17], off, off offset:704
	v_add_f64_e32 v[38:39], v[38:39], v[141:142]
	v_add_f64_e32 v[44:45], v[44:45], v[143:144]
	ds_load_b128 v[139:142], v1 offset:1264
	s_wait_loadcnt_dscnt 0x901
	v_mul_f64_e32 v[143:144], v[2:3], v[20:21]
	v_mul_f64_e32 v[20:21], v[4:5], v[20:21]
	s_wait_loadcnt_dscnt 0x800
	v_mul_f64_e32 v[153:154], v[139:140], v[24:25]
	v_mul_f64_e32 v[24:25], v[141:142], v[24:25]
	v_add_f64_e32 v[38:39], v[38:39], v[157:158]
	v_add_f64_e32 v[44:45], v[44:45], v[155:156]
	v_fma_f64 v[143:144], v[4:5], v[18:19], v[143:144]
	v_fma_f64 v[155:156], v[2:3], v[18:19], -v[20:21]
	ds_load_b128 v[2:5], v1 offset:1280
	ds_load_b128 v[18:21], v1 offset:1296
	v_fma_f64 v[141:142], v[141:142], v[22:23], v[153:154]
	v_fma_f64 v[22:23], v[139:140], v[22:23], -v[24:25]
	v_add_f64_e32 v[38:39], v[38:39], v[149:150]
	v_add_f64_e32 v[44:45], v[44:45], v[151:152]
	s_wait_loadcnt_dscnt 0x701
	v_mul_f64_e32 v[149:150], v[2:3], v[28:29]
	v_mul_f64_e32 v[28:29], v[4:5], v[28:29]
	s_delay_alu instid0(VALU_DEP_4) | instskip(NEXT) | instid1(VALU_DEP_4)
	v_add_f64_e32 v[24:25], v[38:39], v[155:156]
	v_add_f64_e32 v[38:39], v[44:45], v[143:144]
	s_wait_loadcnt_dscnt 0x600
	v_mul_f64_e32 v[44:45], v[18:19], v[32:33]
	v_mul_f64_e32 v[32:33], v[20:21], v[32:33]
	v_fma_f64 v[139:140], v[4:5], v[26:27], v[149:150]
	v_fma_f64 v[26:27], v[2:3], v[26:27], -v[28:29]
	v_add_f64_e32 v[28:29], v[24:25], v[22:23]
	v_add_f64_e32 v[38:39], v[38:39], v[141:142]
	ds_load_b128 v[2:5], v1 offset:1312
	ds_load_b128 v[22:25], v1 offset:1328
	v_fma_f64 v[20:21], v[20:21], v[30:31], v[44:45]
	v_fma_f64 v[18:19], v[18:19], v[30:31], -v[32:33]
	s_wait_loadcnt_dscnt 0x501
	v_mul_f64_e32 v[141:142], v[2:3], v[36:37]
	v_mul_f64_e32 v[36:37], v[4:5], v[36:37]
	s_wait_loadcnt_dscnt 0x400
	v_mul_f64_e32 v[30:31], v[22:23], v[42:43]
	v_add_f64_e32 v[26:27], v[28:29], v[26:27]
	v_add_f64_e32 v[28:29], v[38:39], v[139:140]
	v_mul_f64_e32 v[32:33], v[24:25], v[42:43]
	v_fma_f64 v[38:39], v[4:5], v[34:35], v[141:142]
	v_fma_f64 v[34:35], v[2:3], v[34:35], -v[36:37]
	v_fma_f64 v[24:25], v[24:25], v[40:41], v[30:31]
	v_add_f64_e32 v[26:27], v[26:27], v[18:19]
	v_add_f64_e32 v[28:29], v[28:29], v[20:21]
	ds_load_b128 v[2:5], v1 offset:1344
	ds_load_b128 v[18:21], v1 offset:1360
	v_fma_f64 v[22:23], v[22:23], v[40:41], -v[32:33]
	s_wait_loadcnt_dscnt 0x201
	v_mul_f64_e32 v[36:37], v[2:3], v[147:148]
	v_mul_f64_e32 v[42:43], v[4:5], v[147:148]
	s_wait_dscnt 0x0
	v_mul_f64_e32 v[30:31], v[18:19], v[8:9]
	v_mul_f64_e32 v[8:9], v[20:21], v[8:9]
	v_add_f64_e32 v[26:27], v[26:27], v[34:35]
	v_add_f64_e32 v[28:29], v[28:29], v[38:39]
	v_fma_f64 v[32:33], v[4:5], v[145:146], v[36:37]
	v_fma_f64 v[34:35], v[2:3], v[145:146], -v[42:43]
	v_fma_f64 v[20:21], v[20:21], v[6:7], v[30:31]
	v_fma_f64 v[6:7], v[18:19], v[6:7], -v[8:9]
	v_add_f64_e32 v[26:27], v[26:27], v[22:23]
	v_add_f64_e32 v[28:29], v[28:29], v[24:25]
	ds_load_b128 v[2:5], v1 offset:1376
	ds_load_b128 v[22:25], v1 offset:1392
	s_wait_loadcnt_dscnt 0x101
	v_mul_f64_e32 v[36:37], v[2:3], v[12:13]
	v_mul_f64_e32 v[12:13], v[4:5], v[12:13]
	v_add_f64_e32 v[8:9], v[26:27], v[34:35]
	v_add_f64_e32 v[18:19], v[28:29], v[32:33]
	s_wait_loadcnt_dscnt 0x0
	v_mul_f64_e32 v[26:27], v[22:23], v[16:17]
	v_mul_f64_e32 v[16:17], v[24:25], v[16:17]
	v_fma_f64 v[4:5], v[4:5], v[10:11], v[36:37]
	v_fma_f64 v[1:2], v[2:3], v[10:11], -v[12:13]
	v_add_f64_e32 v[6:7], v[8:9], v[6:7]
	v_add_f64_e32 v[8:9], v[18:19], v[20:21]
	v_fma_f64 v[10:11], v[24:25], v[14:15], v[26:27]
	v_fma_f64 v[12:13], v[22:23], v[14:15], -v[16:17]
	s_delay_alu instid0(VALU_DEP_4) | instskip(NEXT) | instid1(VALU_DEP_4)
	v_add_f64_e32 v[1:2], v[6:7], v[1:2]
	v_add_f64_e32 v[3:4], v[8:9], v[4:5]
	s_delay_alu instid0(VALU_DEP_2) | instskip(NEXT) | instid1(VALU_DEP_2)
	v_add_f64_e32 v[1:2], v[1:2], v[12:13]
	v_add_f64_e32 v[3:4], v[3:4], v[10:11]
	s_delay_alu instid0(VALU_DEP_2) | instskip(NEXT) | instid1(VALU_DEP_2)
	v_add_f64_e64 v[1:2], v[135:136], -v[1:2]
	v_add_f64_e64 v[3:4], v[137:138], -v[3:4]
	scratch_store_b128 off, v[1:4], off offset:320
	v_cmpx_lt_u32_e32 18, v0
	s_cbranch_execz .LBB43_241
; %bb.240:
	scratch_load_b128 v[1:4], off, s28
	v_mov_b32_e32 v5, 0
	s_delay_alu instid0(VALU_DEP_1)
	v_dual_mov_b32 v6, v5 :: v_dual_mov_b32 v7, v5
	v_mov_b32_e32 v8, v5
	scratch_store_b128 off, v[5:8], off offset:304
	s_wait_loadcnt 0x0
	ds_store_b128 v134, v[1:4]
.LBB43_241:
	s_wait_alu 0xfffe
	s_or_b32 exec_lo, exec_lo, s0
	s_wait_storecnt_dscnt 0x0
	s_barrier_signal -1
	s_barrier_wait -1
	global_inv scope:SCOPE_SE
	s_clause 0x7
	scratch_load_b128 v[2:5], off, off offset:320
	scratch_load_b128 v[6:9], off, off offset:336
	;; [unrolled: 1-line block ×8, first 2 shown]
	v_mov_b32_e32 v1, 0
	s_mov_b32 s0, exec_lo
	ds_load_b128 v[34:37], v1 offset:1008
	s_clause 0x1
	scratch_load_b128 v[38:41], off, off offset:448
	scratch_load_b128 v[42:45], off, off offset:304
	ds_load_b128 v[135:138], v1 offset:1024
	scratch_load_b128 v[139:142], off, off offset:464
	s_wait_loadcnt_dscnt 0xa01
	v_mul_f64_e32 v[143:144], v[36:37], v[4:5]
	v_mul_f64_e32 v[4:5], v[34:35], v[4:5]
	s_delay_alu instid0(VALU_DEP_2) | instskip(NEXT) | instid1(VALU_DEP_2)
	v_fma_f64 v[149:150], v[34:35], v[2:3], -v[143:144]
	v_fma_f64 v[151:152], v[36:37], v[2:3], v[4:5]
	ds_load_b128 v[2:5], v1 offset:1040
	s_wait_loadcnt_dscnt 0x901
	v_mul_f64_e32 v[147:148], v[135:136], v[8:9]
	v_mul_f64_e32 v[8:9], v[137:138], v[8:9]
	scratch_load_b128 v[34:37], off, off offset:480
	ds_load_b128 v[143:146], v1 offset:1056
	s_wait_loadcnt_dscnt 0x901
	v_mul_f64_e32 v[153:154], v[2:3], v[12:13]
	v_mul_f64_e32 v[12:13], v[4:5], v[12:13]
	v_fma_f64 v[137:138], v[137:138], v[6:7], v[147:148]
	v_fma_f64 v[135:136], v[135:136], v[6:7], -v[8:9]
	v_add_f64_e32 v[147:148], 0, v[149:150]
	v_add_f64_e32 v[149:150], 0, v[151:152]
	scratch_load_b128 v[6:9], off, off offset:496
	v_fma_f64 v[153:154], v[4:5], v[10:11], v[153:154]
	v_fma_f64 v[155:156], v[2:3], v[10:11], -v[12:13]
	ds_load_b128 v[2:5], v1 offset:1072
	s_wait_loadcnt_dscnt 0x901
	v_mul_f64_e32 v[151:152], v[143:144], v[16:17]
	v_mul_f64_e32 v[16:17], v[145:146], v[16:17]
	scratch_load_b128 v[10:13], off, off offset:512
	v_add_f64_e32 v[147:148], v[147:148], v[135:136]
	v_add_f64_e32 v[149:150], v[149:150], v[137:138]
	s_wait_loadcnt_dscnt 0x900
	v_mul_f64_e32 v[157:158], v[2:3], v[20:21]
	v_mul_f64_e32 v[20:21], v[4:5], v[20:21]
	ds_load_b128 v[135:138], v1 offset:1088
	v_fma_f64 v[145:146], v[145:146], v[14:15], v[151:152]
	v_fma_f64 v[143:144], v[143:144], v[14:15], -v[16:17]
	scratch_load_b128 v[14:17], off, off offset:528
	v_add_f64_e32 v[147:148], v[147:148], v[155:156]
	v_add_f64_e32 v[149:150], v[149:150], v[153:154]
	v_fma_f64 v[153:154], v[4:5], v[18:19], v[157:158]
	v_fma_f64 v[155:156], v[2:3], v[18:19], -v[20:21]
	ds_load_b128 v[2:5], v1 offset:1104
	s_wait_loadcnt_dscnt 0x901
	v_mul_f64_e32 v[151:152], v[135:136], v[24:25]
	v_mul_f64_e32 v[24:25], v[137:138], v[24:25]
	scratch_load_b128 v[18:21], off, off offset:544
	s_wait_loadcnt_dscnt 0x900
	v_mul_f64_e32 v[157:158], v[2:3], v[28:29]
	v_mul_f64_e32 v[28:29], v[4:5], v[28:29]
	v_add_f64_e32 v[147:148], v[147:148], v[143:144]
	v_add_f64_e32 v[149:150], v[149:150], v[145:146]
	ds_load_b128 v[143:146], v1 offset:1120
	v_fma_f64 v[137:138], v[137:138], v[22:23], v[151:152]
	v_fma_f64 v[135:136], v[135:136], v[22:23], -v[24:25]
	scratch_load_b128 v[22:25], off, off offset:560
	v_add_f64_e32 v[147:148], v[147:148], v[155:156]
	v_add_f64_e32 v[149:150], v[149:150], v[153:154]
	v_fma_f64 v[153:154], v[4:5], v[26:27], v[157:158]
	v_fma_f64 v[155:156], v[2:3], v[26:27], -v[28:29]
	ds_load_b128 v[2:5], v1 offset:1136
	s_wait_loadcnt_dscnt 0x901
	v_mul_f64_e32 v[151:152], v[143:144], v[32:33]
	v_mul_f64_e32 v[32:33], v[145:146], v[32:33]
	scratch_load_b128 v[26:29], off, off offset:576
	s_wait_loadcnt_dscnt 0x900
	v_mul_f64_e32 v[157:158], v[2:3], v[40:41]
	v_mul_f64_e32 v[40:41], v[4:5], v[40:41]
	v_add_f64_e32 v[147:148], v[147:148], v[135:136]
	v_add_f64_e32 v[149:150], v[149:150], v[137:138]
	ds_load_b128 v[135:138], v1 offset:1152
	v_fma_f64 v[145:146], v[145:146], v[30:31], v[151:152]
	v_fma_f64 v[143:144], v[143:144], v[30:31], -v[32:33]
	scratch_load_b128 v[30:33], off, off offset:592
	v_add_f64_e32 v[147:148], v[147:148], v[155:156]
	v_add_f64_e32 v[149:150], v[149:150], v[153:154]
	v_fma_f64 v[155:156], v[4:5], v[38:39], v[157:158]
	v_fma_f64 v[157:158], v[2:3], v[38:39], -v[40:41]
	ds_load_b128 v[2:5], v1 offset:1168
	s_wait_loadcnt_dscnt 0x801
	v_mul_f64_e32 v[151:152], v[135:136], v[141:142]
	v_mul_f64_e32 v[153:154], v[137:138], v[141:142]
	scratch_load_b128 v[38:41], off, off offset:608
	v_add_f64_e32 v[147:148], v[147:148], v[143:144]
	v_add_f64_e32 v[145:146], v[149:150], v[145:146]
	ds_load_b128 v[141:144], v1 offset:1184
	v_fma_f64 v[151:152], v[137:138], v[139:140], v[151:152]
	v_fma_f64 v[139:140], v[135:136], v[139:140], -v[153:154]
	scratch_load_b128 v[135:138], off, off offset:624
	s_wait_loadcnt_dscnt 0x901
	v_mul_f64_e32 v[149:150], v[2:3], v[36:37]
	v_mul_f64_e32 v[36:37], v[4:5], v[36:37]
	v_add_f64_e32 v[147:148], v[147:148], v[157:158]
	v_add_f64_e32 v[145:146], v[145:146], v[155:156]
	s_delay_alu instid0(VALU_DEP_4) | instskip(NEXT) | instid1(VALU_DEP_4)
	v_fma_f64 v[149:150], v[4:5], v[34:35], v[149:150]
	v_fma_f64 v[155:156], v[2:3], v[34:35], -v[36:37]
	ds_load_b128 v[2:5], v1 offset:1200
	s_wait_loadcnt_dscnt 0x801
	v_mul_f64_e32 v[153:154], v[141:142], v[8:9]
	v_mul_f64_e32 v[8:9], v[143:144], v[8:9]
	scratch_load_b128 v[34:37], off, off offset:640
	s_wait_loadcnt_dscnt 0x800
	v_mul_f64_e32 v[157:158], v[2:3], v[12:13]
	v_add_f64_e32 v[139:140], v[147:148], v[139:140]
	v_add_f64_e32 v[151:152], v[145:146], v[151:152]
	v_mul_f64_e32 v[12:13], v[4:5], v[12:13]
	ds_load_b128 v[145:148], v1 offset:1216
	v_fma_f64 v[143:144], v[143:144], v[6:7], v[153:154]
	v_fma_f64 v[141:142], v[141:142], v[6:7], -v[8:9]
	scratch_load_b128 v[6:9], off, off offset:656
	v_fma_f64 v[153:154], v[4:5], v[10:11], v[157:158]
	v_add_f64_e32 v[139:140], v[139:140], v[155:156]
	v_add_f64_e32 v[149:150], v[151:152], v[149:150]
	v_fma_f64 v[155:156], v[2:3], v[10:11], -v[12:13]
	ds_load_b128 v[2:5], v1 offset:1232
	s_wait_loadcnt_dscnt 0x801
	v_mul_f64_e32 v[151:152], v[145:146], v[16:17]
	v_mul_f64_e32 v[16:17], v[147:148], v[16:17]
	scratch_load_b128 v[10:13], off, off offset:672
	v_add_f64_e32 v[157:158], v[139:140], v[141:142]
	v_add_f64_e32 v[143:144], v[149:150], v[143:144]
	s_wait_loadcnt_dscnt 0x800
	v_mul_f64_e32 v[149:150], v[2:3], v[20:21]
	v_mul_f64_e32 v[20:21], v[4:5], v[20:21]
	v_fma_f64 v[147:148], v[147:148], v[14:15], v[151:152]
	v_fma_f64 v[145:146], v[145:146], v[14:15], -v[16:17]
	ds_load_b128 v[139:142], v1 offset:1248
	scratch_load_b128 v[14:17], off, off offset:688
	v_add_f64_e32 v[151:152], v[157:158], v[155:156]
	v_add_f64_e32 v[143:144], v[143:144], v[153:154]
	v_fma_f64 v[149:150], v[4:5], v[18:19], v[149:150]
	v_fma_f64 v[155:156], v[2:3], v[18:19], -v[20:21]
	ds_load_b128 v[2:5], v1 offset:1264
	s_wait_loadcnt_dscnt 0x801
	v_mul_f64_e32 v[153:154], v[139:140], v[24:25]
	v_mul_f64_e32 v[24:25], v[141:142], v[24:25]
	scratch_load_b128 v[18:21], off, off offset:704
	s_wait_loadcnt_dscnt 0x800
	v_mul_f64_e32 v[157:158], v[2:3], v[28:29]
	v_mul_f64_e32 v[28:29], v[4:5], v[28:29]
	v_add_f64_e32 v[151:152], v[151:152], v[145:146]
	v_add_f64_e32 v[147:148], v[143:144], v[147:148]
	ds_load_b128 v[143:146], v1 offset:1280
	v_fma_f64 v[141:142], v[141:142], v[22:23], v[153:154]
	v_fma_f64 v[22:23], v[139:140], v[22:23], -v[24:25]
	v_add_f64_e32 v[24:25], v[151:152], v[155:156]
	v_add_f64_e32 v[139:140], v[147:148], v[149:150]
	s_wait_loadcnt_dscnt 0x700
	v_mul_f64_e32 v[147:148], v[143:144], v[32:33]
	v_mul_f64_e32 v[32:33], v[145:146], v[32:33]
	v_fma_f64 v[149:150], v[4:5], v[26:27], v[157:158]
	v_fma_f64 v[26:27], v[2:3], v[26:27], -v[28:29]
	v_add_f64_e32 v[28:29], v[24:25], v[22:23]
	v_add_f64_e32 v[139:140], v[139:140], v[141:142]
	ds_load_b128 v[2:5], v1 offset:1296
	ds_load_b128 v[22:25], v1 offset:1312
	v_fma_f64 v[145:146], v[145:146], v[30:31], v[147:148]
	v_fma_f64 v[30:31], v[143:144], v[30:31], -v[32:33]
	s_wait_loadcnt_dscnt 0x601
	v_mul_f64_e32 v[141:142], v[2:3], v[40:41]
	v_mul_f64_e32 v[40:41], v[4:5], v[40:41]
	s_wait_loadcnt_dscnt 0x500
	v_mul_f64_e32 v[32:33], v[22:23], v[137:138]
	v_mul_f64_e32 v[137:138], v[24:25], v[137:138]
	v_add_f64_e32 v[26:27], v[28:29], v[26:27]
	v_add_f64_e32 v[28:29], v[139:140], v[149:150]
	v_fma_f64 v[139:140], v[4:5], v[38:39], v[141:142]
	v_fma_f64 v[38:39], v[2:3], v[38:39], -v[40:41]
	v_fma_f64 v[24:25], v[24:25], v[135:136], v[32:33]
	v_fma_f64 v[22:23], v[22:23], v[135:136], -v[137:138]
	v_add_f64_e32 v[30:31], v[26:27], v[30:31]
	v_add_f64_e32 v[40:41], v[28:29], v[145:146]
	ds_load_b128 v[2:5], v1 offset:1328
	ds_load_b128 v[26:29], v1 offset:1344
	s_wait_loadcnt_dscnt 0x401
	v_mul_f64_e32 v[141:142], v[2:3], v[36:37]
	v_mul_f64_e32 v[36:37], v[4:5], v[36:37]
	v_add_f64_e32 v[30:31], v[30:31], v[38:39]
	v_add_f64_e32 v[32:33], v[40:41], v[139:140]
	s_wait_loadcnt_dscnt 0x300
	v_mul_f64_e32 v[38:39], v[26:27], v[8:9]
	v_mul_f64_e32 v[8:9], v[28:29], v[8:9]
	v_fma_f64 v[40:41], v[4:5], v[34:35], v[141:142]
	v_fma_f64 v[34:35], v[2:3], v[34:35], -v[36:37]
	v_add_f64_e32 v[30:31], v[30:31], v[22:23]
	v_add_f64_e32 v[32:33], v[32:33], v[24:25]
	ds_load_b128 v[2:5], v1 offset:1360
	ds_load_b128 v[22:25], v1 offset:1376
	v_fma_f64 v[28:29], v[28:29], v[6:7], v[38:39]
	v_fma_f64 v[6:7], v[26:27], v[6:7], -v[8:9]
	s_wait_loadcnt_dscnt 0x201
	v_mul_f64_e32 v[36:37], v[2:3], v[12:13]
	v_mul_f64_e32 v[12:13], v[4:5], v[12:13]
	v_add_f64_e32 v[8:9], v[30:31], v[34:35]
	v_add_f64_e32 v[26:27], v[32:33], v[40:41]
	s_wait_loadcnt_dscnt 0x100
	v_mul_f64_e32 v[30:31], v[22:23], v[16:17]
	v_mul_f64_e32 v[16:17], v[24:25], v[16:17]
	v_fma_f64 v[32:33], v[4:5], v[10:11], v[36:37]
	v_fma_f64 v[10:11], v[2:3], v[10:11], -v[12:13]
	ds_load_b128 v[2:5], v1 offset:1392
	v_add_f64_e32 v[6:7], v[8:9], v[6:7]
	v_add_f64_e32 v[8:9], v[26:27], v[28:29]
	v_fma_f64 v[24:25], v[24:25], v[14:15], v[30:31]
	v_fma_f64 v[14:15], v[22:23], v[14:15], -v[16:17]
	s_wait_loadcnt_dscnt 0x0
	v_mul_f64_e32 v[12:13], v[2:3], v[20:21]
	v_mul_f64_e32 v[20:21], v[4:5], v[20:21]
	v_add_f64_e32 v[6:7], v[6:7], v[10:11]
	v_add_f64_e32 v[8:9], v[8:9], v[32:33]
	s_delay_alu instid0(VALU_DEP_4) | instskip(NEXT) | instid1(VALU_DEP_4)
	v_fma_f64 v[4:5], v[4:5], v[18:19], v[12:13]
	v_fma_f64 v[2:3], v[2:3], v[18:19], -v[20:21]
	s_delay_alu instid0(VALU_DEP_4) | instskip(NEXT) | instid1(VALU_DEP_4)
	v_add_f64_e32 v[6:7], v[6:7], v[14:15]
	v_add_f64_e32 v[8:9], v[8:9], v[24:25]
	s_delay_alu instid0(VALU_DEP_2) | instskip(NEXT) | instid1(VALU_DEP_2)
	v_add_f64_e32 v[2:3], v[6:7], v[2:3]
	v_add_f64_e32 v[4:5], v[8:9], v[4:5]
	s_delay_alu instid0(VALU_DEP_2) | instskip(NEXT) | instid1(VALU_DEP_2)
	v_add_f64_e64 v[2:3], v[42:43], -v[2:3]
	v_add_f64_e64 v[4:5], v[44:45], -v[4:5]
	scratch_store_b128 off, v[2:5], off offset:304
	v_cmpx_lt_u32_e32 17, v0
	s_cbranch_execz .LBB43_243
; %bb.242:
	scratch_load_b128 v[5:8], off, s27
	v_dual_mov_b32 v2, v1 :: v_dual_mov_b32 v3, v1
	v_mov_b32_e32 v4, v1
	scratch_store_b128 off, v[1:4], off offset:288
	s_wait_loadcnt 0x0
	ds_store_b128 v134, v[5:8]
.LBB43_243:
	s_wait_alu 0xfffe
	s_or_b32 exec_lo, exec_lo, s0
	s_wait_storecnt_dscnt 0x0
	s_barrier_signal -1
	s_barrier_wait -1
	global_inv scope:SCOPE_SE
	s_clause 0x8
	scratch_load_b128 v[2:5], off, off offset:304
	scratch_load_b128 v[6:9], off, off offset:320
	;; [unrolled: 1-line block ×9, first 2 shown]
	ds_load_b128 v[38:41], v1 offset:992
	ds_load_b128 v[42:45], v1 offset:1008
	s_clause 0x1
	scratch_load_b128 v[135:138], off, off offset:288
	scratch_load_b128 v[139:142], off, off offset:448
	s_mov_b32 s0, exec_lo
	s_wait_loadcnt_dscnt 0xa01
	v_mul_f64_e32 v[143:144], v[40:41], v[4:5]
	v_mul_f64_e32 v[4:5], v[38:39], v[4:5]
	s_wait_loadcnt_dscnt 0x900
	v_mul_f64_e32 v[147:148], v[42:43], v[8:9]
	v_mul_f64_e32 v[8:9], v[44:45], v[8:9]
	s_delay_alu instid0(VALU_DEP_4) | instskip(NEXT) | instid1(VALU_DEP_4)
	v_fma_f64 v[149:150], v[38:39], v[2:3], -v[143:144]
	v_fma_f64 v[151:152], v[40:41], v[2:3], v[4:5]
	ds_load_b128 v[2:5], v1 offset:1024
	ds_load_b128 v[143:146], v1 offset:1040
	scratch_load_b128 v[38:41], off, off offset:464
	v_fma_f64 v[44:45], v[44:45], v[6:7], v[147:148]
	v_fma_f64 v[42:43], v[42:43], v[6:7], -v[8:9]
	scratch_load_b128 v[6:9], off, off offset:480
	s_wait_loadcnt_dscnt 0xa01
	v_mul_f64_e32 v[153:154], v[2:3], v[12:13]
	v_mul_f64_e32 v[12:13], v[4:5], v[12:13]
	v_add_f64_e32 v[147:148], 0, v[149:150]
	v_add_f64_e32 v[149:150], 0, v[151:152]
	s_wait_loadcnt_dscnt 0x900
	v_mul_f64_e32 v[151:152], v[143:144], v[16:17]
	v_mul_f64_e32 v[16:17], v[145:146], v[16:17]
	v_fma_f64 v[153:154], v[4:5], v[10:11], v[153:154]
	v_fma_f64 v[155:156], v[2:3], v[10:11], -v[12:13]
	ds_load_b128 v[2:5], v1 offset:1056
	scratch_load_b128 v[10:13], off, off offset:496
	v_add_f64_e32 v[147:148], v[147:148], v[42:43]
	v_add_f64_e32 v[149:150], v[149:150], v[44:45]
	ds_load_b128 v[42:45], v1 offset:1072
	v_fma_f64 v[145:146], v[145:146], v[14:15], v[151:152]
	v_fma_f64 v[143:144], v[143:144], v[14:15], -v[16:17]
	scratch_load_b128 v[14:17], off, off offset:512
	s_wait_loadcnt_dscnt 0xa01
	v_mul_f64_e32 v[157:158], v[2:3], v[20:21]
	v_mul_f64_e32 v[20:21], v[4:5], v[20:21]
	s_wait_loadcnt_dscnt 0x900
	v_mul_f64_e32 v[151:152], v[42:43], v[24:25]
	v_mul_f64_e32 v[24:25], v[44:45], v[24:25]
	v_add_f64_e32 v[147:148], v[147:148], v[155:156]
	v_add_f64_e32 v[149:150], v[149:150], v[153:154]
	v_fma_f64 v[153:154], v[4:5], v[18:19], v[157:158]
	v_fma_f64 v[155:156], v[2:3], v[18:19], -v[20:21]
	ds_load_b128 v[2:5], v1 offset:1088
	scratch_load_b128 v[18:21], off, off offset:528
	v_fma_f64 v[44:45], v[44:45], v[22:23], v[151:152]
	v_fma_f64 v[42:43], v[42:43], v[22:23], -v[24:25]
	scratch_load_b128 v[22:25], off, off offset:544
	v_add_f64_e32 v[147:148], v[147:148], v[143:144]
	v_add_f64_e32 v[149:150], v[149:150], v[145:146]
	ds_load_b128 v[143:146], v1 offset:1104
	s_wait_loadcnt_dscnt 0xa01
	v_mul_f64_e32 v[157:158], v[2:3], v[28:29]
	v_mul_f64_e32 v[28:29], v[4:5], v[28:29]
	s_wait_loadcnt_dscnt 0x900
	v_mul_f64_e32 v[151:152], v[143:144], v[32:33]
	v_mul_f64_e32 v[32:33], v[145:146], v[32:33]
	v_add_f64_e32 v[147:148], v[147:148], v[155:156]
	v_add_f64_e32 v[149:150], v[149:150], v[153:154]
	v_fma_f64 v[153:154], v[4:5], v[26:27], v[157:158]
	v_fma_f64 v[155:156], v[2:3], v[26:27], -v[28:29]
	ds_load_b128 v[2:5], v1 offset:1120
	scratch_load_b128 v[26:29], off, off offset:560
	v_fma_f64 v[145:146], v[145:146], v[30:31], v[151:152]
	v_fma_f64 v[143:144], v[143:144], v[30:31], -v[32:33]
	scratch_load_b128 v[30:33], off, off offset:576
	v_add_f64_e32 v[147:148], v[147:148], v[42:43]
	v_add_f64_e32 v[149:150], v[149:150], v[44:45]
	ds_load_b128 v[42:45], v1 offset:1136
	s_wait_loadcnt_dscnt 0xa01
	v_mul_f64_e32 v[157:158], v[2:3], v[36:37]
	v_mul_f64_e32 v[36:37], v[4:5], v[36:37]
	s_wait_loadcnt_dscnt 0x800
	v_mul_f64_e32 v[151:152], v[42:43], v[141:142]
	v_add_f64_e32 v[147:148], v[147:148], v[155:156]
	v_add_f64_e32 v[149:150], v[149:150], v[153:154]
	v_mul_f64_e32 v[153:154], v[44:45], v[141:142]
	v_fma_f64 v[155:156], v[4:5], v[34:35], v[157:158]
	v_fma_f64 v[157:158], v[2:3], v[34:35], -v[36:37]
	ds_load_b128 v[2:5], v1 offset:1152
	scratch_load_b128 v[34:37], off, off offset:592
	v_fma_f64 v[44:45], v[44:45], v[139:140], v[151:152]
	v_add_f64_e32 v[147:148], v[147:148], v[143:144]
	v_add_f64_e32 v[145:146], v[149:150], v[145:146]
	ds_load_b128 v[141:144], v1 offset:1168
	v_fma_f64 v[139:140], v[42:43], v[139:140], -v[153:154]
	s_wait_loadcnt_dscnt 0x801
	v_mul_f64_e32 v[149:150], v[2:3], v[40:41]
	v_mul_f64_e32 v[159:160], v[4:5], v[40:41]
	scratch_load_b128 v[40:43], off, off offset:608
	s_wait_loadcnt_dscnt 0x800
	v_mul_f64_e32 v[153:154], v[141:142], v[8:9]
	v_mul_f64_e32 v[8:9], v[143:144], v[8:9]
	v_add_f64_e32 v[147:148], v[147:148], v[157:158]
	v_add_f64_e32 v[145:146], v[145:146], v[155:156]
	v_fma_f64 v[155:156], v[4:5], v[38:39], v[149:150]
	v_fma_f64 v[38:39], v[2:3], v[38:39], -v[159:160]
	ds_load_b128 v[2:5], v1 offset:1184
	ds_load_b128 v[149:152], v1 offset:1200
	v_fma_f64 v[143:144], v[143:144], v[6:7], v[153:154]
	v_fma_f64 v[141:142], v[141:142], v[6:7], -v[8:9]
	scratch_load_b128 v[6:9], off, off offset:640
	v_add_f64_e32 v[139:140], v[147:148], v[139:140]
	v_add_f64_e32 v[44:45], v[145:146], v[44:45]
	scratch_load_b128 v[145:148], off, off offset:624
	s_wait_loadcnt_dscnt 0x901
	v_mul_f64_e32 v[157:158], v[2:3], v[12:13]
	v_mul_f64_e32 v[12:13], v[4:5], v[12:13]
	s_wait_loadcnt_dscnt 0x800
	v_mul_f64_e32 v[153:154], v[149:150], v[16:17]
	v_mul_f64_e32 v[16:17], v[151:152], v[16:17]
	v_add_f64_e32 v[38:39], v[139:140], v[38:39]
	v_add_f64_e32 v[44:45], v[44:45], v[155:156]
	v_fma_f64 v[155:156], v[4:5], v[10:11], v[157:158]
	v_fma_f64 v[157:158], v[2:3], v[10:11], -v[12:13]
	ds_load_b128 v[2:5], v1 offset:1216
	scratch_load_b128 v[10:13], off, off offset:656
	v_fma_f64 v[151:152], v[151:152], v[14:15], v[153:154]
	v_fma_f64 v[149:150], v[149:150], v[14:15], -v[16:17]
	scratch_load_b128 v[14:17], off, off offset:672
	v_add_f64_e32 v[38:39], v[38:39], v[141:142]
	v_add_f64_e32 v[44:45], v[44:45], v[143:144]
	ds_load_b128 v[139:142], v1 offset:1232
	s_wait_loadcnt_dscnt 0x901
	v_mul_f64_e32 v[143:144], v[2:3], v[20:21]
	v_mul_f64_e32 v[20:21], v[4:5], v[20:21]
	s_wait_loadcnt_dscnt 0x800
	v_mul_f64_e32 v[153:154], v[139:140], v[24:25]
	v_mul_f64_e32 v[24:25], v[141:142], v[24:25]
	v_add_f64_e32 v[38:39], v[38:39], v[157:158]
	v_add_f64_e32 v[44:45], v[44:45], v[155:156]
	v_fma_f64 v[143:144], v[4:5], v[18:19], v[143:144]
	v_fma_f64 v[155:156], v[2:3], v[18:19], -v[20:21]
	ds_load_b128 v[2:5], v1 offset:1248
	scratch_load_b128 v[18:21], off, off offset:688
	v_fma_f64 v[141:142], v[141:142], v[22:23], v[153:154]
	v_fma_f64 v[139:140], v[139:140], v[22:23], -v[24:25]
	scratch_load_b128 v[22:25], off, off offset:704
	v_add_f64_e32 v[38:39], v[38:39], v[149:150]
	v_add_f64_e32 v[44:45], v[44:45], v[151:152]
	ds_load_b128 v[149:152], v1 offset:1264
	s_wait_loadcnt_dscnt 0x901
	v_mul_f64_e32 v[157:158], v[2:3], v[28:29]
	v_mul_f64_e32 v[28:29], v[4:5], v[28:29]
	v_add_f64_e32 v[38:39], v[38:39], v[155:156]
	v_add_f64_e32 v[44:45], v[44:45], v[143:144]
	s_wait_loadcnt_dscnt 0x800
	v_mul_f64_e32 v[143:144], v[149:150], v[32:33]
	v_mul_f64_e32 v[32:33], v[151:152], v[32:33]
	v_fma_f64 v[153:154], v[4:5], v[26:27], v[157:158]
	v_fma_f64 v[155:156], v[2:3], v[26:27], -v[28:29]
	ds_load_b128 v[2:5], v1 offset:1280
	ds_load_b128 v[26:29], v1 offset:1296
	v_add_f64_e32 v[38:39], v[38:39], v[139:140]
	v_add_f64_e32 v[44:45], v[44:45], v[141:142]
	s_wait_loadcnt_dscnt 0x701
	v_mul_f64_e32 v[139:140], v[2:3], v[36:37]
	v_mul_f64_e32 v[36:37], v[4:5], v[36:37]
	v_fma_f64 v[141:142], v[151:152], v[30:31], v[143:144]
	v_fma_f64 v[30:31], v[149:150], v[30:31], -v[32:33]
	v_add_f64_e32 v[32:33], v[38:39], v[155:156]
	v_add_f64_e32 v[38:39], v[44:45], v[153:154]
	s_wait_loadcnt_dscnt 0x600
	v_mul_f64_e32 v[44:45], v[26:27], v[42:43]
	v_mul_f64_e32 v[42:43], v[28:29], v[42:43]
	v_fma_f64 v[139:140], v[4:5], v[34:35], v[139:140]
	v_fma_f64 v[34:35], v[2:3], v[34:35], -v[36:37]
	v_add_f64_e32 v[36:37], v[32:33], v[30:31]
	v_add_f64_e32 v[38:39], v[38:39], v[141:142]
	ds_load_b128 v[2:5], v1 offset:1312
	ds_load_b128 v[30:33], v1 offset:1328
	v_fma_f64 v[28:29], v[28:29], v[40:41], v[44:45]
	v_fma_f64 v[26:27], v[26:27], v[40:41], -v[42:43]
	s_wait_loadcnt_dscnt 0x401
	v_mul_f64_e32 v[141:142], v[2:3], v[147:148]
	v_mul_f64_e32 v[143:144], v[4:5], v[147:148]
	v_add_f64_e32 v[34:35], v[36:37], v[34:35]
	v_add_f64_e32 v[36:37], v[38:39], v[139:140]
	s_wait_dscnt 0x0
	v_mul_f64_e32 v[38:39], v[30:31], v[8:9]
	v_mul_f64_e32 v[8:9], v[32:33], v[8:9]
	v_fma_f64 v[40:41], v[4:5], v[145:146], v[141:142]
	v_fma_f64 v[42:43], v[2:3], v[145:146], -v[143:144]
	v_add_f64_e32 v[34:35], v[34:35], v[26:27]
	v_add_f64_e32 v[36:37], v[36:37], v[28:29]
	ds_load_b128 v[2:5], v1 offset:1344
	ds_load_b128 v[26:29], v1 offset:1360
	v_fma_f64 v[32:33], v[32:33], v[6:7], v[38:39]
	v_fma_f64 v[6:7], v[30:31], v[6:7], -v[8:9]
	s_wait_loadcnt_dscnt 0x301
	v_mul_f64_e32 v[44:45], v[2:3], v[12:13]
	v_mul_f64_e32 v[12:13], v[4:5], v[12:13]
	v_add_f64_e32 v[8:9], v[34:35], v[42:43]
	v_add_f64_e32 v[30:31], v[36:37], v[40:41]
	s_wait_loadcnt_dscnt 0x200
	v_mul_f64_e32 v[34:35], v[26:27], v[16:17]
	v_mul_f64_e32 v[16:17], v[28:29], v[16:17]
	v_fma_f64 v[36:37], v[4:5], v[10:11], v[44:45]
	v_fma_f64 v[10:11], v[2:3], v[10:11], -v[12:13]
	v_add_f64_e32 v[12:13], v[8:9], v[6:7]
	v_add_f64_e32 v[30:31], v[30:31], v[32:33]
	ds_load_b128 v[2:5], v1 offset:1376
	ds_load_b128 v[6:9], v1 offset:1392
	v_fma_f64 v[28:29], v[28:29], v[14:15], v[34:35]
	v_fma_f64 v[14:15], v[26:27], v[14:15], -v[16:17]
	s_wait_loadcnt_dscnt 0x101
	v_mul_f64_e32 v[32:33], v[2:3], v[20:21]
	v_mul_f64_e32 v[20:21], v[4:5], v[20:21]
	s_wait_loadcnt_dscnt 0x0
	v_mul_f64_e32 v[16:17], v[6:7], v[24:25]
	v_mul_f64_e32 v[24:25], v[8:9], v[24:25]
	v_add_f64_e32 v[10:11], v[12:13], v[10:11]
	v_add_f64_e32 v[12:13], v[30:31], v[36:37]
	v_fma_f64 v[4:5], v[4:5], v[18:19], v[32:33]
	v_fma_f64 v[1:2], v[2:3], v[18:19], -v[20:21]
	v_fma_f64 v[8:9], v[8:9], v[22:23], v[16:17]
	v_fma_f64 v[6:7], v[6:7], v[22:23], -v[24:25]
	v_add_f64_e32 v[10:11], v[10:11], v[14:15]
	v_add_f64_e32 v[12:13], v[12:13], v[28:29]
	s_delay_alu instid0(VALU_DEP_2) | instskip(NEXT) | instid1(VALU_DEP_2)
	v_add_f64_e32 v[1:2], v[10:11], v[1:2]
	v_add_f64_e32 v[3:4], v[12:13], v[4:5]
	s_delay_alu instid0(VALU_DEP_2) | instskip(NEXT) | instid1(VALU_DEP_2)
	;; [unrolled: 3-line block ×3, first 2 shown]
	v_add_f64_e64 v[1:2], v[135:136], -v[1:2]
	v_add_f64_e64 v[3:4], v[137:138], -v[3:4]
	scratch_store_b128 off, v[1:4], off offset:288
	v_cmpx_lt_u32_e32 16, v0
	s_cbranch_execz .LBB43_245
; %bb.244:
	scratch_load_b128 v[1:4], off, s41
	v_mov_b32_e32 v5, 0
	s_delay_alu instid0(VALU_DEP_1)
	v_dual_mov_b32 v6, v5 :: v_dual_mov_b32 v7, v5
	v_mov_b32_e32 v8, v5
	scratch_store_b128 off, v[5:8], off offset:272
	s_wait_loadcnt 0x0
	ds_store_b128 v134, v[1:4]
.LBB43_245:
	s_wait_alu 0xfffe
	s_or_b32 exec_lo, exec_lo, s0
	s_wait_storecnt_dscnt 0x0
	s_barrier_signal -1
	s_barrier_wait -1
	global_inv scope:SCOPE_SE
	s_clause 0x7
	scratch_load_b128 v[2:5], off, off offset:288
	scratch_load_b128 v[6:9], off, off offset:304
	;; [unrolled: 1-line block ×8, first 2 shown]
	v_mov_b32_e32 v1, 0
	s_mov_b32 s0, exec_lo
	ds_load_b128 v[34:37], v1 offset:976
	s_clause 0x1
	scratch_load_b128 v[38:41], off, off offset:416
	scratch_load_b128 v[42:45], off, off offset:272
	ds_load_b128 v[135:138], v1 offset:992
	scratch_load_b128 v[139:142], off, off offset:432
	s_wait_loadcnt_dscnt 0xa01
	v_mul_f64_e32 v[143:144], v[36:37], v[4:5]
	v_mul_f64_e32 v[4:5], v[34:35], v[4:5]
	s_delay_alu instid0(VALU_DEP_2) | instskip(NEXT) | instid1(VALU_DEP_2)
	v_fma_f64 v[149:150], v[34:35], v[2:3], -v[143:144]
	v_fma_f64 v[151:152], v[36:37], v[2:3], v[4:5]
	ds_load_b128 v[2:5], v1 offset:1008
	s_wait_loadcnt_dscnt 0x901
	v_mul_f64_e32 v[147:148], v[135:136], v[8:9]
	v_mul_f64_e32 v[8:9], v[137:138], v[8:9]
	scratch_load_b128 v[34:37], off, off offset:448
	ds_load_b128 v[143:146], v1 offset:1024
	s_wait_loadcnt_dscnt 0x901
	v_mul_f64_e32 v[153:154], v[2:3], v[12:13]
	v_mul_f64_e32 v[12:13], v[4:5], v[12:13]
	v_fma_f64 v[137:138], v[137:138], v[6:7], v[147:148]
	v_fma_f64 v[135:136], v[135:136], v[6:7], -v[8:9]
	v_add_f64_e32 v[147:148], 0, v[149:150]
	v_add_f64_e32 v[149:150], 0, v[151:152]
	scratch_load_b128 v[6:9], off, off offset:464
	v_fma_f64 v[153:154], v[4:5], v[10:11], v[153:154]
	v_fma_f64 v[155:156], v[2:3], v[10:11], -v[12:13]
	ds_load_b128 v[2:5], v1 offset:1040
	s_wait_loadcnt_dscnt 0x901
	v_mul_f64_e32 v[151:152], v[143:144], v[16:17]
	v_mul_f64_e32 v[16:17], v[145:146], v[16:17]
	scratch_load_b128 v[10:13], off, off offset:480
	v_add_f64_e32 v[147:148], v[147:148], v[135:136]
	v_add_f64_e32 v[149:150], v[149:150], v[137:138]
	s_wait_loadcnt_dscnt 0x900
	v_mul_f64_e32 v[157:158], v[2:3], v[20:21]
	v_mul_f64_e32 v[20:21], v[4:5], v[20:21]
	ds_load_b128 v[135:138], v1 offset:1056
	v_fma_f64 v[145:146], v[145:146], v[14:15], v[151:152]
	v_fma_f64 v[143:144], v[143:144], v[14:15], -v[16:17]
	scratch_load_b128 v[14:17], off, off offset:496
	v_add_f64_e32 v[147:148], v[147:148], v[155:156]
	v_add_f64_e32 v[149:150], v[149:150], v[153:154]
	v_fma_f64 v[153:154], v[4:5], v[18:19], v[157:158]
	v_fma_f64 v[155:156], v[2:3], v[18:19], -v[20:21]
	ds_load_b128 v[2:5], v1 offset:1072
	s_wait_loadcnt_dscnt 0x901
	v_mul_f64_e32 v[151:152], v[135:136], v[24:25]
	v_mul_f64_e32 v[24:25], v[137:138], v[24:25]
	scratch_load_b128 v[18:21], off, off offset:512
	s_wait_loadcnt_dscnt 0x900
	v_mul_f64_e32 v[157:158], v[2:3], v[28:29]
	v_mul_f64_e32 v[28:29], v[4:5], v[28:29]
	v_add_f64_e32 v[147:148], v[147:148], v[143:144]
	v_add_f64_e32 v[149:150], v[149:150], v[145:146]
	ds_load_b128 v[143:146], v1 offset:1088
	v_fma_f64 v[137:138], v[137:138], v[22:23], v[151:152]
	v_fma_f64 v[135:136], v[135:136], v[22:23], -v[24:25]
	scratch_load_b128 v[22:25], off, off offset:528
	v_add_f64_e32 v[147:148], v[147:148], v[155:156]
	v_add_f64_e32 v[149:150], v[149:150], v[153:154]
	v_fma_f64 v[153:154], v[4:5], v[26:27], v[157:158]
	v_fma_f64 v[155:156], v[2:3], v[26:27], -v[28:29]
	ds_load_b128 v[2:5], v1 offset:1104
	s_wait_loadcnt_dscnt 0x901
	v_mul_f64_e32 v[151:152], v[143:144], v[32:33]
	v_mul_f64_e32 v[32:33], v[145:146], v[32:33]
	scratch_load_b128 v[26:29], off, off offset:544
	s_wait_loadcnt_dscnt 0x900
	v_mul_f64_e32 v[157:158], v[2:3], v[40:41]
	v_mul_f64_e32 v[40:41], v[4:5], v[40:41]
	v_add_f64_e32 v[147:148], v[147:148], v[135:136]
	v_add_f64_e32 v[149:150], v[149:150], v[137:138]
	ds_load_b128 v[135:138], v1 offset:1120
	v_fma_f64 v[145:146], v[145:146], v[30:31], v[151:152]
	v_fma_f64 v[143:144], v[143:144], v[30:31], -v[32:33]
	scratch_load_b128 v[30:33], off, off offset:560
	v_add_f64_e32 v[147:148], v[147:148], v[155:156]
	v_add_f64_e32 v[149:150], v[149:150], v[153:154]
	v_fma_f64 v[155:156], v[4:5], v[38:39], v[157:158]
	v_fma_f64 v[157:158], v[2:3], v[38:39], -v[40:41]
	ds_load_b128 v[2:5], v1 offset:1136
	s_wait_loadcnt_dscnt 0x801
	v_mul_f64_e32 v[151:152], v[135:136], v[141:142]
	v_mul_f64_e32 v[153:154], v[137:138], v[141:142]
	scratch_load_b128 v[38:41], off, off offset:576
	v_add_f64_e32 v[147:148], v[147:148], v[143:144]
	v_add_f64_e32 v[145:146], v[149:150], v[145:146]
	ds_load_b128 v[141:144], v1 offset:1152
	v_fma_f64 v[151:152], v[137:138], v[139:140], v[151:152]
	v_fma_f64 v[139:140], v[135:136], v[139:140], -v[153:154]
	scratch_load_b128 v[135:138], off, off offset:592
	s_wait_loadcnt_dscnt 0x901
	v_mul_f64_e32 v[149:150], v[2:3], v[36:37]
	v_mul_f64_e32 v[36:37], v[4:5], v[36:37]
	v_add_f64_e32 v[147:148], v[147:148], v[157:158]
	v_add_f64_e32 v[145:146], v[145:146], v[155:156]
	s_delay_alu instid0(VALU_DEP_4) | instskip(NEXT) | instid1(VALU_DEP_4)
	v_fma_f64 v[149:150], v[4:5], v[34:35], v[149:150]
	v_fma_f64 v[155:156], v[2:3], v[34:35], -v[36:37]
	ds_load_b128 v[2:5], v1 offset:1168
	s_wait_loadcnt_dscnt 0x801
	v_mul_f64_e32 v[153:154], v[141:142], v[8:9]
	v_mul_f64_e32 v[8:9], v[143:144], v[8:9]
	scratch_load_b128 v[34:37], off, off offset:608
	s_wait_loadcnt_dscnt 0x800
	v_mul_f64_e32 v[157:158], v[2:3], v[12:13]
	v_add_f64_e32 v[139:140], v[147:148], v[139:140]
	v_add_f64_e32 v[151:152], v[145:146], v[151:152]
	v_mul_f64_e32 v[12:13], v[4:5], v[12:13]
	ds_load_b128 v[145:148], v1 offset:1184
	v_fma_f64 v[143:144], v[143:144], v[6:7], v[153:154]
	v_fma_f64 v[141:142], v[141:142], v[6:7], -v[8:9]
	scratch_load_b128 v[6:9], off, off offset:624
	v_fma_f64 v[153:154], v[4:5], v[10:11], v[157:158]
	v_add_f64_e32 v[139:140], v[139:140], v[155:156]
	v_add_f64_e32 v[149:150], v[151:152], v[149:150]
	v_fma_f64 v[155:156], v[2:3], v[10:11], -v[12:13]
	ds_load_b128 v[2:5], v1 offset:1200
	s_wait_loadcnt_dscnt 0x801
	v_mul_f64_e32 v[151:152], v[145:146], v[16:17]
	v_mul_f64_e32 v[16:17], v[147:148], v[16:17]
	scratch_load_b128 v[10:13], off, off offset:640
	v_add_f64_e32 v[157:158], v[139:140], v[141:142]
	v_add_f64_e32 v[143:144], v[149:150], v[143:144]
	s_wait_loadcnt_dscnt 0x800
	v_mul_f64_e32 v[149:150], v[2:3], v[20:21]
	v_mul_f64_e32 v[20:21], v[4:5], v[20:21]
	v_fma_f64 v[147:148], v[147:148], v[14:15], v[151:152]
	v_fma_f64 v[145:146], v[145:146], v[14:15], -v[16:17]
	ds_load_b128 v[139:142], v1 offset:1216
	scratch_load_b128 v[14:17], off, off offset:656
	v_add_f64_e32 v[151:152], v[157:158], v[155:156]
	v_add_f64_e32 v[143:144], v[143:144], v[153:154]
	v_fma_f64 v[149:150], v[4:5], v[18:19], v[149:150]
	v_fma_f64 v[155:156], v[2:3], v[18:19], -v[20:21]
	ds_load_b128 v[2:5], v1 offset:1232
	s_wait_loadcnt_dscnt 0x801
	v_mul_f64_e32 v[153:154], v[139:140], v[24:25]
	v_mul_f64_e32 v[24:25], v[141:142], v[24:25]
	scratch_load_b128 v[18:21], off, off offset:672
	s_wait_loadcnt_dscnt 0x800
	v_mul_f64_e32 v[157:158], v[2:3], v[28:29]
	v_mul_f64_e32 v[28:29], v[4:5], v[28:29]
	v_add_f64_e32 v[151:152], v[151:152], v[145:146]
	v_add_f64_e32 v[147:148], v[143:144], v[147:148]
	ds_load_b128 v[143:146], v1 offset:1248
	v_fma_f64 v[141:142], v[141:142], v[22:23], v[153:154]
	v_fma_f64 v[139:140], v[139:140], v[22:23], -v[24:25]
	scratch_load_b128 v[22:25], off, off offset:688
	v_fma_f64 v[153:154], v[4:5], v[26:27], v[157:158]
	v_add_f64_e32 v[151:152], v[151:152], v[155:156]
	v_add_f64_e32 v[147:148], v[147:148], v[149:150]
	v_fma_f64 v[155:156], v[2:3], v[26:27], -v[28:29]
	ds_load_b128 v[2:5], v1 offset:1264
	s_wait_loadcnt_dscnt 0x801
	v_mul_f64_e32 v[149:150], v[143:144], v[32:33]
	v_mul_f64_e32 v[32:33], v[145:146], v[32:33]
	scratch_load_b128 v[26:29], off, off offset:704
	s_wait_loadcnt_dscnt 0x800
	v_mul_f64_e32 v[157:158], v[2:3], v[40:41]
	v_mul_f64_e32 v[40:41], v[4:5], v[40:41]
	v_add_f64_e32 v[151:152], v[151:152], v[139:140]
	v_add_f64_e32 v[147:148], v[147:148], v[141:142]
	ds_load_b128 v[139:142], v1 offset:1280
	v_fma_f64 v[145:146], v[145:146], v[30:31], v[149:150]
	v_fma_f64 v[30:31], v[143:144], v[30:31], -v[32:33]
	v_fma_f64 v[149:150], v[4:5], v[38:39], v[157:158]
	v_fma_f64 v[38:39], v[2:3], v[38:39], -v[40:41]
	v_add_f64_e32 v[32:33], v[151:152], v[155:156]
	v_add_f64_e32 v[143:144], v[147:148], v[153:154]
	s_wait_loadcnt_dscnt 0x700
	v_mul_f64_e32 v[147:148], v[139:140], v[137:138]
	v_mul_f64_e32 v[137:138], v[141:142], v[137:138]
	s_delay_alu instid0(VALU_DEP_4) | instskip(NEXT) | instid1(VALU_DEP_4)
	v_add_f64_e32 v[40:41], v[32:33], v[30:31]
	v_add_f64_e32 v[143:144], v[143:144], v[145:146]
	ds_load_b128 v[2:5], v1 offset:1296
	ds_load_b128 v[30:33], v1 offset:1312
	v_fma_f64 v[141:142], v[141:142], v[135:136], v[147:148]
	v_fma_f64 v[135:136], v[139:140], v[135:136], -v[137:138]
	s_wait_loadcnt_dscnt 0x601
	v_mul_f64_e32 v[145:146], v[2:3], v[36:37]
	v_mul_f64_e32 v[36:37], v[4:5], v[36:37]
	s_wait_loadcnt_dscnt 0x500
	v_mul_f64_e32 v[137:138], v[30:31], v[8:9]
	v_mul_f64_e32 v[8:9], v[32:33], v[8:9]
	v_add_f64_e32 v[38:39], v[40:41], v[38:39]
	v_add_f64_e32 v[40:41], v[143:144], v[149:150]
	v_fma_f64 v[139:140], v[4:5], v[34:35], v[145:146]
	v_fma_f64 v[143:144], v[2:3], v[34:35], -v[36:37]
	ds_load_b128 v[2:5], v1 offset:1328
	ds_load_b128 v[34:37], v1 offset:1344
	v_fma_f64 v[32:33], v[32:33], v[6:7], v[137:138]
	v_fma_f64 v[6:7], v[30:31], v[6:7], -v[8:9]
	v_add_f64_e32 v[38:39], v[38:39], v[135:136]
	v_add_f64_e32 v[40:41], v[40:41], v[141:142]
	s_wait_loadcnt_dscnt 0x401
	v_mul_f64_e32 v[135:136], v[2:3], v[12:13]
	v_mul_f64_e32 v[12:13], v[4:5], v[12:13]
	s_delay_alu instid0(VALU_DEP_4) | instskip(NEXT) | instid1(VALU_DEP_4)
	v_add_f64_e32 v[8:9], v[38:39], v[143:144]
	v_add_f64_e32 v[30:31], v[40:41], v[139:140]
	s_wait_loadcnt_dscnt 0x300
	v_mul_f64_e32 v[38:39], v[34:35], v[16:17]
	v_mul_f64_e32 v[16:17], v[36:37], v[16:17]
	v_fma_f64 v[40:41], v[4:5], v[10:11], v[135:136]
	v_fma_f64 v[10:11], v[2:3], v[10:11], -v[12:13]
	v_add_f64_e32 v[12:13], v[8:9], v[6:7]
	v_add_f64_e32 v[30:31], v[30:31], v[32:33]
	ds_load_b128 v[2:5], v1 offset:1360
	ds_load_b128 v[6:9], v1 offset:1376
	v_fma_f64 v[36:37], v[36:37], v[14:15], v[38:39]
	v_fma_f64 v[14:15], v[34:35], v[14:15], -v[16:17]
	s_wait_loadcnt_dscnt 0x201
	v_mul_f64_e32 v[32:33], v[2:3], v[20:21]
	v_mul_f64_e32 v[20:21], v[4:5], v[20:21]
	s_wait_loadcnt_dscnt 0x100
	v_mul_f64_e32 v[16:17], v[6:7], v[24:25]
	v_mul_f64_e32 v[24:25], v[8:9], v[24:25]
	v_add_f64_e32 v[10:11], v[12:13], v[10:11]
	v_add_f64_e32 v[12:13], v[30:31], v[40:41]
	v_fma_f64 v[30:31], v[4:5], v[18:19], v[32:33]
	v_fma_f64 v[18:19], v[2:3], v[18:19], -v[20:21]
	ds_load_b128 v[2:5], v1 offset:1392
	v_fma_f64 v[8:9], v[8:9], v[22:23], v[16:17]
	v_fma_f64 v[6:7], v[6:7], v[22:23], -v[24:25]
	v_add_f64_e32 v[10:11], v[10:11], v[14:15]
	v_add_f64_e32 v[12:13], v[12:13], v[36:37]
	s_wait_loadcnt_dscnt 0x0
	v_mul_f64_e32 v[14:15], v[2:3], v[28:29]
	v_mul_f64_e32 v[20:21], v[4:5], v[28:29]
	s_delay_alu instid0(VALU_DEP_4) | instskip(NEXT) | instid1(VALU_DEP_4)
	v_add_f64_e32 v[10:11], v[10:11], v[18:19]
	v_add_f64_e32 v[12:13], v[12:13], v[30:31]
	s_delay_alu instid0(VALU_DEP_4) | instskip(NEXT) | instid1(VALU_DEP_4)
	v_fma_f64 v[4:5], v[4:5], v[26:27], v[14:15]
	v_fma_f64 v[2:3], v[2:3], v[26:27], -v[20:21]
	s_delay_alu instid0(VALU_DEP_4) | instskip(NEXT) | instid1(VALU_DEP_4)
	v_add_f64_e32 v[6:7], v[10:11], v[6:7]
	v_add_f64_e32 v[8:9], v[12:13], v[8:9]
	s_delay_alu instid0(VALU_DEP_2) | instskip(NEXT) | instid1(VALU_DEP_2)
	v_add_f64_e32 v[2:3], v[6:7], v[2:3]
	v_add_f64_e32 v[4:5], v[8:9], v[4:5]
	s_delay_alu instid0(VALU_DEP_2) | instskip(NEXT) | instid1(VALU_DEP_2)
	v_add_f64_e64 v[2:3], v[42:43], -v[2:3]
	v_add_f64_e64 v[4:5], v[44:45], -v[4:5]
	scratch_store_b128 off, v[2:5], off offset:272
	v_cmpx_lt_u32_e32 15, v0
	s_cbranch_execz .LBB43_247
; %bb.246:
	scratch_load_b128 v[5:8], off, s42
	v_dual_mov_b32 v2, v1 :: v_dual_mov_b32 v3, v1
	v_mov_b32_e32 v4, v1
	scratch_store_b128 off, v[1:4], off offset:256
	s_wait_loadcnt 0x0
	ds_store_b128 v134, v[5:8]
.LBB43_247:
	s_wait_alu 0xfffe
	s_or_b32 exec_lo, exec_lo, s0
	s_wait_storecnt_dscnt 0x0
	s_barrier_signal -1
	s_barrier_wait -1
	global_inv scope:SCOPE_SE
	s_clause 0x8
	scratch_load_b128 v[2:5], off, off offset:272
	scratch_load_b128 v[6:9], off, off offset:288
	;; [unrolled: 1-line block ×9, first 2 shown]
	ds_load_b128 v[38:41], v1 offset:960
	ds_load_b128 v[42:45], v1 offset:976
	s_clause 0x1
	scratch_load_b128 v[135:138], off, off offset:256
	scratch_load_b128 v[139:142], off, off offset:416
	s_mov_b32 s0, exec_lo
	s_wait_loadcnt_dscnt 0xa01
	v_mul_f64_e32 v[143:144], v[40:41], v[4:5]
	v_mul_f64_e32 v[4:5], v[38:39], v[4:5]
	s_wait_loadcnt_dscnt 0x900
	v_mul_f64_e32 v[147:148], v[42:43], v[8:9]
	v_mul_f64_e32 v[8:9], v[44:45], v[8:9]
	s_delay_alu instid0(VALU_DEP_4) | instskip(NEXT) | instid1(VALU_DEP_4)
	v_fma_f64 v[149:150], v[38:39], v[2:3], -v[143:144]
	v_fma_f64 v[151:152], v[40:41], v[2:3], v[4:5]
	ds_load_b128 v[2:5], v1 offset:992
	ds_load_b128 v[143:146], v1 offset:1008
	scratch_load_b128 v[38:41], off, off offset:432
	v_fma_f64 v[44:45], v[44:45], v[6:7], v[147:148]
	v_fma_f64 v[42:43], v[42:43], v[6:7], -v[8:9]
	scratch_load_b128 v[6:9], off, off offset:448
	s_wait_loadcnt_dscnt 0xa01
	v_mul_f64_e32 v[153:154], v[2:3], v[12:13]
	v_mul_f64_e32 v[12:13], v[4:5], v[12:13]
	v_add_f64_e32 v[147:148], 0, v[149:150]
	v_add_f64_e32 v[149:150], 0, v[151:152]
	s_wait_loadcnt_dscnt 0x900
	v_mul_f64_e32 v[151:152], v[143:144], v[16:17]
	v_mul_f64_e32 v[16:17], v[145:146], v[16:17]
	v_fma_f64 v[153:154], v[4:5], v[10:11], v[153:154]
	v_fma_f64 v[155:156], v[2:3], v[10:11], -v[12:13]
	ds_load_b128 v[2:5], v1 offset:1024
	scratch_load_b128 v[10:13], off, off offset:464
	v_add_f64_e32 v[147:148], v[147:148], v[42:43]
	v_add_f64_e32 v[149:150], v[149:150], v[44:45]
	ds_load_b128 v[42:45], v1 offset:1040
	v_fma_f64 v[145:146], v[145:146], v[14:15], v[151:152]
	v_fma_f64 v[143:144], v[143:144], v[14:15], -v[16:17]
	scratch_load_b128 v[14:17], off, off offset:480
	s_wait_loadcnt_dscnt 0xa01
	v_mul_f64_e32 v[157:158], v[2:3], v[20:21]
	v_mul_f64_e32 v[20:21], v[4:5], v[20:21]
	s_wait_loadcnt_dscnt 0x900
	v_mul_f64_e32 v[151:152], v[42:43], v[24:25]
	v_mul_f64_e32 v[24:25], v[44:45], v[24:25]
	v_add_f64_e32 v[147:148], v[147:148], v[155:156]
	v_add_f64_e32 v[149:150], v[149:150], v[153:154]
	v_fma_f64 v[153:154], v[4:5], v[18:19], v[157:158]
	v_fma_f64 v[155:156], v[2:3], v[18:19], -v[20:21]
	ds_load_b128 v[2:5], v1 offset:1056
	scratch_load_b128 v[18:21], off, off offset:496
	v_fma_f64 v[44:45], v[44:45], v[22:23], v[151:152]
	v_fma_f64 v[42:43], v[42:43], v[22:23], -v[24:25]
	scratch_load_b128 v[22:25], off, off offset:512
	v_add_f64_e32 v[147:148], v[147:148], v[143:144]
	v_add_f64_e32 v[149:150], v[149:150], v[145:146]
	ds_load_b128 v[143:146], v1 offset:1072
	s_wait_loadcnt_dscnt 0xa01
	v_mul_f64_e32 v[157:158], v[2:3], v[28:29]
	v_mul_f64_e32 v[28:29], v[4:5], v[28:29]
	s_wait_loadcnt_dscnt 0x900
	v_mul_f64_e32 v[151:152], v[143:144], v[32:33]
	v_mul_f64_e32 v[32:33], v[145:146], v[32:33]
	v_add_f64_e32 v[147:148], v[147:148], v[155:156]
	v_add_f64_e32 v[149:150], v[149:150], v[153:154]
	v_fma_f64 v[153:154], v[4:5], v[26:27], v[157:158]
	v_fma_f64 v[155:156], v[2:3], v[26:27], -v[28:29]
	ds_load_b128 v[2:5], v1 offset:1088
	scratch_load_b128 v[26:29], off, off offset:528
	v_fma_f64 v[145:146], v[145:146], v[30:31], v[151:152]
	v_fma_f64 v[143:144], v[143:144], v[30:31], -v[32:33]
	scratch_load_b128 v[30:33], off, off offset:544
	v_add_f64_e32 v[147:148], v[147:148], v[42:43]
	v_add_f64_e32 v[149:150], v[149:150], v[44:45]
	ds_load_b128 v[42:45], v1 offset:1104
	s_wait_loadcnt_dscnt 0xa01
	v_mul_f64_e32 v[157:158], v[2:3], v[36:37]
	v_mul_f64_e32 v[36:37], v[4:5], v[36:37]
	s_wait_loadcnt_dscnt 0x800
	v_mul_f64_e32 v[151:152], v[42:43], v[141:142]
	v_add_f64_e32 v[147:148], v[147:148], v[155:156]
	v_add_f64_e32 v[149:150], v[149:150], v[153:154]
	v_mul_f64_e32 v[153:154], v[44:45], v[141:142]
	v_fma_f64 v[155:156], v[4:5], v[34:35], v[157:158]
	v_fma_f64 v[157:158], v[2:3], v[34:35], -v[36:37]
	ds_load_b128 v[2:5], v1 offset:1120
	scratch_load_b128 v[34:37], off, off offset:560
	v_fma_f64 v[44:45], v[44:45], v[139:140], v[151:152]
	v_add_f64_e32 v[147:148], v[147:148], v[143:144]
	v_add_f64_e32 v[145:146], v[149:150], v[145:146]
	ds_load_b128 v[141:144], v1 offset:1136
	v_fma_f64 v[139:140], v[42:43], v[139:140], -v[153:154]
	s_wait_loadcnt_dscnt 0x801
	v_mul_f64_e32 v[149:150], v[2:3], v[40:41]
	v_mul_f64_e32 v[159:160], v[4:5], v[40:41]
	scratch_load_b128 v[40:43], off, off offset:576
	s_wait_loadcnt_dscnt 0x800
	v_mul_f64_e32 v[153:154], v[141:142], v[8:9]
	v_mul_f64_e32 v[8:9], v[143:144], v[8:9]
	v_add_f64_e32 v[147:148], v[147:148], v[157:158]
	v_add_f64_e32 v[145:146], v[145:146], v[155:156]
	v_fma_f64 v[155:156], v[4:5], v[38:39], v[149:150]
	v_fma_f64 v[38:39], v[2:3], v[38:39], -v[159:160]
	ds_load_b128 v[2:5], v1 offset:1152
	ds_load_b128 v[149:152], v1 offset:1168
	v_fma_f64 v[143:144], v[143:144], v[6:7], v[153:154]
	v_fma_f64 v[141:142], v[141:142], v[6:7], -v[8:9]
	scratch_load_b128 v[6:9], off, off offset:608
	v_add_f64_e32 v[139:140], v[147:148], v[139:140]
	v_add_f64_e32 v[44:45], v[145:146], v[44:45]
	scratch_load_b128 v[145:148], off, off offset:592
	s_wait_loadcnt_dscnt 0x901
	v_mul_f64_e32 v[157:158], v[2:3], v[12:13]
	v_mul_f64_e32 v[12:13], v[4:5], v[12:13]
	s_wait_loadcnt_dscnt 0x800
	v_mul_f64_e32 v[153:154], v[149:150], v[16:17]
	v_mul_f64_e32 v[16:17], v[151:152], v[16:17]
	v_add_f64_e32 v[38:39], v[139:140], v[38:39]
	v_add_f64_e32 v[44:45], v[44:45], v[155:156]
	v_fma_f64 v[155:156], v[4:5], v[10:11], v[157:158]
	v_fma_f64 v[157:158], v[2:3], v[10:11], -v[12:13]
	ds_load_b128 v[2:5], v1 offset:1184
	scratch_load_b128 v[10:13], off, off offset:624
	v_fma_f64 v[151:152], v[151:152], v[14:15], v[153:154]
	v_fma_f64 v[149:150], v[149:150], v[14:15], -v[16:17]
	scratch_load_b128 v[14:17], off, off offset:640
	v_add_f64_e32 v[38:39], v[38:39], v[141:142]
	v_add_f64_e32 v[44:45], v[44:45], v[143:144]
	ds_load_b128 v[139:142], v1 offset:1200
	s_wait_loadcnt_dscnt 0x901
	v_mul_f64_e32 v[143:144], v[2:3], v[20:21]
	v_mul_f64_e32 v[20:21], v[4:5], v[20:21]
	s_wait_loadcnt_dscnt 0x800
	v_mul_f64_e32 v[153:154], v[139:140], v[24:25]
	v_mul_f64_e32 v[24:25], v[141:142], v[24:25]
	v_add_f64_e32 v[38:39], v[38:39], v[157:158]
	v_add_f64_e32 v[44:45], v[44:45], v[155:156]
	v_fma_f64 v[143:144], v[4:5], v[18:19], v[143:144]
	v_fma_f64 v[155:156], v[2:3], v[18:19], -v[20:21]
	ds_load_b128 v[2:5], v1 offset:1216
	scratch_load_b128 v[18:21], off, off offset:656
	v_fma_f64 v[141:142], v[141:142], v[22:23], v[153:154]
	v_fma_f64 v[139:140], v[139:140], v[22:23], -v[24:25]
	scratch_load_b128 v[22:25], off, off offset:672
	v_add_f64_e32 v[38:39], v[38:39], v[149:150]
	v_add_f64_e32 v[44:45], v[44:45], v[151:152]
	ds_load_b128 v[149:152], v1 offset:1232
	s_wait_loadcnt_dscnt 0x901
	v_mul_f64_e32 v[157:158], v[2:3], v[28:29]
	v_mul_f64_e32 v[28:29], v[4:5], v[28:29]
	v_add_f64_e32 v[38:39], v[38:39], v[155:156]
	v_add_f64_e32 v[44:45], v[44:45], v[143:144]
	s_wait_loadcnt_dscnt 0x800
	v_mul_f64_e32 v[143:144], v[149:150], v[32:33]
	v_mul_f64_e32 v[32:33], v[151:152], v[32:33]
	v_fma_f64 v[153:154], v[4:5], v[26:27], v[157:158]
	v_fma_f64 v[155:156], v[2:3], v[26:27], -v[28:29]
	ds_load_b128 v[2:5], v1 offset:1248
	scratch_load_b128 v[26:29], off, off offset:688
	v_add_f64_e32 v[38:39], v[38:39], v[139:140]
	v_add_f64_e32 v[44:45], v[44:45], v[141:142]
	ds_load_b128 v[139:142], v1 offset:1264
	s_wait_loadcnt_dscnt 0x801
	v_mul_f64_e32 v[157:158], v[2:3], v[36:37]
	v_mul_f64_e32 v[36:37], v[4:5], v[36:37]
	v_fma_f64 v[143:144], v[151:152], v[30:31], v[143:144]
	v_fma_f64 v[149:150], v[149:150], v[30:31], -v[32:33]
	scratch_load_b128 v[30:33], off, off offset:704
	s_wait_loadcnt_dscnt 0x800
	v_mul_f64_e32 v[151:152], v[139:140], v[42:43]
	v_add_f64_e32 v[38:39], v[38:39], v[155:156]
	v_add_f64_e32 v[44:45], v[44:45], v[153:154]
	v_mul_f64_e32 v[42:43], v[141:142], v[42:43]
	v_fma_f64 v[153:154], v[4:5], v[34:35], v[157:158]
	v_fma_f64 v[155:156], v[2:3], v[34:35], -v[36:37]
	ds_load_b128 v[2:5], v1 offset:1280
	ds_load_b128 v[34:37], v1 offset:1296
	v_fma_f64 v[141:142], v[141:142], v[40:41], v[151:152]
	v_add_f64_e32 v[38:39], v[38:39], v[149:150]
	v_add_f64_e32 v[44:45], v[44:45], v[143:144]
	v_fma_f64 v[40:41], v[139:140], v[40:41], -v[42:43]
	s_wait_loadcnt_dscnt 0x601
	v_mul_f64_e32 v[143:144], v[2:3], v[147:148]
	v_mul_f64_e32 v[147:148], v[4:5], v[147:148]
	v_add_f64_e32 v[38:39], v[38:39], v[155:156]
	v_add_f64_e32 v[42:43], v[44:45], v[153:154]
	s_wait_dscnt 0x0
	v_mul_f64_e32 v[44:45], v[34:35], v[8:9]
	v_mul_f64_e32 v[8:9], v[36:37], v[8:9]
	v_fma_f64 v[139:140], v[4:5], v[145:146], v[143:144]
	v_fma_f64 v[143:144], v[2:3], v[145:146], -v[147:148]
	v_add_f64_e32 v[145:146], v[38:39], v[40:41]
	v_add_f64_e32 v[42:43], v[42:43], v[141:142]
	ds_load_b128 v[2:5], v1 offset:1312
	ds_load_b128 v[38:41], v1 offset:1328
	v_fma_f64 v[36:37], v[36:37], v[6:7], v[44:45]
	v_fma_f64 v[6:7], v[34:35], v[6:7], -v[8:9]
	s_wait_loadcnt_dscnt 0x501
	v_mul_f64_e32 v[141:142], v[2:3], v[12:13]
	v_mul_f64_e32 v[12:13], v[4:5], v[12:13]
	v_add_f64_e32 v[8:9], v[145:146], v[143:144]
	v_add_f64_e32 v[34:35], v[42:43], v[139:140]
	s_wait_loadcnt_dscnt 0x400
	v_mul_f64_e32 v[42:43], v[38:39], v[16:17]
	v_mul_f64_e32 v[16:17], v[40:41], v[16:17]
	v_fma_f64 v[44:45], v[4:5], v[10:11], v[141:142]
	v_fma_f64 v[10:11], v[2:3], v[10:11], -v[12:13]
	v_add_f64_e32 v[12:13], v[8:9], v[6:7]
	v_add_f64_e32 v[34:35], v[34:35], v[36:37]
	ds_load_b128 v[2:5], v1 offset:1344
	ds_load_b128 v[6:9], v1 offset:1360
	v_fma_f64 v[40:41], v[40:41], v[14:15], v[42:43]
	v_fma_f64 v[14:15], v[38:39], v[14:15], -v[16:17]
	s_wait_loadcnt_dscnt 0x301
	v_mul_f64_e32 v[36:37], v[2:3], v[20:21]
	v_mul_f64_e32 v[20:21], v[4:5], v[20:21]
	s_wait_loadcnt_dscnt 0x200
	v_mul_f64_e32 v[16:17], v[6:7], v[24:25]
	v_mul_f64_e32 v[24:25], v[8:9], v[24:25]
	v_add_f64_e32 v[10:11], v[12:13], v[10:11]
	v_add_f64_e32 v[12:13], v[34:35], v[44:45]
	v_fma_f64 v[34:35], v[4:5], v[18:19], v[36:37]
	v_fma_f64 v[18:19], v[2:3], v[18:19], -v[20:21]
	v_fma_f64 v[8:9], v[8:9], v[22:23], v[16:17]
	v_fma_f64 v[6:7], v[6:7], v[22:23], -v[24:25]
	v_add_f64_e32 v[14:15], v[10:11], v[14:15]
	v_add_f64_e32 v[20:21], v[12:13], v[40:41]
	ds_load_b128 v[2:5], v1 offset:1376
	ds_load_b128 v[10:13], v1 offset:1392
	s_wait_loadcnt_dscnt 0x101
	v_mul_f64_e32 v[36:37], v[2:3], v[28:29]
	v_mul_f64_e32 v[28:29], v[4:5], v[28:29]
	v_add_f64_e32 v[14:15], v[14:15], v[18:19]
	v_add_f64_e32 v[16:17], v[20:21], v[34:35]
	s_wait_loadcnt_dscnt 0x0
	v_mul_f64_e32 v[18:19], v[10:11], v[32:33]
	v_mul_f64_e32 v[20:21], v[12:13], v[32:33]
	v_fma_f64 v[4:5], v[4:5], v[26:27], v[36:37]
	v_fma_f64 v[1:2], v[2:3], v[26:27], -v[28:29]
	v_add_f64_e32 v[6:7], v[14:15], v[6:7]
	v_add_f64_e32 v[8:9], v[16:17], v[8:9]
	v_fma_f64 v[12:13], v[12:13], v[30:31], v[18:19]
	v_fma_f64 v[10:11], v[10:11], v[30:31], -v[20:21]
	s_delay_alu instid0(VALU_DEP_4) | instskip(NEXT) | instid1(VALU_DEP_4)
	v_add_f64_e32 v[1:2], v[6:7], v[1:2]
	v_add_f64_e32 v[3:4], v[8:9], v[4:5]
	s_delay_alu instid0(VALU_DEP_2) | instskip(NEXT) | instid1(VALU_DEP_2)
	v_add_f64_e32 v[1:2], v[1:2], v[10:11]
	v_add_f64_e32 v[3:4], v[3:4], v[12:13]
	s_delay_alu instid0(VALU_DEP_2) | instskip(NEXT) | instid1(VALU_DEP_2)
	v_add_f64_e64 v[1:2], v[135:136], -v[1:2]
	v_add_f64_e64 v[3:4], v[137:138], -v[3:4]
	scratch_store_b128 off, v[1:4], off offset:256
	v_cmpx_lt_u32_e32 14, v0
	s_cbranch_execz .LBB43_249
; %bb.248:
	scratch_load_b128 v[1:4], off, s43
	v_mov_b32_e32 v5, 0
	s_delay_alu instid0(VALU_DEP_1)
	v_dual_mov_b32 v6, v5 :: v_dual_mov_b32 v7, v5
	v_mov_b32_e32 v8, v5
	scratch_store_b128 off, v[5:8], off offset:240
	s_wait_loadcnt 0x0
	ds_store_b128 v134, v[1:4]
.LBB43_249:
	s_wait_alu 0xfffe
	s_or_b32 exec_lo, exec_lo, s0
	s_wait_storecnt_dscnt 0x0
	s_barrier_signal -1
	s_barrier_wait -1
	global_inv scope:SCOPE_SE
	s_clause 0x7
	scratch_load_b128 v[2:5], off, off offset:256
	scratch_load_b128 v[6:9], off, off offset:272
	;; [unrolled: 1-line block ×8, first 2 shown]
	v_mov_b32_e32 v1, 0
	s_mov_b32 s0, exec_lo
	ds_load_b128 v[34:37], v1 offset:944
	s_clause 0x1
	scratch_load_b128 v[38:41], off, off offset:384
	scratch_load_b128 v[42:45], off, off offset:240
	ds_load_b128 v[135:138], v1 offset:960
	scratch_load_b128 v[139:142], off, off offset:400
	s_wait_loadcnt_dscnt 0xa01
	v_mul_f64_e32 v[143:144], v[36:37], v[4:5]
	v_mul_f64_e32 v[4:5], v[34:35], v[4:5]
	s_delay_alu instid0(VALU_DEP_2) | instskip(NEXT) | instid1(VALU_DEP_2)
	v_fma_f64 v[149:150], v[34:35], v[2:3], -v[143:144]
	v_fma_f64 v[151:152], v[36:37], v[2:3], v[4:5]
	ds_load_b128 v[2:5], v1 offset:976
	s_wait_loadcnt_dscnt 0x901
	v_mul_f64_e32 v[147:148], v[135:136], v[8:9]
	v_mul_f64_e32 v[8:9], v[137:138], v[8:9]
	scratch_load_b128 v[34:37], off, off offset:416
	ds_load_b128 v[143:146], v1 offset:992
	s_wait_loadcnt_dscnt 0x901
	v_mul_f64_e32 v[153:154], v[2:3], v[12:13]
	v_mul_f64_e32 v[12:13], v[4:5], v[12:13]
	v_fma_f64 v[137:138], v[137:138], v[6:7], v[147:148]
	v_fma_f64 v[135:136], v[135:136], v[6:7], -v[8:9]
	v_add_f64_e32 v[147:148], 0, v[149:150]
	v_add_f64_e32 v[149:150], 0, v[151:152]
	scratch_load_b128 v[6:9], off, off offset:432
	v_fma_f64 v[153:154], v[4:5], v[10:11], v[153:154]
	v_fma_f64 v[155:156], v[2:3], v[10:11], -v[12:13]
	ds_load_b128 v[2:5], v1 offset:1008
	s_wait_loadcnt_dscnt 0x901
	v_mul_f64_e32 v[151:152], v[143:144], v[16:17]
	v_mul_f64_e32 v[16:17], v[145:146], v[16:17]
	scratch_load_b128 v[10:13], off, off offset:448
	v_add_f64_e32 v[147:148], v[147:148], v[135:136]
	v_add_f64_e32 v[149:150], v[149:150], v[137:138]
	s_wait_loadcnt_dscnt 0x900
	v_mul_f64_e32 v[157:158], v[2:3], v[20:21]
	v_mul_f64_e32 v[20:21], v[4:5], v[20:21]
	ds_load_b128 v[135:138], v1 offset:1024
	v_fma_f64 v[145:146], v[145:146], v[14:15], v[151:152]
	v_fma_f64 v[143:144], v[143:144], v[14:15], -v[16:17]
	scratch_load_b128 v[14:17], off, off offset:464
	v_add_f64_e32 v[147:148], v[147:148], v[155:156]
	v_add_f64_e32 v[149:150], v[149:150], v[153:154]
	v_fma_f64 v[153:154], v[4:5], v[18:19], v[157:158]
	v_fma_f64 v[155:156], v[2:3], v[18:19], -v[20:21]
	ds_load_b128 v[2:5], v1 offset:1040
	s_wait_loadcnt_dscnt 0x901
	v_mul_f64_e32 v[151:152], v[135:136], v[24:25]
	v_mul_f64_e32 v[24:25], v[137:138], v[24:25]
	scratch_load_b128 v[18:21], off, off offset:480
	s_wait_loadcnt_dscnt 0x900
	v_mul_f64_e32 v[157:158], v[2:3], v[28:29]
	v_mul_f64_e32 v[28:29], v[4:5], v[28:29]
	v_add_f64_e32 v[147:148], v[147:148], v[143:144]
	v_add_f64_e32 v[149:150], v[149:150], v[145:146]
	ds_load_b128 v[143:146], v1 offset:1056
	v_fma_f64 v[137:138], v[137:138], v[22:23], v[151:152]
	v_fma_f64 v[135:136], v[135:136], v[22:23], -v[24:25]
	scratch_load_b128 v[22:25], off, off offset:496
	v_add_f64_e32 v[147:148], v[147:148], v[155:156]
	v_add_f64_e32 v[149:150], v[149:150], v[153:154]
	v_fma_f64 v[153:154], v[4:5], v[26:27], v[157:158]
	v_fma_f64 v[155:156], v[2:3], v[26:27], -v[28:29]
	ds_load_b128 v[2:5], v1 offset:1072
	s_wait_loadcnt_dscnt 0x901
	v_mul_f64_e32 v[151:152], v[143:144], v[32:33]
	v_mul_f64_e32 v[32:33], v[145:146], v[32:33]
	scratch_load_b128 v[26:29], off, off offset:512
	s_wait_loadcnt_dscnt 0x900
	v_mul_f64_e32 v[157:158], v[2:3], v[40:41]
	v_mul_f64_e32 v[40:41], v[4:5], v[40:41]
	v_add_f64_e32 v[147:148], v[147:148], v[135:136]
	v_add_f64_e32 v[149:150], v[149:150], v[137:138]
	ds_load_b128 v[135:138], v1 offset:1088
	v_fma_f64 v[145:146], v[145:146], v[30:31], v[151:152]
	v_fma_f64 v[143:144], v[143:144], v[30:31], -v[32:33]
	scratch_load_b128 v[30:33], off, off offset:528
	v_add_f64_e32 v[147:148], v[147:148], v[155:156]
	v_add_f64_e32 v[149:150], v[149:150], v[153:154]
	v_fma_f64 v[155:156], v[4:5], v[38:39], v[157:158]
	v_fma_f64 v[157:158], v[2:3], v[38:39], -v[40:41]
	ds_load_b128 v[2:5], v1 offset:1104
	s_wait_loadcnt_dscnt 0x801
	v_mul_f64_e32 v[151:152], v[135:136], v[141:142]
	v_mul_f64_e32 v[153:154], v[137:138], v[141:142]
	scratch_load_b128 v[38:41], off, off offset:544
	v_add_f64_e32 v[147:148], v[147:148], v[143:144]
	v_add_f64_e32 v[145:146], v[149:150], v[145:146]
	ds_load_b128 v[141:144], v1 offset:1120
	v_fma_f64 v[151:152], v[137:138], v[139:140], v[151:152]
	v_fma_f64 v[139:140], v[135:136], v[139:140], -v[153:154]
	scratch_load_b128 v[135:138], off, off offset:560
	s_wait_loadcnt_dscnt 0x901
	v_mul_f64_e32 v[149:150], v[2:3], v[36:37]
	v_mul_f64_e32 v[36:37], v[4:5], v[36:37]
	v_add_f64_e32 v[147:148], v[147:148], v[157:158]
	v_add_f64_e32 v[145:146], v[145:146], v[155:156]
	s_delay_alu instid0(VALU_DEP_4) | instskip(NEXT) | instid1(VALU_DEP_4)
	v_fma_f64 v[149:150], v[4:5], v[34:35], v[149:150]
	v_fma_f64 v[155:156], v[2:3], v[34:35], -v[36:37]
	ds_load_b128 v[2:5], v1 offset:1136
	s_wait_loadcnt_dscnt 0x801
	v_mul_f64_e32 v[153:154], v[141:142], v[8:9]
	v_mul_f64_e32 v[8:9], v[143:144], v[8:9]
	scratch_load_b128 v[34:37], off, off offset:576
	s_wait_loadcnt_dscnt 0x800
	v_mul_f64_e32 v[157:158], v[2:3], v[12:13]
	v_add_f64_e32 v[139:140], v[147:148], v[139:140]
	v_add_f64_e32 v[151:152], v[145:146], v[151:152]
	v_mul_f64_e32 v[12:13], v[4:5], v[12:13]
	ds_load_b128 v[145:148], v1 offset:1152
	v_fma_f64 v[143:144], v[143:144], v[6:7], v[153:154]
	v_fma_f64 v[141:142], v[141:142], v[6:7], -v[8:9]
	scratch_load_b128 v[6:9], off, off offset:592
	v_fma_f64 v[153:154], v[4:5], v[10:11], v[157:158]
	v_add_f64_e32 v[139:140], v[139:140], v[155:156]
	v_add_f64_e32 v[149:150], v[151:152], v[149:150]
	v_fma_f64 v[155:156], v[2:3], v[10:11], -v[12:13]
	ds_load_b128 v[2:5], v1 offset:1168
	s_wait_loadcnt_dscnt 0x801
	v_mul_f64_e32 v[151:152], v[145:146], v[16:17]
	v_mul_f64_e32 v[16:17], v[147:148], v[16:17]
	scratch_load_b128 v[10:13], off, off offset:608
	v_add_f64_e32 v[157:158], v[139:140], v[141:142]
	v_add_f64_e32 v[143:144], v[149:150], v[143:144]
	s_wait_loadcnt_dscnt 0x800
	v_mul_f64_e32 v[149:150], v[2:3], v[20:21]
	v_mul_f64_e32 v[20:21], v[4:5], v[20:21]
	v_fma_f64 v[147:148], v[147:148], v[14:15], v[151:152]
	v_fma_f64 v[145:146], v[145:146], v[14:15], -v[16:17]
	ds_load_b128 v[139:142], v1 offset:1184
	scratch_load_b128 v[14:17], off, off offset:624
	v_add_f64_e32 v[151:152], v[157:158], v[155:156]
	v_add_f64_e32 v[143:144], v[143:144], v[153:154]
	v_fma_f64 v[149:150], v[4:5], v[18:19], v[149:150]
	v_fma_f64 v[155:156], v[2:3], v[18:19], -v[20:21]
	ds_load_b128 v[2:5], v1 offset:1200
	s_wait_loadcnt_dscnt 0x801
	v_mul_f64_e32 v[153:154], v[139:140], v[24:25]
	v_mul_f64_e32 v[24:25], v[141:142], v[24:25]
	scratch_load_b128 v[18:21], off, off offset:640
	s_wait_loadcnt_dscnt 0x800
	v_mul_f64_e32 v[157:158], v[2:3], v[28:29]
	v_mul_f64_e32 v[28:29], v[4:5], v[28:29]
	v_add_f64_e32 v[151:152], v[151:152], v[145:146]
	v_add_f64_e32 v[147:148], v[143:144], v[147:148]
	ds_load_b128 v[143:146], v1 offset:1216
	v_fma_f64 v[141:142], v[141:142], v[22:23], v[153:154]
	v_fma_f64 v[139:140], v[139:140], v[22:23], -v[24:25]
	scratch_load_b128 v[22:25], off, off offset:656
	v_fma_f64 v[153:154], v[4:5], v[26:27], v[157:158]
	v_add_f64_e32 v[151:152], v[151:152], v[155:156]
	v_add_f64_e32 v[147:148], v[147:148], v[149:150]
	v_fma_f64 v[155:156], v[2:3], v[26:27], -v[28:29]
	ds_load_b128 v[2:5], v1 offset:1232
	s_wait_loadcnt_dscnt 0x801
	v_mul_f64_e32 v[149:150], v[143:144], v[32:33]
	v_mul_f64_e32 v[32:33], v[145:146], v[32:33]
	scratch_load_b128 v[26:29], off, off offset:672
	s_wait_loadcnt_dscnt 0x800
	v_mul_f64_e32 v[157:158], v[2:3], v[40:41]
	v_mul_f64_e32 v[40:41], v[4:5], v[40:41]
	v_add_f64_e32 v[151:152], v[151:152], v[139:140]
	v_add_f64_e32 v[147:148], v[147:148], v[141:142]
	ds_load_b128 v[139:142], v1 offset:1248
	v_fma_f64 v[145:146], v[145:146], v[30:31], v[149:150]
	v_fma_f64 v[143:144], v[143:144], v[30:31], -v[32:33]
	scratch_load_b128 v[30:33], off, off offset:688
	v_add_f64_e32 v[149:150], v[151:152], v[155:156]
	v_add_f64_e32 v[147:148], v[147:148], v[153:154]
	v_fma_f64 v[153:154], v[4:5], v[38:39], v[157:158]
	v_fma_f64 v[155:156], v[2:3], v[38:39], -v[40:41]
	ds_load_b128 v[2:5], v1 offset:1264
	s_wait_loadcnt_dscnt 0x801
	v_mul_f64_e32 v[151:152], v[139:140], v[137:138]
	v_mul_f64_e32 v[137:138], v[141:142], v[137:138]
	scratch_load_b128 v[38:41], off, off offset:704
	s_wait_loadcnt_dscnt 0x800
	v_mul_f64_e32 v[157:158], v[2:3], v[36:37]
	v_mul_f64_e32 v[36:37], v[4:5], v[36:37]
	v_add_f64_e32 v[149:150], v[149:150], v[143:144]
	v_add_f64_e32 v[147:148], v[147:148], v[145:146]
	ds_load_b128 v[143:146], v1 offset:1280
	v_fma_f64 v[141:142], v[141:142], v[135:136], v[151:152]
	v_fma_f64 v[135:136], v[139:140], v[135:136], -v[137:138]
	v_fma_f64 v[151:152], v[2:3], v[34:35], -v[36:37]
	v_add_f64_e32 v[137:138], v[149:150], v[155:156]
	v_add_f64_e32 v[139:140], v[147:148], v[153:154]
	s_wait_loadcnt_dscnt 0x700
	v_mul_f64_e32 v[147:148], v[143:144], v[8:9]
	v_mul_f64_e32 v[8:9], v[145:146], v[8:9]
	v_fma_f64 v[149:150], v[4:5], v[34:35], v[157:158]
	ds_load_b128 v[2:5], v1 offset:1296
	ds_load_b128 v[34:37], v1 offset:1312
	v_add_f64_e32 v[135:136], v[137:138], v[135:136]
	v_add_f64_e32 v[137:138], v[139:140], v[141:142]
	s_wait_loadcnt_dscnt 0x601
	v_mul_f64_e32 v[139:140], v[2:3], v[12:13]
	v_mul_f64_e32 v[12:13], v[4:5], v[12:13]
	v_fma_f64 v[141:142], v[145:146], v[6:7], v[147:148]
	v_fma_f64 v[6:7], v[143:144], v[6:7], -v[8:9]
	v_add_f64_e32 v[8:9], v[135:136], v[151:152]
	v_add_f64_e32 v[135:136], v[137:138], v[149:150]
	s_wait_loadcnt_dscnt 0x500
	v_mul_f64_e32 v[137:138], v[34:35], v[16:17]
	v_mul_f64_e32 v[16:17], v[36:37], v[16:17]
	v_fma_f64 v[139:140], v[4:5], v[10:11], v[139:140]
	v_fma_f64 v[10:11], v[2:3], v[10:11], -v[12:13]
	v_add_f64_e32 v[12:13], v[8:9], v[6:7]
	v_add_f64_e32 v[135:136], v[135:136], v[141:142]
	ds_load_b128 v[2:5], v1 offset:1328
	ds_load_b128 v[6:9], v1 offset:1344
	v_fma_f64 v[36:37], v[36:37], v[14:15], v[137:138]
	v_fma_f64 v[14:15], v[34:35], v[14:15], -v[16:17]
	s_wait_loadcnt_dscnt 0x401
	v_mul_f64_e32 v[141:142], v[2:3], v[20:21]
	v_mul_f64_e32 v[20:21], v[4:5], v[20:21]
	s_wait_loadcnt_dscnt 0x300
	v_mul_f64_e32 v[16:17], v[6:7], v[24:25]
	v_mul_f64_e32 v[24:25], v[8:9], v[24:25]
	v_add_f64_e32 v[10:11], v[12:13], v[10:11]
	v_add_f64_e32 v[12:13], v[135:136], v[139:140]
	v_fma_f64 v[34:35], v[4:5], v[18:19], v[141:142]
	v_fma_f64 v[18:19], v[2:3], v[18:19], -v[20:21]
	v_fma_f64 v[8:9], v[8:9], v[22:23], v[16:17]
	v_fma_f64 v[6:7], v[6:7], v[22:23], -v[24:25]
	v_add_f64_e32 v[14:15], v[10:11], v[14:15]
	v_add_f64_e32 v[20:21], v[12:13], v[36:37]
	ds_load_b128 v[2:5], v1 offset:1360
	ds_load_b128 v[10:13], v1 offset:1376
	s_wait_loadcnt_dscnt 0x201
	v_mul_f64_e32 v[36:37], v[2:3], v[28:29]
	v_mul_f64_e32 v[28:29], v[4:5], v[28:29]
	v_add_f64_e32 v[14:15], v[14:15], v[18:19]
	v_add_f64_e32 v[16:17], v[20:21], v[34:35]
	s_wait_loadcnt_dscnt 0x100
	v_mul_f64_e32 v[18:19], v[10:11], v[32:33]
	v_mul_f64_e32 v[20:21], v[12:13], v[32:33]
	v_fma_f64 v[22:23], v[4:5], v[26:27], v[36:37]
	v_fma_f64 v[24:25], v[2:3], v[26:27], -v[28:29]
	ds_load_b128 v[2:5], v1 offset:1392
	v_add_f64_e32 v[6:7], v[14:15], v[6:7]
	v_add_f64_e32 v[8:9], v[16:17], v[8:9]
	v_fma_f64 v[12:13], v[12:13], v[30:31], v[18:19]
	v_fma_f64 v[10:11], v[10:11], v[30:31], -v[20:21]
	s_wait_loadcnt_dscnt 0x0
	v_mul_f64_e32 v[14:15], v[2:3], v[40:41]
	v_mul_f64_e32 v[16:17], v[4:5], v[40:41]
	v_add_f64_e32 v[6:7], v[6:7], v[24:25]
	v_add_f64_e32 v[8:9], v[8:9], v[22:23]
	s_delay_alu instid0(VALU_DEP_4) | instskip(NEXT) | instid1(VALU_DEP_4)
	v_fma_f64 v[4:5], v[4:5], v[38:39], v[14:15]
	v_fma_f64 v[2:3], v[2:3], v[38:39], -v[16:17]
	s_delay_alu instid0(VALU_DEP_4) | instskip(NEXT) | instid1(VALU_DEP_4)
	v_add_f64_e32 v[6:7], v[6:7], v[10:11]
	v_add_f64_e32 v[8:9], v[8:9], v[12:13]
	s_delay_alu instid0(VALU_DEP_2) | instskip(NEXT) | instid1(VALU_DEP_2)
	v_add_f64_e32 v[2:3], v[6:7], v[2:3]
	v_add_f64_e32 v[4:5], v[8:9], v[4:5]
	s_delay_alu instid0(VALU_DEP_2) | instskip(NEXT) | instid1(VALU_DEP_2)
	v_add_f64_e64 v[2:3], v[42:43], -v[2:3]
	v_add_f64_e64 v[4:5], v[44:45], -v[4:5]
	scratch_store_b128 off, v[2:5], off offset:240
	v_cmpx_lt_u32_e32 13, v0
	s_cbranch_execz .LBB43_251
; %bb.250:
	scratch_load_b128 v[5:8], off, s44
	v_dual_mov_b32 v2, v1 :: v_dual_mov_b32 v3, v1
	v_mov_b32_e32 v4, v1
	scratch_store_b128 off, v[1:4], off offset:224
	s_wait_loadcnt 0x0
	ds_store_b128 v134, v[5:8]
.LBB43_251:
	s_wait_alu 0xfffe
	s_or_b32 exec_lo, exec_lo, s0
	s_wait_storecnt_dscnt 0x0
	s_barrier_signal -1
	s_barrier_wait -1
	global_inv scope:SCOPE_SE
	s_clause 0x8
	scratch_load_b128 v[2:5], off, off offset:240
	scratch_load_b128 v[6:9], off, off offset:256
	;; [unrolled: 1-line block ×9, first 2 shown]
	ds_load_b128 v[38:41], v1 offset:928
	ds_load_b128 v[42:45], v1 offset:944
	s_clause 0x1
	scratch_load_b128 v[135:138], off, off offset:224
	scratch_load_b128 v[139:142], off, off offset:384
	s_mov_b32 s0, exec_lo
	s_wait_loadcnt_dscnt 0xa01
	v_mul_f64_e32 v[143:144], v[40:41], v[4:5]
	v_mul_f64_e32 v[4:5], v[38:39], v[4:5]
	s_wait_loadcnt_dscnt 0x900
	v_mul_f64_e32 v[147:148], v[42:43], v[8:9]
	v_mul_f64_e32 v[8:9], v[44:45], v[8:9]
	s_delay_alu instid0(VALU_DEP_4) | instskip(NEXT) | instid1(VALU_DEP_4)
	v_fma_f64 v[149:150], v[38:39], v[2:3], -v[143:144]
	v_fma_f64 v[151:152], v[40:41], v[2:3], v[4:5]
	ds_load_b128 v[2:5], v1 offset:960
	ds_load_b128 v[143:146], v1 offset:976
	scratch_load_b128 v[38:41], off, off offset:400
	v_fma_f64 v[44:45], v[44:45], v[6:7], v[147:148]
	v_fma_f64 v[42:43], v[42:43], v[6:7], -v[8:9]
	scratch_load_b128 v[6:9], off, off offset:416
	s_wait_loadcnt_dscnt 0xa01
	v_mul_f64_e32 v[153:154], v[2:3], v[12:13]
	v_mul_f64_e32 v[12:13], v[4:5], v[12:13]
	v_add_f64_e32 v[147:148], 0, v[149:150]
	v_add_f64_e32 v[149:150], 0, v[151:152]
	s_wait_loadcnt_dscnt 0x900
	v_mul_f64_e32 v[151:152], v[143:144], v[16:17]
	v_mul_f64_e32 v[16:17], v[145:146], v[16:17]
	v_fma_f64 v[153:154], v[4:5], v[10:11], v[153:154]
	v_fma_f64 v[155:156], v[2:3], v[10:11], -v[12:13]
	ds_load_b128 v[2:5], v1 offset:992
	scratch_load_b128 v[10:13], off, off offset:432
	v_add_f64_e32 v[147:148], v[147:148], v[42:43]
	v_add_f64_e32 v[149:150], v[149:150], v[44:45]
	ds_load_b128 v[42:45], v1 offset:1008
	v_fma_f64 v[145:146], v[145:146], v[14:15], v[151:152]
	v_fma_f64 v[143:144], v[143:144], v[14:15], -v[16:17]
	scratch_load_b128 v[14:17], off, off offset:448
	s_wait_loadcnt_dscnt 0xa01
	v_mul_f64_e32 v[157:158], v[2:3], v[20:21]
	v_mul_f64_e32 v[20:21], v[4:5], v[20:21]
	s_wait_loadcnt_dscnt 0x900
	v_mul_f64_e32 v[151:152], v[42:43], v[24:25]
	v_mul_f64_e32 v[24:25], v[44:45], v[24:25]
	v_add_f64_e32 v[147:148], v[147:148], v[155:156]
	v_add_f64_e32 v[149:150], v[149:150], v[153:154]
	v_fma_f64 v[153:154], v[4:5], v[18:19], v[157:158]
	v_fma_f64 v[155:156], v[2:3], v[18:19], -v[20:21]
	ds_load_b128 v[2:5], v1 offset:1024
	scratch_load_b128 v[18:21], off, off offset:464
	v_fma_f64 v[44:45], v[44:45], v[22:23], v[151:152]
	v_fma_f64 v[42:43], v[42:43], v[22:23], -v[24:25]
	scratch_load_b128 v[22:25], off, off offset:480
	v_add_f64_e32 v[147:148], v[147:148], v[143:144]
	v_add_f64_e32 v[149:150], v[149:150], v[145:146]
	ds_load_b128 v[143:146], v1 offset:1040
	s_wait_loadcnt_dscnt 0xa01
	v_mul_f64_e32 v[157:158], v[2:3], v[28:29]
	v_mul_f64_e32 v[28:29], v[4:5], v[28:29]
	s_wait_loadcnt_dscnt 0x900
	v_mul_f64_e32 v[151:152], v[143:144], v[32:33]
	v_mul_f64_e32 v[32:33], v[145:146], v[32:33]
	v_add_f64_e32 v[147:148], v[147:148], v[155:156]
	v_add_f64_e32 v[149:150], v[149:150], v[153:154]
	v_fma_f64 v[153:154], v[4:5], v[26:27], v[157:158]
	v_fma_f64 v[155:156], v[2:3], v[26:27], -v[28:29]
	ds_load_b128 v[2:5], v1 offset:1056
	scratch_load_b128 v[26:29], off, off offset:496
	v_fma_f64 v[145:146], v[145:146], v[30:31], v[151:152]
	v_fma_f64 v[143:144], v[143:144], v[30:31], -v[32:33]
	scratch_load_b128 v[30:33], off, off offset:512
	v_add_f64_e32 v[147:148], v[147:148], v[42:43]
	v_add_f64_e32 v[149:150], v[149:150], v[44:45]
	ds_load_b128 v[42:45], v1 offset:1072
	s_wait_loadcnt_dscnt 0xa01
	v_mul_f64_e32 v[157:158], v[2:3], v[36:37]
	v_mul_f64_e32 v[36:37], v[4:5], v[36:37]
	s_wait_loadcnt_dscnt 0x800
	v_mul_f64_e32 v[151:152], v[42:43], v[141:142]
	v_add_f64_e32 v[147:148], v[147:148], v[155:156]
	v_add_f64_e32 v[149:150], v[149:150], v[153:154]
	v_mul_f64_e32 v[153:154], v[44:45], v[141:142]
	v_fma_f64 v[155:156], v[4:5], v[34:35], v[157:158]
	v_fma_f64 v[157:158], v[2:3], v[34:35], -v[36:37]
	ds_load_b128 v[2:5], v1 offset:1088
	scratch_load_b128 v[34:37], off, off offset:528
	v_fma_f64 v[44:45], v[44:45], v[139:140], v[151:152]
	v_add_f64_e32 v[147:148], v[147:148], v[143:144]
	v_add_f64_e32 v[145:146], v[149:150], v[145:146]
	ds_load_b128 v[141:144], v1 offset:1104
	v_fma_f64 v[139:140], v[42:43], v[139:140], -v[153:154]
	s_wait_loadcnt_dscnt 0x801
	v_mul_f64_e32 v[149:150], v[2:3], v[40:41]
	v_mul_f64_e32 v[159:160], v[4:5], v[40:41]
	scratch_load_b128 v[40:43], off, off offset:544
	s_wait_loadcnt_dscnt 0x800
	v_mul_f64_e32 v[153:154], v[141:142], v[8:9]
	v_mul_f64_e32 v[8:9], v[143:144], v[8:9]
	v_add_f64_e32 v[147:148], v[147:148], v[157:158]
	v_add_f64_e32 v[145:146], v[145:146], v[155:156]
	v_fma_f64 v[155:156], v[4:5], v[38:39], v[149:150]
	v_fma_f64 v[38:39], v[2:3], v[38:39], -v[159:160]
	ds_load_b128 v[2:5], v1 offset:1120
	ds_load_b128 v[149:152], v1 offset:1136
	v_fma_f64 v[143:144], v[143:144], v[6:7], v[153:154]
	v_fma_f64 v[141:142], v[141:142], v[6:7], -v[8:9]
	scratch_load_b128 v[6:9], off, off offset:576
	v_add_f64_e32 v[139:140], v[147:148], v[139:140]
	v_add_f64_e32 v[44:45], v[145:146], v[44:45]
	scratch_load_b128 v[145:148], off, off offset:560
	s_wait_loadcnt_dscnt 0x901
	v_mul_f64_e32 v[157:158], v[2:3], v[12:13]
	v_mul_f64_e32 v[12:13], v[4:5], v[12:13]
	s_wait_loadcnt_dscnt 0x800
	v_mul_f64_e32 v[153:154], v[149:150], v[16:17]
	v_mul_f64_e32 v[16:17], v[151:152], v[16:17]
	v_add_f64_e32 v[38:39], v[139:140], v[38:39]
	v_add_f64_e32 v[44:45], v[44:45], v[155:156]
	v_fma_f64 v[155:156], v[4:5], v[10:11], v[157:158]
	v_fma_f64 v[157:158], v[2:3], v[10:11], -v[12:13]
	ds_load_b128 v[2:5], v1 offset:1152
	scratch_load_b128 v[10:13], off, off offset:592
	v_fma_f64 v[151:152], v[151:152], v[14:15], v[153:154]
	v_fma_f64 v[149:150], v[149:150], v[14:15], -v[16:17]
	scratch_load_b128 v[14:17], off, off offset:608
	v_add_f64_e32 v[38:39], v[38:39], v[141:142]
	v_add_f64_e32 v[44:45], v[44:45], v[143:144]
	ds_load_b128 v[139:142], v1 offset:1168
	s_wait_loadcnt_dscnt 0x901
	v_mul_f64_e32 v[143:144], v[2:3], v[20:21]
	v_mul_f64_e32 v[20:21], v[4:5], v[20:21]
	s_wait_loadcnt_dscnt 0x800
	v_mul_f64_e32 v[153:154], v[139:140], v[24:25]
	v_mul_f64_e32 v[24:25], v[141:142], v[24:25]
	v_add_f64_e32 v[38:39], v[38:39], v[157:158]
	v_add_f64_e32 v[44:45], v[44:45], v[155:156]
	v_fma_f64 v[143:144], v[4:5], v[18:19], v[143:144]
	v_fma_f64 v[155:156], v[2:3], v[18:19], -v[20:21]
	ds_load_b128 v[2:5], v1 offset:1184
	scratch_load_b128 v[18:21], off, off offset:624
	v_fma_f64 v[141:142], v[141:142], v[22:23], v[153:154]
	v_fma_f64 v[139:140], v[139:140], v[22:23], -v[24:25]
	scratch_load_b128 v[22:25], off, off offset:640
	v_add_f64_e32 v[38:39], v[38:39], v[149:150]
	v_add_f64_e32 v[44:45], v[44:45], v[151:152]
	ds_load_b128 v[149:152], v1 offset:1200
	s_wait_loadcnt_dscnt 0x901
	v_mul_f64_e32 v[157:158], v[2:3], v[28:29]
	v_mul_f64_e32 v[28:29], v[4:5], v[28:29]
	v_add_f64_e32 v[38:39], v[38:39], v[155:156]
	v_add_f64_e32 v[44:45], v[44:45], v[143:144]
	s_wait_loadcnt_dscnt 0x800
	v_mul_f64_e32 v[143:144], v[149:150], v[32:33]
	v_mul_f64_e32 v[32:33], v[151:152], v[32:33]
	v_fma_f64 v[153:154], v[4:5], v[26:27], v[157:158]
	v_fma_f64 v[155:156], v[2:3], v[26:27], -v[28:29]
	ds_load_b128 v[2:5], v1 offset:1216
	scratch_load_b128 v[26:29], off, off offset:656
	v_add_f64_e32 v[38:39], v[38:39], v[139:140]
	v_add_f64_e32 v[44:45], v[44:45], v[141:142]
	ds_load_b128 v[139:142], v1 offset:1232
	s_wait_loadcnt_dscnt 0x801
	v_mul_f64_e32 v[157:158], v[2:3], v[36:37]
	v_mul_f64_e32 v[36:37], v[4:5], v[36:37]
	v_fma_f64 v[143:144], v[151:152], v[30:31], v[143:144]
	v_fma_f64 v[149:150], v[149:150], v[30:31], -v[32:33]
	scratch_load_b128 v[30:33], off, off offset:672
	s_wait_loadcnt_dscnt 0x800
	v_mul_f64_e32 v[151:152], v[139:140], v[42:43]
	v_add_f64_e32 v[38:39], v[38:39], v[155:156]
	v_add_f64_e32 v[44:45], v[44:45], v[153:154]
	v_mul_f64_e32 v[153:154], v[141:142], v[42:43]
	v_fma_f64 v[155:156], v[4:5], v[34:35], v[157:158]
	v_fma_f64 v[157:158], v[2:3], v[34:35], -v[36:37]
	ds_load_b128 v[2:5], v1 offset:1248
	scratch_load_b128 v[34:37], off, off offset:688
	v_fma_f64 v[141:142], v[141:142], v[40:41], v[151:152]
	v_add_f64_e32 v[38:39], v[38:39], v[149:150]
	v_add_f64_e32 v[143:144], v[44:45], v[143:144]
	ds_load_b128 v[42:45], v1 offset:1264
	v_fma_f64 v[139:140], v[139:140], v[40:41], -v[153:154]
	s_wait_loadcnt_dscnt 0x701
	v_mul_f64_e32 v[149:150], v[2:3], v[147:148]
	v_mul_f64_e32 v[147:148], v[4:5], v[147:148]
	s_wait_dscnt 0x0
	v_mul_f64_e32 v[153:154], v[42:43], v[8:9]
	v_mul_f64_e32 v[8:9], v[44:45], v[8:9]
	v_add_f64_e32 v[151:152], v[38:39], v[157:158]
	v_add_f64_e32 v[143:144], v[143:144], v[155:156]
	scratch_load_b128 v[38:41], off, off offset:704
	v_fma_f64 v[149:150], v[4:5], v[145:146], v[149:150]
	v_fma_f64 v[145:146], v[2:3], v[145:146], -v[147:148]
	v_fma_f64 v[44:45], v[44:45], v[6:7], v[153:154]
	v_fma_f64 v[6:7], v[42:43], v[6:7], -v[8:9]
	v_add_f64_e32 v[147:148], v[151:152], v[139:140]
	v_add_f64_e32 v[143:144], v[143:144], v[141:142]
	ds_load_b128 v[2:5], v1 offset:1280
	ds_load_b128 v[139:142], v1 offset:1296
	s_wait_loadcnt_dscnt 0x701
	v_mul_f64_e32 v[151:152], v[2:3], v[12:13]
	v_mul_f64_e32 v[12:13], v[4:5], v[12:13]
	v_add_f64_e32 v[8:9], v[147:148], v[145:146]
	v_add_f64_e32 v[42:43], v[143:144], v[149:150]
	s_wait_loadcnt_dscnt 0x600
	v_mul_f64_e32 v[143:144], v[139:140], v[16:17]
	v_mul_f64_e32 v[16:17], v[141:142], v[16:17]
	v_fma_f64 v[145:146], v[4:5], v[10:11], v[151:152]
	v_fma_f64 v[10:11], v[2:3], v[10:11], -v[12:13]
	v_add_f64_e32 v[12:13], v[8:9], v[6:7]
	v_add_f64_e32 v[42:43], v[42:43], v[44:45]
	ds_load_b128 v[2:5], v1 offset:1312
	ds_load_b128 v[6:9], v1 offset:1328
	v_fma_f64 v[141:142], v[141:142], v[14:15], v[143:144]
	v_fma_f64 v[14:15], v[139:140], v[14:15], -v[16:17]
	s_wait_loadcnt_dscnt 0x501
	v_mul_f64_e32 v[44:45], v[2:3], v[20:21]
	v_mul_f64_e32 v[20:21], v[4:5], v[20:21]
	s_wait_loadcnt_dscnt 0x400
	v_mul_f64_e32 v[16:17], v[6:7], v[24:25]
	v_mul_f64_e32 v[24:25], v[8:9], v[24:25]
	v_add_f64_e32 v[10:11], v[12:13], v[10:11]
	v_add_f64_e32 v[12:13], v[42:43], v[145:146]
	v_fma_f64 v[42:43], v[4:5], v[18:19], v[44:45]
	v_fma_f64 v[18:19], v[2:3], v[18:19], -v[20:21]
	v_fma_f64 v[8:9], v[8:9], v[22:23], v[16:17]
	v_fma_f64 v[6:7], v[6:7], v[22:23], -v[24:25]
	v_add_f64_e32 v[14:15], v[10:11], v[14:15]
	v_add_f64_e32 v[20:21], v[12:13], v[141:142]
	ds_load_b128 v[2:5], v1 offset:1344
	ds_load_b128 v[10:13], v1 offset:1360
	s_wait_loadcnt_dscnt 0x301
	v_mul_f64_e32 v[44:45], v[2:3], v[28:29]
	v_mul_f64_e32 v[28:29], v[4:5], v[28:29]
	v_add_f64_e32 v[14:15], v[14:15], v[18:19]
	v_add_f64_e32 v[16:17], v[20:21], v[42:43]
	s_wait_loadcnt_dscnt 0x200
	v_mul_f64_e32 v[18:19], v[10:11], v[32:33]
	v_mul_f64_e32 v[20:21], v[12:13], v[32:33]
	v_fma_f64 v[22:23], v[4:5], v[26:27], v[44:45]
	v_fma_f64 v[24:25], v[2:3], v[26:27], -v[28:29]
	v_add_f64_e32 v[14:15], v[14:15], v[6:7]
	v_add_f64_e32 v[16:17], v[16:17], v[8:9]
	ds_load_b128 v[2:5], v1 offset:1376
	ds_load_b128 v[6:9], v1 offset:1392
	v_fma_f64 v[12:13], v[12:13], v[30:31], v[18:19]
	v_fma_f64 v[10:11], v[10:11], v[30:31], -v[20:21]
	s_wait_loadcnt_dscnt 0x101
	v_mul_f64_e32 v[26:27], v[2:3], v[36:37]
	v_mul_f64_e32 v[28:29], v[4:5], v[36:37]
	v_add_f64_e32 v[14:15], v[14:15], v[24:25]
	v_add_f64_e32 v[16:17], v[16:17], v[22:23]
	s_wait_loadcnt_dscnt 0x0
	v_mul_f64_e32 v[18:19], v[6:7], v[40:41]
	v_mul_f64_e32 v[20:21], v[8:9], v[40:41]
	v_fma_f64 v[4:5], v[4:5], v[34:35], v[26:27]
	v_fma_f64 v[1:2], v[2:3], v[34:35], -v[28:29]
	v_add_f64_e32 v[10:11], v[14:15], v[10:11]
	v_add_f64_e32 v[12:13], v[16:17], v[12:13]
	v_fma_f64 v[8:9], v[8:9], v[38:39], v[18:19]
	v_fma_f64 v[6:7], v[6:7], v[38:39], -v[20:21]
	s_delay_alu instid0(VALU_DEP_4) | instskip(NEXT) | instid1(VALU_DEP_4)
	v_add_f64_e32 v[1:2], v[10:11], v[1:2]
	v_add_f64_e32 v[3:4], v[12:13], v[4:5]
	s_delay_alu instid0(VALU_DEP_2) | instskip(NEXT) | instid1(VALU_DEP_2)
	v_add_f64_e32 v[1:2], v[1:2], v[6:7]
	v_add_f64_e32 v[3:4], v[3:4], v[8:9]
	s_delay_alu instid0(VALU_DEP_2) | instskip(NEXT) | instid1(VALU_DEP_2)
	v_add_f64_e64 v[1:2], v[135:136], -v[1:2]
	v_add_f64_e64 v[3:4], v[137:138], -v[3:4]
	scratch_store_b128 off, v[1:4], off offset:224
	v_cmpx_lt_u32_e32 12, v0
	s_cbranch_execz .LBB43_253
; %bb.252:
	scratch_load_b128 v[1:4], off, s45
	v_mov_b32_e32 v5, 0
	s_delay_alu instid0(VALU_DEP_1)
	v_dual_mov_b32 v6, v5 :: v_dual_mov_b32 v7, v5
	v_mov_b32_e32 v8, v5
	scratch_store_b128 off, v[5:8], off offset:208
	s_wait_loadcnt 0x0
	ds_store_b128 v134, v[1:4]
.LBB43_253:
	s_wait_alu 0xfffe
	s_or_b32 exec_lo, exec_lo, s0
	s_wait_storecnt_dscnt 0x0
	s_barrier_signal -1
	s_barrier_wait -1
	global_inv scope:SCOPE_SE
	s_clause 0x7
	scratch_load_b128 v[2:5], off, off offset:224
	scratch_load_b128 v[6:9], off, off offset:240
	;; [unrolled: 1-line block ×8, first 2 shown]
	v_mov_b32_e32 v1, 0
	s_mov_b32 s0, exec_lo
	ds_load_b128 v[34:37], v1 offset:912
	s_clause 0x1
	scratch_load_b128 v[38:41], off, off offset:352
	scratch_load_b128 v[42:45], off, off offset:208
	ds_load_b128 v[135:138], v1 offset:928
	scratch_load_b128 v[139:142], off, off offset:368
	s_wait_loadcnt_dscnt 0xa01
	v_mul_f64_e32 v[143:144], v[36:37], v[4:5]
	v_mul_f64_e32 v[4:5], v[34:35], v[4:5]
	s_delay_alu instid0(VALU_DEP_2) | instskip(NEXT) | instid1(VALU_DEP_2)
	v_fma_f64 v[149:150], v[34:35], v[2:3], -v[143:144]
	v_fma_f64 v[151:152], v[36:37], v[2:3], v[4:5]
	ds_load_b128 v[2:5], v1 offset:944
	s_wait_loadcnt_dscnt 0x901
	v_mul_f64_e32 v[147:148], v[135:136], v[8:9]
	v_mul_f64_e32 v[8:9], v[137:138], v[8:9]
	scratch_load_b128 v[34:37], off, off offset:384
	ds_load_b128 v[143:146], v1 offset:960
	s_wait_loadcnt_dscnt 0x901
	v_mul_f64_e32 v[153:154], v[2:3], v[12:13]
	v_mul_f64_e32 v[12:13], v[4:5], v[12:13]
	v_fma_f64 v[137:138], v[137:138], v[6:7], v[147:148]
	v_fma_f64 v[135:136], v[135:136], v[6:7], -v[8:9]
	v_add_f64_e32 v[147:148], 0, v[149:150]
	v_add_f64_e32 v[149:150], 0, v[151:152]
	scratch_load_b128 v[6:9], off, off offset:400
	v_fma_f64 v[153:154], v[4:5], v[10:11], v[153:154]
	v_fma_f64 v[155:156], v[2:3], v[10:11], -v[12:13]
	ds_load_b128 v[2:5], v1 offset:976
	s_wait_loadcnt_dscnt 0x901
	v_mul_f64_e32 v[151:152], v[143:144], v[16:17]
	v_mul_f64_e32 v[16:17], v[145:146], v[16:17]
	scratch_load_b128 v[10:13], off, off offset:416
	v_add_f64_e32 v[147:148], v[147:148], v[135:136]
	v_add_f64_e32 v[149:150], v[149:150], v[137:138]
	s_wait_loadcnt_dscnt 0x900
	v_mul_f64_e32 v[157:158], v[2:3], v[20:21]
	v_mul_f64_e32 v[20:21], v[4:5], v[20:21]
	ds_load_b128 v[135:138], v1 offset:992
	v_fma_f64 v[145:146], v[145:146], v[14:15], v[151:152]
	v_fma_f64 v[143:144], v[143:144], v[14:15], -v[16:17]
	scratch_load_b128 v[14:17], off, off offset:432
	v_add_f64_e32 v[147:148], v[147:148], v[155:156]
	v_add_f64_e32 v[149:150], v[149:150], v[153:154]
	v_fma_f64 v[153:154], v[4:5], v[18:19], v[157:158]
	v_fma_f64 v[155:156], v[2:3], v[18:19], -v[20:21]
	ds_load_b128 v[2:5], v1 offset:1008
	s_wait_loadcnt_dscnt 0x901
	v_mul_f64_e32 v[151:152], v[135:136], v[24:25]
	v_mul_f64_e32 v[24:25], v[137:138], v[24:25]
	scratch_load_b128 v[18:21], off, off offset:448
	s_wait_loadcnt_dscnt 0x900
	v_mul_f64_e32 v[157:158], v[2:3], v[28:29]
	v_mul_f64_e32 v[28:29], v[4:5], v[28:29]
	v_add_f64_e32 v[147:148], v[147:148], v[143:144]
	v_add_f64_e32 v[149:150], v[149:150], v[145:146]
	ds_load_b128 v[143:146], v1 offset:1024
	v_fma_f64 v[137:138], v[137:138], v[22:23], v[151:152]
	v_fma_f64 v[135:136], v[135:136], v[22:23], -v[24:25]
	scratch_load_b128 v[22:25], off, off offset:464
	v_add_f64_e32 v[147:148], v[147:148], v[155:156]
	v_add_f64_e32 v[149:150], v[149:150], v[153:154]
	v_fma_f64 v[153:154], v[4:5], v[26:27], v[157:158]
	v_fma_f64 v[155:156], v[2:3], v[26:27], -v[28:29]
	ds_load_b128 v[2:5], v1 offset:1040
	s_wait_loadcnt_dscnt 0x901
	v_mul_f64_e32 v[151:152], v[143:144], v[32:33]
	v_mul_f64_e32 v[32:33], v[145:146], v[32:33]
	scratch_load_b128 v[26:29], off, off offset:480
	s_wait_loadcnt_dscnt 0x900
	v_mul_f64_e32 v[157:158], v[2:3], v[40:41]
	v_mul_f64_e32 v[40:41], v[4:5], v[40:41]
	v_add_f64_e32 v[147:148], v[147:148], v[135:136]
	v_add_f64_e32 v[149:150], v[149:150], v[137:138]
	ds_load_b128 v[135:138], v1 offset:1056
	v_fma_f64 v[145:146], v[145:146], v[30:31], v[151:152]
	v_fma_f64 v[143:144], v[143:144], v[30:31], -v[32:33]
	scratch_load_b128 v[30:33], off, off offset:496
	v_add_f64_e32 v[147:148], v[147:148], v[155:156]
	v_add_f64_e32 v[149:150], v[149:150], v[153:154]
	v_fma_f64 v[155:156], v[4:5], v[38:39], v[157:158]
	v_fma_f64 v[157:158], v[2:3], v[38:39], -v[40:41]
	ds_load_b128 v[2:5], v1 offset:1072
	s_wait_loadcnt_dscnt 0x801
	v_mul_f64_e32 v[151:152], v[135:136], v[141:142]
	v_mul_f64_e32 v[153:154], v[137:138], v[141:142]
	scratch_load_b128 v[38:41], off, off offset:512
	v_add_f64_e32 v[147:148], v[147:148], v[143:144]
	v_add_f64_e32 v[145:146], v[149:150], v[145:146]
	ds_load_b128 v[141:144], v1 offset:1088
	v_fma_f64 v[151:152], v[137:138], v[139:140], v[151:152]
	v_fma_f64 v[139:140], v[135:136], v[139:140], -v[153:154]
	scratch_load_b128 v[135:138], off, off offset:528
	s_wait_loadcnt_dscnt 0x901
	v_mul_f64_e32 v[149:150], v[2:3], v[36:37]
	v_mul_f64_e32 v[36:37], v[4:5], v[36:37]
	v_add_f64_e32 v[147:148], v[147:148], v[157:158]
	v_add_f64_e32 v[145:146], v[145:146], v[155:156]
	s_delay_alu instid0(VALU_DEP_4) | instskip(NEXT) | instid1(VALU_DEP_4)
	v_fma_f64 v[149:150], v[4:5], v[34:35], v[149:150]
	v_fma_f64 v[155:156], v[2:3], v[34:35], -v[36:37]
	ds_load_b128 v[2:5], v1 offset:1104
	s_wait_loadcnt_dscnt 0x801
	v_mul_f64_e32 v[153:154], v[141:142], v[8:9]
	v_mul_f64_e32 v[8:9], v[143:144], v[8:9]
	scratch_load_b128 v[34:37], off, off offset:544
	s_wait_loadcnt_dscnt 0x800
	v_mul_f64_e32 v[157:158], v[2:3], v[12:13]
	v_add_f64_e32 v[139:140], v[147:148], v[139:140]
	v_add_f64_e32 v[151:152], v[145:146], v[151:152]
	v_mul_f64_e32 v[12:13], v[4:5], v[12:13]
	ds_load_b128 v[145:148], v1 offset:1120
	v_fma_f64 v[143:144], v[143:144], v[6:7], v[153:154]
	v_fma_f64 v[141:142], v[141:142], v[6:7], -v[8:9]
	scratch_load_b128 v[6:9], off, off offset:560
	v_fma_f64 v[153:154], v[4:5], v[10:11], v[157:158]
	v_add_f64_e32 v[139:140], v[139:140], v[155:156]
	v_add_f64_e32 v[149:150], v[151:152], v[149:150]
	v_fma_f64 v[155:156], v[2:3], v[10:11], -v[12:13]
	ds_load_b128 v[2:5], v1 offset:1136
	s_wait_loadcnt_dscnt 0x801
	v_mul_f64_e32 v[151:152], v[145:146], v[16:17]
	v_mul_f64_e32 v[16:17], v[147:148], v[16:17]
	scratch_load_b128 v[10:13], off, off offset:576
	v_add_f64_e32 v[157:158], v[139:140], v[141:142]
	v_add_f64_e32 v[143:144], v[149:150], v[143:144]
	s_wait_loadcnt_dscnt 0x800
	v_mul_f64_e32 v[149:150], v[2:3], v[20:21]
	v_mul_f64_e32 v[20:21], v[4:5], v[20:21]
	v_fma_f64 v[147:148], v[147:148], v[14:15], v[151:152]
	v_fma_f64 v[145:146], v[145:146], v[14:15], -v[16:17]
	ds_load_b128 v[139:142], v1 offset:1152
	scratch_load_b128 v[14:17], off, off offset:592
	v_add_f64_e32 v[151:152], v[157:158], v[155:156]
	v_add_f64_e32 v[143:144], v[143:144], v[153:154]
	v_fma_f64 v[149:150], v[4:5], v[18:19], v[149:150]
	v_fma_f64 v[155:156], v[2:3], v[18:19], -v[20:21]
	ds_load_b128 v[2:5], v1 offset:1168
	s_wait_loadcnt_dscnt 0x801
	v_mul_f64_e32 v[153:154], v[139:140], v[24:25]
	v_mul_f64_e32 v[24:25], v[141:142], v[24:25]
	scratch_load_b128 v[18:21], off, off offset:608
	s_wait_loadcnt_dscnt 0x800
	v_mul_f64_e32 v[157:158], v[2:3], v[28:29]
	v_mul_f64_e32 v[28:29], v[4:5], v[28:29]
	v_add_f64_e32 v[151:152], v[151:152], v[145:146]
	v_add_f64_e32 v[147:148], v[143:144], v[147:148]
	ds_load_b128 v[143:146], v1 offset:1184
	v_fma_f64 v[141:142], v[141:142], v[22:23], v[153:154]
	v_fma_f64 v[139:140], v[139:140], v[22:23], -v[24:25]
	scratch_load_b128 v[22:25], off, off offset:624
	v_fma_f64 v[153:154], v[4:5], v[26:27], v[157:158]
	v_add_f64_e32 v[151:152], v[151:152], v[155:156]
	v_add_f64_e32 v[147:148], v[147:148], v[149:150]
	v_fma_f64 v[155:156], v[2:3], v[26:27], -v[28:29]
	ds_load_b128 v[2:5], v1 offset:1200
	s_wait_loadcnt_dscnt 0x801
	v_mul_f64_e32 v[149:150], v[143:144], v[32:33]
	v_mul_f64_e32 v[32:33], v[145:146], v[32:33]
	scratch_load_b128 v[26:29], off, off offset:640
	s_wait_loadcnt_dscnt 0x800
	v_mul_f64_e32 v[157:158], v[2:3], v[40:41]
	v_mul_f64_e32 v[40:41], v[4:5], v[40:41]
	v_add_f64_e32 v[151:152], v[151:152], v[139:140]
	v_add_f64_e32 v[147:148], v[147:148], v[141:142]
	ds_load_b128 v[139:142], v1 offset:1216
	v_fma_f64 v[145:146], v[145:146], v[30:31], v[149:150]
	v_fma_f64 v[143:144], v[143:144], v[30:31], -v[32:33]
	scratch_load_b128 v[30:33], off, off offset:656
	v_add_f64_e32 v[149:150], v[151:152], v[155:156]
	v_add_f64_e32 v[147:148], v[147:148], v[153:154]
	v_fma_f64 v[153:154], v[4:5], v[38:39], v[157:158]
	v_fma_f64 v[155:156], v[2:3], v[38:39], -v[40:41]
	ds_load_b128 v[2:5], v1 offset:1232
	s_wait_loadcnt_dscnt 0x801
	v_mul_f64_e32 v[151:152], v[139:140], v[137:138]
	v_mul_f64_e32 v[137:138], v[141:142], v[137:138]
	scratch_load_b128 v[38:41], off, off offset:672
	s_wait_loadcnt_dscnt 0x800
	v_mul_f64_e32 v[157:158], v[2:3], v[36:37]
	v_mul_f64_e32 v[36:37], v[4:5], v[36:37]
	v_add_f64_e32 v[149:150], v[149:150], v[143:144]
	v_add_f64_e32 v[147:148], v[147:148], v[145:146]
	ds_load_b128 v[143:146], v1 offset:1248
	v_fma_f64 v[141:142], v[141:142], v[135:136], v[151:152]
	v_fma_f64 v[139:140], v[139:140], v[135:136], -v[137:138]
	scratch_load_b128 v[135:138], off, off offset:688
	v_add_f64_e32 v[149:150], v[149:150], v[155:156]
	v_add_f64_e32 v[147:148], v[147:148], v[153:154]
	v_fma_f64 v[153:154], v[4:5], v[34:35], v[157:158]
	v_fma_f64 v[155:156], v[2:3], v[34:35], -v[36:37]
	ds_load_b128 v[2:5], v1 offset:1264
	s_wait_loadcnt_dscnt 0x801
	v_mul_f64_e32 v[151:152], v[143:144], v[8:9]
	v_mul_f64_e32 v[8:9], v[145:146], v[8:9]
	scratch_load_b128 v[34:37], off, off offset:704
	s_wait_loadcnt_dscnt 0x800
	v_mul_f64_e32 v[157:158], v[2:3], v[12:13]
	v_mul_f64_e32 v[12:13], v[4:5], v[12:13]
	v_add_f64_e32 v[149:150], v[149:150], v[139:140]
	v_add_f64_e32 v[147:148], v[147:148], v[141:142]
	ds_load_b128 v[139:142], v1 offset:1280
	v_fma_f64 v[145:146], v[145:146], v[6:7], v[151:152]
	v_fma_f64 v[6:7], v[143:144], v[6:7], -v[8:9]
	v_add_f64_e32 v[8:9], v[149:150], v[155:156]
	v_add_f64_e32 v[143:144], v[147:148], v[153:154]
	s_wait_loadcnt_dscnt 0x700
	v_mul_f64_e32 v[147:148], v[139:140], v[16:17]
	v_mul_f64_e32 v[16:17], v[141:142], v[16:17]
	v_fma_f64 v[149:150], v[4:5], v[10:11], v[157:158]
	v_fma_f64 v[10:11], v[2:3], v[10:11], -v[12:13]
	v_add_f64_e32 v[12:13], v[8:9], v[6:7]
	v_add_f64_e32 v[143:144], v[143:144], v[145:146]
	ds_load_b128 v[2:5], v1 offset:1296
	ds_load_b128 v[6:9], v1 offset:1312
	v_fma_f64 v[141:142], v[141:142], v[14:15], v[147:148]
	v_fma_f64 v[14:15], v[139:140], v[14:15], -v[16:17]
	s_wait_loadcnt_dscnt 0x601
	v_mul_f64_e32 v[145:146], v[2:3], v[20:21]
	v_mul_f64_e32 v[20:21], v[4:5], v[20:21]
	s_wait_loadcnt_dscnt 0x500
	v_mul_f64_e32 v[16:17], v[6:7], v[24:25]
	v_mul_f64_e32 v[24:25], v[8:9], v[24:25]
	v_add_f64_e32 v[10:11], v[12:13], v[10:11]
	v_add_f64_e32 v[12:13], v[143:144], v[149:150]
	v_fma_f64 v[139:140], v[4:5], v[18:19], v[145:146]
	v_fma_f64 v[18:19], v[2:3], v[18:19], -v[20:21]
	v_fma_f64 v[8:9], v[8:9], v[22:23], v[16:17]
	v_fma_f64 v[6:7], v[6:7], v[22:23], -v[24:25]
	v_add_f64_e32 v[14:15], v[10:11], v[14:15]
	v_add_f64_e32 v[20:21], v[12:13], v[141:142]
	ds_load_b128 v[2:5], v1 offset:1328
	ds_load_b128 v[10:13], v1 offset:1344
	s_wait_loadcnt_dscnt 0x401
	v_mul_f64_e32 v[141:142], v[2:3], v[28:29]
	v_mul_f64_e32 v[28:29], v[4:5], v[28:29]
	v_add_f64_e32 v[14:15], v[14:15], v[18:19]
	v_add_f64_e32 v[16:17], v[20:21], v[139:140]
	s_wait_loadcnt_dscnt 0x300
	v_mul_f64_e32 v[18:19], v[10:11], v[32:33]
	v_mul_f64_e32 v[20:21], v[12:13], v[32:33]
	v_fma_f64 v[22:23], v[4:5], v[26:27], v[141:142]
	v_fma_f64 v[24:25], v[2:3], v[26:27], -v[28:29]
	v_add_f64_e32 v[14:15], v[14:15], v[6:7]
	v_add_f64_e32 v[16:17], v[16:17], v[8:9]
	ds_load_b128 v[2:5], v1 offset:1360
	ds_load_b128 v[6:9], v1 offset:1376
	v_fma_f64 v[12:13], v[12:13], v[30:31], v[18:19]
	v_fma_f64 v[10:11], v[10:11], v[30:31], -v[20:21]
	s_wait_loadcnt_dscnt 0x201
	v_mul_f64_e32 v[26:27], v[2:3], v[40:41]
	v_mul_f64_e32 v[28:29], v[4:5], v[40:41]
	s_wait_loadcnt_dscnt 0x100
	v_mul_f64_e32 v[18:19], v[6:7], v[137:138]
	v_mul_f64_e32 v[20:21], v[8:9], v[137:138]
	v_add_f64_e32 v[14:15], v[14:15], v[24:25]
	v_add_f64_e32 v[16:17], v[16:17], v[22:23]
	v_fma_f64 v[22:23], v[4:5], v[38:39], v[26:27]
	v_fma_f64 v[24:25], v[2:3], v[38:39], -v[28:29]
	ds_load_b128 v[2:5], v1 offset:1392
	v_fma_f64 v[8:9], v[8:9], v[135:136], v[18:19]
	v_fma_f64 v[6:7], v[6:7], v[135:136], -v[20:21]
	v_add_f64_e32 v[10:11], v[14:15], v[10:11]
	v_add_f64_e32 v[12:13], v[16:17], v[12:13]
	s_wait_loadcnt_dscnt 0x0
	v_mul_f64_e32 v[14:15], v[2:3], v[36:37]
	v_mul_f64_e32 v[16:17], v[4:5], v[36:37]
	s_delay_alu instid0(VALU_DEP_4) | instskip(NEXT) | instid1(VALU_DEP_4)
	v_add_f64_e32 v[10:11], v[10:11], v[24:25]
	v_add_f64_e32 v[12:13], v[12:13], v[22:23]
	s_delay_alu instid0(VALU_DEP_4) | instskip(NEXT) | instid1(VALU_DEP_4)
	v_fma_f64 v[4:5], v[4:5], v[34:35], v[14:15]
	v_fma_f64 v[2:3], v[2:3], v[34:35], -v[16:17]
	s_delay_alu instid0(VALU_DEP_4) | instskip(NEXT) | instid1(VALU_DEP_4)
	v_add_f64_e32 v[6:7], v[10:11], v[6:7]
	v_add_f64_e32 v[8:9], v[12:13], v[8:9]
	s_delay_alu instid0(VALU_DEP_2) | instskip(NEXT) | instid1(VALU_DEP_2)
	v_add_f64_e32 v[2:3], v[6:7], v[2:3]
	v_add_f64_e32 v[4:5], v[8:9], v[4:5]
	s_delay_alu instid0(VALU_DEP_2) | instskip(NEXT) | instid1(VALU_DEP_2)
	v_add_f64_e64 v[2:3], v[42:43], -v[2:3]
	v_add_f64_e64 v[4:5], v[44:45], -v[4:5]
	scratch_store_b128 off, v[2:5], off offset:208
	v_cmpx_lt_u32_e32 11, v0
	s_cbranch_execz .LBB43_255
; %bb.254:
	scratch_load_b128 v[5:8], off, s46
	v_dual_mov_b32 v2, v1 :: v_dual_mov_b32 v3, v1
	v_mov_b32_e32 v4, v1
	scratch_store_b128 off, v[1:4], off offset:192
	s_wait_loadcnt 0x0
	ds_store_b128 v134, v[5:8]
.LBB43_255:
	s_wait_alu 0xfffe
	s_or_b32 exec_lo, exec_lo, s0
	s_wait_storecnt_dscnt 0x0
	s_barrier_signal -1
	s_barrier_wait -1
	global_inv scope:SCOPE_SE
	s_clause 0x8
	scratch_load_b128 v[2:5], off, off offset:208
	scratch_load_b128 v[6:9], off, off offset:224
	;; [unrolled: 1-line block ×9, first 2 shown]
	ds_load_b128 v[38:41], v1 offset:896
	ds_load_b128 v[42:45], v1 offset:912
	s_clause 0x1
	scratch_load_b128 v[135:138], off, off offset:192
	scratch_load_b128 v[139:142], off, off offset:352
	s_mov_b32 s0, exec_lo
	s_wait_loadcnt_dscnt 0xa01
	v_mul_f64_e32 v[143:144], v[40:41], v[4:5]
	v_mul_f64_e32 v[4:5], v[38:39], v[4:5]
	s_wait_loadcnt_dscnt 0x900
	v_mul_f64_e32 v[147:148], v[42:43], v[8:9]
	v_mul_f64_e32 v[8:9], v[44:45], v[8:9]
	s_delay_alu instid0(VALU_DEP_4) | instskip(NEXT) | instid1(VALU_DEP_4)
	v_fma_f64 v[149:150], v[38:39], v[2:3], -v[143:144]
	v_fma_f64 v[151:152], v[40:41], v[2:3], v[4:5]
	ds_load_b128 v[2:5], v1 offset:928
	ds_load_b128 v[143:146], v1 offset:944
	scratch_load_b128 v[38:41], off, off offset:368
	v_fma_f64 v[44:45], v[44:45], v[6:7], v[147:148]
	v_fma_f64 v[42:43], v[42:43], v[6:7], -v[8:9]
	scratch_load_b128 v[6:9], off, off offset:384
	s_wait_loadcnt_dscnt 0xa01
	v_mul_f64_e32 v[153:154], v[2:3], v[12:13]
	v_mul_f64_e32 v[12:13], v[4:5], v[12:13]
	v_add_f64_e32 v[147:148], 0, v[149:150]
	v_add_f64_e32 v[149:150], 0, v[151:152]
	s_wait_loadcnt_dscnt 0x900
	v_mul_f64_e32 v[151:152], v[143:144], v[16:17]
	v_mul_f64_e32 v[16:17], v[145:146], v[16:17]
	v_fma_f64 v[153:154], v[4:5], v[10:11], v[153:154]
	v_fma_f64 v[155:156], v[2:3], v[10:11], -v[12:13]
	ds_load_b128 v[2:5], v1 offset:960
	scratch_load_b128 v[10:13], off, off offset:400
	v_add_f64_e32 v[147:148], v[147:148], v[42:43]
	v_add_f64_e32 v[149:150], v[149:150], v[44:45]
	ds_load_b128 v[42:45], v1 offset:976
	v_fma_f64 v[145:146], v[145:146], v[14:15], v[151:152]
	v_fma_f64 v[143:144], v[143:144], v[14:15], -v[16:17]
	scratch_load_b128 v[14:17], off, off offset:416
	s_wait_loadcnt_dscnt 0xa01
	v_mul_f64_e32 v[157:158], v[2:3], v[20:21]
	v_mul_f64_e32 v[20:21], v[4:5], v[20:21]
	s_wait_loadcnt_dscnt 0x900
	v_mul_f64_e32 v[151:152], v[42:43], v[24:25]
	v_mul_f64_e32 v[24:25], v[44:45], v[24:25]
	v_add_f64_e32 v[147:148], v[147:148], v[155:156]
	v_add_f64_e32 v[149:150], v[149:150], v[153:154]
	v_fma_f64 v[153:154], v[4:5], v[18:19], v[157:158]
	v_fma_f64 v[155:156], v[2:3], v[18:19], -v[20:21]
	ds_load_b128 v[2:5], v1 offset:992
	scratch_load_b128 v[18:21], off, off offset:432
	v_fma_f64 v[44:45], v[44:45], v[22:23], v[151:152]
	v_fma_f64 v[42:43], v[42:43], v[22:23], -v[24:25]
	scratch_load_b128 v[22:25], off, off offset:448
	v_add_f64_e32 v[147:148], v[147:148], v[143:144]
	v_add_f64_e32 v[149:150], v[149:150], v[145:146]
	ds_load_b128 v[143:146], v1 offset:1008
	s_wait_loadcnt_dscnt 0xa01
	v_mul_f64_e32 v[157:158], v[2:3], v[28:29]
	v_mul_f64_e32 v[28:29], v[4:5], v[28:29]
	s_wait_loadcnt_dscnt 0x900
	v_mul_f64_e32 v[151:152], v[143:144], v[32:33]
	v_mul_f64_e32 v[32:33], v[145:146], v[32:33]
	v_add_f64_e32 v[147:148], v[147:148], v[155:156]
	v_add_f64_e32 v[149:150], v[149:150], v[153:154]
	v_fma_f64 v[153:154], v[4:5], v[26:27], v[157:158]
	v_fma_f64 v[155:156], v[2:3], v[26:27], -v[28:29]
	ds_load_b128 v[2:5], v1 offset:1024
	scratch_load_b128 v[26:29], off, off offset:464
	v_fma_f64 v[145:146], v[145:146], v[30:31], v[151:152]
	v_fma_f64 v[143:144], v[143:144], v[30:31], -v[32:33]
	scratch_load_b128 v[30:33], off, off offset:480
	v_add_f64_e32 v[147:148], v[147:148], v[42:43]
	v_add_f64_e32 v[149:150], v[149:150], v[44:45]
	ds_load_b128 v[42:45], v1 offset:1040
	s_wait_loadcnt_dscnt 0xa01
	v_mul_f64_e32 v[157:158], v[2:3], v[36:37]
	v_mul_f64_e32 v[36:37], v[4:5], v[36:37]
	s_wait_loadcnt_dscnt 0x800
	v_mul_f64_e32 v[151:152], v[42:43], v[141:142]
	v_add_f64_e32 v[147:148], v[147:148], v[155:156]
	v_add_f64_e32 v[149:150], v[149:150], v[153:154]
	v_mul_f64_e32 v[153:154], v[44:45], v[141:142]
	v_fma_f64 v[155:156], v[4:5], v[34:35], v[157:158]
	v_fma_f64 v[157:158], v[2:3], v[34:35], -v[36:37]
	ds_load_b128 v[2:5], v1 offset:1056
	scratch_load_b128 v[34:37], off, off offset:496
	v_fma_f64 v[44:45], v[44:45], v[139:140], v[151:152]
	v_add_f64_e32 v[147:148], v[147:148], v[143:144]
	v_add_f64_e32 v[145:146], v[149:150], v[145:146]
	ds_load_b128 v[141:144], v1 offset:1072
	v_fma_f64 v[139:140], v[42:43], v[139:140], -v[153:154]
	s_wait_loadcnt_dscnt 0x801
	v_mul_f64_e32 v[149:150], v[2:3], v[40:41]
	v_mul_f64_e32 v[159:160], v[4:5], v[40:41]
	scratch_load_b128 v[40:43], off, off offset:512
	s_wait_loadcnt_dscnt 0x800
	v_mul_f64_e32 v[153:154], v[141:142], v[8:9]
	v_mul_f64_e32 v[8:9], v[143:144], v[8:9]
	v_add_f64_e32 v[147:148], v[147:148], v[157:158]
	v_add_f64_e32 v[145:146], v[145:146], v[155:156]
	v_fma_f64 v[155:156], v[4:5], v[38:39], v[149:150]
	v_fma_f64 v[38:39], v[2:3], v[38:39], -v[159:160]
	ds_load_b128 v[2:5], v1 offset:1088
	ds_load_b128 v[149:152], v1 offset:1104
	v_fma_f64 v[143:144], v[143:144], v[6:7], v[153:154]
	v_fma_f64 v[141:142], v[141:142], v[6:7], -v[8:9]
	scratch_load_b128 v[6:9], off, off offset:544
	v_add_f64_e32 v[139:140], v[147:148], v[139:140]
	v_add_f64_e32 v[44:45], v[145:146], v[44:45]
	scratch_load_b128 v[145:148], off, off offset:528
	s_wait_loadcnt_dscnt 0x901
	v_mul_f64_e32 v[157:158], v[2:3], v[12:13]
	v_mul_f64_e32 v[12:13], v[4:5], v[12:13]
	s_wait_loadcnt_dscnt 0x800
	v_mul_f64_e32 v[153:154], v[149:150], v[16:17]
	v_mul_f64_e32 v[16:17], v[151:152], v[16:17]
	v_add_f64_e32 v[38:39], v[139:140], v[38:39]
	v_add_f64_e32 v[44:45], v[44:45], v[155:156]
	v_fma_f64 v[155:156], v[4:5], v[10:11], v[157:158]
	v_fma_f64 v[157:158], v[2:3], v[10:11], -v[12:13]
	ds_load_b128 v[2:5], v1 offset:1120
	scratch_load_b128 v[10:13], off, off offset:560
	v_fma_f64 v[151:152], v[151:152], v[14:15], v[153:154]
	v_fma_f64 v[149:150], v[149:150], v[14:15], -v[16:17]
	scratch_load_b128 v[14:17], off, off offset:576
	v_add_f64_e32 v[38:39], v[38:39], v[141:142]
	v_add_f64_e32 v[44:45], v[44:45], v[143:144]
	ds_load_b128 v[139:142], v1 offset:1136
	s_wait_loadcnt_dscnt 0x901
	v_mul_f64_e32 v[143:144], v[2:3], v[20:21]
	v_mul_f64_e32 v[20:21], v[4:5], v[20:21]
	s_wait_loadcnt_dscnt 0x800
	v_mul_f64_e32 v[153:154], v[139:140], v[24:25]
	v_mul_f64_e32 v[24:25], v[141:142], v[24:25]
	v_add_f64_e32 v[38:39], v[38:39], v[157:158]
	v_add_f64_e32 v[44:45], v[44:45], v[155:156]
	v_fma_f64 v[143:144], v[4:5], v[18:19], v[143:144]
	v_fma_f64 v[155:156], v[2:3], v[18:19], -v[20:21]
	ds_load_b128 v[2:5], v1 offset:1152
	scratch_load_b128 v[18:21], off, off offset:592
	v_fma_f64 v[141:142], v[141:142], v[22:23], v[153:154]
	v_fma_f64 v[139:140], v[139:140], v[22:23], -v[24:25]
	scratch_load_b128 v[22:25], off, off offset:608
	v_add_f64_e32 v[38:39], v[38:39], v[149:150]
	v_add_f64_e32 v[44:45], v[44:45], v[151:152]
	ds_load_b128 v[149:152], v1 offset:1168
	s_wait_loadcnt_dscnt 0x901
	v_mul_f64_e32 v[157:158], v[2:3], v[28:29]
	v_mul_f64_e32 v[28:29], v[4:5], v[28:29]
	v_add_f64_e32 v[38:39], v[38:39], v[155:156]
	v_add_f64_e32 v[44:45], v[44:45], v[143:144]
	s_wait_loadcnt_dscnt 0x800
	v_mul_f64_e32 v[143:144], v[149:150], v[32:33]
	v_mul_f64_e32 v[32:33], v[151:152], v[32:33]
	v_fma_f64 v[153:154], v[4:5], v[26:27], v[157:158]
	v_fma_f64 v[155:156], v[2:3], v[26:27], -v[28:29]
	ds_load_b128 v[2:5], v1 offset:1184
	scratch_load_b128 v[26:29], off, off offset:624
	v_add_f64_e32 v[38:39], v[38:39], v[139:140]
	v_add_f64_e32 v[44:45], v[44:45], v[141:142]
	ds_load_b128 v[139:142], v1 offset:1200
	s_wait_loadcnt_dscnt 0x801
	v_mul_f64_e32 v[157:158], v[2:3], v[36:37]
	v_mul_f64_e32 v[36:37], v[4:5], v[36:37]
	v_fma_f64 v[143:144], v[151:152], v[30:31], v[143:144]
	v_fma_f64 v[149:150], v[149:150], v[30:31], -v[32:33]
	scratch_load_b128 v[30:33], off, off offset:640
	s_wait_loadcnt_dscnt 0x800
	v_mul_f64_e32 v[151:152], v[139:140], v[42:43]
	v_add_f64_e32 v[38:39], v[38:39], v[155:156]
	v_add_f64_e32 v[44:45], v[44:45], v[153:154]
	v_mul_f64_e32 v[153:154], v[141:142], v[42:43]
	v_fma_f64 v[155:156], v[4:5], v[34:35], v[157:158]
	v_fma_f64 v[157:158], v[2:3], v[34:35], -v[36:37]
	ds_load_b128 v[2:5], v1 offset:1216
	scratch_load_b128 v[34:37], off, off offset:656
	v_fma_f64 v[141:142], v[141:142], v[40:41], v[151:152]
	v_add_f64_e32 v[38:39], v[38:39], v[149:150]
	v_add_f64_e32 v[143:144], v[44:45], v[143:144]
	ds_load_b128 v[42:45], v1 offset:1232
	v_fma_f64 v[139:140], v[139:140], v[40:41], -v[153:154]
	s_wait_loadcnt_dscnt 0x701
	v_mul_f64_e32 v[149:150], v[2:3], v[147:148]
	v_mul_f64_e32 v[147:148], v[4:5], v[147:148]
	s_wait_dscnt 0x0
	v_mul_f64_e32 v[153:154], v[42:43], v[8:9]
	v_mul_f64_e32 v[8:9], v[44:45], v[8:9]
	v_add_f64_e32 v[151:152], v[38:39], v[157:158]
	v_add_f64_e32 v[143:144], v[143:144], v[155:156]
	scratch_load_b128 v[38:41], off, off offset:672
	v_fma_f64 v[149:150], v[4:5], v[145:146], v[149:150]
	v_fma_f64 v[147:148], v[2:3], v[145:146], -v[147:148]
	ds_load_b128 v[2:5], v1 offset:1248
	v_fma_f64 v[44:45], v[44:45], v[6:7], v[153:154]
	v_fma_f64 v[42:43], v[42:43], v[6:7], -v[8:9]
	scratch_load_b128 v[6:9], off, off offset:704
	v_add_f64_e32 v[151:152], v[151:152], v[139:140]
	v_add_f64_e32 v[155:156], v[143:144], v[141:142]
	scratch_load_b128 v[139:142], off, off offset:688
	ds_load_b128 v[143:146], v1 offset:1264
	s_wait_loadcnt_dscnt 0x901
	v_mul_f64_e32 v[157:158], v[2:3], v[12:13]
	v_mul_f64_e32 v[12:13], v[4:5], v[12:13]
	v_add_f64_e32 v[147:148], v[151:152], v[147:148]
	v_add_f64_e32 v[149:150], v[155:156], v[149:150]
	s_wait_loadcnt_dscnt 0x800
	v_mul_f64_e32 v[151:152], v[143:144], v[16:17]
	v_mul_f64_e32 v[16:17], v[145:146], v[16:17]
	v_fma_f64 v[153:154], v[4:5], v[10:11], v[157:158]
	v_fma_f64 v[155:156], v[2:3], v[10:11], -v[12:13]
	ds_load_b128 v[2:5], v1 offset:1280
	ds_load_b128 v[10:13], v1 offset:1296
	v_add_f64_e32 v[42:43], v[147:148], v[42:43]
	v_add_f64_e32 v[44:45], v[149:150], v[44:45]
	s_wait_loadcnt_dscnt 0x701
	v_mul_f64_e32 v[147:148], v[2:3], v[20:21]
	v_mul_f64_e32 v[20:21], v[4:5], v[20:21]
	v_fma_f64 v[145:146], v[145:146], v[14:15], v[151:152]
	v_fma_f64 v[14:15], v[143:144], v[14:15], -v[16:17]
	v_add_f64_e32 v[16:17], v[42:43], v[155:156]
	v_add_f64_e32 v[42:43], v[44:45], v[153:154]
	s_wait_loadcnt_dscnt 0x600
	v_mul_f64_e32 v[44:45], v[10:11], v[24:25]
	v_mul_f64_e32 v[24:25], v[12:13], v[24:25]
	v_fma_f64 v[143:144], v[4:5], v[18:19], v[147:148]
	v_fma_f64 v[18:19], v[2:3], v[18:19], -v[20:21]
	v_add_f64_e32 v[20:21], v[16:17], v[14:15]
	v_add_f64_e32 v[42:43], v[42:43], v[145:146]
	ds_load_b128 v[2:5], v1 offset:1312
	ds_load_b128 v[14:17], v1 offset:1328
	v_fma_f64 v[12:13], v[12:13], v[22:23], v[44:45]
	v_fma_f64 v[10:11], v[10:11], v[22:23], -v[24:25]
	s_wait_loadcnt_dscnt 0x501
	v_mul_f64_e32 v[145:146], v[2:3], v[28:29]
	v_mul_f64_e32 v[28:29], v[4:5], v[28:29]
	s_wait_loadcnt_dscnt 0x400
	v_mul_f64_e32 v[22:23], v[14:15], v[32:33]
	v_mul_f64_e32 v[24:25], v[16:17], v[32:33]
	v_add_f64_e32 v[18:19], v[20:21], v[18:19]
	v_add_f64_e32 v[20:21], v[42:43], v[143:144]
	v_fma_f64 v[32:33], v[4:5], v[26:27], v[145:146]
	v_fma_f64 v[26:27], v[2:3], v[26:27], -v[28:29]
	v_fma_f64 v[16:17], v[16:17], v[30:31], v[22:23]
	v_fma_f64 v[14:15], v[14:15], v[30:31], -v[24:25]
	v_add_f64_e32 v[18:19], v[18:19], v[10:11]
	v_add_f64_e32 v[20:21], v[20:21], v[12:13]
	ds_load_b128 v[2:5], v1 offset:1344
	ds_load_b128 v[10:13], v1 offset:1360
	s_wait_loadcnt_dscnt 0x301
	v_mul_f64_e32 v[28:29], v[2:3], v[36:37]
	v_mul_f64_e32 v[36:37], v[4:5], v[36:37]
	v_add_f64_e32 v[18:19], v[18:19], v[26:27]
	v_add_f64_e32 v[20:21], v[20:21], v[32:33]
	s_wait_loadcnt_dscnt 0x200
	v_mul_f64_e32 v[22:23], v[10:11], v[40:41]
	v_mul_f64_e32 v[24:25], v[12:13], v[40:41]
	v_fma_f64 v[26:27], v[4:5], v[34:35], v[28:29]
	v_fma_f64 v[28:29], v[2:3], v[34:35], -v[36:37]
	v_add_f64_e32 v[18:19], v[18:19], v[14:15]
	v_add_f64_e32 v[20:21], v[20:21], v[16:17]
	ds_load_b128 v[2:5], v1 offset:1376
	ds_load_b128 v[14:17], v1 offset:1392
	v_fma_f64 v[12:13], v[12:13], v[38:39], v[22:23]
	v_fma_f64 v[10:11], v[10:11], v[38:39], -v[24:25]
	s_wait_loadcnt_dscnt 0x1
	v_mul_f64_e32 v[30:31], v[2:3], v[141:142]
	v_mul_f64_e32 v[32:33], v[4:5], v[141:142]
	s_wait_dscnt 0x0
	v_mul_f64_e32 v[22:23], v[14:15], v[8:9]
	v_mul_f64_e32 v[8:9], v[16:17], v[8:9]
	v_add_f64_e32 v[18:19], v[18:19], v[28:29]
	v_add_f64_e32 v[20:21], v[20:21], v[26:27]
	v_fma_f64 v[4:5], v[4:5], v[139:140], v[30:31]
	v_fma_f64 v[1:2], v[2:3], v[139:140], -v[32:33]
	v_fma_f64 v[16:17], v[16:17], v[6:7], v[22:23]
	v_fma_f64 v[6:7], v[14:15], v[6:7], -v[8:9]
	v_add_f64_e32 v[10:11], v[18:19], v[10:11]
	v_add_f64_e32 v[12:13], v[20:21], v[12:13]
	s_delay_alu instid0(VALU_DEP_2) | instskip(NEXT) | instid1(VALU_DEP_2)
	v_add_f64_e32 v[1:2], v[10:11], v[1:2]
	v_add_f64_e32 v[3:4], v[12:13], v[4:5]
	s_delay_alu instid0(VALU_DEP_2) | instskip(NEXT) | instid1(VALU_DEP_2)
	;; [unrolled: 3-line block ×3, first 2 shown]
	v_add_f64_e64 v[1:2], v[135:136], -v[1:2]
	v_add_f64_e64 v[3:4], v[137:138], -v[3:4]
	scratch_store_b128 off, v[1:4], off offset:192
	v_cmpx_lt_u32_e32 10, v0
	s_cbranch_execz .LBB43_257
; %bb.256:
	scratch_load_b128 v[1:4], off, s47
	v_mov_b32_e32 v5, 0
	s_delay_alu instid0(VALU_DEP_1)
	v_dual_mov_b32 v6, v5 :: v_dual_mov_b32 v7, v5
	v_mov_b32_e32 v8, v5
	scratch_store_b128 off, v[5:8], off offset:176
	s_wait_loadcnt 0x0
	ds_store_b128 v134, v[1:4]
.LBB43_257:
	s_wait_alu 0xfffe
	s_or_b32 exec_lo, exec_lo, s0
	s_wait_storecnt_dscnt 0x0
	s_barrier_signal -1
	s_barrier_wait -1
	global_inv scope:SCOPE_SE
	s_clause 0x7
	scratch_load_b128 v[2:5], off, off offset:192
	scratch_load_b128 v[6:9], off, off offset:208
	;; [unrolled: 1-line block ×8, first 2 shown]
	v_mov_b32_e32 v1, 0
	s_mov_b32 s0, exec_lo
	ds_load_b128 v[34:37], v1 offset:880
	s_clause 0x1
	scratch_load_b128 v[38:41], off, off offset:320
	scratch_load_b128 v[42:45], off, off offset:176
	ds_load_b128 v[135:138], v1 offset:896
	scratch_load_b128 v[139:142], off, off offset:336
	s_wait_loadcnt_dscnt 0xa01
	v_mul_f64_e32 v[143:144], v[36:37], v[4:5]
	v_mul_f64_e32 v[4:5], v[34:35], v[4:5]
	s_delay_alu instid0(VALU_DEP_2) | instskip(NEXT) | instid1(VALU_DEP_2)
	v_fma_f64 v[149:150], v[34:35], v[2:3], -v[143:144]
	v_fma_f64 v[151:152], v[36:37], v[2:3], v[4:5]
	ds_load_b128 v[2:5], v1 offset:912
	s_wait_loadcnt_dscnt 0x901
	v_mul_f64_e32 v[147:148], v[135:136], v[8:9]
	v_mul_f64_e32 v[8:9], v[137:138], v[8:9]
	scratch_load_b128 v[34:37], off, off offset:352
	ds_load_b128 v[143:146], v1 offset:928
	s_wait_loadcnt_dscnt 0x901
	v_mul_f64_e32 v[153:154], v[2:3], v[12:13]
	v_mul_f64_e32 v[12:13], v[4:5], v[12:13]
	v_fma_f64 v[137:138], v[137:138], v[6:7], v[147:148]
	v_fma_f64 v[135:136], v[135:136], v[6:7], -v[8:9]
	v_add_f64_e32 v[147:148], 0, v[149:150]
	v_add_f64_e32 v[149:150], 0, v[151:152]
	scratch_load_b128 v[6:9], off, off offset:368
	v_fma_f64 v[153:154], v[4:5], v[10:11], v[153:154]
	v_fma_f64 v[155:156], v[2:3], v[10:11], -v[12:13]
	ds_load_b128 v[2:5], v1 offset:944
	s_wait_loadcnt_dscnt 0x901
	v_mul_f64_e32 v[151:152], v[143:144], v[16:17]
	v_mul_f64_e32 v[16:17], v[145:146], v[16:17]
	scratch_load_b128 v[10:13], off, off offset:384
	v_add_f64_e32 v[147:148], v[147:148], v[135:136]
	v_add_f64_e32 v[149:150], v[149:150], v[137:138]
	s_wait_loadcnt_dscnt 0x900
	v_mul_f64_e32 v[157:158], v[2:3], v[20:21]
	v_mul_f64_e32 v[20:21], v[4:5], v[20:21]
	ds_load_b128 v[135:138], v1 offset:960
	v_fma_f64 v[145:146], v[145:146], v[14:15], v[151:152]
	v_fma_f64 v[143:144], v[143:144], v[14:15], -v[16:17]
	scratch_load_b128 v[14:17], off, off offset:400
	v_add_f64_e32 v[147:148], v[147:148], v[155:156]
	v_add_f64_e32 v[149:150], v[149:150], v[153:154]
	v_fma_f64 v[153:154], v[4:5], v[18:19], v[157:158]
	v_fma_f64 v[155:156], v[2:3], v[18:19], -v[20:21]
	ds_load_b128 v[2:5], v1 offset:976
	s_wait_loadcnt_dscnt 0x901
	v_mul_f64_e32 v[151:152], v[135:136], v[24:25]
	v_mul_f64_e32 v[24:25], v[137:138], v[24:25]
	scratch_load_b128 v[18:21], off, off offset:416
	s_wait_loadcnt_dscnt 0x900
	v_mul_f64_e32 v[157:158], v[2:3], v[28:29]
	v_mul_f64_e32 v[28:29], v[4:5], v[28:29]
	v_add_f64_e32 v[147:148], v[147:148], v[143:144]
	v_add_f64_e32 v[149:150], v[149:150], v[145:146]
	ds_load_b128 v[143:146], v1 offset:992
	v_fma_f64 v[137:138], v[137:138], v[22:23], v[151:152]
	v_fma_f64 v[135:136], v[135:136], v[22:23], -v[24:25]
	scratch_load_b128 v[22:25], off, off offset:432
	v_add_f64_e32 v[147:148], v[147:148], v[155:156]
	v_add_f64_e32 v[149:150], v[149:150], v[153:154]
	v_fma_f64 v[153:154], v[4:5], v[26:27], v[157:158]
	v_fma_f64 v[155:156], v[2:3], v[26:27], -v[28:29]
	ds_load_b128 v[2:5], v1 offset:1008
	s_wait_loadcnt_dscnt 0x901
	v_mul_f64_e32 v[151:152], v[143:144], v[32:33]
	v_mul_f64_e32 v[32:33], v[145:146], v[32:33]
	scratch_load_b128 v[26:29], off, off offset:448
	s_wait_loadcnt_dscnt 0x900
	v_mul_f64_e32 v[157:158], v[2:3], v[40:41]
	v_mul_f64_e32 v[40:41], v[4:5], v[40:41]
	v_add_f64_e32 v[147:148], v[147:148], v[135:136]
	v_add_f64_e32 v[149:150], v[149:150], v[137:138]
	ds_load_b128 v[135:138], v1 offset:1024
	v_fma_f64 v[145:146], v[145:146], v[30:31], v[151:152]
	v_fma_f64 v[143:144], v[143:144], v[30:31], -v[32:33]
	scratch_load_b128 v[30:33], off, off offset:464
	v_add_f64_e32 v[147:148], v[147:148], v[155:156]
	v_add_f64_e32 v[149:150], v[149:150], v[153:154]
	v_fma_f64 v[155:156], v[4:5], v[38:39], v[157:158]
	v_fma_f64 v[157:158], v[2:3], v[38:39], -v[40:41]
	ds_load_b128 v[2:5], v1 offset:1040
	s_wait_loadcnt_dscnt 0x801
	v_mul_f64_e32 v[151:152], v[135:136], v[141:142]
	v_mul_f64_e32 v[153:154], v[137:138], v[141:142]
	scratch_load_b128 v[38:41], off, off offset:480
	v_add_f64_e32 v[147:148], v[147:148], v[143:144]
	v_add_f64_e32 v[145:146], v[149:150], v[145:146]
	ds_load_b128 v[141:144], v1 offset:1056
	v_fma_f64 v[151:152], v[137:138], v[139:140], v[151:152]
	v_fma_f64 v[139:140], v[135:136], v[139:140], -v[153:154]
	scratch_load_b128 v[135:138], off, off offset:496
	s_wait_loadcnt_dscnt 0x901
	v_mul_f64_e32 v[149:150], v[2:3], v[36:37]
	v_mul_f64_e32 v[36:37], v[4:5], v[36:37]
	v_add_f64_e32 v[147:148], v[147:148], v[157:158]
	v_add_f64_e32 v[145:146], v[145:146], v[155:156]
	s_delay_alu instid0(VALU_DEP_4) | instskip(NEXT) | instid1(VALU_DEP_4)
	v_fma_f64 v[149:150], v[4:5], v[34:35], v[149:150]
	v_fma_f64 v[155:156], v[2:3], v[34:35], -v[36:37]
	ds_load_b128 v[2:5], v1 offset:1072
	s_wait_loadcnt_dscnt 0x801
	v_mul_f64_e32 v[153:154], v[141:142], v[8:9]
	v_mul_f64_e32 v[8:9], v[143:144], v[8:9]
	scratch_load_b128 v[34:37], off, off offset:512
	s_wait_loadcnt_dscnt 0x800
	v_mul_f64_e32 v[157:158], v[2:3], v[12:13]
	v_add_f64_e32 v[139:140], v[147:148], v[139:140]
	v_add_f64_e32 v[151:152], v[145:146], v[151:152]
	v_mul_f64_e32 v[12:13], v[4:5], v[12:13]
	ds_load_b128 v[145:148], v1 offset:1088
	v_fma_f64 v[143:144], v[143:144], v[6:7], v[153:154]
	v_fma_f64 v[141:142], v[141:142], v[6:7], -v[8:9]
	scratch_load_b128 v[6:9], off, off offset:528
	v_fma_f64 v[153:154], v[4:5], v[10:11], v[157:158]
	v_add_f64_e32 v[139:140], v[139:140], v[155:156]
	v_add_f64_e32 v[149:150], v[151:152], v[149:150]
	v_fma_f64 v[155:156], v[2:3], v[10:11], -v[12:13]
	ds_load_b128 v[2:5], v1 offset:1104
	s_wait_loadcnt_dscnt 0x801
	v_mul_f64_e32 v[151:152], v[145:146], v[16:17]
	v_mul_f64_e32 v[16:17], v[147:148], v[16:17]
	scratch_load_b128 v[10:13], off, off offset:544
	v_add_f64_e32 v[157:158], v[139:140], v[141:142]
	v_add_f64_e32 v[143:144], v[149:150], v[143:144]
	s_wait_loadcnt_dscnt 0x800
	v_mul_f64_e32 v[149:150], v[2:3], v[20:21]
	v_mul_f64_e32 v[20:21], v[4:5], v[20:21]
	v_fma_f64 v[147:148], v[147:148], v[14:15], v[151:152]
	v_fma_f64 v[145:146], v[145:146], v[14:15], -v[16:17]
	ds_load_b128 v[139:142], v1 offset:1120
	scratch_load_b128 v[14:17], off, off offset:560
	v_add_f64_e32 v[151:152], v[157:158], v[155:156]
	v_add_f64_e32 v[143:144], v[143:144], v[153:154]
	v_fma_f64 v[149:150], v[4:5], v[18:19], v[149:150]
	v_fma_f64 v[155:156], v[2:3], v[18:19], -v[20:21]
	ds_load_b128 v[2:5], v1 offset:1136
	s_wait_loadcnt_dscnt 0x801
	v_mul_f64_e32 v[153:154], v[139:140], v[24:25]
	v_mul_f64_e32 v[24:25], v[141:142], v[24:25]
	scratch_load_b128 v[18:21], off, off offset:576
	s_wait_loadcnt_dscnt 0x800
	v_mul_f64_e32 v[157:158], v[2:3], v[28:29]
	v_mul_f64_e32 v[28:29], v[4:5], v[28:29]
	v_add_f64_e32 v[151:152], v[151:152], v[145:146]
	v_add_f64_e32 v[147:148], v[143:144], v[147:148]
	ds_load_b128 v[143:146], v1 offset:1152
	v_fma_f64 v[141:142], v[141:142], v[22:23], v[153:154]
	v_fma_f64 v[139:140], v[139:140], v[22:23], -v[24:25]
	scratch_load_b128 v[22:25], off, off offset:592
	v_fma_f64 v[153:154], v[4:5], v[26:27], v[157:158]
	v_add_f64_e32 v[151:152], v[151:152], v[155:156]
	v_add_f64_e32 v[147:148], v[147:148], v[149:150]
	v_fma_f64 v[155:156], v[2:3], v[26:27], -v[28:29]
	ds_load_b128 v[2:5], v1 offset:1168
	s_wait_loadcnt_dscnt 0x801
	v_mul_f64_e32 v[149:150], v[143:144], v[32:33]
	v_mul_f64_e32 v[32:33], v[145:146], v[32:33]
	scratch_load_b128 v[26:29], off, off offset:608
	s_wait_loadcnt_dscnt 0x800
	v_mul_f64_e32 v[157:158], v[2:3], v[40:41]
	v_mul_f64_e32 v[40:41], v[4:5], v[40:41]
	v_add_f64_e32 v[151:152], v[151:152], v[139:140]
	v_add_f64_e32 v[147:148], v[147:148], v[141:142]
	ds_load_b128 v[139:142], v1 offset:1184
	v_fma_f64 v[145:146], v[145:146], v[30:31], v[149:150]
	v_fma_f64 v[143:144], v[143:144], v[30:31], -v[32:33]
	scratch_load_b128 v[30:33], off, off offset:624
	v_add_f64_e32 v[149:150], v[151:152], v[155:156]
	v_add_f64_e32 v[147:148], v[147:148], v[153:154]
	v_fma_f64 v[153:154], v[4:5], v[38:39], v[157:158]
	v_fma_f64 v[155:156], v[2:3], v[38:39], -v[40:41]
	ds_load_b128 v[2:5], v1 offset:1200
	s_wait_loadcnt_dscnt 0x801
	v_mul_f64_e32 v[151:152], v[139:140], v[137:138]
	v_mul_f64_e32 v[137:138], v[141:142], v[137:138]
	scratch_load_b128 v[38:41], off, off offset:640
	s_wait_loadcnt_dscnt 0x800
	v_mul_f64_e32 v[157:158], v[2:3], v[36:37]
	v_mul_f64_e32 v[36:37], v[4:5], v[36:37]
	v_add_f64_e32 v[149:150], v[149:150], v[143:144]
	v_add_f64_e32 v[147:148], v[147:148], v[145:146]
	ds_load_b128 v[143:146], v1 offset:1216
	v_fma_f64 v[141:142], v[141:142], v[135:136], v[151:152]
	v_fma_f64 v[139:140], v[139:140], v[135:136], -v[137:138]
	scratch_load_b128 v[135:138], off, off offset:656
	v_add_f64_e32 v[149:150], v[149:150], v[155:156]
	v_add_f64_e32 v[147:148], v[147:148], v[153:154]
	v_fma_f64 v[153:154], v[4:5], v[34:35], v[157:158]
	;; [unrolled: 18-line block ×3, first 2 shown]
	v_fma_f64 v[155:156], v[2:3], v[10:11], -v[12:13]
	ds_load_b128 v[2:5], v1 offset:1264
	s_wait_loadcnt_dscnt 0x801
	v_mul_f64_e32 v[151:152], v[139:140], v[16:17]
	v_mul_f64_e32 v[16:17], v[141:142], v[16:17]
	scratch_load_b128 v[10:13], off, off offset:704
	s_wait_loadcnt_dscnt 0x800
	v_mul_f64_e32 v[157:158], v[2:3], v[20:21]
	v_mul_f64_e32 v[20:21], v[4:5], v[20:21]
	v_add_f64_e32 v[149:150], v[149:150], v[143:144]
	v_add_f64_e32 v[147:148], v[147:148], v[145:146]
	ds_load_b128 v[143:146], v1 offset:1280
	v_fma_f64 v[141:142], v[141:142], v[14:15], v[151:152]
	v_fma_f64 v[14:15], v[139:140], v[14:15], -v[16:17]
	v_add_f64_e32 v[16:17], v[149:150], v[155:156]
	v_add_f64_e32 v[139:140], v[147:148], v[153:154]
	s_wait_loadcnt_dscnt 0x700
	v_mul_f64_e32 v[147:148], v[143:144], v[24:25]
	v_mul_f64_e32 v[24:25], v[145:146], v[24:25]
	v_fma_f64 v[149:150], v[4:5], v[18:19], v[157:158]
	v_fma_f64 v[18:19], v[2:3], v[18:19], -v[20:21]
	v_add_f64_e32 v[20:21], v[16:17], v[14:15]
	v_add_f64_e32 v[139:140], v[139:140], v[141:142]
	ds_load_b128 v[2:5], v1 offset:1296
	ds_load_b128 v[14:17], v1 offset:1312
	v_fma_f64 v[145:146], v[145:146], v[22:23], v[147:148]
	v_fma_f64 v[22:23], v[143:144], v[22:23], -v[24:25]
	s_wait_loadcnt_dscnt 0x601
	v_mul_f64_e32 v[141:142], v[2:3], v[28:29]
	v_mul_f64_e32 v[28:29], v[4:5], v[28:29]
	s_wait_loadcnt_dscnt 0x500
	v_mul_f64_e32 v[24:25], v[14:15], v[32:33]
	v_mul_f64_e32 v[32:33], v[16:17], v[32:33]
	v_add_f64_e32 v[18:19], v[20:21], v[18:19]
	v_add_f64_e32 v[20:21], v[139:140], v[149:150]
	v_fma_f64 v[139:140], v[4:5], v[26:27], v[141:142]
	v_fma_f64 v[26:27], v[2:3], v[26:27], -v[28:29]
	v_fma_f64 v[16:17], v[16:17], v[30:31], v[24:25]
	v_fma_f64 v[14:15], v[14:15], v[30:31], -v[32:33]
	v_add_f64_e32 v[22:23], v[18:19], v[22:23]
	v_add_f64_e32 v[28:29], v[20:21], v[145:146]
	ds_load_b128 v[2:5], v1 offset:1328
	ds_load_b128 v[18:21], v1 offset:1344
	s_wait_loadcnt_dscnt 0x401
	v_mul_f64_e32 v[141:142], v[2:3], v[40:41]
	v_mul_f64_e32 v[40:41], v[4:5], v[40:41]
	v_add_f64_e32 v[22:23], v[22:23], v[26:27]
	v_add_f64_e32 v[24:25], v[28:29], v[139:140]
	s_wait_loadcnt_dscnt 0x300
	v_mul_f64_e32 v[26:27], v[18:19], v[137:138]
	v_mul_f64_e32 v[28:29], v[20:21], v[137:138]
	v_fma_f64 v[30:31], v[4:5], v[38:39], v[141:142]
	v_fma_f64 v[32:33], v[2:3], v[38:39], -v[40:41]
	v_add_f64_e32 v[22:23], v[22:23], v[14:15]
	v_add_f64_e32 v[24:25], v[24:25], v[16:17]
	ds_load_b128 v[2:5], v1 offset:1360
	ds_load_b128 v[14:17], v1 offset:1376
	v_fma_f64 v[20:21], v[20:21], v[135:136], v[26:27]
	v_fma_f64 v[18:19], v[18:19], v[135:136], -v[28:29]
	s_wait_loadcnt_dscnt 0x201
	v_mul_f64_e32 v[38:39], v[2:3], v[36:37]
	v_mul_f64_e32 v[36:37], v[4:5], v[36:37]
	s_wait_loadcnt_dscnt 0x100
	v_mul_f64_e32 v[26:27], v[14:15], v[8:9]
	v_mul_f64_e32 v[8:9], v[16:17], v[8:9]
	v_add_f64_e32 v[22:23], v[22:23], v[32:33]
	v_add_f64_e32 v[24:25], v[24:25], v[30:31]
	v_fma_f64 v[28:29], v[4:5], v[34:35], v[38:39]
	v_fma_f64 v[30:31], v[2:3], v[34:35], -v[36:37]
	ds_load_b128 v[2:5], v1 offset:1392
	v_fma_f64 v[16:17], v[16:17], v[6:7], v[26:27]
	v_fma_f64 v[6:7], v[14:15], v[6:7], -v[8:9]
	v_add_f64_e32 v[18:19], v[22:23], v[18:19]
	v_add_f64_e32 v[20:21], v[24:25], v[20:21]
	s_wait_loadcnt_dscnt 0x0
	v_mul_f64_e32 v[22:23], v[2:3], v[12:13]
	v_mul_f64_e32 v[12:13], v[4:5], v[12:13]
	s_delay_alu instid0(VALU_DEP_4) | instskip(NEXT) | instid1(VALU_DEP_4)
	v_add_f64_e32 v[8:9], v[18:19], v[30:31]
	v_add_f64_e32 v[14:15], v[20:21], v[28:29]
	s_delay_alu instid0(VALU_DEP_4) | instskip(NEXT) | instid1(VALU_DEP_4)
	v_fma_f64 v[4:5], v[4:5], v[10:11], v[22:23]
	v_fma_f64 v[2:3], v[2:3], v[10:11], -v[12:13]
	s_delay_alu instid0(VALU_DEP_4) | instskip(NEXT) | instid1(VALU_DEP_4)
	v_add_f64_e32 v[6:7], v[8:9], v[6:7]
	v_add_f64_e32 v[8:9], v[14:15], v[16:17]
	s_delay_alu instid0(VALU_DEP_2) | instskip(NEXT) | instid1(VALU_DEP_2)
	v_add_f64_e32 v[2:3], v[6:7], v[2:3]
	v_add_f64_e32 v[4:5], v[8:9], v[4:5]
	s_delay_alu instid0(VALU_DEP_2) | instskip(NEXT) | instid1(VALU_DEP_2)
	v_add_f64_e64 v[2:3], v[42:43], -v[2:3]
	v_add_f64_e64 v[4:5], v[44:45], -v[4:5]
	scratch_store_b128 off, v[2:5], off offset:176
	v_cmpx_lt_u32_e32 9, v0
	s_cbranch_execz .LBB43_259
; %bb.258:
	scratch_load_b128 v[5:8], off, s48
	v_dual_mov_b32 v2, v1 :: v_dual_mov_b32 v3, v1
	v_mov_b32_e32 v4, v1
	scratch_store_b128 off, v[1:4], off offset:160
	s_wait_loadcnt 0x0
	ds_store_b128 v134, v[5:8]
.LBB43_259:
	s_wait_alu 0xfffe
	s_or_b32 exec_lo, exec_lo, s0
	s_wait_storecnt_dscnt 0x0
	s_barrier_signal -1
	s_barrier_wait -1
	global_inv scope:SCOPE_SE
	s_clause 0x8
	scratch_load_b128 v[2:5], off, off offset:176
	scratch_load_b128 v[6:9], off, off offset:192
	;; [unrolled: 1-line block ×9, first 2 shown]
	ds_load_b128 v[38:41], v1 offset:864
	ds_load_b128 v[42:45], v1 offset:880
	s_clause 0x1
	scratch_load_b128 v[135:138], off, off offset:160
	scratch_load_b128 v[139:142], off, off offset:320
	s_mov_b32 s0, exec_lo
	s_wait_loadcnt_dscnt 0xa01
	v_mul_f64_e32 v[143:144], v[40:41], v[4:5]
	v_mul_f64_e32 v[4:5], v[38:39], v[4:5]
	s_wait_loadcnt_dscnt 0x900
	v_mul_f64_e32 v[147:148], v[42:43], v[8:9]
	v_mul_f64_e32 v[8:9], v[44:45], v[8:9]
	s_delay_alu instid0(VALU_DEP_4) | instskip(NEXT) | instid1(VALU_DEP_4)
	v_fma_f64 v[149:150], v[38:39], v[2:3], -v[143:144]
	v_fma_f64 v[151:152], v[40:41], v[2:3], v[4:5]
	ds_load_b128 v[2:5], v1 offset:896
	ds_load_b128 v[143:146], v1 offset:912
	scratch_load_b128 v[38:41], off, off offset:336
	v_fma_f64 v[44:45], v[44:45], v[6:7], v[147:148]
	v_fma_f64 v[42:43], v[42:43], v[6:7], -v[8:9]
	scratch_load_b128 v[6:9], off, off offset:352
	s_wait_loadcnt_dscnt 0xa01
	v_mul_f64_e32 v[153:154], v[2:3], v[12:13]
	v_mul_f64_e32 v[12:13], v[4:5], v[12:13]
	v_add_f64_e32 v[147:148], 0, v[149:150]
	v_add_f64_e32 v[149:150], 0, v[151:152]
	s_wait_loadcnt_dscnt 0x900
	v_mul_f64_e32 v[151:152], v[143:144], v[16:17]
	v_mul_f64_e32 v[16:17], v[145:146], v[16:17]
	v_fma_f64 v[153:154], v[4:5], v[10:11], v[153:154]
	v_fma_f64 v[155:156], v[2:3], v[10:11], -v[12:13]
	ds_load_b128 v[2:5], v1 offset:928
	scratch_load_b128 v[10:13], off, off offset:368
	v_add_f64_e32 v[147:148], v[147:148], v[42:43]
	v_add_f64_e32 v[149:150], v[149:150], v[44:45]
	ds_load_b128 v[42:45], v1 offset:944
	v_fma_f64 v[145:146], v[145:146], v[14:15], v[151:152]
	v_fma_f64 v[143:144], v[143:144], v[14:15], -v[16:17]
	scratch_load_b128 v[14:17], off, off offset:384
	s_wait_loadcnt_dscnt 0xa01
	v_mul_f64_e32 v[157:158], v[2:3], v[20:21]
	v_mul_f64_e32 v[20:21], v[4:5], v[20:21]
	s_wait_loadcnt_dscnt 0x900
	v_mul_f64_e32 v[151:152], v[42:43], v[24:25]
	v_mul_f64_e32 v[24:25], v[44:45], v[24:25]
	v_add_f64_e32 v[147:148], v[147:148], v[155:156]
	v_add_f64_e32 v[149:150], v[149:150], v[153:154]
	v_fma_f64 v[153:154], v[4:5], v[18:19], v[157:158]
	v_fma_f64 v[155:156], v[2:3], v[18:19], -v[20:21]
	ds_load_b128 v[2:5], v1 offset:960
	scratch_load_b128 v[18:21], off, off offset:400
	v_fma_f64 v[44:45], v[44:45], v[22:23], v[151:152]
	v_fma_f64 v[42:43], v[42:43], v[22:23], -v[24:25]
	scratch_load_b128 v[22:25], off, off offset:416
	v_add_f64_e32 v[147:148], v[147:148], v[143:144]
	v_add_f64_e32 v[149:150], v[149:150], v[145:146]
	ds_load_b128 v[143:146], v1 offset:976
	s_wait_loadcnt_dscnt 0xa01
	v_mul_f64_e32 v[157:158], v[2:3], v[28:29]
	v_mul_f64_e32 v[28:29], v[4:5], v[28:29]
	s_wait_loadcnt_dscnt 0x900
	v_mul_f64_e32 v[151:152], v[143:144], v[32:33]
	v_mul_f64_e32 v[32:33], v[145:146], v[32:33]
	v_add_f64_e32 v[147:148], v[147:148], v[155:156]
	v_add_f64_e32 v[149:150], v[149:150], v[153:154]
	v_fma_f64 v[153:154], v[4:5], v[26:27], v[157:158]
	v_fma_f64 v[155:156], v[2:3], v[26:27], -v[28:29]
	ds_load_b128 v[2:5], v1 offset:992
	scratch_load_b128 v[26:29], off, off offset:432
	v_fma_f64 v[145:146], v[145:146], v[30:31], v[151:152]
	v_fma_f64 v[143:144], v[143:144], v[30:31], -v[32:33]
	scratch_load_b128 v[30:33], off, off offset:448
	v_add_f64_e32 v[147:148], v[147:148], v[42:43]
	v_add_f64_e32 v[149:150], v[149:150], v[44:45]
	ds_load_b128 v[42:45], v1 offset:1008
	s_wait_loadcnt_dscnt 0xa01
	v_mul_f64_e32 v[157:158], v[2:3], v[36:37]
	v_mul_f64_e32 v[36:37], v[4:5], v[36:37]
	s_wait_loadcnt_dscnt 0x800
	v_mul_f64_e32 v[151:152], v[42:43], v[141:142]
	v_add_f64_e32 v[147:148], v[147:148], v[155:156]
	v_add_f64_e32 v[149:150], v[149:150], v[153:154]
	v_mul_f64_e32 v[153:154], v[44:45], v[141:142]
	v_fma_f64 v[155:156], v[4:5], v[34:35], v[157:158]
	v_fma_f64 v[157:158], v[2:3], v[34:35], -v[36:37]
	ds_load_b128 v[2:5], v1 offset:1024
	scratch_load_b128 v[34:37], off, off offset:464
	v_fma_f64 v[44:45], v[44:45], v[139:140], v[151:152]
	v_add_f64_e32 v[147:148], v[147:148], v[143:144]
	v_add_f64_e32 v[145:146], v[149:150], v[145:146]
	ds_load_b128 v[141:144], v1 offset:1040
	v_fma_f64 v[139:140], v[42:43], v[139:140], -v[153:154]
	s_wait_loadcnt_dscnt 0x801
	v_mul_f64_e32 v[149:150], v[2:3], v[40:41]
	v_mul_f64_e32 v[159:160], v[4:5], v[40:41]
	scratch_load_b128 v[40:43], off, off offset:480
	s_wait_loadcnt_dscnt 0x800
	v_mul_f64_e32 v[153:154], v[141:142], v[8:9]
	v_mul_f64_e32 v[8:9], v[143:144], v[8:9]
	v_add_f64_e32 v[147:148], v[147:148], v[157:158]
	v_add_f64_e32 v[145:146], v[145:146], v[155:156]
	v_fma_f64 v[155:156], v[4:5], v[38:39], v[149:150]
	v_fma_f64 v[38:39], v[2:3], v[38:39], -v[159:160]
	ds_load_b128 v[2:5], v1 offset:1056
	ds_load_b128 v[149:152], v1 offset:1072
	v_fma_f64 v[143:144], v[143:144], v[6:7], v[153:154]
	v_fma_f64 v[141:142], v[141:142], v[6:7], -v[8:9]
	scratch_load_b128 v[6:9], off, off offset:512
	v_add_f64_e32 v[139:140], v[147:148], v[139:140]
	v_add_f64_e32 v[44:45], v[145:146], v[44:45]
	scratch_load_b128 v[145:148], off, off offset:496
	s_wait_loadcnt_dscnt 0x901
	v_mul_f64_e32 v[157:158], v[2:3], v[12:13]
	v_mul_f64_e32 v[12:13], v[4:5], v[12:13]
	s_wait_loadcnt_dscnt 0x800
	v_mul_f64_e32 v[153:154], v[149:150], v[16:17]
	v_mul_f64_e32 v[16:17], v[151:152], v[16:17]
	v_add_f64_e32 v[38:39], v[139:140], v[38:39]
	v_add_f64_e32 v[44:45], v[44:45], v[155:156]
	v_fma_f64 v[155:156], v[4:5], v[10:11], v[157:158]
	v_fma_f64 v[157:158], v[2:3], v[10:11], -v[12:13]
	ds_load_b128 v[2:5], v1 offset:1088
	scratch_load_b128 v[10:13], off, off offset:528
	v_fma_f64 v[151:152], v[151:152], v[14:15], v[153:154]
	v_fma_f64 v[149:150], v[149:150], v[14:15], -v[16:17]
	scratch_load_b128 v[14:17], off, off offset:544
	v_add_f64_e32 v[38:39], v[38:39], v[141:142]
	v_add_f64_e32 v[44:45], v[44:45], v[143:144]
	ds_load_b128 v[139:142], v1 offset:1104
	s_wait_loadcnt_dscnt 0x901
	v_mul_f64_e32 v[143:144], v[2:3], v[20:21]
	v_mul_f64_e32 v[20:21], v[4:5], v[20:21]
	s_wait_loadcnt_dscnt 0x800
	v_mul_f64_e32 v[153:154], v[139:140], v[24:25]
	v_mul_f64_e32 v[24:25], v[141:142], v[24:25]
	v_add_f64_e32 v[38:39], v[38:39], v[157:158]
	v_add_f64_e32 v[44:45], v[44:45], v[155:156]
	v_fma_f64 v[143:144], v[4:5], v[18:19], v[143:144]
	v_fma_f64 v[155:156], v[2:3], v[18:19], -v[20:21]
	ds_load_b128 v[2:5], v1 offset:1120
	scratch_load_b128 v[18:21], off, off offset:560
	v_fma_f64 v[141:142], v[141:142], v[22:23], v[153:154]
	v_fma_f64 v[139:140], v[139:140], v[22:23], -v[24:25]
	scratch_load_b128 v[22:25], off, off offset:576
	v_add_f64_e32 v[38:39], v[38:39], v[149:150]
	v_add_f64_e32 v[44:45], v[44:45], v[151:152]
	ds_load_b128 v[149:152], v1 offset:1136
	s_wait_loadcnt_dscnt 0x901
	v_mul_f64_e32 v[157:158], v[2:3], v[28:29]
	v_mul_f64_e32 v[28:29], v[4:5], v[28:29]
	v_add_f64_e32 v[38:39], v[38:39], v[155:156]
	v_add_f64_e32 v[44:45], v[44:45], v[143:144]
	s_wait_loadcnt_dscnt 0x800
	v_mul_f64_e32 v[143:144], v[149:150], v[32:33]
	v_mul_f64_e32 v[32:33], v[151:152], v[32:33]
	v_fma_f64 v[153:154], v[4:5], v[26:27], v[157:158]
	v_fma_f64 v[155:156], v[2:3], v[26:27], -v[28:29]
	ds_load_b128 v[2:5], v1 offset:1152
	scratch_load_b128 v[26:29], off, off offset:592
	v_add_f64_e32 v[38:39], v[38:39], v[139:140]
	v_add_f64_e32 v[44:45], v[44:45], v[141:142]
	ds_load_b128 v[139:142], v1 offset:1168
	s_wait_loadcnt_dscnt 0x801
	v_mul_f64_e32 v[157:158], v[2:3], v[36:37]
	v_mul_f64_e32 v[36:37], v[4:5], v[36:37]
	v_fma_f64 v[143:144], v[151:152], v[30:31], v[143:144]
	v_fma_f64 v[149:150], v[149:150], v[30:31], -v[32:33]
	scratch_load_b128 v[30:33], off, off offset:608
	s_wait_loadcnt_dscnt 0x800
	v_mul_f64_e32 v[151:152], v[139:140], v[42:43]
	v_add_f64_e32 v[38:39], v[38:39], v[155:156]
	v_add_f64_e32 v[44:45], v[44:45], v[153:154]
	v_mul_f64_e32 v[153:154], v[141:142], v[42:43]
	v_fma_f64 v[155:156], v[4:5], v[34:35], v[157:158]
	v_fma_f64 v[157:158], v[2:3], v[34:35], -v[36:37]
	ds_load_b128 v[2:5], v1 offset:1184
	scratch_load_b128 v[34:37], off, off offset:624
	v_fma_f64 v[141:142], v[141:142], v[40:41], v[151:152]
	v_add_f64_e32 v[38:39], v[38:39], v[149:150]
	v_add_f64_e32 v[143:144], v[44:45], v[143:144]
	ds_load_b128 v[42:45], v1 offset:1200
	v_fma_f64 v[139:140], v[139:140], v[40:41], -v[153:154]
	s_wait_loadcnt_dscnt 0x701
	v_mul_f64_e32 v[149:150], v[2:3], v[147:148]
	v_mul_f64_e32 v[147:148], v[4:5], v[147:148]
	s_wait_dscnt 0x0
	v_mul_f64_e32 v[153:154], v[42:43], v[8:9]
	v_mul_f64_e32 v[8:9], v[44:45], v[8:9]
	v_add_f64_e32 v[151:152], v[38:39], v[157:158]
	v_add_f64_e32 v[143:144], v[143:144], v[155:156]
	scratch_load_b128 v[38:41], off, off offset:640
	v_fma_f64 v[149:150], v[4:5], v[145:146], v[149:150]
	v_fma_f64 v[147:148], v[2:3], v[145:146], -v[147:148]
	ds_load_b128 v[2:5], v1 offset:1216
	v_fma_f64 v[44:45], v[44:45], v[6:7], v[153:154]
	v_fma_f64 v[42:43], v[42:43], v[6:7], -v[8:9]
	scratch_load_b128 v[6:9], off, off offset:672
	v_add_f64_e32 v[151:152], v[151:152], v[139:140]
	v_add_f64_e32 v[155:156], v[143:144], v[141:142]
	scratch_load_b128 v[139:142], off, off offset:656
	ds_load_b128 v[143:146], v1 offset:1232
	s_wait_loadcnt_dscnt 0x901
	v_mul_f64_e32 v[157:158], v[2:3], v[12:13]
	v_mul_f64_e32 v[12:13], v[4:5], v[12:13]
	v_add_f64_e32 v[147:148], v[151:152], v[147:148]
	v_add_f64_e32 v[149:150], v[155:156], v[149:150]
	s_wait_loadcnt_dscnt 0x800
	v_mul_f64_e32 v[151:152], v[143:144], v[16:17]
	v_mul_f64_e32 v[16:17], v[145:146], v[16:17]
	v_fma_f64 v[153:154], v[4:5], v[10:11], v[157:158]
	v_fma_f64 v[155:156], v[2:3], v[10:11], -v[12:13]
	ds_load_b128 v[2:5], v1 offset:1248
	scratch_load_b128 v[10:13], off, off offset:688
	v_add_f64_e32 v[147:148], v[147:148], v[42:43]
	v_add_f64_e32 v[149:150], v[149:150], v[44:45]
	ds_load_b128 v[42:45], v1 offset:1264
	s_wait_loadcnt_dscnt 0x801
	v_mul_f64_e32 v[157:158], v[2:3], v[20:21]
	v_mul_f64_e32 v[20:21], v[4:5], v[20:21]
	v_fma_f64 v[145:146], v[145:146], v[14:15], v[151:152]
	v_fma_f64 v[143:144], v[143:144], v[14:15], -v[16:17]
	scratch_load_b128 v[14:17], off, off offset:704
	s_wait_loadcnt_dscnt 0x800
	v_mul_f64_e32 v[151:152], v[42:43], v[24:25]
	v_mul_f64_e32 v[24:25], v[44:45], v[24:25]
	v_add_f64_e32 v[147:148], v[147:148], v[155:156]
	v_add_f64_e32 v[149:150], v[149:150], v[153:154]
	v_fma_f64 v[153:154], v[4:5], v[18:19], v[157:158]
	v_fma_f64 v[155:156], v[2:3], v[18:19], -v[20:21]
	ds_load_b128 v[2:5], v1 offset:1280
	ds_load_b128 v[18:21], v1 offset:1296
	v_fma_f64 v[44:45], v[44:45], v[22:23], v[151:152]
	v_fma_f64 v[22:23], v[42:43], v[22:23], -v[24:25]
	v_add_f64_e32 v[143:144], v[147:148], v[143:144]
	v_add_f64_e32 v[145:146], v[149:150], v[145:146]
	s_wait_loadcnt_dscnt 0x701
	v_mul_f64_e32 v[147:148], v[2:3], v[28:29]
	v_mul_f64_e32 v[28:29], v[4:5], v[28:29]
	s_delay_alu instid0(VALU_DEP_4) | instskip(NEXT) | instid1(VALU_DEP_4)
	v_add_f64_e32 v[24:25], v[143:144], v[155:156]
	v_add_f64_e32 v[42:43], v[145:146], v[153:154]
	s_wait_loadcnt_dscnt 0x600
	v_mul_f64_e32 v[143:144], v[18:19], v[32:33]
	v_mul_f64_e32 v[32:33], v[20:21], v[32:33]
	v_fma_f64 v[145:146], v[4:5], v[26:27], v[147:148]
	v_fma_f64 v[26:27], v[2:3], v[26:27], -v[28:29]
	v_add_f64_e32 v[28:29], v[24:25], v[22:23]
	v_add_f64_e32 v[42:43], v[42:43], v[44:45]
	ds_load_b128 v[2:5], v1 offset:1312
	ds_load_b128 v[22:25], v1 offset:1328
	v_fma_f64 v[20:21], v[20:21], v[30:31], v[143:144]
	v_fma_f64 v[18:19], v[18:19], v[30:31], -v[32:33]
	s_wait_loadcnt_dscnt 0x501
	v_mul_f64_e32 v[44:45], v[2:3], v[36:37]
	v_mul_f64_e32 v[36:37], v[4:5], v[36:37]
	v_add_f64_e32 v[26:27], v[28:29], v[26:27]
	v_add_f64_e32 v[28:29], v[42:43], v[145:146]
	s_wait_loadcnt_dscnt 0x400
	v_mul_f64_e32 v[30:31], v[22:23], v[40:41]
	v_mul_f64_e32 v[32:33], v[24:25], v[40:41]
	v_fma_f64 v[40:41], v[4:5], v[34:35], v[44:45]
	v_fma_f64 v[34:35], v[2:3], v[34:35], -v[36:37]
	v_add_f64_e32 v[26:27], v[26:27], v[18:19]
	v_add_f64_e32 v[28:29], v[28:29], v[20:21]
	ds_load_b128 v[2:5], v1 offset:1344
	ds_load_b128 v[18:21], v1 offset:1360
	v_fma_f64 v[24:25], v[24:25], v[38:39], v[30:31]
	v_fma_f64 v[22:23], v[22:23], v[38:39], -v[32:33]
	s_wait_loadcnt_dscnt 0x201
	v_mul_f64_e32 v[36:37], v[2:3], v[141:142]
	v_mul_f64_e32 v[42:43], v[4:5], v[141:142]
	s_wait_dscnt 0x0
	v_mul_f64_e32 v[30:31], v[18:19], v[8:9]
	v_mul_f64_e32 v[8:9], v[20:21], v[8:9]
	v_add_f64_e32 v[26:27], v[26:27], v[34:35]
	v_add_f64_e32 v[28:29], v[28:29], v[40:41]
	v_fma_f64 v[32:33], v[4:5], v[139:140], v[36:37]
	v_fma_f64 v[34:35], v[2:3], v[139:140], -v[42:43]
	v_fma_f64 v[20:21], v[20:21], v[6:7], v[30:31]
	v_fma_f64 v[6:7], v[18:19], v[6:7], -v[8:9]
	v_add_f64_e32 v[26:27], v[26:27], v[22:23]
	v_add_f64_e32 v[28:29], v[28:29], v[24:25]
	ds_load_b128 v[2:5], v1 offset:1376
	ds_load_b128 v[22:25], v1 offset:1392
	s_wait_loadcnt_dscnt 0x101
	v_mul_f64_e32 v[36:37], v[2:3], v[12:13]
	v_mul_f64_e32 v[12:13], v[4:5], v[12:13]
	v_add_f64_e32 v[8:9], v[26:27], v[34:35]
	v_add_f64_e32 v[18:19], v[28:29], v[32:33]
	s_wait_loadcnt_dscnt 0x0
	v_mul_f64_e32 v[26:27], v[22:23], v[16:17]
	v_mul_f64_e32 v[16:17], v[24:25], v[16:17]
	v_fma_f64 v[4:5], v[4:5], v[10:11], v[36:37]
	v_fma_f64 v[1:2], v[2:3], v[10:11], -v[12:13]
	v_add_f64_e32 v[6:7], v[8:9], v[6:7]
	v_add_f64_e32 v[8:9], v[18:19], v[20:21]
	v_fma_f64 v[10:11], v[24:25], v[14:15], v[26:27]
	v_fma_f64 v[12:13], v[22:23], v[14:15], -v[16:17]
	s_delay_alu instid0(VALU_DEP_4) | instskip(NEXT) | instid1(VALU_DEP_4)
	v_add_f64_e32 v[1:2], v[6:7], v[1:2]
	v_add_f64_e32 v[3:4], v[8:9], v[4:5]
	s_delay_alu instid0(VALU_DEP_2) | instskip(NEXT) | instid1(VALU_DEP_2)
	v_add_f64_e32 v[1:2], v[1:2], v[12:13]
	v_add_f64_e32 v[3:4], v[3:4], v[10:11]
	s_delay_alu instid0(VALU_DEP_2) | instskip(NEXT) | instid1(VALU_DEP_2)
	v_add_f64_e64 v[1:2], v[135:136], -v[1:2]
	v_add_f64_e64 v[3:4], v[137:138], -v[3:4]
	scratch_store_b128 off, v[1:4], off offset:160
	v_cmpx_lt_u32_e32 8, v0
	s_cbranch_execz .LBB43_261
; %bb.260:
	scratch_load_b128 v[1:4], off, s49
	v_mov_b32_e32 v5, 0
	s_delay_alu instid0(VALU_DEP_1)
	v_dual_mov_b32 v6, v5 :: v_dual_mov_b32 v7, v5
	v_mov_b32_e32 v8, v5
	scratch_store_b128 off, v[5:8], off offset:144
	s_wait_loadcnt 0x0
	ds_store_b128 v134, v[1:4]
.LBB43_261:
	s_wait_alu 0xfffe
	s_or_b32 exec_lo, exec_lo, s0
	s_wait_storecnt_dscnt 0x0
	s_barrier_signal -1
	s_barrier_wait -1
	global_inv scope:SCOPE_SE
	s_clause 0x7
	scratch_load_b128 v[2:5], off, off offset:160
	scratch_load_b128 v[6:9], off, off offset:176
	;; [unrolled: 1-line block ×8, first 2 shown]
	v_mov_b32_e32 v1, 0
	s_mov_b32 s0, exec_lo
	ds_load_b128 v[38:41], v1 offset:848
	s_clause 0x1
	scratch_load_b128 v[34:37], off, off offset:288
	scratch_load_b128 v[42:45], off, off offset:144
	ds_load_b128 v[135:138], v1 offset:864
	scratch_load_b128 v[139:142], off, off offset:304
	s_wait_loadcnt_dscnt 0xa01
	v_mul_f64_e32 v[143:144], v[40:41], v[4:5]
	v_mul_f64_e32 v[4:5], v[38:39], v[4:5]
	s_delay_alu instid0(VALU_DEP_2) | instskip(NEXT) | instid1(VALU_DEP_2)
	v_fma_f64 v[149:150], v[38:39], v[2:3], -v[143:144]
	v_fma_f64 v[151:152], v[40:41], v[2:3], v[4:5]
	ds_load_b128 v[2:5], v1 offset:880
	s_wait_loadcnt_dscnt 0x901
	v_mul_f64_e32 v[147:148], v[135:136], v[8:9]
	v_mul_f64_e32 v[8:9], v[137:138], v[8:9]
	scratch_load_b128 v[38:41], off, off offset:320
	ds_load_b128 v[143:146], v1 offset:896
	s_wait_loadcnt_dscnt 0x901
	v_mul_f64_e32 v[153:154], v[2:3], v[12:13]
	v_mul_f64_e32 v[12:13], v[4:5], v[12:13]
	v_fma_f64 v[137:138], v[137:138], v[6:7], v[147:148]
	v_fma_f64 v[135:136], v[135:136], v[6:7], -v[8:9]
	v_add_f64_e32 v[147:148], 0, v[149:150]
	v_add_f64_e32 v[149:150], 0, v[151:152]
	scratch_load_b128 v[6:9], off, off offset:336
	v_fma_f64 v[153:154], v[4:5], v[10:11], v[153:154]
	v_fma_f64 v[155:156], v[2:3], v[10:11], -v[12:13]
	ds_load_b128 v[2:5], v1 offset:912
	s_wait_loadcnt_dscnt 0x901
	v_mul_f64_e32 v[151:152], v[143:144], v[16:17]
	v_mul_f64_e32 v[16:17], v[145:146], v[16:17]
	scratch_load_b128 v[10:13], off, off offset:352
	v_add_f64_e32 v[147:148], v[147:148], v[135:136]
	v_add_f64_e32 v[149:150], v[149:150], v[137:138]
	s_wait_loadcnt_dscnt 0x900
	v_mul_f64_e32 v[157:158], v[2:3], v[20:21]
	v_mul_f64_e32 v[20:21], v[4:5], v[20:21]
	ds_load_b128 v[135:138], v1 offset:928
	v_fma_f64 v[145:146], v[145:146], v[14:15], v[151:152]
	v_fma_f64 v[143:144], v[143:144], v[14:15], -v[16:17]
	scratch_load_b128 v[14:17], off, off offset:368
	v_add_f64_e32 v[147:148], v[147:148], v[155:156]
	v_add_f64_e32 v[149:150], v[149:150], v[153:154]
	v_fma_f64 v[153:154], v[4:5], v[18:19], v[157:158]
	v_fma_f64 v[155:156], v[2:3], v[18:19], -v[20:21]
	ds_load_b128 v[2:5], v1 offset:944
	s_wait_loadcnt_dscnt 0x901
	v_mul_f64_e32 v[151:152], v[135:136], v[24:25]
	v_mul_f64_e32 v[24:25], v[137:138], v[24:25]
	scratch_load_b128 v[18:21], off, off offset:384
	s_wait_loadcnt_dscnt 0x900
	v_mul_f64_e32 v[157:158], v[2:3], v[28:29]
	v_mul_f64_e32 v[28:29], v[4:5], v[28:29]
	v_add_f64_e32 v[147:148], v[147:148], v[143:144]
	v_add_f64_e32 v[149:150], v[149:150], v[145:146]
	ds_load_b128 v[143:146], v1 offset:960
	v_fma_f64 v[137:138], v[137:138], v[22:23], v[151:152]
	v_fma_f64 v[135:136], v[135:136], v[22:23], -v[24:25]
	scratch_load_b128 v[22:25], off, off offset:400
	v_add_f64_e32 v[147:148], v[147:148], v[155:156]
	v_add_f64_e32 v[149:150], v[149:150], v[153:154]
	v_fma_f64 v[153:154], v[4:5], v[26:27], v[157:158]
	v_fma_f64 v[155:156], v[2:3], v[26:27], -v[28:29]
	ds_load_b128 v[2:5], v1 offset:976
	s_wait_loadcnt_dscnt 0x901
	v_mul_f64_e32 v[151:152], v[143:144], v[32:33]
	v_mul_f64_e32 v[32:33], v[145:146], v[32:33]
	scratch_load_b128 v[26:29], off, off offset:416
	s_wait_loadcnt_dscnt 0x900
	v_mul_f64_e32 v[157:158], v[2:3], v[36:37]
	v_mul_f64_e32 v[36:37], v[4:5], v[36:37]
	v_add_f64_e32 v[147:148], v[147:148], v[135:136]
	v_add_f64_e32 v[149:150], v[149:150], v[137:138]
	ds_load_b128 v[135:138], v1 offset:992
	v_fma_f64 v[145:146], v[145:146], v[30:31], v[151:152]
	v_fma_f64 v[143:144], v[143:144], v[30:31], -v[32:33]
	scratch_load_b128 v[30:33], off, off offset:432
	v_add_f64_e32 v[147:148], v[147:148], v[155:156]
	v_add_f64_e32 v[149:150], v[149:150], v[153:154]
	v_fma_f64 v[155:156], v[4:5], v[34:35], v[157:158]
	v_fma_f64 v[157:158], v[2:3], v[34:35], -v[36:37]
	ds_load_b128 v[2:5], v1 offset:1008
	s_wait_loadcnt_dscnt 0x801
	v_mul_f64_e32 v[151:152], v[135:136], v[141:142]
	v_mul_f64_e32 v[153:154], v[137:138], v[141:142]
	scratch_load_b128 v[34:37], off, off offset:448
	v_add_f64_e32 v[147:148], v[147:148], v[143:144]
	v_add_f64_e32 v[145:146], v[149:150], v[145:146]
	ds_load_b128 v[141:144], v1 offset:1024
	v_fma_f64 v[151:152], v[137:138], v[139:140], v[151:152]
	v_fma_f64 v[139:140], v[135:136], v[139:140], -v[153:154]
	scratch_load_b128 v[135:138], off, off offset:464
	s_wait_loadcnt_dscnt 0x901
	v_mul_f64_e32 v[149:150], v[2:3], v[40:41]
	v_mul_f64_e32 v[40:41], v[4:5], v[40:41]
	v_add_f64_e32 v[147:148], v[147:148], v[157:158]
	v_add_f64_e32 v[145:146], v[145:146], v[155:156]
	s_delay_alu instid0(VALU_DEP_4) | instskip(NEXT) | instid1(VALU_DEP_4)
	v_fma_f64 v[149:150], v[4:5], v[38:39], v[149:150]
	v_fma_f64 v[155:156], v[2:3], v[38:39], -v[40:41]
	ds_load_b128 v[2:5], v1 offset:1040
	s_wait_loadcnt_dscnt 0x801
	v_mul_f64_e32 v[153:154], v[141:142], v[8:9]
	v_mul_f64_e32 v[8:9], v[143:144], v[8:9]
	scratch_load_b128 v[38:41], off, off offset:480
	s_wait_loadcnt_dscnt 0x800
	v_mul_f64_e32 v[157:158], v[2:3], v[12:13]
	v_add_f64_e32 v[139:140], v[147:148], v[139:140]
	v_add_f64_e32 v[151:152], v[145:146], v[151:152]
	v_mul_f64_e32 v[12:13], v[4:5], v[12:13]
	ds_load_b128 v[145:148], v1 offset:1056
	v_fma_f64 v[143:144], v[143:144], v[6:7], v[153:154]
	v_fma_f64 v[141:142], v[141:142], v[6:7], -v[8:9]
	scratch_load_b128 v[6:9], off, off offset:496
	v_fma_f64 v[153:154], v[4:5], v[10:11], v[157:158]
	v_add_f64_e32 v[139:140], v[139:140], v[155:156]
	v_add_f64_e32 v[149:150], v[151:152], v[149:150]
	v_fma_f64 v[155:156], v[2:3], v[10:11], -v[12:13]
	ds_load_b128 v[2:5], v1 offset:1072
	s_wait_loadcnt_dscnt 0x801
	v_mul_f64_e32 v[151:152], v[145:146], v[16:17]
	v_mul_f64_e32 v[16:17], v[147:148], v[16:17]
	scratch_load_b128 v[10:13], off, off offset:512
	v_add_f64_e32 v[157:158], v[139:140], v[141:142]
	v_add_f64_e32 v[143:144], v[149:150], v[143:144]
	s_wait_loadcnt_dscnt 0x800
	v_mul_f64_e32 v[149:150], v[2:3], v[20:21]
	v_mul_f64_e32 v[20:21], v[4:5], v[20:21]
	v_fma_f64 v[147:148], v[147:148], v[14:15], v[151:152]
	v_fma_f64 v[145:146], v[145:146], v[14:15], -v[16:17]
	ds_load_b128 v[139:142], v1 offset:1088
	scratch_load_b128 v[14:17], off, off offset:528
	v_add_f64_e32 v[151:152], v[157:158], v[155:156]
	v_add_f64_e32 v[143:144], v[143:144], v[153:154]
	v_fma_f64 v[149:150], v[4:5], v[18:19], v[149:150]
	v_fma_f64 v[155:156], v[2:3], v[18:19], -v[20:21]
	ds_load_b128 v[2:5], v1 offset:1104
	s_wait_loadcnt_dscnt 0x801
	v_mul_f64_e32 v[153:154], v[139:140], v[24:25]
	v_mul_f64_e32 v[24:25], v[141:142], v[24:25]
	scratch_load_b128 v[18:21], off, off offset:544
	s_wait_loadcnt_dscnt 0x800
	v_mul_f64_e32 v[157:158], v[2:3], v[28:29]
	v_mul_f64_e32 v[28:29], v[4:5], v[28:29]
	v_add_f64_e32 v[151:152], v[151:152], v[145:146]
	v_add_f64_e32 v[147:148], v[143:144], v[147:148]
	ds_load_b128 v[143:146], v1 offset:1120
	v_fma_f64 v[141:142], v[141:142], v[22:23], v[153:154]
	v_fma_f64 v[139:140], v[139:140], v[22:23], -v[24:25]
	scratch_load_b128 v[22:25], off, off offset:560
	v_fma_f64 v[153:154], v[4:5], v[26:27], v[157:158]
	v_add_f64_e32 v[151:152], v[151:152], v[155:156]
	v_add_f64_e32 v[147:148], v[147:148], v[149:150]
	v_fma_f64 v[155:156], v[2:3], v[26:27], -v[28:29]
	ds_load_b128 v[2:5], v1 offset:1136
	s_wait_loadcnt_dscnt 0x801
	v_mul_f64_e32 v[149:150], v[143:144], v[32:33]
	v_mul_f64_e32 v[32:33], v[145:146], v[32:33]
	scratch_load_b128 v[26:29], off, off offset:576
	s_wait_loadcnt_dscnt 0x800
	v_mul_f64_e32 v[157:158], v[2:3], v[36:37]
	v_mul_f64_e32 v[36:37], v[4:5], v[36:37]
	v_add_f64_e32 v[151:152], v[151:152], v[139:140]
	v_add_f64_e32 v[147:148], v[147:148], v[141:142]
	ds_load_b128 v[139:142], v1 offset:1152
	v_fma_f64 v[145:146], v[145:146], v[30:31], v[149:150]
	v_fma_f64 v[143:144], v[143:144], v[30:31], -v[32:33]
	scratch_load_b128 v[30:33], off, off offset:592
	v_add_f64_e32 v[149:150], v[151:152], v[155:156]
	v_add_f64_e32 v[147:148], v[147:148], v[153:154]
	v_fma_f64 v[153:154], v[4:5], v[34:35], v[157:158]
	v_fma_f64 v[155:156], v[2:3], v[34:35], -v[36:37]
	ds_load_b128 v[2:5], v1 offset:1168
	s_wait_loadcnt_dscnt 0x801
	v_mul_f64_e32 v[151:152], v[139:140], v[137:138]
	v_mul_f64_e32 v[137:138], v[141:142], v[137:138]
	scratch_load_b128 v[34:37], off, off offset:608
	s_wait_loadcnt_dscnt 0x800
	v_mul_f64_e32 v[157:158], v[2:3], v[40:41]
	v_mul_f64_e32 v[40:41], v[4:5], v[40:41]
	v_add_f64_e32 v[149:150], v[149:150], v[143:144]
	v_add_f64_e32 v[147:148], v[147:148], v[145:146]
	ds_load_b128 v[143:146], v1 offset:1184
	v_fma_f64 v[141:142], v[141:142], v[135:136], v[151:152]
	v_fma_f64 v[139:140], v[139:140], v[135:136], -v[137:138]
	scratch_load_b128 v[135:138], off, off offset:624
	v_add_f64_e32 v[149:150], v[149:150], v[155:156]
	v_add_f64_e32 v[147:148], v[147:148], v[153:154]
	v_fma_f64 v[153:154], v[4:5], v[38:39], v[157:158]
	v_fma_f64 v[155:156], v[2:3], v[38:39], -v[40:41]
	ds_load_b128 v[2:5], v1 offset:1200
	s_wait_loadcnt_dscnt 0x801
	v_mul_f64_e32 v[151:152], v[143:144], v[8:9]
	v_mul_f64_e32 v[8:9], v[145:146], v[8:9]
	scratch_load_b128 v[38:41], off, off offset:640
	s_wait_loadcnt_dscnt 0x800
	v_mul_f64_e32 v[157:158], v[2:3], v[12:13]
	v_mul_f64_e32 v[12:13], v[4:5], v[12:13]
	v_add_f64_e32 v[149:150], v[149:150], v[139:140]
	v_add_f64_e32 v[147:148], v[147:148], v[141:142]
	ds_load_b128 v[139:142], v1 offset:1216
	v_fma_f64 v[145:146], v[145:146], v[6:7], v[151:152]
	v_fma_f64 v[143:144], v[143:144], v[6:7], -v[8:9]
	scratch_load_b128 v[6:9], off, off offset:656
	v_add_f64_e32 v[149:150], v[149:150], v[155:156]
	v_add_f64_e32 v[147:148], v[147:148], v[153:154]
	v_fma_f64 v[153:154], v[4:5], v[10:11], v[157:158]
	v_fma_f64 v[155:156], v[2:3], v[10:11], -v[12:13]
	ds_load_b128 v[2:5], v1 offset:1232
	s_wait_loadcnt_dscnt 0x801
	v_mul_f64_e32 v[151:152], v[139:140], v[16:17]
	v_mul_f64_e32 v[16:17], v[141:142], v[16:17]
	scratch_load_b128 v[10:13], off, off offset:672
	s_wait_loadcnt_dscnt 0x800
	v_mul_f64_e32 v[157:158], v[2:3], v[20:21]
	v_mul_f64_e32 v[20:21], v[4:5], v[20:21]
	v_add_f64_e32 v[149:150], v[149:150], v[143:144]
	v_add_f64_e32 v[147:148], v[147:148], v[145:146]
	ds_load_b128 v[143:146], v1 offset:1248
	v_fma_f64 v[141:142], v[141:142], v[14:15], v[151:152]
	v_fma_f64 v[139:140], v[139:140], v[14:15], -v[16:17]
	scratch_load_b128 v[14:17], off, off offset:688
	v_add_f64_e32 v[149:150], v[149:150], v[155:156]
	v_add_f64_e32 v[147:148], v[147:148], v[153:154]
	v_fma_f64 v[153:154], v[4:5], v[18:19], v[157:158]
	v_fma_f64 v[155:156], v[2:3], v[18:19], -v[20:21]
	ds_load_b128 v[2:5], v1 offset:1264
	s_wait_loadcnt_dscnt 0x801
	v_mul_f64_e32 v[151:152], v[143:144], v[24:25]
	v_mul_f64_e32 v[24:25], v[145:146], v[24:25]
	scratch_load_b128 v[18:21], off, off offset:704
	s_wait_loadcnt_dscnt 0x800
	v_mul_f64_e32 v[157:158], v[2:3], v[28:29]
	v_mul_f64_e32 v[28:29], v[4:5], v[28:29]
	v_add_f64_e32 v[149:150], v[149:150], v[139:140]
	v_add_f64_e32 v[147:148], v[147:148], v[141:142]
	ds_load_b128 v[139:142], v1 offset:1280
	v_fma_f64 v[145:146], v[145:146], v[22:23], v[151:152]
	v_fma_f64 v[22:23], v[143:144], v[22:23], -v[24:25]
	v_add_f64_e32 v[24:25], v[149:150], v[155:156]
	v_add_f64_e32 v[143:144], v[147:148], v[153:154]
	s_wait_loadcnt_dscnt 0x700
	v_mul_f64_e32 v[147:148], v[139:140], v[32:33]
	v_mul_f64_e32 v[32:33], v[141:142], v[32:33]
	v_fma_f64 v[149:150], v[4:5], v[26:27], v[157:158]
	v_fma_f64 v[26:27], v[2:3], v[26:27], -v[28:29]
	v_add_f64_e32 v[28:29], v[24:25], v[22:23]
	v_add_f64_e32 v[143:144], v[143:144], v[145:146]
	ds_load_b128 v[2:5], v1 offset:1296
	ds_load_b128 v[22:25], v1 offset:1312
	v_fma_f64 v[141:142], v[141:142], v[30:31], v[147:148]
	v_fma_f64 v[30:31], v[139:140], v[30:31], -v[32:33]
	s_wait_loadcnt_dscnt 0x601
	v_mul_f64_e32 v[145:146], v[2:3], v[36:37]
	v_mul_f64_e32 v[36:37], v[4:5], v[36:37]
	s_wait_loadcnt_dscnt 0x500
	v_mul_f64_e32 v[32:33], v[22:23], v[137:138]
	v_mul_f64_e32 v[137:138], v[24:25], v[137:138]
	v_add_f64_e32 v[26:27], v[28:29], v[26:27]
	v_add_f64_e32 v[28:29], v[143:144], v[149:150]
	v_fma_f64 v[139:140], v[4:5], v[34:35], v[145:146]
	v_fma_f64 v[34:35], v[2:3], v[34:35], -v[36:37]
	v_fma_f64 v[24:25], v[24:25], v[135:136], v[32:33]
	v_fma_f64 v[22:23], v[22:23], v[135:136], -v[137:138]
	v_add_f64_e32 v[30:31], v[26:27], v[30:31]
	v_add_f64_e32 v[36:37], v[28:29], v[141:142]
	ds_load_b128 v[2:5], v1 offset:1328
	ds_load_b128 v[26:29], v1 offset:1344
	s_wait_loadcnt_dscnt 0x401
	v_mul_f64_e32 v[141:142], v[2:3], v[40:41]
	v_mul_f64_e32 v[40:41], v[4:5], v[40:41]
	v_add_f64_e32 v[30:31], v[30:31], v[34:35]
	v_add_f64_e32 v[32:33], v[36:37], v[139:140]
	s_wait_loadcnt_dscnt 0x300
	v_mul_f64_e32 v[34:35], v[26:27], v[8:9]
	v_mul_f64_e32 v[8:9], v[28:29], v[8:9]
	v_fma_f64 v[36:37], v[4:5], v[38:39], v[141:142]
	v_fma_f64 v[38:39], v[2:3], v[38:39], -v[40:41]
	v_add_f64_e32 v[30:31], v[30:31], v[22:23]
	v_add_f64_e32 v[32:33], v[32:33], v[24:25]
	ds_load_b128 v[2:5], v1 offset:1360
	ds_load_b128 v[22:25], v1 offset:1376
	v_fma_f64 v[28:29], v[28:29], v[6:7], v[34:35]
	v_fma_f64 v[6:7], v[26:27], v[6:7], -v[8:9]
	s_wait_loadcnt_dscnt 0x201
	v_mul_f64_e32 v[40:41], v[2:3], v[12:13]
	v_mul_f64_e32 v[12:13], v[4:5], v[12:13]
	v_add_f64_e32 v[8:9], v[30:31], v[38:39]
	v_add_f64_e32 v[26:27], v[32:33], v[36:37]
	s_wait_loadcnt_dscnt 0x100
	v_mul_f64_e32 v[30:31], v[22:23], v[16:17]
	v_mul_f64_e32 v[16:17], v[24:25], v[16:17]
	v_fma_f64 v[32:33], v[4:5], v[10:11], v[40:41]
	v_fma_f64 v[10:11], v[2:3], v[10:11], -v[12:13]
	ds_load_b128 v[2:5], v1 offset:1392
	v_add_f64_e32 v[6:7], v[8:9], v[6:7]
	v_add_f64_e32 v[8:9], v[26:27], v[28:29]
	v_fma_f64 v[24:25], v[24:25], v[14:15], v[30:31]
	v_fma_f64 v[14:15], v[22:23], v[14:15], -v[16:17]
	s_wait_loadcnt_dscnt 0x0
	v_mul_f64_e32 v[12:13], v[2:3], v[20:21]
	v_mul_f64_e32 v[20:21], v[4:5], v[20:21]
	v_add_f64_e32 v[6:7], v[6:7], v[10:11]
	v_add_f64_e32 v[8:9], v[8:9], v[32:33]
	s_delay_alu instid0(VALU_DEP_4) | instskip(NEXT) | instid1(VALU_DEP_4)
	v_fma_f64 v[4:5], v[4:5], v[18:19], v[12:13]
	v_fma_f64 v[2:3], v[2:3], v[18:19], -v[20:21]
	s_delay_alu instid0(VALU_DEP_4) | instskip(NEXT) | instid1(VALU_DEP_4)
	v_add_f64_e32 v[6:7], v[6:7], v[14:15]
	v_add_f64_e32 v[8:9], v[8:9], v[24:25]
	s_delay_alu instid0(VALU_DEP_2) | instskip(NEXT) | instid1(VALU_DEP_2)
	v_add_f64_e32 v[2:3], v[6:7], v[2:3]
	v_add_f64_e32 v[4:5], v[8:9], v[4:5]
	s_delay_alu instid0(VALU_DEP_2) | instskip(NEXT) | instid1(VALU_DEP_2)
	v_add_f64_e64 v[2:3], v[42:43], -v[2:3]
	v_add_f64_e64 v[4:5], v[44:45], -v[4:5]
	scratch_store_b128 off, v[2:5], off offset:144
	v_cmpx_lt_u32_e32 7, v0
	s_cbranch_execz .LBB43_263
; %bb.262:
	scratch_load_b128 v[5:8], off, s50
	v_dual_mov_b32 v2, v1 :: v_dual_mov_b32 v3, v1
	v_mov_b32_e32 v4, v1
	scratch_store_b128 off, v[1:4], off offset:128
	s_wait_loadcnt 0x0
	ds_store_b128 v134, v[5:8]
.LBB43_263:
	s_wait_alu 0xfffe
	s_or_b32 exec_lo, exec_lo, s0
	s_wait_storecnt_dscnt 0x0
	s_barrier_signal -1
	s_barrier_wait -1
	global_inv scope:SCOPE_SE
	s_clause 0x8
	scratch_load_b128 v[2:5], off, off offset:144
	scratch_load_b128 v[6:9], off, off offset:160
	;; [unrolled: 1-line block ×9, first 2 shown]
	ds_load_b128 v[38:41], v1 offset:832
	ds_load_b128 v[42:45], v1 offset:848
	s_clause 0x1
	scratch_load_b128 v[135:138], off, off offset:128
	scratch_load_b128 v[139:142], off, off offset:288
	s_mov_b32 s0, exec_lo
	s_wait_loadcnt_dscnt 0xa01
	v_mul_f64_e32 v[143:144], v[40:41], v[4:5]
	v_mul_f64_e32 v[4:5], v[38:39], v[4:5]
	s_wait_loadcnt_dscnt 0x900
	v_mul_f64_e32 v[147:148], v[42:43], v[8:9]
	v_mul_f64_e32 v[8:9], v[44:45], v[8:9]
	s_delay_alu instid0(VALU_DEP_4) | instskip(NEXT) | instid1(VALU_DEP_4)
	v_fma_f64 v[149:150], v[38:39], v[2:3], -v[143:144]
	v_fma_f64 v[151:152], v[40:41], v[2:3], v[4:5]
	ds_load_b128 v[2:5], v1 offset:864
	ds_load_b128 v[143:146], v1 offset:880
	scratch_load_b128 v[38:41], off, off offset:304
	v_fma_f64 v[44:45], v[44:45], v[6:7], v[147:148]
	v_fma_f64 v[42:43], v[42:43], v[6:7], -v[8:9]
	scratch_load_b128 v[6:9], off, off offset:320
	s_wait_loadcnt_dscnt 0xa01
	v_mul_f64_e32 v[153:154], v[2:3], v[12:13]
	v_mul_f64_e32 v[12:13], v[4:5], v[12:13]
	v_add_f64_e32 v[147:148], 0, v[149:150]
	v_add_f64_e32 v[149:150], 0, v[151:152]
	s_wait_loadcnt_dscnt 0x900
	v_mul_f64_e32 v[151:152], v[143:144], v[16:17]
	v_mul_f64_e32 v[16:17], v[145:146], v[16:17]
	v_fma_f64 v[153:154], v[4:5], v[10:11], v[153:154]
	v_fma_f64 v[155:156], v[2:3], v[10:11], -v[12:13]
	ds_load_b128 v[2:5], v1 offset:896
	scratch_load_b128 v[10:13], off, off offset:336
	v_add_f64_e32 v[147:148], v[147:148], v[42:43]
	v_add_f64_e32 v[149:150], v[149:150], v[44:45]
	ds_load_b128 v[42:45], v1 offset:912
	v_fma_f64 v[145:146], v[145:146], v[14:15], v[151:152]
	v_fma_f64 v[143:144], v[143:144], v[14:15], -v[16:17]
	scratch_load_b128 v[14:17], off, off offset:352
	s_wait_loadcnt_dscnt 0xa01
	v_mul_f64_e32 v[157:158], v[2:3], v[20:21]
	v_mul_f64_e32 v[20:21], v[4:5], v[20:21]
	s_wait_loadcnt_dscnt 0x900
	v_mul_f64_e32 v[151:152], v[42:43], v[24:25]
	v_mul_f64_e32 v[24:25], v[44:45], v[24:25]
	v_add_f64_e32 v[147:148], v[147:148], v[155:156]
	v_add_f64_e32 v[149:150], v[149:150], v[153:154]
	v_fma_f64 v[153:154], v[4:5], v[18:19], v[157:158]
	v_fma_f64 v[155:156], v[2:3], v[18:19], -v[20:21]
	ds_load_b128 v[2:5], v1 offset:928
	scratch_load_b128 v[18:21], off, off offset:368
	v_fma_f64 v[44:45], v[44:45], v[22:23], v[151:152]
	v_fma_f64 v[42:43], v[42:43], v[22:23], -v[24:25]
	scratch_load_b128 v[22:25], off, off offset:384
	v_add_f64_e32 v[147:148], v[147:148], v[143:144]
	v_add_f64_e32 v[149:150], v[149:150], v[145:146]
	ds_load_b128 v[143:146], v1 offset:944
	s_wait_loadcnt_dscnt 0xa01
	v_mul_f64_e32 v[157:158], v[2:3], v[28:29]
	v_mul_f64_e32 v[28:29], v[4:5], v[28:29]
	s_wait_loadcnt_dscnt 0x900
	v_mul_f64_e32 v[151:152], v[143:144], v[32:33]
	v_mul_f64_e32 v[32:33], v[145:146], v[32:33]
	v_add_f64_e32 v[147:148], v[147:148], v[155:156]
	v_add_f64_e32 v[149:150], v[149:150], v[153:154]
	v_fma_f64 v[153:154], v[4:5], v[26:27], v[157:158]
	v_fma_f64 v[155:156], v[2:3], v[26:27], -v[28:29]
	ds_load_b128 v[2:5], v1 offset:960
	scratch_load_b128 v[26:29], off, off offset:400
	v_fma_f64 v[145:146], v[145:146], v[30:31], v[151:152]
	v_fma_f64 v[143:144], v[143:144], v[30:31], -v[32:33]
	scratch_load_b128 v[30:33], off, off offset:416
	v_add_f64_e32 v[147:148], v[147:148], v[42:43]
	v_add_f64_e32 v[149:150], v[149:150], v[44:45]
	ds_load_b128 v[42:45], v1 offset:976
	s_wait_loadcnt_dscnt 0xa01
	v_mul_f64_e32 v[157:158], v[2:3], v[36:37]
	v_mul_f64_e32 v[36:37], v[4:5], v[36:37]
	s_wait_loadcnt_dscnt 0x800
	v_mul_f64_e32 v[151:152], v[42:43], v[141:142]
	v_add_f64_e32 v[147:148], v[147:148], v[155:156]
	v_add_f64_e32 v[149:150], v[149:150], v[153:154]
	v_mul_f64_e32 v[153:154], v[44:45], v[141:142]
	v_fma_f64 v[155:156], v[4:5], v[34:35], v[157:158]
	v_fma_f64 v[157:158], v[2:3], v[34:35], -v[36:37]
	ds_load_b128 v[2:5], v1 offset:992
	scratch_load_b128 v[34:37], off, off offset:432
	v_fma_f64 v[44:45], v[44:45], v[139:140], v[151:152]
	v_add_f64_e32 v[147:148], v[147:148], v[143:144]
	v_add_f64_e32 v[145:146], v[149:150], v[145:146]
	ds_load_b128 v[141:144], v1 offset:1008
	v_fma_f64 v[139:140], v[42:43], v[139:140], -v[153:154]
	s_wait_loadcnt_dscnt 0x801
	v_mul_f64_e32 v[149:150], v[2:3], v[40:41]
	v_mul_f64_e32 v[159:160], v[4:5], v[40:41]
	scratch_load_b128 v[40:43], off, off offset:448
	s_wait_loadcnt_dscnt 0x800
	v_mul_f64_e32 v[153:154], v[141:142], v[8:9]
	v_mul_f64_e32 v[8:9], v[143:144], v[8:9]
	v_add_f64_e32 v[147:148], v[147:148], v[157:158]
	v_add_f64_e32 v[145:146], v[145:146], v[155:156]
	v_fma_f64 v[155:156], v[4:5], v[38:39], v[149:150]
	v_fma_f64 v[38:39], v[2:3], v[38:39], -v[159:160]
	ds_load_b128 v[2:5], v1 offset:1024
	ds_load_b128 v[149:152], v1 offset:1040
	v_fma_f64 v[143:144], v[143:144], v[6:7], v[153:154]
	v_fma_f64 v[141:142], v[141:142], v[6:7], -v[8:9]
	scratch_load_b128 v[6:9], off, off offset:480
	v_add_f64_e32 v[139:140], v[147:148], v[139:140]
	v_add_f64_e32 v[44:45], v[145:146], v[44:45]
	scratch_load_b128 v[145:148], off, off offset:464
	s_wait_loadcnt_dscnt 0x901
	v_mul_f64_e32 v[157:158], v[2:3], v[12:13]
	v_mul_f64_e32 v[12:13], v[4:5], v[12:13]
	s_wait_loadcnt_dscnt 0x800
	v_mul_f64_e32 v[153:154], v[149:150], v[16:17]
	v_mul_f64_e32 v[16:17], v[151:152], v[16:17]
	v_add_f64_e32 v[38:39], v[139:140], v[38:39]
	v_add_f64_e32 v[44:45], v[44:45], v[155:156]
	v_fma_f64 v[155:156], v[4:5], v[10:11], v[157:158]
	v_fma_f64 v[157:158], v[2:3], v[10:11], -v[12:13]
	ds_load_b128 v[2:5], v1 offset:1056
	scratch_load_b128 v[10:13], off, off offset:496
	v_fma_f64 v[151:152], v[151:152], v[14:15], v[153:154]
	v_fma_f64 v[149:150], v[149:150], v[14:15], -v[16:17]
	scratch_load_b128 v[14:17], off, off offset:512
	v_add_f64_e32 v[38:39], v[38:39], v[141:142]
	v_add_f64_e32 v[44:45], v[44:45], v[143:144]
	ds_load_b128 v[139:142], v1 offset:1072
	s_wait_loadcnt_dscnt 0x901
	v_mul_f64_e32 v[143:144], v[2:3], v[20:21]
	v_mul_f64_e32 v[20:21], v[4:5], v[20:21]
	s_wait_loadcnt_dscnt 0x800
	v_mul_f64_e32 v[153:154], v[139:140], v[24:25]
	v_mul_f64_e32 v[24:25], v[141:142], v[24:25]
	v_add_f64_e32 v[38:39], v[38:39], v[157:158]
	v_add_f64_e32 v[44:45], v[44:45], v[155:156]
	v_fma_f64 v[143:144], v[4:5], v[18:19], v[143:144]
	v_fma_f64 v[155:156], v[2:3], v[18:19], -v[20:21]
	ds_load_b128 v[2:5], v1 offset:1088
	scratch_load_b128 v[18:21], off, off offset:528
	v_fma_f64 v[141:142], v[141:142], v[22:23], v[153:154]
	v_fma_f64 v[139:140], v[139:140], v[22:23], -v[24:25]
	scratch_load_b128 v[22:25], off, off offset:544
	v_add_f64_e32 v[38:39], v[38:39], v[149:150]
	v_add_f64_e32 v[44:45], v[44:45], v[151:152]
	ds_load_b128 v[149:152], v1 offset:1104
	s_wait_loadcnt_dscnt 0x901
	v_mul_f64_e32 v[157:158], v[2:3], v[28:29]
	v_mul_f64_e32 v[28:29], v[4:5], v[28:29]
	v_add_f64_e32 v[38:39], v[38:39], v[155:156]
	v_add_f64_e32 v[44:45], v[44:45], v[143:144]
	s_wait_loadcnt_dscnt 0x800
	v_mul_f64_e32 v[143:144], v[149:150], v[32:33]
	v_mul_f64_e32 v[32:33], v[151:152], v[32:33]
	v_fma_f64 v[153:154], v[4:5], v[26:27], v[157:158]
	v_fma_f64 v[155:156], v[2:3], v[26:27], -v[28:29]
	ds_load_b128 v[2:5], v1 offset:1120
	scratch_load_b128 v[26:29], off, off offset:560
	v_add_f64_e32 v[38:39], v[38:39], v[139:140]
	v_add_f64_e32 v[44:45], v[44:45], v[141:142]
	ds_load_b128 v[139:142], v1 offset:1136
	s_wait_loadcnt_dscnt 0x801
	v_mul_f64_e32 v[157:158], v[2:3], v[36:37]
	v_mul_f64_e32 v[36:37], v[4:5], v[36:37]
	v_fma_f64 v[143:144], v[151:152], v[30:31], v[143:144]
	v_fma_f64 v[149:150], v[149:150], v[30:31], -v[32:33]
	scratch_load_b128 v[30:33], off, off offset:576
	s_wait_loadcnt_dscnt 0x800
	v_mul_f64_e32 v[151:152], v[139:140], v[42:43]
	v_add_f64_e32 v[38:39], v[38:39], v[155:156]
	v_add_f64_e32 v[44:45], v[44:45], v[153:154]
	v_mul_f64_e32 v[153:154], v[141:142], v[42:43]
	v_fma_f64 v[155:156], v[4:5], v[34:35], v[157:158]
	v_fma_f64 v[157:158], v[2:3], v[34:35], -v[36:37]
	ds_load_b128 v[2:5], v1 offset:1152
	scratch_load_b128 v[34:37], off, off offset:592
	v_fma_f64 v[141:142], v[141:142], v[40:41], v[151:152]
	v_add_f64_e32 v[38:39], v[38:39], v[149:150]
	v_add_f64_e32 v[143:144], v[44:45], v[143:144]
	ds_load_b128 v[42:45], v1 offset:1168
	v_fma_f64 v[139:140], v[139:140], v[40:41], -v[153:154]
	s_wait_loadcnt_dscnt 0x701
	v_mul_f64_e32 v[149:150], v[2:3], v[147:148]
	v_mul_f64_e32 v[147:148], v[4:5], v[147:148]
	s_wait_dscnt 0x0
	v_mul_f64_e32 v[153:154], v[42:43], v[8:9]
	v_mul_f64_e32 v[8:9], v[44:45], v[8:9]
	v_add_f64_e32 v[151:152], v[38:39], v[157:158]
	v_add_f64_e32 v[143:144], v[143:144], v[155:156]
	scratch_load_b128 v[38:41], off, off offset:608
	v_fma_f64 v[149:150], v[4:5], v[145:146], v[149:150]
	v_fma_f64 v[147:148], v[2:3], v[145:146], -v[147:148]
	ds_load_b128 v[2:5], v1 offset:1184
	v_fma_f64 v[44:45], v[44:45], v[6:7], v[153:154]
	v_fma_f64 v[42:43], v[42:43], v[6:7], -v[8:9]
	scratch_load_b128 v[6:9], off, off offset:640
	v_add_f64_e32 v[151:152], v[151:152], v[139:140]
	v_add_f64_e32 v[155:156], v[143:144], v[141:142]
	scratch_load_b128 v[139:142], off, off offset:624
	ds_load_b128 v[143:146], v1 offset:1200
	s_wait_loadcnt_dscnt 0x901
	v_mul_f64_e32 v[157:158], v[2:3], v[12:13]
	v_mul_f64_e32 v[12:13], v[4:5], v[12:13]
	v_add_f64_e32 v[147:148], v[151:152], v[147:148]
	v_add_f64_e32 v[149:150], v[155:156], v[149:150]
	s_wait_loadcnt_dscnt 0x800
	v_mul_f64_e32 v[151:152], v[143:144], v[16:17]
	v_mul_f64_e32 v[16:17], v[145:146], v[16:17]
	v_fma_f64 v[153:154], v[4:5], v[10:11], v[157:158]
	v_fma_f64 v[155:156], v[2:3], v[10:11], -v[12:13]
	ds_load_b128 v[2:5], v1 offset:1216
	scratch_load_b128 v[10:13], off, off offset:656
	v_add_f64_e32 v[147:148], v[147:148], v[42:43]
	v_add_f64_e32 v[149:150], v[149:150], v[44:45]
	ds_load_b128 v[42:45], v1 offset:1232
	s_wait_loadcnt_dscnt 0x801
	v_mul_f64_e32 v[157:158], v[2:3], v[20:21]
	v_mul_f64_e32 v[20:21], v[4:5], v[20:21]
	v_fma_f64 v[145:146], v[145:146], v[14:15], v[151:152]
	v_fma_f64 v[143:144], v[143:144], v[14:15], -v[16:17]
	scratch_load_b128 v[14:17], off, off offset:672
	s_wait_loadcnt_dscnt 0x800
	v_mul_f64_e32 v[151:152], v[42:43], v[24:25]
	v_mul_f64_e32 v[24:25], v[44:45], v[24:25]
	v_add_f64_e32 v[147:148], v[147:148], v[155:156]
	v_add_f64_e32 v[149:150], v[149:150], v[153:154]
	v_fma_f64 v[153:154], v[4:5], v[18:19], v[157:158]
	v_fma_f64 v[155:156], v[2:3], v[18:19], -v[20:21]
	ds_load_b128 v[2:5], v1 offset:1248
	scratch_load_b128 v[18:21], off, off offset:688
	v_fma_f64 v[44:45], v[44:45], v[22:23], v[151:152]
	v_fma_f64 v[42:43], v[42:43], v[22:23], -v[24:25]
	scratch_load_b128 v[22:25], off, off offset:704
	v_add_f64_e32 v[147:148], v[147:148], v[143:144]
	v_add_f64_e32 v[149:150], v[149:150], v[145:146]
	ds_load_b128 v[143:146], v1 offset:1264
	s_wait_loadcnt_dscnt 0x901
	v_mul_f64_e32 v[157:158], v[2:3], v[28:29]
	v_mul_f64_e32 v[28:29], v[4:5], v[28:29]
	s_wait_loadcnt_dscnt 0x800
	v_mul_f64_e32 v[151:152], v[143:144], v[32:33]
	v_mul_f64_e32 v[32:33], v[145:146], v[32:33]
	v_add_f64_e32 v[147:148], v[147:148], v[155:156]
	v_add_f64_e32 v[149:150], v[149:150], v[153:154]
	v_fma_f64 v[153:154], v[4:5], v[26:27], v[157:158]
	v_fma_f64 v[155:156], v[2:3], v[26:27], -v[28:29]
	ds_load_b128 v[2:5], v1 offset:1280
	ds_load_b128 v[26:29], v1 offset:1296
	v_fma_f64 v[145:146], v[145:146], v[30:31], v[151:152]
	v_fma_f64 v[30:31], v[143:144], v[30:31], -v[32:33]
	v_add_f64_e32 v[42:43], v[147:148], v[42:43]
	v_add_f64_e32 v[44:45], v[149:150], v[44:45]
	s_wait_loadcnt_dscnt 0x701
	v_mul_f64_e32 v[147:148], v[2:3], v[36:37]
	v_mul_f64_e32 v[36:37], v[4:5], v[36:37]
	s_delay_alu instid0(VALU_DEP_4) | instskip(NEXT) | instid1(VALU_DEP_4)
	v_add_f64_e32 v[32:33], v[42:43], v[155:156]
	v_add_f64_e32 v[42:43], v[44:45], v[153:154]
	s_delay_alu instid0(VALU_DEP_4) | instskip(NEXT) | instid1(VALU_DEP_4)
	v_fma_f64 v[143:144], v[4:5], v[34:35], v[147:148]
	v_fma_f64 v[34:35], v[2:3], v[34:35], -v[36:37]
	s_wait_loadcnt_dscnt 0x600
	v_mul_f64_e32 v[44:45], v[26:27], v[40:41]
	v_mul_f64_e32 v[40:41], v[28:29], v[40:41]
	v_add_f64_e32 v[36:37], v[32:33], v[30:31]
	v_add_f64_e32 v[42:43], v[42:43], v[145:146]
	ds_load_b128 v[2:5], v1 offset:1312
	ds_load_b128 v[30:33], v1 offset:1328
	v_fma_f64 v[28:29], v[28:29], v[38:39], v[44:45]
	v_fma_f64 v[26:27], v[26:27], v[38:39], -v[40:41]
	s_wait_loadcnt_dscnt 0x401
	v_mul_f64_e32 v[145:146], v[2:3], v[141:142]
	v_mul_f64_e32 v[141:142], v[4:5], v[141:142]
	s_wait_dscnt 0x0
	v_mul_f64_e32 v[38:39], v[30:31], v[8:9]
	v_mul_f64_e32 v[8:9], v[32:33], v[8:9]
	v_add_f64_e32 v[34:35], v[36:37], v[34:35]
	v_add_f64_e32 v[36:37], v[42:43], v[143:144]
	v_fma_f64 v[40:41], v[4:5], v[139:140], v[145:146]
	v_fma_f64 v[42:43], v[2:3], v[139:140], -v[141:142]
	v_fma_f64 v[32:33], v[32:33], v[6:7], v[38:39]
	v_fma_f64 v[6:7], v[30:31], v[6:7], -v[8:9]
	v_add_f64_e32 v[34:35], v[34:35], v[26:27]
	v_add_f64_e32 v[36:37], v[36:37], v[28:29]
	ds_load_b128 v[2:5], v1 offset:1344
	ds_load_b128 v[26:29], v1 offset:1360
	s_wait_loadcnt_dscnt 0x301
	v_mul_f64_e32 v[44:45], v[2:3], v[12:13]
	v_mul_f64_e32 v[12:13], v[4:5], v[12:13]
	v_add_f64_e32 v[8:9], v[34:35], v[42:43]
	v_add_f64_e32 v[30:31], v[36:37], v[40:41]
	s_wait_loadcnt_dscnt 0x200
	v_mul_f64_e32 v[34:35], v[26:27], v[16:17]
	v_mul_f64_e32 v[16:17], v[28:29], v[16:17]
	v_fma_f64 v[36:37], v[4:5], v[10:11], v[44:45]
	v_fma_f64 v[10:11], v[2:3], v[10:11], -v[12:13]
	v_add_f64_e32 v[12:13], v[8:9], v[6:7]
	v_add_f64_e32 v[30:31], v[30:31], v[32:33]
	ds_load_b128 v[2:5], v1 offset:1376
	ds_load_b128 v[6:9], v1 offset:1392
	v_fma_f64 v[28:29], v[28:29], v[14:15], v[34:35]
	v_fma_f64 v[14:15], v[26:27], v[14:15], -v[16:17]
	s_wait_loadcnt_dscnt 0x101
	v_mul_f64_e32 v[32:33], v[2:3], v[20:21]
	v_mul_f64_e32 v[20:21], v[4:5], v[20:21]
	s_wait_loadcnt_dscnt 0x0
	v_mul_f64_e32 v[16:17], v[6:7], v[24:25]
	v_mul_f64_e32 v[24:25], v[8:9], v[24:25]
	v_add_f64_e32 v[10:11], v[12:13], v[10:11]
	v_add_f64_e32 v[12:13], v[30:31], v[36:37]
	v_fma_f64 v[4:5], v[4:5], v[18:19], v[32:33]
	v_fma_f64 v[1:2], v[2:3], v[18:19], -v[20:21]
	v_fma_f64 v[8:9], v[8:9], v[22:23], v[16:17]
	v_fma_f64 v[6:7], v[6:7], v[22:23], -v[24:25]
	v_add_f64_e32 v[10:11], v[10:11], v[14:15]
	v_add_f64_e32 v[12:13], v[12:13], v[28:29]
	s_delay_alu instid0(VALU_DEP_2) | instskip(NEXT) | instid1(VALU_DEP_2)
	v_add_f64_e32 v[1:2], v[10:11], v[1:2]
	v_add_f64_e32 v[3:4], v[12:13], v[4:5]
	s_delay_alu instid0(VALU_DEP_2) | instskip(NEXT) | instid1(VALU_DEP_2)
	v_add_f64_e32 v[1:2], v[1:2], v[6:7]
	v_add_f64_e32 v[3:4], v[3:4], v[8:9]
	s_delay_alu instid0(VALU_DEP_2) | instskip(NEXT) | instid1(VALU_DEP_2)
	v_add_f64_e64 v[1:2], v[135:136], -v[1:2]
	v_add_f64_e64 v[3:4], v[137:138], -v[3:4]
	scratch_store_b128 off, v[1:4], off offset:128
	v_cmpx_lt_u32_e32 6, v0
	s_cbranch_execz .LBB43_265
; %bb.264:
	scratch_load_b128 v[1:4], off, s51
	v_mov_b32_e32 v5, 0
	s_delay_alu instid0(VALU_DEP_1)
	v_dual_mov_b32 v6, v5 :: v_dual_mov_b32 v7, v5
	v_mov_b32_e32 v8, v5
	scratch_store_b128 off, v[5:8], off offset:112
	s_wait_loadcnt 0x0
	ds_store_b128 v134, v[1:4]
.LBB43_265:
	s_wait_alu 0xfffe
	s_or_b32 exec_lo, exec_lo, s0
	s_wait_storecnt_dscnt 0x0
	s_barrier_signal -1
	s_barrier_wait -1
	global_inv scope:SCOPE_SE
	s_clause 0x7
	scratch_load_b128 v[2:5], off, off offset:128
	scratch_load_b128 v[6:9], off, off offset:144
	;; [unrolled: 1-line block ×8, first 2 shown]
	v_mov_b32_e32 v1, 0
	s_mov_b32 s0, exec_lo
	ds_load_b128 v[38:41], v1 offset:816
	s_clause 0x1
	scratch_load_b128 v[34:37], off, off offset:256
	scratch_load_b128 v[42:45], off, off offset:112
	ds_load_b128 v[135:138], v1 offset:832
	scratch_load_b128 v[139:142], off, off offset:272
	s_wait_loadcnt_dscnt 0xa01
	v_mul_f64_e32 v[143:144], v[40:41], v[4:5]
	v_mul_f64_e32 v[4:5], v[38:39], v[4:5]
	s_delay_alu instid0(VALU_DEP_2) | instskip(NEXT) | instid1(VALU_DEP_2)
	v_fma_f64 v[149:150], v[38:39], v[2:3], -v[143:144]
	v_fma_f64 v[151:152], v[40:41], v[2:3], v[4:5]
	ds_load_b128 v[2:5], v1 offset:848
	s_wait_loadcnt_dscnt 0x901
	v_mul_f64_e32 v[147:148], v[135:136], v[8:9]
	v_mul_f64_e32 v[8:9], v[137:138], v[8:9]
	scratch_load_b128 v[38:41], off, off offset:288
	ds_load_b128 v[143:146], v1 offset:864
	s_wait_loadcnt_dscnt 0x901
	v_mul_f64_e32 v[153:154], v[2:3], v[12:13]
	v_mul_f64_e32 v[12:13], v[4:5], v[12:13]
	v_fma_f64 v[137:138], v[137:138], v[6:7], v[147:148]
	v_fma_f64 v[135:136], v[135:136], v[6:7], -v[8:9]
	v_add_f64_e32 v[147:148], 0, v[149:150]
	v_add_f64_e32 v[149:150], 0, v[151:152]
	scratch_load_b128 v[6:9], off, off offset:304
	v_fma_f64 v[153:154], v[4:5], v[10:11], v[153:154]
	v_fma_f64 v[155:156], v[2:3], v[10:11], -v[12:13]
	ds_load_b128 v[2:5], v1 offset:880
	s_wait_loadcnt_dscnt 0x901
	v_mul_f64_e32 v[151:152], v[143:144], v[16:17]
	v_mul_f64_e32 v[16:17], v[145:146], v[16:17]
	scratch_load_b128 v[10:13], off, off offset:320
	v_add_f64_e32 v[147:148], v[147:148], v[135:136]
	v_add_f64_e32 v[149:150], v[149:150], v[137:138]
	s_wait_loadcnt_dscnt 0x900
	v_mul_f64_e32 v[157:158], v[2:3], v[20:21]
	v_mul_f64_e32 v[20:21], v[4:5], v[20:21]
	ds_load_b128 v[135:138], v1 offset:896
	v_fma_f64 v[145:146], v[145:146], v[14:15], v[151:152]
	v_fma_f64 v[143:144], v[143:144], v[14:15], -v[16:17]
	scratch_load_b128 v[14:17], off, off offset:336
	v_add_f64_e32 v[147:148], v[147:148], v[155:156]
	v_add_f64_e32 v[149:150], v[149:150], v[153:154]
	v_fma_f64 v[153:154], v[4:5], v[18:19], v[157:158]
	v_fma_f64 v[155:156], v[2:3], v[18:19], -v[20:21]
	ds_load_b128 v[2:5], v1 offset:912
	s_wait_loadcnt_dscnt 0x901
	v_mul_f64_e32 v[151:152], v[135:136], v[24:25]
	v_mul_f64_e32 v[24:25], v[137:138], v[24:25]
	scratch_load_b128 v[18:21], off, off offset:352
	s_wait_loadcnt_dscnt 0x900
	v_mul_f64_e32 v[157:158], v[2:3], v[28:29]
	v_mul_f64_e32 v[28:29], v[4:5], v[28:29]
	v_add_f64_e32 v[147:148], v[147:148], v[143:144]
	v_add_f64_e32 v[149:150], v[149:150], v[145:146]
	ds_load_b128 v[143:146], v1 offset:928
	v_fma_f64 v[137:138], v[137:138], v[22:23], v[151:152]
	v_fma_f64 v[135:136], v[135:136], v[22:23], -v[24:25]
	scratch_load_b128 v[22:25], off, off offset:368
	v_add_f64_e32 v[147:148], v[147:148], v[155:156]
	v_add_f64_e32 v[149:150], v[149:150], v[153:154]
	v_fma_f64 v[153:154], v[4:5], v[26:27], v[157:158]
	v_fma_f64 v[155:156], v[2:3], v[26:27], -v[28:29]
	ds_load_b128 v[2:5], v1 offset:944
	s_wait_loadcnt_dscnt 0x901
	v_mul_f64_e32 v[151:152], v[143:144], v[32:33]
	v_mul_f64_e32 v[32:33], v[145:146], v[32:33]
	scratch_load_b128 v[26:29], off, off offset:384
	s_wait_loadcnt_dscnt 0x900
	v_mul_f64_e32 v[157:158], v[2:3], v[36:37]
	v_mul_f64_e32 v[36:37], v[4:5], v[36:37]
	v_add_f64_e32 v[147:148], v[147:148], v[135:136]
	v_add_f64_e32 v[149:150], v[149:150], v[137:138]
	ds_load_b128 v[135:138], v1 offset:960
	v_fma_f64 v[145:146], v[145:146], v[30:31], v[151:152]
	v_fma_f64 v[143:144], v[143:144], v[30:31], -v[32:33]
	scratch_load_b128 v[30:33], off, off offset:400
	v_add_f64_e32 v[147:148], v[147:148], v[155:156]
	v_add_f64_e32 v[149:150], v[149:150], v[153:154]
	v_fma_f64 v[155:156], v[4:5], v[34:35], v[157:158]
	v_fma_f64 v[157:158], v[2:3], v[34:35], -v[36:37]
	ds_load_b128 v[2:5], v1 offset:976
	s_wait_loadcnt_dscnt 0x801
	v_mul_f64_e32 v[151:152], v[135:136], v[141:142]
	v_mul_f64_e32 v[153:154], v[137:138], v[141:142]
	scratch_load_b128 v[34:37], off, off offset:416
	v_add_f64_e32 v[147:148], v[147:148], v[143:144]
	v_add_f64_e32 v[145:146], v[149:150], v[145:146]
	ds_load_b128 v[141:144], v1 offset:992
	v_fma_f64 v[151:152], v[137:138], v[139:140], v[151:152]
	v_fma_f64 v[139:140], v[135:136], v[139:140], -v[153:154]
	scratch_load_b128 v[135:138], off, off offset:432
	s_wait_loadcnt_dscnt 0x901
	v_mul_f64_e32 v[149:150], v[2:3], v[40:41]
	v_mul_f64_e32 v[40:41], v[4:5], v[40:41]
	v_add_f64_e32 v[147:148], v[147:148], v[157:158]
	v_add_f64_e32 v[145:146], v[145:146], v[155:156]
	s_delay_alu instid0(VALU_DEP_4) | instskip(NEXT) | instid1(VALU_DEP_4)
	v_fma_f64 v[149:150], v[4:5], v[38:39], v[149:150]
	v_fma_f64 v[155:156], v[2:3], v[38:39], -v[40:41]
	ds_load_b128 v[2:5], v1 offset:1008
	s_wait_loadcnt_dscnt 0x801
	v_mul_f64_e32 v[153:154], v[141:142], v[8:9]
	v_mul_f64_e32 v[8:9], v[143:144], v[8:9]
	scratch_load_b128 v[38:41], off, off offset:448
	s_wait_loadcnt_dscnt 0x800
	v_mul_f64_e32 v[157:158], v[2:3], v[12:13]
	v_add_f64_e32 v[139:140], v[147:148], v[139:140]
	v_add_f64_e32 v[151:152], v[145:146], v[151:152]
	v_mul_f64_e32 v[12:13], v[4:5], v[12:13]
	ds_load_b128 v[145:148], v1 offset:1024
	v_fma_f64 v[143:144], v[143:144], v[6:7], v[153:154]
	v_fma_f64 v[141:142], v[141:142], v[6:7], -v[8:9]
	scratch_load_b128 v[6:9], off, off offset:464
	v_fma_f64 v[153:154], v[4:5], v[10:11], v[157:158]
	v_add_f64_e32 v[139:140], v[139:140], v[155:156]
	v_add_f64_e32 v[149:150], v[151:152], v[149:150]
	v_fma_f64 v[155:156], v[2:3], v[10:11], -v[12:13]
	ds_load_b128 v[2:5], v1 offset:1040
	s_wait_loadcnt_dscnt 0x801
	v_mul_f64_e32 v[151:152], v[145:146], v[16:17]
	v_mul_f64_e32 v[16:17], v[147:148], v[16:17]
	scratch_load_b128 v[10:13], off, off offset:480
	v_add_f64_e32 v[157:158], v[139:140], v[141:142]
	v_add_f64_e32 v[143:144], v[149:150], v[143:144]
	s_wait_loadcnt_dscnt 0x800
	v_mul_f64_e32 v[149:150], v[2:3], v[20:21]
	v_mul_f64_e32 v[20:21], v[4:5], v[20:21]
	v_fma_f64 v[147:148], v[147:148], v[14:15], v[151:152]
	v_fma_f64 v[145:146], v[145:146], v[14:15], -v[16:17]
	ds_load_b128 v[139:142], v1 offset:1056
	scratch_load_b128 v[14:17], off, off offset:496
	v_add_f64_e32 v[151:152], v[157:158], v[155:156]
	v_add_f64_e32 v[143:144], v[143:144], v[153:154]
	v_fma_f64 v[149:150], v[4:5], v[18:19], v[149:150]
	v_fma_f64 v[155:156], v[2:3], v[18:19], -v[20:21]
	ds_load_b128 v[2:5], v1 offset:1072
	s_wait_loadcnt_dscnt 0x801
	v_mul_f64_e32 v[153:154], v[139:140], v[24:25]
	v_mul_f64_e32 v[24:25], v[141:142], v[24:25]
	scratch_load_b128 v[18:21], off, off offset:512
	s_wait_loadcnt_dscnt 0x800
	v_mul_f64_e32 v[157:158], v[2:3], v[28:29]
	v_mul_f64_e32 v[28:29], v[4:5], v[28:29]
	v_add_f64_e32 v[151:152], v[151:152], v[145:146]
	v_add_f64_e32 v[147:148], v[143:144], v[147:148]
	ds_load_b128 v[143:146], v1 offset:1088
	v_fma_f64 v[141:142], v[141:142], v[22:23], v[153:154]
	v_fma_f64 v[139:140], v[139:140], v[22:23], -v[24:25]
	scratch_load_b128 v[22:25], off, off offset:528
	v_fma_f64 v[153:154], v[4:5], v[26:27], v[157:158]
	v_add_f64_e32 v[151:152], v[151:152], v[155:156]
	v_add_f64_e32 v[147:148], v[147:148], v[149:150]
	v_fma_f64 v[155:156], v[2:3], v[26:27], -v[28:29]
	ds_load_b128 v[2:5], v1 offset:1104
	s_wait_loadcnt_dscnt 0x801
	v_mul_f64_e32 v[149:150], v[143:144], v[32:33]
	v_mul_f64_e32 v[32:33], v[145:146], v[32:33]
	scratch_load_b128 v[26:29], off, off offset:544
	s_wait_loadcnt_dscnt 0x800
	v_mul_f64_e32 v[157:158], v[2:3], v[36:37]
	v_mul_f64_e32 v[36:37], v[4:5], v[36:37]
	v_add_f64_e32 v[151:152], v[151:152], v[139:140]
	v_add_f64_e32 v[147:148], v[147:148], v[141:142]
	ds_load_b128 v[139:142], v1 offset:1120
	v_fma_f64 v[145:146], v[145:146], v[30:31], v[149:150]
	v_fma_f64 v[143:144], v[143:144], v[30:31], -v[32:33]
	scratch_load_b128 v[30:33], off, off offset:560
	v_add_f64_e32 v[149:150], v[151:152], v[155:156]
	v_add_f64_e32 v[147:148], v[147:148], v[153:154]
	v_fma_f64 v[153:154], v[4:5], v[34:35], v[157:158]
	v_fma_f64 v[155:156], v[2:3], v[34:35], -v[36:37]
	ds_load_b128 v[2:5], v1 offset:1136
	s_wait_loadcnt_dscnt 0x801
	v_mul_f64_e32 v[151:152], v[139:140], v[137:138]
	v_mul_f64_e32 v[137:138], v[141:142], v[137:138]
	scratch_load_b128 v[34:37], off, off offset:576
	s_wait_loadcnt_dscnt 0x800
	v_mul_f64_e32 v[157:158], v[2:3], v[40:41]
	v_mul_f64_e32 v[40:41], v[4:5], v[40:41]
	v_add_f64_e32 v[149:150], v[149:150], v[143:144]
	v_add_f64_e32 v[147:148], v[147:148], v[145:146]
	ds_load_b128 v[143:146], v1 offset:1152
	v_fma_f64 v[141:142], v[141:142], v[135:136], v[151:152]
	v_fma_f64 v[139:140], v[139:140], v[135:136], -v[137:138]
	scratch_load_b128 v[135:138], off, off offset:592
	v_add_f64_e32 v[149:150], v[149:150], v[155:156]
	v_add_f64_e32 v[147:148], v[147:148], v[153:154]
	v_fma_f64 v[153:154], v[4:5], v[38:39], v[157:158]
	v_fma_f64 v[155:156], v[2:3], v[38:39], -v[40:41]
	ds_load_b128 v[2:5], v1 offset:1168
	s_wait_loadcnt_dscnt 0x801
	v_mul_f64_e32 v[151:152], v[143:144], v[8:9]
	v_mul_f64_e32 v[8:9], v[145:146], v[8:9]
	scratch_load_b128 v[38:41], off, off offset:608
	s_wait_loadcnt_dscnt 0x800
	v_mul_f64_e32 v[157:158], v[2:3], v[12:13]
	v_mul_f64_e32 v[12:13], v[4:5], v[12:13]
	v_add_f64_e32 v[149:150], v[149:150], v[139:140]
	v_add_f64_e32 v[147:148], v[147:148], v[141:142]
	ds_load_b128 v[139:142], v1 offset:1184
	v_fma_f64 v[145:146], v[145:146], v[6:7], v[151:152]
	v_fma_f64 v[143:144], v[143:144], v[6:7], -v[8:9]
	scratch_load_b128 v[6:9], off, off offset:624
	v_add_f64_e32 v[149:150], v[149:150], v[155:156]
	v_add_f64_e32 v[147:148], v[147:148], v[153:154]
	v_fma_f64 v[153:154], v[4:5], v[10:11], v[157:158]
	v_fma_f64 v[155:156], v[2:3], v[10:11], -v[12:13]
	ds_load_b128 v[2:5], v1 offset:1200
	s_wait_loadcnt_dscnt 0x801
	v_mul_f64_e32 v[151:152], v[139:140], v[16:17]
	v_mul_f64_e32 v[16:17], v[141:142], v[16:17]
	scratch_load_b128 v[10:13], off, off offset:640
	s_wait_loadcnt_dscnt 0x800
	v_mul_f64_e32 v[157:158], v[2:3], v[20:21]
	v_mul_f64_e32 v[20:21], v[4:5], v[20:21]
	v_add_f64_e32 v[149:150], v[149:150], v[143:144]
	v_add_f64_e32 v[147:148], v[147:148], v[145:146]
	ds_load_b128 v[143:146], v1 offset:1216
	v_fma_f64 v[141:142], v[141:142], v[14:15], v[151:152]
	v_fma_f64 v[139:140], v[139:140], v[14:15], -v[16:17]
	scratch_load_b128 v[14:17], off, off offset:656
	v_add_f64_e32 v[149:150], v[149:150], v[155:156]
	v_add_f64_e32 v[147:148], v[147:148], v[153:154]
	v_fma_f64 v[153:154], v[4:5], v[18:19], v[157:158]
	v_fma_f64 v[155:156], v[2:3], v[18:19], -v[20:21]
	ds_load_b128 v[2:5], v1 offset:1232
	s_wait_loadcnt_dscnt 0x801
	v_mul_f64_e32 v[151:152], v[143:144], v[24:25]
	v_mul_f64_e32 v[24:25], v[145:146], v[24:25]
	scratch_load_b128 v[18:21], off, off offset:672
	s_wait_loadcnt_dscnt 0x800
	v_mul_f64_e32 v[157:158], v[2:3], v[28:29]
	v_mul_f64_e32 v[28:29], v[4:5], v[28:29]
	v_add_f64_e32 v[149:150], v[149:150], v[139:140]
	v_add_f64_e32 v[147:148], v[147:148], v[141:142]
	ds_load_b128 v[139:142], v1 offset:1248
	v_fma_f64 v[145:146], v[145:146], v[22:23], v[151:152]
	v_fma_f64 v[143:144], v[143:144], v[22:23], -v[24:25]
	scratch_load_b128 v[22:25], off, off offset:688
	v_add_f64_e32 v[149:150], v[149:150], v[155:156]
	v_add_f64_e32 v[147:148], v[147:148], v[153:154]
	v_fma_f64 v[153:154], v[4:5], v[26:27], v[157:158]
	v_fma_f64 v[155:156], v[2:3], v[26:27], -v[28:29]
	ds_load_b128 v[2:5], v1 offset:1264
	s_wait_loadcnt_dscnt 0x801
	v_mul_f64_e32 v[151:152], v[139:140], v[32:33]
	v_mul_f64_e32 v[32:33], v[141:142], v[32:33]
	scratch_load_b128 v[26:29], off, off offset:704
	s_wait_loadcnt_dscnt 0x800
	v_mul_f64_e32 v[157:158], v[2:3], v[36:37]
	v_mul_f64_e32 v[36:37], v[4:5], v[36:37]
	v_add_f64_e32 v[149:150], v[149:150], v[143:144]
	v_add_f64_e32 v[147:148], v[147:148], v[145:146]
	ds_load_b128 v[143:146], v1 offset:1280
	v_fma_f64 v[141:142], v[141:142], v[30:31], v[151:152]
	v_fma_f64 v[30:31], v[139:140], v[30:31], -v[32:33]
	v_add_f64_e32 v[32:33], v[149:150], v[155:156]
	v_add_f64_e32 v[139:140], v[147:148], v[153:154]
	s_wait_loadcnt_dscnt 0x700
	v_mul_f64_e32 v[147:148], v[143:144], v[137:138]
	v_mul_f64_e32 v[137:138], v[145:146], v[137:138]
	v_fma_f64 v[149:150], v[4:5], v[34:35], v[157:158]
	v_fma_f64 v[34:35], v[2:3], v[34:35], -v[36:37]
	v_add_f64_e32 v[36:37], v[32:33], v[30:31]
	v_add_f64_e32 v[139:140], v[139:140], v[141:142]
	ds_load_b128 v[2:5], v1 offset:1296
	ds_load_b128 v[30:33], v1 offset:1312
	v_fma_f64 v[145:146], v[145:146], v[135:136], v[147:148]
	v_fma_f64 v[135:136], v[143:144], v[135:136], -v[137:138]
	s_wait_loadcnt_dscnt 0x601
	v_mul_f64_e32 v[141:142], v[2:3], v[40:41]
	v_mul_f64_e32 v[40:41], v[4:5], v[40:41]
	s_wait_loadcnt_dscnt 0x500
	v_mul_f64_e32 v[137:138], v[30:31], v[8:9]
	v_mul_f64_e32 v[8:9], v[32:33], v[8:9]
	v_add_f64_e32 v[34:35], v[36:37], v[34:35]
	v_add_f64_e32 v[36:37], v[139:140], v[149:150]
	v_fma_f64 v[139:140], v[4:5], v[38:39], v[141:142]
	v_fma_f64 v[38:39], v[2:3], v[38:39], -v[40:41]
	v_fma_f64 v[32:33], v[32:33], v[6:7], v[137:138]
	v_fma_f64 v[6:7], v[30:31], v[6:7], -v[8:9]
	v_add_f64_e32 v[40:41], v[34:35], v[135:136]
	v_add_f64_e32 v[135:136], v[36:37], v[145:146]
	ds_load_b128 v[2:5], v1 offset:1328
	ds_load_b128 v[34:37], v1 offset:1344
	s_wait_loadcnt_dscnt 0x401
	v_mul_f64_e32 v[141:142], v[2:3], v[12:13]
	v_mul_f64_e32 v[12:13], v[4:5], v[12:13]
	v_add_f64_e32 v[8:9], v[40:41], v[38:39]
	v_add_f64_e32 v[30:31], v[135:136], v[139:140]
	s_wait_loadcnt_dscnt 0x300
	v_mul_f64_e32 v[38:39], v[34:35], v[16:17]
	v_mul_f64_e32 v[16:17], v[36:37], v[16:17]
	v_fma_f64 v[40:41], v[4:5], v[10:11], v[141:142]
	v_fma_f64 v[10:11], v[2:3], v[10:11], -v[12:13]
	v_add_f64_e32 v[12:13], v[8:9], v[6:7]
	v_add_f64_e32 v[30:31], v[30:31], v[32:33]
	ds_load_b128 v[2:5], v1 offset:1360
	ds_load_b128 v[6:9], v1 offset:1376
	v_fma_f64 v[36:37], v[36:37], v[14:15], v[38:39]
	v_fma_f64 v[14:15], v[34:35], v[14:15], -v[16:17]
	s_wait_loadcnt_dscnt 0x201
	v_mul_f64_e32 v[32:33], v[2:3], v[20:21]
	v_mul_f64_e32 v[20:21], v[4:5], v[20:21]
	s_wait_loadcnt_dscnt 0x100
	v_mul_f64_e32 v[16:17], v[6:7], v[24:25]
	v_mul_f64_e32 v[24:25], v[8:9], v[24:25]
	v_add_f64_e32 v[10:11], v[12:13], v[10:11]
	v_add_f64_e32 v[12:13], v[30:31], v[40:41]
	v_fma_f64 v[30:31], v[4:5], v[18:19], v[32:33]
	v_fma_f64 v[18:19], v[2:3], v[18:19], -v[20:21]
	ds_load_b128 v[2:5], v1 offset:1392
	v_fma_f64 v[8:9], v[8:9], v[22:23], v[16:17]
	v_fma_f64 v[6:7], v[6:7], v[22:23], -v[24:25]
	v_add_f64_e32 v[10:11], v[10:11], v[14:15]
	v_add_f64_e32 v[12:13], v[12:13], v[36:37]
	s_wait_loadcnt_dscnt 0x0
	v_mul_f64_e32 v[14:15], v[2:3], v[28:29]
	v_mul_f64_e32 v[20:21], v[4:5], v[28:29]
	s_delay_alu instid0(VALU_DEP_4) | instskip(NEXT) | instid1(VALU_DEP_4)
	v_add_f64_e32 v[10:11], v[10:11], v[18:19]
	v_add_f64_e32 v[12:13], v[12:13], v[30:31]
	s_delay_alu instid0(VALU_DEP_4) | instskip(NEXT) | instid1(VALU_DEP_4)
	v_fma_f64 v[4:5], v[4:5], v[26:27], v[14:15]
	v_fma_f64 v[2:3], v[2:3], v[26:27], -v[20:21]
	s_delay_alu instid0(VALU_DEP_4) | instskip(NEXT) | instid1(VALU_DEP_4)
	v_add_f64_e32 v[6:7], v[10:11], v[6:7]
	v_add_f64_e32 v[8:9], v[12:13], v[8:9]
	s_delay_alu instid0(VALU_DEP_2) | instskip(NEXT) | instid1(VALU_DEP_2)
	v_add_f64_e32 v[2:3], v[6:7], v[2:3]
	v_add_f64_e32 v[4:5], v[8:9], v[4:5]
	s_delay_alu instid0(VALU_DEP_2) | instskip(NEXT) | instid1(VALU_DEP_2)
	v_add_f64_e64 v[2:3], v[42:43], -v[2:3]
	v_add_f64_e64 v[4:5], v[44:45], -v[4:5]
	scratch_store_b128 off, v[2:5], off offset:112
	v_cmpx_lt_u32_e32 5, v0
	s_cbranch_execz .LBB43_267
; %bb.266:
	scratch_load_b128 v[5:8], off, s52
	v_dual_mov_b32 v2, v1 :: v_dual_mov_b32 v3, v1
	v_mov_b32_e32 v4, v1
	scratch_store_b128 off, v[1:4], off offset:96
	s_wait_loadcnt 0x0
	ds_store_b128 v134, v[5:8]
.LBB43_267:
	s_wait_alu 0xfffe
	s_or_b32 exec_lo, exec_lo, s0
	s_wait_storecnt_dscnt 0x0
	s_barrier_signal -1
	s_barrier_wait -1
	global_inv scope:SCOPE_SE
	s_clause 0x8
	scratch_load_b128 v[2:5], off, off offset:112
	scratch_load_b128 v[6:9], off, off offset:128
	;; [unrolled: 1-line block ×9, first 2 shown]
	ds_load_b128 v[42:45], v1 offset:800
	ds_load_b128 v[38:41], v1 offset:816
	s_clause 0x1
	scratch_load_b128 v[135:138], off, off offset:96
	scratch_load_b128 v[139:142], off, off offset:256
	s_mov_b32 s0, exec_lo
	s_wait_loadcnt_dscnt 0xa01
	v_mul_f64_e32 v[143:144], v[44:45], v[4:5]
	v_mul_f64_e32 v[4:5], v[42:43], v[4:5]
	s_wait_loadcnt_dscnt 0x900
	v_mul_f64_e32 v[147:148], v[38:39], v[8:9]
	v_mul_f64_e32 v[8:9], v[40:41], v[8:9]
	s_delay_alu instid0(VALU_DEP_4) | instskip(NEXT) | instid1(VALU_DEP_4)
	v_fma_f64 v[149:150], v[42:43], v[2:3], -v[143:144]
	v_fma_f64 v[151:152], v[44:45], v[2:3], v[4:5]
	ds_load_b128 v[2:5], v1 offset:832
	ds_load_b128 v[143:146], v1 offset:848
	scratch_load_b128 v[42:45], off, off offset:272
	v_fma_f64 v[40:41], v[40:41], v[6:7], v[147:148]
	v_fma_f64 v[38:39], v[38:39], v[6:7], -v[8:9]
	scratch_load_b128 v[6:9], off, off offset:288
	s_wait_loadcnt_dscnt 0xa01
	v_mul_f64_e32 v[153:154], v[2:3], v[12:13]
	v_mul_f64_e32 v[12:13], v[4:5], v[12:13]
	v_add_f64_e32 v[147:148], 0, v[149:150]
	v_add_f64_e32 v[149:150], 0, v[151:152]
	s_wait_loadcnt_dscnt 0x900
	v_mul_f64_e32 v[151:152], v[143:144], v[16:17]
	v_mul_f64_e32 v[16:17], v[145:146], v[16:17]
	v_fma_f64 v[153:154], v[4:5], v[10:11], v[153:154]
	v_fma_f64 v[155:156], v[2:3], v[10:11], -v[12:13]
	ds_load_b128 v[2:5], v1 offset:864
	scratch_load_b128 v[10:13], off, off offset:304
	v_add_f64_e32 v[147:148], v[147:148], v[38:39]
	v_add_f64_e32 v[149:150], v[149:150], v[40:41]
	ds_load_b128 v[38:41], v1 offset:880
	v_fma_f64 v[145:146], v[145:146], v[14:15], v[151:152]
	v_fma_f64 v[143:144], v[143:144], v[14:15], -v[16:17]
	scratch_load_b128 v[14:17], off, off offset:320
	s_wait_loadcnt_dscnt 0xa01
	v_mul_f64_e32 v[157:158], v[2:3], v[20:21]
	v_mul_f64_e32 v[20:21], v[4:5], v[20:21]
	s_wait_loadcnt_dscnt 0x900
	v_mul_f64_e32 v[151:152], v[38:39], v[24:25]
	v_mul_f64_e32 v[24:25], v[40:41], v[24:25]
	v_add_f64_e32 v[147:148], v[147:148], v[155:156]
	v_add_f64_e32 v[149:150], v[149:150], v[153:154]
	v_fma_f64 v[153:154], v[4:5], v[18:19], v[157:158]
	v_fma_f64 v[155:156], v[2:3], v[18:19], -v[20:21]
	ds_load_b128 v[2:5], v1 offset:896
	scratch_load_b128 v[18:21], off, off offset:336
	v_fma_f64 v[40:41], v[40:41], v[22:23], v[151:152]
	v_fma_f64 v[38:39], v[38:39], v[22:23], -v[24:25]
	scratch_load_b128 v[22:25], off, off offset:352
	v_add_f64_e32 v[147:148], v[147:148], v[143:144]
	v_add_f64_e32 v[149:150], v[149:150], v[145:146]
	ds_load_b128 v[143:146], v1 offset:912
	s_wait_loadcnt_dscnt 0xa01
	v_mul_f64_e32 v[157:158], v[2:3], v[28:29]
	v_mul_f64_e32 v[28:29], v[4:5], v[28:29]
	s_wait_loadcnt_dscnt 0x900
	v_mul_f64_e32 v[151:152], v[143:144], v[32:33]
	v_mul_f64_e32 v[32:33], v[145:146], v[32:33]
	v_add_f64_e32 v[147:148], v[147:148], v[155:156]
	v_add_f64_e32 v[149:150], v[149:150], v[153:154]
	v_fma_f64 v[153:154], v[4:5], v[26:27], v[157:158]
	v_fma_f64 v[155:156], v[2:3], v[26:27], -v[28:29]
	ds_load_b128 v[2:5], v1 offset:928
	scratch_load_b128 v[26:29], off, off offset:368
	v_fma_f64 v[145:146], v[145:146], v[30:31], v[151:152]
	v_fma_f64 v[143:144], v[143:144], v[30:31], -v[32:33]
	scratch_load_b128 v[30:33], off, off offset:384
	v_add_f64_e32 v[147:148], v[147:148], v[38:39]
	v_add_f64_e32 v[149:150], v[149:150], v[40:41]
	ds_load_b128 v[38:41], v1 offset:944
	s_wait_loadcnt_dscnt 0xa01
	v_mul_f64_e32 v[157:158], v[2:3], v[36:37]
	v_mul_f64_e32 v[36:37], v[4:5], v[36:37]
	s_wait_loadcnt_dscnt 0x800
	v_mul_f64_e32 v[151:152], v[38:39], v[141:142]
	v_add_f64_e32 v[147:148], v[147:148], v[155:156]
	v_add_f64_e32 v[149:150], v[149:150], v[153:154]
	v_mul_f64_e32 v[153:154], v[40:41], v[141:142]
	v_fma_f64 v[155:156], v[4:5], v[34:35], v[157:158]
	v_fma_f64 v[157:158], v[2:3], v[34:35], -v[36:37]
	ds_load_b128 v[2:5], v1 offset:960
	scratch_load_b128 v[34:37], off, off offset:400
	v_fma_f64 v[151:152], v[40:41], v[139:140], v[151:152]
	v_add_f64_e32 v[147:148], v[147:148], v[143:144]
	v_add_f64_e32 v[145:146], v[149:150], v[145:146]
	ds_load_b128 v[141:144], v1 offset:976
	v_fma_f64 v[139:140], v[38:39], v[139:140], -v[153:154]
	scratch_load_b128 v[38:41], off, off offset:416
	s_wait_loadcnt_dscnt 0x901
	v_mul_f64_e32 v[149:150], v[2:3], v[44:45]
	v_mul_f64_e32 v[44:45], v[4:5], v[44:45]
	s_wait_loadcnt_dscnt 0x800
	v_mul_f64_e32 v[153:154], v[141:142], v[8:9]
	v_mul_f64_e32 v[8:9], v[143:144], v[8:9]
	v_add_f64_e32 v[147:148], v[147:148], v[157:158]
	v_add_f64_e32 v[145:146], v[145:146], v[155:156]
	v_fma_f64 v[149:150], v[4:5], v[42:43], v[149:150]
	v_fma_f64 v[155:156], v[2:3], v[42:43], -v[44:45]
	ds_load_b128 v[2:5], v1 offset:992
	scratch_load_b128 v[42:45], off, off offset:432
	v_fma_f64 v[143:144], v[143:144], v[6:7], v[153:154]
	v_fma_f64 v[141:142], v[141:142], v[6:7], -v[8:9]
	scratch_load_b128 v[6:9], off, off offset:448
	v_add_f64_e32 v[139:140], v[147:148], v[139:140]
	v_add_f64_e32 v[151:152], v[145:146], v[151:152]
	ds_load_b128 v[145:148], v1 offset:1008
	s_wait_loadcnt_dscnt 0x901
	v_mul_f64_e32 v[157:158], v[2:3], v[12:13]
	v_mul_f64_e32 v[12:13], v[4:5], v[12:13]
	v_add_f64_e32 v[139:140], v[139:140], v[155:156]
	v_add_f64_e32 v[149:150], v[151:152], v[149:150]
	s_wait_loadcnt_dscnt 0x800
	v_mul_f64_e32 v[151:152], v[145:146], v[16:17]
	v_mul_f64_e32 v[16:17], v[147:148], v[16:17]
	v_fma_f64 v[153:154], v[4:5], v[10:11], v[157:158]
	v_fma_f64 v[155:156], v[2:3], v[10:11], -v[12:13]
	ds_load_b128 v[2:5], v1 offset:1024
	scratch_load_b128 v[10:13], off, off offset:464
	v_add_f64_e32 v[157:158], v[139:140], v[141:142]
	v_add_f64_e32 v[143:144], v[149:150], v[143:144]
	ds_load_b128 v[139:142], v1 offset:1040
	s_wait_loadcnt_dscnt 0x801
	v_mul_f64_e32 v[149:150], v[2:3], v[20:21]
	v_mul_f64_e32 v[20:21], v[4:5], v[20:21]
	v_fma_f64 v[147:148], v[147:148], v[14:15], v[151:152]
	v_fma_f64 v[145:146], v[145:146], v[14:15], -v[16:17]
	scratch_load_b128 v[14:17], off, off offset:480
	v_add_f64_e32 v[151:152], v[157:158], v[155:156]
	v_add_f64_e32 v[143:144], v[143:144], v[153:154]
	s_wait_loadcnt_dscnt 0x800
	v_mul_f64_e32 v[153:154], v[139:140], v[24:25]
	v_mul_f64_e32 v[24:25], v[141:142], v[24:25]
	v_fma_f64 v[149:150], v[4:5], v[18:19], v[149:150]
	v_fma_f64 v[155:156], v[2:3], v[18:19], -v[20:21]
	ds_load_b128 v[2:5], v1 offset:1056
	scratch_load_b128 v[18:21], off, off offset:496
	v_add_f64_e32 v[151:152], v[151:152], v[145:146]
	v_add_f64_e32 v[147:148], v[143:144], v[147:148]
	ds_load_b128 v[143:146], v1 offset:1072
	s_wait_loadcnt_dscnt 0x801
	v_mul_f64_e32 v[157:158], v[2:3], v[28:29]
	v_mul_f64_e32 v[28:29], v[4:5], v[28:29]
	v_fma_f64 v[141:142], v[141:142], v[22:23], v[153:154]
	v_fma_f64 v[139:140], v[139:140], v[22:23], -v[24:25]
	scratch_load_b128 v[22:25], off, off offset:512
	;; [unrolled: 18-line block ×4, first 2 shown]
	s_wait_loadcnt_dscnt 0x800
	v_mul_f64_e32 v[151:152], v[143:144], v[8:9]
	v_mul_f64_e32 v[8:9], v[145:146], v[8:9]
	v_add_f64_e32 v[149:150], v[149:150], v[155:156]
	v_add_f64_e32 v[147:148], v[147:148], v[153:154]
	v_fma_f64 v[153:154], v[4:5], v[42:43], v[157:158]
	v_fma_f64 v[155:156], v[2:3], v[42:43], -v[44:45]
	ds_load_b128 v[2:5], v1 offset:1152
	scratch_load_b128 v[42:45], off, off offset:592
	v_fma_f64 v[145:146], v[145:146], v[6:7], v[151:152]
	v_fma_f64 v[143:144], v[143:144], v[6:7], -v[8:9]
	scratch_load_b128 v[6:9], off, off offset:608
	v_add_f64_e32 v[149:150], v[149:150], v[139:140]
	v_add_f64_e32 v[147:148], v[147:148], v[141:142]
	ds_load_b128 v[139:142], v1 offset:1168
	s_wait_loadcnt_dscnt 0x901
	v_mul_f64_e32 v[157:158], v[2:3], v[12:13]
	v_mul_f64_e32 v[12:13], v[4:5], v[12:13]
	s_wait_loadcnt_dscnt 0x800
	v_mul_f64_e32 v[151:152], v[139:140], v[16:17]
	v_mul_f64_e32 v[16:17], v[141:142], v[16:17]
	v_add_f64_e32 v[149:150], v[149:150], v[155:156]
	v_add_f64_e32 v[147:148], v[147:148], v[153:154]
	v_fma_f64 v[153:154], v[4:5], v[10:11], v[157:158]
	v_fma_f64 v[155:156], v[2:3], v[10:11], -v[12:13]
	ds_load_b128 v[2:5], v1 offset:1184
	scratch_load_b128 v[10:13], off, off offset:624
	v_fma_f64 v[141:142], v[141:142], v[14:15], v[151:152]
	v_fma_f64 v[139:140], v[139:140], v[14:15], -v[16:17]
	scratch_load_b128 v[14:17], off, off offset:640
	v_add_f64_e32 v[149:150], v[149:150], v[143:144]
	v_add_f64_e32 v[147:148], v[147:148], v[145:146]
	ds_load_b128 v[143:146], v1 offset:1200
	s_wait_loadcnt_dscnt 0x901
	v_mul_f64_e32 v[157:158], v[2:3], v[20:21]
	v_mul_f64_e32 v[20:21], v[4:5], v[20:21]
	;; [unrolled: 18-line block ×4, first 2 shown]
	s_wait_loadcnt_dscnt 0x800
	v_mul_f64_e32 v[151:152], v[143:144], v[40:41]
	v_mul_f64_e32 v[40:41], v[145:146], v[40:41]
	v_add_f64_e32 v[149:150], v[149:150], v[155:156]
	v_add_f64_e32 v[147:148], v[147:148], v[153:154]
	v_fma_f64 v[153:154], v[4:5], v[34:35], v[157:158]
	v_fma_f64 v[155:156], v[2:3], v[34:35], -v[36:37]
	ds_load_b128 v[2:5], v1 offset:1280
	ds_load_b128 v[34:37], v1 offset:1296
	v_fma_f64 v[145:146], v[145:146], v[38:39], v[151:152]
	v_fma_f64 v[38:39], v[143:144], v[38:39], -v[40:41]
	v_add_f64_e32 v[139:140], v[149:150], v[139:140]
	v_add_f64_e32 v[141:142], v[147:148], v[141:142]
	s_wait_loadcnt_dscnt 0x701
	v_mul_f64_e32 v[147:148], v[2:3], v[44:45]
	v_mul_f64_e32 v[44:45], v[4:5], v[44:45]
	s_delay_alu instid0(VALU_DEP_4) | instskip(NEXT) | instid1(VALU_DEP_4)
	v_add_f64_e32 v[40:41], v[139:140], v[155:156]
	v_add_f64_e32 v[139:140], v[141:142], v[153:154]
	s_wait_loadcnt_dscnt 0x600
	v_mul_f64_e32 v[141:142], v[34:35], v[8:9]
	v_mul_f64_e32 v[8:9], v[36:37], v[8:9]
	v_fma_f64 v[143:144], v[4:5], v[42:43], v[147:148]
	v_fma_f64 v[42:43], v[2:3], v[42:43], -v[44:45]
	v_add_f64_e32 v[44:45], v[40:41], v[38:39]
	v_add_f64_e32 v[139:140], v[139:140], v[145:146]
	ds_load_b128 v[2:5], v1 offset:1312
	ds_load_b128 v[38:41], v1 offset:1328
	v_fma_f64 v[36:37], v[36:37], v[6:7], v[141:142]
	v_fma_f64 v[6:7], v[34:35], v[6:7], -v[8:9]
	s_wait_loadcnt_dscnt 0x501
	v_mul_f64_e32 v[145:146], v[2:3], v[12:13]
	v_mul_f64_e32 v[12:13], v[4:5], v[12:13]
	v_add_f64_e32 v[8:9], v[44:45], v[42:43]
	v_add_f64_e32 v[34:35], v[139:140], v[143:144]
	s_wait_loadcnt_dscnt 0x400
	v_mul_f64_e32 v[42:43], v[38:39], v[16:17]
	v_mul_f64_e32 v[16:17], v[40:41], v[16:17]
	v_fma_f64 v[44:45], v[4:5], v[10:11], v[145:146]
	v_fma_f64 v[10:11], v[2:3], v[10:11], -v[12:13]
	v_add_f64_e32 v[12:13], v[8:9], v[6:7]
	v_add_f64_e32 v[34:35], v[34:35], v[36:37]
	ds_load_b128 v[2:5], v1 offset:1344
	ds_load_b128 v[6:9], v1 offset:1360
	v_fma_f64 v[40:41], v[40:41], v[14:15], v[42:43]
	v_fma_f64 v[14:15], v[38:39], v[14:15], -v[16:17]
	s_wait_loadcnt_dscnt 0x301
	v_mul_f64_e32 v[36:37], v[2:3], v[20:21]
	v_mul_f64_e32 v[20:21], v[4:5], v[20:21]
	s_wait_loadcnt_dscnt 0x200
	v_mul_f64_e32 v[16:17], v[6:7], v[24:25]
	v_mul_f64_e32 v[24:25], v[8:9], v[24:25]
	v_add_f64_e32 v[10:11], v[12:13], v[10:11]
	v_add_f64_e32 v[12:13], v[34:35], v[44:45]
	v_fma_f64 v[34:35], v[4:5], v[18:19], v[36:37]
	v_fma_f64 v[18:19], v[2:3], v[18:19], -v[20:21]
	v_fma_f64 v[8:9], v[8:9], v[22:23], v[16:17]
	v_fma_f64 v[6:7], v[6:7], v[22:23], -v[24:25]
	v_add_f64_e32 v[14:15], v[10:11], v[14:15]
	v_add_f64_e32 v[20:21], v[12:13], v[40:41]
	ds_load_b128 v[2:5], v1 offset:1376
	ds_load_b128 v[10:13], v1 offset:1392
	s_wait_loadcnt_dscnt 0x101
	v_mul_f64_e32 v[36:37], v[2:3], v[28:29]
	v_mul_f64_e32 v[28:29], v[4:5], v[28:29]
	v_add_f64_e32 v[14:15], v[14:15], v[18:19]
	v_add_f64_e32 v[16:17], v[20:21], v[34:35]
	s_wait_loadcnt_dscnt 0x0
	v_mul_f64_e32 v[18:19], v[10:11], v[32:33]
	v_mul_f64_e32 v[20:21], v[12:13], v[32:33]
	v_fma_f64 v[4:5], v[4:5], v[26:27], v[36:37]
	v_fma_f64 v[1:2], v[2:3], v[26:27], -v[28:29]
	v_add_f64_e32 v[6:7], v[14:15], v[6:7]
	v_add_f64_e32 v[8:9], v[16:17], v[8:9]
	v_fma_f64 v[12:13], v[12:13], v[30:31], v[18:19]
	v_fma_f64 v[10:11], v[10:11], v[30:31], -v[20:21]
	s_delay_alu instid0(VALU_DEP_4) | instskip(NEXT) | instid1(VALU_DEP_4)
	v_add_f64_e32 v[1:2], v[6:7], v[1:2]
	v_add_f64_e32 v[3:4], v[8:9], v[4:5]
	s_delay_alu instid0(VALU_DEP_2) | instskip(NEXT) | instid1(VALU_DEP_2)
	v_add_f64_e32 v[1:2], v[1:2], v[10:11]
	v_add_f64_e32 v[3:4], v[3:4], v[12:13]
	s_delay_alu instid0(VALU_DEP_2) | instskip(NEXT) | instid1(VALU_DEP_2)
	v_add_f64_e64 v[1:2], v[135:136], -v[1:2]
	v_add_f64_e64 v[3:4], v[137:138], -v[3:4]
	scratch_store_b128 off, v[1:4], off offset:96
	v_cmpx_lt_u32_e32 4, v0
	s_cbranch_execz .LBB43_269
; %bb.268:
	scratch_load_b128 v[1:4], off, s36
	v_mov_b32_e32 v5, 0
	s_delay_alu instid0(VALU_DEP_1)
	v_dual_mov_b32 v6, v5 :: v_dual_mov_b32 v7, v5
	v_mov_b32_e32 v8, v5
	scratch_store_b128 off, v[5:8], off offset:80
	s_wait_loadcnt 0x0
	ds_store_b128 v134, v[1:4]
.LBB43_269:
	s_wait_alu 0xfffe
	s_or_b32 exec_lo, exec_lo, s0
	s_wait_storecnt_dscnt 0x0
	s_barrier_signal -1
	s_barrier_wait -1
	global_inv scope:SCOPE_SE
	s_clause 0x7
	scratch_load_b128 v[2:5], off, off offset:96
	scratch_load_b128 v[6:9], off, off offset:112
	;; [unrolled: 1-line block ×8, first 2 shown]
	v_mov_b32_e32 v1, 0
	s_mov_b32 s0, exec_lo
	ds_load_b128 v[38:41], v1 offset:784
	s_clause 0x1
	scratch_load_b128 v[34:37], off, off offset:224
	scratch_load_b128 v[42:45], off, off offset:80
	ds_load_b128 v[135:138], v1 offset:800
	scratch_load_b128 v[139:142], off, off offset:240
	s_wait_loadcnt_dscnt 0xa01
	v_mul_f64_e32 v[143:144], v[40:41], v[4:5]
	v_mul_f64_e32 v[4:5], v[38:39], v[4:5]
	s_delay_alu instid0(VALU_DEP_2) | instskip(NEXT) | instid1(VALU_DEP_2)
	v_fma_f64 v[149:150], v[38:39], v[2:3], -v[143:144]
	v_fma_f64 v[151:152], v[40:41], v[2:3], v[4:5]
	ds_load_b128 v[2:5], v1 offset:816
	s_wait_loadcnt_dscnt 0x901
	v_mul_f64_e32 v[147:148], v[135:136], v[8:9]
	v_mul_f64_e32 v[8:9], v[137:138], v[8:9]
	scratch_load_b128 v[38:41], off, off offset:256
	ds_load_b128 v[143:146], v1 offset:832
	s_wait_loadcnt_dscnt 0x901
	v_mul_f64_e32 v[153:154], v[2:3], v[12:13]
	v_mul_f64_e32 v[12:13], v[4:5], v[12:13]
	v_fma_f64 v[137:138], v[137:138], v[6:7], v[147:148]
	v_fma_f64 v[135:136], v[135:136], v[6:7], -v[8:9]
	v_add_f64_e32 v[147:148], 0, v[149:150]
	v_add_f64_e32 v[149:150], 0, v[151:152]
	scratch_load_b128 v[6:9], off, off offset:272
	v_fma_f64 v[153:154], v[4:5], v[10:11], v[153:154]
	v_fma_f64 v[155:156], v[2:3], v[10:11], -v[12:13]
	ds_load_b128 v[2:5], v1 offset:848
	s_wait_loadcnt_dscnt 0x901
	v_mul_f64_e32 v[151:152], v[143:144], v[16:17]
	v_mul_f64_e32 v[16:17], v[145:146], v[16:17]
	scratch_load_b128 v[10:13], off, off offset:288
	v_add_f64_e32 v[147:148], v[147:148], v[135:136]
	v_add_f64_e32 v[149:150], v[149:150], v[137:138]
	s_wait_loadcnt_dscnt 0x900
	v_mul_f64_e32 v[157:158], v[2:3], v[20:21]
	v_mul_f64_e32 v[20:21], v[4:5], v[20:21]
	ds_load_b128 v[135:138], v1 offset:864
	v_fma_f64 v[145:146], v[145:146], v[14:15], v[151:152]
	v_fma_f64 v[143:144], v[143:144], v[14:15], -v[16:17]
	scratch_load_b128 v[14:17], off, off offset:304
	v_add_f64_e32 v[147:148], v[147:148], v[155:156]
	v_add_f64_e32 v[149:150], v[149:150], v[153:154]
	v_fma_f64 v[153:154], v[4:5], v[18:19], v[157:158]
	v_fma_f64 v[155:156], v[2:3], v[18:19], -v[20:21]
	ds_load_b128 v[2:5], v1 offset:880
	s_wait_loadcnt_dscnt 0x901
	v_mul_f64_e32 v[151:152], v[135:136], v[24:25]
	v_mul_f64_e32 v[24:25], v[137:138], v[24:25]
	scratch_load_b128 v[18:21], off, off offset:320
	s_wait_loadcnt_dscnt 0x900
	v_mul_f64_e32 v[157:158], v[2:3], v[28:29]
	v_mul_f64_e32 v[28:29], v[4:5], v[28:29]
	v_add_f64_e32 v[147:148], v[147:148], v[143:144]
	v_add_f64_e32 v[149:150], v[149:150], v[145:146]
	ds_load_b128 v[143:146], v1 offset:896
	v_fma_f64 v[137:138], v[137:138], v[22:23], v[151:152]
	v_fma_f64 v[135:136], v[135:136], v[22:23], -v[24:25]
	scratch_load_b128 v[22:25], off, off offset:336
	v_add_f64_e32 v[147:148], v[147:148], v[155:156]
	v_add_f64_e32 v[149:150], v[149:150], v[153:154]
	v_fma_f64 v[153:154], v[4:5], v[26:27], v[157:158]
	v_fma_f64 v[155:156], v[2:3], v[26:27], -v[28:29]
	ds_load_b128 v[2:5], v1 offset:912
	s_wait_loadcnt_dscnt 0x901
	v_mul_f64_e32 v[151:152], v[143:144], v[32:33]
	v_mul_f64_e32 v[32:33], v[145:146], v[32:33]
	scratch_load_b128 v[26:29], off, off offset:352
	s_wait_loadcnt_dscnt 0x900
	v_mul_f64_e32 v[157:158], v[2:3], v[36:37]
	v_mul_f64_e32 v[36:37], v[4:5], v[36:37]
	v_add_f64_e32 v[147:148], v[147:148], v[135:136]
	v_add_f64_e32 v[149:150], v[149:150], v[137:138]
	ds_load_b128 v[135:138], v1 offset:928
	v_fma_f64 v[145:146], v[145:146], v[30:31], v[151:152]
	v_fma_f64 v[143:144], v[143:144], v[30:31], -v[32:33]
	scratch_load_b128 v[30:33], off, off offset:368
	v_add_f64_e32 v[147:148], v[147:148], v[155:156]
	v_add_f64_e32 v[149:150], v[149:150], v[153:154]
	v_fma_f64 v[155:156], v[4:5], v[34:35], v[157:158]
	v_fma_f64 v[157:158], v[2:3], v[34:35], -v[36:37]
	ds_load_b128 v[2:5], v1 offset:944
	s_wait_loadcnt_dscnt 0x801
	v_mul_f64_e32 v[151:152], v[135:136], v[141:142]
	v_mul_f64_e32 v[153:154], v[137:138], v[141:142]
	scratch_load_b128 v[34:37], off, off offset:384
	v_add_f64_e32 v[147:148], v[147:148], v[143:144]
	v_add_f64_e32 v[145:146], v[149:150], v[145:146]
	ds_load_b128 v[141:144], v1 offset:960
	v_fma_f64 v[151:152], v[137:138], v[139:140], v[151:152]
	v_fma_f64 v[139:140], v[135:136], v[139:140], -v[153:154]
	scratch_load_b128 v[135:138], off, off offset:400
	s_wait_loadcnt_dscnt 0x901
	v_mul_f64_e32 v[149:150], v[2:3], v[40:41]
	v_mul_f64_e32 v[40:41], v[4:5], v[40:41]
	v_add_f64_e32 v[147:148], v[147:148], v[157:158]
	v_add_f64_e32 v[145:146], v[145:146], v[155:156]
	s_delay_alu instid0(VALU_DEP_4) | instskip(NEXT) | instid1(VALU_DEP_4)
	v_fma_f64 v[149:150], v[4:5], v[38:39], v[149:150]
	v_fma_f64 v[155:156], v[2:3], v[38:39], -v[40:41]
	ds_load_b128 v[2:5], v1 offset:976
	s_wait_loadcnt_dscnt 0x801
	v_mul_f64_e32 v[153:154], v[141:142], v[8:9]
	v_mul_f64_e32 v[8:9], v[143:144], v[8:9]
	scratch_load_b128 v[38:41], off, off offset:416
	s_wait_loadcnt_dscnt 0x800
	v_mul_f64_e32 v[157:158], v[2:3], v[12:13]
	v_add_f64_e32 v[139:140], v[147:148], v[139:140]
	v_add_f64_e32 v[151:152], v[145:146], v[151:152]
	v_mul_f64_e32 v[12:13], v[4:5], v[12:13]
	ds_load_b128 v[145:148], v1 offset:992
	v_fma_f64 v[143:144], v[143:144], v[6:7], v[153:154]
	v_fma_f64 v[141:142], v[141:142], v[6:7], -v[8:9]
	scratch_load_b128 v[6:9], off, off offset:432
	v_fma_f64 v[153:154], v[4:5], v[10:11], v[157:158]
	v_add_f64_e32 v[139:140], v[139:140], v[155:156]
	v_add_f64_e32 v[149:150], v[151:152], v[149:150]
	v_fma_f64 v[155:156], v[2:3], v[10:11], -v[12:13]
	ds_load_b128 v[2:5], v1 offset:1008
	s_wait_loadcnt_dscnt 0x801
	v_mul_f64_e32 v[151:152], v[145:146], v[16:17]
	v_mul_f64_e32 v[16:17], v[147:148], v[16:17]
	scratch_load_b128 v[10:13], off, off offset:448
	v_add_f64_e32 v[157:158], v[139:140], v[141:142]
	v_add_f64_e32 v[143:144], v[149:150], v[143:144]
	s_wait_loadcnt_dscnt 0x800
	v_mul_f64_e32 v[149:150], v[2:3], v[20:21]
	v_mul_f64_e32 v[20:21], v[4:5], v[20:21]
	v_fma_f64 v[147:148], v[147:148], v[14:15], v[151:152]
	v_fma_f64 v[145:146], v[145:146], v[14:15], -v[16:17]
	ds_load_b128 v[139:142], v1 offset:1024
	scratch_load_b128 v[14:17], off, off offset:464
	v_add_f64_e32 v[151:152], v[157:158], v[155:156]
	v_add_f64_e32 v[143:144], v[143:144], v[153:154]
	v_fma_f64 v[149:150], v[4:5], v[18:19], v[149:150]
	v_fma_f64 v[155:156], v[2:3], v[18:19], -v[20:21]
	ds_load_b128 v[2:5], v1 offset:1040
	s_wait_loadcnt_dscnt 0x801
	v_mul_f64_e32 v[153:154], v[139:140], v[24:25]
	v_mul_f64_e32 v[24:25], v[141:142], v[24:25]
	scratch_load_b128 v[18:21], off, off offset:480
	s_wait_loadcnt_dscnt 0x800
	v_mul_f64_e32 v[157:158], v[2:3], v[28:29]
	v_mul_f64_e32 v[28:29], v[4:5], v[28:29]
	v_add_f64_e32 v[151:152], v[151:152], v[145:146]
	v_add_f64_e32 v[147:148], v[143:144], v[147:148]
	ds_load_b128 v[143:146], v1 offset:1056
	v_fma_f64 v[141:142], v[141:142], v[22:23], v[153:154]
	v_fma_f64 v[139:140], v[139:140], v[22:23], -v[24:25]
	scratch_load_b128 v[22:25], off, off offset:496
	v_fma_f64 v[153:154], v[4:5], v[26:27], v[157:158]
	v_add_f64_e32 v[151:152], v[151:152], v[155:156]
	v_add_f64_e32 v[147:148], v[147:148], v[149:150]
	v_fma_f64 v[155:156], v[2:3], v[26:27], -v[28:29]
	ds_load_b128 v[2:5], v1 offset:1072
	s_wait_loadcnt_dscnt 0x801
	v_mul_f64_e32 v[149:150], v[143:144], v[32:33]
	v_mul_f64_e32 v[32:33], v[145:146], v[32:33]
	scratch_load_b128 v[26:29], off, off offset:512
	s_wait_loadcnt_dscnt 0x800
	v_mul_f64_e32 v[157:158], v[2:3], v[36:37]
	v_mul_f64_e32 v[36:37], v[4:5], v[36:37]
	v_add_f64_e32 v[151:152], v[151:152], v[139:140]
	v_add_f64_e32 v[147:148], v[147:148], v[141:142]
	ds_load_b128 v[139:142], v1 offset:1088
	v_fma_f64 v[145:146], v[145:146], v[30:31], v[149:150]
	v_fma_f64 v[143:144], v[143:144], v[30:31], -v[32:33]
	scratch_load_b128 v[30:33], off, off offset:528
	v_add_f64_e32 v[149:150], v[151:152], v[155:156]
	v_add_f64_e32 v[147:148], v[147:148], v[153:154]
	v_fma_f64 v[153:154], v[4:5], v[34:35], v[157:158]
	v_fma_f64 v[155:156], v[2:3], v[34:35], -v[36:37]
	ds_load_b128 v[2:5], v1 offset:1104
	s_wait_loadcnt_dscnt 0x801
	v_mul_f64_e32 v[151:152], v[139:140], v[137:138]
	v_mul_f64_e32 v[137:138], v[141:142], v[137:138]
	scratch_load_b128 v[34:37], off, off offset:544
	s_wait_loadcnt_dscnt 0x800
	v_mul_f64_e32 v[157:158], v[2:3], v[40:41]
	v_mul_f64_e32 v[40:41], v[4:5], v[40:41]
	v_add_f64_e32 v[149:150], v[149:150], v[143:144]
	v_add_f64_e32 v[147:148], v[147:148], v[145:146]
	ds_load_b128 v[143:146], v1 offset:1120
	v_fma_f64 v[141:142], v[141:142], v[135:136], v[151:152]
	v_fma_f64 v[139:140], v[139:140], v[135:136], -v[137:138]
	scratch_load_b128 v[135:138], off, off offset:560
	v_add_f64_e32 v[149:150], v[149:150], v[155:156]
	v_add_f64_e32 v[147:148], v[147:148], v[153:154]
	v_fma_f64 v[153:154], v[4:5], v[38:39], v[157:158]
	;; [unrolled: 18-line block ×6, first 2 shown]
	v_fma_f64 v[157:158], v[2:3], v[34:35], -v[36:37]
	ds_load_b128 v[2:5], v1 offset:1264
	s_wait_loadcnt_dscnt 0x801
	v_mul_f64_e32 v[151:152], v[143:144], v[137:138]
	v_mul_f64_e32 v[153:154], v[145:146], v[137:138]
	scratch_load_b128 v[34:37], off, off offset:704
	v_add_f64_e32 v[149:150], v[149:150], v[139:140]
	v_add_f64_e32 v[141:142], v[147:148], v[141:142]
	s_wait_loadcnt_dscnt 0x800
	v_mul_f64_e32 v[147:148], v[2:3], v[40:41]
	v_mul_f64_e32 v[40:41], v[4:5], v[40:41]
	ds_load_b128 v[137:140], v1 offset:1280
	v_fma_f64 v[145:146], v[145:146], v[135:136], v[151:152]
	v_fma_f64 v[135:136], v[143:144], v[135:136], -v[153:154]
	v_add_f64_e32 v[143:144], v[149:150], v[157:158]
	v_add_f64_e32 v[141:142], v[141:142], v[155:156]
	s_wait_loadcnt_dscnt 0x700
	v_mul_f64_e32 v[149:150], v[137:138], v[8:9]
	v_mul_f64_e32 v[8:9], v[139:140], v[8:9]
	v_fma_f64 v[147:148], v[4:5], v[38:39], v[147:148]
	v_fma_f64 v[151:152], v[2:3], v[38:39], -v[40:41]
	ds_load_b128 v[2:5], v1 offset:1296
	ds_load_b128 v[38:41], v1 offset:1312
	v_add_f64_e32 v[135:136], v[143:144], v[135:136]
	v_add_f64_e32 v[141:142], v[141:142], v[145:146]
	s_wait_loadcnt_dscnt 0x601
	v_mul_f64_e32 v[143:144], v[2:3], v[12:13]
	v_mul_f64_e32 v[12:13], v[4:5], v[12:13]
	v_fma_f64 v[139:140], v[139:140], v[6:7], v[149:150]
	v_fma_f64 v[6:7], v[137:138], v[6:7], -v[8:9]
	s_wait_loadcnt_dscnt 0x500
	v_mul_f64_e32 v[137:138], v[38:39], v[16:17]
	v_mul_f64_e32 v[16:17], v[40:41], v[16:17]
	v_add_f64_e32 v[8:9], v[135:136], v[151:152]
	v_add_f64_e32 v[135:136], v[141:142], v[147:148]
	v_fma_f64 v[141:142], v[4:5], v[10:11], v[143:144]
	v_fma_f64 v[10:11], v[2:3], v[10:11], -v[12:13]
	v_fma_f64 v[40:41], v[40:41], v[14:15], v[137:138]
	v_fma_f64 v[14:15], v[38:39], v[14:15], -v[16:17]
	v_add_f64_e32 v[12:13], v[8:9], v[6:7]
	v_add_f64_e32 v[135:136], v[135:136], v[139:140]
	ds_load_b128 v[2:5], v1 offset:1328
	ds_load_b128 v[6:9], v1 offset:1344
	s_wait_loadcnt_dscnt 0x401
	v_mul_f64_e32 v[139:140], v[2:3], v[20:21]
	v_mul_f64_e32 v[20:21], v[4:5], v[20:21]
	s_wait_loadcnt_dscnt 0x300
	v_mul_f64_e32 v[16:17], v[6:7], v[24:25]
	v_mul_f64_e32 v[24:25], v[8:9], v[24:25]
	v_add_f64_e32 v[10:11], v[12:13], v[10:11]
	v_add_f64_e32 v[12:13], v[135:136], v[141:142]
	v_fma_f64 v[38:39], v[4:5], v[18:19], v[139:140]
	v_fma_f64 v[18:19], v[2:3], v[18:19], -v[20:21]
	v_fma_f64 v[8:9], v[8:9], v[22:23], v[16:17]
	v_fma_f64 v[6:7], v[6:7], v[22:23], -v[24:25]
	v_add_f64_e32 v[14:15], v[10:11], v[14:15]
	v_add_f64_e32 v[20:21], v[12:13], v[40:41]
	ds_load_b128 v[2:5], v1 offset:1360
	ds_load_b128 v[10:13], v1 offset:1376
	s_wait_loadcnt_dscnt 0x201
	v_mul_f64_e32 v[40:41], v[2:3], v[28:29]
	v_mul_f64_e32 v[28:29], v[4:5], v[28:29]
	v_add_f64_e32 v[14:15], v[14:15], v[18:19]
	v_add_f64_e32 v[16:17], v[20:21], v[38:39]
	s_wait_loadcnt_dscnt 0x100
	v_mul_f64_e32 v[18:19], v[10:11], v[32:33]
	v_mul_f64_e32 v[20:21], v[12:13], v[32:33]
	v_fma_f64 v[22:23], v[4:5], v[26:27], v[40:41]
	v_fma_f64 v[24:25], v[2:3], v[26:27], -v[28:29]
	ds_load_b128 v[2:5], v1 offset:1392
	v_add_f64_e32 v[6:7], v[14:15], v[6:7]
	v_add_f64_e32 v[8:9], v[16:17], v[8:9]
	v_fma_f64 v[12:13], v[12:13], v[30:31], v[18:19]
	v_fma_f64 v[10:11], v[10:11], v[30:31], -v[20:21]
	s_wait_loadcnt_dscnt 0x0
	v_mul_f64_e32 v[14:15], v[2:3], v[36:37]
	v_mul_f64_e32 v[16:17], v[4:5], v[36:37]
	v_add_f64_e32 v[6:7], v[6:7], v[24:25]
	v_add_f64_e32 v[8:9], v[8:9], v[22:23]
	s_delay_alu instid0(VALU_DEP_4) | instskip(NEXT) | instid1(VALU_DEP_4)
	v_fma_f64 v[4:5], v[4:5], v[34:35], v[14:15]
	v_fma_f64 v[2:3], v[2:3], v[34:35], -v[16:17]
	s_delay_alu instid0(VALU_DEP_4) | instskip(NEXT) | instid1(VALU_DEP_4)
	v_add_f64_e32 v[6:7], v[6:7], v[10:11]
	v_add_f64_e32 v[8:9], v[8:9], v[12:13]
	s_delay_alu instid0(VALU_DEP_2) | instskip(NEXT) | instid1(VALU_DEP_2)
	v_add_f64_e32 v[2:3], v[6:7], v[2:3]
	v_add_f64_e32 v[4:5], v[8:9], v[4:5]
	s_delay_alu instid0(VALU_DEP_2) | instskip(NEXT) | instid1(VALU_DEP_2)
	v_add_f64_e64 v[2:3], v[42:43], -v[2:3]
	v_add_f64_e64 v[4:5], v[44:45], -v[4:5]
	scratch_store_b128 off, v[2:5], off offset:80
	v_cmpx_lt_u32_e32 3, v0
	s_cbranch_execz .LBB43_271
; %bb.270:
	scratch_load_b128 v[5:8], off, s37
	v_dual_mov_b32 v2, v1 :: v_dual_mov_b32 v3, v1
	v_mov_b32_e32 v4, v1
	scratch_store_b128 off, v[1:4], off offset:64
	s_wait_loadcnt 0x0
	ds_store_b128 v134, v[5:8]
.LBB43_271:
	s_wait_alu 0xfffe
	s_or_b32 exec_lo, exec_lo, s0
	s_wait_storecnt_dscnt 0x0
	s_barrier_signal -1
	s_barrier_wait -1
	global_inv scope:SCOPE_SE
	s_clause 0x8
	scratch_load_b128 v[2:5], off, off offset:80
	scratch_load_b128 v[6:9], off, off offset:96
	;; [unrolled: 1-line block ×9, first 2 shown]
	ds_load_b128 v[42:45], v1 offset:768
	ds_load_b128 v[38:41], v1 offset:784
	s_clause 0x1
	scratch_load_b128 v[135:138], off, off offset:64
	scratch_load_b128 v[139:142], off, off offset:224
	s_mov_b32 s0, exec_lo
	s_wait_loadcnt_dscnt 0xa01
	v_mul_f64_e32 v[143:144], v[44:45], v[4:5]
	v_mul_f64_e32 v[4:5], v[42:43], v[4:5]
	s_wait_loadcnt_dscnt 0x900
	v_mul_f64_e32 v[147:148], v[38:39], v[8:9]
	v_mul_f64_e32 v[8:9], v[40:41], v[8:9]
	s_delay_alu instid0(VALU_DEP_4) | instskip(NEXT) | instid1(VALU_DEP_4)
	v_fma_f64 v[149:150], v[42:43], v[2:3], -v[143:144]
	v_fma_f64 v[151:152], v[44:45], v[2:3], v[4:5]
	ds_load_b128 v[2:5], v1 offset:800
	ds_load_b128 v[143:146], v1 offset:816
	scratch_load_b128 v[42:45], off, off offset:240
	v_fma_f64 v[40:41], v[40:41], v[6:7], v[147:148]
	v_fma_f64 v[38:39], v[38:39], v[6:7], -v[8:9]
	scratch_load_b128 v[6:9], off, off offset:256
	s_wait_loadcnt_dscnt 0xa01
	v_mul_f64_e32 v[153:154], v[2:3], v[12:13]
	v_mul_f64_e32 v[12:13], v[4:5], v[12:13]
	v_add_f64_e32 v[147:148], 0, v[149:150]
	v_add_f64_e32 v[149:150], 0, v[151:152]
	s_wait_loadcnt_dscnt 0x900
	v_mul_f64_e32 v[151:152], v[143:144], v[16:17]
	v_mul_f64_e32 v[16:17], v[145:146], v[16:17]
	v_fma_f64 v[153:154], v[4:5], v[10:11], v[153:154]
	v_fma_f64 v[155:156], v[2:3], v[10:11], -v[12:13]
	ds_load_b128 v[2:5], v1 offset:832
	scratch_load_b128 v[10:13], off, off offset:272
	v_add_f64_e32 v[147:148], v[147:148], v[38:39]
	v_add_f64_e32 v[149:150], v[149:150], v[40:41]
	ds_load_b128 v[38:41], v1 offset:848
	v_fma_f64 v[145:146], v[145:146], v[14:15], v[151:152]
	v_fma_f64 v[143:144], v[143:144], v[14:15], -v[16:17]
	scratch_load_b128 v[14:17], off, off offset:288
	s_wait_loadcnt_dscnt 0xa01
	v_mul_f64_e32 v[157:158], v[2:3], v[20:21]
	v_mul_f64_e32 v[20:21], v[4:5], v[20:21]
	s_wait_loadcnt_dscnt 0x900
	v_mul_f64_e32 v[151:152], v[38:39], v[24:25]
	v_mul_f64_e32 v[24:25], v[40:41], v[24:25]
	v_add_f64_e32 v[147:148], v[147:148], v[155:156]
	v_add_f64_e32 v[149:150], v[149:150], v[153:154]
	v_fma_f64 v[153:154], v[4:5], v[18:19], v[157:158]
	v_fma_f64 v[155:156], v[2:3], v[18:19], -v[20:21]
	ds_load_b128 v[2:5], v1 offset:864
	scratch_load_b128 v[18:21], off, off offset:304
	v_fma_f64 v[40:41], v[40:41], v[22:23], v[151:152]
	v_fma_f64 v[38:39], v[38:39], v[22:23], -v[24:25]
	scratch_load_b128 v[22:25], off, off offset:320
	v_add_f64_e32 v[147:148], v[147:148], v[143:144]
	v_add_f64_e32 v[149:150], v[149:150], v[145:146]
	ds_load_b128 v[143:146], v1 offset:880
	s_wait_loadcnt_dscnt 0xa01
	v_mul_f64_e32 v[157:158], v[2:3], v[28:29]
	v_mul_f64_e32 v[28:29], v[4:5], v[28:29]
	s_wait_loadcnt_dscnt 0x900
	v_mul_f64_e32 v[151:152], v[143:144], v[32:33]
	v_mul_f64_e32 v[32:33], v[145:146], v[32:33]
	v_add_f64_e32 v[147:148], v[147:148], v[155:156]
	v_add_f64_e32 v[149:150], v[149:150], v[153:154]
	v_fma_f64 v[153:154], v[4:5], v[26:27], v[157:158]
	v_fma_f64 v[155:156], v[2:3], v[26:27], -v[28:29]
	ds_load_b128 v[2:5], v1 offset:896
	scratch_load_b128 v[26:29], off, off offset:336
	v_fma_f64 v[145:146], v[145:146], v[30:31], v[151:152]
	v_fma_f64 v[143:144], v[143:144], v[30:31], -v[32:33]
	scratch_load_b128 v[30:33], off, off offset:352
	v_add_f64_e32 v[147:148], v[147:148], v[38:39]
	v_add_f64_e32 v[149:150], v[149:150], v[40:41]
	ds_load_b128 v[38:41], v1 offset:912
	s_wait_loadcnt_dscnt 0xa01
	v_mul_f64_e32 v[157:158], v[2:3], v[36:37]
	v_mul_f64_e32 v[36:37], v[4:5], v[36:37]
	s_wait_loadcnt_dscnt 0x800
	v_mul_f64_e32 v[151:152], v[38:39], v[141:142]
	v_add_f64_e32 v[147:148], v[147:148], v[155:156]
	v_add_f64_e32 v[149:150], v[149:150], v[153:154]
	v_mul_f64_e32 v[153:154], v[40:41], v[141:142]
	v_fma_f64 v[155:156], v[4:5], v[34:35], v[157:158]
	v_fma_f64 v[157:158], v[2:3], v[34:35], -v[36:37]
	ds_load_b128 v[2:5], v1 offset:928
	scratch_load_b128 v[34:37], off, off offset:368
	v_fma_f64 v[151:152], v[40:41], v[139:140], v[151:152]
	v_add_f64_e32 v[147:148], v[147:148], v[143:144]
	v_add_f64_e32 v[145:146], v[149:150], v[145:146]
	ds_load_b128 v[141:144], v1 offset:944
	v_fma_f64 v[139:140], v[38:39], v[139:140], -v[153:154]
	scratch_load_b128 v[38:41], off, off offset:384
	s_wait_loadcnt_dscnt 0x901
	v_mul_f64_e32 v[149:150], v[2:3], v[44:45]
	v_mul_f64_e32 v[44:45], v[4:5], v[44:45]
	s_wait_loadcnt_dscnt 0x800
	v_mul_f64_e32 v[153:154], v[141:142], v[8:9]
	v_mul_f64_e32 v[8:9], v[143:144], v[8:9]
	v_add_f64_e32 v[147:148], v[147:148], v[157:158]
	v_add_f64_e32 v[145:146], v[145:146], v[155:156]
	v_fma_f64 v[149:150], v[4:5], v[42:43], v[149:150]
	v_fma_f64 v[155:156], v[2:3], v[42:43], -v[44:45]
	ds_load_b128 v[2:5], v1 offset:960
	scratch_load_b128 v[42:45], off, off offset:400
	v_fma_f64 v[143:144], v[143:144], v[6:7], v[153:154]
	v_fma_f64 v[141:142], v[141:142], v[6:7], -v[8:9]
	scratch_load_b128 v[6:9], off, off offset:416
	v_add_f64_e32 v[139:140], v[147:148], v[139:140]
	v_add_f64_e32 v[151:152], v[145:146], v[151:152]
	ds_load_b128 v[145:148], v1 offset:976
	s_wait_loadcnt_dscnt 0x901
	v_mul_f64_e32 v[157:158], v[2:3], v[12:13]
	v_mul_f64_e32 v[12:13], v[4:5], v[12:13]
	v_add_f64_e32 v[139:140], v[139:140], v[155:156]
	v_add_f64_e32 v[149:150], v[151:152], v[149:150]
	s_wait_loadcnt_dscnt 0x800
	v_mul_f64_e32 v[151:152], v[145:146], v[16:17]
	v_mul_f64_e32 v[16:17], v[147:148], v[16:17]
	v_fma_f64 v[153:154], v[4:5], v[10:11], v[157:158]
	v_fma_f64 v[155:156], v[2:3], v[10:11], -v[12:13]
	ds_load_b128 v[2:5], v1 offset:992
	scratch_load_b128 v[10:13], off, off offset:432
	v_add_f64_e32 v[157:158], v[139:140], v[141:142]
	v_add_f64_e32 v[143:144], v[149:150], v[143:144]
	ds_load_b128 v[139:142], v1 offset:1008
	s_wait_loadcnt_dscnt 0x801
	v_mul_f64_e32 v[149:150], v[2:3], v[20:21]
	v_mul_f64_e32 v[20:21], v[4:5], v[20:21]
	v_fma_f64 v[147:148], v[147:148], v[14:15], v[151:152]
	v_fma_f64 v[145:146], v[145:146], v[14:15], -v[16:17]
	scratch_load_b128 v[14:17], off, off offset:448
	v_add_f64_e32 v[151:152], v[157:158], v[155:156]
	v_add_f64_e32 v[143:144], v[143:144], v[153:154]
	s_wait_loadcnt_dscnt 0x800
	v_mul_f64_e32 v[153:154], v[139:140], v[24:25]
	v_mul_f64_e32 v[24:25], v[141:142], v[24:25]
	v_fma_f64 v[149:150], v[4:5], v[18:19], v[149:150]
	v_fma_f64 v[155:156], v[2:3], v[18:19], -v[20:21]
	ds_load_b128 v[2:5], v1 offset:1024
	scratch_load_b128 v[18:21], off, off offset:464
	v_add_f64_e32 v[151:152], v[151:152], v[145:146]
	v_add_f64_e32 v[147:148], v[143:144], v[147:148]
	ds_load_b128 v[143:146], v1 offset:1040
	s_wait_loadcnt_dscnt 0x801
	v_mul_f64_e32 v[157:158], v[2:3], v[28:29]
	v_mul_f64_e32 v[28:29], v[4:5], v[28:29]
	v_fma_f64 v[141:142], v[141:142], v[22:23], v[153:154]
	v_fma_f64 v[139:140], v[139:140], v[22:23], -v[24:25]
	scratch_load_b128 v[22:25], off, off offset:480
	;; [unrolled: 18-line block ×4, first 2 shown]
	s_wait_loadcnt_dscnt 0x800
	v_mul_f64_e32 v[151:152], v[143:144], v[8:9]
	v_mul_f64_e32 v[8:9], v[145:146], v[8:9]
	v_add_f64_e32 v[149:150], v[149:150], v[155:156]
	v_add_f64_e32 v[147:148], v[147:148], v[153:154]
	v_fma_f64 v[153:154], v[4:5], v[42:43], v[157:158]
	v_fma_f64 v[155:156], v[2:3], v[42:43], -v[44:45]
	ds_load_b128 v[2:5], v1 offset:1120
	scratch_load_b128 v[42:45], off, off offset:560
	v_fma_f64 v[145:146], v[145:146], v[6:7], v[151:152]
	v_fma_f64 v[143:144], v[143:144], v[6:7], -v[8:9]
	scratch_load_b128 v[6:9], off, off offset:576
	v_add_f64_e32 v[149:150], v[149:150], v[139:140]
	v_add_f64_e32 v[147:148], v[147:148], v[141:142]
	ds_load_b128 v[139:142], v1 offset:1136
	s_wait_loadcnt_dscnt 0x901
	v_mul_f64_e32 v[157:158], v[2:3], v[12:13]
	v_mul_f64_e32 v[12:13], v[4:5], v[12:13]
	s_wait_loadcnt_dscnt 0x800
	v_mul_f64_e32 v[151:152], v[139:140], v[16:17]
	v_mul_f64_e32 v[16:17], v[141:142], v[16:17]
	v_add_f64_e32 v[149:150], v[149:150], v[155:156]
	v_add_f64_e32 v[147:148], v[147:148], v[153:154]
	v_fma_f64 v[153:154], v[4:5], v[10:11], v[157:158]
	v_fma_f64 v[155:156], v[2:3], v[10:11], -v[12:13]
	ds_load_b128 v[2:5], v1 offset:1152
	scratch_load_b128 v[10:13], off, off offset:592
	v_fma_f64 v[141:142], v[141:142], v[14:15], v[151:152]
	v_fma_f64 v[139:140], v[139:140], v[14:15], -v[16:17]
	scratch_load_b128 v[14:17], off, off offset:608
	v_add_f64_e32 v[149:150], v[149:150], v[143:144]
	v_add_f64_e32 v[147:148], v[147:148], v[145:146]
	ds_load_b128 v[143:146], v1 offset:1168
	s_wait_loadcnt_dscnt 0x901
	v_mul_f64_e32 v[157:158], v[2:3], v[20:21]
	v_mul_f64_e32 v[20:21], v[4:5], v[20:21]
	;; [unrolled: 18-line block ×5, first 2 shown]
	s_wait_loadcnt_dscnt 0x800
	v_mul_f64_e32 v[151:152], v[139:140], v[8:9]
	v_mul_f64_e32 v[8:9], v[141:142], v[8:9]
	v_add_f64_e32 v[149:150], v[149:150], v[155:156]
	v_add_f64_e32 v[147:148], v[147:148], v[153:154]
	v_fma_f64 v[153:154], v[4:5], v[42:43], v[157:158]
	v_fma_f64 v[155:156], v[2:3], v[42:43], -v[44:45]
	ds_load_b128 v[2:5], v1 offset:1280
	ds_load_b128 v[42:45], v1 offset:1296
	v_fma_f64 v[141:142], v[141:142], v[6:7], v[151:152]
	v_fma_f64 v[6:7], v[139:140], v[6:7], -v[8:9]
	v_add_f64_e32 v[143:144], v[149:150], v[143:144]
	v_add_f64_e32 v[145:146], v[147:148], v[145:146]
	s_wait_loadcnt_dscnt 0x701
	v_mul_f64_e32 v[147:148], v[2:3], v[12:13]
	v_mul_f64_e32 v[12:13], v[4:5], v[12:13]
	s_delay_alu instid0(VALU_DEP_4) | instskip(NEXT) | instid1(VALU_DEP_4)
	v_add_f64_e32 v[8:9], v[143:144], v[155:156]
	v_add_f64_e32 v[139:140], v[145:146], v[153:154]
	s_wait_loadcnt_dscnt 0x600
	v_mul_f64_e32 v[143:144], v[42:43], v[16:17]
	v_mul_f64_e32 v[16:17], v[44:45], v[16:17]
	v_fma_f64 v[145:146], v[4:5], v[10:11], v[147:148]
	v_fma_f64 v[10:11], v[2:3], v[10:11], -v[12:13]
	v_add_f64_e32 v[12:13], v[8:9], v[6:7]
	v_add_f64_e32 v[139:140], v[139:140], v[141:142]
	ds_load_b128 v[2:5], v1 offset:1312
	ds_load_b128 v[6:9], v1 offset:1328
	v_fma_f64 v[44:45], v[44:45], v[14:15], v[143:144]
	v_fma_f64 v[14:15], v[42:43], v[14:15], -v[16:17]
	s_wait_loadcnt_dscnt 0x501
	v_mul_f64_e32 v[141:142], v[2:3], v[20:21]
	v_mul_f64_e32 v[20:21], v[4:5], v[20:21]
	s_wait_loadcnt_dscnt 0x400
	v_mul_f64_e32 v[16:17], v[6:7], v[24:25]
	v_mul_f64_e32 v[24:25], v[8:9], v[24:25]
	v_add_f64_e32 v[10:11], v[12:13], v[10:11]
	v_add_f64_e32 v[12:13], v[139:140], v[145:146]
	v_fma_f64 v[42:43], v[4:5], v[18:19], v[141:142]
	v_fma_f64 v[18:19], v[2:3], v[18:19], -v[20:21]
	v_fma_f64 v[8:9], v[8:9], v[22:23], v[16:17]
	v_fma_f64 v[6:7], v[6:7], v[22:23], -v[24:25]
	v_add_f64_e32 v[14:15], v[10:11], v[14:15]
	v_add_f64_e32 v[20:21], v[12:13], v[44:45]
	ds_load_b128 v[2:5], v1 offset:1344
	ds_load_b128 v[10:13], v1 offset:1360
	s_wait_loadcnt_dscnt 0x301
	v_mul_f64_e32 v[44:45], v[2:3], v[28:29]
	v_mul_f64_e32 v[28:29], v[4:5], v[28:29]
	v_add_f64_e32 v[14:15], v[14:15], v[18:19]
	v_add_f64_e32 v[16:17], v[20:21], v[42:43]
	s_wait_loadcnt_dscnt 0x200
	v_mul_f64_e32 v[18:19], v[10:11], v[32:33]
	v_mul_f64_e32 v[20:21], v[12:13], v[32:33]
	v_fma_f64 v[22:23], v[4:5], v[26:27], v[44:45]
	v_fma_f64 v[24:25], v[2:3], v[26:27], -v[28:29]
	v_add_f64_e32 v[14:15], v[14:15], v[6:7]
	v_add_f64_e32 v[16:17], v[16:17], v[8:9]
	ds_load_b128 v[2:5], v1 offset:1376
	ds_load_b128 v[6:9], v1 offset:1392
	v_fma_f64 v[12:13], v[12:13], v[30:31], v[18:19]
	v_fma_f64 v[10:11], v[10:11], v[30:31], -v[20:21]
	s_wait_loadcnt_dscnt 0x101
	v_mul_f64_e32 v[26:27], v[2:3], v[36:37]
	v_mul_f64_e32 v[28:29], v[4:5], v[36:37]
	s_wait_loadcnt_dscnt 0x0
	v_mul_f64_e32 v[18:19], v[6:7], v[40:41]
	v_mul_f64_e32 v[20:21], v[8:9], v[40:41]
	v_add_f64_e32 v[14:15], v[14:15], v[24:25]
	v_add_f64_e32 v[16:17], v[16:17], v[22:23]
	v_fma_f64 v[4:5], v[4:5], v[34:35], v[26:27]
	v_fma_f64 v[1:2], v[2:3], v[34:35], -v[28:29]
	v_fma_f64 v[8:9], v[8:9], v[38:39], v[18:19]
	v_fma_f64 v[6:7], v[6:7], v[38:39], -v[20:21]
	v_add_f64_e32 v[10:11], v[14:15], v[10:11]
	v_add_f64_e32 v[12:13], v[16:17], v[12:13]
	s_delay_alu instid0(VALU_DEP_2) | instskip(NEXT) | instid1(VALU_DEP_2)
	v_add_f64_e32 v[1:2], v[10:11], v[1:2]
	v_add_f64_e32 v[3:4], v[12:13], v[4:5]
	s_delay_alu instid0(VALU_DEP_2) | instskip(NEXT) | instid1(VALU_DEP_2)
	;; [unrolled: 3-line block ×3, first 2 shown]
	v_add_f64_e64 v[1:2], v[135:136], -v[1:2]
	v_add_f64_e64 v[3:4], v[137:138], -v[3:4]
	scratch_store_b128 off, v[1:4], off offset:64
	v_cmpx_lt_u32_e32 2, v0
	s_cbranch_execz .LBB43_273
; %bb.272:
	scratch_load_b128 v[1:4], off, s38
	v_mov_b32_e32 v5, 0
	s_delay_alu instid0(VALU_DEP_1)
	v_dual_mov_b32 v6, v5 :: v_dual_mov_b32 v7, v5
	v_mov_b32_e32 v8, v5
	scratch_store_b128 off, v[5:8], off offset:48
	s_wait_loadcnt 0x0
	ds_store_b128 v134, v[1:4]
.LBB43_273:
	s_wait_alu 0xfffe
	s_or_b32 exec_lo, exec_lo, s0
	s_wait_storecnt_dscnt 0x0
	s_barrier_signal -1
	s_barrier_wait -1
	global_inv scope:SCOPE_SE
	s_clause 0x7
	scratch_load_b128 v[2:5], off, off offset:64
	scratch_load_b128 v[6:9], off, off offset:80
	;; [unrolled: 1-line block ×8, first 2 shown]
	v_mov_b32_e32 v1, 0
	s_mov_b32 s0, exec_lo
	ds_load_b128 v[38:41], v1 offset:752
	s_clause 0x1
	scratch_load_b128 v[34:37], off, off offset:192
	scratch_load_b128 v[42:45], off, off offset:48
	ds_load_b128 v[135:138], v1 offset:768
	scratch_load_b128 v[139:142], off, off offset:208
	s_wait_loadcnt_dscnt 0xa01
	v_mul_f64_e32 v[143:144], v[40:41], v[4:5]
	v_mul_f64_e32 v[4:5], v[38:39], v[4:5]
	s_delay_alu instid0(VALU_DEP_2) | instskip(NEXT) | instid1(VALU_DEP_2)
	v_fma_f64 v[149:150], v[38:39], v[2:3], -v[143:144]
	v_fma_f64 v[151:152], v[40:41], v[2:3], v[4:5]
	ds_load_b128 v[2:5], v1 offset:784
	s_wait_loadcnt_dscnt 0x901
	v_mul_f64_e32 v[147:148], v[135:136], v[8:9]
	v_mul_f64_e32 v[8:9], v[137:138], v[8:9]
	scratch_load_b128 v[38:41], off, off offset:224
	ds_load_b128 v[143:146], v1 offset:800
	s_wait_loadcnt_dscnt 0x901
	v_mul_f64_e32 v[153:154], v[2:3], v[12:13]
	v_mul_f64_e32 v[12:13], v[4:5], v[12:13]
	v_fma_f64 v[137:138], v[137:138], v[6:7], v[147:148]
	v_fma_f64 v[135:136], v[135:136], v[6:7], -v[8:9]
	v_add_f64_e32 v[147:148], 0, v[149:150]
	v_add_f64_e32 v[149:150], 0, v[151:152]
	scratch_load_b128 v[6:9], off, off offset:240
	v_fma_f64 v[153:154], v[4:5], v[10:11], v[153:154]
	v_fma_f64 v[155:156], v[2:3], v[10:11], -v[12:13]
	ds_load_b128 v[2:5], v1 offset:816
	s_wait_loadcnt_dscnt 0x901
	v_mul_f64_e32 v[151:152], v[143:144], v[16:17]
	v_mul_f64_e32 v[16:17], v[145:146], v[16:17]
	scratch_load_b128 v[10:13], off, off offset:256
	v_add_f64_e32 v[147:148], v[147:148], v[135:136]
	v_add_f64_e32 v[149:150], v[149:150], v[137:138]
	s_wait_loadcnt_dscnt 0x900
	v_mul_f64_e32 v[157:158], v[2:3], v[20:21]
	v_mul_f64_e32 v[20:21], v[4:5], v[20:21]
	ds_load_b128 v[135:138], v1 offset:832
	v_fma_f64 v[145:146], v[145:146], v[14:15], v[151:152]
	v_fma_f64 v[143:144], v[143:144], v[14:15], -v[16:17]
	scratch_load_b128 v[14:17], off, off offset:272
	v_add_f64_e32 v[147:148], v[147:148], v[155:156]
	v_add_f64_e32 v[149:150], v[149:150], v[153:154]
	v_fma_f64 v[153:154], v[4:5], v[18:19], v[157:158]
	v_fma_f64 v[155:156], v[2:3], v[18:19], -v[20:21]
	ds_load_b128 v[2:5], v1 offset:848
	s_wait_loadcnt_dscnt 0x901
	v_mul_f64_e32 v[151:152], v[135:136], v[24:25]
	v_mul_f64_e32 v[24:25], v[137:138], v[24:25]
	scratch_load_b128 v[18:21], off, off offset:288
	s_wait_loadcnt_dscnt 0x900
	v_mul_f64_e32 v[157:158], v[2:3], v[28:29]
	v_mul_f64_e32 v[28:29], v[4:5], v[28:29]
	v_add_f64_e32 v[147:148], v[147:148], v[143:144]
	v_add_f64_e32 v[149:150], v[149:150], v[145:146]
	ds_load_b128 v[143:146], v1 offset:864
	v_fma_f64 v[137:138], v[137:138], v[22:23], v[151:152]
	v_fma_f64 v[135:136], v[135:136], v[22:23], -v[24:25]
	scratch_load_b128 v[22:25], off, off offset:304
	v_add_f64_e32 v[147:148], v[147:148], v[155:156]
	v_add_f64_e32 v[149:150], v[149:150], v[153:154]
	v_fma_f64 v[153:154], v[4:5], v[26:27], v[157:158]
	v_fma_f64 v[155:156], v[2:3], v[26:27], -v[28:29]
	ds_load_b128 v[2:5], v1 offset:880
	s_wait_loadcnt_dscnt 0x901
	v_mul_f64_e32 v[151:152], v[143:144], v[32:33]
	v_mul_f64_e32 v[32:33], v[145:146], v[32:33]
	scratch_load_b128 v[26:29], off, off offset:320
	s_wait_loadcnt_dscnt 0x900
	v_mul_f64_e32 v[157:158], v[2:3], v[36:37]
	v_mul_f64_e32 v[36:37], v[4:5], v[36:37]
	v_add_f64_e32 v[147:148], v[147:148], v[135:136]
	v_add_f64_e32 v[149:150], v[149:150], v[137:138]
	ds_load_b128 v[135:138], v1 offset:896
	v_fma_f64 v[145:146], v[145:146], v[30:31], v[151:152]
	v_fma_f64 v[143:144], v[143:144], v[30:31], -v[32:33]
	scratch_load_b128 v[30:33], off, off offset:336
	v_add_f64_e32 v[147:148], v[147:148], v[155:156]
	v_add_f64_e32 v[149:150], v[149:150], v[153:154]
	v_fma_f64 v[155:156], v[4:5], v[34:35], v[157:158]
	v_fma_f64 v[157:158], v[2:3], v[34:35], -v[36:37]
	ds_load_b128 v[2:5], v1 offset:912
	s_wait_loadcnt_dscnt 0x801
	v_mul_f64_e32 v[151:152], v[135:136], v[141:142]
	v_mul_f64_e32 v[153:154], v[137:138], v[141:142]
	scratch_load_b128 v[34:37], off, off offset:352
	v_add_f64_e32 v[147:148], v[147:148], v[143:144]
	v_add_f64_e32 v[145:146], v[149:150], v[145:146]
	ds_load_b128 v[141:144], v1 offset:928
	v_fma_f64 v[151:152], v[137:138], v[139:140], v[151:152]
	v_fma_f64 v[139:140], v[135:136], v[139:140], -v[153:154]
	scratch_load_b128 v[135:138], off, off offset:368
	s_wait_loadcnt_dscnt 0x901
	v_mul_f64_e32 v[149:150], v[2:3], v[40:41]
	v_mul_f64_e32 v[40:41], v[4:5], v[40:41]
	v_add_f64_e32 v[147:148], v[147:148], v[157:158]
	v_add_f64_e32 v[145:146], v[145:146], v[155:156]
	s_delay_alu instid0(VALU_DEP_4) | instskip(NEXT) | instid1(VALU_DEP_4)
	v_fma_f64 v[149:150], v[4:5], v[38:39], v[149:150]
	v_fma_f64 v[155:156], v[2:3], v[38:39], -v[40:41]
	ds_load_b128 v[2:5], v1 offset:944
	s_wait_loadcnt_dscnt 0x801
	v_mul_f64_e32 v[153:154], v[141:142], v[8:9]
	v_mul_f64_e32 v[8:9], v[143:144], v[8:9]
	scratch_load_b128 v[38:41], off, off offset:384
	s_wait_loadcnt_dscnt 0x800
	v_mul_f64_e32 v[157:158], v[2:3], v[12:13]
	v_add_f64_e32 v[139:140], v[147:148], v[139:140]
	v_add_f64_e32 v[151:152], v[145:146], v[151:152]
	v_mul_f64_e32 v[12:13], v[4:5], v[12:13]
	ds_load_b128 v[145:148], v1 offset:960
	v_fma_f64 v[143:144], v[143:144], v[6:7], v[153:154]
	v_fma_f64 v[141:142], v[141:142], v[6:7], -v[8:9]
	scratch_load_b128 v[6:9], off, off offset:400
	v_fma_f64 v[153:154], v[4:5], v[10:11], v[157:158]
	v_add_f64_e32 v[139:140], v[139:140], v[155:156]
	v_add_f64_e32 v[149:150], v[151:152], v[149:150]
	v_fma_f64 v[155:156], v[2:3], v[10:11], -v[12:13]
	ds_load_b128 v[2:5], v1 offset:976
	s_wait_loadcnt_dscnt 0x801
	v_mul_f64_e32 v[151:152], v[145:146], v[16:17]
	v_mul_f64_e32 v[16:17], v[147:148], v[16:17]
	scratch_load_b128 v[10:13], off, off offset:416
	v_add_f64_e32 v[157:158], v[139:140], v[141:142]
	v_add_f64_e32 v[143:144], v[149:150], v[143:144]
	s_wait_loadcnt_dscnt 0x800
	v_mul_f64_e32 v[149:150], v[2:3], v[20:21]
	v_mul_f64_e32 v[20:21], v[4:5], v[20:21]
	v_fma_f64 v[147:148], v[147:148], v[14:15], v[151:152]
	v_fma_f64 v[145:146], v[145:146], v[14:15], -v[16:17]
	ds_load_b128 v[139:142], v1 offset:992
	scratch_load_b128 v[14:17], off, off offset:432
	v_add_f64_e32 v[151:152], v[157:158], v[155:156]
	v_add_f64_e32 v[143:144], v[143:144], v[153:154]
	v_fma_f64 v[149:150], v[4:5], v[18:19], v[149:150]
	v_fma_f64 v[155:156], v[2:3], v[18:19], -v[20:21]
	ds_load_b128 v[2:5], v1 offset:1008
	s_wait_loadcnt_dscnt 0x801
	v_mul_f64_e32 v[153:154], v[139:140], v[24:25]
	v_mul_f64_e32 v[24:25], v[141:142], v[24:25]
	scratch_load_b128 v[18:21], off, off offset:448
	s_wait_loadcnt_dscnt 0x800
	v_mul_f64_e32 v[157:158], v[2:3], v[28:29]
	v_mul_f64_e32 v[28:29], v[4:5], v[28:29]
	v_add_f64_e32 v[151:152], v[151:152], v[145:146]
	v_add_f64_e32 v[147:148], v[143:144], v[147:148]
	ds_load_b128 v[143:146], v1 offset:1024
	v_fma_f64 v[141:142], v[141:142], v[22:23], v[153:154]
	v_fma_f64 v[139:140], v[139:140], v[22:23], -v[24:25]
	scratch_load_b128 v[22:25], off, off offset:464
	v_fma_f64 v[153:154], v[4:5], v[26:27], v[157:158]
	v_add_f64_e32 v[151:152], v[151:152], v[155:156]
	v_add_f64_e32 v[147:148], v[147:148], v[149:150]
	v_fma_f64 v[155:156], v[2:3], v[26:27], -v[28:29]
	ds_load_b128 v[2:5], v1 offset:1040
	s_wait_loadcnt_dscnt 0x801
	v_mul_f64_e32 v[149:150], v[143:144], v[32:33]
	v_mul_f64_e32 v[32:33], v[145:146], v[32:33]
	scratch_load_b128 v[26:29], off, off offset:480
	s_wait_loadcnt_dscnt 0x800
	v_mul_f64_e32 v[157:158], v[2:3], v[36:37]
	v_mul_f64_e32 v[36:37], v[4:5], v[36:37]
	v_add_f64_e32 v[151:152], v[151:152], v[139:140]
	v_add_f64_e32 v[147:148], v[147:148], v[141:142]
	ds_load_b128 v[139:142], v1 offset:1056
	v_fma_f64 v[145:146], v[145:146], v[30:31], v[149:150]
	v_fma_f64 v[143:144], v[143:144], v[30:31], -v[32:33]
	scratch_load_b128 v[30:33], off, off offset:496
	v_add_f64_e32 v[149:150], v[151:152], v[155:156]
	v_add_f64_e32 v[147:148], v[147:148], v[153:154]
	v_fma_f64 v[153:154], v[4:5], v[34:35], v[157:158]
	v_fma_f64 v[155:156], v[2:3], v[34:35], -v[36:37]
	ds_load_b128 v[2:5], v1 offset:1072
	s_wait_loadcnt_dscnt 0x801
	v_mul_f64_e32 v[151:152], v[139:140], v[137:138]
	v_mul_f64_e32 v[137:138], v[141:142], v[137:138]
	scratch_load_b128 v[34:37], off, off offset:512
	s_wait_loadcnt_dscnt 0x800
	v_mul_f64_e32 v[157:158], v[2:3], v[40:41]
	v_mul_f64_e32 v[40:41], v[4:5], v[40:41]
	v_add_f64_e32 v[149:150], v[149:150], v[143:144]
	v_add_f64_e32 v[147:148], v[147:148], v[145:146]
	ds_load_b128 v[143:146], v1 offset:1088
	v_fma_f64 v[141:142], v[141:142], v[135:136], v[151:152]
	v_fma_f64 v[139:140], v[139:140], v[135:136], -v[137:138]
	scratch_load_b128 v[135:138], off, off offset:528
	v_add_f64_e32 v[149:150], v[149:150], v[155:156]
	v_add_f64_e32 v[147:148], v[147:148], v[153:154]
	v_fma_f64 v[153:154], v[4:5], v[38:39], v[157:158]
	;; [unrolled: 18-line block ×6, first 2 shown]
	v_fma_f64 v[157:158], v[2:3], v[34:35], -v[36:37]
	ds_load_b128 v[2:5], v1 offset:1232
	s_wait_loadcnt_dscnt 0x801
	v_mul_f64_e32 v[151:152], v[143:144], v[137:138]
	v_mul_f64_e32 v[153:154], v[145:146], v[137:138]
	scratch_load_b128 v[34:37], off, off offset:672
	v_add_f64_e32 v[149:150], v[149:150], v[139:140]
	v_add_f64_e32 v[141:142], v[147:148], v[141:142]
	s_wait_loadcnt_dscnt 0x800
	v_mul_f64_e32 v[147:148], v[2:3], v[40:41]
	v_mul_f64_e32 v[40:41], v[4:5], v[40:41]
	ds_load_b128 v[137:140], v1 offset:1248
	v_fma_f64 v[145:146], v[145:146], v[135:136], v[151:152]
	v_fma_f64 v[135:136], v[143:144], v[135:136], -v[153:154]
	v_add_f64_e32 v[149:150], v[149:150], v[157:158]
	v_add_f64_e32 v[151:152], v[141:142], v[155:156]
	scratch_load_b128 v[141:144], off, off offset:688
	v_fma_f64 v[155:156], v[4:5], v[38:39], v[147:148]
	v_fma_f64 v[157:158], v[2:3], v[38:39], -v[40:41]
	ds_load_b128 v[2:5], v1 offset:1264
	s_wait_loadcnt_dscnt 0x801
	v_mul_f64_e32 v[153:154], v[137:138], v[8:9]
	v_mul_f64_e32 v[8:9], v[139:140], v[8:9]
	scratch_load_b128 v[38:41], off, off offset:704
	v_add_f64_e32 v[135:136], v[149:150], v[135:136]
	v_add_f64_e32 v[149:150], v[151:152], v[145:146]
	s_wait_loadcnt_dscnt 0x800
	v_mul_f64_e32 v[151:152], v[2:3], v[12:13]
	v_mul_f64_e32 v[12:13], v[4:5], v[12:13]
	ds_load_b128 v[145:148], v1 offset:1280
	v_fma_f64 v[139:140], v[139:140], v[6:7], v[153:154]
	v_fma_f64 v[6:7], v[137:138], v[6:7], -v[8:9]
	s_wait_loadcnt_dscnt 0x700
	v_mul_f64_e32 v[137:138], v[145:146], v[16:17]
	v_mul_f64_e32 v[16:17], v[147:148], v[16:17]
	v_add_f64_e32 v[8:9], v[135:136], v[157:158]
	v_add_f64_e32 v[135:136], v[149:150], v[155:156]
	v_fma_f64 v[149:150], v[4:5], v[10:11], v[151:152]
	v_fma_f64 v[10:11], v[2:3], v[10:11], -v[12:13]
	v_fma_f64 v[137:138], v[147:148], v[14:15], v[137:138]
	v_fma_f64 v[14:15], v[145:146], v[14:15], -v[16:17]
	v_add_f64_e32 v[12:13], v[8:9], v[6:7]
	v_add_f64_e32 v[135:136], v[135:136], v[139:140]
	ds_load_b128 v[2:5], v1 offset:1296
	ds_load_b128 v[6:9], v1 offset:1312
	s_wait_loadcnt_dscnt 0x601
	v_mul_f64_e32 v[139:140], v[2:3], v[20:21]
	v_mul_f64_e32 v[20:21], v[4:5], v[20:21]
	s_wait_loadcnt_dscnt 0x500
	v_mul_f64_e32 v[16:17], v[6:7], v[24:25]
	v_mul_f64_e32 v[24:25], v[8:9], v[24:25]
	v_add_f64_e32 v[10:11], v[12:13], v[10:11]
	v_add_f64_e32 v[12:13], v[135:136], v[149:150]
	v_fma_f64 v[135:136], v[4:5], v[18:19], v[139:140]
	v_fma_f64 v[18:19], v[2:3], v[18:19], -v[20:21]
	v_fma_f64 v[8:9], v[8:9], v[22:23], v[16:17]
	v_fma_f64 v[6:7], v[6:7], v[22:23], -v[24:25]
	v_add_f64_e32 v[14:15], v[10:11], v[14:15]
	v_add_f64_e32 v[20:21], v[12:13], v[137:138]
	ds_load_b128 v[2:5], v1 offset:1328
	ds_load_b128 v[10:13], v1 offset:1344
	s_wait_loadcnt_dscnt 0x401
	v_mul_f64_e32 v[137:138], v[2:3], v[28:29]
	v_mul_f64_e32 v[28:29], v[4:5], v[28:29]
	v_add_f64_e32 v[14:15], v[14:15], v[18:19]
	v_add_f64_e32 v[16:17], v[20:21], v[135:136]
	s_wait_loadcnt_dscnt 0x300
	v_mul_f64_e32 v[18:19], v[10:11], v[32:33]
	v_mul_f64_e32 v[20:21], v[12:13], v[32:33]
	v_fma_f64 v[22:23], v[4:5], v[26:27], v[137:138]
	v_fma_f64 v[24:25], v[2:3], v[26:27], -v[28:29]
	v_add_f64_e32 v[14:15], v[14:15], v[6:7]
	v_add_f64_e32 v[16:17], v[16:17], v[8:9]
	ds_load_b128 v[2:5], v1 offset:1360
	ds_load_b128 v[6:9], v1 offset:1376
	v_fma_f64 v[12:13], v[12:13], v[30:31], v[18:19]
	v_fma_f64 v[10:11], v[10:11], v[30:31], -v[20:21]
	s_wait_loadcnt_dscnt 0x201
	v_mul_f64_e32 v[26:27], v[2:3], v[36:37]
	v_mul_f64_e32 v[28:29], v[4:5], v[36:37]
	v_add_f64_e32 v[14:15], v[14:15], v[24:25]
	v_add_f64_e32 v[16:17], v[16:17], v[22:23]
	s_wait_loadcnt_dscnt 0x100
	v_mul_f64_e32 v[18:19], v[6:7], v[143:144]
	v_mul_f64_e32 v[20:21], v[8:9], v[143:144]
	v_fma_f64 v[22:23], v[4:5], v[34:35], v[26:27]
	v_fma_f64 v[24:25], v[2:3], v[34:35], -v[28:29]
	ds_load_b128 v[2:5], v1 offset:1392
	v_add_f64_e32 v[10:11], v[14:15], v[10:11]
	v_add_f64_e32 v[12:13], v[16:17], v[12:13]
	s_wait_loadcnt_dscnt 0x0
	v_mul_f64_e32 v[14:15], v[2:3], v[40:41]
	v_mul_f64_e32 v[16:17], v[4:5], v[40:41]
	v_fma_f64 v[8:9], v[8:9], v[141:142], v[18:19]
	v_fma_f64 v[6:7], v[6:7], v[141:142], -v[20:21]
	v_add_f64_e32 v[10:11], v[10:11], v[24:25]
	v_add_f64_e32 v[12:13], v[12:13], v[22:23]
	v_fma_f64 v[4:5], v[4:5], v[38:39], v[14:15]
	v_fma_f64 v[2:3], v[2:3], v[38:39], -v[16:17]
	s_delay_alu instid0(VALU_DEP_4) | instskip(NEXT) | instid1(VALU_DEP_4)
	v_add_f64_e32 v[6:7], v[10:11], v[6:7]
	v_add_f64_e32 v[8:9], v[12:13], v[8:9]
	s_delay_alu instid0(VALU_DEP_2) | instskip(NEXT) | instid1(VALU_DEP_2)
	v_add_f64_e32 v[2:3], v[6:7], v[2:3]
	v_add_f64_e32 v[4:5], v[8:9], v[4:5]
	s_delay_alu instid0(VALU_DEP_2) | instskip(NEXT) | instid1(VALU_DEP_2)
	v_add_f64_e64 v[2:3], v[42:43], -v[2:3]
	v_add_f64_e64 v[4:5], v[44:45], -v[4:5]
	scratch_store_b128 off, v[2:5], off offset:48
	v_cmpx_lt_u32_e32 1, v0
	s_cbranch_execz .LBB43_275
; %bb.274:
	scratch_load_b128 v[5:8], off, s39
	v_dual_mov_b32 v2, v1 :: v_dual_mov_b32 v3, v1
	v_mov_b32_e32 v4, v1
	scratch_store_b128 off, v[1:4], off offset:32
	s_wait_loadcnt 0x0
	ds_store_b128 v134, v[5:8]
.LBB43_275:
	s_wait_alu 0xfffe
	s_or_b32 exec_lo, exec_lo, s0
	s_wait_storecnt_dscnt 0x0
	s_barrier_signal -1
	s_barrier_wait -1
	global_inv scope:SCOPE_SE
	s_clause 0x8
	scratch_load_b128 v[2:5], off, off offset:48
	scratch_load_b128 v[6:9], off, off offset:64
	;; [unrolled: 1-line block ×9, first 2 shown]
	ds_load_b128 v[42:45], v1 offset:736
	ds_load_b128 v[38:41], v1 offset:752
	s_clause 0x1
	scratch_load_b128 v[135:138], off, off offset:32
	scratch_load_b128 v[139:142], off, off offset:192
	s_mov_b32 s0, exec_lo
	s_wait_loadcnt_dscnt 0xa01
	v_mul_f64_e32 v[143:144], v[44:45], v[4:5]
	v_mul_f64_e32 v[4:5], v[42:43], v[4:5]
	s_wait_loadcnt_dscnt 0x900
	v_mul_f64_e32 v[147:148], v[38:39], v[8:9]
	v_mul_f64_e32 v[8:9], v[40:41], v[8:9]
	s_delay_alu instid0(VALU_DEP_4) | instskip(NEXT) | instid1(VALU_DEP_4)
	v_fma_f64 v[149:150], v[42:43], v[2:3], -v[143:144]
	v_fma_f64 v[151:152], v[44:45], v[2:3], v[4:5]
	ds_load_b128 v[2:5], v1 offset:768
	ds_load_b128 v[143:146], v1 offset:784
	scratch_load_b128 v[42:45], off, off offset:208
	v_fma_f64 v[40:41], v[40:41], v[6:7], v[147:148]
	v_fma_f64 v[38:39], v[38:39], v[6:7], -v[8:9]
	scratch_load_b128 v[6:9], off, off offset:224
	s_wait_loadcnt_dscnt 0xa01
	v_mul_f64_e32 v[153:154], v[2:3], v[12:13]
	v_mul_f64_e32 v[12:13], v[4:5], v[12:13]
	v_add_f64_e32 v[147:148], 0, v[149:150]
	v_add_f64_e32 v[149:150], 0, v[151:152]
	s_wait_loadcnt_dscnt 0x900
	v_mul_f64_e32 v[151:152], v[143:144], v[16:17]
	v_mul_f64_e32 v[16:17], v[145:146], v[16:17]
	v_fma_f64 v[153:154], v[4:5], v[10:11], v[153:154]
	v_fma_f64 v[155:156], v[2:3], v[10:11], -v[12:13]
	ds_load_b128 v[2:5], v1 offset:800
	scratch_load_b128 v[10:13], off, off offset:240
	v_add_f64_e32 v[147:148], v[147:148], v[38:39]
	v_add_f64_e32 v[149:150], v[149:150], v[40:41]
	ds_load_b128 v[38:41], v1 offset:816
	v_fma_f64 v[145:146], v[145:146], v[14:15], v[151:152]
	v_fma_f64 v[143:144], v[143:144], v[14:15], -v[16:17]
	scratch_load_b128 v[14:17], off, off offset:256
	s_wait_loadcnt_dscnt 0xa01
	v_mul_f64_e32 v[157:158], v[2:3], v[20:21]
	v_mul_f64_e32 v[20:21], v[4:5], v[20:21]
	s_wait_loadcnt_dscnt 0x900
	v_mul_f64_e32 v[151:152], v[38:39], v[24:25]
	v_mul_f64_e32 v[24:25], v[40:41], v[24:25]
	v_add_f64_e32 v[147:148], v[147:148], v[155:156]
	v_add_f64_e32 v[149:150], v[149:150], v[153:154]
	v_fma_f64 v[153:154], v[4:5], v[18:19], v[157:158]
	v_fma_f64 v[155:156], v[2:3], v[18:19], -v[20:21]
	ds_load_b128 v[2:5], v1 offset:832
	scratch_load_b128 v[18:21], off, off offset:272
	v_fma_f64 v[40:41], v[40:41], v[22:23], v[151:152]
	v_fma_f64 v[38:39], v[38:39], v[22:23], -v[24:25]
	scratch_load_b128 v[22:25], off, off offset:288
	v_add_f64_e32 v[147:148], v[147:148], v[143:144]
	v_add_f64_e32 v[149:150], v[149:150], v[145:146]
	ds_load_b128 v[143:146], v1 offset:848
	s_wait_loadcnt_dscnt 0xa01
	v_mul_f64_e32 v[157:158], v[2:3], v[28:29]
	v_mul_f64_e32 v[28:29], v[4:5], v[28:29]
	s_wait_loadcnt_dscnt 0x900
	v_mul_f64_e32 v[151:152], v[143:144], v[32:33]
	v_mul_f64_e32 v[32:33], v[145:146], v[32:33]
	v_add_f64_e32 v[147:148], v[147:148], v[155:156]
	v_add_f64_e32 v[149:150], v[149:150], v[153:154]
	v_fma_f64 v[153:154], v[4:5], v[26:27], v[157:158]
	v_fma_f64 v[155:156], v[2:3], v[26:27], -v[28:29]
	ds_load_b128 v[2:5], v1 offset:864
	scratch_load_b128 v[26:29], off, off offset:304
	v_fma_f64 v[145:146], v[145:146], v[30:31], v[151:152]
	v_fma_f64 v[143:144], v[143:144], v[30:31], -v[32:33]
	scratch_load_b128 v[30:33], off, off offset:320
	v_add_f64_e32 v[147:148], v[147:148], v[38:39]
	v_add_f64_e32 v[149:150], v[149:150], v[40:41]
	ds_load_b128 v[38:41], v1 offset:880
	s_wait_loadcnt_dscnt 0xa01
	v_mul_f64_e32 v[157:158], v[2:3], v[36:37]
	v_mul_f64_e32 v[36:37], v[4:5], v[36:37]
	s_wait_loadcnt_dscnt 0x800
	v_mul_f64_e32 v[151:152], v[38:39], v[141:142]
	v_add_f64_e32 v[147:148], v[147:148], v[155:156]
	v_add_f64_e32 v[149:150], v[149:150], v[153:154]
	v_mul_f64_e32 v[153:154], v[40:41], v[141:142]
	v_fma_f64 v[155:156], v[4:5], v[34:35], v[157:158]
	v_fma_f64 v[157:158], v[2:3], v[34:35], -v[36:37]
	ds_load_b128 v[2:5], v1 offset:896
	scratch_load_b128 v[34:37], off, off offset:336
	v_fma_f64 v[151:152], v[40:41], v[139:140], v[151:152]
	v_add_f64_e32 v[147:148], v[147:148], v[143:144]
	v_add_f64_e32 v[145:146], v[149:150], v[145:146]
	ds_load_b128 v[141:144], v1 offset:912
	v_fma_f64 v[139:140], v[38:39], v[139:140], -v[153:154]
	scratch_load_b128 v[38:41], off, off offset:352
	s_wait_loadcnt_dscnt 0x901
	v_mul_f64_e32 v[149:150], v[2:3], v[44:45]
	v_mul_f64_e32 v[44:45], v[4:5], v[44:45]
	s_wait_loadcnt_dscnt 0x800
	v_mul_f64_e32 v[153:154], v[141:142], v[8:9]
	v_mul_f64_e32 v[8:9], v[143:144], v[8:9]
	v_add_f64_e32 v[147:148], v[147:148], v[157:158]
	v_add_f64_e32 v[145:146], v[145:146], v[155:156]
	v_fma_f64 v[149:150], v[4:5], v[42:43], v[149:150]
	v_fma_f64 v[155:156], v[2:3], v[42:43], -v[44:45]
	ds_load_b128 v[2:5], v1 offset:928
	scratch_load_b128 v[42:45], off, off offset:368
	v_fma_f64 v[143:144], v[143:144], v[6:7], v[153:154]
	v_fma_f64 v[141:142], v[141:142], v[6:7], -v[8:9]
	scratch_load_b128 v[6:9], off, off offset:384
	v_add_f64_e32 v[139:140], v[147:148], v[139:140]
	v_add_f64_e32 v[151:152], v[145:146], v[151:152]
	ds_load_b128 v[145:148], v1 offset:944
	s_wait_loadcnt_dscnt 0x901
	v_mul_f64_e32 v[157:158], v[2:3], v[12:13]
	v_mul_f64_e32 v[12:13], v[4:5], v[12:13]
	v_add_f64_e32 v[139:140], v[139:140], v[155:156]
	v_add_f64_e32 v[149:150], v[151:152], v[149:150]
	s_wait_loadcnt_dscnt 0x800
	v_mul_f64_e32 v[151:152], v[145:146], v[16:17]
	v_mul_f64_e32 v[16:17], v[147:148], v[16:17]
	v_fma_f64 v[153:154], v[4:5], v[10:11], v[157:158]
	v_fma_f64 v[155:156], v[2:3], v[10:11], -v[12:13]
	ds_load_b128 v[2:5], v1 offset:960
	scratch_load_b128 v[10:13], off, off offset:400
	v_add_f64_e32 v[157:158], v[139:140], v[141:142]
	v_add_f64_e32 v[143:144], v[149:150], v[143:144]
	ds_load_b128 v[139:142], v1 offset:976
	s_wait_loadcnt_dscnt 0x801
	v_mul_f64_e32 v[149:150], v[2:3], v[20:21]
	v_mul_f64_e32 v[20:21], v[4:5], v[20:21]
	v_fma_f64 v[147:148], v[147:148], v[14:15], v[151:152]
	v_fma_f64 v[145:146], v[145:146], v[14:15], -v[16:17]
	scratch_load_b128 v[14:17], off, off offset:416
	v_add_f64_e32 v[151:152], v[157:158], v[155:156]
	v_add_f64_e32 v[143:144], v[143:144], v[153:154]
	s_wait_loadcnt_dscnt 0x800
	v_mul_f64_e32 v[153:154], v[139:140], v[24:25]
	v_mul_f64_e32 v[24:25], v[141:142], v[24:25]
	v_fma_f64 v[149:150], v[4:5], v[18:19], v[149:150]
	v_fma_f64 v[155:156], v[2:3], v[18:19], -v[20:21]
	ds_load_b128 v[2:5], v1 offset:992
	scratch_load_b128 v[18:21], off, off offset:432
	v_add_f64_e32 v[151:152], v[151:152], v[145:146]
	v_add_f64_e32 v[147:148], v[143:144], v[147:148]
	ds_load_b128 v[143:146], v1 offset:1008
	s_wait_loadcnt_dscnt 0x801
	v_mul_f64_e32 v[157:158], v[2:3], v[28:29]
	v_mul_f64_e32 v[28:29], v[4:5], v[28:29]
	v_fma_f64 v[141:142], v[141:142], v[22:23], v[153:154]
	v_fma_f64 v[139:140], v[139:140], v[22:23], -v[24:25]
	scratch_load_b128 v[22:25], off, off offset:448
	;; [unrolled: 18-line block ×4, first 2 shown]
	s_wait_loadcnt_dscnt 0x800
	v_mul_f64_e32 v[151:152], v[143:144], v[8:9]
	v_mul_f64_e32 v[8:9], v[145:146], v[8:9]
	v_add_f64_e32 v[149:150], v[149:150], v[155:156]
	v_add_f64_e32 v[147:148], v[147:148], v[153:154]
	v_fma_f64 v[153:154], v[4:5], v[42:43], v[157:158]
	v_fma_f64 v[155:156], v[2:3], v[42:43], -v[44:45]
	ds_load_b128 v[2:5], v1 offset:1088
	scratch_load_b128 v[42:45], off, off offset:528
	v_fma_f64 v[145:146], v[145:146], v[6:7], v[151:152]
	v_fma_f64 v[143:144], v[143:144], v[6:7], -v[8:9]
	scratch_load_b128 v[6:9], off, off offset:544
	v_add_f64_e32 v[149:150], v[149:150], v[139:140]
	v_add_f64_e32 v[147:148], v[147:148], v[141:142]
	ds_load_b128 v[139:142], v1 offset:1104
	s_wait_loadcnt_dscnt 0x901
	v_mul_f64_e32 v[157:158], v[2:3], v[12:13]
	v_mul_f64_e32 v[12:13], v[4:5], v[12:13]
	s_wait_loadcnt_dscnt 0x800
	v_mul_f64_e32 v[151:152], v[139:140], v[16:17]
	v_mul_f64_e32 v[16:17], v[141:142], v[16:17]
	v_add_f64_e32 v[149:150], v[149:150], v[155:156]
	v_add_f64_e32 v[147:148], v[147:148], v[153:154]
	v_fma_f64 v[153:154], v[4:5], v[10:11], v[157:158]
	v_fma_f64 v[155:156], v[2:3], v[10:11], -v[12:13]
	ds_load_b128 v[2:5], v1 offset:1120
	scratch_load_b128 v[10:13], off, off offset:560
	v_fma_f64 v[141:142], v[141:142], v[14:15], v[151:152]
	v_fma_f64 v[139:140], v[139:140], v[14:15], -v[16:17]
	scratch_load_b128 v[14:17], off, off offset:576
	v_add_f64_e32 v[149:150], v[149:150], v[143:144]
	v_add_f64_e32 v[147:148], v[147:148], v[145:146]
	ds_load_b128 v[143:146], v1 offset:1136
	s_wait_loadcnt_dscnt 0x901
	v_mul_f64_e32 v[157:158], v[2:3], v[20:21]
	v_mul_f64_e32 v[20:21], v[4:5], v[20:21]
	;; [unrolled: 18-line block ×6, first 2 shown]
	s_wait_loadcnt_dscnt 0x800
	v_mul_f64_e32 v[151:152], v[143:144], v[16:17]
	v_mul_f64_e32 v[16:17], v[145:146], v[16:17]
	v_add_f64_e32 v[149:150], v[149:150], v[155:156]
	v_add_f64_e32 v[147:148], v[147:148], v[153:154]
	v_fma_f64 v[153:154], v[4:5], v[10:11], v[157:158]
	v_fma_f64 v[155:156], v[2:3], v[10:11], -v[12:13]
	ds_load_b128 v[2:5], v1 offset:1280
	ds_load_b128 v[10:13], v1 offset:1296
	v_fma_f64 v[145:146], v[145:146], v[14:15], v[151:152]
	v_fma_f64 v[14:15], v[143:144], v[14:15], -v[16:17]
	v_add_f64_e32 v[139:140], v[149:150], v[139:140]
	v_add_f64_e32 v[141:142], v[147:148], v[141:142]
	s_wait_loadcnt_dscnt 0x701
	v_mul_f64_e32 v[147:148], v[2:3], v[20:21]
	v_mul_f64_e32 v[20:21], v[4:5], v[20:21]
	s_delay_alu instid0(VALU_DEP_4) | instskip(NEXT) | instid1(VALU_DEP_4)
	v_add_f64_e32 v[16:17], v[139:140], v[155:156]
	v_add_f64_e32 v[139:140], v[141:142], v[153:154]
	s_wait_loadcnt_dscnt 0x600
	v_mul_f64_e32 v[141:142], v[10:11], v[24:25]
	v_mul_f64_e32 v[24:25], v[12:13], v[24:25]
	v_fma_f64 v[143:144], v[4:5], v[18:19], v[147:148]
	v_fma_f64 v[18:19], v[2:3], v[18:19], -v[20:21]
	v_add_f64_e32 v[20:21], v[16:17], v[14:15]
	v_add_f64_e32 v[139:140], v[139:140], v[145:146]
	ds_load_b128 v[2:5], v1 offset:1312
	ds_load_b128 v[14:17], v1 offset:1328
	v_fma_f64 v[12:13], v[12:13], v[22:23], v[141:142]
	v_fma_f64 v[10:11], v[10:11], v[22:23], -v[24:25]
	s_wait_loadcnt_dscnt 0x501
	v_mul_f64_e32 v[145:146], v[2:3], v[28:29]
	v_mul_f64_e32 v[28:29], v[4:5], v[28:29]
	s_wait_loadcnt_dscnt 0x400
	v_mul_f64_e32 v[22:23], v[14:15], v[32:33]
	v_mul_f64_e32 v[24:25], v[16:17], v[32:33]
	v_add_f64_e32 v[18:19], v[20:21], v[18:19]
	v_add_f64_e32 v[20:21], v[139:140], v[143:144]
	v_fma_f64 v[32:33], v[4:5], v[26:27], v[145:146]
	v_fma_f64 v[26:27], v[2:3], v[26:27], -v[28:29]
	v_fma_f64 v[16:17], v[16:17], v[30:31], v[22:23]
	v_fma_f64 v[14:15], v[14:15], v[30:31], -v[24:25]
	v_add_f64_e32 v[18:19], v[18:19], v[10:11]
	v_add_f64_e32 v[20:21], v[20:21], v[12:13]
	ds_load_b128 v[2:5], v1 offset:1344
	ds_load_b128 v[10:13], v1 offset:1360
	s_wait_loadcnt_dscnt 0x301
	v_mul_f64_e32 v[28:29], v[2:3], v[36:37]
	v_mul_f64_e32 v[36:37], v[4:5], v[36:37]
	s_wait_loadcnt_dscnt 0x200
	v_mul_f64_e32 v[22:23], v[10:11], v[40:41]
	v_mul_f64_e32 v[24:25], v[12:13], v[40:41]
	v_add_f64_e32 v[18:19], v[18:19], v[26:27]
	v_add_f64_e32 v[20:21], v[20:21], v[32:33]
	v_fma_f64 v[26:27], v[4:5], v[34:35], v[28:29]
	v_fma_f64 v[28:29], v[2:3], v[34:35], -v[36:37]
	v_fma_f64 v[12:13], v[12:13], v[38:39], v[22:23]
	v_fma_f64 v[10:11], v[10:11], v[38:39], -v[24:25]
	v_add_f64_e32 v[18:19], v[18:19], v[14:15]
	v_add_f64_e32 v[20:21], v[20:21], v[16:17]
	ds_load_b128 v[2:5], v1 offset:1376
	ds_load_b128 v[14:17], v1 offset:1392
	s_wait_loadcnt_dscnt 0x101
	v_mul_f64_e32 v[30:31], v[2:3], v[44:45]
	v_mul_f64_e32 v[32:33], v[4:5], v[44:45]
	s_wait_loadcnt_dscnt 0x0
	v_mul_f64_e32 v[22:23], v[14:15], v[8:9]
	v_mul_f64_e32 v[8:9], v[16:17], v[8:9]
	v_add_f64_e32 v[18:19], v[18:19], v[28:29]
	v_add_f64_e32 v[20:21], v[20:21], v[26:27]
	v_fma_f64 v[4:5], v[4:5], v[42:43], v[30:31]
	v_fma_f64 v[1:2], v[2:3], v[42:43], -v[32:33]
	v_fma_f64 v[16:17], v[16:17], v[6:7], v[22:23]
	v_fma_f64 v[6:7], v[14:15], v[6:7], -v[8:9]
	v_add_f64_e32 v[10:11], v[18:19], v[10:11]
	v_add_f64_e32 v[12:13], v[20:21], v[12:13]
	s_delay_alu instid0(VALU_DEP_2) | instskip(NEXT) | instid1(VALU_DEP_2)
	v_add_f64_e32 v[1:2], v[10:11], v[1:2]
	v_add_f64_e32 v[3:4], v[12:13], v[4:5]
	s_delay_alu instid0(VALU_DEP_2) | instskip(NEXT) | instid1(VALU_DEP_2)
	;; [unrolled: 3-line block ×3, first 2 shown]
	v_add_f64_e64 v[1:2], v[135:136], -v[1:2]
	v_add_f64_e64 v[3:4], v[137:138], -v[3:4]
	scratch_store_b128 off, v[1:4], off offset:32
	v_cmpx_ne_u32_e32 0, v0
	s_cbranch_execz .LBB43_277
; %bb.276:
	scratch_load_b128 v[0:3], off, off offset:16
	v_mov_b32_e32 v4, 0
	s_delay_alu instid0(VALU_DEP_1)
	v_dual_mov_b32 v5, v4 :: v_dual_mov_b32 v6, v4
	v_mov_b32_e32 v7, v4
	scratch_store_b128 off, v[4:7], off offset:16
	s_wait_loadcnt 0x0
	ds_store_b128 v134, v[0:3]
.LBB43_277:
	s_wait_alu 0xfffe
	s_or_b32 exec_lo, exec_lo, s0
	s_wait_storecnt_dscnt 0x0
	s_barrier_signal -1
	s_barrier_wait -1
	global_inv scope:SCOPE_SE
	s_clause 0x7
	scratch_load_b128 v[0:3], off, off offset:32
	scratch_load_b128 v[4:7], off, off offset:48
	;; [unrolled: 1-line block ×8, first 2 shown]
	v_mov_b32_e32 v40, 0
	s_and_b32 vcc_lo, exec_lo, s18
	ds_load_b128 v[36:39], v40 offset:720
	s_clause 0x1
	scratch_load_b128 v[32:35], off, off offset:160
	scratch_load_b128 v[41:44], off, off offset:16
	ds_load_b128 v[134:137], v40 offset:736
	scratch_load_b128 v[138:141], off, off offset:176
	s_wait_loadcnt_dscnt 0xa01
	v_mul_f64_e32 v[142:143], v[38:39], v[2:3]
	v_mul_f64_e32 v[2:3], v[36:37], v[2:3]
	s_delay_alu instid0(VALU_DEP_2) | instskip(NEXT) | instid1(VALU_DEP_2)
	v_fma_f64 v[148:149], v[36:37], v[0:1], -v[142:143]
	v_fma_f64 v[150:151], v[38:39], v[0:1], v[2:3]
	ds_load_b128 v[0:3], v40 offset:752
	s_wait_loadcnt_dscnt 0x901
	v_mul_f64_e32 v[146:147], v[134:135], v[6:7]
	v_mul_f64_e32 v[6:7], v[136:137], v[6:7]
	scratch_load_b128 v[36:39], off, off offset:192
	ds_load_b128 v[142:145], v40 offset:768
	s_wait_loadcnt_dscnt 0x901
	v_mul_f64_e32 v[152:153], v[0:1], v[10:11]
	v_mul_f64_e32 v[10:11], v[2:3], v[10:11]
	v_fma_f64 v[136:137], v[136:137], v[4:5], v[146:147]
	v_fma_f64 v[134:135], v[134:135], v[4:5], -v[6:7]
	v_add_f64_e32 v[146:147], 0, v[148:149]
	v_add_f64_e32 v[148:149], 0, v[150:151]
	scratch_load_b128 v[4:7], off, off offset:208
	v_fma_f64 v[152:153], v[2:3], v[8:9], v[152:153]
	v_fma_f64 v[154:155], v[0:1], v[8:9], -v[10:11]
	ds_load_b128 v[0:3], v40 offset:784
	s_wait_loadcnt_dscnt 0x901
	v_mul_f64_e32 v[150:151], v[142:143], v[14:15]
	v_mul_f64_e32 v[14:15], v[144:145], v[14:15]
	scratch_load_b128 v[8:11], off, off offset:224
	v_add_f64_e32 v[146:147], v[146:147], v[134:135]
	v_add_f64_e32 v[148:149], v[148:149], v[136:137]
	s_wait_loadcnt_dscnt 0x900
	v_mul_f64_e32 v[156:157], v[0:1], v[18:19]
	v_mul_f64_e32 v[18:19], v[2:3], v[18:19]
	ds_load_b128 v[134:137], v40 offset:800
	v_fma_f64 v[144:145], v[144:145], v[12:13], v[150:151]
	v_fma_f64 v[142:143], v[142:143], v[12:13], -v[14:15]
	scratch_load_b128 v[12:15], off, off offset:240
	v_add_f64_e32 v[146:147], v[146:147], v[154:155]
	v_add_f64_e32 v[148:149], v[148:149], v[152:153]
	v_fma_f64 v[152:153], v[2:3], v[16:17], v[156:157]
	v_fma_f64 v[154:155], v[0:1], v[16:17], -v[18:19]
	ds_load_b128 v[0:3], v40 offset:816
	s_wait_loadcnt_dscnt 0x901
	v_mul_f64_e32 v[150:151], v[134:135], v[22:23]
	v_mul_f64_e32 v[22:23], v[136:137], v[22:23]
	scratch_load_b128 v[16:19], off, off offset:256
	s_wait_loadcnt_dscnt 0x900
	v_mul_f64_e32 v[156:157], v[0:1], v[26:27]
	v_mul_f64_e32 v[26:27], v[2:3], v[26:27]
	v_add_f64_e32 v[146:147], v[146:147], v[142:143]
	v_add_f64_e32 v[148:149], v[148:149], v[144:145]
	ds_load_b128 v[142:145], v40 offset:832
	v_fma_f64 v[136:137], v[136:137], v[20:21], v[150:151]
	v_fma_f64 v[134:135], v[134:135], v[20:21], -v[22:23]
	scratch_load_b128 v[20:23], off, off offset:272
	v_add_f64_e32 v[146:147], v[146:147], v[154:155]
	v_add_f64_e32 v[148:149], v[148:149], v[152:153]
	v_fma_f64 v[152:153], v[2:3], v[24:25], v[156:157]
	v_fma_f64 v[154:155], v[0:1], v[24:25], -v[26:27]
	ds_load_b128 v[0:3], v40 offset:848
	s_wait_loadcnt_dscnt 0x901
	v_mul_f64_e32 v[150:151], v[142:143], v[30:31]
	v_mul_f64_e32 v[30:31], v[144:145], v[30:31]
	scratch_load_b128 v[24:27], off, off offset:288
	s_wait_loadcnt_dscnt 0x900
	v_mul_f64_e32 v[156:157], v[0:1], v[34:35]
	v_mul_f64_e32 v[34:35], v[2:3], v[34:35]
	v_add_f64_e32 v[146:147], v[146:147], v[134:135]
	v_add_f64_e32 v[148:149], v[148:149], v[136:137]
	ds_load_b128 v[134:137], v40 offset:864
	v_fma_f64 v[144:145], v[144:145], v[28:29], v[150:151]
	v_fma_f64 v[142:143], v[142:143], v[28:29], -v[30:31]
	scratch_load_b128 v[28:31], off, off offset:304
	v_add_f64_e32 v[146:147], v[146:147], v[154:155]
	v_add_f64_e32 v[148:149], v[148:149], v[152:153]
	v_fma_f64 v[154:155], v[2:3], v[32:33], v[156:157]
	v_fma_f64 v[156:157], v[0:1], v[32:33], -v[34:35]
	ds_load_b128 v[0:3], v40 offset:880
	s_wait_loadcnt_dscnt 0x801
	v_mul_f64_e32 v[150:151], v[134:135], v[140:141]
	v_mul_f64_e32 v[152:153], v[136:137], v[140:141]
	scratch_load_b128 v[32:35], off, off offset:320
	v_add_f64_e32 v[146:147], v[146:147], v[142:143]
	v_add_f64_e32 v[144:145], v[148:149], v[144:145]
	ds_load_b128 v[140:143], v40 offset:896
	v_fma_f64 v[150:151], v[136:137], v[138:139], v[150:151]
	v_fma_f64 v[138:139], v[134:135], v[138:139], -v[152:153]
	scratch_load_b128 v[134:137], off, off offset:336
	s_wait_loadcnt_dscnt 0x901
	v_mul_f64_e32 v[148:149], v[0:1], v[38:39]
	v_mul_f64_e32 v[38:39], v[2:3], v[38:39]
	v_add_f64_e32 v[146:147], v[146:147], v[156:157]
	v_add_f64_e32 v[144:145], v[144:145], v[154:155]
	s_delay_alu instid0(VALU_DEP_4) | instskip(NEXT) | instid1(VALU_DEP_4)
	v_fma_f64 v[148:149], v[2:3], v[36:37], v[148:149]
	v_fma_f64 v[154:155], v[0:1], v[36:37], -v[38:39]
	ds_load_b128 v[0:3], v40 offset:912
	s_wait_loadcnt_dscnt 0x801
	v_mul_f64_e32 v[152:153], v[140:141], v[6:7]
	v_mul_f64_e32 v[6:7], v[142:143], v[6:7]
	scratch_load_b128 v[36:39], off, off offset:352
	s_wait_loadcnt_dscnt 0x800
	v_mul_f64_e32 v[156:157], v[0:1], v[10:11]
	v_add_f64_e32 v[138:139], v[146:147], v[138:139]
	v_add_f64_e32 v[150:151], v[144:145], v[150:151]
	v_mul_f64_e32 v[10:11], v[2:3], v[10:11]
	ds_load_b128 v[144:147], v40 offset:928
	v_fma_f64 v[142:143], v[142:143], v[4:5], v[152:153]
	v_fma_f64 v[140:141], v[140:141], v[4:5], -v[6:7]
	scratch_load_b128 v[4:7], off, off offset:368
	v_fma_f64 v[152:153], v[2:3], v[8:9], v[156:157]
	v_add_f64_e32 v[138:139], v[138:139], v[154:155]
	v_add_f64_e32 v[148:149], v[150:151], v[148:149]
	v_fma_f64 v[154:155], v[0:1], v[8:9], -v[10:11]
	ds_load_b128 v[0:3], v40 offset:944
	s_wait_loadcnt_dscnt 0x801
	v_mul_f64_e32 v[150:151], v[144:145], v[14:15]
	v_mul_f64_e32 v[14:15], v[146:147], v[14:15]
	scratch_load_b128 v[8:11], off, off offset:384
	v_add_f64_e32 v[156:157], v[138:139], v[140:141]
	v_add_f64_e32 v[142:143], v[148:149], v[142:143]
	s_wait_loadcnt_dscnt 0x800
	v_mul_f64_e32 v[148:149], v[0:1], v[18:19]
	v_mul_f64_e32 v[18:19], v[2:3], v[18:19]
	v_fma_f64 v[146:147], v[146:147], v[12:13], v[150:151]
	v_fma_f64 v[144:145], v[144:145], v[12:13], -v[14:15]
	ds_load_b128 v[138:141], v40 offset:960
	scratch_load_b128 v[12:15], off, off offset:400
	v_add_f64_e32 v[150:151], v[156:157], v[154:155]
	v_add_f64_e32 v[142:143], v[142:143], v[152:153]
	v_fma_f64 v[148:149], v[2:3], v[16:17], v[148:149]
	v_fma_f64 v[154:155], v[0:1], v[16:17], -v[18:19]
	ds_load_b128 v[0:3], v40 offset:976
	s_wait_loadcnt_dscnt 0x801
	v_mul_f64_e32 v[152:153], v[138:139], v[22:23]
	v_mul_f64_e32 v[22:23], v[140:141], v[22:23]
	scratch_load_b128 v[16:19], off, off offset:416
	s_wait_loadcnt_dscnt 0x800
	v_mul_f64_e32 v[156:157], v[0:1], v[26:27]
	v_mul_f64_e32 v[26:27], v[2:3], v[26:27]
	v_add_f64_e32 v[150:151], v[150:151], v[144:145]
	v_add_f64_e32 v[146:147], v[142:143], v[146:147]
	ds_load_b128 v[142:145], v40 offset:992
	v_fma_f64 v[140:141], v[140:141], v[20:21], v[152:153]
	v_fma_f64 v[138:139], v[138:139], v[20:21], -v[22:23]
	scratch_load_b128 v[20:23], off, off offset:432
	v_fma_f64 v[152:153], v[2:3], v[24:25], v[156:157]
	v_add_f64_e32 v[150:151], v[150:151], v[154:155]
	v_add_f64_e32 v[146:147], v[146:147], v[148:149]
	v_fma_f64 v[154:155], v[0:1], v[24:25], -v[26:27]
	ds_load_b128 v[0:3], v40 offset:1008
	s_wait_loadcnt_dscnt 0x801
	v_mul_f64_e32 v[148:149], v[142:143], v[30:31]
	v_mul_f64_e32 v[30:31], v[144:145], v[30:31]
	scratch_load_b128 v[24:27], off, off offset:448
	s_wait_loadcnt_dscnt 0x800
	v_mul_f64_e32 v[156:157], v[0:1], v[34:35]
	v_mul_f64_e32 v[34:35], v[2:3], v[34:35]
	v_add_f64_e32 v[150:151], v[150:151], v[138:139]
	v_add_f64_e32 v[146:147], v[146:147], v[140:141]
	ds_load_b128 v[138:141], v40 offset:1024
	v_fma_f64 v[144:145], v[144:145], v[28:29], v[148:149]
	v_fma_f64 v[142:143], v[142:143], v[28:29], -v[30:31]
	scratch_load_b128 v[28:31], off, off offset:464
	v_add_f64_e32 v[148:149], v[150:151], v[154:155]
	v_add_f64_e32 v[146:147], v[146:147], v[152:153]
	v_fma_f64 v[152:153], v[2:3], v[32:33], v[156:157]
	v_fma_f64 v[154:155], v[0:1], v[32:33], -v[34:35]
	ds_load_b128 v[0:3], v40 offset:1040
	s_wait_loadcnt_dscnt 0x801
	v_mul_f64_e32 v[150:151], v[138:139], v[136:137]
	v_mul_f64_e32 v[136:137], v[140:141], v[136:137]
	scratch_load_b128 v[32:35], off, off offset:480
	s_wait_loadcnt_dscnt 0x800
	v_mul_f64_e32 v[156:157], v[0:1], v[38:39]
	v_mul_f64_e32 v[38:39], v[2:3], v[38:39]
	v_add_f64_e32 v[148:149], v[148:149], v[142:143]
	v_add_f64_e32 v[146:147], v[146:147], v[144:145]
	ds_load_b128 v[142:145], v40 offset:1056
	v_fma_f64 v[140:141], v[140:141], v[134:135], v[150:151]
	v_fma_f64 v[138:139], v[138:139], v[134:135], -v[136:137]
	scratch_load_b128 v[134:137], off, off offset:496
	v_add_f64_e32 v[148:149], v[148:149], v[154:155]
	v_add_f64_e32 v[146:147], v[146:147], v[152:153]
	v_fma_f64 v[152:153], v[2:3], v[36:37], v[156:157]
	;; [unrolled: 18-line block ×6, first 2 shown]
	v_fma_f64 v[156:157], v[0:1], v[32:33], -v[34:35]
	ds_load_b128 v[0:3], v40 offset:1200
	s_wait_loadcnt_dscnt 0x801
	v_mul_f64_e32 v[150:151], v[142:143], v[136:137]
	v_mul_f64_e32 v[152:153], v[144:145], v[136:137]
	scratch_load_b128 v[32:35], off, off offset:640
	v_add_f64_e32 v[148:149], v[148:149], v[138:139]
	v_add_f64_e32 v[140:141], v[146:147], v[140:141]
	s_wait_loadcnt_dscnt 0x800
	v_mul_f64_e32 v[146:147], v[0:1], v[38:39]
	v_mul_f64_e32 v[38:39], v[2:3], v[38:39]
	ds_load_b128 v[136:139], v40 offset:1216
	v_fma_f64 v[144:145], v[144:145], v[134:135], v[150:151]
	v_fma_f64 v[134:135], v[142:143], v[134:135], -v[152:153]
	v_add_f64_e32 v[148:149], v[148:149], v[156:157]
	v_add_f64_e32 v[150:151], v[140:141], v[154:155]
	scratch_load_b128 v[140:143], off, off offset:656
	v_fma_f64 v[154:155], v[2:3], v[36:37], v[146:147]
	v_fma_f64 v[156:157], v[0:1], v[36:37], -v[38:39]
	ds_load_b128 v[0:3], v40 offset:1232
	s_wait_loadcnt_dscnt 0x801
	v_mul_f64_e32 v[152:153], v[136:137], v[6:7]
	v_mul_f64_e32 v[6:7], v[138:139], v[6:7]
	scratch_load_b128 v[36:39], off, off offset:672
	v_add_f64_e32 v[134:135], v[148:149], v[134:135]
	v_add_f64_e32 v[148:149], v[150:151], v[144:145]
	s_wait_loadcnt_dscnt 0x800
	v_mul_f64_e32 v[150:151], v[0:1], v[10:11]
	v_mul_f64_e32 v[10:11], v[2:3], v[10:11]
	ds_load_b128 v[144:147], v40 offset:1248
	v_fma_f64 v[138:139], v[138:139], v[4:5], v[152:153]
	v_fma_f64 v[136:137], v[136:137], v[4:5], -v[6:7]
	scratch_load_b128 v[4:7], off, off offset:688
	v_add_f64_e32 v[134:135], v[134:135], v[156:157]
	v_add_f64_e32 v[148:149], v[148:149], v[154:155]
	v_fma_f64 v[150:151], v[2:3], v[8:9], v[150:151]
	v_fma_f64 v[154:155], v[0:1], v[8:9], -v[10:11]
	ds_load_b128 v[0:3], v40 offset:1264
	s_wait_loadcnt_dscnt 0x801
	v_mul_f64_e32 v[152:153], v[144:145], v[14:15]
	v_mul_f64_e32 v[14:15], v[146:147], v[14:15]
	scratch_load_b128 v[8:11], off, off offset:704
	v_add_f64_e32 v[156:157], v[134:135], v[136:137]
	v_add_f64_e32 v[138:139], v[148:149], v[138:139]
	s_wait_loadcnt_dscnt 0x800
	v_mul_f64_e32 v[148:149], v[0:1], v[18:19]
	v_mul_f64_e32 v[18:19], v[2:3], v[18:19]
	ds_load_b128 v[134:137], v40 offset:1280
	v_fma_f64 v[146:147], v[146:147], v[12:13], v[152:153]
	v_fma_f64 v[12:13], v[144:145], v[12:13], -v[14:15]
	s_wait_loadcnt_dscnt 0x700
	v_mul_f64_e32 v[144:145], v[134:135], v[22:23]
	v_mul_f64_e32 v[22:23], v[136:137], v[22:23]
	v_add_f64_e32 v[14:15], v[156:157], v[154:155]
	v_add_f64_e32 v[138:139], v[138:139], v[150:151]
	v_fma_f64 v[148:149], v[2:3], v[16:17], v[148:149]
	v_fma_f64 v[16:17], v[0:1], v[16:17], -v[18:19]
	v_fma_f64 v[136:137], v[136:137], v[20:21], v[144:145]
	v_fma_f64 v[20:21], v[134:135], v[20:21], -v[22:23]
	v_add_f64_e32 v[18:19], v[14:15], v[12:13]
	v_add_f64_e32 v[138:139], v[138:139], v[146:147]
	ds_load_b128 v[0:3], v40 offset:1296
	ds_load_b128 v[12:15], v40 offset:1312
	s_wait_loadcnt_dscnt 0x601
	v_mul_f64_e32 v[146:147], v[0:1], v[26:27]
	v_mul_f64_e32 v[26:27], v[2:3], v[26:27]
	s_wait_loadcnt_dscnt 0x500
	v_mul_f64_e32 v[22:23], v[12:13], v[30:31]
	v_mul_f64_e32 v[30:31], v[14:15], v[30:31]
	v_add_f64_e32 v[16:17], v[18:19], v[16:17]
	v_add_f64_e32 v[18:19], v[138:139], v[148:149]
	v_fma_f64 v[134:135], v[2:3], v[24:25], v[146:147]
	v_fma_f64 v[24:25], v[0:1], v[24:25], -v[26:27]
	v_fma_f64 v[14:15], v[14:15], v[28:29], v[22:23]
	v_fma_f64 v[12:13], v[12:13], v[28:29], -v[30:31]
	v_add_f64_e32 v[20:21], v[16:17], v[20:21]
	v_add_f64_e32 v[26:27], v[18:19], v[136:137]
	ds_load_b128 v[0:3], v40 offset:1328
	ds_load_b128 v[16:19], v40 offset:1344
	s_wait_loadcnt_dscnt 0x401
	v_mul_f64_e32 v[136:137], v[0:1], v[34:35]
	v_mul_f64_e32 v[34:35], v[2:3], v[34:35]
	v_add_f64_e32 v[20:21], v[20:21], v[24:25]
	v_add_f64_e32 v[22:23], v[26:27], v[134:135]
	s_wait_loadcnt_dscnt 0x300
	v_mul_f64_e32 v[24:25], v[16:17], v[142:143]
	v_mul_f64_e32 v[26:27], v[18:19], v[142:143]
	v_fma_f64 v[28:29], v[2:3], v[32:33], v[136:137]
	v_fma_f64 v[30:31], v[0:1], v[32:33], -v[34:35]
	v_add_f64_e32 v[20:21], v[20:21], v[12:13]
	v_add_f64_e32 v[22:23], v[22:23], v[14:15]
	ds_load_b128 v[0:3], v40 offset:1360
	ds_load_b128 v[12:15], v40 offset:1376
	v_fma_f64 v[18:19], v[18:19], v[140:141], v[24:25]
	v_fma_f64 v[16:17], v[16:17], v[140:141], -v[26:27]
	s_wait_loadcnt_dscnt 0x201
	v_mul_f64_e32 v[32:33], v[0:1], v[38:39]
	v_mul_f64_e32 v[34:35], v[2:3], v[38:39]
	s_wait_loadcnt_dscnt 0x100
	v_mul_f64_e32 v[24:25], v[12:13], v[6:7]
	v_mul_f64_e32 v[6:7], v[14:15], v[6:7]
	v_add_f64_e32 v[20:21], v[20:21], v[30:31]
	v_add_f64_e32 v[22:23], v[22:23], v[28:29]
	v_fma_f64 v[26:27], v[2:3], v[36:37], v[32:33]
	v_fma_f64 v[28:29], v[0:1], v[36:37], -v[34:35]
	ds_load_b128 v[0:3], v40 offset:1392
	v_fma_f64 v[14:15], v[14:15], v[4:5], v[24:25]
	v_fma_f64 v[4:5], v[12:13], v[4:5], -v[6:7]
	v_add_f64_e32 v[16:17], v[20:21], v[16:17]
	v_add_f64_e32 v[18:19], v[22:23], v[18:19]
	s_wait_loadcnt_dscnt 0x0
	v_mul_f64_e32 v[20:21], v[0:1], v[10:11]
	v_mul_f64_e32 v[10:11], v[2:3], v[10:11]
	s_delay_alu instid0(VALU_DEP_4) | instskip(NEXT) | instid1(VALU_DEP_4)
	v_add_f64_e32 v[6:7], v[16:17], v[28:29]
	v_add_f64_e32 v[12:13], v[18:19], v[26:27]
	s_delay_alu instid0(VALU_DEP_4) | instskip(NEXT) | instid1(VALU_DEP_4)
	v_fma_f64 v[2:3], v[2:3], v[8:9], v[20:21]
	v_fma_f64 v[0:1], v[0:1], v[8:9], -v[10:11]
	s_delay_alu instid0(VALU_DEP_4) | instskip(NEXT) | instid1(VALU_DEP_4)
	v_add_f64_e32 v[4:5], v[6:7], v[4:5]
	v_add_f64_e32 v[6:7], v[12:13], v[14:15]
	s_delay_alu instid0(VALU_DEP_2) | instskip(NEXT) | instid1(VALU_DEP_2)
	v_add_f64_e32 v[0:1], v[4:5], v[0:1]
	v_add_f64_e32 v[2:3], v[6:7], v[2:3]
	s_delay_alu instid0(VALU_DEP_2) | instskip(NEXT) | instid1(VALU_DEP_2)
	v_add_f64_e64 v[0:1], v[41:42], -v[0:1]
	v_add_f64_e64 v[2:3], v[43:44], -v[2:3]
	scratch_store_b128 off, v[0:3], off offset:16
	s_wait_alu 0xfffe
	s_cbranch_vccz .LBB43_364
; %bb.278:
	global_load_b32 v0, v40, s[2:3] offset:168
	s_wait_loadcnt 0x0
	v_cmp_ne_u32_e32 vcc_lo, 43, v0
	s_cbranch_vccz .LBB43_280
; %bb.279:
	v_lshlrev_b32_e32 v0, 4, v0
	s_delay_alu instid0(VALU_DEP_1)
	v_add_nc_u32_e32 v8, 16, v0
	s_clause 0x1
	scratch_load_b128 v[0:3], v8, off offset:-16
	scratch_load_b128 v[4:7], off, s30
	s_wait_loadcnt 0x1
	scratch_store_b128 off, v[0:3], s30
	s_wait_loadcnt 0x0
	scratch_store_b128 v8, v[4:7], off offset:-16
.LBB43_280:
	v_mov_b32_e32 v0, 0
	global_load_b32 v1, v0, s[2:3] offset:164
	s_wait_loadcnt 0x0
	v_cmp_eq_u32_e32 vcc_lo, 42, v1
	s_cbranch_vccnz .LBB43_282
; %bb.281:
	v_lshlrev_b32_e32 v1, 4, v1
	s_delay_alu instid0(VALU_DEP_1)
	v_add_nc_u32_e32 v9, 16, v1
	s_clause 0x1
	scratch_load_b128 v[1:4], v9, off offset:-16
	scratch_load_b128 v[5:8], off, s29
	s_wait_loadcnt 0x1
	scratch_store_b128 off, v[1:4], s29
	s_wait_loadcnt 0x0
	scratch_store_b128 v9, v[5:8], off offset:-16
.LBB43_282:
	global_load_b32 v0, v0, s[2:3] offset:160
	s_wait_loadcnt 0x0
	v_cmp_eq_u32_e32 vcc_lo, 41, v0
	s_cbranch_vccnz .LBB43_284
; %bb.283:
	v_lshlrev_b32_e32 v0, 4, v0
	s_delay_alu instid0(VALU_DEP_1)
	v_add_nc_u32_e32 v8, 16, v0
	s_clause 0x1
	scratch_load_b128 v[0:3], v8, off offset:-16
	scratch_load_b128 v[4:7], off, s33
	s_wait_loadcnt 0x1
	scratch_store_b128 off, v[0:3], s33
	s_wait_loadcnt 0x0
	scratch_store_b128 v8, v[4:7], off offset:-16
.LBB43_284:
	v_mov_b32_e32 v0, 0
	global_load_b32 v1, v0, s[2:3] offset:156
	s_wait_loadcnt 0x0
	v_cmp_eq_u32_e32 vcc_lo, 40, v1
	s_cbranch_vccnz .LBB43_286
; %bb.285:
	v_lshlrev_b32_e32 v1, 4, v1
	s_delay_alu instid0(VALU_DEP_1)
	v_add_nc_u32_e32 v9, 16, v1
	s_clause 0x1
	scratch_load_b128 v[1:4], v9, off offset:-16
	scratch_load_b128 v[5:8], off, s31
	s_wait_loadcnt 0x1
	scratch_store_b128 off, v[1:4], s31
	s_wait_loadcnt 0x0
	scratch_store_b128 v9, v[5:8], off offset:-16
.LBB43_286:
	global_load_b32 v0, v0, s[2:3] offset:152
	s_wait_loadcnt 0x0
	v_cmp_eq_u32_e32 vcc_lo, 39, v0
	s_cbranch_vccnz .LBB43_288
; %bb.287:
	v_lshlrev_b32_e32 v0, 4, v0
	s_delay_alu instid0(VALU_DEP_1)
	v_add_nc_u32_e32 v8, 16, v0
	s_clause 0x1
	scratch_load_b128 v[0:3], v8, off offset:-16
	scratch_load_b128 v[4:7], off, s35
	s_wait_loadcnt 0x1
	scratch_store_b128 off, v[0:3], s35
	s_wait_loadcnt 0x0
	scratch_store_b128 v8, v[4:7], off offset:-16
.LBB43_288:
	;; [unrolled: 33-line block ×20, first 2 shown]
	v_mov_b32_e32 v0, 0
	global_load_b32 v1, v0, s[2:3] offset:4
	s_wait_loadcnt 0x0
	v_cmp_eq_u32_e32 vcc_lo, 2, v1
	s_cbranch_vccnz .LBB43_362
; %bb.361:
	v_lshlrev_b32_e32 v1, 4, v1
	s_delay_alu instid0(VALU_DEP_1)
	v_add_nc_u32_e32 v9, 16, v1
	s_clause 0x1
	scratch_load_b128 v[1:4], v9, off offset:-16
	scratch_load_b128 v[5:8], off, s39
	s_wait_loadcnt 0x1
	scratch_store_b128 off, v[1:4], s39
	s_wait_loadcnt 0x0
	scratch_store_b128 v9, v[5:8], off offset:-16
.LBB43_362:
	global_load_b32 v0, v0, s[2:3]
	s_wait_loadcnt 0x0
	v_cmp_eq_u32_e32 vcc_lo, 1, v0
	s_cbranch_vccnz .LBB43_364
; %bb.363:
	v_lshlrev_b32_e32 v0, 4, v0
	s_delay_alu instid0(VALU_DEP_1)
	v_add_nc_u32_e32 v8, 16, v0
	scratch_load_b128 v[0:3], v8, off offset:-16
	scratch_load_b128 v[4:7], off, off offset:16
	s_wait_loadcnt 0x1
	scratch_store_b128 off, v[0:3], off offset:16
	s_wait_loadcnt 0x0
	scratch_store_b128 v8, v[4:7], off offset:-16
.LBB43_364:
	scratch_load_b128 v[0:3], off, off offset:16
	s_clause 0x10
	scratch_load_b128 v[4:7], off, s39
	scratch_load_b128 v[8:11], off, s38
	;; [unrolled: 1-line block ×17, first 2 shown]
	s_wait_loadcnt 0x11
	global_store_b128 v[46:47], v[0:3], off
	s_clause 0x1
	scratch_load_b128 v[0:3], off, s27
	scratch_load_b128 v[44:47], off, s28
	s_wait_loadcnt 0x12
	global_store_b128 v[48:49], v[4:7], off
	s_clause 0x1
	scratch_load_b128 v[4:7], off, s25
	scratch_load_b128 v[162:165], off, s26
	s_wait_loadcnt 0x13
	global_store_b128 v[50:51], v[8:11], off
	s_wait_loadcnt 0x12
	global_store_b128 v[52:53], v[12:15], off
	s_clause 0x1
	scratch_load_b128 v[8:11], off, s23
	scratch_load_b128 v[12:15], off, s24
	s_wait_loadcnt 0x13
	global_store_b128 v[54:55], v[16:19], off
	s_clause 0x1
	scratch_load_b128 v[16:19], off, s21
	scratch_load_b128 v[48:51], off, s22
	s_wait_loadcnt 0x14
	global_store_b128 v[56:57], v[20:23], off
	s_clause 0x1
	scratch_load_b128 v[20:23], off, s19
	scratch_load_b128 v[52:55], off, s20
	s_wait_loadcnt 0x15
	global_store_b128 v[58:59], v[24:27], off
	s_wait_loadcnt 0x14
	global_store_b128 v[60:61], v[28:31], off
	s_clause 0x1
	scratch_load_b128 v[24:27], off, s14
	scratch_load_b128 v[28:31], off, s15
	;; [unrolled: 17-line block ×4, first 2 shown]
	s_wait_loadcnt 0x19
	global_store_b128 v[78:79], v[154:157], off
	s_clause 0x1
	scratch_load_b128 v[76:79], off, s29
	scratch_load_b128 v[150:153], off, s30
	s_wait_loadcnt 0x19
	global_store_b128 v[80:81], v[0:3], off
	s_wait_loadcnt 0x18
	global_store_b128 v[82:83], v[44:47], off
	;; [unrolled: 2-line block ×25, first 2 shown]
	s_wait_loadcnt 0x0
	s_clause 0x1
	global_store_b128 v[130:131], v[150:153], off
	global_store_b128 v[132:133], v[158:161], off
	s_nop 0
	s_sendmsg sendmsg(MSG_DEALLOC_VGPRS)
	s_endpgm
	.section	.rodata,"a",@progbits
	.p2align	6, 0x0
	.amdhsa_kernel _ZN9rocsolver6v33100L18getri_kernel_smallILi44E19rocblas_complex_numIdEPS3_EEvT1_iilPiilS6_bb
		.amdhsa_group_segment_fixed_size 1416
		.amdhsa_private_segment_fixed_size 736
		.amdhsa_kernarg_size 60
		.amdhsa_user_sgpr_count 2
		.amdhsa_user_sgpr_dispatch_ptr 0
		.amdhsa_user_sgpr_queue_ptr 0
		.amdhsa_user_sgpr_kernarg_segment_ptr 1
		.amdhsa_user_sgpr_dispatch_id 0
		.amdhsa_user_sgpr_private_segment_size 0
		.amdhsa_wavefront_size32 1
		.amdhsa_uses_dynamic_stack 0
		.amdhsa_enable_private_segment 1
		.amdhsa_system_sgpr_workgroup_id_x 1
		.amdhsa_system_sgpr_workgroup_id_y 0
		.amdhsa_system_sgpr_workgroup_id_z 0
		.amdhsa_system_sgpr_workgroup_info 0
		.amdhsa_system_vgpr_workitem_id 0
		.amdhsa_next_free_vgpr 176
		.amdhsa_next_free_sgpr 68
		.amdhsa_reserve_vcc 1
		.amdhsa_float_round_mode_32 0
		.amdhsa_float_round_mode_16_64 0
		.amdhsa_float_denorm_mode_32 3
		.amdhsa_float_denorm_mode_16_64 3
		.amdhsa_fp16_overflow 0
		.amdhsa_workgroup_processor_mode 1
		.amdhsa_memory_ordered 1
		.amdhsa_forward_progress 1
		.amdhsa_inst_pref_size 255
		.amdhsa_round_robin_scheduling 0
		.amdhsa_exception_fp_ieee_invalid_op 0
		.amdhsa_exception_fp_denorm_src 0
		.amdhsa_exception_fp_ieee_div_zero 0
		.amdhsa_exception_fp_ieee_overflow 0
		.amdhsa_exception_fp_ieee_underflow 0
		.amdhsa_exception_fp_ieee_inexact 0
		.amdhsa_exception_int_div_zero 0
	.end_amdhsa_kernel
	.section	.text._ZN9rocsolver6v33100L18getri_kernel_smallILi44E19rocblas_complex_numIdEPS3_EEvT1_iilPiilS6_bb,"axG",@progbits,_ZN9rocsolver6v33100L18getri_kernel_smallILi44E19rocblas_complex_numIdEPS3_EEvT1_iilPiilS6_bb,comdat
.Lfunc_end43:
	.size	_ZN9rocsolver6v33100L18getri_kernel_smallILi44E19rocblas_complex_numIdEPS3_EEvT1_iilPiilS6_bb, .Lfunc_end43-_ZN9rocsolver6v33100L18getri_kernel_smallILi44E19rocblas_complex_numIdEPS3_EEvT1_iilPiilS6_bb
                                        ; -- End function
	.set _ZN9rocsolver6v33100L18getri_kernel_smallILi44E19rocblas_complex_numIdEPS3_EEvT1_iilPiilS6_bb.num_vgpr, 176
	.set _ZN9rocsolver6v33100L18getri_kernel_smallILi44E19rocblas_complex_numIdEPS3_EEvT1_iilPiilS6_bb.num_agpr, 0
	.set _ZN9rocsolver6v33100L18getri_kernel_smallILi44E19rocblas_complex_numIdEPS3_EEvT1_iilPiilS6_bb.numbered_sgpr, 68
	.set _ZN9rocsolver6v33100L18getri_kernel_smallILi44E19rocblas_complex_numIdEPS3_EEvT1_iilPiilS6_bb.num_named_barrier, 0
	.set _ZN9rocsolver6v33100L18getri_kernel_smallILi44E19rocblas_complex_numIdEPS3_EEvT1_iilPiilS6_bb.private_seg_size, 736
	.set _ZN9rocsolver6v33100L18getri_kernel_smallILi44E19rocblas_complex_numIdEPS3_EEvT1_iilPiilS6_bb.uses_vcc, 1
	.set _ZN9rocsolver6v33100L18getri_kernel_smallILi44E19rocblas_complex_numIdEPS3_EEvT1_iilPiilS6_bb.uses_flat_scratch, 1
	.set _ZN9rocsolver6v33100L18getri_kernel_smallILi44E19rocblas_complex_numIdEPS3_EEvT1_iilPiilS6_bb.has_dyn_sized_stack, 0
	.set _ZN9rocsolver6v33100L18getri_kernel_smallILi44E19rocblas_complex_numIdEPS3_EEvT1_iilPiilS6_bb.has_recursion, 0
	.set _ZN9rocsolver6v33100L18getri_kernel_smallILi44E19rocblas_complex_numIdEPS3_EEvT1_iilPiilS6_bb.has_indirect_call, 0
	.section	.AMDGPU.csdata,"",@progbits
; Kernel info:
; codeLenInByte = 82548
; TotalNumSgprs: 70
; NumVgprs: 176
; ScratchSize: 736
; MemoryBound: 0
; FloatMode: 240
; IeeeMode: 1
; LDSByteSize: 1416 bytes/workgroup (compile time only)
; SGPRBlocks: 0
; VGPRBlocks: 21
; NumSGPRsForWavesPerEU: 70
; NumVGPRsForWavesPerEU: 176
; Occupancy: 8
; WaveLimiterHint : 1
; COMPUTE_PGM_RSRC2:SCRATCH_EN: 1
; COMPUTE_PGM_RSRC2:USER_SGPR: 2
; COMPUTE_PGM_RSRC2:TRAP_HANDLER: 0
; COMPUTE_PGM_RSRC2:TGID_X_EN: 1
; COMPUTE_PGM_RSRC2:TGID_Y_EN: 0
; COMPUTE_PGM_RSRC2:TGID_Z_EN: 0
; COMPUTE_PGM_RSRC2:TIDIG_COMP_CNT: 0
	.section	.text._ZN9rocsolver6v33100L18getri_kernel_smallILi45E19rocblas_complex_numIdEPS3_EEvT1_iilPiilS6_bb,"axG",@progbits,_ZN9rocsolver6v33100L18getri_kernel_smallILi45E19rocblas_complex_numIdEPS3_EEvT1_iilPiilS6_bb,comdat
	.globl	_ZN9rocsolver6v33100L18getri_kernel_smallILi45E19rocblas_complex_numIdEPS3_EEvT1_iilPiilS6_bb ; -- Begin function _ZN9rocsolver6v33100L18getri_kernel_smallILi45E19rocblas_complex_numIdEPS3_EEvT1_iilPiilS6_bb
	.p2align	8
	.type	_ZN9rocsolver6v33100L18getri_kernel_smallILi45E19rocblas_complex_numIdEPS3_EEvT1_iilPiilS6_bb,@function
_ZN9rocsolver6v33100L18getri_kernel_smallILi45E19rocblas_complex_numIdEPS3_EEvT1_iilPiilS6_bb: ; @_ZN9rocsolver6v33100L18getri_kernel_smallILi45E19rocblas_complex_numIdEPS3_EEvT1_iilPiilS6_bb
; %bb.0:
	s_mov_b32 s2, exec_lo
	v_cmpx_gt_u32_e32 45, v0
	s_cbranch_execz .LBB44_194
; %bb.1:
	s_clause 0x2
	s_load_b32 s2, s[0:1], 0x38
	s_load_b128 s[12:15], s[0:1], 0x10
	s_load_b128 s[4:7], s[0:1], 0x28
	s_mov_b32 s16, ttmp9
	s_wait_kmcnt 0x0
	s_bitcmp1_b32 s2, 8
	s_cselect_b32 s18, -1, 0
	s_bfe_u32 s2, s2, 0x10008
	s_ashr_i32 s17, ttmp9, 31
	s_cmp_eq_u32 s2, 0
                                        ; implicit-def: $sgpr2_sgpr3
	s_cbranch_scc1 .LBB44_3
; %bb.2:
	s_load_b32 s2, s[0:1], 0x20
	s_mul_u64 s[4:5], s[4:5], s[16:17]
	s_delay_alu instid0(SALU_CYCLE_1) | instskip(NEXT) | instid1(SALU_CYCLE_1)
	s_lshl_b64 s[4:5], s[4:5], 2
	s_add_nc_u64 s[4:5], s[14:15], s[4:5]
	s_wait_kmcnt 0x0
	s_ashr_i32 s3, s2, 31
	s_delay_alu instid0(SALU_CYCLE_1) | instskip(NEXT) | instid1(SALU_CYCLE_1)
	s_lshl_b64 s[2:3], s[2:3], 2
	s_add_nc_u64 s[2:3], s[4:5], s[2:3]
.LBB44_3:
	s_clause 0x1
	s_load_b128 s[8:11], s[0:1], 0x0
	s_load_b32 s54, s[0:1], 0x38
	s_mul_u64 s[0:1], s[12:13], s[16:17]
	v_lshlrev_b32_e32 v13, 4, v0
	s_lshl_b64 s[0:1], s[0:1], 4
	s_movk_i32 s12, 0xd0
	s_movk_i32 s13, 0xe0
	;; [unrolled: 1-line block ×15, first 2 shown]
	s_wait_kmcnt 0x0
	v_add3_u32 v5, s11, s11, v0
	s_ashr_i32 s5, s10, 31
	s_mov_b32 s4, s10
	s_add_nc_u64 s[0:1], s[8:9], s[0:1]
	s_lshl_b64 s[4:5], s[4:5], 4
	v_add_nc_u32_e32 v7, s11, v5
	v_ashrrev_i32_e32 v6, 31, v5
	s_add_nc_u64 s[0:1], s[0:1], s[4:5]
	s_ashr_i32 s9, s11, 31
	v_add_co_u32 v46, s4, s0, v13
	v_add_nc_u32_e32 v9, s11, v7
	s_mov_b32 s8, s11
	v_ashrrev_i32_e32 v8, 31, v7
	v_lshlrev_b64_e32 v[5:6], 4, v[5:6]
	v_add_co_ci_u32_e64 v47, null, s1, 0, s4
	s_lshl_b64 s[8:9], s[8:9], 4
	v_ashrrev_i32_e32 v10, 31, v9
	v_add_nc_u32_e32 v11, s11, v9
	v_add_co_u32 v48, vcc_lo, v46, s8
	v_lshlrev_b64_e32 v[7:8], 4, v[7:8]
	v_add_co_ci_u32_e64 v49, null, s9, v47, vcc_lo
	v_add_co_u32 v50, vcc_lo, s0, v5
	s_wait_alu 0xfffd
	v_add_co_ci_u32_e64 v51, null, s1, v6, vcc_lo
	v_lshlrev_b64_e32 v[5:6], 4, v[9:10]
	v_ashrrev_i32_e32 v12, 31, v11
	v_add_nc_u32_e32 v9, s11, v11
	v_add_co_u32 v52, vcc_lo, s0, v7
	s_wait_alu 0xfffd
	v_add_co_ci_u32_e64 v53, null, s1, v8, vcc_lo
	v_lshlrev_b64_e32 v[7:8], 4, v[11:12]
	v_add_nc_u32_e32 v11, s11, v9
	v_ashrrev_i32_e32 v10, 31, v9
	v_add_co_u32 v54, vcc_lo, s0, v5
	s_wait_alu 0xfffd
	v_add_co_ci_u32_e64 v55, null, s1, v6, vcc_lo
	v_add_nc_u32_e32 v38, s11, v11
	v_ashrrev_i32_e32 v12, 31, v11
	v_lshlrev_b64_e32 v[5:6], 4, v[9:10]
	v_add_co_u32 v56, vcc_lo, s0, v7
	s_delay_alu instid0(VALU_DEP_4) | instskip(NEXT) | instid1(VALU_DEP_4)
	v_ashrrev_i32_e32 v39, 31, v38
	v_lshlrev_b64_e32 v[14:15], 4, v[11:12]
	s_wait_alu 0xfffd
	v_add_co_ci_u32_e64 v57, null, s1, v8, vcc_lo
	v_add_co_u32 v58, vcc_lo, s0, v5
	v_lshlrev_b64_e32 v[34:35], 4, v[38:39]
	s_wait_alu 0xfffd
	v_add_co_ci_u32_e64 v59, null, s1, v6, vcc_lo
	v_add_co_u32 v60, vcc_lo, s0, v14
	s_wait_alu 0xfffd
	v_add_co_ci_u32_e64 v61, null, s1, v15, vcc_lo
	v_add_co_u32 v62, vcc_lo, s0, v34
	global_load_b128 v[1:4], v13, s[0:1]
	s_wait_alu 0xfffd
	v_add_co_ci_u32_e64 v63, null, s1, v35, vcc_lo
	s_clause 0x7
	global_load_b128 v[5:8], v[48:49], off
	global_load_b128 v[9:12], v[50:51], off
	;; [unrolled: 1-line block ×8, first 2 shown]
	v_add_nc_u32_e32 v38, s11, v38
	s_movk_i32 s4, 0x70
	s_movk_i32 s5, 0x80
	;; [unrolled: 1-line block ×4, first 2 shown]
	v_add_nc_u32_e32 v40, s11, v38
	v_ashrrev_i32_e32 v39, 31, v38
	s_movk_i32 s10, 0xb0
	s_movk_i32 s57, 0x1c0
	;; [unrolled: 1-line block ×3, first 2 shown]
	v_add_nc_u32_e32 v42, s11, v40
	v_lshlrev_b64_e32 v[38:39], 4, v[38:39]
	v_ashrrev_i32_e32 v41, 31, v40
	s_movk_i32 s59, 0x1e0
	s_movk_i32 s60, 0x1f0
	v_add_nc_u32_e32 v44, s11, v42
	v_ashrrev_i32_e32 v43, 31, v42
	v_lshlrev_b64_e32 v[40:41], 4, v[40:41]
	v_add_co_u32 v64, vcc_lo, s0, v38
	s_delay_alu instid0(VALU_DEP_4)
	v_add_nc_u32_e32 v70, s11, v44
	v_ashrrev_i32_e32 v45, 31, v44
	s_wait_alu 0xfffd
	v_add_co_ci_u32_e64 v65, null, s1, v39, vcc_lo
	v_lshlrev_b64_e32 v[38:39], 4, v[42:43]
	v_add_nc_u32_e32 v74, s11, v70
	v_ashrrev_i32_e32 v71, 31, v70
	v_lshlrev_b64_e32 v[72:73], 4, v[44:45]
	v_add_co_u32 v66, vcc_lo, s0, v40
	s_delay_alu instid0(VALU_DEP_4) | instskip(NEXT) | instid1(VALU_DEP_4)
	v_add_nc_u32_e32 v78, s11, v74
	v_lshlrev_b64_e32 v[76:77], 4, v[70:71]
	s_wait_alu 0xfffd
	v_add_co_ci_u32_e64 v67, null, s1, v41, vcc_lo
	v_add_co_u32 v68, vcc_lo, s0, v38
	v_ashrrev_i32_e32 v79, 31, v78
	v_add_nc_u32_e32 v80, s11, v78
	s_wait_alu 0xfffd
	v_add_co_ci_u32_e64 v69, null, s1, v39, vcc_lo
	v_add_co_u32 v70, vcc_lo, s0, v72
	s_wait_alu 0xfffd
	v_add_co_ci_u32_e64 v71, null, s1, v73, vcc_lo
	v_add_co_u32 v72, vcc_lo, s0, v76
	s_wait_alu 0xfffd
	v_add_co_ci_u32_e64 v73, null, s1, v77, vcc_lo
	v_lshlrev_b64_e32 v[76:77], 4, v[78:79]
	v_add_nc_u32_e32 v78, s11, v80
	v_ashrrev_i32_e32 v75, 31, v74
	v_ashrrev_i32_e32 v81, 31, v80
	s_clause 0x3
	global_load_b128 v[38:41], v[64:65], off
	global_load_b128 v[42:45], v[66:67], off
	;; [unrolled: 1-line block ×4, first 2 shown]
	v_add_nc_u32_e32 v82, s11, v78
	v_lshlrev_b64_e32 v[74:75], 4, v[74:75]
	v_ashrrev_i32_e32 v79, 31, v78
	v_lshlrev_b64_e32 v[80:81], 4, v[80:81]
	s_movk_i32 s61, 0x200
	v_add_nc_u32_e32 v86, s11, v82
	v_ashrrev_i32_e32 v83, 31, v82
	v_add_co_u32 v74, vcc_lo, s0, v74
	v_lshlrev_b64_e32 v[84:85], 4, v[78:79]
	s_wait_alu 0xfffd
	v_add_co_ci_u32_e64 v75, null, s1, v75, vcc_lo
	v_add_co_u32 v76, vcc_lo, s0, v76
	v_ashrrev_i32_e32 v87, 31, v86
	v_add_nc_u32_e32 v88, s11, v86
	s_wait_alu 0xfffd
	v_add_co_ci_u32_e64 v77, null, s1, v77, vcc_lo
	v_add_co_u32 v78, vcc_lo, s0, v80
	s_wait_alu 0xfffd
	v_add_co_ci_u32_e64 v79, null, s1, v81, vcc_lo
	v_add_co_u32 v80, vcc_lo, s0, v84
	s_wait_alu 0xfffd
	v_add_co_ci_u32_e64 v81, null, s1, v85, vcc_lo
	v_lshlrev_b64_e32 v[84:85], 4, v[86:87]
	v_add_nc_u32_e32 v86, s11, v88
	v_ashrrev_i32_e32 v89, 31, v88
	v_lshlrev_b64_e32 v[82:83], 4, v[82:83]
	s_clause 0x3
	global_load_b128 v[144:147], v[72:73], off
	global_load_b128 v[148:151], v[74:75], off
	;; [unrolled: 1-line block ×4, first 2 shown]
	v_add_nc_u32_e32 v90, s11, v86
	v_ashrrev_i32_e32 v87, 31, v86
	v_lshlrev_b64_e32 v[88:89], 4, v[88:89]
	v_add_co_u32 v82, vcc_lo, s0, v82
	s_delay_alu instid0(VALU_DEP_4) | instskip(NEXT) | instid1(VALU_DEP_4)
	v_add_nc_u32_e32 v94, s11, v90
	v_lshlrev_b64_e32 v[92:93], 4, v[86:87]
	s_wait_alu 0xfffd
	v_add_co_ci_u32_e64 v83, null, s1, v83, vcc_lo
	v_add_co_u32 v84, vcc_lo, s0, v84
	v_ashrrev_i32_e32 v95, 31, v94
	v_add_nc_u32_e32 v96, s11, v94
	s_wait_alu 0xfffd
	v_add_co_ci_u32_e64 v85, null, s1, v85, vcc_lo
	v_add_co_u32 v86, vcc_lo, s0, v88
	s_wait_alu 0xfffd
	v_add_co_ci_u32_e64 v87, null, s1, v89, vcc_lo
	v_add_co_u32 v88, vcc_lo, s0, v92
	s_wait_alu 0xfffd
	v_add_co_ci_u32_e64 v89, null, s1, v93, vcc_lo
	v_lshlrev_b64_e32 v[92:93], 4, v[94:95]
	v_add_nc_u32_e32 v94, s11, v96
	v_ashrrev_i32_e32 v91, 31, v90
	v_ashrrev_i32_e32 v97, 31, v96
	s_movk_i32 s62, 0x210
	s_movk_i32 s63, 0x220
	v_add_nc_u32_e32 v98, s11, v94
	v_lshlrev_b64_e32 v[90:91], 4, v[90:91]
	v_ashrrev_i32_e32 v95, 31, v94
	v_lshlrev_b64_e32 v[96:97], 4, v[96:97]
	s_movk_i32 s64, 0x230
	v_add_nc_u32_e32 v102, s11, v98
	v_ashrrev_i32_e32 v99, 31, v98
	v_add_co_u32 v90, vcc_lo, s0, v90
	v_lshlrev_b64_e32 v[100:101], 4, v[94:95]
	s_wait_alu 0xfffd
	v_add_co_ci_u32_e64 v91, null, s1, v91, vcc_lo
	v_add_co_u32 v92, vcc_lo, s0, v92
	v_ashrrev_i32_e32 v103, 31, v102
	v_add_nc_u32_e32 v104, s11, v102
	s_wait_alu 0xfffd
	v_add_co_ci_u32_e64 v93, null, s1, v93, vcc_lo
	v_add_co_u32 v94, vcc_lo, s0, v96
	s_wait_alu 0xfffd
	v_add_co_ci_u32_e64 v95, null, s1, v97, vcc_lo
	v_add_co_u32 v96, vcc_lo, s0, v100
	s_wait_alu 0xfffd
	v_add_co_ci_u32_e64 v97, null, s1, v101, vcc_lo
	v_lshlrev_b64_e32 v[100:101], 4, v[102:103]
	v_add_nc_u32_e32 v102, s11, v104
	v_ashrrev_i32_e32 v105, 31, v104
	v_lshlrev_b64_e32 v[98:99], 4, v[98:99]
	s_movk_i32 s65, 0x240
	s_movk_i32 s66, 0x250
	v_add_nc_u32_e32 v106, s11, v102
	v_ashrrev_i32_e32 v103, 31, v102
	v_lshlrev_b64_e32 v[104:105], 4, v[104:105]
	v_add_co_u32 v98, vcc_lo, s0, v98
	s_delay_alu instid0(VALU_DEP_4) | instskip(NEXT) | instid1(VALU_DEP_4)
	v_add_nc_u32_e32 v110, s11, v106
	v_lshlrev_b64_e32 v[108:109], 4, v[102:103]
	s_wait_alu 0xfffd
	v_add_co_ci_u32_e64 v99, null, s1, v99, vcc_lo
	v_add_co_u32 v100, vcc_lo, s0, v100
	v_ashrrev_i32_e32 v111, 31, v110
	v_add_nc_u32_e32 v112, s11, v110
	s_wait_alu 0xfffd
	v_add_co_ci_u32_e64 v101, null, s1, v101, vcc_lo
	v_add_co_u32 v102, vcc_lo, s0, v104
	s_wait_alu 0xfffd
	v_add_co_ci_u32_e64 v103, null, s1, v105, vcc_lo
	v_add_co_u32 v104, vcc_lo, s0, v108
	s_wait_alu 0xfffd
	v_add_co_ci_u32_e64 v105, null, s1, v109, vcc_lo
	v_lshlrev_b64_e32 v[108:109], 4, v[110:111]
	v_add_nc_u32_e32 v110, s11, v112
	v_ashrrev_i32_e32 v107, 31, v106
	v_ashrrev_i32_e32 v113, 31, v112
	s_movk_i32 s67, 0x260
	s_movk_i32 s68, 0x270
	v_add_nc_u32_e32 v114, s11, v110
	v_lshlrev_b64_e32 v[106:107], 4, v[106:107]
	v_ashrrev_i32_e32 v111, 31, v110
	v_lshlrev_b64_e32 v[112:113], 4, v[112:113]
	s_movk_i32 s69, 0x280
	v_add_nc_u32_e32 v118, s11, v114
	v_ashrrev_i32_e32 v115, 31, v114
	v_add_co_u32 v106, vcc_lo, s0, v106
	v_lshlrev_b64_e32 v[116:117], 4, v[110:111]
	s_wait_alu 0xfffd
	v_add_co_ci_u32_e64 v107, null, s1, v107, vcc_lo
	v_add_co_u32 v108, vcc_lo, s0, v108
	v_ashrrev_i32_e32 v119, 31, v118
	v_add_nc_u32_e32 v120, s11, v118
	s_wait_alu 0xfffd
	v_add_co_ci_u32_e64 v109, null, s1, v109, vcc_lo
	v_add_co_u32 v110, vcc_lo, s0, v112
	s_wait_alu 0xfffd
	v_add_co_ci_u32_e64 v111, null, s1, v113, vcc_lo
	v_add_co_u32 v112, vcc_lo, s0, v116
	s_wait_alu 0xfffd
	v_add_co_ci_u32_e64 v113, null, s1, v117, vcc_lo
	v_lshlrev_b64_e32 v[116:117], 4, v[118:119]
	v_add_nc_u32_e32 v118, s11, v120
	v_ashrrev_i32_e32 v121, 31, v120
	v_lshlrev_b64_e32 v[114:115], 4, v[114:115]
	s_movk_i32 s70, 0x290
	s_movk_i32 s71, 0x2a0
	v_add_nc_u32_e32 v122, s11, v118
	v_ashrrev_i32_e32 v119, 31, v118
	v_lshlrev_b64_e32 v[120:121], 4, v[120:121]
	v_add_co_u32 v114, vcc_lo, s0, v114
	s_delay_alu instid0(VALU_DEP_4) | instskip(NEXT) | instid1(VALU_DEP_4)
	v_add_nc_u32_e32 v126, s11, v122
	v_lshlrev_b64_e32 v[124:125], 4, v[118:119]
	s_wait_alu 0xfffd
	v_add_co_ci_u32_e64 v115, null, s1, v115, vcc_lo
	v_add_co_u32 v116, vcc_lo, s0, v116
	v_add_nc_u32_e32 v128, s11, v126
	v_ashrrev_i32_e32 v127, 31, v126
	s_wait_alu 0xfffd
	v_add_co_ci_u32_e64 v117, null, s1, v117, vcc_lo
	v_add_co_u32 v118, vcc_lo, s0, v120
	s_wait_alu 0xfffd
	v_add_co_ci_u32_e64 v119, null, s1, v121, vcc_lo
	v_add_co_u32 v120, vcc_lo, s0, v124
	s_wait_alu 0xfffd
	v_add_co_ci_u32_e64 v121, null, s1, v125, vcc_lo
	v_lshlrev_b64_e32 v[124:125], 4, v[126:127]
	v_add_nc_u32_e32 v126, s11, v128
	v_ashrrev_i32_e32 v123, 31, v122
	v_ashrrev_i32_e32 v129, 31, v128
	s_movk_i32 s72, 0x2b0
	s_movk_i32 s73, 0x2c0
	v_add_nc_u32_e32 v130, s11, v126
	v_lshlrev_b64_e32 v[122:123], 4, v[122:123]
	v_ashrrev_i32_e32 v127, 31, v126
	v_lshlrev_b64_e32 v[128:129], 4, v[128:129]
	s_wait_alu 0xfffe
	s_add_co_i32 s51, s4, 16
	v_add_nc_u32_e32 v134, s11, v130
	v_ashrrev_i32_e32 v131, 31, v130
	v_add_co_u32 v122, vcc_lo, s0, v122
	v_lshlrev_b64_e32 v[132:133], 4, v[126:127]
	s_delay_alu instid0(VALU_DEP_4)
	v_add_nc_u32_e32 v160, s11, v134
	s_wait_alu 0xfffd
	v_add_co_ci_u32_e64 v123, null, s1, v123, vcc_lo
	v_add_co_u32 v124, vcc_lo, s0, v124
	v_ashrrev_i32_e32 v135, 31, v134
	v_ashrrev_i32_e32 v161, 31, v160
	s_wait_alu 0xfffd
	v_add_co_ci_u32_e64 v125, null, s1, v125, vcc_lo
	v_add_co_u32 v126, vcc_lo, s0, v128
	s_wait_alu 0xfffd
	v_add_co_ci_u32_e64 v127, null, s1, v129, vcc_lo
	v_add_co_u32 v128, vcc_lo, s0, v132
	s_wait_alu 0xfffd
	v_add_co_ci_u32_e64 v129, null, s1, v133, vcc_lo
	v_lshlrev_b64_e32 v[132:133], 4, v[134:135]
	v_lshlrev_b64_e32 v[134:135], 4, v[160:161]
	;; [unrolled: 1-line block ×3, first 2 shown]
	s_movk_i32 s11, 0xc0
	s_add_co_i32 s50, s5, 16
	s_add_co_i32 s49, s8, 16
	;; [unrolled: 1-line block ×4, first 2 shown]
	v_add_co_u32 v130, vcc_lo, s0, v130
	s_wait_alu 0xfffd
	v_add_co_ci_u32_e64 v131, null, s1, v131, vcc_lo
	v_add_co_u32 v132, vcc_lo, s0, v132
	s_wait_alu 0xfffd
	v_add_co_ci_u32_e64 v133, null, s1, v133, vcc_lo
	;; [unrolled: 3-line block ×3, first 2 shown]
	s_movk_i32 s0, 0x50
	s_movk_i32 s1, 0x60
	s_wait_alu 0xfffe
	s_add_co_i32 s53, s0, 16
	s_add_co_i32 s52, s1, 16
	;; [unrolled: 1-line block ×27, first 2 shown]
	s_wait_loadcnt 0x10
	scratch_store_b128 off, v[1:4], off offset:16
	s_clause 0x1
	global_load_b128 v[1:4], v[80:81], off
	global_load_b128 v[160:163], v[82:83], off
	s_wait_loadcnt 0x11
	scratch_store_b128 off, v[5:8], off offset:32
	s_wait_loadcnt 0x10
	scratch_store_b128 off, v[9:12], off offset:48
	s_clause 0x1
	global_load_b128 v[5:8], v[84:85], off
	global_load_b128 v[9:12], v[86:87], off
	s_wait_loadcnt 0x11
	scratch_store_b128 off, v[14:17], off offset:64
	;; [unrolled: 7-line block ×8, first 2 shown]
	s_wait_loadcnt 0x10
	scratch_store_b128 off, v[156:159], off offset:272
	s_clause 0x1
	global_load_b128 v[152:155], v[112:113], off
	global_load_b128 v[156:159], v[114:115], off
	s_add_co_i32 s10, s66, 16
	s_add_co_i32 s9, s67, 16
	;; [unrolled: 1-line block ×8, first 2 shown]
	s_mov_b32 s25, 32
	s_mov_b32 s22, 48
	;; [unrolled: 1-line block ×3, first 2 shown]
	s_movk_i32 s15, 0x50
	s_bitcmp0_b32 s54, 0
	s_mov_b32 s1, -1
	s_wait_loadcnt 0x11
	scratch_store_b128 off, v[1:4], off offset:288
	s_wait_loadcnt 0x10
	scratch_store_b128 off, v[160:163], off offset:304
	s_clause 0x1
	global_load_b128 v[1:4], v[116:117], off
	global_load_b128 v[160:163], v[118:119], off
	s_wait_loadcnt 0x11
	scratch_store_b128 off, v[5:8], off offset:320
	s_wait_loadcnt 0x10
	scratch_store_b128 off, v[9:12], off offset:336
	s_clause 0x1
	global_load_b128 v[5:8], v[120:121], off
	global_load_b128 v[9:12], v[122:123], off
	;; [unrolled: 7-line block ×5, first 2 shown]
	s_wait_loadcnt 0x11
	scratch_store_b128 off, v[38:41], off offset:448
	s_wait_loadcnt 0x10
	scratch_store_b128 off, v[42:45], off offset:464
	;; [unrolled: 2-line block ×18, first 2 shown]
	s_cbranch_scc1 .LBB44_192
; %bb.4:
	v_cmp_eq_u32_e64 s0, 0, v0
	s_and_saveexec_b32 s1, s0
; %bb.5:
	v_mov_b32_e32 v1, 0
	ds_store_b32 v1, v1 offset:1440
; %bb.6:
	s_wait_alu 0xfffe
	s_or_b32 exec_lo, exec_lo, s1
	s_wait_storecnt_dscnt 0x0
	s_barrier_signal -1
	s_barrier_wait -1
	global_inv scope:SCOPE_SE
	scratch_load_b128 v[1:4], v13, off offset:16
	s_wait_loadcnt 0x0
	v_cmp_eq_f64_e32 vcc_lo, 0, v[1:2]
	v_cmp_eq_f64_e64 s1, 0, v[3:4]
	s_and_b32 s1, vcc_lo, s1
	s_wait_alu 0xfffe
	s_and_saveexec_b32 s54, s1
	s_cbranch_execz .LBB44_10
; %bb.7:
	v_mov_b32_e32 v1, 0
	s_mov_b32 s55, 0
	ds_load_b32 v2, v1 offset:1440
	s_wait_dscnt 0x0
	v_readfirstlane_b32 s1, v2
	v_add_nc_u32_e32 v2, 1, v0
	s_cmp_eq_u32 s1, 0
	s_delay_alu instid0(VALU_DEP_1) | instskip(SKIP_1) | instid1(SALU_CYCLE_1)
	v_cmp_gt_i32_e32 vcc_lo, s1, v2
	s_cselect_b32 s56, -1, 0
	s_or_b32 s56, s56, vcc_lo
	s_delay_alu instid0(SALU_CYCLE_1)
	s_and_b32 exec_lo, exec_lo, s56
	s_cbranch_execz .LBB44_10
; %bb.8:
	v_mov_b32_e32 v3, s1
.LBB44_9:                               ; =>This Inner Loop Header: Depth=1
	ds_cmpstore_rtn_b32 v3, v1, v2, v3 offset:1440
	s_wait_dscnt 0x0
	v_cmp_ne_u32_e32 vcc_lo, 0, v3
	v_cmp_le_i32_e64 s1, v3, v2
	s_and_b32 s1, vcc_lo, s1
	s_wait_alu 0xfffe
	s_and_b32 s1, exec_lo, s1
	s_wait_alu 0xfffe
	s_or_b32 s55, s1, s55
	s_delay_alu instid0(SALU_CYCLE_1)
	s_and_not1_b32 exec_lo, exec_lo, s55
	s_cbranch_execnz .LBB44_9
.LBB44_10:
	s_or_b32 exec_lo, exec_lo, s54
	v_mov_b32_e32 v1, 0
	s_barrier_signal -1
	s_barrier_wait -1
	global_inv scope:SCOPE_SE
	ds_load_b32 v2, v1 offset:1440
	s_and_saveexec_b32 s1, s0
	s_cbranch_execz .LBB44_12
; %bb.11:
	s_lshl_b64 s[54:55], s[16:17], 2
	s_delay_alu instid0(SALU_CYCLE_1)
	s_add_nc_u64 s[54:55], s[6:7], s[54:55]
	s_wait_dscnt 0x0
	global_store_b32 v1, v2, s[54:55]
.LBB44_12:
	s_wait_alu 0xfffe
	s_or_b32 exec_lo, exec_lo, s1
	s_wait_dscnt 0x0
	v_cmp_ne_u32_e32 vcc_lo, 0, v2
	s_mov_b32 s1, 0
	s_cbranch_vccnz .LBB44_192
; %bb.13:
	v_add_nc_u32_e32 v14, 16, v13
                                        ; implicit-def: $vgpr1_vgpr2
                                        ; implicit-def: $vgpr9_vgpr10
	scratch_load_b128 v[5:8], v14, off
	s_wait_loadcnt 0x0
	v_cmp_ngt_f64_e64 s1, |v[5:6]|, |v[7:8]|
	s_wait_alu 0xfffe
	s_and_saveexec_b32 s54, s1
	s_delay_alu instid0(SALU_CYCLE_1)
	s_xor_b32 s1, exec_lo, s54
	s_cbranch_execz .LBB44_15
; %bb.14:
	v_div_scale_f64 v[1:2], null, v[7:8], v[7:8], v[5:6]
	v_div_scale_f64 v[11:12], vcc_lo, v[5:6], v[7:8], v[5:6]
	s_delay_alu instid0(VALU_DEP_2) | instskip(NEXT) | instid1(TRANS32_DEP_1)
	v_rcp_f64_e32 v[3:4], v[1:2]
	v_fma_f64 v[9:10], -v[1:2], v[3:4], 1.0
	s_delay_alu instid0(VALU_DEP_1) | instskip(NEXT) | instid1(VALU_DEP_1)
	v_fma_f64 v[3:4], v[3:4], v[9:10], v[3:4]
	v_fma_f64 v[9:10], -v[1:2], v[3:4], 1.0
	s_delay_alu instid0(VALU_DEP_1) | instskip(NEXT) | instid1(VALU_DEP_1)
	v_fma_f64 v[3:4], v[3:4], v[9:10], v[3:4]
	v_mul_f64_e32 v[9:10], v[11:12], v[3:4]
	s_delay_alu instid0(VALU_DEP_1) | instskip(SKIP_1) | instid1(VALU_DEP_1)
	v_fma_f64 v[1:2], -v[1:2], v[9:10], v[11:12]
	s_wait_alu 0xfffd
	v_div_fmas_f64 v[1:2], v[1:2], v[3:4], v[9:10]
	s_delay_alu instid0(VALU_DEP_1) | instskip(NEXT) | instid1(VALU_DEP_1)
	v_div_fixup_f64 v[1:2], v[1:2], v[7:8], v[5:6]
	v_fma_f64 v[3:4], v[5:6], v[1:2], v[7:8]
	s_delay_alu instid0(VALU_DEP_1) | instskip(SKIP_1) | instid1(VALU_DEP_2)
	v_div_scale_f64 v[5:6], null, v[3:4], v[3:4], 1.0
	v_div_scale_f64 v[11:12], vcc_lo, 1.0, v[3:4], 1.0
	v_rcp_f64_e32 v[7:8], v[5:6]
	s_delay_alu instid0(TRANS32_DEP_1) | instskip(NEXT) | instid1(VALU_DEP_1)
	v_fma_f64 v[9:10], -v[5:6], v[7:8], 1.0
	v_fma_f64 v[7:8], v[7:8], v[9:10], v[7:8]
	s_delay_alu instid0(VALU_DEP_1) | instskip(NEXT) | instid1(VALU_DEP_1)
	v_fma_f64 v[9:10], -v[5:6], v[7:8], 1.0
	v_fma_f64 v[7:8], v[7:8], v[9:10], v[7:8]
	s_delay_alu instid0(VALU_DEP_1) | instskip(NEXT) | instid1(VALU_DEP_1)
	v_mul_f64_e32 v[9:10], v[11:12], v[7:8]
	v_fma_f64 v[5:6], -v[5:6], v[9:10], v[11:12]
	s_wait_alu 0xfffd
	s_delay_alu instid0(VALU_DEP_1) | instskip(NEXT) | instid1(VALU_DEP_1)
	v_div_fmas_f64 v[5:6], v[5:6], v[7:8], v[9:10]
	v_div_fixup_f64 v[3:4], v[5:6], v[3:4], 1.0
                                        ; implicit-def: $vgpr5_vgpr6
	s_delay_alu instid0(VALU_DEP_1) | instskip(SKIP_1) | instid1(VALU_DEP_2)
	v_mul_f64_e32 v[1:2], v[1:2], v[3:4]
	v_xor_b32_e32 v4, 0x80000000, v4
	v_xor_b32_e32 v10, 0x80000000, v2
	s_delay_alu instid0(VALU_DEP_3)
	v_mov_b32_e32 v9, v1
.LBB44_15:
	s_wait_alu 0xfffe
	s_and_not1_saveexec_b32 s1, s1
	s_cbranch_execz .LBB44_17
; %bb.16:
	v_div_scale_f64 v[1:2], null, v[5:6], v[5:6], v[7:8]
	v_div_scale_f64 v[11:12], vcc_lo, v[7:8], v[5:6], v[7:8]
	s_delay_alu instid0(VALU_DEP_2) | instskip(NEXT) | instid1(TRANS32_DEP_1)
	v_rcp_f64_e32 v[3:4], v[1:2]
	v_fma_f64 v[9:10], -v[1:2], v[3:4], 1.0
	s_delay_alu instid0(VALU_DEP_1) | instskip(NEXT) | instid1(VALU_DEP_1)
	v_fma_f64 v[3:4], v[3:4], v[9:10], v[3:4]
	v_fma_f64 v[9:10], -v[1:2], v[3:4], 1.0
	s_delay_alu instid0(VALU_DEP_1) | instskip(NEXT) | instid1(VALU_DEP_1)
	v_fma_f64 v[3:4], v[3:4], v[9:10], v[3:4]
	v_mul_f64_e32 v[9:10], v[11:12], v[3:4]
	s_delay_alu instid0(VALU_DEP_1) | instskip(SKIP_1) | instid1(VALU_DEP_1)
	v_fma_f64 v[1:2], -v[1:2], v[9:10], v[11:12]
	s_wait_alu 0xfffd
	v_div_fmas_f64 v[1:2], v[1:2], v[3:4], v[9:10]
	s_delay_alu instid0(VALU_DEP_1) | instskip(NEXT) | instid1(VALU_DEP_1)
	v_div_fixup_f64 v[3:4], v[1:2], v[5:6], v[7:8]
	v_fma_f64 v[1:2], v[7:8], v[3:4], v[5:6]
	s_delay_alu instid0(VALU_DEP_1) | instskip(NEXT) | instid1(VALU_DEP_1)
	v_div_scale_f64 v[5:6], null, v[1:2], v[1:2], 1.0
	v_rcp_f64_e32 v[7:8], v[5:6]
	s_delay_alu instid0(TRANS32_DEP_1) | instskip(NEXT) | instid1(VALU_DEP_1)
	v_fma_f64 v[9:10], -v[5:6], v[7:8], 1.0
	v_fma_f64 v[7:8], v[7:8], v[9:10], v[7:8]
	s_delay_alu instid0(VALU_DEP_1) | instskip(NEXT) | instid1(VALU_DEP_1)
	v_fma_f64 v[9:10], -v[5:6], v[7:8], 1.0
	v_fma_f64 v[7:8], v[7:8], v[9:10], v[7:8]
	v_div_scale_f64 v[9:10], vcc_lo, 1.0, v[1:2], 1.0
	s_delay_alu instid0(VALU_DEP_1) | instskip(NEXT) | instid1(VALU_DEP_1)
	v_mul_f64_e32 v[11:12], v[9:10], v[7:8]
	v_fma_f64 v[5:6], -v[5:6], v[11:12], v[9:10]
	s_wait_alu 0xfffd
	s_delay_alu instid0(VALU_DEP_1) | instskip(NEXT) | instid1(VALU_DEP_1)
	v_div_fmas_f64 v[5:6], v[5:6], v[7:8], v[11:12]
	v_div_fixup_f64 v[1:2], v[5:6], v[1:2], 1.0
	s_delay_alu instid0(VALU_DEP_1)
	v_mul_f64_e64 v[3:4], v[3:4], -v[1:2]
	v_xor_b32_e32 v10, 0x80000000, v2
	v_mov_b32_e32 v9, v1
.LBB44_17:
	s_wait_alu 0xfffe
	s_or_b32 exec_lo, exec_lo, s1
	scratch_store_b128 v14, v[1:4], off
	scratch_load_b128 v[15:18], off, s25
	v_xor_b32_e32 v12, 0x80000000, v4
	v_mov_b32_e32 v11, v3
	v_add_nc_u32_e32 v5, 0x2d0, v13
	ds_store_b128 v13, v[9:12]
	s_wait_loadcnt 0x0
	ds_store_b128 v13, v[15:18] offset:720
	s_wait_storecnt_dscnt 0x0
	s_barrier_signal -1
	s_barrier_wait -1
	global_inv scope:SCOPE_SE
	s_and_saveexec_b32 s1, s0
	s_cbranch_execz .LBB44_19
; %bb.18:
	scratch_load_b128 v[1:4], v14, off
	ds_load_b128 v[6:9], v5
	v_mov_b32_e32 v10, 0
	ds_load_b128 v[15:18], v10 offset:16
	s_wait_loadcnt_dscnt 0x1
	v_mul_f64_e32 v[10:11], v[6:7], v[3:4]
	v_mul_f64_e32 v[3:4], v[8:9], v[3:4]
	s_delay_alu instid0(VALU_DEP_2) | instskip(NEXT) | instid1(VALU_DEP_2)
	v_fma_f64 v[8:9], v[8:9], v[1:2], v[10:11]
	v_fma_f64 v[1:2], v[6:7], v[1:2], -v[3:4]
	s_delay_alu instid0(VALU_DEP_2) | instskip(NEXT) | instid1(VALU_DEP_2)
	v_add_f64_e32 v[3:4], 0, v[8:9]
	v_add_f64_e32 v[1:2], 0, v[1:2]
	s_wait_dscnt 0x0
	s_delay_alu instid0(VALU_DEP_2) | instskip(NEXT) | instid1(VALU_DEP_2)
	v_mul_f64_e32 v[6:7], v[3:4], v[17:18]
	v_mul_f64_e32 v[8:9], v[1:2], v[17:18]
	s_delay_alu instid0(VALU_DEP_2) | instskip(NEXT) | instid1(VALU_DEP_2)
	v_fma_f64 v[1:2], v[1:2], v[15:16], -v[6:7]
	v_fma_f64 v[3:4], v[3:4], v[15:16], v[8:9]
	scratch_store_b128 off, v[1:4], off offset:32
.LBB44_19:
	s_wait_alu 0xfffe
	s_or_b32 exec_lo, exec_lo, s1
	s_wait_loadcnt 0x0
	s_wait_storecnt 0x0
	s_barrier_signal -1
	s_barrier_wait -1
	global_inv scope:SCOPE_SE
	scratch_load_b128 v[1:4], off, s22
	s_mov_b32 s1, exec_lo
	s_wait_loadcnt 0x0
	ds_store_b128 v5, v[1:4]
	s_wait_dscnt 0x0
	s_barrier_signal -1
	s_barrier_wait -1
	global_inv scope:SCOPE_SE
	v_cmpx_gt_u32_e32 2, v0
	s_cbranch_execz .LBB44_23
; %bb.20:
	scratch_load_b128 v[1:4], v14, off
	ds_load_b128 v[6:9], v5
	s_wait_loadcnt_dscnt 0x0
	v_mul_f64_e32 v[10:11], v[8:9], v[3:4]
	v_mul_f64_e32 v[3:4], v[6:7], v[3:4]
	s_delay_alu instid0(VALU_DEP_2) | instskip(NEXT) | instid1(VALU_DEP_2)
	v_fma_f64 v[6:7], v[6:7], v[1:2], -v[10:11]
	v_fma_f64 v[3:4], v[8:9], v[1:2], v[3:4]
	s_delay_alu instid0(VALU_DEP_2) | instskip(NEXT) | instid1(VALU_DEP_2)
	v_add_f64_e32 v[1:2], 0, v[6:7]
	v_add_f64_e32 v[3:4], 0, v[3:4]
	s_and_saveexec_b32 s54, s0
	s_cbranch_execz .LBB44_22
; %bb.21:
	scratch_load_b128 v[6:9], off, off offset:32
	v_mov_b32_e32 v10, 0
	ds_load_b128 v[15:18], v10 offset:736
	s_wait_loadcnt_dscnt 0x0
	v_mul_f64_e32 v[10:11], v[15:16], v[8:9]
	v_mul_f64_e32 v[8:9], v[17:18], v[8:9]
	s_delay_alu instid0(VALU_DEP_2) | instskip(NEXT) | instid1(VALU_DEP_2)
	v_fma_f64 v[10:11], v[17:18], v[6:7], v[10:11]
	v_fma_f64 v[6:7], v[15:16], v[6:7], -v[8:9]
	s_delay_alu instid0(VALU_DEP_2) | instskip(NEXT) | instid1(VALU_DEP_2)
	v_add_f64_e32 v[3:4], v[3:4], v[10:11]
	v_add_f64_e32 v[1:2], v[1:2], v[6:7]
.LBB44_22:
	s_or_b32 exec_lo, exec_lo, s54
	v_mov_b32_e32 v6, 0
	ds_load_b128 v[6:9], v6 offset:32
	s_wait_dscnt 0x0
	v_mul_f64_e32 v[10:11], v[3:4], v[8:9]
	v_mul_f64_e32 v[8:9], v[1:2], v[8:9]
	s_delay_alu instid0(VALU_DEP_2) | instskip(NEXT) | instid1(VALU_DEP_2)
	v_fma_f64 v[1:2], v[1:2], v[6:7], -v[10:11]
	v_fma_f64 v[3:4], v[3:4], v[6:7], v[8:9]
	scratch_store_b128 off, v[1:4], off offset:48
.LBB44_23:
	s_wait_alu 0xfffe
	s_or_b32 exec_lo, exec_lo, s1
	s_wait_loadcnt 0x0
	s_wait_storecnt 0x0
	s_barrier_signal -1
	s_barrier_wait -1
	global_inv scope:SCOPE_SE
	scratch_load_b128 v[1:4], off, s21
	v_add_nc_u32_e32 v6, -1, v0
	s_mov_b32 s0, exec_lo
	s_wait_loadcnt 0x0
	ds_store_b128 v5, v[1:4]
	s_wait_dscnt 0x0
	s_barrier_signal -1
	s_barrier_wait -1
	global_inv scope:SCOPE_SE
	v_cmpx_gt_u32_e32 3, v0
	s_cbranch_execz .LBB44_27
; %bb.24:
	v_dual_mov_b32 v1, 0 :: v_dual_add_nc_u32 v8, 0x2d0, v13
	v_mov_b32_e32 v3, 0
	v_dual_mov_b32 v2, 0 :: v_dual_add_nc_u32 v7, -1, v0
	v_mov_b32_e32 v4, 0
	v_or_b32_e32 v9, 8, v14
	s_mov_b32 s1, 0
.LBB44_25:                              ; =>This Inner Loop Header: Depth=1
	scratch_load_b128 v[15:18], v9, off offset:-8
	ds_load_b128 v[19:22], v8
	v_add_nc_u32_e32 v7, 1, v7
	v_add_nc_u32_e32 v8, 16, v8
	v_add_nc_u32_e32 v9, 16, v9
	s_delay_alu instid0(VALU_DEP_3)
	v_cmp_lt_u32_e32 vcc_lo, 1, v7
	s_wait_alu 0xfffe
	s_or_b32 s1, vcc_lo, s1
	s_wait_loadcnt_dscnt 0x0
	v_mul_f64_e32 v[10:11], v[21:22], v[17:18]
	v_mul_f64_e32 v[17:18], v[19:20], v[17:18]
	s_delay_alu instid0(VALU_DEP_2) | instskip(NEXT) | instid1(VALU_DEP_2)
	v_fma_f64 v[10:11], v[19:20], v[15:16], -v[10:11]
	v_fma_f64 v[15:16], v[21:22], v[15:16], v[17:18]
	s_delay_alu instid0(VALU_DEP_2) | instskip(NEXT) | instid1(VALU_DEP_2)
	v_add_f64_e32 v[3:4], v[3:4], v[10:11]
	v_add_f64_e32 v[1:2], v[1:2], v[15:16]
	s_wait_alu 0xfffe
	s_and_not1_b32 exec_lo, exec_lo, s1
	s_cbranch_execnz .LBB44_25
; %bb.26:
	s_or_b32 exec_lo, exec_lo, s1
	v_mov_b32_e32 v7, 0
	ds_load_b128 v[7:10], v7 offset:48
	s_wait_dscnt 0x0
	v_mul_f64_e32 v[11:12], v[1:2], v[9:10]
	v_mul_f64_e32 v[15:16], v[3:4], v[9:10]
	s_delay_alu instid0(VALU_DEP_2) | instskip(NEXT) | instid1(VALU_DEP_2)
	v_fma_f64 v[9:10], v[3:4], v[7:8], -v[11:12]
	v_fma_f64 v[11:12], v[1:2], v[7:8], v[15:16]
	scratch_store_b128 off, v[9:12], off offset:64
.LBB44_27:
	s_wait_alu 0xfffe
	s_or_b32 exec_lo, exec_lo, s0
	s_wait_loadcnt 0x0
	s_wait_storecnt 0x0
	s_barrier_signal -1
	s_barrier_wait -1
	global_inv scope:SCOPE_SE
	scratch_load_b128 v[1:4], off, s15
	s_mov_b32 s0, exec_lo
	s_wait_loadcnt 0x0
	ds_store_b128 v5, v[1:4]
	s_wait_dscnt 0x0
	s_barrier_signal -1
	s_barrier_wait -1
	global_inv scope:SCOPE_SE
	v_cmpx_gt_u32_e32 4, v0
	s_cbranch_execz .LBB44_31
; %bb.28:
	v_dual_mov_b32 v1, 0 :: v_dual_add_nc_u32 v8, 0x2d0, v13
	v_mov_b32_e32 v3, 0
	v_dual_mov_b32 v2, 0 :: v_dual_add_nc_u32 v7, -1, v0
	v_mov_b32_e32 v4, 0
	v_or_b32_e32 v9, 8, v14
	s_mov_b32 s1, 0
.LBB44_29:                              ; =>This Inner Loop Header: Depth=1
	scratch_load_b128 v[15:18], v9, off offset:-8
	ds_load_b128 v[19:22], v8
	v_add_nc_u32_e32 v7, 1, v7
	v_add_nc_u32_e32 v8, 16, v8
	v_add_nc_u32_e32 v9, 16, v9
	s_delay_alu instid0(VALU_DEP_3)
	v_cmp_lt_u32_e32 vcc_lo, 2, v7
	s_wait_alu 0xfffe
	s_or_b32 s1, vcc_lo, s1
	s_wait_loadcnt_dscnt 0x0
	v_mul_f64_e32 v[10:11], v[21:22], v[17:18]
	v_mul_f64_e32 v[17:18], v[19:20], v[17:18]
	s_delay_alu instid0(VALU_DEP_2) | instskip(NEXT) | instid1(VALU_DEP_2)
	v_fma_f64 v[10:11], v[19:20], v[15:16], -v[10:11]
	v_fma_f64 v[15:16], v[21:22], v[15:16], v[17:18]
	s_delay_alu instid0(VALU_DEP_2) | instskip(NEXT) | instid1(VALU_DEP_2)
	v_add_f64_e32 v[3:4], v[3:4], v[10:11]
	v_add_f64_e32 v[1:2], v[1:2], v[15:16]
	s_wait_alu 0xfffe
	s_and_not1_b32 exec_lo, exec_lo, s1
	s_cbranch_execnz .LBB44_29
; %bb.30:
	s_or_b32 exec_lo, exec_lo, s1
	v_mov_b32_e32 v7, 0
	ds_load_b128 v[7:10], v7 offset:64
	s_wait_dscnt 0x0
	v_mul_f64_e32 v[11:12], v[1:2], v[9:10]
	v_mul_f64_e32 v[15:16], v[3:4], v[9:10]
	s_delay_alu instid0(VALU_DEP_2) | instskip(NEXT) | instid1(VALU_DEP_2)
	v_fma_f64 v[9:10], v[3:4], v[7:8], -v[11:12]
	v_fma_f64 v[11:12], v[1:2], v[7:8], v[15:16]
	scratch_store_b128 off, v[9:12], off offset:80
.LBB44_31:
	s_wait_alu 0xfffe
	s_or_b32 exec_lo, exec_lo, s0
	s_wait_loadcnt 0x0
	s_wait_storecnt 0x0
	s_barrier_signal -1
	s_barrier_wait -1
	global_inv scope:SCOPE_SE
	scratch_load_b128 v[1:4], off, s53
	;; [unrolled: 58-line block ×19, first 2 shown]
	s_mov_b32 s0, exec_lo
	s_wait_loadcnt 0x0
	ds_store_b128 v5, v[1:4]
	s_wait_dscnt 0x0
	s_barrier_signal -1
	s_barrier_wait -1
	global_inv scope:SCOPE_SE
	v_cmpx_gt_u32_e32 22, v0
	s_cbranch_execz .LBB44_103
; %bb.100:
	v_dual_mov_b32 v1, 0 :: v_dual_add_nc_u32 v8, 0x2d0, v13
	v_mov_b32_e32 v3, 0
	v_dual_mov_b32 v2, 0 :: v_dual_add_nc_u32 v7, -1, v0
	v_mov_b32_e32 v4, 0
	v_or_b32_e32 v9, 8, v14
	s_mov_b32 s1, 0
.LBB44_101:                             ; =>This Inner Loop Header: Depth=1
	scratch_load_b128 v[15:18], v9, off offset:-8
	ds_load_b128 v[19:22], v8
	v_add_nc_u32_e32 v7, 1, v7
	v_add_nc_u32_e32 v8, 16, v8
	v_add_nc_u32_e32 v9, 16, v9
	s_delay_alu instid0(VALU_DEP_3)
	v_cmp_lt_u32_e32 vcc_lo, 20, v7
	s_wait_alu 0xfffe
	s_or_b32 s1, vcc_lo, s1
	s_wait_loadcnt_dscnt 0x0
	v_mul_f64_e32 v[10:11], v[21:22], v[17:18]
	v_mul_f64_e32 v[17:18], v[19:20], v[17:18]
	s_delay_alu instid0(VALU_DEP_2) | instskip(NEXT) | instid1(VALU_DEP_2)
	v_fma_f64 v[10:11], v[19:20], v[15:16], -v[10:11]
	v_fma_f64 v[15:16], v[21:22], v[15:16], v[17:18]
	s_delay_alu instid0(VALU_DEP_2) | instskip(NEXT) | instid1(VALU_DEP_2)
	v_add_f64_e32 v[3:4], v[3:4], v[10:11]
	v_add_f64_e32 v[1:2], v[1:2], v[15:16]
	s_wait_alu 0xfffe
	s_and_not1_b32 exec_lo, exec_lo, s1
	s_cbranch_execnz .LBB44_101
; %bb.102:
	s_or_b32 exec_lo, exec_lo, s1
	v_mov_b32_e32 v7, 0
	ds_load_b128 v[7:10], v7 offset:352
	s_wait_dscnt 0x0
	v_mul_f64_e32 v[11:12], v[1:2], v[9:10]
	v_mul_f64_e32 v[15:16], v[3:4], v[9:10]
	s_delay_alu instid0(VALU_DEP_2) | instskip(NEXT) | instid1(VALU_DEP_2)
	v_fma_f64 v[9:10], v[3:4], v[7:8], -v[11:12]
	v_fma_f64 v[11:12], v[1:2], v[7:8], v[15:16]
	scratch_store_b128 off, v[9:12], off offset:368
.LBB44_103:
	s_wait_alu 0xfffe
	s_or_b32 exec_lo, exec_lo, s0
	s_wait_loadcnt 0x0
	s_wait_storecnt 0x0
	s_barrier_signal -1
	s_barrier_wait -1
	global_inv scope:SCOPE_SE
	scratch_load_b128 v[1:4], off, s35
	s_mov_b32 s0, exec_lo
	s_wait_loadcnt 0x0
	ds_store_b128 v5, v[1:4]
	s_wait_dscnt 0x0
	s_barrier_signal -1
	s_barrier_wait -1
	global_inv scope:SCOPE_SE
	v_cmpx_gt_u32_e32 23, v0
	s_cbranch_execz .LBB44_107
; %bb.104:
	v_dual_mov_b32 v1, 0 :: v_dual_add_nc_u32 v8, 0x2d0, v13
	v_mov_b32_e32 v3, 0
	v_dual_mov_b32 v2, 0 :: v_dual_add_nc_u32 v7, -1, v0
	v_mov_b32_e32 v4, 0
	v_or_b32_e32 v9, 8, v14
	s_mov_b32 s1, 0
.LBB44_105:                             ; =>This Inner Loop Header: Depth=1
	scratch_load_b128 v[15:18], v9, off offset:-8
	ds_load_b128 v[19:22], v8
	v_add_nc_u32_e32 v7, 1, v7
	v_add_nc_u32_e32 v8, 16, v8
	v_add_nc_u32_e32 v9, 16, v9
	s_delay_alu instid0(VALU_DEP_3)
	v_cmp_lt_u32_e32 vcc_lo, 21, v7
	s_wait_alu 0xfffe
	s_or_b32 s1, vcc_lo, s1
	s_wait_loadcnt_dscnt 0x0
	v_mul_f64_e32 v[10:11], v[21:22], v[17:18]
	v_mul_f64_e32 v[17:18], v[19:20], v[17:18]
	s_delay_alu instid0(VALU_DEP_2) | instskip(NEXT) | instid1(VALU_DEP_2)
	v_fma_f64 v[10:11], v[19:20], v[15:16], -v[10:11]
	v_fma_f64 v[15:16], v[21:22], v[15:16], v[17:18]
	s_delay_alu instid0(VALU_DEP_2) | instskip(NEXT) | instid1(VALU_DEP_2)
	v_add_f64_e32 v[3:4], v[3:4], v[10:11]
	v_add_f64_e32 v[1:2], v[1:2], v[15:16]
	s_wait_alu 0xfffe
	s_and_not1_b32 exec_lo, exec_lo, s1
	s_cbranch_execnz .LBB44_105
; %bb.106:
	s_or_b32 exec_lo, exec_lo, s1
	v_mov_b32_e32 v7, 0
	ds_load_b128 v[7:10], v7 offset:368
	s_wait_dscnt 0x0
	v_mul_f64_e32 v[11:12], v[1:2], v[9:10]
	v_mul_f64_e32 v[15:16], v[3:4], v[9:10]
	s_delay_alu instid0(VALU_DEP_2) | instskip(NEXT) | instid1(VALU_DEP_2)
	v_fma_f64 v[9:10], v[3:4], v[7:8], -v[11:12]
	v_fma_f64 v[11:12], v[1:2], v[7:8], v[15:16]
	scratch_store_b128 off, v[9:12], off offset:384
.LBB44_107:
	s_wait_alu 0xfffe
	s_or_b32 exec_lo, exec_lo, s0
	s_wait_loadcnt 0x0
	s_wait_storecnt 0x0
	s_barrier_signal -1
	s_barrier_wait -1
	global_inv scope:SCOPE_SE
	scratch_load_b128 v[1:4], off, s34
	;; [unrolled: 58-line block ×22, first 2 shown]
	s_mov_b32 s0, exec_lo
	s_wait_loadcnt 0x0
	ds_store_b128 v5, v[1:4]
	s_wait_dscnt 0x0
	s_barrier_signal -1
	s_barrier_wait -1
	global_inv scope:SCOPE_SE
	v_cmpx_ne_u32_e32 44, v0
	s_cbranch_execz .LBB44_191
; %bb.188:
	v_mov_b32_e32 v1, 0
	v_dual_mov_b32 v2, 0 :: v_dual_mov_b32 v3, 0
	v_mov_b32_e32 v4, 0
	v_or_b32_e32 v7, 8, v14
	s_mov_b32 s1, 0
.LBB44_189:                             ; =>This Inner Loop Header: Depth=1
	scratch_load_b128 v[8:11], v7, off offset:-8
	ds_load_b128 v[12:15], v5
	v_add_nc_u32_e32 v6, 1, v6
	v_add_nc_u32_e32 v5, 16, v5
	;; [unrolled: 1-line block ×3, first 2 shown]
	s_delay_alu instid0(VALU_DEP_3)
	v_cmp_lt_u32_e32 vcc_lo, 42, v6
	s_wait_alu 0xfffe
	s_or_b32 s1, vcc_lo, s1
	s_wait_loadcnt_dscnt 0x0
	v_mul_f64_e32 v[16:17], v[14:15], v[10:11]
	v_mul_f64_e32 v[10:11], v[12:13], v[10:11]
	s_delay_alu instid0(VALU_DEP_2) | instskip(NEXT) | instid1(VALU_DEP_2)
	v_fma_f64 v[12:13], v[12:13], v[8:9], -v[16:17]
	v_fma_f64 v[8:9], v[14:15], v[8:9], v[10:11]
	s_delay_alu instid0(VALU_DEP_2) | instskip(NEXT) | instid1(VALU_DEP_2)
	v_add_f64_e32 v[3:4], v[3:4], v[12:13]
	v_add_f64_e32 v[1:2], v[1:2], v[8:9]
	s_wait_alu 0xfffe
	s_and_not1_b32 exec_lo, exec_lo, s1
	s_cbranch_execnz .LBB44_189
; %bb.190:
	s_or_b32 exec_lo, exec_lo, s1
	v_mov_b32_e32 v5, 0
	ds_load_b128 v[5:8], v5 offset:704
	s_wait_dscnt 0x0
	v_mul_f64_e32 v[9:10], v[1:2], v[7:8]
	v_mul_f64_e32 v[7:8], v[3:4], v[7:8]
	s_delay_alu instid0(VALU_DEP_2) | instskip(NEXT) | instid1(VALU_DEP_2)
	v_fma_f64 v[3:4], v[3:4], v[5:6], -v[9:10]
	v_fma_f64 v[5:6], v[1:2], v[5:6], v[7:8]
	scratch_store_b128 off, v[3:6], off offset:720
.LBB44_191:
	s_wait_alu 0xfffe
	s_or_b32 exec_lo, exec_lo, s0
	s_mov_b32 s1, -1
	s_wait_loadcnt 0x0
	s_wait_storecnt 0x0
	s_barrier_signal -1
	s_barrier_wait -1
	global_inv scope:SCOPE_SE
.LBB44_192:
	s_wait_alu 0xfffe
	s_and_b32 vcc_lo, exec_lo, s1
	s_wait_alu 0xfffe
	s_cbranch_vccz .LBB44_194
; %bb.193:
	v_mov_b32_e32 v1, 0
	s_lshl_b64 s[0:1], s[16:17], 2
	s_wait_alu 0xfffe
	s_add_nc_u64 s[0:1], s[6:7], s[0:1]
	global_load_b32 v1, v1, s[0:1]
	s_wait_loadcnt 0x0
	v_cmp_ne_u32_e32 vcc_lo, 0, v1
	s_cbranch_vccz .LBB44_195
.LBB44_194:
	s_nop 0
	s_sendmsg sendmsg(MSG_DEALLOC_VGPRS)
	s_endpgm
.LBB44_195:
	v_lshl_add_u32 v136, v0, 4, 0x2d0
	s_mov_b32 s0, exec_lo
	v_cmpx_eq_u32_e32 44, v0
	s_cbranch_execz .LBB44_197
; %bb.196:
	scratch_load_b128 v[1:4], off, s20
	v_mov_b32_e32 v5, 0
	s_delay_alu instid0(VALU_DEP_1)
	v_dual_mov_b32 v6, v5 :: v_dual_mov_b32 v7, v5
	v_mov_b32_e32 v8, v5
	scratch_store_b128 off, v[5:8], off offset:704
	s_wait_loadcnt 0x0
	ds_store_b128 v136, v[1:4]
.LBB44_197:
	s_wait_alu 0xfffe
	s_or_b32 exec_lo, exec_lo, s0
	s_wait_storecnt_dscnt 0x0
	s_barrier_signal -1
	s_barrier_wait -1
	global_inv scope:SCOPE_SE
	s_clause 0x1
	scratch_load_b128 v[2:5], off, off offset:720
	scratch_load_b128 v[6:9], off, off offset:704
	v_mov_b32_e32 v1, 0
	s_mov_b32 s0, exec_lo
	ds_load_b128 v[10:13], v1 offset:1424
	s_wait_loadcnt_dscnt 0x100
	v_mul_f64_e32 v[14:15], v[12:13], v[4:5]
	v_mul_f64_e32 v[4:5], v[10:11], v[4:5]
	s_delay_alu instid0(VALU_DEP_2) | instskip(NEXT) | instid1(VALU_DEP_2)
	v_fma_f64 v[10:11], v[10:11], v[2:3], -v[14:15]
	v_fma_f64 v[2:3], v[12:13], v[2:3], v[4:5]
	s_delay_alu instid0(VALU_DEP_2) | instskip(NEXT) | instid1(VALU_DEP_2)
	v_add_f64_e32 v[4:5], 0, v[10:11]
	v_add_f64_e32 v[10:11], 0, v[2:3]
	s_wait_loadcnt 0x0
	s_delay_alu instid0(VALU_DEP_2) | instskip(NEXT) | instid1(VALU_DEP_2)
	v_add_f64_e64 v[2:3], v[6:7], -v[4:5]
	v_add_f64_e64 v[4:5], v[8:9], -v[10:11]
	scratch_store_b128 off, v[2:5], off offset:704
	v_cmpx_lt_u32_e32 42, v0
	s_cbranch_execz .LBB44_199
; %bb.198:
	scratch_load_b128 v[5:8], off, s24
	v_dual_mov_b32 v2, v1 :: v_dual_mov_b32 v3, v1
	v_mov_b32_e32 v4, v1
	scratch_store_b128 off, v[1:4], off offset:688
	s_wait_loadcnt 0x0
	ds_store_b128 v136, v[5:8]
.LBB44_199:
	s_wait_alu 0xfffe
	s_or_b32 exec_lo, exec_lo, s0
	s_wait_storecnt_dscnt 0x0
	s_barrier_signal -1
	s_barrier_wait -1
	global_inv scope:SCOPE_SE
	s_clause 0x2
	scratch_load_b128 v[2:5], off, off offset:704
	scratch_load_b128 v[6:9], off, off offset:720
	;; [unrolled: 1-line block ×3, first 2 shown]
	ds_load_b128 v[14:17], v1 offset:1408
	ds_load_b128 v[18:21], v1 offset:1424
	s_mov_b32 s0, exec_lo
	s_wait_loadcnt_dscnt 0x201
	v_mul_f64_e32 v[22:23], v[16:17], v[4:5]
	v_mul_f64_e32 v[4:5], v[14:15], v[4:5]
	s_wait_loadcnt_dscnt 0x100
	v_mul_f64_e32 v[24:25], v[18:19], v[8:9]
	v_mul_f64_e32 v[8:9], v[20:21], v[8:9]
	s_delay_alu instid0(VALU_DEP_4) | instskip(NEXT) | instid1(VALU_DEP_4)
	v_fma_f64 v[14:15], v[14:15], v[2:3], -v[22:23]
	v_fma_f64 v[1:2], v[16:17], v[2:3], v[4:5]
	s_delay_alu instid0(VALU_DEP_4) | instskip(NEXT) | instid1(VALU_DEP_4)
	v_fma_f64 v[3:4], v[20:21], v[6:7], v[24:25]
	v_fma_f64 v[5:6], v[18:19], v[6:7], -v[8:9]
	s_delay_alu instid0(VALU_DEP_4) | instskip(NEXT) | instid1(VALU_DEP_4)
	v_add_f64_e32 v[7:8], 0, v[14:15]
	v_add_f64_e32 v[1:2], 0, v[1:2]
	s_delay_alu instid0(VALU_DEP_2) | instskip(NEXT) | instid1(VALU_DEP_2)
	v_add_f64_e32 v[5:6], v[7:8], v[5:6]
	v_add_f64_e32 v[3:4], v[1:2], v[3:4]
	s_wait_loadcnt 0x0
	s_delay_alu instid0(VALU_DEP_2) | instskip(NEXT) | instid1(VALU_DEP_2)
	v_add_f64_e64 v[1:2], v[10:11], -v[5:6]
	v_add_f64_e64 v[3:4], v[12:13], -v[3:4]
	scratch_store_b128 off, v[1:4], off offset:688
	v_cmpx_lt_u32_e32 41, v0
	s_cbranch_execz .LBB44_201
; %bb.200:
	scratch_load_b128 v[1:4], off, s4
	v_mov_b32_e32 v5, 0
	s_delay_alu instid0(VALU_DEP_1)
	v_dual_mov_b32 v6, v5 :: v_dual_mov_b32 v7, v5
	v_mov_b32_e32 v8, v5
	scratch_store_b128 off, v[5:8], off offset:672
	s_wait_loadcnt 0x0
	ds_store_b128 v136, v[1:4]
.LBB44_201:
	s_wait_alu 0xfffe
	s_or_b32 exec_lo, exec_lo, s0
	s_wait_storecnt_dscnt 0x0
	s_barrier_signal -1
	s_barrier_wait -1
	global_inv scope:SCOPE_SE
	s_clause 0x3
	scratch_load_b128 v[2:5], off, off offset:688
	scratch_load_b128 v[6:9], off, off offset:704
	;; [unrolled: 1-line block ×4, first 2 shown]
	v_mov_b32_e32 v1, 0
	ds_load_b128 v[18:21], v1 offset:1392
	ds_load_b128 v[22:25], v1 offset:1408
	s_mov_b32 s0, exec_lo
	s_wait_loadcnt_dscnt 0x301
	v_mul_f64_e32 v[26:27], v[20:21], v[4:5]
	v_mul_f64_e32 v[4:5], v[18:19], v[4:5]
	s_wait_loadcnt_dscnt 0x200
	v_mul_f64_e32 v[28:29], v[22:23], v[8:9]
	v_mul_f64_e32 v[8:9], v[24:25], v[8:9]
	s_delay_alu instid0(VALU_DEP_4) | instskip(NEXT) | instid1(VALU_DEP_4)
	v_fma_f64 v[18:19], v[18:19], v[2:3], -v[26:27]
	v_fma_f64 v[20:21], v[20:21], v[2:3], v[4:5]
	ds_load_b128 v[2:5], v1 offset:1424
	v_fma_f64 v[24:25], v[24:25], v[6:7], v[28:29]
	v_fma_f64 v[6:7], v[22:23], v[6:7], -v[8:9]
	s_wait_loadcnt_dscnt 0x100
	v_mul_f64_e32 v[26:27], v[2:3], v[12:13]
	v_mul_f64_e32 v[12:13], v[4:5], v[12:13]
	v_add_f64_e32 v[8:9], 0, v[18:19]
	v_add_f64_e32 v[18:19], 0, v[20:21]
	s_delay_alu instid0(VALU_DEP_4) | instskip(NEXT) | instid1(VALU_DEP_4)
	v_fma_f64 v[4:5], v[4:5], v[10:11], v[26:27]
	v_fma_f64 v[2:3], v[2:3], v[10:11], -v[12:13]
	s_delay_alu instid0(VALU_DEP_4) | instskip(NEXT) | instid1(VALU_DEP_4)
	v_add_f64_e32 v[6:7], v[8:9], v[6:7]
	v_add_f64_e32 v[8:9], v[18:19], v[24:25]
	s_delay_alu instid0(VALU_DEP_2) | instskip(NEXT) | instid1(VALU_DEP_2)
	v_add_f64_e32 v[2:3], v[6:7], v[2:3]
	v_add_f64_e32 v[4:5], v[8:9], v[4:5]
	s_wait_loadcnt 0x0
	s_delay_alu instid0(VALU_DEP_2) | instskip(NEXT) | instid1(VALU_DEP_2)
	v_add_f64_e64 v[2:3], v[14:15], -v[2:3]
	v_add_f64_e64 v[4:5], v[16:17], -v[4:5]
	scratch_store_b128 off, v[2:5], off offset:672
	v_cmpx_lt_u32_e32 40, v0
	s_cbranch_execz .LBB44_203
; %bb.202:
	scratch_load_b128 v[5:8], off, s5
	v_dual_mov_b32 v2, v1 :: v_dual_mov_b32 v3, v1
	v_mov_b32_e32 v4, v1
	scratch_store_b128 off, v[1:4], off offset:656
	s_wait_loadcnt 0x0
	ds_store_b128 v136, v[5:8]
.LBB44_203:
	s_wait_alu 0xfffe
	s_or_b32 exec_lo, exec_lo, s0
	s_wait_storecnt_dscnt 0x0
	s_barrier_signal -1
	s_barrier_wait -1
	global_inv scope:SCOPE_SE
	s_clause 0x4
	scratch_load_b128 v[2:5], off, off offset:672
	scratch_load_b128 v[6:9], off, off offset:688
	;; [unrolled: 1-line block ×5, first 2 shown]
	ds_load_b128 v[22:25], v1 offset:1376
	ds_load_b128 v[26:29], v1 offset:1392
	s_mov_b32 s0, exec_lo
	s_wait_loadcnt_dscnt 0x401
	v_mul_f64_e32 v[30:31], v[24:25], v[4:5]
	v_mul_f64_e32 v[4:5], v[22:23], v[4:5]
	s_wait_loadcnt_dscnt 0x300
	v_mul_f64_e32 v[32:33], v[26:27], v[8:9]
	v_mul_f64_e32 v[8:9], v[28:29], v[8:9]
	s_delay_alu instid0(VALU_DEP_4) | instskip(NEXT) | instid1(VALU_DEP_4)
	v_fma_f64 v[30:31], v[22:23], v[2:3], -v[30:31]
	v_fma_f64 v[34:35], v[24:25], v[2:3], v[4:5]
	ds_load_b128 v[2:5], v1 offset:1408
	ds_load_b128 v[22:25], v1 offset:1424
	v_fma_f64 v[28:29], v[28:29], v[6:7], v[32:33]
	v_fma_f64 v[6:7], v[26:27], v[6:7], -v[8:9]
	s_wait_loadcnt_dscnt 0x201
	v_mul_f64_e32 v[36:37], v[2:3], v[12:13]
	v_mul_f64_e32 v[12:13], v[4:5], v[12:13]
	v_add_f64_e32 v[8:9], 0, v[30:31]
	v_add_f64_e32 v[26:27], 0, v[34:35]
	s_wait_loadcnt_dscnt 0x100
	v_mul_f64_e32 v[30:31], v[22:23], v[16:17]
	v_mul_f64_e32 v[16:17], v[24:25], v[16:17]
	v_fma_f64 v[4:5], v[4:5], v[10:11], v[36:37]
	v_fma_f64 v[1:2], v[2:3], v[10:11], -v[12:13]
	v_add_f64_e32 v[6:7], v[8:9], v[6:7]
	v_add_f64_e32 v[8:9], v[26:27], v[28:29]
	v_fma_f64 v[10:11], v[24:25], v[14:15], v[30:31]
	v_fma_f64 v[12:13], v[22:23], v[14:15], -v[16:17]
	s_delay_alu instid0(VALU_DEP_4) | instskip(NEXT) | instid1(VALU_DEP_4)
	v_add_f64_e32 v[1:2], v[6:7], v[1:2]
	v_add_f64_e32 v[3:4], v[8:9], v[4:5]
	s_delay_alu instid0(VALU_DEP_2) | instskip(NEXT) | instid1(VALU_DEP_2)
	v_add_f64_e32 v[1:2], v[1:2], v[12:13]
	v_add_f64_e32 v[3:4], v[3:4], v[10:11]
	s_wait_loadcnt 0x0
	s_delay_alu instid0(VALU_DEP_2) | instskip(NEXT) | instid1(VALU_DEP_2)
	v_add_f64_e64 v[1:2], v[18:19], -v[1:2]
	v_add_f64_e64 v[3:4], v[20:21], -v[3:4]
	scratch_store_b128 off, v[1:4], off offset:656
	v_cmpx_lt_u32_e32 39, v0
	s_cbranch_execz .LBB44_205
; %bb.204:
	scratch_load_b128 v[1:4], off, s8
	v_mov_b32_e32 v5, 0
	s_delay_alu instid0(VALU_DEP_1)
	v_dual_mov_b32 v6, v5 :: v_dual_mov_b32 v7, v5
	v_mov_b32_e32 v8, v5
	scratch_store_b128 off, v[5:8], off offset:640
	s_wait_loadcnt 0x0
	ds_store_b128 v136, v[1:4]
.LBB44_205:
	s_wait_alu 0xfffe
	s_or_b32 exec_lo, exec_lo, s0
	s_wait_storecnt_dscnt 0x0
	s_barrier_signal -1
	s_barrier_wait -1
	global_inv scope:SCOPE_SE
	s_clause 0x5
	scratch_load_b128 v[2:5], off, off offset:656
	scratch_load_b128 v[6:9], off, off offset:672
	;; [unrolled: 1-line block ×6, first 2 shown]
	v_mov_b32_e32 v1, 0
	ds_load_b128 v[26:29], v1 offset:1360
	ds_load_b128 v[30:33], v1 offset:1376
	s_mov_b32 s0, exec_lo
	s_wait_loadcnt_dscnt 0x501
	v_mul_f64_e32 v[34:35], v[28:29], v[4:5]
	v_mul_f64_e32 v[4:5], v[26:27], v[4:5]
	s_wait_loadcnt_dscnt 0x400
	v_mul_f64_e32 v[36:37], v[30:31], v[8:9]
	v_mul_f64_e32 v[8:9], v[32:33], v[8:9]
	s_delay_alu instid0(VALU_DEP_4) | instskip(NEXT) | instid1(VALU_DEP_4)
	v_fma_f64 v[34:35], v[26:27], v[2:3], -v[34:35]
	v_fma_f64 v[38:39], v[28:29], v[2:3], v[4:5]
	ds_load_b128 v[2:5], v1 offset:1392
	ds_load_b128 v[26:29], v1 offset:1408
	v_fma_f64 v[32:33], v[32:33], v[6:7], v[36:37]
	v_fma_f64 v[6:7], v[30:31], v[6:7], -v[8:9]
	s_wait_loadcnt_dscnt 0x301
	v_mul_f64_e32 v[40:41], v[2:3], v[12:13]
	v_mul_f64_e32 v[12:13], v[4:5], v[12:13]
	v_add_f64_e32 v[8:9], 0, v[34:35]
	v_add_f64_e32 v[30:31], 0, v[38:39]
	s_wait_loadcnt_dscnt 0x200
	v_mul_f64_e32 v[34:35], v[26:27], v[16:17]
	v_mul_f64_e32 v[16:17], v[28:29], v[16:17]
	v_fma_f64 v[36:37], v[4:5], v[10:11], v[40:41]
	v_fma_f64 v[10:11], v[2:3], v[10:11], -v[12:13]
	ds_load_b128 v[2:5], v1 offset:1424
	v_add_f64_e32 v[6:7], v[8:9], v[6:7]
	v_add_f64_e32 v[8:9], v[30:31], v[32:33]
	v_fma_f64 v[28:29], v[28:29], v[14:15], v[34:35]
	v_fma_f64 v[14:15], v[26:27], v[14:15], -v[16:17]
	s_wait_loadcnt_dscnt 0x100
	v_mul_f64_e32 v[12:13], v[2:3], v[20:21]
	v_mul_f64_e32 v[20:21], v[4:5], v[20:21]
	v_add_f64_e32 v[6:7], v[6:7], v[10:11]
	v_add_f64_e32 v[8:9], v[8:9], v[36:37]
	s_delay_alu instid0(VALU_DEP_4) | instskip(NEXT) | instid1(VALU_DEP_4)
	v_fma_f64 v[4:5], v[4:5], v[18:19], v[12:13]
	v_fma_f64 v[2:3], v[2:3], v[18:19], -v[20:21]
	s_delay_alu instid0(VALU_DEP_4) | instskip(NEXT) | instid1(VALU_DEP_4)
	v_add_f64_e32 v[6:7], v[6:7], v[14:15]
	v_add_f64_e32 v[8:9], v[8:9], v[28:29]
	s_delay_alu instid0(VALU_DEP_2) | instskip(NEXT) | instid1(VALU_DEP_2)
	v_add_f64_e32 v[2:3], v[6:7], v[2:3]
	v_add_f64_e32 v[4:5], v[8:9], v[4:5]
	s_wait_loadcnt 0x0
	s_delay_alu instid0(VALU_DEP_2) | instskip(NEXT) | instid1(VALU_DEP_2)
	v_add_f64_e64 v[2:3], v[22:23], -v[2:3]
	v_add_f64_e64 v[4:5], v[24:25], -v[4:5]
	scratch_store_b128 off, v[2:5], off offset:640
	v_cmpx_lt_u32_e32 38, v0
	s_cbranch_execz .LBB44_207
; %bb.206:
	scratch_load_b128 v[5:8], off, s9
	v_dual_mov_b32 v2, v1 :: v_dual_mov_b32 v3, v1
	v_mov_b32_e32 v4, v1
	scratch_store_b128 off, v[1:4], off offset:624
	s_wait_loadcnt 0x0
	ds_store_b128 v136, v[5:8]
.LBB44_207:
	s_wait_alu 0xfffe
	s_or_b32 exec_lo, exec_lo, s0
	s_wait_storecnt_dscnt 0x0
	s_barrier_signal -1
	s_barrier_wait -1
	global_inv scope:SCOPE_SE
	s_clause 0x5
	scratch_load_b128 v[2:5], off, off offset:640
	scratch_load_b128 v[6:9], off, off offset:656
	;; [unrolled: 1-line block ×6, first 2 shown]
	ds_load_b128 v[26:29], v1 offset:1344
	ds_load_b128 v[34:37], v1 offset:1360
	scratch_load_b128 v[30:33], off, off offset:624
	s_mov_b32 s0, exec_lo
	s_wait_loadcnt_dscnt 0x601
	v_mul_f64_e32 v[38:39], v[28:29], v[4:5]
	v_mul_f64_e32 v[4:5], v[26:27], v[4:5]
	s_wait_loadcnt_dscnt 0x500
	v_mul_f64_e32 v[40:41], v[34:35], v[8:9]
	v_mul_f64_e32 v[8:9], v[36:37], v[8:9]
	s_delay_alu instid0(VALU_DEP_4) | instskip(NEXT) | instid1(VALU_DEP_4)
	v_fma_f64 v[38:39], v[26:27], v[2:3], -v[38:39]
	v_fma_f64 v[42:43], v[28:29], v[2:3], v[4:5]
	ds_load_b128 v[2:5], v1 offset:1376
	ds_load_b128 v[26:29], v1 offset:1392
	v_fma_f64 v[36:37], v[36:37], v[6:7], v[40:41]
	v_fma_f64 v[6:7], v[34:35], v[6:7], -v[8:9]
	s_wait_loadcnt_dscnt 0x401
	v_mul_f64_e32 v[44:45], v[2:3], v[12:13]
	v_mul_f64_e32 v[12:13], v[4:5], v[12:13]
	v_add_f64_e32 v[8:9], 0, v[38:39]
	v_add_f64_e32 v[34:35], 0, v[42:43]
	s_wait_loadcnt_dscnt 0x300
	v_mul_f64_e32 v[38:39], v[26:27], v[16:17]
	v_mul_f64_e32 v[16:17], v[28:29], v[16:17]
	v_fma_f64 v[40:41], v[4:5], v[10:11], v[44:45]
	v_fma_f64 v[10:11], v[2:3], v[10:11], -v[12:13]
	v_add_f64_e32 v[12:13], v[8:9], v[6:7]
	v_add_f64_e32 v[34:35], v[34:35], v[36:37]
	ds_load_b128 v[2:5], v1 offset:1408
	ds_load_b128 v[6:9], v1 offset:1424
	v_fma_f64 v[28:29], v[28:29], v[14:15], v[38:39]
	v_fma_f64 v[14:15], v[26:27], v[14:15], -v[16:17]
	s_wait_loadcnt_dscnt 0x201
	v_mul_f64_e32 v[36:37], v[2:3], v[20:21]
	v_mul_f64_e32 v[20:21], v[4:5], v[20:21]
	s_wait_loadcnt_dscnt 0x100
	v_mul_f64_e32 v[16:17], v[6:7], v[24:25]
	v_mul_f64_e32 v[24:25], v[8:9], v[24:25]
	v_add_f64_e32 v[10:11], v[12:13], v[10:11]
	v_add_f64_e32 v[12:13], v[34:35], v[40:41]
	v_fma_f64 v[4:5], v[4:5], v[18:19], v[36:37]
	v_fma_f64 v[1:2], v[2:3], v[18:19], -v[20:21]
	v_fma_f64 v[8:9], v[8:9], v[22:23], v[16:17]
	v_fma_f64 v[6:7], v[6:7], v[22:23], -v[24:25]
	v_add_f64_e32 v[10:11], v[10:11], v[14:15]
	v_add_f64_e32 v[12:13], v[12:13], v[28:29]
	s_delay_alu instid0(VALU_DEP_2) | instskip(NEXT) | instid1(VALU_DEP_2)
	v_add_f64_e32 v[1:2], v[10:11], v[1:2]
	v_add_f64_e32 v[3:4], v[12:13], v[4:5]
	s_delay_alu instid0(VALU_DEP_2) | instskip(NEXT) | instid1(VALU_DEP_2)
	v_add_f64_e32 v[1:2], v[1:2], v[6:7]
	v_add_f64_e32 v[3:4], v[3:4], v[8:9]
	s_wait_loadcnt 0x0
	s_delay_alu instid0(VALU_DEP_2) | instskip(NEXT) | instid1(VALU_DEP_2)
	v_add_f64_e64 v[1:2], v[30:31], -v[1:2]
	v_add_f64_e64 v[3:4], v[32:33], -v[3:4]
	scratch_store_b128 off, v[1:4], off offset:624
	v_cmpx_lt_u32_e32 37, v0
	s_cbranch_execz .LBB44_209
; %bb.208:
	scratch_load_b128 v[1:4], off, s10
	v_mov_b32_e32 v5, 0
	s_delay_alu instid0(VALU_DEP_1)
	v_dual_mov_b32 v6, v5 :: v_dual_mov_b32 v7, v5
	v_mov_b32_e32 v8, v5
	scratch_store_b128 off, v[5:8], off offset:608
	s_wait_loadcnt 0x0
	ds_store_b128 v136, v[1:4]
.LBB44_209:
	s_wait_alu 0xfffe
	s_or_b32 exec_lo, exec_lo, s0
	s_wait_storecnt_dscnt 0x0
	s_barrier_signal -1
	s_barrier_wait -1
	global_inv scope:SCOPE_SE
	s_clause 0x6
	scratch_load_b128 v[2:5], off, off offset:624
	scratch_load_b128 v[6:9], off, off offset:640
	;; [unrolled: 1-line block ×7, first 2 shown]
	v_mov_b32_e32 v1, 0
	scratch_load_b128 v[34:37], off, off offset:608
	s_mov_b32 s0, exec_lo
	ds_load_b128 v[30:33], v1 offset:1328
	ds_load_b128 v[38:41], v1 offset:1344
	s_wait_loadcnt_dscnt 0x701
	v_mul_f64_e32 v[42:43], v[32:33], v[4:5]
	v_mul_f64_e32 v[4:5], v[30:31], v[4:5]
	s_wait_loadcnt_dscnt 0x600
	v_mul_f64_e32 v[44:45], v[38:39], v[8:9]
	v_mul_f64_e32 v[8:9], v[40:41], v[8:9]
	s_delay_alu instid0(VALU_DEP_4) | instskip(NEXT) | instid1(VALU_DEP_4)
	v_fma_f64 v[42:43], v[30:31], v[2:3], -v[42:43]
	v_fma_f64 v[137:138], v[32:33], v[2:3], v[4:5]
	ds_load_b128 v[2:5], v1 offset:1360
	ds_load_b128 v[30:33], v1 offset:1376
	v_fma_f64 v[40:41], v[40:41], v[6:7], v[44:45]
	v_fma_f64 v[6:7], v[38:39], v[6:7], -v[8:9]
	s_wait_loadcnt_dscnt 0x501
	v_mul_f64_e32 v[139:140], v[2:3], v[12:13]
	v_mul_f64_e32 v[12:13], v[4:5], v[12:13]
	v_add_f64_e32 v[8:9], 0, v[42:43]
	v_add_f64_e32 v[38:39], 0, v[137:138]
	s_wait_loadcnt_dscnt 0x400
	v_mul_f64_e32 v[42:43], v[30:31], v[16:17]
	v_mul_f64_e32 v[16:17], v[32:33], v[16:17]
	v_fma_f64 v[44:45], v[4:5], v[10:11], v[139:140]
	v_fma_f64 v[10:11], v[2:3], v[10:11], -v[12:13]
	v_add_f64_e32 v[12:13], v[8:9], v[6:7]
	v_add_f64_e32 v[38:39], v[38:39], v[40:41]
	ds_load_b128 v[2:5], v1 offset:1392
	ds_load_b128 v[6:9], v1 offset:1408
	v_fma_f64 v[32:33], v[32:33], v[14:15], v[42:43]
	v_fma_f64 v[14:15], v[30:31], v[14:15], -v[16:17]
	s_wait_loadcnt_dscnt 0x301
	v_mul_f64_e32 v[40:41], v[2:3], v[20:21]
	v_mul_f64_e32 v[20:21], v[4:5], v[20:21]
	s_wait_loadcnt_dscnt 0x200
	v_mul_f64_e32 v[16:17], v[6:7], v[24:25]
	v_mul_f64_e32 v[24:25], v[8:9], v[24:25]
	v_add_f64_e32 v[10:11], v[12:13], v[10:11]
	v_add_f64_e32 v[12:13], v[38:39], v[44:45]
	v_fma_f64 v[30:31], v[4:5], v[18:19], v[40:41]
	v_fma_f64 v[18:19], v[2:3], v[18:19], -v[20:21]
	ds_load_b128 v[2:5], v1 offset:1424
	v_fma_f64 v[8:9], v[8:9], v[22:23], v[16:17]
	v_fma_f64 v[6:7], v[6:7], v[22:23], -v[24:25]
	v_add_f64_e32 v[10:11], v[10:11], v[14:15]
	v_add_f64_e32 v[12:13], v[12:13], v[32:33]
	s_wait_loadcnt_dscnt 0x100
	v_mul_f64_e32 v[14:15], v[2:3], v[28:29]
	v_mul_f64_e32 v[20:21], v[4:5], v[28:29]
	s_delay_alu instid0(VALU_DEP_4) | instskip(NEXT) | instid1(VALU_DEP_4)
	v_add_f64_e32 v[10:11], v[10:11], v[18:19]
	v_add_f64_e32 v[12:13], v[12:13], v[30:31]
	s_delay_alu instid0(VALU_DEP_4) | instskip(NEXT) | instid1(VALU_DEP_4)
	v_fma_f64 v[4:5], v[4:5], v[26:27], v[14:15]
	v_fma_f64 v[2:3], v[2:3], v[26:27], -v[20:21]
	s_delay_alu instid0(VALU_DEP_4) | instskip(NEXT) | instid1(VALU_DEP_4)
	v_add_f64_e32 v[6:7], v[10:11], v[6:7]
	v_add_f64_e32 v[8:9], v[12:13], v[8:9]
	s_delay_alu instid0(VALU_DEP_2) | instskip(NEXT) | instid1(VALU_DEP_2)
	v_add_f64_e32 v[2:3], v[6:7], v[2:3]
	v_add_f64_e32 v[4:5], v[8:9], v[4:5]
	s_wait_loadcnt 0x0
	s_delay_alu instid0(VALU_DEP_2) | instskip(NEXT) | instid1(VALU_DEP_2)
	v_add_f64_e64 v[2:3], v[34:35], -v[2:3]
	v_add_f64_e64 v[4:5], v[36:37], -v[4:5]
	scratch_store_b128 off, v[2:5], off offset:608
	v_cmpx_lt_u32_e32 36, v0
	s_cbranch_execz .LBB44_211
; %bb.210:
	scratch_load_b128 v[5:8], off, s11
	v_dual_mov_b32 v2, v1 :: v_dual_mov_b32 v3, v1
	v_mov_b32_e32 v4, v1
	scratch_store_b128 off, v[1:4], off offset:592
	s_wait_loadcnt 0x0
	ds_store_b128 v136, v[5:8]
.LBB44_211:
	s_wait_alu 0xfffe
	s_or_b32 exec_lo, exec_lo, s0
	s_wait_storecnt_dscnt 0x0
	s_barrier_signal -1
	s_barrier_wait -1
	global_inv scope:SCOPE_SE
	s_clause 0x7
	scratch_load_b128 v[2:5], off, off offset:608
	scratch_load_b128 v[6:9], off, off offset:624
	;; [unrolled: 1-line block ×8, first 2 shown]
	ds_load_b128 v[34:37], v1 offset:1312
	ds_load_b128 v[38:41], v1 offset:1328
	s_mov_b32 s0, exec_lo
	s_wait_loadcnt_dscnt 0x701
	v_mul_f64_e32 v[42:43], v[36:37], v[4:5]
	v_mul_f64_e32 v[4:5], v[34:35], v[4:5]
	s_wait_loadcnt_dscnt 0x600
	v_mul_f64_e32 v[44:45], v[38:39], v[8:9]
	v_mul_f64_e32 v[8:9], v[40:41], v[8:9]
	s_delay_alu instid0(VALU_DEP_4) | instskip(NEXT) | instid1(VALU_DEP_4)
	v_fma_f64 v[42:43], v[34:35], v[2:3], -v[42:43]
	v_fma_f64 v[137:138], v[36:37], v[2:3], v[4:5]
	ds_load_b128 v[2:5], v1 offset:1344
	scratch_load_b128 v[34:37], off, off offset:592
	v_fma_f64 v[40:41], v[40:41], v[6:7], v[44:45]
	v_fma_f64 v[38:39], v[38:39], v[6:7], -v[8:9]
	ds_load_b128 v[6:9], v1 offset:1360
	s_wait_loadcnt_dscnt 0x601
	v_mul_f64_e32 v[139:140], v[2:3], v[12:13]
	v_mul_f64_e32 v[12:13], v[4:5], v[12:13]
	v_add_f64_e32 v[42:43], 0, v[42:43]
	v_add_f64_e32 v[44:45], 0, v[137:138]
	s_wait_loadcnt_dscnt 0x500
	v_mul_f64_e32 v[137:138], v[6:7], v[16:17]
	v_mul_f64_e32 v[16:17], v[8:9], v[16:17]
	v_fma_f64 v[139:140], v[4:5], v[10:11], v[139:140]
	v_fma_f64 v[10:11], v[2:3], v[10:11], -v[12:13]
	ds_load_b128 v[2:5], v1 offset:1376
	v_add_f64_e32 v[12:13], v[42:43], v[38:39]
	v_add_f64_e32 v[38:39], v[44:45], v[40:41]
	v_fma_f64 v[42:43], v[8:9], v[14:15], v[137:138]
	v_fma_f64 v[14:15], v[6:7], v[14:15], -v[16:17]
	ds_load_b128 v[6:9], v1 offset:1392
	s_wait_loadcnt_dscnt 0x401
	v_mul_f64_e32 v[40:41], v[2:3], v[20:21]
	v_mul_f64_e32 v[20:21], v[4:5], v[20:21]
	s_wait_loadcnt_dscnt 0x300
	v_mul_f64_e32 v[16:17], v[6:7], v[24:25]
	v_mul_f64_e32 v[24:25], v[8:9], v[24:25]
	v_add_f64_e32 v[10:11], v[12:13], v[10:11]
	v_add_f64_e32 v[12:13], v[38:39], v[139:140]
	v_fma_f64 v[38:39], v[4:5], v[18:19], v[40:41]
	v_fma_f64 v[18:19], v[2:3], v[18:19], -v[20:21]
	ds_load_b128 v[2:5], v1 offset:1408
	v_fma_f64 v[16:17], v[8:9], v[22:23], v[16:17]
	v_fma_f64 v[22:23], v[6:7], v[22:23], -v[24:25]
	ds_load_b128 v[6:9], v1 offset:1424
	s_wait_loadcnt_dscnt 0x201
	v_mul_f64_e32 v[20:21], v[4:5], v[28:29]
	v_add_f64_e32 v[10:11], v[10:11], v[14:15]
	v_add_f64_e32 v[12:13], v[12:13], v[42:43]
	v_mul_f64_e32 v[14:15], v[2:3], v[28:29]
	s_wait_loadcnt_dscnt 0x100
	v_mul_f64_e32 v[24:25], v[8:9], v[32:33]
	v_fma_f64 v[1:2], v[2:3], v[26:27], -v[20:21]
	v_add_f64_e32 v[10:11], v[10:11], v[18:19]
	v_add_f64_e32 v[12:13], v[12:13], v[38:39]
	v_mul_f64_e32 v[18:19], v[6:7], v[32:33]
	v_fma_f64 v[4:5], v[4:5], v[26:27], v[14:15]
	v_fma_f64 v[6:7], v[6:7], v[30:31], -v[24:25]
	v_add_f64_e32 v[10:11], v[10:11], v[22:23]
	v_add_f64_e32 v[12:13], v[12:13], v[16:17]
	v_fma_f64 v[8:9], v[8:9], v[30:31], v[18:19]
	s_delay_alu instid0(VALU_DEP_3) | instskip(NEXT) | instid1(VALU_DEP_3)
	v_add_f64_e32 v[1:2], v[10:11], v[1:2]
	v_add_f64_e32 v[3:4], v[12:13], v[4:5]
	s_delay_alu instid0(VALU_DEP_2) | instskip(NEXT) | instid1(VALU_DEP_2)
	v_add_f64_e32 v[1:2], v[1:2], v[6:7]
	v_add_f64_e32 v[3:4], v[3:4], v[8:9]
	s_wait_loadcnt 0x0
	s_delay_alu instid0(VALU_DEP_2) | instskip(NEXT) | instid1(VALU_DEP_2)
	v_add_f64_e64 v[1:2], v[34:35], -v[1:2]
	v_add_f64_e64 v[3:4], v[36:37], -v[3:4]
	scratch_store_b128 off, v[1:4], off offset:592
	v_cmpx_lt_u32_e32 35, v0
	s_cbranch_execz .LBB44_213
; %bb.212:
	scratch_load_b128 v[1:4], off, s12
	v_mov_b32_e32 v5, 0
	s_delay_alu instid0(VALU_DEP_1)
	v_dual_mov_b32 v6, v5 :: v_dual_mov_b32 v7, v5
	v_mov_b32_e32 v8, v5
	scratch_store_b128 off, v[5:8], off offset:576
	s_wait_loadcnt 0x0
	ds_store_b128 v136, v[1:4]
.LBB44_213:
	s_wait_alu 0xfffe
	s_or_b32 exec_lo, exec_lo, s0
	s_wait_storecnt_dscnt 0x0
	s_barrier_signal -1
	s_barrier_wait -1
	global_inv scope:SCOPE_SE
	s_clause 0x7
	scratch_load_b128 v[2:5], off, off offset:592
	scratch_load_b128 v[6:9], off, off offset:608
	;; [unrolled: 1-line block ×8, first 2 shown]
	v_mov_b32_e32 v1, 0
	scratch_load_b128 v[38:41], off, off offset:720
	s_mov_b32 s0, exec_lo
	ds_load_b128 v[34:37], v1 offset:1296
	ds_load_b128 v[42:45], v1 offset:1312
	s_wait_loadcnt_dscnt 0x801
	v_mul_f64_e32 v[137:138], v[36:37], v[4:5]
	v_mul_f64_e32 v[4:5], v[34:35], v[4:5]
	s_wait_loadcnt_dscnt 0x700
	v_mul_f64_e32 v[139:140], v[42:43], v[8:9]
	v_mul_f64_e32 v[8:9], v[44:45], v[8:9]
	s_delay_alu instid0(VALU_DEP_4) | instskip(NEXT) | instid1(VALU_DEP_4)
	v_fma_f64 v[34:35], v[34:35], v[2:3], -v[137:138]
	v_fma_f64 v[36:37], v[36:37], v[2:3], v[4:5]
	ds_load_b128 v[2:5], v1 offset:1328
	v_fma_f64 v[44:45], v[44:45], v[6:7], v[139:140]
	v_fma_f64 v[42:43], v[42:43], v[6:7], -v[8:9]
	ds_load_b128 v[6:9], v1 offset:1344
	s_wait_loadcnt_dscnt 0x601
	v_mul_f64_e32 v[137:138], v[2:3], v[12:13]
	v_mul_f64_e32 v[12:13], v[4:5], v[12:13]
	s_wait_loadcnt_dscnt 0x500
	v_mul_f64_e32 v[143:144], v[6:7], v[16:17]
	v_mul_f64_e32 v[16:17], v[8:9], v[16:17]
	v_add_f64_e32 v[139:140], 0, v[34:35]
	v_add_f64_e32 v[141:142], 0, v[36:37]
	scratch_load_b128 v[34:37], off, off offset:576
	v_fma_f64 v[137:138], v[4:5], v[10:11], v[137:138]
	v_fma_f64 v[10:11], v[2:3], v[10:11], -v[12:13]
	ds_load_b128 v[2:5], v1 offset:1360
	v_add_f64_e32 v[12:13], v[139:140], v[42:43]
	v_add_f64_e32 v[42:43], v[141:142], v[44:45]
	v_fma_f64 v[139:140], v[8:9], v[14:15], v[143:144]
	v_fma_f64 v[14:15], v[6:7], v[14:15], -v[16:17]
	ds_load_b128 v[6:9], v1 offset:1376
	s_wait_loadcnt_dscnt 0x501
	v_mul_f64_e32 v[44:45], v[2:3], v[20:21]
	v_mul_f64_e32 v[20:21], v[4:5], v[20:21]
	s_wait_loadcnt_dscnt 0x400
	v_mul_f64_e32 v[16:17], v[6:7], v[24:25]
	v_mul_f64_e32 v[24:25], v[8:9], v[24:25]
	v_add_f64_e32 v[10:11], v[12:13], v[10:11]
	v_add_f64_e32 v[12:13], v[42:43], v[137:138]
	v_fma_f64 v[42:43], v[4:5], v[18:19], v[44:45]
	v_fma_f64 v[18:19], v[2:3], v[18:19], -v[20:21]
	ds_load_b128 v[2:5], v1 offset:1392
	v_fma_f64 v[16:17], v[8:9], v[22:23], v[16:17]
	v_fma_f64 v[22:23], v[6:7], v[22:23], -v[24:25]
	ds_load_b128 v[6:9], v1 offset:1408
	s_wait_loadcnt_dscnt 0x301
	v_mul_f64_e32 v[20:21], v[4:5], v[28:29]
	v_add_f64_e32 v[10:11], v[10:11], v[14:15]
	v_add_f64_e32 v[12:13], v[12:13], v[139:140]
	v_mul_f64_e32 v[14:15], v[2:3], v[28:29]
	s_wait_loadcnt_dscnt 0x200
	v_mul_f64_e32 v[24:25], v[8:9], v[32:33]
	v_fma_f64 v[20:21], v[2:3], v[26:27], -v[20:21]
	v_add_f64_e32 v[10:11], v[10:11], v[18:19]
	v_add_f64_e32 v[12:13], v[12:13], v[42:43]
	v_mul_f64_e32 v[18:19], v[6:7], v[32:33]
	v_fma_f64 v[14:15], v[4:5], v[26:27], v[14:15]
	ds_load_b128 v[2:5], v1 offset:1424
	v_fma_f64 v[6:7], v[6:7], v[30:31], -v[24:25]
	v_add_f64_e32 v[10:11], v[10:11], v[22:23]
	v_add_f64_e32 v[12:13], v[12:13], v[16:17]
	s_wait_loadcnt_dscnt 0x100
	v_mul_f64_e32 v[16:17], v[2:3], v[40:41]
	v_mul_f64_e32 v[22:23], v[4:5], v[40:41]
	v_fma_f64 v[8:9], v[8:9], v[30:31], v[18:19]
	v_add_f64_e32 v[10:11], v[10:11], v[20:21]
	v_add_f64_e32 v[12:13], v[12:13], v[14:15]
	v_fma_f64 v[4:5], v[4:5], v[38:39], v[16:17]
	v_fma_f64 v[2:3], v[2:3], v[38:39], -v[22:23]
	s_delay_alu instid0(VALU_DEP_4) | instskip(NEXT) | instid1(VALU_DEP_4)
	v_add_f64_e32 v[6:7], v[10:11], v[6:7]
	v_add_f64_e32 v[8:9], v[12:13], v[8:9]
	s_delay_alu instid0(VALU_DEP_2) | instskip(NEXT) | instid1(VALU_DEP_2)
	v_add_f64_e32 v[2:3], v[6:7], v[2:3]
	v_add_f64_e32 v[4:5], v[8:9], v[4:5]
	s_wait_loadcnt 0x0
	s_delay_alu instid0(VALU_DEP_2) | instskip(NEXT) | instid1(VALU_DEP_2)
	v_add_f64_e64 v[2:3], v[34:35], -v[2:3]
	v_add_f64_e64 v[4:5], v[36:37], -v[4:5]
	scratch_store_b128 off, v[2:5], off offset:576
	v_cmpx_lt_u32_e32 34, v0
	s_cbranch_execz .LBB44_215
; %bb.214:
	scratch_load_b128 v[5:8], off, s13
	v_dual_mov_b32 v2, v1 :: v_dual_mov_b32 v3, v1
	v_mov_b32_e32 v4, v1
	scratch_store_b128 off, v[1:4], off offset:560
	s_wait_loadcnt 0x0
	ds_store_b128 v136, v[5:8]
.LBB44_215:
	s_wait_alu 0xfffe
	s_or_b32 exec_lo, exec_lo, s0
	s_wait_storecnt_dscnt 0x0
	s_barrier_signal -1
	s_barrier_wait -1
	global_inv scope:SCOPE_SE
	s_clause 0x8
	scratch_load_b128 v[2:5], off, off offset:576
	scratch_load_b128 v[6:9], off, off offset:592
	;; [unrolled: 1-line block ×9, first 2 shown]
	ds_load_b128 v[38:41], v1 offset:1280
	ds_load_b128 v[42:45], v1 offset:1296
	s_clause 0x1
	scratch_load_b128 v[137:140], off, off offset:560
	scratch_load_b128 v[141:144], off, off offset:720
	s_mov_b32 s0, exec_lo
	s_wait_loadcnt_dscnt 0xa01
	v_mul_f64_e32 v[145:146], v[40:41], v[4:5]
	v_mul_f64_e32 v[4:5], v[38:39], v[4:5]
	s_wait_loadcnt_dscnt 0x900
	v_mul_f64_e32 v[147:148], v[42:43], v[8:9]
	v_mul_f64_e32 v[8:9], v[44:45], v[8:9]
	s_delay_alu instid0(VALU_DEP_4) | instskip(NEXT) | instid1(VALU_DEP_4)
	v_fma_f64 v[145:146], v[38:39], v[2:3], -v[145:146]
	v_fma_f64 v[149:150], v[40:41], v[2:3], v[4:5]
	ds_load_b128 v[2:5], v1 offset:1312
	ds_load_b128 v[38:41], v1 offset:1328
	v_fma_f64 v[44:45], v[44:45], v[6:7], v[147:148]
	v_fma_f64 v[6:7], v[42:43], v[6:7], -v[8:9]
	s_wait_loadcnt_dscnt 0x801
	v_mul_f64_e32 v[151:152], v[2:3], v[12:13]
	v_mul_f64_e32 v[12:13], v[4:5], v[12:13]
	v_add_f64_e32 v[8:9], 0, v[145:146]
	v_add_f64_e32 v[42:43], 0, v[149:150]
	s_wait_loadcnt_dscnt 0x700
	v_mul_f64_e32 v[145:146], v[38:39], v[16:17]
	v_mul_f64_e32 v[16:17], v[40:41], v[16:17]
	v_fma_f64 v[147:148], v[4:5], v[10:11], v[151:152]
	v_fma_f64 v[10:11], v[2:3], v[10:11], -v[12:13]
	v_add_f64_e32 v[12:13], v[8:9], v[6:7]
	v_add_f64_e32 v[42:43], v[42:43], v[44:45]
	ds_load_b128 v[2:5], v1 offset:1344
	ds_load_b128 v[6:9], v1 offset:1360
	v_fma_f64 v[40:41], v[40:41], v[14:15], v[145:146]
	v_fma_f64 v[14:15], v[38:39], v[14:15], -v[16:17]
	s_wait_loadcnt_dscnt 0x601
	v_mul_f64_e32 v[44:45], v[2:3], v[20:21]
	v_mul_f64_e32 v[20:21], v[4:5], v[20:21]
	s_wait_loadcnt_dscnt 0x500
	v_mul_f64_e32 v[16:17], v[6:7], v[24:25]
	v_mul_f64_e32 v[24:25], v[8:9], v[24:25]
	v_add_f64_e32 v[10:11], v[12:13], v[10:11]
	v_add_f64_e32 v[12:13], v[42:43], v[147:148]
	v_fma_f64 v[38:39], v[4:5], v[18:19], v[44:45]
	v_fma_f64 v[18:19], v[2:3], v[18:19], -v[20:21]
	v_fma_f64 v[8:9], v[8:9], v[22:23], v[16:17]
	v_fma_f64 v[6:7], v[6:7], v[22:23], -v[24:25]
	v_add_f64_e32 v[14:15], v[10:11], v[14:15]
	v_add_f64_e32 v[20:21], v[12:13], v[40:41]
	ds_load_b128 v[2:5], v1 offset:1376
	ds_load_b128 v[10:13], v1 offset:1392
	s_wait_loadcnt_dscnt 0x401
	v_mul_f64_e32 v[40:41], v[2:3], v[28:29]
	v_mul_f64_e32 v[28:29], v[4:5], v[28:29]
	v_add_f64_e32 v[14:15], v[14:15], v[18:19]
	v_add_f64_e32 v[16:17], v[20:21], v[38:39]
	s_wait_loadcnt_dscnt 0x300
	v_mul_f64_e32 v[18:19], v[10:11], v[32:33]
	v_mul_f64_e32 v[20:21], v[12:13], v[32:33]
	v_fma_f64 v[22:23], v[4:5], v[26:27], v[40:41]
	v_fma_f64 v[24:25], v[2:3], v[26:27], -v[28:29]
	v_add_f64_e32 v[14:15], v[14:15], v[6:7]
	v_add_f64_e32 v[16:17], v[16:17], v[8:9]
	ds_load_b128 v[2:5], v1 offset:1408
	ds_load_b128 v[6:9], v1 offset:1424
	v_fma_f64 v[12:13], v[12:13], v[30:31], v[18:19]
	v_fma_f64 v[10:11], v[10:11], v[30:31], -v[20:21]
	s_wait_loadcnt_dscnt 0x201
	v_mul_f64_e32 v[26:27], v[2:3], v[36:37]
	v_mul_f64_e32 v[28:29], v[4:5], v[36:37]
	s_wait_loadcnt_dscnt 0x0
	v_mul_f64_e32 v[18:19], v[6:7], v[143:144]
	v_mul_f64_e32 v[20:21], v[8:9], v[143:144]
	v_add_f64_e32 v[14:15], v[14:15], v[24:25]
	v_add_f64_e32 v[16:17], v[16:17], v[22:23]
	v_fma_f64 v[4:5], v[4:5], v[34:35], v[26:27]
	v_fma_f64 v[1:2], v[2:3], v[34:35], -v[28:29]
	v_fma_f64 v[8:9], v[8:9], v[141:142], v[18:19]
	v_fma_f64 v[6:7], v[6:7], v[141:142], -v[20:21]
	v_add_f64_e32 v[10:11], v[14:15], v[10:11]
	v_add_f64_e32 v[12:13], v[16:17], v[12:13]
	s_delay_alu instid0(VALU_DEP_2) | instskip(NEXT) | instid1(VALU_DEP_2)
	v_add_f64_e32 v[1:2], v[10:11], v[1:2]
	v_add_f64_e32 v[3:4], v[12:13], v[4:5]
	s_delay_alu instid0(VALU_DEP_2) | instskip(NEXT) | instid1(VALU_DEP_2)
	;; [unrolled: 3-line block ×3, first 2 shown]
	v_add_f64_e64 v[1:2], v[137:138], -v[1:2]
	v_add_f64_e64 v[3:4], v[139:140], -v[3:4]
	scratch_store_b128 off, v[1:4], off offset:560
	v_cmpx_lt_u32_e32 33, v0
	s_cbranch_execz .LBB44_217
; %bb.216:
	scratch_load_b128 v[1:4], off, s19
	v_mov_b32_e32 v5, 0
	s_delay_alu instid0(VALU_DEP_1)
	v_dual_mov_b32 v6, v5 :: v_dual_mov_b32 v7, v5
	v_mov_b32_e32 v8, v5
	scratch_store_b128 off, v[5:8], off offset:544
	s_wait_loadcnt 0x0
	ds_store_b128 v136, v[1:4]
.LBB44_217:
	s_wait_alu 0xfffe
	s_or_b32 exec_lo, exec_lo, s0
	s_wait_storecnt_dscnt 0x0
	s_barrier_signal -1
	s_barrier_wait -1
	global_inv scope:SCOPE_SE
	s_clause 0x7
	scratch_load_b128 v[2:5], off, off offset:560
	scratch_load_b128 v[6:9], off, off offset:576
	scratch_load_b128 v[10:13], off, off offset:592
	scratch_load_b128 v[14:17], off, off offset:608
	scratch_load_b128 v[18:21], off, off offset:624
	scratch_load_b128 v[22:25], off, off offset:640
	scratch_load_b128 v[26:29], off, off offset:656
	scratch_load_b128 v[30:33], off, off offset:672
	v_mov_b32_e32 v1, 0
	s_mov_b32 s0, exec_lo
	ds_load_b128 v[34:37], v1 offset:1264
	s_clause 0x1
	scratch_load_b128 v[38:41], off, off offset:688
	scratch_load_b128 v[42:45], off, off offset:544
	ds_load_b128 v[137:140], v1 offset:1280
	scratch_load_b128 v[141:144], off, off offset:704
	s_wait_loadcnt_dscnt 0xa01
	v_mul_f64_e32 v[145:146], v[36:37], v[4:5]
	v_mul_f64_e32 v[4:5], v[34:35], v[4:5]
	s_delay_alu instid0(VALU_DEP_2) | instskip(NEXT) | instid1(VALU_DEP_2)
	v_fma_f64 v[151:152], v[34:35], v[2:3], -v[145:146]
	v_fma_f64 v[153:154], v[36:37], v[2:3], v[4:5]
	ds_load_b128 v[2:5], v1 offset:1296
	s_wait_loadcnt_dscnt 0x901
	v_mul_f64_e32 v[149:150], v[137:138], v[8:9]
	v_mul_f64_e32 v[8:9], v[139:140], v[8:9]
	scratch_load_b128 v[34:37], off, off offset:720
	ds_load_b128 v[145:148], v1 offset:1312
	s_wait_loadcnt_dscnt 0x901
	v_mul_f64_e32 v[155:156], v[2:3], v[12:13]
	v_mul_f64_e32 v[12:13], v[4:5], v[12:13]
	v_fma_f64 v[139:140], v[139:140], v[6:7], v[149:150]
	v_fma_f64 v[6:7], v[137:138], v[6:7], -v[8:9]
	v_add_f64_e32 v[8:9], 0, v[151:152]
	v_add_f64_e32 v[137:138], 0, v[153:154]
	s_wait_loadcnt_dscnt 0x800
	v_mul_f64_e32 v[149:150], v[145:146], v[16:17]
	v_mul_f64_e32 v[16:17], v[147:148], v[16:17]
	v_fma_f64 v[151:152], v[4:5], v[10:11], v[155:156]
	v_fma_f64 v[10:11], v[2:3], v[10:11], -v[12:13]
	v_add_f64_e32 v[12:13], v[8:9], v[6:7]
	v_add_f64_e32 v[137:138], v[137:138], v[139:140]
	ds_load_b128 v[2:5], v1 offset:1328
	ds_load_b128 v[6:9], v1 offset:1344
	v_fma_f64 v[147:148], v[147:148], v[14:15], v[149:150]
	v_fma_f64 v[14:15], v[145:146], v[14:15], -v[16:17]
	s_wait_loadcnt_dscnt 0x701
	v_mul_f64_e32 v[139:140], v[2:3], v[20:21]
	v_mul_f64_e32 v[20:21], v[4:5], v[20:21]
	s_wait_loadcnt_dscnt 0x600
	v_mul_f64_e32 v[16:17], v[6:7], v[24:25]
	v_mul_f64_e32 v[24:25], v[8:9], v[24:25]
	v_add_f64_e32 v[10:11], v[12:13], v[10:11]
	v_add_f64_e32 v[12:13], v[137:138], v[151:152]
	v_fma_f64 v[137:138], v[4:5], v[18:19], v[139:140]
	v_fma_f64 v[18:19], v[2:3], v[18:19], -v[20:21]
	v_fma_f64 v[8:9], v[8:9], v[22:23], v[16:17]
	v_fma_f64 v[6:7], v[6:7], v[22:23], -v[24:25]
	v_add_f64_e32 v[14:15], v[10:11], v[14:15]
	v_add_f64_e32 v[20:21], v[12:13], v[147:148]
	ds_load_b128 v[2:5], v1 offset:1360
	ds_load_b128 v[10:13], v1 offset:1376
	s_wait_loadcnt_dscnt 0x501
	v_mul_f64_e32 v[139:140], v[2:3], v[28:29]
	v_mul_f64_e32 v[28:29], v[4:5], v[28:29]
	v_add_f64_e32 v[14:15], v[14:15], v[18:19]
	v_add_f64_e32 v[16:17], v[20:21], v[137:138]
	s_wait_loadcnt_dscnt 0x400
	v_mul_f64_e32 v[18:19], v[10:11], v[32:33]
	v_mul_f64_e32 v[20:21], v[12:13], v[32:33]
	v_fma_f64 v[22:23], v[4:5], v[26:27], v[139:140]
	v_fma_f64 v[24:25], v[2:3], v[26:27], -v[28:29]
	v_add_f64_e32 v[14:15], v[14:15], v[6:7]
	v_add_f64_e32 v[16:17], v[16:17], v[8:9]
	ds_load_b128 v[2:5], v1 offset:1392
	ds_load_b128 v[6:9], v1 offset:1408
	v_fma_f64 v[12:13], v[12:13], v[30:31], v[18:19]
	v_fma_f64 v[10:11], v[10:11], v[30:31], -v[20:21]
	s_wait_loadcnt_dscnt 0x301
	v_mul_f64_e32 v[26:27], v[2:3], v[40:41]
	v_mul_f64_e32 v[28:29], v[4:5], v[40:41]
	s_wait_loadcnt_dscnt 0x100
	v_mul_f64_e32 v[18:19], v[6:7], v[143:144]
	v_mul_f64_e32 v[20:21], v[8:9], v[143:144]
	v_add_f64_e32 v[14:15], v[14:15], v[24:25]
	v_add_f64_e32 v[16:17], v[16:17], v[22:23]
	v_fma_f64 v[22:23], v[4:5], v[38:39], v[26:27]
	v_fma_f64 v[24:25], v[2:3], v[38:39], -v[28:29]
	ds_load_b128 v[2:5], v1 offset:1424
	v_fma_f64 v[8:9], v[8:9], v[141:142], v[18:19]
	v_fma_f64 v[6:7], v[6:7], v[141:142], -v[20:21]
	v_add_f64_e32 v[10:11], v[14:15], v[10:11]
	v_add_f64_e32 v[12:13], v[16:17], v[12:13]
	s_wait_loadcnt_dscnt 0x0
	v_mul_f64_e32 v[14:15], v[2:3], v[36:37]
	v_mul_f64_e32 v[16:17], v[4:5], v[36:37]
	s_delay_alu instid0(VALU_DEP_4) | instskip(NEXT) | instid1(VALU_DEP_4)
	v_add_f64_e32 v[10:11], v[10:11], v[24:25]
	v_add_f64_e32 v[12:13], v[12:13], v[22:23]
	s_delay_alu instid0(VALU_DEP_4) | instskip(NEXT) | instid1(VALU_DEP_4)
	v_fma_f64 v[4:5], v[4:5], v[34:35], v[14:15]
	v_fma_f64 v[2:3], v[2:3], v[34:35], -v[16:17]
	s_delay_alu instid0(VALU_DEP_4) | instskip(NEXT) | instid1(VALU_DEP_4)
	v_add_f64_e32 v[6:7], v[10:11], v[6:7]
	v_add_f64_e32 v[8:9], v[12:13], v[8:9]
	s_delay_alu instid0(VALU_DEP_2) | instskip(NEXT) | instid1(VALU_DEP_2)
	v_add_f64_e32 v[2:3], v[6:7], v[2:3]
	v_add_f64_e32 v[4:5], v[8:9], v[4:5]
	s_delay_alu instid0(VALU_DEP_2) | instskip(NEXT) | instid1(VALU_DEP_2)
	v_add_f64_e64 v[2:3], v[42:43], -v[2:3]
	v_add_f64_e64 v[4:5], v[44:45], -v[4:5]
	scratch_store_b128 off, v[2:5], off offset:544
	v_cmpx_lt_u32_e32 32, v0
	s_cbranch_execz .LBB44_219
; %bb.218:
	scratch_load_b128 v[5:8], off, s23
	v_dual_mov_b32 v2, v1 :: v_dual_mov_b32 v3, v1
	v_mov_b32_e32 v4, v1
	scratch_store_b128 off, v[1:4], off offset:528
	s_wait_loadcnt 0x0
	ds_store_b128 v136, v[5:8]
.LBB44_219:
	s_wait_alu 0xfffe
	s_or_b32 exec_lo, exec_lo, s0
	s_wait_storecnt_dscnt 0x0
	s_barrier_signal -1
	s_barrier_wait -1
	global_inv scope:SCOPE_SE
	s_clause 0x8
	scratch_load_b128 v[2:5], off, off offset:544
	scratch_load_b128 v[6:9], off, off offset:560
	scratch_load_b128 v[10:13], off, off offset:576
	scratch_load_b128 v[14:17], off, off offset:592
	scratch_load_b128 v[18:21], off, off offset:608
	scratch_load_b128 v[22:25], off, off offset:624
	scratch_load_b128 v[26:29], off, off offset:640
	scratch_load_b128 v[30:33], off, off offset:656
	scratch_load_b128 v[34:37], off, off offset:672
	ds_load_b128 v[38:41], v1 offset:1248
	ds_load_b128 v[42:45], v1 offset:1264
	s_clause 0x1
	scratch_load_b128 v[137:140], off, off offset:528
	scratch_load_b128 v[141:144], off, off offset:688
	s_mov_b32 s0, exec_lo
	s_wait_loadcnt_dscnt 0xa01
	v_mul_f64_e32 v[145:146], v[40:41], v[4:5]
	v_mul_f64_e32 v[4:5], v[38:39], v[4:5]
	s_wait_loadcnt_dscnt 0x900
	v_mul_f64_e32 v[149:150], v[42:43], v[8:9]
	v_mul_f64_e32 v[8:9], v[44:45], v[8:9]
	s_delay_alu instid0(VALU_DEP_4) | instskip(NEXT) | instid1(VALU_DEP_4)
	v_fma_f64 v[151:152], v[38:39], v[2:3], -v[145:146]
	v_fma_f64 v[153:154], v[40:41], v[2:3], v[4:5]
	ds_load_b128 v[2:5], v1 offset:1280
	ds_load_b128 v[145:148], v1 offset:1296
	scratch_load_b128 v[38:41], off, off offset:704
	v_fma_f64 v[44:45], v[44:45], v[6:7], v[149:150]
	v_fma_f64 v[42:43], v[42:43], v[6:7], -v[8:9]
	scratch_load_b128 v[6:9], off, off offset:720
	s_wait_loadcnt_dscnt 0xa01
	v_mul_f64_e32 v[155:156], v[2:3], v[12:13]
	v_mul_f64_e32 v[12:13], v[4:5], v[12:13]
	v_add_f64_e32 v[149:150], 0, v[151:152]
	v_add_f64_e32 v[151:152], 0, v[153:154]
	s_wait_loadcnt_dscnt 0x900
	v_mul_f64_e32 v[153:154], v[145:146], v[16:17]
	v_mul_f64_e32 v[16:17], v[147:148], v[16:17]
	v_fma_f64 v[155:156], v[4:5], v[10:11], v[155:156]
	v_fma_f64 v[157:158], v[2:3], v[10:11], -v[12:13]
	ds_load_b128 v[2:5], v1 offset:1312
	ds_load_b128 v[10:13], v1 offset:1328
	v_add_f64_e32 v[42:43], v[149:150], v[42:43]
	v_add_f64_e32 v[44:45], v[151:152], v[44:45]
	v_fma_f64 v[147:148], v[147:148], v[14:15], v[153:154]
	v_fma_f64 v[14:15], v[145:146], v[14:15], -v[16:17]
	s_wait_loadcnt_dscnt 0x801
	v_mul_f64_e32 v[149:150], v[2:3], v[20:21]
	v_mul_f64_e32 v[20:21], v[4:5], v[20:21]
	v_add_f64_e32 v[16:17], v[42:43], v[157:158]
	v_add_f64_e32 v[42:43], v[44:45], v[155:156]
	s_wait_loadcnt_dscnt 0x700
	v_mul_f64_e32 v[44:45], v[10:11], v[24:25]
	v_mul_f64_e32 v[24:25], v[12:13], v[24:25]
	v_fma_f64 v[145:146], v[4:5], v[18:19], v[149:150]
	v_fma_f64 v[18:19], v[2:3], v[18:19], -v[20:21]
	v_add_f64_e32 v[20:21], v[16:17], v[14:15]
	v_add_f64_e32 v[42:43], v[42:43], v[147:148]
	ds_load_b128 v[2:5], v1 offset:1344
	ds_load_b128 v[14:17], v1 offset:1360
	v_fma_f64 v[12:13], v[12:13], v[22:23], v[44:45]
	v_fma_f64 v[10:11], v[10:11], v[22:23], -v[24:25]
	s_wait_loadcnt_dscnt 0x601
	v_mul_f64_e32 v[147:148], v[2:3], v[28:29]
	v_mul_f64_e32 v[28:29], v[4:5], v[28:29]
	s_wait_loadcnt_dscnt 0x500
	v_mul_f64_e32 v[22:23], v[14:15], v[32:33]
	v_mul_f64_e32 v[24:25], v[16:17], v[32:33]
	v_add_f64_e32 v[18:19], v[20:21], v[18:19]
	v_add_f64_e32 v[20:21], v[42:43], v[145:146]
	v_fma_f64 v[32:33], v[4:5], v[26:27], v[147:148]
	v_fma_f64 v[26:27], v[2:3], v[26:27], -v[28:29]
	v_fma_f64 v[16:17], v[16:17], v[30:31], v[22:23]
	v_fma_f64 v[14:15], v[14:15], v[30:31], -v[24:25]
	v_add_f64_e32 v[18:19], v[18:19], v[10:11]
	v_add_f64_e32 v[20:21], v[20:21], v[12:13]
	ds_load_b128 v[2:5], v1 offset:1376
	ds_load_b128 v[10:13], v1 offset:1392
	s_wait_loadcnt_dscnt 0x401
	v_mul_f64_e32 v[28:29], v[2:3], v[36:37]
	v_mul_f64_e32 v[36:37], v[4:5], v[36:37]
	s_wait_loadcnt_dscnt 0x200
	v_mul_f64_e32 v[22:23], v[10:11], v[143:144]
	v_mul_f64_e32 v[24:25], v[12:13], v[143:144]
	v_add_f64_e32 v[18:19], v[18:19], v[26:27]
	v_add_f64_e32 v[20:21], v[20:21], v[32:33]
	v_fma_f64 v[26:27], v[4:5], v[34:35], v[28:29]
	v_fma_f64 v[28:29], v[2:3], v[34:35], -v[36:37]
	v_fma_f64 v[12:13], v[12:13], v[141:142], v[22:23]
	v_fma_f64 v[10:11], v[10:11], v[141:142], -v[24:25]
	v_add_f64_e32 v[18:19], v[18:19], v[14:15]
	v_add_f64_e32 v[20:21], v[20:21], v[16:17]
	ds_load_b128 v[2:5], v1 offset:1408
	ds_load_b128 v[14:17], v1 offset:1424
	s_wait_loadcnt_dscnt 0x101
	v_mul_f64_e32 v[30:31], v[2:3], v[40:41]
	v_mul_f64_e32 v[32:33], v[4:5], v[40:41]
	s_wait_loadcnt_dscnt 0x0
	v_mul_f64_e32 v[22:23], v[14:15], v[8:9]
	v_mul_f64_e32 v[8:9], v[16:17], v[8:9]
	v_add_f64_e32 v[18:19], v[18:19], v[28:29]
	v_add_f64_e32 v[20:21], v[20:21], v[26:27]
	v_fma_f64 v[4:5], v[4:5], v[38:39], v[30:31]
	v_fma_f64 v[1:2], v[2:3], v[38:39], -v[32:33]
	v_fma_f64 v[16:17], v[16:17], v[6:7], v[22:23]
	v_fma_f64 v[6:7], v[14:15], v[6:7], -v[8:9]
	v_add_f64_e32 v[10:11], v[18:19], v[10:11]
	v_add_f64_e32 v[12:13], v[20:21], v[12:13]
	s_delay_alu instid0(VALU_DEP_2) | instskip(NEXT) | instid1(VALU_DEP_2)
	v_add_f64_e32 v[1:2], v[10:11], v[1:2]
	v_add_f64_e32 v[3:4], v[12:13], v[4:5]
	s_delay_alu instid0(VALU_DEP_2) | instskip(NEXT) | instid1(VALU_DEP_2)
	v_add_f64_e32 v[1:2], v[1:2], v[6:7]
	v_add_f64_e32 v[3:4], v[3:4], v[16:17]
	s_delay_alu instid0(VALU_DEP_2) | instskip(NEXT) | instid1(VALU_DEP_2)
	v_add_f64_e64 v[1:2], v[137:138], -v[1:2]
	v_add_f64_e64 v[3:4], v[139:140], -v[3:4]
	scratch_store_b128 off, v[1:4], off offset:528
	v_cmpx_lt_u32_e32 31, v0
	s_cbranch_execz .LBB44_221
; %bb.220:
	scratch_load_b128 v[1:4], off, s26
	v_mov_b32_e32 v5, 0
	s_delay_alu instid0(VALU_DEP_1)
	v_dual_mov_b32 v6, v5 :: v_dual_mov_b32 v7, v5
	v_mov_b32_e32 v8, v5
	scratch_store_b128 off, v[5:8], off offset:512
	s_wait_loadcnt 0x0
	ds_store_b128 v136, v[1:4]
.LBB44_221:
	s_wait_alu 0xfffe
	s_or_b32 exec_lo, exec_lo, s0
	s_wait_storecnt_dscnt 0x0
	s_barrier_signal -1
	s_barrier_wait -1
	global_inv scope:SCOPE_SE
	s_clause 0x7
	scratch_load_b128 v[2:5], off, off offset:528
	scratch_load_b128 v[6:9], off, off offset:544
	;; [unrolled: 1-line block ×8, first 2 shown]
	v_mov_b32_e32 v1, 0
	s_mov_b32 s0, exec_lo
	ds_load_b128 v[34:37], v1 offset:1232
	s_clause 0x1
	scratch_load_b128 v[38:41], off, off offset:656
	scratch_load_b128 v[42:45], off, off offset:512
	ds_load_b128 v[137:140], v1 offset:1248
	scratch_load_b128 v[141:144], off, off offset:672
	s_wait_loadcnt_dscnt 0xa01
	v_mul_f64_e32 v[145:146], v[36:37], v[4:5]
	v_mul_f64_e32 v[4:5], v[34:35], v[4:5]
	s_delay_alu instid0(VALU_DEP_2) | instskip(NEXT) | instid1(VALU_DEP_2)
	v_fma_f64 v[151:152], v[34:35], v[2:3], -v[145:146]
	v_fma_f64 v[153:154], v[36:37], v[2:3], v[4:5]
	ds_load_b128 v[2:5], v1 offset:1264
	s_wait_loadcnt_dscnt 0x901
	v_mul_f64_e32 v[149:150], v[137:138], v[8:9]
	v_mul_f64_e32 v[8:9], v[139:140], v[8:9]
	scratch_load_b128 v[34:37], off, off offset:688
	ds_load_b128 v[145:148], v1 offset:1280
	s_wait_loadcnt_dscnt 0x901
	v_mul_f64_e32 v[155:156], v[2:3], v[12:13]
	v_mul_f64_e32 v[12:13], v[4:5], v[12:13]
	v_fma_f64 v[139:140], v[139:140], v[6:7], v[149:150]
	v_fma_f64 v[137:138], v[137:138], v[6:7], -v[8:9]
	v_add_f64_e32 v[149:150], 0, v[151:152]
	v_add_f64_e32 v[151:152], 0, v[153:154]
	scratch_load_b128 v[6:9], off, off offset:704
	v_fma_f64 v[155:156], v[4:5], v[10:11], v[155:156]
	v_fma_f64 v[157:158], v[2:3], v[10:11], -v[12:13]
	ds_load_b128 v[2:5], v1 offset:1296
	s_wait_loadcnt_dscnt 0x901
	v_mul_f64_e32 v[153:154], v[145:146], v[16:17]
	v_mul_f64_e32 v[16:17], v[147:148], v[16:17]
	scratch_load_b128 v[10:13], off, off offset:720
	v_add_f64_e32 v[149:150], v[149:150], v[137:138]
	v_add_f64_e32 v[151:152], v[151:152], v[139:140]
	s_wait_loadcnt_dscnt 0x900
	v_mul_f64_e32 v[159:160], v[2:3], v[20:21]
	v_mul_f64_e32 v[20:21], v[4:5], v[20:21]
	ds_load_b128 v[137:140], v1 offset:1312
	v_fma_f64 v[147:148], v[147:148], v[14:15], v[153:154]
	v_fma_f64 v[14:15], v[145:146], v[14:15], -v[16:17]
	v_add_f64_e32 v[16:17], v[149:150], v[157:158]
	v_add_f64_e32 v[145:146], v[151:152], v[155:156]
	s_wait_loadcnt_dscnt 0x800
	v_mul_f64_e32 v[149:150], v[137:138], v[24:25]
	v_mul_f64_e32 v[24:25], v[139:140], v[24:25]
	v_fma_f64 v[151:152], v[4:5], v[18:19], v[159:160]
	v_fma_f64 v[18:19], v[2:3], v[18:19], -v[20:21]
	v_add_f64_e32 v[20:21], v[16:17], v[14:15]
	v_add_f64_e32 v[145:146], v[145:146], v[147:148]
	ds_load_b128 v[2:5], v1 offset:1328
	ds_load_b128 v[14:17], v1 offset:1344
	v_fma_f64 v[139:140], v[139:140], v[22:23], v[149:150]
	v_fma_f64 v[22:23], v[137:138], v[22:23], -v[24:25]
	s_wait_loadcnt_dscnt 0x701
	v_mul_f64_e32 v[147:148], v[2:3], v[28:29]
	v_mul_f64_e32 v[28:29], v[4:5], v[28:29]
	s_wait_loadcnt_dscnt 0x600
	v_mul_f64_e32 v[24:25], v[14:15], v[32:33]
	v_mul_f64_e32 v[32:33], v[16:17], v[32:33]
	v_add_f64_e32 v[18:19], v[20:21], v[18:19]
	v_add_f64_e32 v[20:21], v[145:146], v[151:152]
	v_fma_f64 v[137:138], v[4:5], v[26:27], v[147:148]
	v_fma_f64 v[26:27], v[2:3], v[26:27], -v[28:29]
	v_fma_f64 v[16:17], v[16:17], v[30:31], v[24:25]
	v_fma_f64 v[14:15], v[14:15], v[30:31], -v[32:33]
	v_add_f64_e32 v[22:23], v[18:19], v[22:23]
	v_add_f64_e32 v[28:29], v[20:21], v[139:140]
	ds_load_b128 v[2:5], v1 offset:1360
	ds_load_b128 v[18:21], v1 offset:1376
	s_wait_loadcnt_dscnt 0x501
	v_mul_f64_e32 v[139:140], v[2:3], v[40:41]
	v_mul_f64_e32 v[40:41], v[4:5], v[40:41]
	v_add_f64_e32 v[22:23], v[22:23], v[26:27]
	v_add_f64_e32 v[24:25], v[28:29], v[137:138]
	s_wait_loadcnt_dscnt 0x300
	v_mul_f64_e32 v[26:27], v[18:19], v[143:144]
	v_mul_f64_e32 v[28:29], v[20:21], v[143:144]
	v_fma_f64 v[30:31], v[4:5], v[38:39], v[139:140]
	v_fma_f64 v[32:33], v[2:3], v[38:39], -v[40:41]
	v_add_f64_e32 v[22:23], v[22:23], v[14:15]
	v_add_f64_e32 v[24:25], v[24:25], v[16:17]
	ds_load_b128 v[2:5], v1 offset:1392
	ds_load_b128 v[14:17], v1 offset:1408
	v_fma_f64 v[20:21], v[20:21], v[141:142], v[26:27]
	v_fma_f64 v[18:19], v[18:19], v[141:142], -v[28:29]
	s_wait_loadcnt_dscnt 0x201
	v_mul_f64_e32 v[38:39], v[2:3], v[36:37]
	v_mul_f64_e32 v[36:37], v[4:5], v[36:37]
	v_add_f64_e32 v[22:23], v[22:23], v[32:33]
	v_add_f64_e32 v[24:25], v[24:25], v[30:31]
	s_wait_loadcnt_dscnt 0x100
	v_mul_f64_e32 v[26:27], v[14:15], v[8:9]
	v_mul_f64_e32 v[8:9], v[16:17], v[8:9]
	v_fma_f64 v[28:29], v[4:5], v[34:35], v[38:39]
	v_fma_f64 v[30:31], v[2:3], v[34:35], -v[36:37]
	ds_load_b128 v[2:5], v1 offset:1424
	v_add_f64_e32 v[18:19], v[22:23], v[18:19]
	v_add_f64_e32 v[20:21], v[24:25], v[20:21]
	s_wait_loadcnt_dscnt 0x0
	v_mul_f64_e32 v[22:23], v[2:3], v[12:13]
	v_mul_f64_e32 v[12:13], v[4:5], v[12:13]
	v_fma_f64 v[16:17], v[16:17], v[6:7], v[26:27]
	v_fma_f64 v[6:7], v[14:15], v[6:7], -v[8:9]
	v_add_f64_e32 v[8:9], v[18:19], v[30:31]
	v_add_f64_e32 v[14:15], v[20:21], v[28:29]
	v_fma_f64 v[4:5], v[4:5], v[10:11], v[22:23]
	v_fma_f64 v[2:3], v[2:3], v[10:11], -v[12:13]
	s_delay_alu instid0(VALU_DEP_4) | instskip(NEXT) | instid1(VALU_DEP_4)
	v_add_f64_e32 v[6:7], v[8:9], v[6:7]
	v_add_f64_e32 v[8:9], v[14:15], v[16:17]
	s_delay_alu instid0(VALU_DEP_2) | instskip(NEXT) | instid1(VALU_DEP_2)
	v_add_f64_e32 v[2:3], v[6:7], v[2:3]
	v_add_f64_e32 v[4:5], v[8:9], v[4:5]
	s_delay_alu instid0(VALU_DEP_2) | instskip(NEXT) | instid1(VALU_DEP_2)
	v_add_f64_e64 v[2:3], v[42:43], -v[2:3]
	v_add_f64_e64 v[4:5], v[44:45], -v[4:5]
	scratch_store_b128 off, v[2:5], off offset:512
	v_cmpx_lt_u32_e32 30, v0
	s_cbranch_execz .LBB44_223
; %bb.222:
	scratch_load_b128 v[5:8], off, s27
	v_dual_mov_b32 v2, v1 :: v_dual_mov_b32 v3, v1
	v_mov_b32_e32 v4, v1
	scratch_store_b128 off, v[1:4], off offset:496
	s_wait_loadcnt 0x0
	ds_store_b128 v136, v[5:8]
.LBB44_223:
	s_wait_alu 0xfffe
	s_or_b32 exec_lo, exec_lo, s0
	s_wait_storecnt_dscnt 0x0
	s_barrier_signal -1
	s_barrier_wait -1
	global_inv scope:SCOPE_SE
	s_clause 0x8
	scratch_load_b128 v[2:5], off, off offset:512
	scratch_load_b128 v[6:9], off, off offset:528
	;; [unrolled: 1-line block ×9, first 2 shown]
	ds_load_b128 v[38:41], v1 offset:1216
	ds_load_b128 v[42:45], v1 offset:1232
	s_clause 0x1
	scratch_load_b128 v[137:140], off, off offset:496
	scratch_load_b128 v[141:144], off, off offset:656
	s_mov_b32 s0, exec_lo
	s_wait_loadcnt_dscnt 0xa01
	v_mul_f64_e32 v[145:146], v[40:41], v[4:5]
	v_mul_f64_e32 v[4:5], v[38:39], v[4:5]
	s_wait_loadcnt_dscnt 0x900
	v_mul_f64_e32 v[149:150], v[42:43], v[8:9]
	v_mul_f64_e32 v[8:9], v[44:45], v[8:9]
	s_delay_alu instid0(VALU_DEP_4) | instskip(NEXT) | instid1(VALU_DEP_4)
	v_fma_f64 v[151:152], v[38:39], v[2:3], -v[145:146]
	v_fma_f64 v[153:154], v[40:41], v[2:3], v[4:5]
	ds_load_b128 v[2:5], v1 offset:1248
	ds_load_b128 v[145:148], v1 offset:1264
	scratch_load_b128 v[38:41], off, off offset:672
	v_fma_f64 v[44:45], v[44:45], v[6:7], v[149:150]
	v_fma_f64 v[42:43], v[42:43], v[6:7], -v[8:9]
	scratch_load_b128 v[6:9], off, off offset:688
	s_wait_loadcnt_dscnt 0xa01
	v_mul_f64_e32 v[155:156], v[2:3], v[12:13]
	v_mul_f64_e32 v[12:13], v[4:5], v[12:13]
	v_add_f64_e32 v[149:150], 0, v[151:152]
	v_add_f64_e32 v[151:152], 0, v[153:154]
	s_wait_loadcnt_dscnt 0x900
	v_mul_f64_e32 v[153:154], v[145:146], v[16:17]
	v_mul_f64_e32 v[16:17], v[147:148], v[16:17]
	v_fma_f64 v[155:156], v[4:5], v[10:11], v[155:156]
	v_fma_f64 v[157:158], v[2:3], v[10:11], -v[12:13]
	ds_load_b128 v[2:5], v1 offset:1280
	scratch_load_b128 v[10:13], off, off offset:704
	v_add_f64_e32 v[149:150], v[149:150], v[42:43]
	v_add_f64_e32 v[151:152], v[151:152], v[44:45]
	ds_load_b128 v[42:45], v1 offset:1296
	v_fma_f64 v[147:148], v[147:148], v[14:15], v[153:154]
	v_fma_f64 v[145:146], v[145:146], v[14:15], -v[16:17]
	scratch_load_b128 v[14:17], off, off offset:720
	s_wait_loadcnt_dscnt 0xa01
	v_mul_f64_e32 v[159:160], v[2:3], v[20:21]
	v_mul_f64_e32 v[20:21], v[4:5], v[20:21]
	s_wait_loadcnt_dscnt 0x900
	v_mul_f64_e32 v[153:154], v[42:43], v[24:25]
	v_mul_f64_e32 v[24:25], v[44:45], v[24:25]
	v_add_f64_e32 v[149:150], v[149:150], v[157:158]
	v_add_f64_e32 v[151:152], v[151:152], v[155:156]
	v_fma_f64 v[155:156], v[4:5], v[18:19], v[159:160]
	v_fma_f64 v[157:158], v[2:3], v[18:19], -v[20:21]
	ds_load_b128 v[2:5], v1 offset:1312
	ds_load_b128 v[18:21], v1 offset:1328
	v_fma_f64 v[44:45], v[44:45], v[22:23], v[153:154]
	v_fma_f64 v[22:23], v[42:43], v[22:23], -v[24:25]
	v_add_f64_e32 v[145:146], v[149:150], v[145:146]
	v_add_f64_e32 v[147:148], v[151:152], v[147:148]
	s_wait_loadcnt_dscnt 0x801
	v_mul_f64_e32 v[149:150], v[2:3], v[28:29]
	v_mul_f64_e32 v[28:29], v[4:5], v[28:29]
	s_delay_alu instid0(VALU_DEP_4) | instskip(NEXT) | instid1(VALU_DEP_4)
	v_add_f64_e32 v[24:25], v[145:146], v[157:158]
	v_add_f64_e32 v[42:43], v[147:148], v[155:156]
	s_wait_loadcnt_dscnt 0x700
	v_mul_f64_e32 v[145:146], v[18:19], v[32:33]
	v_mul_f64_e32 v[32:33], v[20:21], v[32:33]
	v_fma_f64 v[147:148], v[4:5], v[26:27], v[149:150]
	v_fma_f64 v[26:27], v[2:3], v[26:27], -v[28:29]
	v_add_f64_e32 v[28:29], v[24:25], v[22:23]
	v_add_f64_e32 v[42:43], v[42:43], v[44:45]
	ds_load_b128 v[2:5], v1 offset:1344
	ds_load_b128 v[22:25], v1 offset:1360
	v_fma_f64 v[20:21], v[20:21], v[30:31], v[145:146]
	v_fma_f64 v[18:19], v[18:19], v[30:31], -v[32:33]
	s_wait_loadcnt_dscnt 0x601
	v_mul_f64_e32 v[44:45], v[2:3], v[36:37]
	v_mul_f64_e32 v[36:37], v[4:5], v[36:37]
	s_wait_loadcnt_dscnt 0x400
	v_mul_f64_e32 v[30:31], v[22:23], v[143:144]
	v_mul_f64_e32 v[32:33], v[24:25], v[143:144]
	v_add_f64_e32 v[26:27], v[28:29], v[26:27]
	v_add_f64_e32 v[28:29], v[42:43], v[147:148]
	v_fma_f64 v[42:43], v[4:5], v[34:35], v[44:45]
	v_fma_f64 v[34:35], v[2:3], v[34:35], -v[36:37]
	v_fma_f64 v[24:25], v[24:25], v[141:142], v[30:31]
	v_fma_f64 v[22:23], v[22:23], v[141:142], -v[32:33]
	v_add_f64_e32 v[26:27], v[26:27], v[18:19]
	v_add_f64_e32 v[28:29], v[28:29], v[20:21]
	ds_load_b128 v[2:5], v1 offset:1376
	ds_load_b128 v[18:21], v1 offset:1392
	s_wait_loadcnt_dscnt 0x301
	v_mul_f64_e32 v[36:37], v[2:3], v[40:41]
	v_mul_f64_e32 v[40:41], v[4:5], v[40:41]
	s_wait_loadcnt_dscnt 0x200
	v_mul_f64_e32 v[30:31], v[18:19], v[8:9]
	v_mul_f64_e32 v[8:9], v[20:21], v[8:9]
	v_add_f64_e32 v[26:27], v[26:27], v[34:35]
	v_add_f64_e32 v[28:29], v[28:29], v[42:43]
	v_fma_f64 v[32:33], v[4:5], v[38:39], v[36:37]
	v_fma_f64 v[34:35], v[2:3], v[38:39], -v[40:41]
	v_fma_f64 v[20:21], v[20:21], v[6:7], v[30:31]
	v_fma_f64 v[6:7], v[18:19], v[6:7], -v[8:9]
	v_add_f64_e32 v[26:27], v[26:27], v[22:23]
	v_add_f64_e32 v[28:29], v[28:29], v[24:25]
	ds_load_b128 v[2:5], v1 offset:1408
	ds_load_b128 v[22:25], v1 offset:1424
	s_wait_loadcnt_dscnt 0x101
	v_mul_f64_e32 v[36:37], v[2:3], v[12:13]
	v_mul_f64_e32 v[12:13], v[4:5], v[12:13]
	v_add_f64_e32 v[8:9], v[26:27], v[34:35]
	v_add_f64_e32 v[18:19], v[28:29], v[32:33]
	s_wait_loadcnt_dscnt 0x0
	v_mul_f64_e32 v[26:27], v[22:23], v[16:17]
	v_mul_f64_e32 v[16:17], v[24:25], v[16:17]
	v_fma_f64 v[4:5], v[4:5], v[10:11], v[36:37]
	v_fma_f64 v[1:2], v[2:3], v[10:11], -v[12:13]
	v_add_f64_e32 v[6:7], v[8:9], v[6:7]
	v_add_f64_e32 v[8:9], v[18:19], v[20:21]
	v_fma_f64 v[10:11], v[24:25], v[14:15], v[26:27]
	v_fma_f64 v[12:13], v[22:23], v[14:15], -v[16:17]
	s_delay_alu instid0(VALU_DEP_4) | instskip(NEXT) | instid1(VALU_DEP_4)
	v_add_f64_e32 v[1:2], v[6:7], v[1:2]
	v_add_f64_e32 v[3:4], v[8:9], v[4:5]
	s_delay_alu instid0(VALU_DEP_2) | instskip(NEXT) | instid1(VALU_DEP_2)
	v_add_f64_e32 v[1:2], v[1:2], v[12:13]
	v_add_f64_e32 v[3:4], v[3:4], v[10:11]
	s_delay_alu instid0(VALU_DEP_2) | instskip(NEXT) | instid1(VALU_DEP_2)
	v_add_f64_e64 v[1:2], v[137:138], -v[1:2]
	v_add_f64_e64 v[3:4], v[139:140], -v[3:4]
	scratch_store_b128 off, v[1:4], off offset:496
	v_cmpx_lt_u32_e32 29, v0
	s_cbranch_execz .LBB44_225
; %bb.224:
	scratch_load_b128 v[1:4], off, s28
	v_mov_b32_e32 v5, 0
	s_delay_alu instid0(VALU_DEP_1)
	v_dual_mov_b32 v6, v5 :: v_dual_mov_b32 v7, v5
	v_mov_b32_e32 v8, v5
	scratch_store_b128 off, v[5:8], off offset:480
	s_wait_loadcnt 0x0
	ds_store_b128 v136, v[1:4]
.LBB44_225:
	s_wait_alu 0xfffe
	s_or_b32 exec_lo, exec_lo, s0
	s_wait_storecnt_dscnt 0x0
	s_barrier_signal -1
	s_barrier_wait -1
	global_inv scope:SCOPE_SE
	s_clause 0x7
	scratch_load_b128 v[2:5], off, off offset:496
	scratch_load_b128 v[6:9], off, off offset:512
	;; [unrolled: 1-line block ×8, first 2 shown]
	v_mov_b32_e32 v1, 0
	s_mov_b32 s0, exec_lo
	ds_load_b128 v[34:37], v1 offset:1200
	s_clause 0x1
	scratch_load_b128 v[38:41], off, off offset:624
	scratch_load_b128 v[42:45], off, off offset:480
	ds_load_b128 v[137:140], v1 offset:1216
	scratch_load_b128 v[141:144], off, off offset:640
	s_wait_loadcnt_dscnt 0xa01
	v_mul_f64_e32 v[145:146], v[36:37], v[4:5]
	v_mul_f64_e32 v[4:5], v[34:35], v[4:5]
	s_delay_alu instid0(VALU_DEP_2) | instskip(NEXT) | instid1(VALU_DEP_2)
	v_fma_f64 v[151:152], v[34:35], v[2:3], -v[145:146]
	v_fma_f64 v[153:154], v[36:37], v[2:3], v[4:5]
	ds_load_b128 v[2:5], v1 offset:1232
	s_wait_loadcnt_dscnt 0x901
	v_mul_f64_e32 v[149:150], v[137:138], v[8:9]
	v_mul_f64_e32 v[8:9], v[139:140], v[8:9]
	scratch_load_b128 v[34:37], off, off offset:656
	ds_load_b128 v[145:148], v1 offset:1248
	s_wait_loadcnt_dscnt 0x901
	v_mul_f64_e32 v[155:156], v[2:3], v[12:13]
	v_mul_f64_e32 v[12:13], v[4:5], v[12:13]
	v_fma_f64 v[139:140], v[139:140], v[6:7], v[149:150]
	v_fma_f64 v[137:138], v[137:138], v[6:7], -v[8:9]
	v_add_f64_e32 v[149:150], 0, v[151:152]
	v_add_f64_e32 v[151:152], 0, v[153:154]
	scratch_load_b128 v[6:9], off, off offset:672
	v_fma_f64 v[155:156], v[4:5], v[10:11], v[155:156]
	v_fma_f64 v[157:158], v[2:3], v[10:11], -v[12:13]
	ds_load_b128 v[2:5], v1 offset:1264
	s_wait_loadcnt_dscnt 0x901
	v_mul_f64_e32 v[153:154], v[145:146], v[16:17]
	v_mul_f64_e32 v[16:17], v[147:148], v[16:17]
	scratch_load_b128 v[10:13], off, off offset:688
	v_add_f64_e32 v[149:150], v[149:150], v[137:138]
	v_add_f64_e32 v[151:152], v[151:152], v[139:140]
	s_wait_loadcnt_dscnt 0x900
	v_mul_f64_e32 v[159:160], v[2:3], v[20:21]
	v_mul_f64_e32 v[20:21], v[4:5], v[20:21]
	ds_load_b128 v[137:140], v1 offset:1280
	v_fma_f64 v[147:148], v[147:148], v[14:15], v[153:154]
	v_fma_f64 v[145:146], v[145:146], v[14:15], -v[16:17]
	scratch_load_b128 v[14:17], off, off offset:704
	v_add_f64_e32 v[149:150], v[149:150], v[157:158]
	v_add_f64_e32 v[151:152], v[151:152], v[155:156]
	v_fma_f64 v[155:156], v[4:5], v[18:19], v[159:160]
	v_fma_f64 v[157:158], v[2:3], v[18:19], -v[20:21]
	ds_load_b128 v[2:5], v1 offset:1296
	s_wait_loadcnt_dscnt 0x901
	v_mul_f64_e32 v[153:154], v[137:138], v[24:25]
	v_mul_f64_e32 v[24:25], v[139:140], v[24:25]
	scratch_load_b128 v[18:21], off, off offset:720
	s_wait_loadcnt_dscnt 0x900
	v_mul_f64_e32 v[159:160], v[2:3], v[28:29]
	v_mul_f64_e32 v[28:29], v[4:5], v[28:29]
	v_add_f64_e32 v[149:150], v[149:150], v[145:146]
	v_add_f64_e32 v[151:152], v[151:152], v[147:148]
	ds_load_b128 v[145:148], v1 offset:1312
	v_fma_f64 v[139:140], v[139:140], v[22:23], v[153:154]
	v_fma_f64 v[22:23], v[137:138], v[22:23], -v[24:25]
	v_add_f64_e32 v[24:25], v[149:150], v[157:158]
	v_add_f64_e32 v[137:138], v[151:152], v[155:156]
	s_wait_loadcnt_dscnt 0x800
	v_mul_f64_e32 v[149:150], v[145:146], v[32:33]
	v_mul_f64_e32 v[32:33], v[147:148], v[32:33]
	v_fma_f64 v[151:152], v[4:5], v[26:27], v[159:160]
	v_fma_f64 v[26:27], v[2:3], v[26:27], -v[28:29]
	v_add_f64_e32 v[28:29], v[24:25], v[22:23]
	v_add_f64_e32 v[137:138], v[137:138], v[139:140]
	ds_load_b128 v[2:5], v1 offset:1328
	ds_load_b128 v[22:25], v1 offset:1344
	v_fma_f64 v[147:148], v[147:148], v[30:31], v[149:150]
	v_fma_f64 v[30:31], v[145:146], v[30:31], -v[32:33]
	s_wait_loadcnt_dscnt 0x701
	v_mul_f64_e32 v[139:140], v[2:3], v[40:41]
	v_mul_f64_e32 v[40:41], v[4:5], v[40:41]
	s_wait_loadcnt_dscnt 0x500
	v_mul_f64_e32 v[32:33], v[22:23], v[143:144]
	v_add_f64_e32 v[26:27], v[28:29], v[26:27]
	v_add_f64_e32 v[28:29], v[137:138], v[151:152]
	v_mul_f64_e32 v[137:138], v[24:25], v[143:144]
	v_fma_f64 v[139:140], v[4:5], v[38:39], v[139:140]
	v_fma_f64 v[38:39], v[2:3], v[38:39], -v[40:41]
	v_fma_f64 v[24:25], v[24:25], v[141:142], v[32:33]
	v_add_f64_e32 v[30:31], v[26:27], v[30:31]
	v_add_f64_e32 v[40:41], v[28:29], v[147:148]
	ds_load_b128 v[2:5], v1 offset:1360
	ds_load_b128 v[26:29], v1 offset:1376
	v_fma_f64 v[22:23], v[22:23], v[141:142], -v[137:138]
	s_wait_loadcnt_dscnt 0x401
	v_mul_f64_e32 v[143:144], v[2:3], v[36:37]
	v_mul_f64_e32 v[36:37], v[4:5], v[36:37]
	v_add_f64_e32 v[30:31], v[30:31], v[38:39]
	v_add_f64_e32 v[32:33], v[40:41], v[139:140]
	s_wait_loadcnt_dscnt 0x300
	v_mul_f64_e32 v[38:39], v[26:27], v[8:9]
	v_mul_f64_e32 v[8:9], v[28:29], v[8:9]
	v_fma_f64 v[40:41], v[4:5], v[34:35], v[143:144]
	v_fma_f64 v[34:35], v[2:3], v[34:35], -v[36:37]
	v_add_f64_e32 v[30:31], v[30:31], v[22:23]
	v_add_f64_e32 v[32:33], v[32:33], v[24:25]
	ds_load_b128 v[2:5], v1 offset:1392
	ds_load_b128 v[22:25], v1 offset:1408
	v_fma_f64 v[28:29], v[28:29], v[6:7], v[38:39]
	v_fma_f64 v[6:7], v[26:27], v[6:7], -v[8:9]
	s_wait_loadcnt_dscnt 0x201
	v_mul_f64_e32 v[36:37], v[2:3], v[12:13]
	v_mul_f64_e32 v[12:13], v[4:5], v[12:13]
	v_add_f64_e32 v[8:9], v[30:31], v[34:35]
	v_add_f64_e32 v[26:27], v[32:33], v[40:41]
	s_wait_loadcnt_dscnt 0x100
	v_mul_f64_e32 v[30:31], v[22:23], v[16:17]
	v_mul_f64_e32 v[16:17], v[24:25], v[16:17]
	v_fma_f64 v[32:33], v[4:5], v[10:11], v[36:37]
	v_fma_f64 v[10:11], v[2:3], v[10:11], -v[12:13]
	ds_load_b128 v[2:5], v1 offset:1424
	v_add_f64_e32 v[6:7], v[8:9], v[6:7]
	v_add_f64_e32 v[8:9], v[26:27], v[28:29]
	v_fma_f64 v[24:25], v[24:25], v[14:15], v[30:31]
	v_fma_f64 v[14:15], v[22:23], v[14:15], -v[16:17]
	s_wait_loadcnt_dscnt 0x0
	v_mul_f64_e32 v[12:13], v[2:3], v[20:21]
	v_mul_f64_e32 v[20:21], v[4:5], v[20:21]
	v_add_f64_e32 v[6:7], v[6:7], v[10:11]
	v_add_f64_e32 v[8:9], v[8:9], v[32:33]
	s_delay_alu instid0(VALU_DEP_4) | instskip(NEXT) | instid1(VALU_DEP_4)
	v_fma_f64 v[4:5], v[4:5], v[18:19], v[12:13]
	v_fma_f64 v[2:3], v[2:3], v[18:19], -v[20:21]
	s_delay_alu instid0(VALU_DEP_4) | instskip(NEXT) | instid1(VALU_DEP_4)
	v_add_f64_e32 v[6:7], v[6:7], v[14:15]
	v_add_f64_e32 v[8:9], v[8:9], v[24:25]
	s_delay_alu instid0(VALU_DEP_2) | instskip(NEXT) | instid1(VALU_DEP_2)
	v_add_f64_e32 v[2:3], v[6:7], v[2:3]
	v_add_f64_e32 v[4:5], v[8:9], v[4:5]
	s_delay_alu instid0(VALU_DEP_2) | instskip(NEXT) | instid1(VALU_DEP_2)
	v_add_f64_e64 v[2:3], v[42:43], -v[2:3]
	v_add_f64_e64 v[4:5], v[44:45], -v[4:5]
	scratch_store_b128 off, v[2:5], off offset:480
	v_cmpx_lt_u32_e32 28, v0
	s_cbranch_execz .LBB44_227
; %bb.226:
	scratch_load_b128 v[5:8], off, s29
	v_dual_mov_b32 v2, v1 :: v_dual_mov_b32 v3, v1
	v_mov_b32_e32 v4, v1
	scratch_store_b128 off, v[1:4], off offset:464
	s_wait_loadcnt 0x0
	ds_store_b128 v136, v[5:8]
.LBB44_227:
	s_wait_alu 0xfffe
	s_or_b32 exec_lo, exec_lo, s0
	s_wait_storecnt_dscnt 0x0
	s_barrier_signal -1
	s_barrier_wait -1
	global_inv scope:SCOPE_SE
	s_clause 0x8
	scratch_load_b128 v[2:5], off, off offset:480
	scratch_load_b128 v[6:9], off, off offset:496
	;; [unrolled: 1-line block ×9, first 2 shown]
	ds_load_b128 v[38:41], v1 offset:1184
	ds_load_b128 v[42:45], v1 offset:1200
	s_clause 0x1
	scratch_load_b128 v[137:140], off, off offset:464
	scratch_load_b128 v[141:144], off, off offset:624
	s_mov_b32 s0, exec_lo
	s_wait_loadcnt_dscnt 0xa01
	v_mul_f64_e32 v[145:146], v[40:41], v[4:5]
	v_mul_f64_e32 v[4:5], v[38:39], v[4:5]
	s_wait_loadcnt_dscnt 0x900
	v_mul_f64_e32 v[149:150], v[42:43], v[8:9]
	v_mul_f64_e32 v[8:9], v[44:45], v[8:9]
	s_delay_alu instid0(VALU_DEP_4) | instskip(NEXT) | instid1(VALU_DEP_4)
	v_fma_f64 v[151:152], v[38:39], v[2:3], -v[145:146]
	v_fma_f64 v[153:154], v[40:41], v[2:3], v[4:5]
	ds_load_b128 v[2:5], v1 offset:1216
	ds_load_b128 v[145:148], v1 offset:1232
	scratch_load_b128 v[38:41], off, off offset:640
	v_fma_f64 v[44:45], v[44:45], v[6:7], v[149:150]
	v_fma_f64 v[42:43], v[42:43], v[6:7], -v[8:9]
	scratch_load_b128 v[6:9], off, off offset:656
	s_wait_loadcnt_dscnt 0xa01
	v_mul_f64_e32 v[155:156], v[2:3], v[12:13]
	v_mul_f64_e32 v[12:13], v[4:5], v[12:13]
	v_add_f64_e32 v[149:150], 0, v[151:152]
	v_add_f64_e32 v[151:152], 0, v[153:154]
	s_wait_loadcnt_dscnt 0x900
	v_mul_f64_e32 v[153:154], v[145:146], v[16:17]
	v_mul_f64_e32 v[16:17], v[147:148], v[16:17]
	v_fma_f64 v[155:156], v[4:5], v[10:11], v[155:156]
	v_fma_f64 v[157:158], v[2:3], v[10:11], -v[12:13]
	ds_load_b128 v[2:5], v1 offset:1248
	scratch_load_b128 v[10:13], off, off offset:672
	v_add_f64_e32 v[149:150], v[149:150], v[42:43]
	v_add_f64_e32 v[151:152], v[151:152], v[44:45]
	ds_load_b128 v[42:45], v1 offset:1264
	v_fma_f64 v[147:148], v[147:148], v[14:15], v[153:154]
	v_fma_f64 v[145:146], v[145:146], v[14:15], -v[16:17]
	scratch_load_b128 v[14:17], off, off offset:688
	s_wait_loadcnt_dscnt 0xa01
	v_mul_f64_e32 v[159:160], v[2:3], v[20:21]
	v_mul_f64_e32 v[20:21], v[4:5], v[20:21]
	s_wait_loadcnt_dscnt 0x900
	v_mul_f64_e32 v[153:154], v[42:43], v[24:25]
	v_mul_f64_e32 v[24:25], v[44:45], v[24:25]
	v_add_f64_e32 v[149:150], v[149:150], v[157:158]
	v_add_f64_e32 v[151:152], v[151:152], v[155:156]
	v_fma_f64 v[155:156], v[4:5], v[18:19], v[159:160]
	v_fma_f64 v[157:158], v[2:3], v[18:19], -v[20:21]
	ds_load_b128 v[2:5], v1 offset:1280
	scratch_load_b128 v[18:21], off, off offset:704
	v_fma_f64 v[44:45], v[44:45], v[22:23], v[153:154]
	v_fma_f64 v[42:43], v[42:43], v[22:23], -v[24:25]
	scratch_load_b128 v[22:25], off, off offset:720
	v_add_f64_e32 v[149:150], v[149:150], v[145:146]
	v_add_f64_e32 v[151:152], v[151:152], v[147:148]
	ds_load_b128 v[145:148], v1 offset:1296
	s_wait_loadcnt_dscnt 0xa01
	v_mul_f64_e32 v[159:160], v[2:3], v[28:29]
	v_mul_f64_e32 v[28:29], v[4:5], v[28:29]
	s_wait_loadcnt_dscnt 0x900
	v_mul_f64_e32 v[153:154], v[145:146], v[32:33]
	v_mul_f64_e32 v[32:33], v[147:148], v[32:33]
	v_add_f64_e32 v[149:150], v[149:150], v[157:158]
	v_add_f64_e32 v[151:152], v[151:152], v[155:156]
	v_fma_f64 v[155:156], v[4:5], v[26:27], v[159:160]
	v_fma_f64 v[157:158], v[2:3], v[26:27], -v[28:29]
	ds_load_b128 v[2:5], v1 offset:1312
	ds_load_b128 v[26:29], v1 offset:1328
	v_fma_f64 v[147:148], v[147:148], v[30:31], v[153:154]
	v_fma_f64 v[30:31], v[145:146], v[30:31], -v[32:33]
	v_add_f64_e32 v[42:43], v[149:150], v[42:43]
	v_add_f64_e32 v[44:45], v[151:152], v[44:45]
	s_wait_loadcnt_dscnt 0x801
	v_mul_f64_e32 v[149:150], v[2:3], v[36:37]
	v_mul_f64_e32 v[36:37], v[4:5], v[36:37]
	s_delay_alu instid0(VALU_DEP_4) | instskip(NEXT) | instid1(VALU_DEP_4)
	v_add_f64_e32 v[32:33], v[42:43], v[157:158]
	v_add_f64_e32 v[42:43], v[44:45], v[155:156]
	s_wait_loadcnt_dscnt 0x600
	v_mul_f64_e32 v[44:45], v[26:27], v[143:144]
	v_mul_f64_e32 v[143:144], v[28:29], v[143:144]
	v_fma_f64 v[145:146], v[4:5], v[34:35], v[149:150]
	v_fma_f64 v[34:35], v[2:3], v[34:35], -v[36:37]
	v_add_f64_e32 v[36:37], v[32:33], v[30:31]
	v_add_f64_e32 v[42:43], v[42:43], v[147:148]
	ds_load_b128 v[2:5], v1 offset:1344
	ds_load_b128 v[30:33], v1 offset:1360
	v_fma_f64 v[28:29], v[28:29], v[141:142], v[44:45]
	v_fma_f64 v[26:27], v[26:27], v[141:142], -v[143:144]
	s_wait_loadcnt_dscnt 0x501
	v_mul_f64_e32 v[147:148], v[2:3], v[40:41]
	v_mul_f64_e32 v[40:41], v[4:5], v[40:41]
	v_add_f64_e32 v[34:35], v[36:37], v[34:35]
	v_add_f64_e32 v[36:37], v[42:43], v[145:146]
	s_wait_loadcnt_dscnt 0x400
	v_mul_f64_e32 v[42:43], v[30:31], v[8:9]
	v_mul_f64_e32 v[8:9], v[32:33], v[8:9]
	v_fma_f64 v[44:45], v[4:5], v[38:39], v[147:148]
	v_fma_f64 v[38:39], v[2:3], v[38:39], -v[40:41]
	v_add_f64_e32 v[34:35], v[34:35], v[26:27]
	v_add_f64_e32 v[36:37], v[36:37], v[28:29]
	ds_load_b128 v[2:5], v1 offset:1376
	ds_load_b128 v[26:29], v1 offset:1392
	v_fma_f64 v[32:33], v[32:33], v[6:7], v[42:43]
	v_fma_f64 v[6:7], v[30:31], v[6:7], -v[8:9]
	s_wait_loadcnt_dscnt 0x301
	v_mul_f64_e32 v[40:41], v[2:3], v[12:13]
	v_mul_f64_e32 v[12:13], v[4:5], v[12:13]
	;; [unrolled: 16-line block ×3, first 2 shown]
	s_wait_loadcnt_dscnt 0x0
	v_mul_f64_e32 v[16:17], v[6:7], v[24:25]
	v_mul_f64_e32 v[24:25], v[8:9], v[24:25]
	v_add_f64_e32 v[10:11], v[12:13], v[10:11]
	v_add_f64_e32 v[12:13], v[30:31], v[36:37]
	v_fma_f64 v[4:5], v[4:5], v[18:19], v[32:33]
	v_fma_f64 v[1:2], v[2:3], v[18:19], -v[20:21]
	v_fma_f64 v[8:9], v[8:9], v[22:23], v[16:17]
	v_fma_f64 v[6:7], v[6:7], v[22:23], -v[24:25]
	v_add_f64_e32 v[10:11], v[10:11], v[14:15]
	v_add_f64_e32 v[12:13], v[12:13], v[28:29]
	s_delay_alu instid0(VALU_DEP_2) | instskip(NEXT) | instid1(VALU_DEP_2)
	v_add_f64_e32 v[1:2], v[10:11], v[1:2]
	v_add_f64_e32 v[3:4], v[12:13], v[4:5]
	s_delay_alu instid0(VALU_DEP_2) | instskip(NEXT) | instid1(VALU_DEP_2)
	;; [unrolled: 3-line block ×3, first 2 shown]
	v_add_f64_e64 v[1:2], v[137:138], -v[1:2]
	v_add_f64_e64 v[3:4], v[139:140], -v[3:4]
	scratch_store_b128 off, v[1:4], off offset:464
	v_cmpx_lt_u32_e32 27, v0
	s_cbranch_execz .LBB44_229
; %bb.228:
	scratch_load_b128 v[1:4], off, s30
	v_mov_b32_e32 v5, 0
	s_delay_alu instid0(VALU_DEP_1)
	v_dual_mov_b32 v6, v5 :: v_dual_mov_b32 v7, v5
	v_mov_b32_e32 v8, v5
	scratch_store_b128 off, v[5:8], off offset:448
	s_wait_loadcnt 0x0
	ds_store_b128 v136, v[1:4]
.LBB44_229:
	s_wait_alu 0xfffe
	s_or_b32 exec_lo, exec_lo, s0
	s_wait_storecnt_dscnt 0x0
	s_barrier_signal -1
	s_barrier_wait -1
	global_inv scope:SCOPE_SE
	s_clause 0x7
	scratch_load_b128 v[2:5], off, off offset:464
	scratch_load_b128 v[6:9], off, off offset:480
	;; [unrolled: 1-line block ×8, first 2 shown]
	v_mov_b32_e32 v1, 0
	s_mov_b32 s0, exec_lo
	ds_load_b128 v[34:37], v1 offset:1168
	s_clause 0x1
	scratch_load_b128 v[38:41], off, off offset:592
	scratch_load_b128 v[42:45], off, off offset:448
	ds_load_b128 v[137:140], v1 offset:1184
	scratch_load_b128 v[141:144], off, off offset:608
	s_wait_loadcnt_dscnt 0xa01
	v_mul_f64_e32 v[145:146], v[36:37], v[4:5]
	v_mul_f64_e32 v[4:5], v[34:35], v[4:5]
	s_delay_alu instid0(VALU_DEP_2) | instskip(NEXT) | instid1(VALU_DEP_2)
	v_fma_f64 v[151:152], v[34:35], v[2:3], -v[145:146]
	v_fma_f64 v[153:154], v[36:37], v[2:3], v[4:5]
	ds_load_b128 v[2:5], v1 offset:1200
	s_wait_loadcnt_dscnt 0x901
	v_mul_f64_e32 v[149:150], v[137:138], v[8:9]
	v_mul_f64_e32 v[8:9], v[139:140], v[8:9]
	scratch_load_b128 v[34:37], off, off offset:624
	ds_load_b128 v[145:148], v1 offset:1216
	s_wait_loadcnt_dscnt 0x901
	v_mul_f64_e32 v[155:156], v[2:3], v[12:13]
	v_mul_f64_e32 v[12:13], v[4:5], v[12:13]
	v_fma_f64 v[139:140], v[139:140], v[6:7], v[149:150]
	v_fma_f64 v[137:138], v[137:138], v[6:7], -v[8:9]
	v_add_f64_e32 v[149:150], 0, v[151:152]
	v_add_f64_e32 v[151:152], 0, v[153:154]
	scratch_load_b128 v[6:9], off, off offset:640
	v_fma_f64 v[155:156], v[4:5], v[10:11], v[155:156]
	v_fma_f64 v[157:158], v[2:3], v[10:11], -v[12:13]
	ds_load_b128 v[2:5], v1 offset:1232
	s_wait_loadcnt_dscnt 0x901
	v_mul_f64_e32 v[153:154], v[145:146], v[16:17]
	v_mul_f64_e32 v[16:17], v[147:148], v[16:17]
	scratch_load_b128 v[10:13], off, off offset:656
	v_add_f64_e32 v[149:150], v[149:150], v[137:138]
	v_add_f64_e32 v[151:152], v[151:152], v[139:140]
	s_wait_loadcnt_dscnt 0x900
	v_mul_f64_e32 v[159:160], v[2:3], v[20:21]
	v_mul_f64_e32 v[20:21], v[4:5], v[20:21]
	ds_load_b128 v[137:140], v1 offset:1248
	v_fma_f64 v[147:148], v[147:148], v[14:15], v[153:154]
	v_fma_f64 v[145:146], v[145:146], v[14:15], -v[16:17]
	scratch_load_b128 v[14:17], off, off offset:672
	v_add_f64_e32 v[149:150], v[149:150], v[157:158]
	v_add_f64_e32 v[151:152], v[151:152], v[155:156]
	v_fma_f64 v[155:156], v[4:5], v[18:19], v[159:160]
	v_fma_f64 v[157:158], v[2:3], v[18:19], -v[20:21]
	ds_load_b128 v[2:5], v1 offset:1264
	s_wait_loadcnt_dscnt 0x901
	v_mul_f64_e32 v[153:154], v[137:138], v[24:25]
	v_mul_f64_e32 v[24:25], v[139:140], v[24:25]
	scratch_load_b128 v[18:21], off, off offset:688
	s_wait_loadcnt_dscnt 0x900
	v_mul_f64_e32 v[159:160], v[2:3], v[28:29]
	v_mul_f64_e32 v[28:29], v[4:5], v[28:29]
	v_add_f64_e32 v[149:150], v[149:150], v[145:146]
	v_add_f64_e32 v[151:152], v[151:152], v[147:148]
	ds_load_b128 v[145:148], v1 offset:1280
	v_fma_f64 v[139:140], v[139:140], v[22:23], v[153:154]
	v_fma_f64 v[137:138], v[137:138], v[22:23], -v[24:25]
	scratch_load_b128 v[22:25], off, off offset:704
	v_add_f64_e32 v[149:150], v[149:150], v[157:158]
	v_add_f64_e32 v[151:152], v[151:152], v[155:156]
	v_fma_f64 v[155:156], v[4:5], v[26:27], v[159:160]
	v_fma_f64 v[157:158], v[2:3], v[26:27], -v[28:29]
	ds_load_b128 v[2:5], v1 offset:1296
	s_wait_loadcnt_dscnt 0x901
	v_mul_f64_e32 v[153:154], v[145:146], v[32:33]
	v_mul_f64_e32 v[32:33], v[147:148], v[32:33]
	scratch_load_b128 v[26:29], off, off offset:720
	s_wait_loadcnt_dscnt 0x900
	v_mul_f64_e32 v[159:160], v[2:3], v[40:41]
	v_mul_f64_e32 v[40:41], v[4:5], v[40:41]
	v_add_f64_e32 v[149:150], v[149:150], v[137:138]
	v_add_f64_e32 v[151:152], v[151:152], v[139:140]
	ds_load_b128 v[137:140], v1 offset:1312
	v_fma_f64 v[147:148], v[147:148], v[30:31], v[153:154]
	v_fma_f64 v[30:31], v[145:146], v[30:31], -v[32:33]
	v_add_f64_e32 v[32:33], v[149:150], v[157:158]
	v_add_f64_e32 v[145:146], v[151:152], v[155:156]
	s_wait_loadcnt_dscnt 0x700
	v_mul_f64_e32 v[149:150], v[137:138], v[143:144]
	v_mul_f64_e32 v[143:144], v[139:140], v[143:144]
	v_fma_f64 v[151:152], v[4:5], v[38:39], v[159:160]
	v_fma_f64 v[38:39], v[2:3], v[38:39], -v[40:41]
	v_add_f64_e32 v[40:41], v[32:33], v[30:31]
	v_add_f64_e32 v[145:146], v[145:146], v[147:148]
	ds_load_b128 v[2:5], v1 offset:1328
	ds_load_b128 v[30:33], v1 offset:1344
	v_fma_f64 v[139:140], v[139:140], v[141:142], v[149:150]
	v_fma_f64 v[137:138], v[137:138], v[141:142], -v[143:144]
	s_wait_loadcnt_dscnt 0x601
	v_mul_f64_e32 v[147:148], v[2:3], v[36:37]
	v_mul_f64_e32 v[36:37], v[4:5], v[36:37]
	v_add_f64_e32 v[38:39], v[40:41], v[38:39]
	v_add_f64_e32 v[40:41], v[145:146], v[151:152]
	s_wait_loadcnt_dscnt 0x500
	v_mul_f64_e32 v[141:142], v[30:31], v[8:9]
	v_mul_f64_e32 v[8:9], v[32:33], v[8:9]
	v_fma_f64 v[143:144], v[4:5], v[34:35], v[147:148]
	v_fma_f64 v[145:146], v[2:3], v[34:35], -v[36:37]
	ds_load_b128 v[2:5], v1 offset:1360
	ds_load_b128 v[34:37], v1 offset:1376
	v_add_f64_e32 v[38:39], v[38:39], v[137:138]
	v_add_f64_e32 v[40:41], v[40:41], v[139:140]
	s_wait_loadcnt_dscnt 0x401
	v_mul_f64_e32 v[137:138], v[2:3], v[12:13]
	v_mul_f64_e32 v[12:13], v[4:5], v[12:13]
	v_fma_f64 v[32:33], v[32:33], v[6:7], v[141:142]
	v_fma_f64 v[6:7], v[30:31], v[6:7], -v[8:9]
	v_add_f64_e32 v[8:9], v[38:39], v[145:146]
	v_add_f64_e32 v[30:31], v[40:41], v[143:144]
	s_wait_loadcnt_dscnt 0x300
	v_mul_f64_e32 v[38:39], v[34:35], v[16:17]
	v_mul_f64_e32 v[16:17], v[36:37], v[16:17]
	v_fma_f64 v[40:41], v[4:5], v[10:11], v[137:138]
	v_fma_f64 v[10:11], v[2:3], v[10:11], -v[12:13]
	v_add_f64_e32 v[12:13], v[8:9], v[6:7]
	v_add_f64_e32 v[30:31], v[30:31], v[32:33]
	ds_load_b128 v[2:5], v1 offset:1392
	ds_load_b128 v[6:9], v1 offset:1408
	v_fma_f64 v[36:37], v[36:37], v[14:15], v[38:39]
	v_fma_f64 v[14:15], v[34:35], v[14:15], -v[16:17]
	s_wait_loadcnt_dscnt 0x201
	v_mul_f64_e32 v[32:33], v[2:3], v[20:21]
	v_mul_f64_e32 v[20:21], v[4:5], v[20:21]
	s_wait_loadcnt_dscnt 0x100
	v_mul_f64_e32 v[16:17], v[6:7], v[24:25]
	v_mul_f64_e32 v[24:25], v[8:9], v[24:25]
	v_add_f64_e32 v[10:11], v[12:13], v[10:11]
	v_add_f64_e32 v[12:13], v[30:31], v[40:41]
	v_fma_f64 v[30:31], v[4:5], v[18:19], v[32:33]
	v_fma_f64 v[18:19], v[2:3], v[18:19], -v[20:21]
	ds_load_b128 v[2:5], v1 offset:1424
	v_fma_f64 v[8:9], v[8:9], v[22:23], v[16:17]
	v_fma_f64 v[6:7], v[6:7], v[22:23], -v[24:25]
	v_add_f64_e32 v[10:11], v[10:11], v[14:15]
	v_add_f64_e32 v[12:13], v[12:13], v[36:37]
	s_wait_loadcnt_dscnt 0x0
	v_mul_f64_e32 v[14:15], v[2:3], v[28:29]
	v_mul_f64_e32 v[20:21], v[4:5], v[28:29]
	s_delay_alu instid0(VALU_DEP_4) | instskip(NEXT) | instid1(VALU_DEP_4)
	v_add_f64_e32 v[10:11], v[10:11], v[18:19]
	v_add_f64_e32 v[12:13], v[12:13], v[30:31]
	s_delay_alu instid0(VALU_DEP_4) | instskip(NEXT) | instid1(VALU_DEP_4)
	v_fma_f64 v[4:5], v[4:5], v[26:27], v[14:15]
	v_fma_f64 v[2:3], v[2:3], v[26:27], -v[20:21]
	s_delay_alu instid0(VALU_DEP_4) | instskip(NEXT) | instid1(VALU_DEP_4)
	v_add_f64_e32 v[6:7], v[10:11], v[6:7]
	v_add_f64_e32 v[8:9], v[12:13], v[8:9]
	s_delay_alu instid0(VALU_DEP_2) | instskip(NEXT) | instid1(VALU_DEP_2)
	v_add_f64_e32 v[2:3], v[6:7], v[2:3]
	v_add_f64_e32 v[4:5], v[8:9], v[4:5]
	s_delay_alu instid0(VALU_DEP_2) | instskip(NEXT) | instid1(VALU_DEP_2)
	v_add_f64_e64 v[2:3], v[42:43], -v[2:3]
	v_add_f64_e64 v[4:5], v[44:45], -v[4:5]
	scratch_store_b128 off, v[2:5], off offset:448
	v_cmpx_lt_u32_e32 26, v0
	s_cbranch_execz .LBB44_231
; %bb.230:
	scratch_load_b128 v[5:8], off, s31
	v_dual_mov_b32 v2, v1 :: v_dual_mov_b32 v3, v1
	v_mov_b32_e32 v4, v1
	scratch_store_b128 off, v[1:4], off offset:432
	s_wait_loadcnt 0x0
	ds_store_b128 v136, v[5:8]
.LBB44_231:
	s_wait_alu 0xfffe
	s_or_b32 exec_lo, exec_lo, s0
	s_wait_storecnt_dscnt 0x0
	s_barrier_signal -1
	s_barrier_wait -1
	global_inv scope:SCOPE_SE
	s_clause 0x8
	scratch_load_b128 v[2:5], off, off offset:448
	scratch_load_b128 v[6:9], off, off offset:464
	;; [unrolled: 1-line block ×9, first 2 shown]
	ds_load_b128 v[38:41], v1 offset:1152
	ds_load_b128 v[42:45], v1 offset:1168
	s_clause 0x1
	scratch_load_b128 v[137:140], off, off offset:432
	scratch_load_b128 v[141:144], off, off offset:592
	s_mov_b32 s0, exec_lo
	s_wait_loadcnt_dscnt 0xa01
	v_mul_f64_e32 v[145:146], v[40:41], v[4:5]
	v_mul_f64_e32 v[4:5], v[38:39], v[4:5]
	s_wait_loadcnt_dscnt 0x900
	v_mul_f64_e32 v[149:150], v[42:43], v[8:9]
	v_mul_f64_e32 v[8:9], v[44:45], v[8:9]
	s_delay_alu instid0(VALU_DEP_4) | instskip(NEXT) | instid1(VALU_DEP_4)
	v_fma_f64 v[151:152], v[38:39], v[2:3], -v[145:146]
	v_fma_f64 v[153:154], v[40:41], v[2:3], v[4:5]
	ds_load_b128 v[2:5], v1 offset:1184
	ds_load_b128 v[145:148], v1 offset:1200
	scratch_load_b128 v[38:41], off, off offset:608
	v_fma_f64 v[44:45], v[44:45], v[6:7], v[149:150]
	v_fma_f64 v[42:43], v[42:43], v[6:7], -v[8:9]
	scratch_load_b128 v[6:9], off, off offset:624
	s_wait_loadcnt_dscnt 0xa01
	v_mul_f64_e32 v[155:156], v[2:3], v[12:13]
	v_mul_f64_e32 v[12:13], v[4:5], v[12:13]
	v_add_f64_e32 v[149:150], 0, v[151:152]
	v_add_f64_e32 v[151:152], 0, v[153:154]
	s_wait_loadcnt_dscnt 0x900
	v_mul_f64_e32 v[153:154], v[145:146], v[16:17]
	v_mul_f64_e32 v[16:17], v[147:148], v[16:17]
	v_fma_f64 v[155:156], v[4:5], v[10:11], v[155:156]
	v_fma_f64 v[157:158], v[2:3], v[10:11], -v[12:13]
	ds_load_b128 v[2:5], v1 offset:1216
	scratch_load_b128 v[10:13], off, off offset:640
	v_add_f64_e32 v[149:150], v[149:150], v[42:43]
	v_add_f64_e32 v[151:152], v[151:152], v[44:45]
	ds_load_b128 v[42:45], v1 offset:1232
	v_fma_f64 v[147:148], v[147:148], v[14:15], v[153:154]
	v_fma_f64 v[145:146], v[145:146], v[14:15], -v[16:17]
	scratch_load_b128 v[14:17], off, off offset:656
	s_wait_loadcnt_dscnt 0xa01
	v_mul_f64_e32 v[159:160], v[2:3], v[20:21]
	v_mul_f64_e32 v[20:21], v[4:5], v[20:21]
	s_wait_loadcnt_dscnt 0x900
	v_mul_f64_e32 v[153:154], v[42:43], v[24:25]
	v_mul_f64_e32 v[24:25], v[44:45], v[24:25]
	v_add_f64_e32 v[149:150], v[149:150], v[157:158]
	v_add_f64_e32 v[151:152], v[151:152], v[155:156]
	v_fma_f64 v[155:156], v[4:5], v[18:19], v[159:160]
	v_fma_f64 v[157:158], v[2:3], v[18:19], -v[20:21]
	ds_load_b128 v[2:5], v1 offset:1248
	scratch_load_b128 v[18:21], off, off offset:672
	v_fma_f64 v[44:45], v[44:45], v[22:23], v[153:154]
	v_fma_f64 v[42:43], v[42:43], v[22:23], -v[24:25]
	scratch_load_b128 v[22:25], off, off offset:688
	v_add_f64_e32 v[149:150], v[149:150], v[145:146]
	v_add_f64_e32 v[151:152], v[151:152], v[147:148]
	ds_load_b128 v[145:148], v1 offset:1264
	s_wait_loadcnt_dscnt 0xa01
	v_mul_f64_e32 v[159:160], v[2:3], v[28:29]
	v_mul_f64_e32 v[28:29], v[4:5], v[28:29]
	s_wait_loadcnt_dscnt 0x900
	v_mul_f64_e32 v[153:154], v[145:146], v[32:33]
	v_mul_f64_e32 v[32:33], v[147:148], v[32:33]
	v_add_f64_e32 v[149:150], v[149:150], v[157:158]
	v_add_f64_e32 v[151:152], v[151:152], v[155:156]
	v_fma_f64 v[155:156], v[4:5], v[26:27], v[159:160]
	v_fma_f64 v[157:158], v[2:3], v[26:27], -v[28:29]
	ds_load_b128 v[2:5], v1 offset:1280
	scratch_load_b128 v[26:29], off, off offset:704
	v_fma_f64 v[147:148], v[147:148], v[30:31], v[153:154]
	v_fma_f64 v[145:146], v[145:146], v[30:31], -v[32:33]
	scratch_load_b128 v[30:33], off, off offset:720
	v_add_f64_e32 v[149:150], v[149:150], v[42:43]
	v_add_f64_e32 v[151:152], v[151:152], v[44:45]
	ds_load_b128 v[42:45], v1 offset:1296
	s_wait_loadcnt_dscnt 0xa01
	v_mul_f64_e32 v[159:160], v[2:3], v[36:37]
	v_mul_f64_e32 v[36:37], v[4:5], v[36:37]
	s_wait_loadcnt_dscnt 0x800
	v_mul_f64_e32 v[153:154], v[42:43], v[143:144]
	v_mul_f64_e32 v[143:144], v[44:45], v[143:144]
	v_add_f64_e32 v[149:150], v[149:150], v[157:158]
	v_add_f64_e32 v[151:152], v[151:152], v[155:156]
	v_fma_f64 v[155:156], v[4:5], v[34:35], v[159:160]
	v_fma_f64 v[157:158], v[2:3], v[34:35], -v[36:37]
	ds_load_b128 v[2:5], v1 offset:1312
	ds_load_b128 v[34:37], v1 offset:1328
	v_fma_f64 v[44:45], v[44:45], v[141:142], v[153:154]
	v_fma_f64 v[42:43], v[42:43], v[141:142], -v[143:144]
	v_add_f64_e32 v[145:146], v[149:150], v[145:146]
	v_add_f64_e32 v[147:148], v[151:152], v[147:148]
	s_wait_loadcnt_dscnt 0x701
	v_mul_f64_e32 v[149:150], v[2:3], v[40:41]
	v_mul_f64_e32 v[40:41], v[4:5], v[40:41]
	s_delay_alu instid0(VALU_DEP_4) | instskip(NEXT) | instid1(VALU_DEP_4)
	v_add_f64_e32 v[141:142], v[145:146], v[157:158]
	v_add_f64_e32 v[143:144], v[147:148], v[155:156]
	s_wait_loadcnt_dscnt 0x600
	v_mul_f64_e32 v[145:146], v[34:35], v[8:9]
	v_mul_f64_e32 v[8:9], v[36:37], v[8:9]
	v_fma_f64 v[147:148], v[4:5], v[38:39], v[149:150]
	v_fma_f64 v[149:150], v[2:3], v[38:39], -v[40:41]
	ds_load_b128 v[2:5], v1 offset:1344
	ds_load_b128 v[38:41], v1 offset:1360
	v_add_f64_e32 v[42:43], v[141:142], v[42:43]
	v_add_f64_e32 v[44:45], v[143:144], v[44:45]
	v_fma_f64 v[36:37], v[36:37], v[6:7], v[145:146]
	s_wait_loadcnt_dscnt 0x501
	v_mul_f64_e32 v[141:142], v[2:3], v[12:13]
	v_mul_f64_e32 v[12:13], v[4:5], v[12:13]
	v_fma_f64 v[6:7], v[34:35], v[6:7], -v[8:9]
	v_add_f64_e32 v[8:9], v[42:43], v[149:150]
	v_add_f64_e32 v[34:35], v[44:45], v[147:148]
	s_wait_loadcnt_dscnt 0x400
	v_mul_f64_e32 v[42:43], v[38:39], v[16:17]
	v_mul_f64_e32 v[16:17], v[40:41], v[16:17]
	v_fma_f64 v[44:45], v[4:5], v[10:11], v[141:142]
	v_fma_f64 v[10:11], v[2:3], v[10:11], -v[12:13]
	v_add_f64_e32 v[12:13], v[8:9], v[6:7]
	v_add_f64_e32 v[34:35], v[34:35], v[36:37]
	ds_load_b128 v[2:5], v1 offset:1376
	ds_load_b128 v[6:9], v1 offset:1392
	v_fma_f64 v[40:41], v[40:41], v[14:15], v[42:43]
	v_fma_f64 v[14:15], v[38:39], v[14:15], -v[16:17]
	s_wait_loadcnt_dscnt 0x301
	v_mul_f64_e32 v[36:37], v[2:3], v[20:21]
	v_mul_f64_e32 v[20:21], v[4:5], v[20:21]
	s_wait_loadcnt_dscnt 0x200
	v_mul_f64_e32 v[16:17], v[6:7], v[24:25]
	v_mul_f64_e32 v[24:25], v[8:9], v[24:25]
	v_add_f64_e32 v[10:11], v[12:13], v[10:11]
	v_add_f64_e32 v[12:13], v[34:35], v[44:45]
	v_fma_f64 v[34:35], v[4:5], v[18:19], v[36:37]
	v_fma_f64 v[18:19], v[2:3], v[18:19], -v[20:21]
	v_fma_f64 v[8:9], v[8:9], v[22:23], v[16:17]
	v_fma_f64 v[6:7], v[6:7], v[22:23], -v[24:25]
	v_add_f64_e32 v[14:15], v[10:11], v[14:15]
	v_add_f64_e32 v[20:21], v[12:13], v[40:41]
	ds_load_b128 v[2:5], v1 offset:1408
	ds_load_b128 v[10:13], v1 offset:1424
	s_wait_loadcnt_dscnt 0x101
	v_mul_f64_e32 v[36:37], v[2:3], v[28:29]
	v_mul_f64_e32 v[28:29], v[4:5], v[28:29]
	v_add_f64_e32 v[14:15], v[14:15], v[18:19]
	v_add_f64_e32 v[16:17], v[20:21], v[34:35]
	s_wait_loadcnt_dscnt 0x0
	v_mul_f64_e32 v[18:19], v[10:11], v[32:33]
	v_mul_f64_e32 v[20:21], v[12:13], v[32:33]
	v_fma_f64 v[4:5], v[4:5], v[26:27], v[36:37]
	v_fma_f64 v[1:2], v[2:3], v[26:27], -v[28:29]
	v_add_f64_e32 v[6:7], v[14:15], v[6:7]
	v_add_f64_e32 v[8:9], v[16:17], v[8:9]
	v_fma_f64 v[12:13], v[12:13], v[30:31], v[18:19]
	v_fma_f64 v[10:11], v[10:11], v[30:31], -v[20:21]
	s_delay_alu instid0(VALU_DEP_4) | instskip(NEXT) | instid1(VALU_DEP_4)
	v_add_f64_e32 v[1:2], v[6:7], v[1:2]
	v_add_f64_e32 v[3:4], v[8:9], v[4:5]
	s_delay_alu instid0(VALU_DEP_2) | instskip(NEXT) | instid1(VALU_DEP_2)
	v_add_f64_e32 v[1:2], v[1:2], v[10:11]
	v_add_f64_e32 v[3:4], v[3:4], v[12:13]
	s_delay_alu instid0(VALU_DEP_2) | instskip(NEXT) | instid1(VALU_DEP_2)
	v_add_f64_e64 v[1:2], v[137:138], -v[1:2]
	v_add_f64_e64 v[3:4], v[139:140], -v[3:4]
	scratch_store_b128 off, v[1:4], off offset:432
	v_cmpx_lt_u32_e32 25, v0
	s_cbranch_execz .LBB44_233
; %bb.232:
	scratch_load_b128 v[1:4], off, s33
	v_mov_b32_e32 v5, 0
	s_delay_alu instid0(VALU_DEP_1)
	v_dual_mov_b32 v6, v5 :: v_dual_mov_b32 v7, v5
	v_mov_b32_e32 v8, v5
	scratch_store_b128 off, v[5:8], off offset:416
	s_wait_loadcnt 0x0
	ds_store_b128 v136, v[1:4]
.LBB44_233:
	s_wait_alu 0xfffe
	s_or_b32 exec_lo, exec_lo, s0
	s_wait_storecnt_dscnt 0x0
	s_barrier_signal -1
	s_barrier_wait -1
	global_inv scope:SCOPE_SE
	s_clause 0x7
	scratch_load_b128 v[2:5], off, off offset:432
	scratch_load_b128 v[6:9], off, off offset:448
	;; [unrolled: 1-line block ×8, first 2 shown]
	v_mov_b32_e32 v1, 0
	s_mov_b32 s0, exec_lo
	ds_load_b128 v[34:37], v1 offset:1136
	s_clause 0x1
	scratch_load_b128 v[38:41], off, off offset:560
	scratch_load_b128 v[42:45], off, off offset:416
	ds_load_b128 v[137:140], v1 offset:1152
	scratch_load_b128 v[141:144], off, off offset:576
	s_wait_loadcnt_dscnt 0xa01
	v_mul_f64_e32 v[145:146], v[36:37], v[4:5]
	v_mul_f64_e32 v[4:5], v[34:35], v[4:5]
	s_delay_alu instid0(VALU_DEP_2) | instskip(NEXT) | instid1(VALU_DEP_2)
	v_fma_f64 v[151:152], v[34:35], v[2:3], -v[145:146]
	v_fma_f64 v[153:154], v[36:37], v[2:3], v[4:5]
	ds_load_b128 v[2:5], v1 offset:1168
	s_wait_loadcnt_dscnt 0x901
	v_mul_f64_e32 v[149:150], v[137:138], v[8:9]
	v_mul_f64_e32 v[8:9], v[139:140], v[8:9]
	scratch_load_b128 v[34:37], off, off offset:592
	ds_load_b128 v[145:148], v1 offset:1184
	s_wait_loadcnt_dscnt 0x901
	v_mul_f64_e32 v[155:156], v[2:3], v[12:13]
	v_mul_f64_e32 v[12:13], v[4:5], v[12:13]
	v_fma_f64 v[139:140], v[139:140], v[6:7], v[149:150]
	v_fma_f64 v[137:138], v[137:138], v[6:7], -v[8:9]
	v_add_f64_e32 v[149:150], 0, v[151:152]
	v_add_f64_e32 v[151:152], 0, v[153:154]
	scratch_load_b128 v[6:9], off, off offset:608
	v_fma_f64 v[155:156], v[4:5], v[10:11], v[155:156]
	v_fma_f64 v[157:158], v[2:3], v[10:11], -v[12:13]
	ds_load_b128 v[2:5], v1 offset:1200
	s_wait_loadcnt_dscnt 0x901
	v_mul_f64_e32 v[153:154], v[145:146], v[16:17]
	v_mul_f64_e32 v[16:17], v[147:148], v[16:17]
	scratch_load_b128 v[10:13], off, off offset:624
	v_add_f64_e32 v[149:150], v[149:150], v[137:138]
	v_add_f64_e32 v[151:152], v[151:152], v[139:140]
	s_wait_loadcnt_dscnt 0x900
	v_mul_f64_e32 v[159:160], v[2:3], v[20:21]
	v_mul_f64_e32 v[20:21], v[4:5], v[20:21]
	ds_load_b128 v[137:140], v1 offset:1216
	v_fma_f64 v[147:148], v[147:148], v[14:15], v[153:154]
	v_fma_f64 v[145:146], v[145:146], v[14:15], -v[16:17]
	scratch_load_b128 v[14:17], off, off offset:640
	v_add_f64_e32 v[149:150], v[149:150], v[157:158]
	v_add_f64_e32 v[151:152], v[151:152], v[155:156]
	v_fma_f64 v[155:156], v[4:5], v[18:19], v[159:160]
	v_fma_f64 v[157:158], v[2:3], v[18:19], -v[20:21]
	ds_load_b128 v[2:5], v1 offset:1232
	s_wait_loadcnt_dscnt 0x901
	v_mul_f64_e32 v[153:154], v[137:138], v[24:25]
	v_mul_f64_e32 v[24:25], v[139:140], v[24:25]
	scratch_load_b128 v[18:21], off, off offset:656
	s_wait_loadcnt_dscnt 0x900
	v_mul_f64_e32 v[159:160], v[2:3], v[28:29]
	v_mul_f64_e32 v[28:29], v[4:5], v[28:29]
	v_add_f64_e32 v[149:150], v[149:150], v[145:146]
	v_add_f64_e32 v[151:152], v[151:152], v[147:148]
	ds_load_b128 v[145:148], v1 offset:1248
	v_fma_f64 v[139:140], v[139:140], v[22:23], v[153:154]
	v_fma_f64 v[137:138], v[137:138], v[22:23], -v[24:25]
	scratch_load_b128 v[22:25], off, off offset:672
	v_add_f64_e32 v[149:150], v[149:150], v[157:158]
	v_add_f64_e32 v[151:152], v[151:152], v[155:156]
	v_fma_f64 v[155:156], v[4:5], v[26:27], v[159:160]
	v_fma_f64 v[157:158], v[2:3], v[26:27], -v[28:29]
	ds_load_b128 v[2:5], v1 offset:1264
	s_wait_loadcnt_dscnt 0x901
	v_mul_f64_e32 v[153:154], v[145:146], v[32:33]
	v_mul_f64_e32 v[32:33], v[147:148], v[32:33]
	scratch_load_b128 v[26:29], off, off offset:688
	s_wait_loadcnt_dscnt 0x900
	v_mul_f64_e32 v[159:160], v[2:3], v[40:41]
	v_mul_f64_e32 v[40:41], v[4:5], v[40:41]
	v_add_f64_e32 v[149:150], v[149:150], v[137:138]
	v_add_f64_e32 v[151:152], v[151:152], v[139:140]
	ds_load_b128 v[137:140], v1 offset:1280
	v_fma_f64 v[147:148], v[147:148], v[30:31], v[153:154]
	v_fma_f64 v[145:146], v[145:146], v[30:31], -v[32:33]
	scratch_load_b128 v[30:33], off, off offset:704
	v_add_f64_e32 v[149:150], v[149:150], v[157:158]
	v_add_f64_e32 v[151:152], v[151:152], v[155:156]
	v_fma_f64 v[157:158], v[4:5], v[38:39], v[159:160]
	v_fma_f64 v[159:160], v[2:3], v[38:39], -v[40:41]
	ds_load_b128 v[2:5], v1 offset:1296
	s_wait_loadcnt_dscnt 0x801
	v_mul_f64_e32 v[153:154], v[137:138], v[143:144]
	v_mul_f64_e32 v[155:156], v[139:140], v[143:144]
	scratch_load_b128 v[38:41], off, off offset:720
	v_add_f64_e32 v[149:150], v[149:150], v[145:146]
	v_add_f64_e32 v[147:148], v[151:152], v[147:148]
	ds_load_b128 v[143:146], v1 offset:1312
	v_fma_f64 v[139:140], v[139:140], v[141:142], v[153:154]
	v_fma_f64 v[137:138], v[137:138], v[141:142], -v[155:156]
	s_wait_loadcnt_dscnt 0x801
	v_mul_f64_e32 v[151:152], v[2:3], v[36:37]
	v_mul_f64_e32 v[36:37], v[4:5], v[36:37]
	v_add_f64_e32 v[141:142], v[149:150], v[159:160]
	v_add_f64_e32 v[147:148], v[147:148], v[157:158]
	s_delay_alu instid0(VALU_DEP_4) | instskip(NEXT) | instid1(VALU_DEP_4)
	v_fma_f64 v[151:152], v[4:5], v[34:35], v[151:152]
	v_fma_f64 v[153:154], v[2:3], v[34:35], -v[36:37]
	s_wait_loadcnt_dscnt 0x700
	v_mul_f64_e32 v[149:150], v[143:144], v[8:9]
	v_mul_f64_e32 v[8:9], v[145:146], v[8:9]
	ds_load_b128 v[2:5], v1 offset:1328
	ds_load_b128 v[34:37], v1 offset:1344
	v_add_f64_e32 v[137:138], v[141:142], v[137:138]
	v_add_f64_e32 v[139:140], v[147:148], v[139:140]
	s_wait_loadcnt_dscnt 0x601
	v_mul_f64_e32 v[141:142], v[2:3], v[12:13]
	v_mul_f64_e32 v[12:13], v[4:5], v[12:13]
	v_fma_f64 v[145:146], v[145:146], v[6:7], v[149:150]
	v_fma_f64 v[6:7], v[143:144], v[6:7], -v[8:9]
	v_add_f64_e32 v[8:9], v[137:138], v[153:154]
	v_add_f64_e32 v[137:138], v[139:140], v[151:152]
	s_wait_loadcnt_dscnt 0x500
	v_mul_f64_e32 v[139:140], v[34:35], v[16:17]
	v_mul_f64_e32 v[16:17], v[36:37], v[16:17]
	v_fma_f64 v[141:142], v[4:5], v[10:11], v[141:142]
	v_fma_f64 v[10:11], v[2:3], v[10:11], -v[12:13]
	v_add_f64_e32 v[12:13], v[8:9], v[6:7]
	v_add_f64_e32 v[137:138], v[137:138], v[145:146]
	ds_load_b128 v[2:5], v1 offset:1360
	ds_load_b128 v[6:9], v1 offset:1376
	v_fma_f64 v[36:37], v[36:37], v[14:15], v[139:140]
	v_fma_f64 v[14:15], v[34:35], v[14:15], -v[16:17]
	s_wait_loadcnt_dscnt 0x401
	v_mul_f64_e32 v[143:144], v[2:3], v[20:21]
	v_mul_f64_e32 v[20:21], v[4:5], v[20:21]
	s_wait_loadcnt_dscnt 0x300
	v_mul_f64_e32 v[16:17], v[6:7], v[24:25]
	v_mul_f64_e32 v[24:25], v[8:9], v[24:25]
	v_add_f64_e32 v[10:11], v[12:13], v[10:11]
	v_add_f64_e32 v[12:13], v[137:138], v[141:142]
	v_fma_f64 v[34:35], v[4:5], v[18:19], v[143:144]
	v_fma_f64 v[18:19], v[2:3], v[18:19], -v[20:21]
	v_fma_f64 v[8:9], v[8:9], v[22:23], v[16:17]
	v_fma_f64 v[6:7], v[6:7], v[22:23], -v[24:25]
	v_add_f64_e32 v[14:15], v[10:11], v[14:15]
	v_add_f64_e32 v[20:21], v[12:13], v[36:37]
	ds_load_b128 v[2:5], v1 offset:1392
	ds_load_b128 v[10:13], v1 offset:1408
	s_wait_loadcnt_dscnt 0x201
	v_mul_f64_e32 v[36:37], v[2:3], v[28:29]
	v_mul_f64_e32 v[28:29], v[4:5], v[28:29]
	v_add_f64_e32 v[14:15], v[14:15], v[18:19]
	v_add_f64_e32 v[16:17], v[20:21], v[34:35]
	s_wait_loadcnt_dscnt 0x100
	v_mul_f64_e32 v[18:19], v[10:11], v[32:33]
	v_mul_f64_e32 v[20:21], v[12:13], v[32:33]
	v_fma_f64 v[22:23], v[4:5], v[26:27], v[36:37]
	v_fma_f64 v[24:25], v[2:3], v[26:27], -v[28:29]
	ds_load_b128 v[2:5], v1 offset:1424
	v_add_f64_e32 v[6:7], v[14:15], v[6:7]
	v_add_f64_e32 v[8:9], v[16:17], v[8:9]
	v_fma_f64 v[12:13], v[12:13], v[30:31], v[18:19]
	v_fma_f64 v[10:11], v[10:11], v[30:31], -v[20:21]
	s_wait_loadcnt_dscnt 0x0
	v_mul_f64_e32 v[14:15], v[2:3], v[40:41]
	v_mul_f64_e32 v[16:17], v[4:5], v[40:41]
	v_add_f64_e32 v[6:7], v[6:7], v[24:25]
	v_add_f64_e32 v[8:9], v[8:9], v[22:23]
	s_delay_alu instid0(VALU_DEP_4) | instskip(NEXT) | instid1(VALU_DEP_4)
	v_fma_f64 v[4:5], v[4:5], v[38:39], v[14:15]
	v_fma_f64 v[2:3], v[2:3], v[38:39], -v[16:17]
	s_delay_alu instid0(VALU_DEP_4) | instskip(NEXT) | instid1(VALU_DEP_4)
	v_add_f64_e32 v[6:7], v[6:7], v[10:11]
	v_add_f64_e32 v[8:9], v[8:9], v[12:13]
	s_delay_alu instid0(VALU_DEP_2) | instskip(NEXT) | instid1(VALU_DEP_2)
	v_add_f64_e32 v[2:3], v[6:7], v[2:3]
	v_add_f64_e32 v[4:5], v[8:9], v[4:5]
	s_delay_alu instid0(VALU_DEP_2) | instskip(NEXT) | instid1(VALU_DEP_2)
	v_add_f64_e64 v[2:3], v[42:43], -v[2:3]
	v_add_f64_e64 v[4:5], v[44:45], -v[4:5]
	scratch_store_b128 off, v[2:5], off offset:416
	v_cmpx_lt_u32_e32 24, v0
	s_cbranch_execz .LBB44_235
; %bb.234:
	scratch_load_b128 v[5:8], off, s34
	v_dual_mov_b32 v2, v1 :: v_dual_mov_b32 v3, v1
	v_mov_b32_e32 v4, v1
	scratch_store_b128 off, v[1:4], off offset:400
	s_wait_loadcnt 0x0
	ds_store_b128 v136, v[5:8]
.LBB44_235:
	s_wait_alu 0xfffe
	s_or_b32 exec_lo, exec_lo, s0
	s_wait_storecnt_dscnt 0x0
	s_barrier_signal -1
	s_barrier_wait -1
	global_inv scope:SCOPE_SE
	s_clause 0x8
	scratch_load_b128 v[2:5], off, off offset:416
	scratch_load_b128 v[6:9], off, off offset:432
	;; [unrolled: 1-line block ×9, first 2 shown]
	ds_load_b128 v[38:41], v1 offset:1120
	ds_load_b128 v[42:45], v1 offset:1136
	s_clause 0x1
	scratch_load_b128 v[137:140], off, off offset:400
	scratch_load_b128 v[141:144], off, off offset:560
	s_mov_b32 s0, exec_lo
	s_wait_loadcnt_dscnt 0xa01
	v_mul_f64_e32 v[145:146], v[40:41], v[4:5]
	v_mul_f64_e32 v[4:5], v[38:39], v[4:5]
	s_wait_loadcnt_dscnt 0x900
	v_mul_f64_e32 v[149:150], v[42:43], v[8:9]
	v_mul_f64_e32 v[8:9], v[44:45], v[8:9]
	s_delay_alu instid0(VALU_DEP_4) | instskip(NEXT) | instid1(VALU_DEP_4)
	v_fma_f64 v[151:152], v[38:39], v[2:3], -v[145:146]
	v_fma_f64 v[153:154], v[40:41], v[2:3], v[4:5]
	ds_load_b128 v[2:5], v1 offset:1152
	ds_load_b128 v[145:148], v1 offset:1168
	scratch_load_b128 v[38:41], off, off offset:576
	v_fma_f64 v[44:45], v[44:45], v[6:7], v[149:150]
	v_fma_f64 v[42:43], v[42:43], v[6:7], -v[8:9]
	scratch_load_b128 v[6:9], off, off offset:592
	s_wait_loadcnt_dscnt 0xa01
	v_mul_f64_e32 v[155:156], v[2:3], v[12:13]
	v_mul_f64_e32 v[12:13], v[4:5], v[12:13]
	v_add_f64_e32 v[149:150], 0, v[151:152]
	v_add_f64_e32 v[151:152], 0, v[153:154]
	s_wait_loadcnt_dscnt 0x900
	v_mul_f64_e32 v[153:154], v[145:146], v[16:17]
	v_mul_f64_e32 v[16:17], v[147:148], v[16:17]
	v_fma_f64 v[155:156], v[4:5], v[10:11], v[155:156]
	v_fma_f64 v[157:158], v[2:3], v[10:11], -v[12:13]
	ds_load_b128 v[2:5], v1 offset:1184
	scratch_load_b128 v[10:13], off, off offset:608
	v_add_f64_e32 v[149:150], v[149:150], v[42:43]
	v_add_f64_e32 v[151:152], v[151:152], v[44:45]
	ds_load_b128 v[42:45], v1 offset:1200
	v_fma_f64 v[147:148], v[147:148], v[14:15], v[153:154]
	v_fma_f64 v[145:146], v[145:146], v[14:15], -v[16:17]
	scratch_load_b128 v[14:17], off, off offset:624
	s_wait_loadcnt_dscnt 0xa01
	v_mul_f64_e32 v[159:160], v[2:3], v[20:21]
	v_mul_f64_e32 v[20:21], v[4:5], v[20:21]
	s_wait_loadcnt_dscnt 0x900
	v_mul_f64_e32 v[153:154], v[42:43], v[24:25]
	v_mul_f64_e32 v[24:25], v[44:45], v[24:25]
	v_add_f64_e32 v[149:150], v[149:150], v[157:158]
	v_add_f64_e32 v[151:152], v[151:152], v[155:156]
	v_fma_f64 v[155:156], v[4:5], v[18:19], v[159:160]
	v_fma_f64 v[157:158], v[2:3], v[18:19], -v[20:21]
	ds_load_b128 v[2:5], v1 offset:1216
	scratch_load_b128 v[18:21], off, off offset:640
	v_fma_f64 v[44:45], v[44:45], v[22:23], v[153:154]
	v_fma_f64 v[42:43], v[42:43], v[22:23], -v[24:25]
	scratch_load_b128 v[22:25], off, off offset:656
	v_add_f64_e32 v[149:150], v[149:150], v[145:146]
	v_add_f64_e32 v[151:152], v[151:152], v[147:148]
	ds_load_b128 v[145:148], v1 offset:1232
	s_wait_loadcnt_dscnt 0xa01
	v_mul_f64_e32 v[159:160], v[2:3], v[28:29]
	v_mul_f64_e32 v[28:29], v[4:5], v[28:29]
	s_wait_loadcnt_dscnt 0x900
	v_mul_f64_e32 v[153:154], v[145:146], v[32:33]
	v_mul_f64_e32 v[32:33], v[147:148], v[32:33]
	v_add_f64_e32 v[149:150], v[149:150], v[157:158]
	v_add_f64_e32 v[151:152], v[151:152], v[155:156]
	v_fma_f64 v[155:156], v[4:5], v[26:27], v[159:160]
	v_fma_f64 v[157:158], v[2:3], v[26:27], -v[28:29]
	ds_load_b128 v[2:5], v1 offset:1248
	scratch_load_b128 v[26:29], off, off offset:672
	v_fma_f64 v[147:148], v[147:148], v[30:31], v[153:154]
	v_fma_f64 v[145:146], v[145:146], v[30:31], -v[32:33]
	scratch_load_b128 v[30:33], off, off offset:688
	v_add_f64_e32 v[149:150], v[149:150], v[42:43]
	v_add_f64_e32 v[151:152], v[151:152], v[44:45]
	ds_load_b128 v[42:45], v1 offset:1264
	s_wait_loadcnt_dscnt 0xa01
	v_mul_f64_e32 v[159:160], v[2:3], v[36:37]
	v_mul_f64_e32 v[36:37], v[4:5], v[36:37]
	s_wait_loadcnt_dscnt 0x800
	v_mul_f64_e32 v[153:154], v[42:43], v[143:144]
	v_add_f64_e32 v[149:150], v[149:150], v[157:158]
	v_add_f64_e32 v[151:152], v[151:152], v[155:156]
	v_mul_f64_e32 v[155:156], v[44:45], v[143:144]
	v_fma_f64 v[157:158], v[4:5], v[34:35], v[159:160]
	v_fma_f64 v[159:160], v[2:3], v[34:35], -v[36:37]
	ds_load_b128 v[2:5], v1 offset:1280
	scratch_load_b128 v[34:37], off, off offset:704
	v_fma_f64 v[44:45], v[44:45], v[141:142], v[153:154]
	v_add_f64_e32 v[149:150], v[149:150], v[145:146]
	v_add_f64_e32 v[147:148], v[151:152], v[147:148]
	ds_load_b128 v[143:146], v1 offset:1296
	v_fma_f64 v[141:142], v[42:43], v[141:142], -v[155:156]
	s_wait_loadcnt_dscnt 0x801
	v_mul_f64_e32 v[151:152], v[2:3], v[40:41]
	v_mul_f64_e32 v[161:162], v[4:5], v[40:41]
	scratch_load_b128 v[40:43], off, off offset:720
	s_wait_loadcnt_dscnt 0x800
	v_mul_f64_e32 v[153:154], v[143:144], v[8:9]
	v_mul_f64_e32 v[8:9], v[145:146], v[8:9]
	v_add_f64_e32 v[149:150], v[149:150], v[159:160]
	v_add_f64_e32 v[147:148], v[147:148], v[157:158]
	v_fma_f64 v[151:152], v[4:5], v[38:39], v[151:152]
	v_fma_f64 v[38:39], v[2:3], v[38:39], -v[161:162]
	v_fma_f64 v[145:146], v[145:146], v[6:7], v[153:154]
	v_fma_f64 v[6:7], v[143:144], v[6:7], -v[8:9]
	v_add_f64_e32 v[141:142], v[149:150], v[141:142]
	v_add_f64_e32 v[44:45], v[147:148], v[44:45]
	ds_load_b128 v[2:5], v1 offset:1312
	ds_load_b128 v[147:150], v1 offset:1328
	s_wait_loadcnt_dscnt 0x701
	v_mul_f64_e32 v[155:156], v[2:3], v[12:13]
	v_mul_f64_e32 v[12:13], v[4:5], v[12:13]
	v_add_f64_e32 v[8:9], v[141:142], v[38:39]
	v_add_f64_e32 v[38:39], v[44:45], v[151:152]
	s_wait_loadcnt_dscnt 0x600
	v_mul_f64_e32 v[44:45], v[147:148], v[16:17]
	v_mul_f64_e32 v[16:17], v[149:150], v[16:17]
	v_fma_f64 v[141:142], v[4:5], v[10:11], v[155:156]
	v_fma_f64 v[10:11], v[2:3], v[10:11], -v[12:13]
	v_add_f64_e32 v[12:13], v[8:9], v[6:7]
	v_add_f64_e32 v[38:39], v[38:39], v[145:146]
	ds_load_b128 v[2:5], v1 offset:1344
	ds_load_b128 v[6:9], v1 offset:1360
	v_fma_f64 v[44:45], v[149:150], v[14:15], v[44:45]
	v_fma_f64 v[14:15], v[147:148], v[14:15], -v[16:17]
	s_wait_loadcnt_dscnt 0x501
	v_mul_f64_e32 v[143:144], v[2:3], v[20:21]
	v_mul_f64_e32 v[20:21], v[4:5], v[20:21]
	s_wait_loadcnt_dscnt 0x400
	v_mul_f64_e32 v[16:17], v[6:7], v[24:25]
	v_mul_f64_e32 v[24:25], v[8:9], v[24:25]
	v_add_f64_e32 v[10:11], v[12:13], v[10:11]
	v_add_f64_e32 v[12:13], v[38:39], v[141:142]
	v_fma_f64 v[38:39], v[4:5], v[18:19], v[143:144]
	v_fma_f64 v[18:19], v[2:3], v[18:19], -v[20:21]
	v_fma_f64 v[8:9], v[8:9], v[22:23], v[16:17]
	v_fma_f64 v[6:7], v[6:7], v[22:23], -v[24:25]
	v_add_f64_e32 v[14:15], v[10:11], v[14:15]
	v_add_f64_e32 v[20:21], v[12:13], v[44:45]
	ds_load_b128 v[2:5], v1 offset:1376
	ds_load_b128 v[10:13], v1 offset:1392
	s_wait_loadcnt_dscnt 0x301
	v_mul_f64_e32 v[44:45], v[2:3], v[28:29]
	v_mul_f64_e32 v[28:29], v[4:5], v[28:29]
	v_add_f64_e32 v[14:15], v[14:15], v[18:19]
	v_add_f64_e32 v[16:17], v[20:21], v[38:39]
	s_wait_loadcnt_dscnt 0x200
	v_mul_f64_e32 v[18:19], v[10:11], v[32:33]
	v_mul_f64_e32 v[20:21], v[12:13], v[32:33]
	v_fma_f64 v[22:23], v[4:5], v[26:27], v[44:45]
	v_fma_f64 v[24:25], v[2:3], v[26:27], -v[28:29]
	v_add_f64_e32 v[14:15], v[14:15], v[6:7]
	v_add_f64_e32 v[16:17], v[16:17], v[8:9]
	ds_load_b128 v[2:5], v1 offset:1408
	ds_load_b128 v[6:9], v1 offset:1424
	v_fma_f64 v[12:13], v[12:13], v[30:31], v[18:19]
	v_fma_f64 v[10:11], v[10:11], v[30:31], -v[20:21]
	s_wait_loadcnt_dscnt 0x101
	v_mul_f64_e32 v[26:27], v[2:3], v[36:37]
	v_mul_f64_e32 v[28:29], v[4:5], v[36:37]
	s_wait_loadcnt_dscnt 0x0
	v_mul_f64_e32 v[18:19], v[6:7], v[42:43]
	v_add_f64_e32 v[14:15], v[14:15], v[24:25]
	v_add_f64_e32 v[16:17], v[16:17], v[22:23]
	v_mul_f64_e32 v[20:21], v[8:9], v[42:43]
	v_fma_f64 v[4:5], v[4:5], v[34:35], v[26:27]
	v_fma_f64 v[1:2], v[2:3], v[34:35], -v[28:29]
	v_fma_f64 v[8:9], v[8:9], v[40:41], v[18:19]
	v_add_f64_e32 v[10:11], v[14:15], v[10:11]
	v_add_f64_e32 v[12:13], v[16:17], v[12:13]
	v_fma_f64 v[6:7], v[6:7], v[40:41], -v[20:21]
	s_delay_alu instid0(VALU_DEP_3) | instskip(NEXT) | instid1(VALU_DEP_3)
	v_add_f64_e32 v[1:2], v[10:11], v[1:2]
	v_add_f64_e32 v[3:4], v[12:13], v[4:5]
	s_delay_alu instid0(VALU_DEP_2) | instskip(NEXT) | instid1(VALU_DEP_2)
	v_add_f64_e32 v[1:2], v[1:2], v[6:7]
	v_add_f64_e32 v[3:4], v[3:4], v[8:9]
	s_delay_alu instid0(VALU_DEP_2) | instskip(NEXT) | instid1(VALU_DEP_2)
	v_add_f64_e64 v[1:2], v[137:138], -v[1:2]
	v_add_f64_e64 v[3:4], v[139:140], -v[3:4]
	scratch_store_b128 off, v[1:4], off offset:400
	v_cmpx_lt_u32_e32 23, v0
	s_cbranch_execz .LBB44_237
; %bb.236:
	scratch_load_b128 v[1:4], off, s35
	v_mov_b32_e32 v5, 0
	s_delay_alu instid0(VALU_DEP_1)
	v_dual_mov_b32 v6, v5 :: v_dual_mov_b32 v7, v5
	v_mov_b32_e32 v8, v5
	scratch_store_b128 off, v[5:8], off offset:384
	s_wait_loadcnt 0x0
	ds_store_b128 v136, v[1:4]
.LBB44_237:
	s_wait_alu 0xfffe
	s_or_b32 exec_lo, exec_lo, s0
	s_wait_storecnt_dscnt 0x0
	s_barrier_signal -1
	s_barrier_wait -1
	global_inv scope:SCOPE_SE
	s_clause 0x7
	scratch_load_b128 v[2:5], off, off offset:400
	scratch_load_b128 v[6:9], off, off offset:416
	;; [unrolled: 1-line block ×8, first 2 shown]
	v_mov_b32_e32 v1, 0
	s_mov_b32 s0, exec_lo
	ds_load_b128 v[34:37], v1 offset:1104
	s_clause 0x1
	scratch_load_b128 v[38:41], off, off offset:528
	scratch_load_b128 v[42:45], off, off offset:384
	ds_load_b128 v[137:140], v1 offset:1120
	scratch_load_b128 v[141:144], off, off offset:544
	s_wait_loadcnt_dscnt 0xa01
	v_mul_f64_e32 v[145:146], v[36:37], v[4:5]
	v_mul_f64_e32 v[4:5], v[34:35], v[4:5]
	s_delay_alu instid0(VALU_DEP_2) | instskip(NEXT) | instid1(VALU_DEP_2)
	v_fma_f64 v[151:152], v[34:35], v[2:3], -v[145:146]
	v_fma_f64 v[153:154], v[36:37], v[2:3], v[4:5]
	ds_load_b128 v[2:5], v1 offset:1136
	s_wait_loadcnt_dscnt 0x901
	v_mul_f64_e32 v[149:150], v[137:138], v[8:9]
	v_mul_f64_e32 v[8:9], v[139:140], v[8:9]
	scratch_load_b128 v[34:37], off, off offset:560
	ds_load_b128 v[145:148], v1 offset:1152
	s_wait_loadcnt_dscnt 0x901
	v_mul_f64_e32 v[155:156], v[2:3], v[12:13]
	v_mul_f64_e32 v[12:13], v[4:5], v[12:13]
	v_fma_f64 v[139:140], v[139:140], v[6:7], v[149:150]
	v_fma_f64 v[137:138], v[137:138], v[6:7], -v[8:9]
	v_add_f64_e32 v[149:150], 0, v[151:152]
	v_add_f64_e32 v[151:152], 0, v[153:154]
	scratch_load_b128 v[6:9], off, off offset:576
	v_fma_f64 v[155:156], v[4:5], v[10:11], v[155:156]
	v_fma_f64 v[157:158], v[2:3], v[10:11], -v[12:13]
	ds_load_b128 v[2:5], v1 offset:1168
	s_wait_loadcnt_dscnt 0x901
	v_mul_f64_e32 v[153:154], v[145:146], v[16:17]
	v_mul_f64_e32 v[16:17], v[147:148], v[16:17]
	scratch_load_b128 v[10:13], off, off offset:592
	v_add_f64_e32 v[149:150], v[149:150], v[137:138]
	v_add_f64_e32 v[151:152], v[151:152], v[139:140]
	s_wait_loadcnt_dscnt 0x900
	v_mul_f64_e32 v[159:160], v[2:3], v[20:21]
	v_mul_f64_e32 v[20:21], v[4:5], v[20:21]
	ds_load_b128 v[137:140], v1 offset:1184
	v_fma_f64 v[147:148], v[147:148], v[14:15], v[153:154]
	v_fma_f64 v[145:146], v[145:146], v[14:15], -v[16:17]
	scratch_load_b128 v[14:17], off, off offset:608
	v_add_f64_e32 v[149:150], v[149:150], v[157:158]
	v_add_f64_e32 v[151:152], v[151:152], v[155:156]
	v_fma_f64 v[155:156], v[4:5], v[18:19], v[159:160]
	v_fma_f64 v[157:158], v[2:3], v[18:19], -v[20:21]
	ds_load_b128 v[2:5], v1 offset:1200
	s_wait_loadcnt_dscnt 0x901
	v_mul_f64_e32 v[153:154], v[137:138], v[24:25]
	v_mul_f64_e32 v[24:25], v[139:140], v[24:25]
	scratch_load_b128 v[18:21], off, off offset:624
	s_wait_loadcnt_dscnt 0x900
	v_mul_f64_e32 v[159:160], v[2:3], v[28:29]
	v_mul_f64_e32 v[28:29], v[4:5], v[28:29]
	v_add_f64_e32 v[149:150], v[149:150], v[145:146]
	v_add_f64_e32 v[151:152], v[151:152], v[147:148]
	ds_load_b128 v[145:148], v1 offset:1216
	v_fma_f64 v[139:140], v[139:140], v[22:23], v[153:154]
	v_fma_f64 v[137:138], v[137:138], v[22:23], -v[24:25]
	scratch_load_b128 v[22:25], off, off offset:640
	v_add_f64_e32 v[149:150], v[149:150], v[157:158]
	v_add_f64_e32 v[151:152], v[151:152], v[155:156]
	v_fma_f64 v[155:156], v[4:5], v[26:27], v[159:160]
	v_fma_f64 v[157:158], v[2:3], v[26:27], -v[28:29]
	ds_load_b128 v[2:5], v1 offset:1232
	s_wait_loadcnt_dscnt 0x901
	v_mul_f64_e32 v[153:154], v[145:146], v[32:33]
	v_mul_f64_e32 v[32:33], v[147:148], v[32:33]
	scratch_load_b128 v[26:29], off, off offset:656
	s_wait_loadcnt_dscnt 0x900
	v_mul_f64_e32 v[159:160], v[2:3], v[40:41]
	v_mul_f64_e32 v[40:41], v[4:5], v[40:41]
	v_add_f64_e32 v[149:150], v[149:150], v[137:138]
	v_add_f64_e32 v[151:152], v[151:152], v[139:140]
	ds_load_b128 v[137:140], v1 offset:1248
	v_fma_f64 v[147:148], v[147:148], v[30:31], v[153:154]
	v_fma_f64 v[145:146], v[145:146], v[30:31], -v[32:33]
	scratch_load_b128 v[30:33], off, off offset:672
	v_add_f64_e32 v[149:150], v[149:150], v[157:158]
	v_add_f64_e32 v[151:152], v[151:152], v[155:156]
	v_fma_f64 v[157:158], v[4:5], v[38:39], v[159:160]
	v_fma_f64 v[159:160], v[2:3], v[38:39], -v[40:41]
	ds_load_b128 v[2:5], v1 offset:1264
	s_wait_loadcnt_dscnt 0x801
	v_mul_f64_e32 v[153:154], v[137:138], v[143:144]
	v_mul_f64_e32 v[155:156], v[139:140], v[143:144]
	scratch_load_b128 v[38:41], off, off offset:688
	v_add_f64_e32 v[149:150], v[149:150], v[145:146]
	v_add_f64_e32 v[147:148], v[151:152], v[147:148]
	ds_load_b128 v[143:146], v1 offset:1280
	v_fma_f64 v[153:154], v[139:140], v[141:142], v[153:154]
	v_fma_f64 v[141:142], v[137:138], v[141:142], -v[155:156]
	scratch_load_b128 v[137:140], off, off offset:704
	s_wait_loadcnt_dscnt 0x901
	v_mul_f64_e32 v[151:152], v[2:3], v[36:37]
	v_mul_f64_e32 v[36:37], v[4:5], v[36:37]
	v_add_f64_e32 v[149:150], v[149:150], v[159:160]
	v_add_f64_e32 v[147:148], v[147:148], v[157:158]
	s_delay_alu instid0(VALU_DEP_4) | instskip(NEXT) | instid1(VALU_DEP_4)
	v_fma_f64 v[151:152], v[4:5], v[34:35], v[151:152]
	v_fma_f64 v[157:158], v[2:3], v[34:35], -v[36:37]
	ds_load_b128 v[2:5], v1 offset:1296
	s_wait_loadcnt_dscnt 0x801
	v_mul_f64_e32 v[155:156], v[143:144], v[8:9]
	v_mul_f64_e32 v[8:9], v[145:146], v[8:9]
	scratch_load_b128 v[34:37], off, off offset:720
	s_wait_loadcnt_dscnt 0x800
	v_mul_f64_e32 v[159:160], v[2:3], v[12:13]
	v_add_f64_e32 v[141:142], v[149:150], v[141:142]
	v_add_f64_e32 v[153:154], v[147:148], v[153:154]
	v_mul_f64_e32 v[12:13], v[4:5], v[12:13]
	ds_load_b128 v[147:150], v1 offset:1312
	v_fma_f64 v[145:146], v[145:146], v[6:7], v[155:156]
	v_fma_f64 v[6:7], v[143:144], v[6:7], -v[8:9]
	s_wait_loadcnt_dscnt 0x700
	v_mul_f64_e32 v[143:144], v[147:148], v[16:17]
	v_add_f64_e32 v[8:9], v[141:142], v[157:158]
	v_add_f64_e32 v[141:142], v[153:154], v[151:152]
	v_mul_f64_e32 v[16:17], v[149:150], v[16:17]
	v_fma_f64 v[151:152], v[4:5], v[10:11], v[159:160]
	v_fma_f64 v[10:11], v[2:3], v[10:11], -v[12:13]
	v_fma_f64 v[143:144], v[149:150], v[14:15], v[143:144]
	v_add_f64_e32 v[12:13], v[8:9], v[6:7]
	v_add_f64_e32 v[141:142], v[141:142], v[145:146]
	ds_load_b128 v[2:5], v1 offset:1328
	ds_load_b128 v[6:9], v1 offset:1344
	v_fma_f64 v[14:15], v[147:148], v[14:15], -v[16:17]
	s_wait_loadcnt_dscnt 0x601
	v_mul_f64_e32 v[145:146], v[2:3], v[20:21]
	v_mul_f64_e32 v[20:21], v[4:5], v[20:21]
	s_wait_loadcnt_dscnt 0x500
	v_mul_f64_e32 v[16:17], v[6:7], v[24:25]
	v_mul_f64_e32 v[24:25], v[8:9], v[24:25]
	v_add_f64_e32 v[10:11], v[12:13], v[10:11]
	v_add_f64_e32 v[12:13], v[141:142], v[151:152]
	v_fma_f64 v[141:142], v[4:5], v[18:19], v[145:146]
	v_fma_f64 v[18:19], v[2:3], v[18:19], -v[20:21]
	v_fma_f64 v[8:9], v[8:9], v[22:23], v[16:17]
	v_fma_f64 v[6:7], v[6:7], v[22:23], -v[24:25]
	v_add_f64_e32 v[14:15], v[10:11], v[14:15]
	v_add_f64_e32 v[20:21], v[12:13], v[143:144]
	ds_load_b128 v[2:5], v1 offset:1360
	ds_load_b128 v[10:13], v1 offset:1376
	s_wait_loadcnt_dscnt 0x401
	v_mul_f64_e32 v[143:144], v[2:3], v[28:29]
	v_mul_f64_e32 v[28:29], v[4:5], v[28:29]
	v_add_f64_e32 v[14:15], v[14:15], v[18:19]
	v_add_f64_e32 v[16:17], v[20:21], v[141:142]
	s_wait_loadcnt_dscnt 0x300
	v_mul_f64_e32 v[18:19], v[10:11], v[32:33]
	v_mul_f64_e32 v[20:21], v[12:13], v[32:33]
	v_fma_f64 v[22:23], v[4:5], v[26:27], v[143:144]
	v_fma_f64 v[24:25], v[2:3], v[26:27], -v[28:29]
	v_add_f64_e32 v[14:15], v[14:15], v[6:7]
	v_add_f64_e32 v[16:17], v[16:17], v[8:9]
	ds_load_b128 v[2:5], v1 offset:1392
	ds_load_b128 v[6:9], v1 offset:1408
	v_fma_f64 v[12:13], v[12:13], v[30:31], v[18:19]
	v_fma_f64 v[10:11], v[10:11], v[30:31], -v[20:21]
	s_wait_loadcnt_dscnt 0x201
	v_mul_f64_e32 v[26:27], v[2:3], v[40:41]
	v_mul_f64_e32 v[28:29], v[4:5], v[40:41]
	s_wait_loadcnt_dscnt 0x100
	v_mul_f64_e32 v[18:19], v[6:7], v[139:140]
	v_mul_f64_e32 v[20:21], v[8:9], v[139:140]
	v_add_f64_e32 v[14:15], v[14:15], v[24:25]
	v_add_f64_e32 v[16:17], v[16:17], v[22:23]
	v_fma_f64 v[22:23], v[4:5], v[38:39], v[26:27]
	v_fma_f64 v[24:25], v[2:3], v[38:39], -v[28:29]
	ds_load_b128 v[2:5], v1 offset:1424
	v_fma_f64 v[8:9], v[8:9], v[137:138], v[18:19]
	v_fma_f64 v[6:7], v[6:7], v[137:138], -v[20:21]
	v_add_f64_e32 v[10:11], v[14:15], v[10:11]
	v_add_f64_e32 v[12:13], v[16:17], v[12:13]
	s_wait_loadcnt_dscnt 0x0
	v_mul_f64_e32 v[14:15], v[2:3], v[36:37]
	v_mul_f64_e32 v[16:17], v[4:5], v[36:37]
	s_delay_alu instid0(VALU_DEP_4) | instskip(NEXT) | instid1(VALU_DEP_4)
	v_add_f64_e32 v[10:11], v[10:11], v[24:25]
	v_add_f64_e32 v[12:13], v[12:13], v[22:23]
	s_delay_alu instid0(VALU_DEP_4) | instskip(NEXT) | instid1(VALU_DEP_4)
	v_fma_f64 v[4:5], v[4:5], v[34:35], v[14:15]
	v_fma_f64 v[2:3], v[2:3], v[34:35], -v[16:17]
	s_delay_alu instid0(VALU_DEP_4) | instskip(NEXT) | instid1(VALU_DEP_4)
	v_add_f64_e32 v[6:7], v[10:11], v[6:7]
	v_add_f64_e32 v[8:9], v[12:13], v[8:9]
	s_delay_alu instid0(VALU_DEP_2) | instskip(NEXT) | instid1(VALU_DEP_2)
	v_add_f64_e32 v[2:3], v[6:7], v[2:3]
	v_add_f64_e32 v[4:5], v[8:9], v[4:5]
	s_delay_alu instid0(VALU_DEP_2) | instskip(NEXT) | instid1(VALU_DEP_2)
	v_add_f64_e64 v[2:3], v[42:43], -v[2:3]
	v_add_f64_e64 v[4:5], v[44:45], -v[4:5]
	scratch_store_b128 off, v[2:5], off offset:384
	v_cmpx_lt_u32_e32 22, v0
	s_cbranch_execz .LBB44_239
; %bb.238:
	scratch_load_b128 v[5:8], off, s36
	v_dual_mov_b32 v2, v1 :: v_dual_mov_b32 v3, v1
	v_mov_b32_e32 v4, v1
	scratch_store_b128 off, v[1:4], off offset:368
	s_wait_loadcnt 0x0
	ds_store_b128 v136, v[5:8]
.LBB44_239:
	s_wait_alu 0xfffe
	s_or_b32 exec_lo, exec_lo, s0
	s_wait_storecnt_dscnt 0x0
	s_barrier_signal -1
	s_barrier_wait -1
	global_inv scope:SCOPE_SE
	s_clause 0x8
	scratch_load_b128 v[2:5], off, off offset:384
	scratch_load_b128 v[6:9], off, off offset:400
	;; [unrolled: 1-line block ×9, first 2 shown]
	ds_load_b128 v[38:41], v1 offset:1088
	ds_load_b128 v[42:45], v1 offset:1104
	s_clause 0x1
	scratch_load_b128 v[137:140], off, off offset:368
	scratch_load_b128 v[141:144], off, off offset:528
	s_mov_b32 s0, exec_lo
	s_wait_loadcnt_dscnt 0xa01
	v_mul_f64_e32 v[145:146], v[40:41], v[4:5]
	v_mul_f64_e32 v[4:5], v[38:39], v[4:5]
	s_wait_loadcnt_dscnt 0x900
	v_mul_f64_e32 v[149:150], v[42:43], v[8:9]
	v_mul_f64_e32 v[8:9], v[44:45], v[8:9]
	s_delay_alu instid0(VALU_DEP_4) | instskip(NEXT) | instid1(VALU_DEP_4)
	v_fma_f64 v[151:152], v[38:39], v[2:3], -v[145:146]
	v_fma_f64 v[153:154], v[40:41], v[2:3], v[4:5]
	ds_load_b128 v[2:5], v1 offset:1120
	ds_load_b128 v[145:148], v1 offset:1136
	scratch_load_b128 v[38:41], off, off offset:544
	v_fma_f64 v[44:45], v[44:45], v[6:7], v[149:150]
	v_fma_f64 v[42:43], v[42:43], v[6:7], -v[8:9]
	scratch_load_b128 v[6:9], off, off offset:560
	s_wait_loadcnt_dscnt 0xa01
	v_mul_f64_e32 v[155:156], v[2:3], v[12:13]
	v_mul_f64_e32 v[12:13], v[4:5], v[12:13]
	v_add_f64_e32 v[149:150], 0, v[151:152]
	v_add_f64_e32 v[151:152], 0, v[153:154]
	s_wait_loadcnt_dscnt 0x900
	v_mul_f64_e32 v[153:154], v[145:146], v[16:17]
	v_mul_f64_e32 v[16:17], v[147:148], v[16:17]
	v_fma_f64 v[155:156], v[4:5], v[10:11], v[155:156]
	v_fma_f64 v[157:158], v[2:3], v[10:11], -v[12:13]
	ds_load_b128 v[2:5], v1 offset:1152
	scratch_load_b128 v[10:13], off, off offset:576
	v_add_f64_e32 v[149:150], v[149:150], v[42:43]
	v_add_f64_e32 v[151:152], v[151:152], v[44:45]
	ds_load_b128 v[42:45], v1 offset:1168
	v_fma_f64 v[147:148], v[147:148], v[14:15], v[153:154]
	v_fma_f64 v[145:146], v[145:146], v[14:15], -v[16:17]
	scratch_load_b128 v[14:17], off, off offset:592
	s_wait_loadcnt_dscnt 0xa01
	v_mul_f64_e32 v[159:160], v[2:3], v[20:21]
	v_mul_f64_e32 v[20:21], v[4:5], v[20:21]
	s_wait_loadcnt_dscnt 0x900
	v_mul_f64_e32 v[153:154], v[42:43], v[24:25]
	v_mul_f64_e32 v[24:25], v[44:45], v[24:25]
	v_add_f64_e32 v[149:150], v[149:150], v[157:158]
	v_add_f64_e32 v[151:152], v[151:152], v[155:156]
	v_fma_f64 v[155:156], v[4:5], v[18:19], v[159:160]
	v_fma_f64 v[157:158], v[2:3], v[18:19], -v[20:21]
	ds_load_b128 v[2:5], v1 offset:1184
	scratch_load_b128 v[18:21], off, off offset:608
	v_fma_f64 v[44:45], v[44:45], v[22:23], v[153:154]
	v_fma_f64 v[42:43], v[42:43], v[22:23], -v[24:25]
	scratch_load_b128 v[22:25], off, off offset:624
	v_add_f64_e32 v[149:150], v[149:150], v[145:146]
	v_add_f64_e32 v[151:152], v[151:152], v[147:148]
	ds_load_b128 v[145:148], v1 offset:1200
	s_wait_loadcnt_dscnt 0xa01
	v_mul_f64_e32 v[159:160], v[2:3], v[28:29]
	v_mul_f64_e32 v[28:29], v[4:5], v[28:29]
	s_wait_loadcnt_dscnt 0x900
	v_mul_f64_e32 v[153:154], v[145:146], v[32:33]
	v_mul_f64_e32 v[32:33], v[147:148], v[32:33]
	v_add_f64_e32 v[149:150], v[149:150], v[157:158]
	v_add_f64_e32 v[151:152], v[151:152], v[155:156]
	v_fma_f64 v[155:156], v[4:5], v[26:27], v[159:160]
	v_fma_f64 v[157:158], v[2:3], v[26:27], -v[28:29]
	ds_load_b128 v[2:5], v1 offset:1216
	scratch_load_b128 v[26:29], off, off offset:640
	v_fma_f64 v[147:148], v[147:148], v[30:31], v[153:154]
	v_fma_f64 v[145:146], v[145:146], v[30:31], -v[32:33]
	scratch_load_b128 v[30:33], off, off offset:656
	v_add_f64_e32 v[149:150], v[149:150], v[42:43]
	v_add_f64_e32 v[151:152], v[151:152], v[44:45]
	ds_load_b128 v[42:45], v1 offset:1232
	s_wait_loadcnt_dscnt 0xa01
	v_mul_f64_e32 v[159:160], v[2:3], v[36:37]
	v_mul_f64_e32 v[36:37], v[4:5], v[36:37]
	s_wait_loadcnt_dscnt 0x800
	v_mul_f64_e32 v[153:154], v[42:43], v[143:144]
	v_add_f64_e32 v[149:150], v[149:150], v[157:158]
	v_add_f64_e32 v[151:152], v[151:152], v[155:156]
	v_mul_f64_e32 v[155:156], v[44:45], v[143:144]
	v_fma_f64 v[157:158], v[4:5], v[34:35], v[159:160]
	v_fma_f64 v[159:160], v[2:3], v[34:35], -v[36:37]
	ds_load_b128 v[2:5], v1 offset:1248
	scratch_load_b128 v[34:37], off, off offset:672
	v_fma_f64 v[44:45], v[44:45], v[141:142], v[153:154]
	v_add_f64_e32 v[149:150], v[149:150], v[145:146]
	v_add_f64_e32 v[147:148], v[151:152], v[147:148]
	ds_load_b128 v[143:146], v1 offset:1264
	v_fma_f64 v[141:142], v[42:43], v[141:142], -v[155:156]
	s_wait_loadcnt_dscnt 0x801
	v_mul_f64_e32 v[151:152], v[2:3], v[40:41]
	v_mul_f64_e32 v[161:162], v[4:5], v[40:41]
	scratch_load_b128 v[40:43], off, off offset:688
	s_wait_loadcnt_dscnt 0x800
	v_mul_f64_e32 v[155:156], v[143:144], v[8:9]
	v_mul_f64_e32 v[8:9], v[145:146], v[8:9]
	v_add_f64_e32 v[149:150], v[149:150], v[159:160]
	v_add_f64_e32 v[147:148], v[147:148], v[157:158]
	v_fma_f64 v[157:158], v[4:5], v[38:39], v[151:152]
	v_fma_f64 v[38:39], v[2:3], v[38:39], -v[161:162]
	ds_load_b128 v[2:5], v1 offset:1280
	ds_load_b128 v[151:154], v1 offset:1296
	v_fma_f64 v[145:146], v[145:146], v[6:7], v[155:156]
	v_fma_f64 v[143:144], v[143:144], v[6:7], -v[8:9]
	scratch_load_b128 v[6:9], off, off offset:720
	v_add_f64_e32 v[141:142], v[149:150], v[141:142]
	v_add_f64_e32 v[44:45], v[147:148], v[44:45]
	scratch_load_b128 v[147:150], off, off offset:704
	s_wait_loadcnt_dscnt 0x901
	v_mul_f64_e32 v[159:160], v[2:3], v[12:13]
	v_mul_f64_e32 v[12:13], v[4:5], v[12:13]
	v_add_f64_e32 v[38:39], v[141:142], v[38:39]
	v_add_f64_e32 v[44:45], v[44:45], v[157:158]
	s_wait_loadcnt_dscnt 0x800
	v_mul_f64_e32 v[141:142], v[151:152], v[16:17]
	v_mul_f64_e32 v[16:17], v[153:154], v[16:17]
	v_fma_f64 v[155:156], v[4:5], v[10:11], v[159:160]
	v_fma_f64 v[157:158], v[2:3], v[10:11], -v[12:13]
	ds_load_b128 v[2:5], v1 offset:1312
	ds_load_b128 v[10:13], v1 offset:1328
	v_add_f64_e32 v[38:39], v[38:39], v[143:144]
	v_add_f64_e32 v[44:45], v[44:45], v[145:146]
	s_wait_loadcnt_dscnt 0x701
	v_mul_f64_e32 v[143:144], v[2:3], v[20:21]
	v_mul_f64_e32 v[20:21], v[4:5], v[20:21]
	v_fma_f64 v[141:142], v[153:154], v[14:15], v[141:142]
	v_fma_f64 v[14:15], v[151:152], v[14:15], -v[16:17]
	v_add_f64_e32 v[16:17], v[38:39], v[157:158]
	v_add_f64_e32 v[38:39], v[44:45], v[155:156]
	s_wait_loadcnt_dscnt 0x600
	v_mul_f64_e32 v[44:45], v[10:11], v[24:25]
	v_mul_f64_e32 v[24:25], v[12:13], v[24:25]
	v_fma_f64 v[143:144], v[4:5], v[18:19], v[143:144]
	v_fma_f64 v[18:19], v[2:3], v[18:19], -v[20:21]
	v_add_f64_e32 v[20:21], v[16:17], v[14:15]
	v_add_f64_e32 v[38:39], v[38:39], v[141:142]
	ds_load_b128 v[2:5], v1 offset:1344
	ds_load_b128 v[14:17], v1 offset:1360
	v_fma_f64 v[12:13], v[12:13], v[22:23], v[44:45]
	v_fma_f64 v[10:11], v[10:11], v[22:23], -v[24:25]
	s_wait_loadcnt_dscnt 0x501
	v_mul_f64_e32 v[141:142], v[2:3], v[28:29]
	v_mul_f64_e32 v[28:29], v[4:5], v[28:29]
	s_wait_loadcnt_dscnt 0x400
	v_mul_f64_e32 v[22:23], v[14:15], v[32:33]
	v_mul_f64_e32 v[24:25], v[16:17], v[32:33]
	v_add_f64_e32 v[18:19], v[20:21], v[18:19]
	v_add_f64_e32 v[20:21], v[38:39], v[143:144]
	v_fma_f64 v[32:33], v[4:5], v[26:27], v[141:142]
	v_fma_f64 v[26:27], v[2:3], v[26:27], -v[28:29]
	v_fma_f64 v[16:17], v[16:17], v[30:31], v[22:23]
	v_fma_f64 v[14:15], v[14:15], v[30:31], -v[24:25]
	v_add_f64_e32 v[18:19], v[18:19], v[10:11]
	v_add_f64_e32 v[20:21], v[20:21], v[12:13]
	ds_load_b128 v[2:5], v1 offset:1376
	ds_load_b128 v[10:13], v1 offset:1392
	s_wait_loadcnt_dscnt 0x301
	v_mul_f64_e32 v[28:29], v[2:3], v[36:37]
	v_mul_f64_e32 v[36:37], v[4:5], v[36:37]
	s_wait_loadcnt_dscnt 0x200
	v_mul_f64_e32 v[22:23], v[10:11], v[42:43]
	v_add_f64_e32 v[18:19], v[18:19], v[26:27]
	v_add_f64_e32 v[20:21], v[20:21], v[32:33]
	v_mul_f64_e32 v[24:25], v[12:13], v[42:43]
	v_fma_f64 v[26:27], v[4:5], v[34:35], v[28:29]
	v_fma_f64 v[28:29], v[2:3], v[34:35], -v[36:37]
	v_fma_f64 v[12:13], v[12:13], v[40:41], v[22:23]
	v_add_f64_e32 v[18:19], v[18:19], v[14:15]
	v_add_f64_e32 v[20:21], v[20:21], v[16:17]
	ds_load_b128 v[2:5], v1 offset:1408
	ds_load_b128 v[14:17], v1 offset:1424
	v_fma_f64 v[10:11], v[10:11], v[40:41], -v[24:25]
	s_wait_loadcnt_dscnt 0x1
	v_mul_f64_e32 v[30:31], v[2:3], v[149:150]
	v_mul_f64_e32 v[32:33], v[4:5], v[149:150]
	s_wait_dscnt 0x0
	v_mul_f64_e32 v[22:23], v[14:15], v[8:9]
	v_mul_f64_e32 v[8:9], v[16:17], v[8:9]
	v_add_f64_e32 v[18:19], v[18:19], v[28:29]
	v_add_f64_e32 v[20:21], v[20:21], v[26:27]
	v_fma_f64 v[4:5], v[4:5], v[147:148], v[30:31]
	v_fma_f64 v[1:2], v[2:3], v[147:148], -v[32:33]
	v_fma_f64 v[16:17], v[16:17], v[6:7], v[22:23]
	v_fma_f64 v[6:7], v[14:15], v[6:7], -v[8:9]
	v_add_f64_e32 v[10:11], v[18:19], v[10:11]
	v_add_f64_e32 v[12:13], v[20:21], v[12:13]
	s_delay_alu instid0(VALU_DEP_2) | instskip(NEXT) | instid1(VALU_DEP_2)
	v_add_f64_e32 v[1:2], v[10:11], v[1:2]
	v_add_f64_e32 v[3:4], v[12:13], v[4:5]
	s_delay_alu instid0(VALU_DEP_2) | instskip(NEXT) | instid1(VALU_DEP_2)
	v_add_f64_e32 v[1:2], v[1:2], v[6:7]
	v_add_f64_e32 v[3:4], v[3:4], v[16:17]
	s_delay_alu instid0(VALU_DEP_2) | instskip(NEXT) | instid1(VALU_DEP_2)
	v_add_f64_e64 v[1:2], v[137:138], -v[1:2]
	v_add_f64_e64 v[3:4], v[139:140], -v[3:4]
	scratch_store_b128 off, v[1:4], off offset:368
	v_cmpx_lt_u32_e32 21, v0
	s_cbranch_execz .LBB44_241
; %bb.240:
	scratch_load_b128 v[1:4], off, s37
	v_mov_b32_e32 v5, 0
	s_delay_alu instid0(VALU_DEP_1)
	v_dual_mov_b32 v6, v5 :: v_dual_mov_b32 v7, v5
	v_mov_b32_e32 v8, v5
	scratch_store_b128 off, v[5:8], off offset:352
	s_wait_loadcnt 0x0
	ds_store_b128 v136, v[1:4]
.LBB44_241:
	s_wait_alu 0xfffe
	s_or_b32 exec_lo, exec_lo, s0
	s_wait_storecnt_dscnt 0x0
	s_barrier_signal -1
	s_barrier_wait -1
	global_inv scope:SCOPE_SE
	s_clause 0x7
	scratch_load_b128 v[2:5], off, off offset:368
	scratch_load_b128 v[6:9], off, off offset:384
	;; [unrolled: 1-line block ×8, first 2 shown]
	v_mov_b32_e32 v1, 0
	s_mov_b32 s0, exec_lo
	ds_load_b128 v[34:37], v1 offset:1072
	s_clause 0x1
	scratch_load_b128 v[38:41], off, off offset:496
	scratch_load_b128 v[42:45], off, off offset:352
	ds_load_b128 v[137:140], v1 offset:1088
	scratch_load_b128 v[141:144], off, off offset:512
	s_wait_loadcnt_dscnt 0xa01
	v_mul_f64_e32 v[145:146], v[36:37], v[4:5]
	v_mul_f64_e32 v[4:5], v[34:35], v[4:5]
	s_delay_alu instid0(VALU_DEP_2) | instskip(NEXT) | instid1(VALU_DEP_2)
	v_fma_f64 v[151:152], v[34:35], v[2:3], -v[145:146]
	v_fma_f64 v[153:154], v[36:37], v[2:3], v[4:5]
	ds_load_b128 v[2:5], v1 offset:1104
	s_wait_loadcnt_dscnt 0x901
	v_mul_f64_e32 v[149:150], v[137:138], v[8:9]
	v_mul_f64_e32 v[8:9], v[139:140], v[8:9]
	scratch_load_b128 v[34:37], off, off offset:528
	ds_load_b128 v[145:148], v1 offset:1120
	s_wait_loadcnt_dscnt 0x901
	v_mul_f64_e32 v[155:156], v[2:3], v[12:13]
	v_mul_f64_e32 v[12:13], v[4:5], v[12:13]
	v_fma_f64 v[139:140], v[139:140], v[6:7], v[149:150]
	v_fma_f64 v[137:138], v[137:138], v[6:7], -v[8:9]
	v_add_f64_e32 v[149:150], 0, v[151:152]
	v_add_f64_e32 v[151:152], 0, v[153:154]
	scratch_load_b128 v[6:9], off, off offset:544
	v_fma_f64 v[155:156], v[4:5], v[10:11], v[155:156]
	v_fma_f64 v[157:158], v[2:3], v[10:11], -v[12:13]
	ds_load_b128 v[2:5], v1 offset:1136
	s_wait_loadcnt_dscnt 0x901
	v_mul_f64_e32 v[153:154], v[145:146], v[16:17]
	v_mul_f64_e32 v[16:17], v[147:148], v[16:17]
	scratch_load_b128 v[10:13], off, off offset:560
	v_add_f64_e32 v[149:150], v[149:150], v[137:138]
	v_add_f64_e32 v[151:152], v[151:152], v[139:140]
	s_wait_loadcnt_dscnt 0x900
	v_mul_f64_e32 v[159:160], v[2:3], v[20:21]
	v_mul_f64_e32 v[20:21], v[4:5], v[20:21]
	ds_load_b128 v[137:140], v1 offset:1152
	v_fma_f64 v[147:148], v[147:148], v[14:15], v[153:154]
	v_fma_f64 v[145:146], v[145:146], v[14:15], -v[16:17]
	scratch_load_b128 v[14:17], off, off offset:576
	v_add_f64_e32 v[149:150], v[149:150], v[157:158]
	v_add_f64_e32 v[151:152], v[151:152], v[155:156]
	v_fma_f64 v[155:156], v[4:5], v[18:19], v[159:160]
	v_fma_f64 v[157:158], v[2:3], v[18:19], -v[20:21]
	ds_load_b128 v[2:5], v1 offset:1168
	s_wait_loadcnt_dscnt 0x901
	v_mul_f64_e32 v[153:154], v[137:138], v[24:25]
	v_mul_f64_e32 v[24:25], v[139:140], v[24:25]
	scratch_load_b128 v[18:21], off, off offset:592
	s_wait_loadcnt_dscnt 0x900
	v_mul_f64_e32 v[159:160], v[2:3], v[28:29]
	v_mul_f64_e32 v[28:29], v[4:5], v[28:29]
	v_add_f64_e32 v[149:150], v[149:150], v[145:146]
	v_add_f64_e32 v[151:152], v[151:152], v[147:148]
	ds_load_b128 v[145:148], v1 offset:1184
	v_fma_f64 v[139:140], v[139:140], v[22:23], v[153:154]
	v_fma_f64 v[137:138], v[137:138], v[22:23], -v[24:25]
	scratch_load_b128 v[22:25], off, off offset:608
	v_add_f64_e32 v[149:150], v[149:150], v[157:158]
	v_add_f64_e32 v[151:152], v[151:152], v[155:156]
	v_fma_f64 v[155:156], v[4:5], v[26:27], v[159:160]
	v_fma_f64 v[157:158], v[2:3], v[26:27], -v[28:29]
	ds_load_b128 v[2:5], v1 offset:1200
	s_wait_loadcnt_dscnt 0x901
	v_mul_f64_e32 v[153:154], v[145:146], v[32:33]
	v_mul_f64_e32 v[32:33], v[147:148], v[32:33]
	scratch_load_b128 v[26:29], off, off offset:624
	s_wait_loadcnt_dscnt 0x900
	v_mul_f64_e32 v[159:160], v[2:3], v[40:41]
	v_mul_f64_e32 v[40:41], v[4:5], v[40:41]
	v_add_f64_e32 v[149:150], v[149:150], v[137:138]
	v_add_f64_e32 v[151:152], v[151:152], v[139:140]
	ds_load_b128 v[137:140], v1 offset:1216
	v_fma_f64 v[147:148], v[147:148], v[30:31], v[153:154]
	v_fma_f64 v[145:146], v[145:146], v[30:31], -v[32:33]
	scratch_load_b128 v[30:33], off, off offset:640
	v_add_f64_e32 v[149:150], v[149:150], v[157:158]
	v_add_f64_e32 v[151:152], v[151:152], v[155:156]
	v_fma_f64 v[157:158], v[4:5], v[38:39], v[159:160]
	v_fma_f64 v[159:160], v[2:3], v[38:39], -v[40:41]
	ds_load_b128 v[2:5], v1 offset:1232
	s_wait_loadcnt_dscnt 0x801
	v_mul_f64_e32 v[153:154], v[137:138], v[143:144]
	v_mul_f64_e32 v[155:156], v[139:140], v[143:144]
	scratch_load_b128 v[38:41], off, off offset:656
	v_add_f64_e32 v[149:150], v[149:150], v[145:146]
	v_add_f64_e32 v[147:148], v[151:152], v[147:148]
	ds_load_b128 v[143:146], v1 offset:1248
	v_fma_f64 v[153:154], v[139:140], v[141:142], v[153:154]
	v_fma_f64 v[141:142], v[137:138], v[141:142], -v[155:156]
	scratch_load_b128 v[137:140], off, off offset:672
	s_wait_loadcnt_dscnt 0x901
	v_mul_f64_e32 v[151:152], v[2:3], v[36:37]
	v_mul_f64_e32 v[36:37], v[4:5], v[36:37]
	v_add_f64_e32 v[149:150], v[149:150], v[159:160]
	v_add_f64_e32 v[147:148], v[147:148], v[157:158]
	s_delay_alu instid0(VALU_DEP_4) | instskip(NEXT) | instid1(VALU_DEP_4)
	v_fma_f64 v[151:152], v[4:5], v[34:35], v[151:152]
	v_fma_f64 v[157:158], v[2:3], v[34:35], -v[36:37]
	ds_load_b128 v[2:5], v1 offset:1264
	s_wait_loadcnt_dscnt 0x801
	v_mul_f64_e32 v[155:156], v[143:144], v[8:9]
	v_mul_f64_e32 v[8:9], v[145:146], v[8:9]
	scratch_load_b128 v[34:37], off, off offset:688
	s_wait_loadcnt_dscnt 0x800
	v_mul_f64_e32 v[159:160], v[2:3], v[12:13]
	v_add_f64_e32 v[141:142], v[149:150], v[141:142]
	v_add_f64_e32 v[153:154], v[147:148], v[153:154]
	v_mul_f64_e32 v[12:13], v[4:5], v[12:13]
	ds_load_b128 v[147:150], v1 offset:1280
	v_fma_f64 v[145:146], v[145:146], v[6:7], v[155:156]
	v_fma_f64 v[143:144], v[143:144], v[6:7], -v[8:9]
	scratch_load_b128 v[6:9], off, off offset:704
	v_fma_f64 v[155:156], v[4:5], v[10:11], v[159:160]
	v_add_f64_e32 v[141:142], v[141:142], v[157:158]
	v_add_f64_e32 v[151:152], v[153:154], v[151:152]
	v_fma_f64 v[157:158], v[2:3], v[10:11], -v[12:13]
	ds_load_b128 v[2:5], v1 offset:1296
	s_wait_loadcnt_dscnt 0x801
	v_mul_f64_e32 v[153:154], v[147:148], v[16:17]
	v_mul_f64_e32 v[16:17], v[149:150], v[16:17]
	scratch_load_b128 v[10:13], off, off offset:720
	v_add_f64_e32 v[159:160], v[141:142], v[143:144]
	v_add_f64_e32 v[145:146], v[151:152], v[145:146]
	s_wait_loadcnt_dscnt 0x800
	v_mul_f64_e32 v[151:152], v[2:3], v[20:21]
	v_mul_f64_e32 v[20:21], v[4:5], v[20:21]
	v_fma_f64 v[149:150], v[149:150], v[14:15], v[153:154]
	v_fma_f64 v[14:15], v[147:148], v[14:15], -v[16:17]
	ds_load_b128 v[141:144], v1 offset:1312
	s_wait_loadcnt_dscnt 0x700
	v_mul_f64_e32 v[147:148], v[141:142], v[24:25]
	v_mul_f64_e32 v[24:25], v[143:144], v[24:25]
	v_add_f64_e32 v[16:17], v[159:160], v[157:158]
	v_add_f64_e32 v[145:146], v[145:146], v[155:156]
	v_fma_f64 v[151:152], v[4:5], v[18:19], v[151:152]
	v_fma_f64 v[18:19], v[2:3], v[18:19], -v[20:21]
	v_fma_f64 v[143:144], v[143:144], v[22:23], v[147:148]
	v_fma_f64 v[22:23], v[141:142], v[22:23], -v[24:25]
	v_add_f64_e32 v[20:21], v[16:17], v[14:15]
	v_add_f64_e32 v[145:146], v[145:146], v[149:150]
	ds_load_b128 v[2:5], v1 offset:1328
	ds_load_b128 v[14:17], v1 offset:1344
	s_wait_loadcnt_dscnt 0x601
	v_mul_f64_e32 v[149:150], v[2:3], v[28:29]
	v_mul_f64_e32 v[28:29], v[4:5], v[28:29]
	s_wait_loadcnt_dscnt 0x500
	v_mul_f64_e32 v[24:25], v[14:15], v[32:33]
	v_mul_f64_e32 v[32:33], v[16:17], v[32:33]
	v_add_f64_e32 v[18:19], v[20:21], v[18:19]
	v_add_f64_e32 v[20:21], v[145:146], v[151:152]
	v_fma_f64 v[141:142], v[4:5], v[26:27], v[149:150]
	v_fma_f64 v[26:27], v[2:3], v[26:27], -v[28:29]
	v_fma_f64 v[16:17], v[16:17], v[30:31], v[24:25]
	v_fma_f64 v[14:15], v[14:15], v[30:31], -v[32:33]
	v_add_f64_e32 v[22:23], v[18:19], v[22:23]
	v_add_f64_e32 v[28:29], v[20:21], v[143:144]
	ds_load_b128 v[2:5], v1 offset:1360
	ds_load_b128 v[18:21], v1 offset:1376
	s_wait_loadcnt_dscnt 0x401
	v_mul_f64_e32 v[143:144], v[2:3], v[40:41]
	v_mul_f64_e32 v[40:41], v[4:5], v[40:41]
	v_add_f64_e32 v[22:23], v[22:23], v[26:27]
	v_add_f64_e32 v[24:25], v[28:29], v[141:142]
	s_wait_loadcnt_dscnt 0x300
	v_mul_f64_e32 v[26:27], v[18:19], v[139:140]
	v_mul_f64_e32 v[28:29], v[20:21], v[139:140]
	v_fma_f64 v[30:31], v[4:5], v[38:39], v[143:144]
	v_fma_f64 v[32:33], v[2:3], v[38:39], -v[40:41]
	v_add_f64_e32 v[22:23], v[22:23], v[14:15]
	v_add_f64_e32 v[24:25], v[24:25], v[16:17]
	ds_load_b128 v[2:5], v1 offset:1392
	ds_load_b128 v[14:17], v1 offset:1408
	v_fma_f64 v[20:21], v[20:21], v[137:138], v[26:27]
	v_fma_f64 v[18:19], v[18:19], v[137:138], -v[28:29]
	s_wait_loadcnt_dscnt 0x201
	v_mul_f64_e32 v[38:39], v[2:3], v[36:37]
	v_mul_f64_e32 v[36:37], v[4:5], v[36:37]
	s_wait_loadcnt_dscnt 0x100
	v_mul_f64_e32 v[26:27], v[14:15], v[8:9]
	v_mul_f64_e32 v[8:9], v[16:17], v[8:9]
	v_add_f64_e32 v[22:23], v[22:23], v[32:33]
	v_add_f64_e32 v[24:25], v[24:25], v[30:31]
	v_fma_f64 v[28:29], v[4:5], v[34:35], v[38:39]
	v_fma_f64 v[30:31], v[2:3], v[34:35], -v[36:37]
	ds_load_b128 v[2:5], v1 offset:1424
	v_fma_f64 v[16:17], v[16:17], v[6:7], v[26:27]
	v_fma_f64 v[6:7], v[14:15], v[6:7], -v[8:9]
	v_add_f64_e32 v[18:19], v[22:23], v[18:19]
	v_add_f64_e32 v[20:21], v[24:25], v[20:21]
	s_wait_loadcnt_dscnt 0x0
	v_mul_f64_e32 v[22:23], v[2:3], v[12:13]
	v_mul_f64_e32 v[12:13], v[4:5], v[12:13]
	s_delay_alu instid0(VALU_DEP_4) | instskip(NEXT) | instid1(VALU_DEP_4)
	v_add_f64_e32 v[8:9], v[18:19], v[30:31]
	v_add_f64_e32 v[14:15], v[20:21], v[28:29]
	s_delay_alu instid0(VALU_DEP_4) | instskip(NEXT) | instid1(VALU_DEP_4)
	v_fma_f64 v[4:5], v[4:5], v[10:11], v[22:23]
	v_fma_f64 v[2:3], v[2:3], v[10:11], -v[12:13]
	s_delay_alu instid0(VALU_DEP_4) | instskip(NEXT) | instid1(VALU_DEP_4)
	v_add_f64_e32 v[6:7], v[8:9], v[6:7]
	v_add_f64_e32 v[8:9], v[14:15], v[16:17]
	s_delay_alu instid0(VALU_DEP_2) | instskip(NEXT) | instid1(VALU_DEP_2)
	v_add_f64_e32 v[2:3], v[6:7], v[2:3]
	v_add_f64_e32 v[4:5], v[8:9], v[4:5]
	s_delay_alu instid0(VALU_DEP_2) | instskip(NEXT) | instid1(VALU_DEP_2)
	v_add_f64_e64 v[2:3], v[42:43], -v[2:3]
	v_add_f64_e64 v[4:5], v[44:45], -v[4:5]
	scratch_store_b128 off, v[2:5], off offset:352
	v_cmpx_lt_u32_e32 20, v0
	s_cbranch_execz .LBB44_243
; %bb.242:
	scratch_load_b128 v[5:8], off, s38
	v_dual_mov_b32 v2, v1 :: v_dual_mov_b32 v3, v1
	v_mov_b32_e32 v4, v1
	scratch_store_b128 off, v[1:4], off offset:336
	s_wait_loadcnt 0x0
	ds_store_b128 v136, v[5:8]
.LBB44_243:
	s_wait_alu 0xfffe
	s_or_b32 exec_lo, exec_lo, s0
	s_wait_storecnt_dscnt 0x0
	s_barrier_signal -1
	s_barrier_wait -1
	global_inv scope:SCOPE_SE
	s_clause 0x8
	scratch_load_b128 v[2:5], off, off offset:352
	scratch_load_b128 v[6:9], off, off offset:368
	;; [unrolled: 1-line block ×9, first 2 shown]
	ds_load_b128 v[38:41], v1 offset:1056
	ds_load_b128 v[42:45], v1 offset:1072
	s_clause 0x1
	scratch_load_b128 v[137:140], off, off offset:336
	scratch_load_b128 v[141:144], off, off offset:496
	s_mov_b32 s0, exec_lo
	s_wait_loadcnt_dscnt 0xa01
	v_mul_f64_e32 v[145:146], v[40:41], v[4:5]
	v_mul_f64_e32 v[4:5], v[38:39], v[4:5]
	s_wait_loadcnt_dscnt 0x900
	v_mul_f64_e32 v[149:150], v[42:43], v[8:9]
	v_mul_f64_e32 v[8:9], v[44:45], v[8:9]
	s_delay_alu instid0(VALU_DEP_4) | instskip(NEXT) | instid1(VALU_DEP_4)
	v_fma_f64 v[151:152], v[38:39], v[2:3], -v[145:146]
	v_fma_f64 v[153:154], v[40:41], v[2:3], v[4:5]
	ds_load_b128 v[2:5], v1 offset:1088
	ds_load_b128 v[145:148], v1 offset:1104
	scratch_load_b128 v[38:41], off, off offset:512
	v_fma_f64 v[44:45], v[44:45], v[6:7], v[149:150]
	v_fma_f64 v[42:43], v[42:43], v[6:7], -v[8:9]
	scratch_load_b128 v[6:9], off, off offset:528
	s_wait_loadcnt_dscnt 0xa01
	v_mul_f64_e32 v[155:156], v[2:3], v[12:13]
	v_mul_f64_e32 v[12:13], v[4:5], v[12:13]
	v_add_f64_e32 v[149:150], 0, v[151:152]
	v_add_f64_e32 v[151:152], 0, v[153:154]
	s_wait_loadcnt_dscnt 0x900
	v_mul_f64_e32 v[153:154], v[145:146], v[16:17]
	v_mul_f64_e32 v[16:17], v[147:148], v[16:17]
	v_fma_f64 v[155:156], v[4:5], v[10:11], v[155:156]
	v_fma_f64 v[157:158], v[2:3], v[10:11], -v[12:13]
	ds_load_b128 v[2:5], v1 offset:1120
	scratch_load_b128 v[10:13], off, off offset:544
	v_add_f64_e32 v[149:150], v[149:150], v[42:43]
	v_add_f64_e32 v[151:152], v[151:152], v[44:45]
	ds_load_b128 v[42:45], v1 offset:1136
	v_fma_f64 v[147:148], v[147:148], v[14:15], v[153:154]
	v_fma_f64 v[145:146], v[145:146], v[14:15], -v[16:17]
	scratch_load_b128 v[14:17], off, off offset:560
	s_wait_loadcnt_dscnt 0xa01
	v_mul_f64_e32 v[159:160], v[2:3], v[20:21]
	v_mul_f64_e32 v[20:21], v[4:5], v[20:21]
	s_wait_loadcnt_dscnt 0x900
	v_mul_f64_e32 v[153:154], v[42:43], v[24:25]
	v_mul_f64_e32 v[24:25], v[44:45], v[24:25]
	v_add_f64_e32 v[149:150], v[149:150], v[157:158]
	v_add_f64_e32 v[151:152], v[151:152], v[155:156]
	v_fma_f64 v[155:156], v[4:5], v[18:19], v[159:160]
	v_fma_f64 v[157:158], v[2:3], v[18:19], -v[20:21]
	ds_load_b128 v[2:5], v1 offset:1152
	scratch_load_b128 v[18:21], off, off offset:576
	v_fma_f64 v[44:45], v[44:45], v[22:23], v[153:154]
	v_fma_f64 v[42:43], v[42:43], v[22:23], -v[24:25]
	scratch_load_b128 v[22:25], off, off offset:592
	v_add_f64_e32 v[149:150], v[149:150], v[145:146]
	v_add_f64_e32 v[151:152], v[151:152], v[147:148]
	ds_load_b128 v[145:148], v1 offset:1168
	s_wait_loadcnt_dscnt 0xa01
	v_mul_f64_e32 v[159:160], v[2:3], v[28:29]
	v_mul_f64_e32 v[28:29], v[4:5], v[28:29]
	s_wait_loadcnt_dscnt 0x900
	v_mul_f64_e32 v[153:154], v[145:146], v[32:33]
	v_mul_f64_e32 v[32:33], v[147:148], v[32:33]
	v_add_f64_e32 v[149:150], v[149:150], v[157:158]
	v_add_f64_e32 v[151:152], v[151:152], v[155:156]
	v_fma_f64 v[155:156], v[4:5], v[26:27], v[159:160]
	v_fma_f64 v[157:158], v[2:3], v[26:27], -v[28:29]
	ds_load_b128 v[2:5], v1 offset:1184
	scratch_load_b128 v[26:29], off, off offset:608
	v_fma_f64 v[147:148], v[147:148], v[30:31], v[153:154]
	v_fma_f64 v[145:146], v[145:146], v[30:31], -v[32:33]
	scratch_load_b128 v[30:33], off, off offset:624
	v_add_f64_e32 v[149:150], v[149:150], v[42:43]
	v_add_f64_e32 v[151:152], v[151:152], v[44:45]
	ds_load_b128 v[42:45], v1 offset:1200
	s_wait_loadcnt_dscnt 0xa01
	v_mul_f64_e32 v[159:160], v[2:3], v[36:37]
	v_mul_f64_e32 v[36:37], v[4:5], v[36:37]
	s_wait_loadcnt_dscnt 0x800
	v_mul_f64_e32 v[153:154], v[42:43], v[143:144]
	v_add_f64_e32 v[149:150], v[149:150], v[157:158]
	v_add_f64_e32 v[151:152], v[151:152], v[155:156]
	v_mul_f64_e32 v[155:156], v[44:45], v[143:144]
	v_fma_f64 v[157:158], v[4:5], v[34:35], v[159:160]
	v_fma_f64 v[159:160], v[2:3], v[34:35], -v[36:37]
	ds_load_b128 v[2:5], v1 offset:1216
	scratch_load_b128 v[34:37], off, off offset:640
	v_fma_f64 v[44:45], v[44:45], v[141:142], v[153:154]
	v_add_f64_e32 v[149:150], v[149:150], v[145:146]
	v_add_f64_e32 v[147:148], v[151:152], v[147:148]
	ds_load_b128 v[143:146], v1 offset:1232
	v_fma_f64 v[141:142], v[42:43], v[141:142], -v[155:156]
	s_wait_loadcnt_dscnt 0x801
	v_mul_f64_e32 v[151:152], v[2:3], v[40:41]
	v_mul_f64_e32 v[161:162], v[4:5], v[40:41]
	scratch_load_b128 v[40:43], off, off offset:656
	s_wait_loadcnt_dscnt 0x800
	v_mul_f64_e32 v[155:156], v[143:144], v[8:9]
	v_mul_f64_e32 v[8:9], v[145:146], v[8:9]
	v_add_f64_e32 v[149:150], v[149:150], v[159:160]
	v_add_f64_e32 v[147:148], v[147:148], v[157:158]
	v_fma_f64 v[157:158], v[4:5], v[38:39], v[151:152]
	v_fma_f64 v[38:39], v[2:3], v[38:39], -v[161:162]
	ds_load_b128 v[2:5], v1 offset:1248
	ds_load_b128 v[151:154], v1 offset:1264
	v_fma_f64 v[145:146], v[145:146], v[6:7], v[155:156]
	v_fma_f64 v[143:144], v[143:144], v[6:7], -v[8:9]
	scratch_load_b128 v[6:9], off, off offset:688
	v_add_f64_e32 v[141:142], v[149:150], v[141:142]
	v_add_f64_e32 v[44:45], v[147:148], v[44:45]
	scratch_load_b128 v[147:150], off, off offset:672
	s_wait_loadcnt_dscnt 0x901
	v_mul_f64_e32 v[159:160], v[2:3], v[12:13]
	v_mul_f64_e32 v[12:13], v[4:5], v[12:13]
	s_wait_loadcnt_dscnt 0x800
	v_mul_f64_e32 v[155:156], v[151:152], v[16:17]
	v_mul_f64_e32 v[16:17], v[153:154], v[16:17]
	v_add_f64_e32 v[38:39], v[141:142], v[38:39]
	v_add_f64_e32 v[44:45], v[44:45], v[157:158]
	v_fma_f64 v[157:158], v[4:5], v[10:11], v[159:160]
	v_fma_f64 v[159:160], v[2:3], v[10:11], -v[12:13]
	ds_load_b128 v[2:5], v1 offset:1280
	scratch_load_b128 v[10:13], off, off offset:704
	v_fma_f64 v[153:154], v[153:154], v[14:15], v[155:156]
	v_fma_f64 v[151:152], v[151:152], v[14:15], -v[16:17]
	scratch_load_b128 v[14:17], off, off offset:720
	v_add_f64_e32 v[38:39], v[38:39], v[143:144]
	v_add_f64_e32 v[44:45], v[44:45], v[145:146]
	ds_load_b128 v[141:144], v1 offset:1296
	s_wait_loadcnt_dscnt 0x901
	v_mul_f64_e32 v[145:146], v[2:3], v[20:21]
	v_mul_f64_e32 v[20:21], v[4:5], v[20:21]
	s_wait_loadcnt_dscnt 0x800
	v_mul_f64_e32 v[155:156], v[141:142], v[24:25]
	v_mul_f64_e32 v[24:25], v[143:144], v[24:25]
	v_add_f64_e32 v[38:39], v[38:39], v[159:160]
	v_add_f64_e32 v[44:45], v[44:45], v[157:158]
	v_fma_f64 v[145:146], v[4:5], v[18:19], v[145:146]
	v_fma_f64 v[157:158], v[2:3], v[18:19], -v[20:21]
	ds_load_b128 v[2:5], v1 offset:1312
	ds_load_b128 v[18:21], v1 offset:1328
	v_fma_f64 v[143:144], v[143:144], v[22:23], v[155:156]
	v_fma_f64 v[22:23], v[141:142], v[22:23], -v[24:25]
	v_add_f64_e32 v[38:39], v[38:39], v[151:152]
	v_add_f64_e32 v[44:45], v[44:45], v[153:154]
	s_wait_loadcnt_dscnt 0x701
	v_mul_f64_e32 v[151:152], v[2:3], v[28:29]
	v_mul_f64_e32 v[28:29], v[4:5], v[28:29]
	s_delay_alu instid0(VALU_DEP_4) | instskip(NEXT) | instid1(VALU_DEP_4)
	v_add_f64_e32 v[24:25], v[38:39], v[157:158]
	v_add_f64_e32 v[38:39], v[44:45], v[145:146]
	s_wait_loadcnt_dscnt 0x600
	v_mul_f64_e32 v[44:45], v[18:19], v[32:33]
	v_mul_f64_e32 v[32:33], v[20:21], v[32:33]
	v_fma_f64 v[141:142], v[4:5], v[26:27], v[151:152]
	v_fma_f64 v[26:27], v[2:3], v[26:27], -v[28:29]
	v_add_f64_e32 v[28:29], v[24:25], v[22:23]
	v_add_f64_e32 v[38:39], v[38:39], v[143:144]
	ds_load_b128 v[2:5], v1 offset:1344
	ds_load_b128 v[22:25], v1 offset:1360
	v_fma_f64 v[20:21], v[20:21], v[30:31], v[44:45]
	v_fma_f64 v[18:19], v[18:19], v[30:31], -v[32:33]
	s_wait_loadcnt_dscnt 0x501
	v_mul_f64_e32 v[143:144], v[2:3], v[36:37]
	v_mul_f64_e32 v[36:37], v[4:5], v[36:37]
	s_wait_loadcnt_dscnt 0x400
	v_mul_f64_e32 v[30:31], v[22:23], v[42:43]
	v_add_f64_e32 v[26:27], v[28:29], v[26:27]
	v_add_f64_e32 v[28:29], v[38:39], v[141:142]
	v_mul_f64_e32 v[32:33], v[24:25], v[42:43]
	v_fma_f64 v[38:39], v[4:5], v[34:35], v[143:144]
	v_fma_f64 v[34:35], v[2:3], v[34:35], -v[36:37]
	v_fma_f64 v[24:25], v[24:25], v[40:41], v[30:31]
	v_add_f64_e32 v[26:27], v[26:27], v[18:19]
	v_add_f64_e32 v[28:29], v[28:29], v[20:21]
	ds_load_b128 v[2:5], v1 offset:1376
	ds_load_b128 v[18:21], v1 offset:1392
	v_fma_f64 v[22:23], v[22:23], v[40:41], -v[32:33]
	s_wait_loadcnt_dscnt 0x201
	v_mul_f64_e32 v[36:37], v[2:3], v[149:150]
	v_mul_f64_e32 v[42:43], v[4:5], v[149:150]
	s_wait_dscnt 0x0
	v_mul_f64_e32 v[30:31], v[18:19], v[8:9]
	v_mul_f64_e32 v[8:9], v[20:21], v[8:9]
	v_add_f64_e32 v[26:27], v[26:27], v[34:35]
	v_add_f64_e32 v[28:29], v[28:29], v[38:39]
	v_fma_f64 v[32:33], v[4:5], v[147:148], v[36:37]
	v_fma_f64 v[34:35], v[2:3], v[147:148], -v[42:43]
	v_fma_f64 v[20:21], v[20:21], v[6:7], v[30:31]
	v_fma_f64 v[6:7], v[18:19], v[6:7], -v[8:9]
	v_add_f64_e32 v[26:27], v[26:27], v[22:23]
	v_add_f64_e32 v[28:29], v[28:29], v[24:25]
	ds_load_b128 v[2:5], v1 offset:1408
	ds_load_b128 v[22:25], v1 offset:1424
	s_wait_loadcnt_dscnt 0x101
	v_mul_f64_e32 v[36:37], v[2:3], v[12:13]
	v_mul_f64_e32 v[12:13], v[4:5], v[12:13]
	v_add_f64_e32 v[8:9], v[26:27], v[34:35]
	v_add_f64_e32 v[18:19], v[28:29], v[32:33]
	s_wait_loadcnt_dscnt 0x0
	v_mul_f64_e32 v[26:27], v[22:23], v[16:17]
	v_mul_f64_e32 v[16:17], v[24:25], v[16:17]
	v_fma_f64 v[4:5], v[4:5], v[10:11], v[36:37]
	v_fma_f64 v[1:2], v[2:3], v[10:11], -v[12:13]
	v_add_f64_e32 v[6:7], v[8:9], v[6:7]
	v_add_f64_e32 v[8:9], v[18:19], v[20:21]
	v_fma_f64 v[10:11], v[24:25], v[14:15], v[26:27]
	v_fma_f64 v[12:13], v[22:23], v[14:15], -v[16:17]
	s_delay_alu instid0(VALU_DEP_4) | instskip(NEXT) | instid1(VALU_DEP_4)
	v_add_f64_e32 v[1:2], v[6:7], v[1:2]
	v_add_f64_e32 v[3:4], v[8:9], v[4:5]
	s_delay_alu instid0(VALU_DEP_2) | instskip(NEXT) | instid1(VALU_DEP_2)
	v_add_f64_e32 v[1:2], v[1:2], v[12:13]
	v_add_f64_e32 v[3:4], v[3:4], v[10:11]
	s_delay_alu instid0(VALU_DEP_2) | instskip(NEXT) | instid1(VALU_DEP_2)
	v_add_f64_e64 v[1:2], v[137:138], -v[1:2]
	v_add_f64_e64 v[3:4], v[139:140], -v[3:4]
	scratch_store_b128 off, v[1:4], off offset:336
	v_cmpx_lt_u32_e32 19, v0
	s_cbranch_execz .LBB44_245
; %bb.244:
	scratch_load_b128 v[1:4], off, s39
	v_mov_b32_e32 v5, 0
	s_delay_alu instid0(VALU_DEP_1)
	v_dual_mov_b32 v6, v5 :: v_dual_mov_b32 v7, v5
	v_mov_b32_e32 v8, v5
	scratch_store_b128 off, v[5:8], off offset:320
	s_wait_loadcnt 0x0
	ds_store_b128 v136, v[1:4]
.LBB44_245:
	s_wait_alu 0xfffe
	s_or_b32 exec_lo, exec_lo, s0
	s_wait_storecnt_dscnt 0x0
	s_barrier_signal -1
	s_barrier_wait -1
	global_inv scope:SCOPE_SE
	s_clause 0x7
	scratch_load_b128 v[2:5], off, off offset:336
	scratch_load_b128 v[6:9], off, off offset:352
	scratch_load_b128 v[10:13], off, off offset:368
	scratch_load_b128 v[14:17], off, off offset:384
	scratch_load_b128 v[18:21], off, off offset:400
	scratch_load_b128 v[22:25], off, off offset:416
	scratch_load_b128 v[26:29], off, off offset:432
	scratch_load_b128 v[30:33], off, off offset:448
	v_mov_b32_e32 v1, 0
	s_mov_b32 s0, exec_lo
	ds_load_b128 v[34:37], v1 offset:1040
	s_clause 0x1
	scratch_load_b128 v[38:41], off, off offset:464
	scratch_load_b128 v[42:45], off, off offset:320
	ds_load_b128 v[137:140], v1 offset:1056
	scratch_load_b128 v[141:144], off, off offset:480
	s_wait_loadcnt_dscnt 0xa01
	v_mul_f64_e32 v[145:146], v[36:37], v[4:5]
	v_mul_f64_e32 v[4:5], v[34:35], v[4:5]
	s_delay_alu instid0(VALU_DEP_2) | instskip(NEXT) | instid1(VALU_DEP_2)
	v_fma_f64 v[151:152], v[34:35], v[2:3], -v[145:146]
	v_fma_f64 v[153:154], v[36:37], v[2:3], v[4:5]
	ds_load_b128 v[2:5], v1 offset:1072
	s_wait_loadcnt_dscnt 0x901
	v_mul_f64_e32 v[149:150], v[137:138], v[8:9]
	v_mul_f64_e32 v[8:9], v[139:140], v[8:9]
	scratch_load_b128 v[34:37], off, off offset:496
	ds_load_b128 v[145:148], v1 offset:1088
	s_wait_loadcnt_dscnt 0x901
	v_mul_f64_e32 v[155:156], v[2:3], v[12:13]
	v_mul_f64_e32 v[12:13], v[4:5], v[12:13]
	v_fma_f64 v[139:140], v[139:140], v[6:7], v[149:150]
	v_fma_f64 v[137:138], v[137:138], v[6:7], -v[8:9]
	v_add_f64_e32 v[149:150], 0, v[151:152]
	v_add_f64_e32 v[151:152], 0, v[153:154]
	scratch_load_b128 v[6:9], off, off offset:512
	v_fma_f64 v[155:156], v[4:5], v[10:11], v[155:156]
	v_fma_f64 v[157:158], v[2:3], v[10:11], -v[12:13]
	ds_load_b128 v[2:5], v1 offset:1104
	s_wait_loadcnt_dscnt 0x901
	v_mul_f64_e32 v[153:154], v[145:146], v[16:17]
	v_mul_f64_e32 v[16:17], v[147:148], v[16:17]
	scratch_load_b128 v[10:13], off, off offset:528
	v_add_f64_e32 v[149:150], v[149:150], v[137:138]
	v_add_f64_e32 v[151:152], v[151:152], v[139:140]
	s_wait_loadcnt_dscnt 0x900
	v_mul_f64_e32 v[159:160], v[2:3], v[20:21]
	v_mul_f64_e32 v[20:21], v[4:5], v[20:21]
	ds_load_b128 v[137:140], v1 offset:1120
	v_fma_f64 v[147:148], v[147:148], v[14:15], v[153:154]
	v_fma_f64 v[145:146], v[145:146], v[14:15], -v[16:17]
	scratch_load_b128 v[14:17], off, off offset:544
	v_add_f64_e32 v[149:150], v[149:150], v[157:158]
	v_add_f64_e32 v[151:152], v[151:152], v[155:156]
	v_fma_f64 v[155:156], v[4:5], v[18:19], v[159:160]
	v_fma_f64 v[157:158], v[2:3], v[18:19], -v[20:21]
	ds_load_b128 v[2:5], v1 offset:1136
	s_wait_loadcnt_dscnt 0x901
	v_mul_f64_e32 v[153:154], v[137:138], v[24:25]
	v_mul_f64_e32 v[24:25], v[139:140], v[24:25]
	scratch_load_b128 v[18:21], off, off offset:560
	s_wait_loadcnt_dscnt 0x900
	v_mul_f64_e32 v[159:160], v[2:3], v[28:29]
	v_mul_f64_e32 v[28:29], v[4:5], v[28:29]
	v_add_f64_e32 v[149:150], v[149:150], v[145:146]
	v_add_f64_e32 v[151:152], v[151:152], v[147:148]
	ds_load_b128 v[145:148], v1 offset:1152
	v_fma_f64 v[139:140], v[139:140], v[22:23], v[153:154]
	v_fma_f64 v[137:138], v[137:138], v[22:23], -v[24:25]
	scratch_load_b128 v[22:25], off, off offset:576
	v_add_f64_e32 v[149:150], v[149:150], v[157:158]
	v_add_f64_e32 v[151:152], v[151:152], v[155:156]
	v_fma_f64 v[155:156], v[4:5], v[26:27], v[159:160]
	v_fma_f64 v[157:158], v[2:3], v[26:27], -v[28:29]
	ds_load_b128 v[2:5], v1 offset:1168
	s_wait_loadcnt_dscnt 0x901
	v_mul_f64_e32 v[153:154], v[145:146], v[32:33]
	v_mul_f64_e32 v[32:33], v[147:148], v[32:33]
	scratch_load_b128 v[26:29], off, off offset:592
	s_wait_loadcnt_dscnt 0x900
	v_mul_f64_e32 v[159:160], v[2:3], v[40:41]
	v_mul_f64_e32 v[40:41], v[4:5], v[40:41]
	v_add_f64_e32 v[149:150], v[149:150], v[137:138]
	v_add_f64_e32 v[151:152], v[151:152], v[139:140]
	ds_load_b128 v[137:140], v1 offset:1184
	v_fma_f64 v[147:148], v[147:148], v[30:31], v[153:154]
	v_fma_f64 v[145:146], v[145:146], v[30:31], -v[32:33]
	scratch_load_b128 v[30:33], off, off offset:608
	v_add_f64_e32 v[149:150], v[149:150], v[157:158]
	v_add_f64_e32 v[151:152], v[151:152], v[155:156]
	v_fma_f64 v[157:158], v[4:5], v[38:39], v[159:160]
	v_fma_f64 v[159:160], v[2:3], v[38:39], -v[40:41]
	ds_load_b128 v[2:5], v1 offset:1200
	s_wait_loadcnt_dscnt 0x801
	v_mul_f64_e32 v[153:154], v[137:138], v[143:144]
	v_mul_f64_e32 v[155:156], v[139:140], v[143:144]
	scratch_load_b128 v[38:41], off, off offset:624
	v_add_f64_e32 v[149:150], v[149:150], v[145:146]
	v_add_f64_e32 v[147:148], v[151:152], v[147:148]
	ds_load_b128 v[143:146], v1 offset:1216
	v_fma_f64 v[153:154], v[139:140], v[141:142], v[153:154]
	v_fma_f64 v[141:142], v[137:138], v[141:142], -v[155:156]
	scratch_load_b128 v[137:140], off, off offset:640
	s_wait_loadcnt_dscnt 0x901
	v_mul_f64_e32 v[151:152], v[2:3], v[36:37]
	v_mul_f64_e32 v[36:37], v[4:5], v[36:37]
	v_add_f64_e32 v[149:150], v[149:150], v[159:160]
	v_add_f64_e32 v[147:148], v[147:148], v[157:158]
	s_delay_alu instid0(VALU_DEP_4) | instskip(NEXT) | instid1(VALU_DEP_4)
	v_fma_f64 v[151:152], v[4:5], v[34:35], v[151:152]
	v_fma_f64 v[157:158], v[2:3], v[34:35], -v[36:37]
	ds_load_b128 v[2:5], v1 offset:1232
	s_wait_loadcnt_dscnt 0x801
	v_mul_f64_e32 v[155:156], v[143:144], v[8:9]
	v_mul_f64_e32 v[8:9], v[145:146], v[8:9]
	scratch_load_b128 v[34:37], off, off offset:656
	s_wait_loadcnt_dscnt 0x800
	v_mul_f64_e32 v[159:160], v[2:3], v[12:13]
	v_add_f64_e32 v[141:142], v[149:150], v[141:142]
	v_add_f64_e32 v[153:154], v[147:148], v[153:154]
	v_mul_f64_e32 v[12:13], v[4:5], v[12:13]
	ds_load_b128 v[147:150], v1 offset:1248
	v_fma_f64 v[145:146], v[145:146], v[6:7], v[155:156]
	v_fma_f64 v[143:144], v[143:144], v[6:7], -v[8:9]
	scratch_load_b128 v[6:9], off, off offset:672
	v_fma_f64 v[155:156], v[4:5], v[10:11], v[159:160]
	v_add_f64_e32 v[141:142], v[141:142], v[157:158]
	v_add_f64_e32 v[151:152], v[153:154], v[151:152]
	v_fma_f64 v[157:158], v[2:3], v[10:11], -v[12:13]
	ds_load_b128 v[2:5], v1 offset:1264
	s_wait_loadcnt_dscnt 0x801
	v_mul_f64_e32 v[153:154], v[147:148], v[16:17]
	v_mul_f64_e32 v[16:17], v[149:150], v[16:17]
	scratch_load_b128 v[10:13], off, off offset:688
	v_add_f64_e32 v[159:160], v[141:142], v[143:144]
	v_add_f64_e32 v[145:146], v[151:152], v[145:146]
	s_wait_loadcnt_dscnt 0x800
	v_mul_f64_e32 v[151:152], v[2:3], v[20:21]
	v_mul_f64_e32 v[20:21], v[4:5], v[20:21]
	v_fma_f64 v[149:150], v[149:150], v[14:15], v[153:154]
	v_fma_f64 v[147:148], v[147:148], v[14:15], -v[16:17]
	ds_load_b128 v[141:144], v1 offset:1280
	scratch_load_b128 v[14:17], off, off offset:704
	v_add_f64_e32 v[153:154], v[159:160], v[157:158]
	v_add_f64_e32 v[145:146], v[145:146], v[155:156]
	v_fma_f64 v[151:152], v[4:5], v[18:19], v[151:152]
	v_fma_f64 v[157:158], v[2:3], v[18:19], -v[20:21]
	ds_load_b128 v[2:5], v1 offset:1296
	s_wait_loadcnt_dscnt 0x801
	v_mul_f64_e32 v[155:156], v[141:142], v[24:25]
	v_mul_f64_e32 v[24:25], v[143:144], v[24:25]
	scratch_load_b128 v[18:21], off, off offset:720
	s_wait_loadcnt_dscnt 0x800
	v_mul_f64_e32 v[159:160], v[2:3], v[28:29]
	v_mul_f64_e32 v[28:29], v[4:5], v[28:29]
	v_add_f64_e32 v[153:154], v[153:154], v[147:148]
	v_add_f64_e32 v[149:150], v[145:146], v[149:150]
	ds_load_b128 v[145:148], v1 offset:1312
	v_fma_f64 v[143:144], v[143:144], v[22:23], v[155:156]
	v_fma_f64 v[22:23], v[141:142], v[22:23], -v[24:25]
	v_add_f64_e32 v[24:25], v[153:154], v[157:158]
	v_add_f64_e32 v[141:142], v[149:150], v[151:152]
	s_wait_loadcnt_dscnt 0x700
	v_mul_f64_e32 v[149:150], v[145:146], v[32:33]
	v_mul_f64_e32 v[32:33], v[147:148], v[32:33]
	v_fma_f64 v[151:152], v[4:5], v[26:27], v[159:160]
	v_fma_f64 v[26:27], v[2:3], v[26:27], -v[28:29]
	v_add_f64_e32 v[28:29], v[24:25], v[22:23]
	v_add_f64_e32 v[141:142], v[141:142], v[143:144]
	ds_load_b128 v[2:5], v1 offset:1328
	ds_load_b128 v[22:25], v1 offset:1344
	v_fma_f64 v[147:148], v[147:148], v[30:31], v[149:150]
	v_fma_f64 v[30:31], v[145:146], v[30:31], -v[32:33]
	s_wait_loadcnt_dscnt 0x601
	v_mul_f64_e32 v[143:144], v[2:3], v[40:41]
	v_mul_f64_e32 v[40:41], v[4:5], v[40:41]
	s_wait_loadcnt_dscnt 0x500
	v_mul_f64_e32 v[32:33], v[22:23], v[139:140]
	v_mul_f64_e32 v[139:140], v[24:25], v[139:140]
	v_add_f64_e32 v[26:27], v[28:29], v[26:27]
	v_add_f64_e32 v[28:29], v[141:142], v[151:152]
	v_fma_f64 v[141:142], v[4:5], v[38:39], v[143:144]
	v_fma_f64 v[38:39], v[2:3], v[38:39], -v[40:41]
	v_fma_f64 v[24:25], v[24:25], v[137:138], v[32:33]
	v_fma_f64 v[22:23], v[22:23], v[137:138], -v[139:140]
	v_add_f64_e32 v[30:31], v[26:27], v[30:31]
	v_add_f64_e32 v[40:41], v[28:29], v[147:148]
	ds_load_b128 v[2:5], v1 offset:1360
	ds_load_b128 v[26:29], v1 offset:1376
	s_wait_loadcnt_dscnt 0x401
	v_mul_f64_e32 v[143:144], v[2:3], v[36:37]
	v_mul_f64_e32 v[36:37], v[4:5], v[36:37]
	v_add_f64_e32 v[30:31], v[30:31], v[38:39]
	v_add_f64_e32 v[32:33], v[40:41], v[141:142]
	s_wait_loadcnt_dscnt 0x300
	v_mul_f64_e32 v[38:39], v[26:27], v[8:9]
	v_mul_f64_e32 v[8:9], v[28:29], v[8:9]
	v_fma_f64 v[40:41], v[4:5], v[34:35], v[143:144]
	v_fma_f64 v[34:35], v[2:3], v[34:35], -v[36:37]
	v_add_f64_e32 v[30:31], v[30:31], v[22:23]
	v_add_f64_e32 v[32:33], v[32:33], v[24:25]
	ds_load_b128 v[2:5], v1 offset:1392
	ds_load_b128 v[22:25], v1 offset:1408
	v_fma_f64 v[28:29], v[28:29], v[6:7], v[38:39]
	v_fma_f64 v[6:7], v[26:27], v[6:7], -v[8:9]
	s_wait_loadcnt_dscnt 0x201
	v_mul_f64_e32 v[36:37], v[2:3], v[12:13]
	v_mul_f64_e32 v[12:13], v[4:5], v[12:13]
	v_add_f64_e32 v[8:9], v[30:31], v[34:35]
	v_add_f64_e32 v[26:27], v[32:33], v[40:41]
	s_wait_loadcnt_dscnt 0x100
	v_mul_f64_e32 v[30:31], v[22:23], v[16:17]
	v_mul_f64_e32 v[16:17], v[24:25], v[16:17]
	v_fma_f64 v[32:33], v[4:5], v[10:11], v[36:37]
	v_fma_f64 v[10:11], v[2:3], v[10:11], -v[12:13]
	ds_load_b128 v[2:5], v1 offset:1424
	v_add_f64_e32 v[6:7], v[8:9], v[6:7]
	v_add_f64_e32 v[8:9], v[26:27], v[28:29]
	v_fma_f64 v[24:25], v[24:25], v[14:15], v[30:31]
	v_fma_f64 v[14:15], v[22:23], v[14:15], -v[16:17]
	s_wait_loadcnt_dscnt 0x0
	v_mul_f64_e32 v[12:13], v[2:3], v[20:21]
	v_mul_f64_e32 v[20:21], v[4:5], v[20:21]
	v_add_f64_e32 v[6:7], v[6:7], v[10:11]
	v_add_f64_e32 v[8:9], v[8:9], v[32:33]
	s_delay_alu instid0(VALU_DEP_4) | instskip(NEXT) | instid1(VALU_DEP_4)
	v_fma_f64 v[4:5], v[4:5], v[18:19], v[12:13]
	v_fma_f64 v[2:3], v[2:3], v[18:19], -v[20:21]
	s_delay_alu instid0(VALU_DEP_4) | instskip(NEXT) | instid1(VALU_DEP_4)
	v_add_f64_e32 v[6:7], v[6:7], v[14:15]
	v_add_f64_e32 v[8:9], v[8:9], v[24:25]
	s_delay_alu instid0(VALU_DEP_2) | instskip(NEXT) | instid1(VALU_DEP_2)
	v_add_f64_e32 v[2:3], v[6:7], v[2:3]
	v_add_f64_e32 v[4:5], v[8:9], v[4:5]
	s_delay_alu instid0(VALU_DEP_2) | instskip(NEXT) | instid1(VALU_DEP_2)
	v_add_f64_e64 v[2:3], v[42:43], -v[2:3]
	v_add_f64_e64 v[4:5], v[44:45], -v[4:5]
	scratch_store_b128 off, v[2:5], off offset:320
	v_cmpx_lt_u32_e32 18, v0
	s_cbranch_execz .LBB44_247
; %bb.246:
	scratch_load_b128 v[5:8], off, s40
	v_dual_mov_b32 v2, v1 :: v_dual_mov_b32 v3, v1
	v_mov_b32_e32 v4, v1
	scratch_store_b128 off, v[1:4], off offset:304
	s_wait_loadcnt 0x0
	ds_store_b128 v136, v[5:8]
.LBB44_247:
	s_wait_alu 0xfffe
	s_or_b32 exec_lo, exec_lo, s0
	s_wait_storecnt_dscnt 0x0
	s_barrier_signal -1
	s_barrier_wait -1
	global_inv scope:SCOPE_SE
	s_clause 0x8
	scratch_load_b128 v[2:5], off, off offset:320
	scratch_load_b128 v[6:9], off, off offset:336
	;; [unrolled: 1-line block ×9, first 2 shown]
	ds_load_b128 v[38:41], v1 offset:1024
	ds_load_b128 v[42:45], v1 offset:1040
	s_clause 0x1
	scratch_load_b128 v[137:140], off, off offset:304
	scratch_load_b128 v[141:144], off, off offset:464
	s_mov_b32 s0, exec_lo
	s_wait_loadcnt_dscnt 0xa01
	v_mul_f64_e32 v[145:146], v[40:41], v[4:5]
	v_mul_f64_e32 v[4:5], v[38:39], v[4:5]
	s_wait_loadcnt_dscnt 0x900
	v_mul_f64_e32 v[149:150], v[42:43], v[8:9]
	v_mul_f64_e32 v[8:9], v[44:45], v[8:9]
	s_delay_alu instid0(VALU_DEP_4) | instskip(NEXT) | instid1(VALU_DEP_4)
	v_fma_f64 v[151:152], v[38:39], v[2:3], -v[145:146]
	v_fma_f64 v[153:154], v[40:41], v[2:3], v[4:5]
	ds_load_b128 v[2:5], v1 offset:1056
	ds_load_b128 v[145:148], v1 offset:1072
	scratch_load_b128 v[38:41], off, off offset:480
	v_fma_f64 v[44:45], v[44:45], v[6:7], v[149:150]
	v_fma_f64 v[42:43], v[42:43], v[6:7], -v[8:9]
	scratch_load_b128 v[6:9], off, off offset:496
	s_wait_loadcnt_dscnt 0xa01
	v_mul_f64_e32 v[155:156], v[2:3], v[12:13]
	v_mul_f64_e32 v[12:13], v[4:5], v[12:13]
	v_add_f64_e32 v[149:150], 0, v[151:152]
	v_add_f64_e32 v[151:152], 0, v[153:154]
	s_wait_loadcnt_dscnt 0x900
	v_mul_f64_e32 v[153:154], v[145:146], v[16:17]
	v_mul_f64_e32 v[16:17], v[147:148], v[16:17]
	v_fma_f64 v[155:156], v[4:5], v[10:11], v[155:156]
	v_fma_f64 v[157:158], v[2:3], v[10:11], -v[12:13]
	ds_load_b128 v[2:5], v1 offset:1088
	scratch_load_b128 v[10:13], off, off offset:512
	v_add_f64_e32 v[149:150], v[149:150], v[42:43]
	v_add_f64_e32 v[151:152], v[151:152], v[44:45]
	ds_load_b128 v[42:45], v1 offset:1104
	v_fma_f64 v[147:148], v[147:148], v[14:15], v[153:154]
	v_fma_f64 v[145:146], v[145:146], v[14:15], -v[16:17]
	scratch_load_b128 v[14:17], off, off offset:528
	s_wait_loadcnt_dscnt 0xa01
	v_mul_f64_e32 v[159:160], v[2:3], v[20:21]
	v_mul_f64_e32 v[20:21], v[4:5], v[20:21]
	s_wait_loadcnt_dscnt 0x900
	v_mul_f64_e32 v[153:154], v[42:43], v[24:25]
	v_mul_f64_e32 v[24:25], v[44:45], v[24:25]
	v_add_f64_e32 v[149:150], v[149:150], v[157:158]
	v_add_f64_e32 v[151:152], v[151:152], v[155:156]
	v_fma_f64 v[155:156], v[4:5], v[18:19], v[159:160]
	v_fma_f64 v[157:158], v[2:3], v[18:19], -v[20:21]
	ds_load_b128 v[2:5], v1 offset:1120
	scratch_load_b128 v[18:21], off, off offset:544
	v_fma_f64 v[44:45], v[44:45], v[22:23], v[153:154]
	v_fma_f64 v[42:43], v[42:43], v[22:23], -v[24:25]
	scratch_load_b128 v[22:25], off, off offset:560
	v_add_f64_e32 v[149:150], v[149:150], v[145:146]
	v_add_f64_e32 v[151:152], v[151:152], v[147:148]
	ds_load_b128 v[145:148], v1 offset:1136
	s_wait_loadcnt_dscnt 0xa01
	v_mul_f64_e32 v[159:160], v[2:3], v[28:29]
	v_mul_f64_e32 v[28:29], v[4:5], v[28:29]
	s_wait_loadcnt_dscnt 0x900
	v_mul_f64_e32 v[153:154], v[145:146], v[32:33]
	v_mul_f64_e32 v[32:33], v[147:148], v[32:33]
	v_add_f64_e32 v[149:150], v[149:150], v[157:158]
	v_add_f64_e32 v[151:152], v[151:152], v[155:156]
	v_fma_f64 v[155:156], v[4:5], v[26:27], v[159:160]
	v_fma_f64 v[157:158], v[2:3], v[26:27], -v[28:29]
	ds_load_b128 v[2:5], v1 offset:1152
	scratch_load_b128 v[26:29], off, off offset:576
	v_fma_f64 v[147:148], v[147:148], v[30:31], v[153:154]
	v_fma_f64 v[145:146], v[145:146], v[30:31], -v[32:33]
	scratch_load_b128 v[30:33], off, off offset:592
	v_add_f64_e32 v[149:150], v[149:150], v[42:43]
	v_add_f64_e32 v[151:152], v[151:152], v[44:45]
	ds_load_b128 v[42:45], v1 offset:1168
	s_wait_loadcnt_dscnt 0xa01
	v_mul_f64_e32 v[159:160], v[2:3], v[36:37]
	v_mul_f64_e32 v[36:37], v[4:5], v[36:37]
	s_wait_loadcnt_dscnt 0x800
	v_mul_f64_e32 v[153:154], v[42:43], v[143:144]
	v_add_f64_e32 v[149:150], v[149:150], v[157:158]
	v_add_f64_e32 v[151:152], v[151:152], v[155:156]
	v_mul_f64_e32 v[155:156], v[44:45], v[143:144]
	v_fma_f64 v[157:158], v[4:5], v[34:35], v[159:160]
	v_fma_f64 v[159:160], v[2:3], v[34:35], -v[36:37]
	ds_load_b128 v[2:5], v1 offset:1184
	scratch_load_b128 v[34:37], off, off offset:608
	v_fma_f64 v[44:45], v[44:45], v[141:142], v[153:154]
	v_add_f64_e32 v[149:150], v[149:150], v[145:146]
	v_add_f64_e32 v[147:148], v[151:152], v[147:148]
	ds_load_b128 v[143:146], v1 offset:1200
	v_fma_f64 v[141:142], v[42:43], v[141:142], -v[155:156]
	s_wait_loadcnt_dscnt 0x801
	v_mul_f64_e32 v[151:152], v[2:3], v[40:41]
	v_mul_f64_e32 v[161:162], v[4:5], v[40:41]
	scratch_load_b128 v[40:43], off, off offset:624
	s_wait_loadcnt_dscnt 0x800
	v_mul_f64_e32 v[155:156], v[143:144], v[8:9]
	v_mul_f64_e32 v[8:9], v[145:146], v[8:9]
	v_add_f64_e32 v[149:150], v[149:150], v[159:160]
	v_add_f64_e32 v[147:148], v[147:148], v[157:158]
	v_fma_f64 v[157:158], v[4:5], v[38:39], v[151:152]
	v_fma_f64 v[38:39], v[2:3], v[38:39], -v[161:162]
	ds_load_b128 v[2:5], v1 offset:1216
	ds_load_b128 v[151:154], v1 offset:1232
	v_fma_f64 v[145:146], v[145:146], v[6:7], v[155:156]
	v_fma_f64 v[143:144], v[143:144], v[6:7], -v[8:9]
	scratch_load_b128 v[6:9], off, off offset:656
	v_add_f64_e32 v[141:142], v[149:150], v[141:142]
	v_add_f64_e32 v[44:45], v[147:148], v[44:45]
	scratch_load_b128 v[147:150], off, off offset:640
	s_wait_loadcnt_dscnt 0x901
	v_mul_f64_e32 v[159:160], v[2:3], v[12:13]
	v_mul_f64_e32 v[12:13], v[4:5], v[12:13]
	s_wait_loadcnt_dscnt 0x800
	v_mul_f64_e32 v[155:156], v[151:152], v[16:17]
	v_mul_f64_e32 v[16:17], v[153:154], v[16:17]
	v_add_f64_e32 v[38:39], v[141:142], v[38:39]
	v_add_f64_e32 v[44:45], v[44:45], v[157:158]
	v_fma_f64 v[157:158], v[4:5], v[10:11], v[159:160]
	v_fma_f64 v[159:160], v[2:3], v[10:11], -v[12:13]
	ds_load_b128 v[2:5], v1 offset:1248
	scratch_load_b128 v[10:13], off, off offset:672
	v_fma_f64 v[153:154], v[153:154], v[14:15], v[155:156]
	v_fma_f64 v[151:152], v[151:152], v[14:15], -v[16:17]
	scratch_load_b128 v[14:17], off, off offset:688
	v_add_f64_e32 v[38:39], v[38:39], v[143:144]
	v_add_f64_e32 v[44:45], v[44:45], v[145:146]
	ds_load_b128 v[141:144], v1 offset:1264
	s_wait_loadcnt_dscnt 0x901
	v_mul_f64_e32 v[145:146], v[2:3], v[20:21]
	v_mul_f64_e32 v[20:21], v[4:5], v[20:21]
	s_wait_loadcnt_dscnt 0x800
	v_mul_f64_e32 v[155:156], v[141:142], v[24:25]
	v_mul_f64_e32 v[24:25], v[143:144], v[24:25]
	v_add_f64_e32 v[38:39], v[38:39], v[159:160]
	v_add_f64_e32 v[44:45], v[44:45], v[157:158]
	v_fma_f64 v[145:146], v[4:5], v[18:19], v[145:146]
	v_fma_f64 v[157:158], v[2:3], v[18:19], -v[20:21]
	ds_load_b128 v[2:5], v1 offset:1280
	scratch_load_b128 v[18:21], off, off offset:704
	v_fma_f64 v[143:144], v[143:144], v[22:23], v[155:156]
	v_fma_f64 v[141:142], v[141:142], v[22:23], -v[24:25]
	scratch_load_b128 v[22:25], off, off offset:720
	v_add_f64_e32 v[38:39], v[38:39], v[151:152]
	v_add_f64_e32 v[44:45], v[44:45], v[153:154]
	ds_load_b128 v[151:154], v1 offset:1296
	s_wait_loadcnt_dscnt 0x901
	v_mul_f64_e32 v[159:160], v[2:3], v[28:29]
	v_mul_f64_e32 v[28:29], v[4:5], v[28:29]
	v_add_f64_e32 v[38:39], v[38:39], v[157:158]
	v_add_f64_e32 v[44:45], v[44:45], v[145:146]
	s_wait_loadcnt_dscnt 0x800
	v_mul_f64_e32 v[145:146], v[151:152], v[32:33]
	v_mul_f64_e32 v[32:33], v[153:154], v[32:33]
	v_fma_f64 v[155:156], v[4:5], v[26:27], v[159:160]
	v_fma_f64 v[157:158], v[2:3], v[26:27], -v[28:29]
	ds_load_b128 v[2:5], v1 offset:1312
	ds_load_b128 v[26:29], v1 offset:1328
	v_add_f64_e32 v[38:39], v[38:39], v[141:142]
	v_add_f64_e32 v[44:45], v[44:45], v[143:144]
	s_wait_loadcnt_dscnt 0x701
	v_mul_f64_e32 v[141:142], v[2:3], v[36:37]
	v_mul_f64_e32 v[36:37], v[4:5], v[36:37]
	v_fma_f64 v[143:144], v[153:154], v[30:31], v[145:146]
	v_fma_f64 v[30:31], v[151:152], v[30:31], -v[32:33]
	v_add_f64_e32 v[32:33], v[38:39], v[157:158]
	v_add_f64_e32 v[38:39], v[44:45], v[155:156]
	s_wait_loadcnt_dscnt 0x600
	v_mul_f64_e32 v[44:45], v[26:27], v[42:43]
	v_mul_f64_e32 v[42:43], v[28:29], v[42:43]
	v_fma_f64 v[141:142], v[4:5], v[34:35], v[141:142]
	v_fma_f64 v[34:35], v[2:3], v[34:35], -v[36:37]
	v_add_f64_e32 v[36:37], v[32:33], v[30:31]
	v_add_f64_e32 v[38:39], v[38:39], v[143:144]
	ds_load_b128 v[2:5], v1 offset:1344
	ds_load_b128 v[30:33], v1 offset:1360
	v_fma_f64 v[28:29], v[28:29], v[40:41], v[44:45]
	v_fma_f64 v[26:27], v[26:27], v[40:41], -v[42:43]
	s_wait_loadcnt_dscnt 0x401
	v_mul_f64_e32 v[143:144], v[2:3], v[149:150]
	v_mul_f64_e32 v[145:146], v[4:5], v[149:150]
	v_add_f64_e32 v[34:35], v[36:37], v[34:35]
	v_add_f64_e32 v[36:37], v[38:39], v[141:142]
	s_wait_dscnt 0x0
	v_mul_f64_e32 v[38:39], v[30:31], v[8:9]
	v_mul_f64_e32 v[8:9], v[32:33], v[8:9]
	v_fma_f64 v[40:41], v[4:5], v[147:148], v[143:144]
	v_fma_f64 v[42:43], v[2:3], v[147:148], -v[145:146]
	v_add_f64_e32 v[34:35], v[34:35], v[26:27]
	v_add_f64_e32 v[36:37], v[36:37], v[28:29]
	ds_load_b128 v[2:5], v1 offset:1376
	ds_load_b128 v[26:29], v1 offset:1392
	v_fma_f64 v[32:33], v[32:33], v[6:7], v[38:39]
	v_fma_f64 v[6:7], v[30:31], v[6:7], -v[8:9]
	s_wait_loadcnt_dscnt 0x301
	v_mul_f64_e32 v[44:45], v[2:3], v[12:13]
	v_mul_f64_e32 v[12:13], v[4:5], v[12:13]
	v_add_f64_e32 v[8:9], v[34:35], v[42:43]
	v_add_f64_e32 v[30:31], v[36:37], v[40:41]
	s_wait_loadcnt_dscnt 0x200
	v_mul_f64_e32 v[34:35], v[26:27], v[16:17]
	v_mul_f64_e32 v[16:17], v[28:29], v[16:17]
	v_fma_f64 v[36:37], v[4:5], v[10:11], v[44:45]
	v_fma_f64 v[10:11], v[2:3], v[10:11], -v[12:13]
	v_add_f64_e32 v[12:13], v[8:9], v[6:7]
	v_add_f64_e32 v[30:31], v[30:31], v[32:33]
	ds_load_b128 v[2:5], v1 offset:1408
	ds_load_b128 v[6:9], v1 offset:1424
	v_fma_f64 v[28:29], v[28:29], v[14:15], v[34:35]
	v_fma_f64 v[14:15], v[26:27], v[14:15], -v[16:17]
	s_wait_loadcnt_dscnt 0x101
	v_mul_f64_e32 v[32:33], v[2:3], v[20:21]
	v_mul_f64_e32 v[20:21], v[4:5], v[20:21]
	s_wait_loadcnt_dscnt 0x0
	v_mul_f64_e32 v[16:17], v[6:7], v[24:25]
	v_mul_f64_e32 v[24:25], v[8:9], v[24:25]
	v_add_f64_e32 v[10:11], v[12:13], v[10:11]
	v_add_f64_e32 v[12:13], v[30:31], v[36:37]
	v_fma_f64 v[4:5], v[4:5], v[18:19], v[32:33]
	v_fma_f64 v[1:2], v[2:3], v[18:19], -v[20:21]
	v_fma_f64 v[8:9], v[8:9], v[22:23], v[16:17]
	v_fma_f64 v[6:7], v[6:7], v[22:23], -v[24:25]
	v_add_f64_e32 v[10:11], v[10:11], v[14:15]
	v_add_f64_e32 v[12:13], v[12:13], v[28:29]
	s_delay_alu instid0(VALU_DEP_2) | instskip(NEXT) | instid1(VALU_DEP_2)
	v_add_f64_e32 v[1:2], v[10:11], v[1:2]
	v_add_f64_e32 v[3:4], v[12:13], v[4:5]
	s_delay_alu instid0(VALU_DEP_2) | instskip(NEXT) | instid1(VALU_DEP_2)
	v_add_f64_e32 v[1:2], v[1:2], v[6:7]
	v_add_f64_e32 v[3:4], v[3:4], v[8:9]
	s_delay_alu instid0(VALU_DEP_2) | instskip(NEXT) | instid1(VALU_DEP_2)
	v_add_f64_e64 v[1:2], v[137:138], -v[1:2]
	v_add_f64_e64 v[3:4], v[139:140], -v[3:4]
	scratch_store_b128 off, v[1:4], off offset:304
	v_cmpx_lt_u32_e32 17, v0
	s_cbranch_execz .LBB44_249
; %bb.248:
	scratch_load_b128 v[1:4], off, s41
	v_mov_b32_e32 v5, 0
	s_delay_alu instid0(VALU_DEP_1)
	v_dual_mov_b32 v6, v5 :: v_dual_mov_b32 v7, v5
	v_mov_b32_e32 v8, v5
	scratch_store_b128 off, v[5:8], off offset:288
	s_wait_loadcnt 0x0
	ds_store_b128 v136, v[1:4]
.LBB44_249:
	s_wait_alu 0xfffe
	s_or_b32 exec_lo, exec_lo, s0
	s_wait_storecnt_dscnt 0x0
	s_barrier_signal -1
	s_barrier_wait -1
	global_inv scope:SCOPE_SE
	s_clause 0x7
	scratch_load_b128 v[2:5], off, off offset:304
	scratch_load_b128 v[6:9], off, off offset:320
	;; [unrolled: 1-line block ×8, first 2 shown]
	v_mov_b32_e32 v1, 0
	s_mov_b32 s0, exec_lo
	ds_load_b128 v[34:37], v1 offset:1008
	s_clause 0x1
	scratch_load_b128 v[38:41], off, off offset:432
	scratch_load_b128 v[42:45], off, off offset:288
	ds_load_b128 v[137:140], v1 offset:1024
	scratch_load_b128 v[141:144], off, off offset:448
	s_wait_loadcnt_dscnt 0xa01
	v_mul_f64_e32 v[145:146], v[36:37], v[4:5]
	v_mul_f64_e32 v[4:5], v[34:35], v[4:5]
	s_delay_alu instid0(VALU_DEP_2) | instskip(NEXT) | instid1(VALU_DEP_2)
	v_fma_f64 v[151:152], v[34:35], v[2:3], -v[145:146]
	v_fma_f64 v[153:154], v[36:37], v[2:3], v[4:5]
	ds_load_b128 v[2:5], v1 offset:1040
	s_wait_loadcnt_dscnt 0x901
	v_mul_f64_e32 v[149:150], v[137:138], v[8:9]
	v_mul_f64_e32 v[8:9], v[139:140], v[8:9]
	scratch_load_b128 v[34:37], off, off offset:464
	ds_load_b128 v[145:148], v1 offset:1056
	s_wait_loadcnt_dscnt 0x901
	v_mul_f64_e32 v[155:156], v[2:3], v[12:13]
	v_mul_f64_e32 v[12:13], v[4:5], v[12:13]
	v_fma_f64 v[139:140], v[139:140], v[6:7], v[149:150]
	v_fma_f64 v[137:138], v[137:138], v[6:7], -v[8:9]
	v_add_f64_e32 v[149:150], 0, v[151:152]
	v_add_f64_e32 v[151:152], 0, v[153:154]
	scratch_load_b128 v[6:9], off, off offset:480
	v_fma_f64 v[155:156], v[4:5], v[10:11], v[155:156]
	v_fma_f64 v[157:158], v[2:3], v[10:11], -v[12:13]
	ds_load_b128 v[2:5], v1 offset:1072
	s_wait_loadcnt_dscnt 0x901
	v_mul_f64_e32 v[153:154], v[145:146], v[16:17]
	v_mul_f64_e32 v[16:17], v[147:148], v[16:17]
	scratch_load_b128 v[10:13], off, off offset:496
	v_add_f64_e32 v[149:150], v[149:150], v[137:138]
	v_add_f64_e32 v[151:152], v[151:152], v[139:140]
	s_wait_loadcnt_dscnt 0x900
	v_mul_f64_e32 v[159:160], v[2:3], v[20:21]
	v_mul_f64_e32 v[20:21], v[4:5], v[20:21]
	ds_load_b128 v[137:140], v1 offset:1088
	v_fma_f64 v[147:148], v[147:148], v[14:15], v[153:154]
	v_fma_f64 v[145:146], v[145:146], v[14:15], -v[16:17]
	scratch_load_b128 v[14:17], off, off offset:512
	v_add_f64_e32 v[149:150], v[149:150], v[157:158]
	v_add_f64_e32 v[151:152], v[151:152], v[155:156]
	v_fma_f64 v[155:156], v[4:5], v[18:19], v[159:160]
	v_fma_f64 v[157:158], v[2:3], v[18:19], -v[20:21]
	ds_load_b128 v[2:5], v1 offset:1104
	s_wait_loadcnt_dscnt 0x901
	v_mul_f64_e32 v[153:154], v[137:138], v[24:25]
	v_mul_f64_e32 v[24:25], v[139:140], v[24:25]
	scratch_load_b128 v[18:21], off, off offset:528
	s_wait_loadcnt_dscnt 0x900
	v_mul_f64_e32 v[159:160], v[2:3], v[28:29]
	v_mul_f64_e32 v[28:29], v[4:5], v[28:29]
	v_add_f64_e32 v[149:150], v[149:150], v[145:146]
	v_add_f64_e32 v[151:152], v[151:152], v[147:148]
	ds_load_b128 v[145:148], v1 offset:1120
	v_fma_f64 v[139:140], v[139:140], v[22:23], v[153:154]
	v_fma_f64 v[137:138], v[137:138], v[22:23], -v[24:25]
	scratch_load_b128 v[22:25], off, off offset:544
	v_add_f64_e32 v[149:150], v[149:150], v[157:158]
	v_add_f64_e32 v[151:152], v[151:152], v[155:156]
	v_fma_f64 v[155:156], v[4:5], v[26:27], v[159:160]
	v_fma_f64 v[157:158], v[2:3], v[26:27], -v[28:29]
	ds_load_b128 v[2:5], v1 offset:1136
	s_wait_loadcnt_dscnt 0x901
	v_mul_f64_e32 v[153:154], v[145:146], v[32:33]
	v_mul_f64_e32 v[32:33], v[147:148], v[32:33]
	scratch_load_b128 v[26:29], off, off offset:560
	s_wait_loadcnt_dscnt 0x900
	v_mul_f64_e32 v[159:160], v[2:3], v[40:41]
	v_mul_f64_e32 v[40:41], v[4:5], v[40:41]
	v_add_f64_e32 v[149:150], v[149:150], v[137:138]
	v_add_f64_e32 v[151:152], v[151:152], v[139:140]
	ds_load_b128 v[137:140], v1 offset:1152
	v_fma_f64 v[147:148], v[147:148], v[30:31], v[153:154]
	v_fma_f64 v[145:146], v[145:146], v[30:31], -v[32:33]
	scratch_load_b128 v[30:33], off, off offset:576
	v_add_f64_e32 v[149:150], v[149:150], v[157:158]
	v_add_f64_e32 v[151:152], v[151:152], v[155:156]
	v_fma_f64 v[157:158], v[4:5], v[38:39], v[159:160]
	v_fma_f64 v[159:160], v[2:3], v[38:39], -v[40:41]
	ds_load_b128 v[2:5], v1 offset:1168
	s_wait_loadcnt_dscnt 0x801
	v_mul_f64_e32 v[153:154], v[137:138], v[143:144]
	v_mul_f64_e32 v[155:156], v[139:140], v[143:144]
	scratch_load_b128 v[38:41], off, off offset:592
	v_add_f64_e32 v[149:150], v[149:150], v[145:146]
	v_add_f64_e32 v[147:148], v[151:152], v[147:148]
	ds_load_b128 v[143:146], v1 offset:1184
	v_fma_f64 v[153:154], v[139:140], v[141:142], v[153:154]
	v_fma_f64 v[141:142], v[137:138], v[141:142], -v[155:156]
	scratch_load_b128 v[137:140], off, off offset:608
	s_wait_loadcnt_dscnt 0x901
	v_mul_f64_e32 v[151:152], v[2:3], v[36:37]
	v_mul_f64_e32 v[36:37], v[4:5], v[36:37]
	v_add_f64_e32 v[149:150], v[149:150], v[159:160]
	v_add_f64_e32 v[147:148], v[147:148], v[157:158]
	s_delay_alu instid0(VALU_DEP_4) | instskip(NEXT) | instid1(VALU_DEP_4)
	v_fma_f64 v[151:152], v[4:5], v[34:35], v[151:152]
	v_fma_f64 v[157:158], v[2:3], v[34:35], -v[36:37]
	ds_load_b128 v[2:5], v1 offset:1200
	s_wait_loadcnt_dscnt 0x801
	v_mul_f64_e32 v[155:156], v[143:144], v[8:9]
	v_mul_f64_e32 v[8:9], v[145:146], v[8:9]
	scratch_load_b128 v[34:37], off, off offset:624
	s_wait_loadcnt_dscnt 0x800
	v_mul_f64_e32 v[159:160], v[2:3], v[12:13]
	v_add_f64_e32 v[141:142], v[149:150], v[141:142]
	v_add_f64_e32 v[153:154], v[147:148], v[153:154]
	v_mul_f64_e32 v[12:13], v[4:5], v[12:13]
	ds_load_b128 v[147:150], v1 offset:1216
	v_fma_f64 v[145:146], v[145:146], v[6:7], v[155:156]
	v_fma_f64 v[143:144], v[143:144], v[6:7], -v[8:9]
	scratch_load_b128 v[6:9], off, off offset:640
	v_fma_f64 v[155:156], v[4:5], v[10:11], v[159:160]
	v_add_f64_e32 v[141:142], v[141:142], v[157:158]
	v_add_f64_e32 v[151:152], v[153:154], v[151:152]
	v_fma_f64 v[157:158], v[2:3], v[10:11], -v[12:13]
	ds_load_b128 v[2:5], v1 offset:1232
	s_wait_loadcnt_dscnt 0x801
	v_mul_f64_e32 v[153:154], v[147:148], v[16:17]
	v_mul_f64_e32 v[16:17], v[149:150], v[16:17]
	scratch_load_b128 v[10:13], off, off offset:656
	v_add_f64_e32 v[159:160], v[141:142], v[143:144]
	v_add_f64_e32 v[145:146], v[151:152], v[145:146]
	s_wait_loadcnt_dscnt 0x800
	v_mul_f64_e32 v[151:152], v[2:3], v[20:21]
	v_mul_f64_e32 v[20:21], v[4:5], v[20:21]
	v_fma_f64 v[149:150], v[149:150], v[14:15], v[153:154]
	v_fma_f64 v[147:148], v[147:148], v[14:15], -v[16:17]
	ds_load_b128 v[141:144], v1 offset:1248
	scratch_load_b128 v[14:17], off, off offset:672
	v_add_f64_e32 v[153:154], v[159:160], v[157:158]
	v_add_f64_e32 v[145:146], v[145:146], v[155:156]
	v_fma_f64 v[151:152], v[4:5], v[18:19], v[151:152]
	v_fma_f64 v[157:158], v[2:3], v[18:19], -v[20:21]
	ds_load_b128 v[2:5], v1 offset:1264
	s_wait_loadcnt_dscnt 0x801
	v_mul_f64_e32 v[155:156], v[141:142], v[24:25]
	v_mul_f64_e32 v[24:25], v[143:144], v[24:25]
	scratch_load_b128 v[18:21], off, off offset:688
	s_wait_loadcnt_dscnt 0x800
	v_mul_f64_e32 v[159:160], v[2:3], v[28:29]
	v_mul_f64_e32 v[28:29], v[4:5], v[28:29]
	v_add_f64_e32 v[153:154], v[153:154], v[147:148]
	v_add_f64_e32 v[149:150], v[145:146], v[149:150]
	ds_load_b128 v[145:148], v1 offset:1280
	v_fma_f64 v[143:144], v[143:144], v[22:23], v[155:156]
	v_fma_f64 v[141:142], v[141:142], v[22:23], -v[24:25]
	scratch_load_b128 v[22:25], off, off offset:704
	v_fma_f64 v[155:156], v[4:5], v[26:27], v[159:160]
	v_add_f64_e32 v[153:154], v[153:154], v[157:158]
	v_add_f64_e32 v[149:150], v[149:150], v[151:152]
	v_fma_f64 v[157:158], v[2:3], v[26:27], -v[28:29]
	ds_load_b128 v[2:5], v1 offset:1296
	s_wait_loadcnt_dscnt 0x801
	v_mul_f64_e32 v[151:152], v[145:146], v[32:33]
	v_mul_f64_e32 v[32:33], v[147:148], v[32:33]
	scratch_load_b128 v[26:29], off, off offset:720
	s_wait_loadcnt_dscnt 0x800
	v_mul_f64_e32 v[159:160], v[2:3], v[40:41]
	v_mul_f64_e32 v[40:41], v[4:5], v[40:41]
	v_add_f64_e32 v[153:154], v[153:154], v[141:142]
	v_add_f64_e32 v[149:150], v[149:150], v[143:144]
	ds_load_b128 v[141:144], v1 offset:1312
	v_fma_f64 v[147:148], v[147:148], v[30:31], v[151:152]
	v_fma_f64 v[30:31], v[145:146], v[30:31], -v[32:33]
	v_fma_f64 v[151:152], v[4:5], v[38:39], v[159:160]
	v_fma_f64 v[38:39], v[2:3], v[38:39], -v[40:41]
	v_add_f64_e32 v[32:33], v[153:154], v[157:158]
	v_add_f64_e32 v[145:146], v[149:150], v[155:156]
	s_wait_loadcnt_dscnt 0x700
	v_mul_f64_e32 v[149:150], v[141:142], v[139:140]
	v_mul_f64_e32 v[139:140], v[143:144], v[139:140]
	s_delay_alu instid0(VALU_DEP_4) | instskip(NEXT) | instid1(VALU_DEP_4)
	v_add_f64_e32 v[40:41], v[32:33], v[30:31]
	v_add_f64_e32 v[145:146], v[145:146], v[147:148]
	ds_load_b128 v[2:5], v1 offset:1328
	ds_load_b128 v[30:33], v1 offset:1344
	v_fma_f64 v[143:144], v[143:144], v[137:138], v[149:150]
	v_fma_f64 v[137:138], v[141:142], v[137:138], -v[139:140]
	s_wait_loadcnt_dscnt 0x601
	v_mul_f64_e32 v[147:148], v[2:3], v[36:37]
	v_mul_f64_e32 v[36:37], v[4:5], v[36:37]
	s_wait_loadcnt_dscnt 0x500
	v_mul_f64_e32 v[139:140], v[30:31], v[8:9]
	v_mul_f64_e32 v[8:9], v[32:33], v[8:9]
	v_add_f64_e32 v[38:39], v[40:41], v[38:39]
	v_add_f64_e32 v[40:41], v[145:146], v[151:152]
	v_fma_f64 v[141:142], v[4:5], v[34:35], v[147:148]
	v_fma_f64 v[145:146], v[2:3], v[34:35], -v[36:37]
	ds_load_b128 v[2:5], v1 offset:1360
	ds_load_b128 v[34:37], v1 offset:1376
	v_fma_f64 v[32:33], v[32:33], v[6:7], v[139:140]
	v_fma_f64 v[6:7], v[30:31], v[6:7], -v[8:9]
	v_add_f64_e32 v[38:39], v[38:39], v[137:138]
	v_add_f64_e32 v[40:41], v[40:41], v[143:144]
	s_wait_loadcnt_dscnt 0x401
	v_mul_f64_e32 v[137:138], v[2:3], v[12:13]
	v_mul_f64_e32 v[12:13], v[4:5], v[12:13]
	s_delay_alu instid0(VALU_DEP_4) | instskip(NEXT) | instid1(VALU_DEP_4)
	v_add_f64_e32 v[8:9], v[38:39], v[145:146]
	v_add_f64_e32 v[30:31], v[40:41], v[141:142]
	s_wait_loadcnt_dscnt 0x300
	v_mul_f64_e32 v[38:39], v[34:35], v[16:17]
	v_mul_f64_e32 v[16:17], v[36:37], v[16:17]
	v_fma_f64 v[40:41], v[4:5], v[10:11], v[137:138]
	v_fma_f64 v[10:11], v[2:3], v[10:11], -v[12:13]
	v_add_f64_e32 v[12:13], v[8:9], v[6:7]
	v_add_f64_e32 v[30:31], v[30:31], v[32:33]
	ds_load_b128 v[2:5], v1 offset:1392
	ds_load_b128 v[6:9], v1 offset:1408
	v_fma_f64 v[36:37], v[36:37], v[14:15], v[38:39]
	v_fma_f64 v[14:15], v[34:35], v[14:15], -v[16:17]
	s_wait_loadcnt_dscnt 0x201
	v_mul_f64_e32 v[32:33], v[2:3], v[20:21]
	v_mul_f64_e32 v[20:21], v[4:5], v[20:21]
	s_wait_loadcnt_dscnt 0x100
	v_mul_f64_e32 v[16:17], v[6:7], v[24:25]
	v_mul_f64_e32 v[24:25], v[8:9], v[24:25]
	v_add_f64_e32 v[10:11], v[12:13], v[10:11]
	v_add_f64_e32 v[12:13], v[30:31], v[40:41]
	v_fma_f64 v[30:31], v[4:5], v[18:19], v[32:33]
	v_fma_f64 v[18:19], v[2:3], v[18:19], -v[20:21]
	ds_load_b128 v[2:5], v1 offset:1424
	v_fma_f64 v[8:9], v[8:9], v[22:23], v[16:17]
	v_fma_f64 v[6:7], v[6:7], v[22:23], -v[24:25]
	v_add_f64_e32 v[10:11], v[10:11], v[14:15]
	v_add_f64_e32 v[12:13], v[12:13], v[36:37]
	s_wait_loadcnt_dscnt 0x0
	v_mul_f64_e32 v[14:15], v[2:3], v[28:29]
	v_mul_f64_e32 v[20:21], v[4:5], v[28:29]
	s_delay_alu instid0(VALU_DEP_4) | instskip(NEXT) | instid1(VALU_DEP_4)
	v_add_f64_e32 v[10:11], v[10:11], v[18:19]
	v_add_f64_e32 v[12:13], v[12:13], v[30:31]
	s_delay_alu instid0(VALU_DEP_4) | instskip(NEXT) | instid1(VALU_DEP_4)
	v_fma_f64 v[4:5], v[4:5], v[26:27], v[14:15]
	v_fma_f64 v[2:3], v[2:3], v[26:27], -v[20:21]
	s_delay_alu instid0(VALU_DEP_4) | instskip(NEXT) | instid1(VALU_DEP_4)
	v_add_f64_e32 v[6:7], v[10:11], v[6:7]
	v_add_f64_e32 v[8:9], v[12:13], v[8:9]
	s_delay_alu instid0(VALU_DEP_2) | instskip(NEXT) | instid1(VALU_DEP_2)
	v_add_f64_e32 v[2:3], v[6:7], v[2:3]
	v_add_f64_e32 v[4:5], v[8:9], v[4:5]
	s_delay_alu instid0(VALU_DEP_2) | instskip(NEXT) | instid1(VALU_DEP_2)
	v_add_f64_e64 v[2:3], v[42:43], -v[2:3]
	v_add_f64_e64 v[4:5], v[44:45], -v[4:5]
	scratch_store_b128 off, v[2:5], off offset:288
	v_cmpx_lt_u32_e32 16, v0
	s_cbranch_execz .LBB44_251
; %bb.250:
	scratch_load_b128 v[5:8], off, s42
	v_dual_mov_b32 v2, v1 :: v_dual_mov_b32 v3, v1
	v_mov_b32_e32 v4, v1
	scratch_store_b128 off, v[1:4], off offset:272
	s_wait_loadcnt 0x0
	ds_store_b128 v136, v[5:8]
.LBB44_251:
	s_wait_alu 0xfffe
	s_or_b32 exec_lo, exec_lo, s0
	s_wait_storecnt_dscnt 0x0
	s_barrier_signal -1
	s_barrier_wait -1
	global_inv scope:SCOPE_SE
	s_clause 0x8
	scratch_load_b128 v[2:5], off, off offset:288
	scratch_load_b128 v[6:9], off, off offset:304
	;; [unrolled: 1-line block ×9, first 2 shown]
	ds_load_b128 v[38:41], v1 offset:992
	ds_load_b128 v[42:45], v1 offset:1008
	s_clause 0x1
	scratch_load_b128 v[137:140], off, off offset:272
	scratch_load_b128 v[141:144], off, off offset:432
	s_mov_b32 s0, exec_lo
	s_wait_loadcnt_dscnt 0xa01
	v_mul_f64_e32 v[145:146], v[40:41], v[4:5]
	v_mul_f64_e32 v[4:5], v[38:39], v[4:5]
	s_wait_loadcnt_dscnt 0x900
	v_mul_f64_e32 v[149:150], v[42:43], v[8:9]
	v_mul_f64_e32 v[8:9], v[44:45], v[8:9]
	s_delay_alu instid0(VALU_DEP_4) | instskip(NEXT) | instid1(VALU_DEP_4)
	v_fma_f64 v[151:152], v[38:39], v[2:3], -v[145:146]
	v_fma_f64 v[153:154], v[40:41], v[2:3], v[4:5]
	ds_load_b128 v[2:5], v1 offset:1024
	ds_load_b128 v[145:148], v1 offset:1040
	scratch_load_b128 v[38:41], off, off offset:448
	v_fma_f64 v[44:45], v[44:45], v[6:7], v[149:150]
	v_fma_f64 v[42:43], v[42:43], v[6:7], -v[8:9]
	scratch_load_b128 v[6:9], off, off offset:464
	s_wait_loadcnt_dscnt 0xa01
	v_mul_f64_e32 v[155:156], v[2:3], v[12:13]
	v_mul_f64_e32 v[12:13], v[4:5], v[12:13]
	v_add_f64_e32 v[149:150], 0, v[151:152]
	v_add_f64_e32 v[151:152], 0, v[153:154]
	s_wait_loadcnt_dscnt 0x900
	v_mul_f64_e32 v[153:154], v[145:146], v[16:17]
	v_mul_f64_e32 v[16:17], v[147:148], v[16:17]
	v_fma_f64 v[155:156], v[4:5], v[10:11], v[155:156]
	v_fma_f64 v[157:158], v[2:3], v[10:11], -v[12:13]
	ds_load_b128 v[2:5], v1 offset:1056
	scratch_load_b128 v[10:13], off, off offset:480
	v_add_f64_e32 v[149:150], v[149:150], v[42:43]
	v_add_f64_e32 v[151:152], v[151:152], v[44:45]
	ds_load_b128 v[42:45], v1 offset:1072
	v_fma_f64 v[147:148], v[147:148], v[14:15], v[153:154]
	v_fma_f64 v[145:146], v[145:146], v[14:15], -v[16:17]
	scratch_load_b128 v[14:17], off, off offset:496
	s_wait_loadcnt_dscnt 0xa01
	v_mul_f64_e32 v[159:160], v[2:3], v[20:21]
	v_mul_f64_e32 v[20:21], v[4:5], v[20:21]
	s_wait_loadcnt_dscnt 0x900
	v_mul_f64_e32 v[153:154], v[42:43], v[24:25]
	v_mul_f64_e32 v[24:25], v[44:45], v[24:25]
	v_add_f64_e32 v[149:150], v[149:150], v[157:158]
	v_add_f64_e32 v[151:152], v[151:152], v[155:156]
	v_fma_f64 v[155:156], v[4:5], v[18:19], v[159:160]
	v_fma_f64 v[157:158], v[2:3], v[18:19], -v[20:21]
	ds_load_b128 v[2:5], v1 offset:1088
	scratch_load_b128 v[18:21], off, off offset:512
	v_fma_f64 v[44:45], v[44:45], v[22:23], v[153:154]
	v_fma_f64 v[42:43], v[42:43], v[22:23], -v[24:25]
	scratch_load_b128 v[22:25], off, off offset:528
	v_add_f64_e32 v[149:150], v[149:150], v[145:146]
	v_add_f64_e32 v[151:152], v[151:152], v[147:148]
	ds_load_b128 v[145:148], v1 offset:1104
	s_wait_loadcnt_dscnt 0xa01
	v_mul_f64_e32 v[159:160], v[2:3], v[28:29]
	v_mul_f64_e32 v[28:29], v[4:5], v[28:29]
	s_wait_loadcnt_dscnt 0x900
	v_mul_f64_e32 v[153:154], v[145:146], v[32:33]
	v_mul_f64_e32 v[32:33], v[147:148], v[32:33]
	v_add_f64_e32 v[149:150], v[149:150], v[157:158]
	v_add_f64_e32 v[151:152], v[151:152], v[155:156]
	v_fma_f64 v[155:156], v[4:5], v[26:27], v[159:160]
	v_fma_f64 v[157:158], v[2:3], v[26:27], -v[28:29]
	ds_load_b128 v[2:5], v1 offset:1120
	scratch_load_b128 v[26:29], off, off offset:544
	v_fma_f64 v[147:148], v[147:148], v[30:31], v[153:154]
	v_fma_f64 v[145:146], v[145:146], v[30:31], -v[32:33]
	scratch_load_b128 v[30:33], off, off offset:560
	v_add_f64_e32 v[149:150], v[149:150], v[42:43]
	v_add_f64_e32 v[151:152], v[151:152], v[44:45]
	ds_load_b128 v[42:45], v1 offset:1136
	s_wait_loadcnt_dscnt 0xa01
	v_mul_f64_e32 v[159:160], v[2:3], v[36:37]
	v_mul_f64_e32 v[36:37], v[4:5], v[36:37]
	s_wait_loadcnt_dscnt 0x800
	v_mul_f64_e32 v[153:154], v[42:43], v[143:144]
	v_add_f64_e32 v[149:150], v[149:150], v[157:158]
	v_add_f64_e32 v[151:152], v[151:152], v[155:156]
	v_mul_f64_e32 v[155:156], v[44:45], v[143:144]
	v_fma_f64 v[157:158], v[4:5], v[34:35], v[159:160]
	v_fma_f64 v[159:160], v[2:3], v[34:35], -v[36:37]
	ds_load_b128 v[2:5], v1 offset:1152
	scratch_load_b128 v[34:37], off, off offset:576
	v_fma_f64 v[44:45], v[44:45], v[141:142], v[153:154]
	v_add_f64_e32 v[149:150], v[149:150], v[145:146]
	v_add_f64_e32 v[147:148], v[151:152], v[147:148]
	ds_load_b128 v[143:146], v1 offset:1168
	v_fma_f64 v[141:142], v[42:43], v[141:142], -v[155:156]
	s_wait_loadcnt_dscnt 0x801
	v_mul_f64_e32 v[151:152], v[2:3], v[40:41]
	v_mul_f64_e32 v[161:162], v[4:5], v[40:41]
	scratch_load_b128 v[40:43], off, off offset:592
	s_wait_loadcnt_dscnt 0x800
	v_mul_f64_e32 v[155:156], v[143:144], v[8:9]
	v_mul_f64_e32 v[8:9], v[145:146], v[8:9]
	v_add_f64_e32 v[149:150], v[149:150], v[159:160]
	v_add_f64_e32 v[147:148], v[147:148], v[157:158]
	v_fma_f64 v[157:158], v[4:5], v[38:39], v[151:152]
	v_fma_f64 v[38:39], v[2:3], v[38:39], -v[161:162]
	ds_load_b128 v[2:5], v1 offset:1184
	ds_load_b128 v[151:154], v1 offset:1200
	v_fma_f64 v[145:146], v[145:146], v[6:7], v[155:156]
	v_fma_f64 v[143:144], v[143:144], v[6:7], -v[8:9]
	scratch_load_b128 v[6:9], off, off offset:624
	v_add_f64_e32 v[141:142], v[149:150], v[141:142]
	v_add_f64_e32 v[44:45], v[147:148], v[44:45]
	scratch_load_b128 v[147:150], off, off offset:608
	s_wait_loadcnt_dscnt 0x901
	v_mul_f64_e32 v[159:160], v[2:3], v[12:13]
	v_mul_f64_e32 v[12:13], v[4:5], v[12:13]
	s_wait_loadcnt_dscnt 0x800
	v_mul_f64_e32 v[155:156], v[151:152], v[16:17]
	v_mul_f64_e32 v[16:17], v[153:154], v[16:17]
	v_add_f64_e32 v[38:39], v[141:142], v[38:39]
	v_add_f64_e32 v[44:45], v[44:45], v[157:158]
	v_fma_f64 v[157:158], v[4:5], v[10:11], v[159:160]
	v_fma_f64 v[159:160], v[2:3], v[10:11], -v[12:13]
	ds_load_b128 v[2:5], v1 offset:1216
	scratch_load_b128 v[10:13], off, off offset:640
	v_fma_f64 v[153:154], v[153:154], v[14:15], v[155:156]
	v_fma_f64 v[151:152], v[151:152], v[14:15], -v[16:17]
	scratch_load_b128 v[14:17], off, off offset:656
	v_add_f64_e32 v[38:39], v[38:39], v[143:144]
	v_add_f64_e32 v[44:45], v[44:45], v[145:146]
	ds_load_b128 v[141:144], v1 offset:1232
	s_wait_loadcnt_dscnt 0x901
	v_mul_f64_e32 v[145:146], v[2:3], v[20:21]
	v_mul_f64_e32 v[20:21], v[4:5], v[20:21]
	s_wait_loadcnt_dscnt 0x800
	v_mul_f64_e32 v[155:156], v[141:142], v[24:25]
	v_mul_f64_e32 v[24:25], v[143:144], v[24:25]
	v_add_f64_e32 v[38:39], v[38:39], v[159:160]
	v_add_f64_e32 v[44:45], v[44:45], v[157:158]
	v_fma_f64 v[145:146], v[4:5], v[18:19], v[145:146]
	v_fma_f64 v[157:158], v[2:3], v[18:19], -v[20:21]
	ds_load_b128 v[2:5], v1 offset:1248
	scratch_load_b128 v[18:21], off, off offset:672
	v_fma_f64 v[143:144], v[143:144], v[22:23], v[155:156]
	v_fma_f64 v[141:142], v[141:142], v[22:23], -v[24:25]
	scratch_load_b128 v[22:25], off, off offset:688
	v_add_f64_e32 v[38:39], v[38:39], v[151:152]
	v_add_f64_e32 v[44:45], v[44:45], v[153:154]
	ds_load_b128 v[151:154], v1 offset:1264
	s_wait_loadcnt_dscnt 0x901
	v_mul_f64_e32 v[159:160], v[2:3], v[28:29]
	v_mul_f64_e32 v[28:29], v[4:5], v[28:29]
	v_add_f64_e32 v[38:39], v[38:39], v[157:158]
	v_add_f64_e32 v[44:45], v[44:45], v[145:146]
	s_wait_loadcnt_dscnt 0x800
	v_mul_f64_e32 v[145:146], v[151:152], v[32:33]
	v_mul_f64_e32 v[32:33], v[153:154], v[32:33]
	v_fma_f64 v[155:156], v[4:5], v[26:27], v[159:160]
	v_fma_f64 v[157:158], v[2:3], v[26:27], -v[28:29]
	ds_load_b128 v[2:5], v1 offset:1280
	scratch_load_b128 v[26:29], off, off offset:704
	v_add_f64_e32 v[38:39], v[38:39], v[141:142]
	v_add_f64_e32 v[44:45], v[44:45], v[143:144]
	ds_load_b128 v[141:144], v1 offset:1296
	s_wait_loadcnt_dscnt 0x801
	v_mul_f64_e32 v[159:160], v[2:3], v[36:37]
	v_mul_f64_e32 v[36:37], v[4:5], v[36:37]
	v_fma_f64 v[145:146], v[153:154], v[30:31], v[145:146]
	v_fma_f64 v[151:152], v[151:152], v[30:31], -v[32:33]
	scratch_load_b128 v[30:33], off, off offset:720
	s_wait_loadcnt_dscnt 0x800
	v_mul_f64_e32 v[153:154], v[141:142], v[42:43]
	v_add_f64_e32 v[38:39], v[38:39], v[157:158]
	v_add_f64_e32 v[44:45], v[44:45], v[155:156]
	v_mul_f64_e32 v[42:43], v[143:144], v[42:43]
	v_fma_f64 v[155:156], v[4:5], v[34:35], v[159:160]
	v_fma_f64 v[157:158], v[2:3], v[34:35], -v[36:37]
	ds_load_b128 v[2:5], v1 offset:1312
	ds_load_b128 v[34:37], v1 offset:1328
	v_fma_f64 v[143:144], v[143:144], v[40:41], v[153:154]
	v_add_f64_e32 v[38:39], v[38:39], v[151:152]
	v_add_f64_e32 v[44:45], v[44:45], v[145:146]
	v_fma_f64 v[40:41], v[141:142], v[40:41], -v[42:43]
	s_wait_loadcnt_dscnt 0x601
	v_mul_f64_e32 v[145:146], v[2:3], v[149:150]
	v_mul_f64_e32 v[149:150], v[4:5], v[149:150]
	v_add_f64_e32 v[38:39], v[38:39], v[157:158]
	v_add_f64_e32 v[42:43], v[44:45], v[155:156]
	s_wait_dscnt 0x0
	v_mul_f64_e32 v[44:45], v[34:35], v[8:9]
	v_mul_f64_e32 v[8:9], v[36:37], v[8:9]
	v_fma_f64 v[141:142], v[4:5], v[147:148], v[145:146]
	v_fma_f64 v[145:146], v[2:3], v[147:148], -v[149:150]
	v_add_f64_e32 v[147:148], v[38:39], v[40:41]
	v_add_f64_e32 v[42:43], v[42:43], v[143:144]
	ds_load_b128 v[2:5], v1 offset:1344
	ds_load_b128 v[38:41], v1 offset:1360
	v_fma_f64 v[36:37], v[36:37], v[6:7], v[44:45]
	v_fma_f64 v[6:7], v[34:35], v[6:7], -v[8:9]
	s_wait_loadcnt_dscnt 0x501
	v_mul_f64_e32 v[143:144], v[2:3], v[12:13]
	v_mul_f64_e32 v[12:13], v[4:5], v[12:13]
	v_add_f64_e32 v[8:9], v[147:148], v[145:146]
	v_add_f64_e32 v[34:35], v[42:43], v[141:142]
	s_wait_loadcnt_dscnt 0x400
	v_mul_f64_e32 v[42:43], v[38:39], v[16:17]
	v_mul_f64_e32 v[16:17], v[40:41], v[16:17]
	v_fma_f64 v[44:45], v[4:5], v[10:11], v[143:144]
	v_fma_f64 v[10:11], v[2:3], v[10:11], -v[12:13]
	v_add_f64_e32 v[12:13], v[8:9], v[6:7]
	v_add_f64_e32 v[34:35], v[34:35], v[36:37]
	ds_load_b128 v[2:5], v1 offset:1376
	ds_load_b128 v[6:9], v1 offset:1392
	v_fma_f64 v[40:41], v[40:41], v[14:15], v[42:43]
	v_fma_f64 v[14:15], v[38:39], v[14:15], -v[16:17]
	s_wait_loadcnt_dscnt 0x301
	v_mul_f64_e32 v[36:37], v[2:3], v[20:21]
	v_mul_f64_e32 v[20:21], v[4:5], v[20:21]
	s_wait_loadcnt_dscnt 0x200
	v_mul_f64_e32 v[16:17], v[6:7], v[24:25]
	v_mul_f64_e32 v[24:25], v[8:9], v[24:25]
	v_add_f64_e32 v[10:11], v[12:13], v[10:11]
	v_add_f64_e32 v[12:13], v[34:35], v[44:45]
	v_fma_f64 v[34:35], v[4:5], v[18:19], v[36:37]
	v_fma_f64 v[18:19], v[2:3], v[18:19], -v[20:21]
	v_fma_f64 v[8:9], v[8:9], v[22:23], v[16:17]
	v_fma_f64 v[6:7], v[6:7], v[22:23], -v[24:25]
	v_add_f64_e32 v[14:15], v[10:11], v[14:15]
	v_add_f64_e32 v[20:21], v[12:13], v[40:41]
	ds_load_b128 v[2:5], v1 offset:1408
	ds_load_b128 v[10:13], v1 offset:1424
	s_wait_loadcnt_dscnt 0x101
	v_mul_f64_e32 v[36:37], v[2:3], v[28:29]
	v_mul_f64_e32 v[28:29], v[4:5], v[28:29]
	v_add_f64_e32 v[14:15], v[14:15], v[18:19]
	v_add_f64_e32 v[16:17], v[20:21], v[34:35]
	s_wait_loadcnt_dscnt 0x0
	v_mul_f64_e32 v[18:19], v[10:11], v[32:33]
	v_mul_f64_e32 v[20:21], v[12:13], v[32:33]
	v_fma_f64 v[4:5], v[4:5], v[26:27], v[36:37]
	v_fma_f64 v[1:2], v[2:3], v[26:27], -v[28:29]
	v_add_f64_e32 v[6:7], v[14:15], v[6:7]
	v_add_f64_e32 v[8:9], v[16:17], v[8:9]
	v_fma_f64 v[12:13], v[12:13], v[30:31], v[18:19]
	v_fma_f64 v[10:11], v[10:11], v[30:31], -v[20:21]
	s_delay_alu instid0(VALU_DEP_4) | instskip(NEXT) | instid1(VALU_DEP_4)
	v_add_f64_e32 v[1:2], v[6:7], v[1:2]
	v_add_f64_e32 v[3:4], v[8:9], v[4:5]
	s_delay_alu instid0(VALU_DEP_2) | instskip(NEXT) | instid1(VALU_DEP_2)
	v_add_f64_e32 v[1:2], v[1:2], v[10:11]
	v_add_f64_e32 v[3:4], v[3:4], v[12:13]
	s_delay_alu instid0(VALU_DEP_2) | instskip(NEXT) | instid1(VALU_DEP_2)
	v_add_f64_e64 v[1:2], v[137:138], -v[1:2]
	v_add_f64_e64 v[3:4], v[139:140], -v[3:4]
	scratch_store_b128 off, v[1:4], off offset:272
	v_cmpx_lt_u32_e32 15, v0
	s_cbranch_execz .LBB44_253
; %bb.252:
	scratch_load_b128 v[1:4], off, s43
	v_mov_b32_e32 v5, 0
	s_delay_alu instid0(VALU_DEP_1)
	v_dual_mov_b32 v6, v5 :: v_dual_mov_b32 v7, v5
	v_mov_b32_e32 v8, v5
	scratch_store_b128 off, v[5:8], off offset:256
	s_wait_loadcnt 0x0
	ds_store_b128 v136, v[1:4]
.LBB44_253:
	s_wait_alu 0xfffe
	s_or_b32 exec_lo, exec_lo, s0
	s_wait_storecnt_dscnt 0x0
	s_barrier_signal -1
	s_barrier_wait -1
	global_inv scope:SCOPE_SE
	s_clause 0x7
	scratch_load_b128 v[2:5], off, off offset:272
	scratch_load_b128 v[6:9], off, off offset:288
	;; [unrolled: 1-line block ×8, first 2 shown]
	v_mov_b32_e32 v1, 0
	s_mov_b32 s0, exec_lo
	ds_load_b128 v[34:37], v1 offset:976
	s_clause 0x1
	scratch_load_b128 v[38:41], off, off offset:400
	scratch_load_b128 v[42:45], off, off offset:256
	ds_load_b128 v[137:140], v1 offset:992
	scratch_load_b128 v[141:144], off, off offset:416
	s_wait_loadcnt_dscnt 0xa01
	v_mul_f64_e32 v[145:146], v[36:37], v[4:5]
	v_mul_f64_e32 v[4:5], v[34:35], v[4:5]
	s_delay_alu instid0(VALU_DEP_2) | instskip(NEXT) | instid1(VALU_DEP_2)
	v_fma_f64 v[151:152], v[34:35], v[2:3], -v[145:146]
	v_fma_f64 v[153:154], v[36:37], v[2:3], v[4:5]
	ds_load_b128 v[2:5], v1 offset:1008
	s_wait_loadcnt_dscnt 0x901
	v_mul_f64_e32 v[149:150], v[137:138], v[8:9]
	v_mul_f64_e32 v[8:9], v[139:140], v[8:9]
	scratch_load_b128 v[34:37], off, off offset:432
	ds_load_b128 v[145:148], v1 offset:1024
	s_wait_loadcnt_dscnt 0x901
	v_mul_f64_e32 v[155:156], v[2:3], v[12:13]
	v_mul_f64_e32 v[12:13], v[4:5], v[12:13]
	v_fma_f64 v[139:140], v[139:140], v[6:7], v[149:150]
	v_fma_f64 v[137:138], v[137:138], v[6:7], -v[8:9]
	v_add_f64_e32 v[149:150], 0, v[151:152]
	v_add_f64_e32 v[151:152], 0, v[153:154]
	scratch_load_b128 v[6:9], off, off offset:448
	v_fma_f64 v[155:156], v[4:5], v[10:11], v[155:156]
	v_fma_f64 v[157:158], v[2:3], v[10:11], -v[12:13]
	ds_load_b128 v[2:5], v1 offset:1040
	s_wait_loadcnt_dscnt 0x901
	v_mul_f64_e32 v[153:154], v[145:146], v[16:17]
	v_mul_f64_e32 v[16:17], v[147:148], v[16:17]
	scratch_load_b128 v[10:13], off, off offset:464
	v_add_f64_e32 v[149:150], v[149:150], v[137:138]
	v_add_f64_e32 v[151:152], v[151:152], v[139:140]
	s_wait_loadcnt_dscnt 0x900
	v_mul_f64_e32 v[159:160], v[2:3], v[20:21]
	v_mul_f64_e32 v[20:21], v[4:5], v[20:21]
	ds_load_b128 v[137:140], v1 offset:1056
	v_fma_f64 v[147:148], v[147:148], v[14:15], v[153:154]
	v_fma_f64 v[145:146], v[145:146], v[14:15], -v[16:17]
	scratch_load_b128 v[14:17], off, off offset:480
	v_add_f64_e32 v[149:150], v[149:150], v[157:158]
	v_add_f64_e32 v[151:152], v[151:152], v[155:156]
	v_fma_f64 v[155:156], v[4:5], v[18:19], v[159:160]
	v_fma_f64 v[157:158], v[2:3], v[18:19], -v[20:21]
	ds_load_b128 v[2:5], v1 offset:1072
	s_wait_loadcnt_dscnt 0x901
	v_mul_f64_e32 v[153:154], v[137:138], v[24:25]
	v_mul_f64_e32 v[24:25], v[139:140], v[24:25]
	scratch_load_b128 v[18:21], off, off offset:496
	s_wait_loadcnt_dscnt 0x900
	v_mul_f64_e32 v[159:160], v[2:3], v[28:29]
	v_mul_f64_e32 v[28:29], v[4:5], v[28:29]
	v_add_f64_e32 v[149:150], v[149:150], v[145:146]
	v_add_f64_e32 v[151:152], v[151:152], v[147:148]
	ds_load_b128 v[145:148], v1 offset:1088
	v_fma_f64 v[139:140], v[139:140], v[22:23], v[153:154]
	v_fma_f64 v[137:138], v[137:138], v[22:23], -v[24:25]
	scratch_load_b128 v[22:25], off, off offset:512
	v_add_f64_e32 v[149:150], v[149:150], v[157:158]
	v_add_f64_e32 v[151:152], v[151:152], v[155:156]
	v_fma_f64 v[155:156], v[4:5], v[26:27], v[159:160]
	v_fma_f64 v[157:158], v[2:3], v[26:27], -v[28:29]
	ds_load_b128 v[2:5], v1 offset:1104
	s_wait_loadcnt_dscnt 0x901
	v_mul_f64_e32 v[153:154], v[145:146], v[32:33]
	v_mul_f64_e32 v[32:33], v[147:148], v[32:33]
	scratch_load_b128 v[26:29], off, off offset:528
	s_wait_loadcnt_dscnt 0x900
	v_mul_f64_e32 v[159:160], v[2:3], v[40:41]
	v_mul_f64_e32 v[40:41], v[4:5], v[40:41]
	v_add_f64_e32 v[149:150], v[149:150], v[137:138]
	v_add_f64_e32 v[151:152], v[151:152], v[139:140]
	ds_load_b128 v[137:140], v1 offset:1120
	v_fma_f64 v[147:148], v[147:148], v[30:31], v[153:154]
	v_fma_f64 v[145:146], v[145:146], v[30:31], -v[32:33]
	scratch_load_b128 v[30:33], off, off offset:544
	v_add_f64_e32 v[149:150], v[149:150], v[157:158]
	v_add_f64_e32 v[151:152], v[151:152], v[155:156]
	v_fma_f64 v[157:158], v[4:5], v[38:39], v[159:160]
	v_fma_f64 v[159:160], v[2:3], v[38:39], -v[40:41]
	ds_load_b128 v[2:5], v1 offset:1136
	s_wait_loadcnt_dscnt 0x801
	v_mul_f64_e32 v[153:154], v[137:138], v[143:144]
	v_mul_f64_e32 v[155:156], v[139:140], v[143:144]
	scratch_load_b128 v[38:41], off, off offset:560
	v_add_f64_e32 v[149:150], v[149:150], v[145:146]
	v_add_f64_e32 v[147:148], v[151:152], v[147:148]
	ds_load_b128 v[143:146], v1 offset:1152
	v_fma_f64 v[153:154], v[139:140], v[141:142], v[153:154]
	v_fma_f64 v[141:142], v[137:138], v[141:142], -v[155:156]
	scratch_load_b128 v[137:140], off, off offset:576
	s_wait_loadcnt_dscnt 0x901
	v_mul_f64_e32 v[151:152], v[2:3], v[36:37]
	v_mul_f64_e32 v[36:37], v[4:5], v[36:37]
	v_add_f64_e32 v[149:150], v[149:150], v[159:160]
	v_add_f64_e32 v[147:148], v[147:148], v[157:158]
	s_delay_alu instid0(VALU_DEP_4) | instskip(NEXT) | instid1(VALU_DEP_4)
	v_fma_f64 v[151:152], v[4:5], v[34:35], v[151:152]
	v_fma_f64 v[157:158], v[2:3], v[34:35], -v[36:37]
	ds_load_b128 v[2:5], v1 offset:1168
	s_wait_loadcnt_dscnt 0x801
	v_mul_f64_e32 v[155:156], v[143:144], v[8:9]
	v_mul_f64_e32 v[8:9], v[145:146], v[8:9]
	scratch_load_b128 v[34:37], off, off offset:592
	s_wait_loadcnt_dscnt 0x800
	v_mul_f64_e32 v[159:160], v[2:3], v[12:13]
	v_add_f64_e32 v[141:142], v[149:150], v[141:142]
	v_add_f64_e32 v[153:154], v[147:148], v[153:154]
	v_mul_f64_e32 v[12:13], v[4:5], v[12:13]
	ds_load_b128 v[147:150], v1 offset:1184
	v_fma_f64 v[145:146], v[145:146], v[6:7], v[155:156]
	v_fma_f64 v[143:144], v[143:144], v[6:7], -v[8:9]
	scratch_load_b128 v[6:9], off, off offset:608
	v_fma_f64 v[155:156], v[4:5], v[10:11], v[159:160]
	v_add_f64_e32 v[141:142], v[141:142], v[157:158]
	v_add_f64_e32 v[151:152], v[153:154], v[151:152]
	v_fma_f64 v[157:158], v[2:3], v[10:11], -v[12:13]
	ds_load_b128 v[2:5], v1 offset:1200
	s_wait_loadcnt_dscnt 0x801
	v_mul_f64_e32 v[153:154], v[147:148], v[16:17]
	v_mul_f64_e32 v[16:17], v[149:150], v[16:17]
	scratch_load_b128 v[10:13], off, off offset:624
	v_add_f64_e32 v[159:160], v[141:142], v[143:144]
	v_add_f64_e32 v[145:146], v[151:152], v[145:146]
	s_wait_loadcnt_dscnt 0x800
	v_mul_f64_e32 v[151:152], v[2:3], v[20:21]
	v_mul_f64_e32 v[20:21], v[4:5], v[20:21]
	v_fma_f64 v[149:150], v[149:150], v[14:15], v[153:154]
	v_fma_f64 v[147:148], v[147:148], v[14:15], -v[16:17]
	ds_load_b128 v[141:144], v1 offset:1216
	scratch_load_b128 v[14:17], off, off offset:640
	v_add_f64_e32 v[153:154], v[159:160], v[157:158]
	v_add_f64_e32 v[145:146], v[145:146], v[155:156]
	v_fma_f64 v[151:152], v[4:5], v[18:19], v[151:152]
	v_fma_f64 v[157:158], v[2:3], v[18:19], -v[20:21]
	ds_load_b128 v[2:5], v1 offset:1232
	s_wait_loadcnt_dscnt 0x801
	v_mul_f64_e32 v[155:156], v[141:142], v[24:25]
	v_mul_f64_e32 v[24:25], v[143:144], v[24:25]
	scratch_load_b128 v[18:21], off, off offset:656
	s_wait_loadcnt_dscnt 0x800
	v_mul_f64_e32 v[159:160], v[2:3], v[28:29]
	v_mul_f64_e32 v[28:29], v[4:5], v[28:29]
	v_add_f64_e32 v[153:154], v[153:154], v[147:148]
	v_add_f64_e32 v[149:150], v[145:146], v[149:150]
	ds_load_b128 v[145:148], v1 offset:1248
	v_fma_f64 v[143:144], v[143:144], v[22:23], v[155:156]
	v_fma_f64 v[141:142], v[141:142], v[22:23], -v[24:25]
	scratch_load_b128 v[22:25], off, off offset:672
	v_fma_f64 v[155:156], v[4:5], v[26:27], v[159:160]
	v_add_f64_e32 v[153:154], v[153:154], v[157:158]
	v_add_f64_e32 v[149:150], v[149:150], v[151:152]
	v_fma_f64 v[157:158], v[2:3], v[26:27], -v[28:29]
	ds_load_b128 v[2:5], v1 offset:1264
	s_wait_loadcnt_dscnt 0x801
	v_mul_f64_e32 v[151:152], v[145:146], v[32:33]
	v_mul_f64_e32 v[32:33], v[147:148], v[32:33]
	scratch_load_b128 v[26:29], off, off offset:688
	s_wait_loadcnt_dscnt 0x800
	v_mul_f64_e32 v[159:160], v[2:3], v[40:41]
	v_mul_f64_e32 v[40:41], v[4:5], v[40:41]
	v_add_f64_e32 v[153:154], v[153:154], v[141:142]
	v_add_f64_e32 v[149:150], v[149:150], v[143:144]
	ds_load_b128 v[141:144], v1 offset:1280
	v_fma_f64 v[147:148], v[147:148], v[30:31], v[151:152]
	v_fma_f64 v[145:146], v[145:146], v[30:31], -v[32:33]
	scratch_load_b128 v[30:33], off, off offset:704
	v_add_f64_e32 v[151:152], v[153:154], v[157:158]
	v_add_f64_e32 v[149:150], v[149:150], v[155:156]
	v_fma_f64 v[155:156], v[4:5], v[38:39], v[159:160]
	v_fma_f64 v[157:158], v[2:3], v[38:39], -v[40:41]
	ds_load_b128 v[2:5], v1 offset:1296
	s_wait_loadcnt_dscnt 0x801
	v_mul_f64_e32 v[153:154], v[141:142], v[139:140]
	v_mul_f64_e32 v[139:140], v[143:144], v[139:140]
	scratch_load_b128 v[38:41], off, off offset:720
	s_wait_loadcnt_dscnt 0x800
	v_mul_f64_e32 v[159:160], v[2:3], v[36:37]
	v_mul_f64_e32 v[36:37], v[4:5], v[36:37]
	v_add_f64_e32 v[151:152], v[151:152], v[145:146]
	v_add_f64_e32 v[149:150], v[149:150], v[147:148]
	ds_load_b128 v[145:148], v1 offset:1312
	v_fma_f64 v[143:144], v[143:144], v[137:138], v[153:154]
	v_fma_f64 v[137:138], v[141:142], v[137:138], -v[139:140]
	v_fma_f64 v[153:154], v[2:3], v[34:35], -v[36:37]
	v_add_f64_e32 v[139:140], v[151:152], v[157:158]
	v_add_f64_e32 v[141:142], v[149:150], v[155:156]
	s_wait_loadcnt_dscnt 0x700
	v_mul_f64_e32 v[149:150], v[145:146], v[8:9]
	v_mul_f64_e32 v[8:9], v[147:148], v[8:9]
	v_fma_f64 v[151:152], v[4:5], v[34:35], v[159:160]
	ds_load_b128 v[2:5], v1 offset:1328
	ds_load_b128 v[34:37], v1 offset:1344
	v_add_f64_e32 v[137:138], v[139:140], v[137:138]
	v_add_f64_e32 v[139:140], v[141:142], v[143:144]
	s_wait_loadcnt_dscnt 0x601
	v_mul_f64_e32 v[141:142], v[2:3], v[12:13]
	v_mul_f64_e32 v[12:13], v[4:5], v[12:13]
	v_fma_f64 v[143:144], v[147:148], v[6:7], v[149:150]
	v_fma_f64 v[6:7], v[145:146], v[6:7], -v[8:9]
	v_add_f64_e32 v[8:9], v[137:138], v[153:154]
	v_add_f64_e32 v[137:138], v[139:140], v[151:152]
	s_wait_loadcnt_dscnt 0x500
	v_mul_f64_e32 v[139:140], v[34:35], v[16:17]
	v_mul_f64_e32 v[16:17], v[36:37], v[16:17]
	v_fma_f64 v[141:142], v[4:5], v[10:11], v[141:142]
	v_fma_f64 v[10:11], v[2:3], v[10:11], -v[12:13]
	v_add_f64_e32 v[12:13], v[8:9], v[6:7]
	v_add_f64_e32 v[137:138], v[137:138], v[143:144]
	ds_load_b128 v[2:5], v1 offset:1360
	ds_load_b128 v[6:9], v1 offset:1376
	v_fma_f64 v[36:37], v[36:37], v[14:15], v[139:140]
	v_fma_f64 v[14:15], v[34:35], v[14:15], -v[16:17]
	s_wait_loadcnt_dscnt 0x401
	v_mul_f64_e32 v[143:144], v[2:3], v[20:21]
	v_mul_f64_e32 v[20:21], v[4:5], v[20:21]
	s_wait_loadcnt_dscnt 0x300
	v_mul_f64_e32 v[16:17], v[6:7], v[24:25]
	v_mul_f64_e32 v[24:25], v[8:9], v[24:25]
	v_add_f64_e32 v[10:11], v[12:13], v[10:11]
	v_add_f64_e32 v[12:13], v[137:138], v[141:142]
	v_fma_f64 v[34:35], v[4:5], v[18:19], v[143:144]
	v_fma_f64 v[18:19], v[2:3], v[18:19], -v[20:21]
	v_fma_f64 v[8:9], v[8:9], v[22:23], v[16:17]
	v_fma_f64 v[6:7], v[6:7], v[22:23], -v[24:25]
	v_add_f64_e32 v[14:15], v[10:11], v[14:15]
	v_add_f64_e32 v[20:21], v[12:13], v[36:37]
	ds_load_b128 v[2:5], v1 offset:1392
	ds_load_b128 v[10:13], v1 offset:1408
	s_wait_loadcnt_dscnt 0x201
	v_mul_f64_e32 v[36:37], v[2:3], v[28:29]
	v_mul_f64_e32 v[28:29], v[4:5], v[28:29]
	v_add_f64_e32 v[14:15], v[14:15], v[18:19]
	v_add_f64_e32 v[16:17], v[20:21], v[34:35]
	s_wait_loadcnt_dscnt 0x100
	v_mul_f64_e32 v[18:19], v[10:11], v[32:33]
	v_mul_f64_e32 v[20:21], v[12:13], v[32:33]
	v_fma_f64 v[22:23], v[4:5], v[26:27], v[36:37]
	v_fma_f64 v[24:25], v[2:3], v[26:27], -v[28:29]
	ds_load_b128 v[2:5], v1 offset:1424
	v_add_f64_e32 v[6:7], v[14:15], v[6:7]
	v_add_f64_e32 v[8:9], v[16:17], v[8:9]
	v_fma_f64 v[12:13], v[12:13], v[30:31], v[18:19]
	v_fma_f64 v[10:11], v[10:11], v[30:31], -v[20:21]
	s_wait_loadcnt_dscnt 0x0
	v_mul_f64_e32 v[14:15], v[2:3], v[40:41]
	v_mul_f64_e32 v[16:17], v[4:5], v[40:41]
	v_add_f64_e32 v[6:7], v[6:7], v[24:25]
	v_add_f64_e32 v[8:9], v[8:9], v[22:23]
	s_delay_alu instid0(VALU_DEP_4) | instskip(NEXT) | instid1(VALU_DEP_4)
	v_fma_f64 v[4:5], v[4:5], v[38:39], v[14:15]
	v_fma_f64 v[2:3], v[2:3], v[38:39], -v[16:17]
	s_delay_alu instid0(VALU_DEP_4) | instskip(NEXT) | instid1(VALU_DEP_4)
	v_add_f64_e32 v[6:7], v[6:7], v[10:11]
	v_add_f64_e32 v[8:9], v[8:9], v[12:13]
	s_delay_alu instid0(VALU_DEP_2) | instskip(NEXT) | instid1(VALU_DEP_2)
	v_add_f64_e32 v[2:3], v[6:7], v[2:3]
	v_add_f64_e32 v[4:5], v[8:9], v[4:5]
	s_delay_alu instid0(VALU_DEP_2) | instskip(NEXT) | instid1(VALU_DEP_2)
	v_add_f64_e64 v[2:3], v[42:43], -v[2:3]
	v_add_f64_e64 v[4:5], v[44:45], -v[4:5]
	scratch_store_b128 off, v[2:5], off offset:256
	v_cmpx_lt_u32_e32 14, v0
	s_cbranch_execz .LBB44_255
; %bb.254:
	scratch_load_b128 v[5:8], off, s44
	v_dual_mov_b32 v2, v1 :: v_dual_mov_b32 v3, v1
	v_mov_b32_e32 v4, v1
	scratch_store_b128 off, v[1:4], off offset:240
	s_wait_loadcnt 0x0
	ds_store_b128 v136, v[5:8]
.LBB44_255:
	s_wait_alu 0xfffe
	s_or_b32 exec_lo, exec_lo, s0
	s_wait_storecnt_dscnt 0x0
	s_barrier_signal -1
	s_barrier_wait -1
	global_inv scope:SCOPE_SE
	s_clause 0x8
	scratch_load_b128 v[2:5], off, off offset:256
	scratch_load_b128 v[6:9], off, off offset:272
	;; [unrolled: 1-line block ×9, first 2 shown]
	ds_load_b128 v[38:41], v1 offset:960
	ds_load_b128 v[42:45], v1 offset:976
	s_clause 0x1
	scratch_load_b128 v[137:140], off, off offset:240
	scratch_load_b128 v[141:144], off, off offset:400
	s_mov_b32 s0, exec_lo
	s_wait_loadcnt_dscnt 0xa01
	v_mul_f64_e32 v[145:146], v[40:41], v[4:5]
	v_mul_f64_e32 v[4:5], v[38:39], v[4:5]
	s_wait_loadcnt_dscnt 0x900
	v_mul_f64_e32 v[149:150], v[42:43], v[8:9]
	v_mul_f64_e32 v[8:9], v[44:45], v[8:9]
	s_delay_alu instid0(VALU_DEP_4) | instskip(NEXT) | instid1(VALU_DEP_4)
	v_fma_f64 v[151:152], v[38:39], v[2:3], -v[145:146]
	v_fma_f64 v[153:154], v[40:41], v[2:3], v[4:5]
	ds_load_b128 v[2:5], v1 offset:992
	ds_load_b128 v[145:148], v1 offset:1008
	scratch_load_b128 v[38:41], off, off offset:416
	v_fma_f64 v[44:45], v[44:45], v[6:7], v[149:150]
	v_fma_f64 v[42:43], v[42:43], v[6:7], -v[8:9]
	scratch_load_b128 v[6:9], off, off offset:432
	s_wait_loadcnt_dscnt 0xa01
	v_mul_f64_e32 v[155:156], v[2:3], v[12:13]
	v_mul_f64_e32 v[12:13], v[4:5], v[12:13]
	v_add_f64_e32 v[149:150], 0, v[151:152]
	v_add_f64_e32 v[151:152], 0, v[153:154]
	s_wait_loadcnt_dscnt 0x900
	v_mul_f64_e32 v[153:154], v[145:146], v[16:17]
	v_mul_f64_e32 v[16:17], v[147:148], v[16:17]
	v_fma_f64 v[155:156], v[4:5], v[10:11], v[155:156]
	v_fma_f64 v[157:158], v[2:3], v[10:11], -v[12:13]
	ds_load_b128 v[2:5], v1 offset:1024
	scratch_load_b128 v[10:13], off, off offset:448
	v_add_f64_e32 v[149:150], v[149:150], v[42:43]
	v_add_f64_e32 v[151:152], v[151:152], v[44:45]
	ds_load_b128 v[42:45], v1 offset:1040
	v_fma_f64 v[147:148], v[147:148], v[14:15], v[153:154]
	v_fma_f64 v[145:146], v[145:146], v[14:15], -v[16:17]
	scratch_load_b128 v[14:17], off, off offset:464
	s_wait_loadcnt_dscnt 0xa01
	v_mul_f64_e32 v[159:160], v[2:3], v[20:21]
	v_mul_f64_e32 v[20:21], v[4:5], v[20:21]
	s_wait_loadcnt_dscnt 0x900
	v_mul_f64_e32 v[153:154], v[42:43], v[24:25]
	v_mul_f64_e32 v[24:25], v[44:45], v[24:25]
	v_add_f64_e32 v[149:150], v[149:150], v[157:158]
	v_add_f64_e32 v[151:152], v[151:152], v[155:156]
	v_fma_f64 v[155:156], v[4:5], v[18:19], v[159:160]
	v_fma_f64 v[157:158], v[2:3], v[18:19], -v[20:21]
	ds_load_b128 v[2:5], v1 offset:1056
	scratch_load_b128 v[18:21], off, off offset:480
	v_fma_f64 v[44:45], v[44:45], v[22:23], v[153:154]
	v_fma_f64 v[42:43], v[42:43], v[22:23], -v[24:25]
	scratch_load_b128 v[22:25], off, off offset:496
	v_add_f64_e32 v[149:150], v[149:150], v[145:146]
	v_add_f64_e32 v[151:152], v[151:152], v[147:148]
	ds_load_b128 v[145:148], v1 offset:1072
	s_wait_loadcnt_dscnt 0xa01
	v_mul_f64_e32 v[159:160], v[2:3], v[28:29]
	v_mul_f64_e32 v[28:29], v[4:5], v[28:29]
	s_wait_loadcnt_dscnt 0x900
	v_mul_f64_e32 v[153:154], v[145:146], v[32:33]
	v_mul_f64_e32 v[32:33], v[147:148], v[32:33]
	v_add_f64_e32 v[149:150], v[149:150], v[157:158]
	v_add_f64_e32 v[151:152], v[151:152], v[155:156]
	v_fma_f64 v[155:156], v[4:5], v[26:27], v[159:160]
	v_fma_f64 v[157:158], v[2:3], v[26:27], -v[28:29]
	ds_load_b128 v[2:5], v1 offset:1088
	scratch_load_b128 v[26:29], off, off offset:512
	v_fma_f64 v[147:148], v[147:148], v[30:31], v[153:154]
	v_fma_f64 v[145:146], v[145:146], v[30:31], -v[32:33]
	scratch_load_b128 v[30:33], off, off offset:528
	v_add_f64_e32 v[149:150], v[149:150], v[42:43]
	v_add_f64_e32 v[151:152], v[151:152], v[44:45]
	ds_load_b128 v[42:45], v1 offset:1104
	s_wait_loadcnt_dscnt 0xa01
	v_mul_f64_e32 v[159:160], v[2:3], v[36:37]
	v_mul_f64_e32 v[36:37], v[4:5], v[36:37]
	s_wait_loadcnt_dscnt 0x800
	v_mul_f64_e32 v[153:154], v[42:43], v[143:144]
	v_add_f64_e32 v[149:150], v[149:150], v[157:158]
	v_add_f64_e32 v[151:152], v[151:152], v[155:156]
	v_mul_f64_e32 v[155:156], v[44:45], v[143:144]
	v_fma_f64 v[157:158], v[4:5], v[34:35], v[159:160]
	v_fma_f64 v[159:160], v[2:3], v[34:35], -v[36:37]
	ds_load_b128 v[2:5], v1 offset:1120
	scratch_load_b128 v[34:37], off, off offset:544
	v_fma_f64 v[44:45], v[44:45], v[141:142], v[153:154]
	v_add_f64_e32 v[149:150], v[149:150], v[145:146]
	v_add_f64_e32 v[147:148], v[151:152], v[147:148]
	ds_load_b128 v[143:146], v1 offset:1136
	v_fma_f64 v[141:142], v[42:43], v[141:142], -v[155:156]
	s_wait_loadcnt_dscnt 0x801
	v_mul_f64_e32 v[151:152], v[2:3], v[40:41]
	v_mul_f64_e32 v[161:162], v[4:5], v[40:41]
	scratch_load_b128 v[40:43], off, off offset:560
	s_wait_loadcnt_dscnt 0x800
	v_mul_f64_e32 v[155:156], v[143:144], v[8:9]
	v_mul_f64_e32 v[8:9], v[145:146], v[8:9]
	v_add_f64_e32 v[149:150], v[149:150], v[159:160]
	v_add_f64_e32 v[147:148], v[147:148], v[157:158]
	v_fma_f64 v[157:158], v[4:5], v[38:39], v[151:152]
	v_fma_f64 v[38:39], v[2:3], v[38:39], -v[161:162]
	ds_load_b128 v[2:5], v1 offset:1152
	ds_load_b128 v[151:154], v1 offset:1168
	v_fma_f64 v[145:146], v[145:146], v[6:7], v[155:156]
	v_fma_f64 v[143:144], v[143:144], v[6:7], -v[8:9]
	scratch_load_b128 v[6:9], off, off offset:592
	v_add_f64_e32 v[141:142], v[149:150], v[141:142]
	v_add_f64_e32 v[44:45], v[147:148], v[44:45]
	scratch_load_b128 v[147:150], off, off offset:576
	s_wait_loadcnt_dscnt 0x901
	v_mul_f64_e32 v[159:160], v[2:3], v[12:13]
	v_mul_f64_e32 v[12:13], v[4:5], v[12:13]
	s_wait_loadcnt_dscnt 0x800
	v_mul_f64_e32 v[155:156], v[151:152], v[16:17]
	v_mul_f64_e32 v[16:17], v[153:154], v[16:17]
	v_add_f64_e32 v[38:39], v[141:142], v[38:39]
	v_add_f64_e32 v[44:45], v[44:45], v[157:158]
	v_fma_f64 v[157:158], v[4:5], v[10:11], v[159:160]
	v_fma_f64 v[159:160], v[2:3], v[10:11], -v[12:13]
	ds_load_b128 v[2:5], v1 offset:1184
	scratch_load_b128 v[10:13], off, off offset:608
	v_fma_f64 v[153:154], v[153:154], v[14:15], v[155:156]
	v_fma_f64 v[151:152], v[151:152], v[14:15], -v[16:17]
	scratch_load_b128 v[14:17], off, off offset:624
	v_add_f64_e32 v[38:39], v[38:39], v[143:144]
	v_add_f64_e32 v[44:45], v[44:45], v[145:146]
	ds_load_b128 v[141:144], v1 offset:1200
	s_wait_loadcnt_dscnt 0x901
	v_mul_f64_e32 v[145:146], v[2:3], v[20:21]
	v_mul_f64_e32 v[20:21], v[4:5], v[20:21]
	s_wait_loadcnt_dscnt 0x800
	v_mul_f64_e32 v[155:156], v[141:142], v[24:25]
	v_mul_f64_e32 v[24:25], v[143:144], v[24:25]
	v_add_f64_e32 v[38:39], v[38:39], v[159:160]
	v_add_f64_e32 v[44:45], v[44:45], v[157:158]
	v_fma_f64 v[145:146], v[4:5], v[18:19], v[145:146]
	v_fma_f64 v[157:158], v[2:3], v[18:19], -v[20:21]
	ds_load_b128 v[2:5], v1 offset:1216
	scratch_load_b128 v[18:21], off, off offset:640
	v_fma_f64 v[143:144], v[143:144], v[22:23], v[155:156]
	v_fma_f64 v[141:142], v[141:142], v[22:23], -v[24:25]
	scratch_load_b128 v[22:25], off, off offset:656
	v_add_f64_e32 v[38:39], v[38:39], v[151:152]
	v_add_f64_e32 v[44:45], v[44:45], v[153:154]
	ds_load_b128 v[151:154], v1 offset:1232
	s_wait_loadcnt_dscnt 0x901
	v_mul_f64_e32 v[159:160], v[2:3], v[28:29]
	v_mul_f64_e32 v[28:29], v[4:5], v[28:29]
	v_add_f64_e32 v[38:39], v[38:39], v[157:158]
	v_add_f64_e32 v[44:45], v[44:45], v[145:146]
	s_wait_loadcnt_dscnt 0x800
	v_mul_f64_e32 v[145:146], v[151:152], v[32:33]
	v_mul_f64_e32 v[32:33], v[153:154], v[32:33]
	v_fma_f64 v[155:156], v[4:5], v[26:27], v[159:160]
	v_fma_f64 v[157:158], v[2:3], v[26:27], -v[28:29]
	ds_load_b128 v[2:5], v1 offset:1248
	scratch_load_b128 v[26:29], off, off offset:672
	v_add_f64_e32 v[38:39], v[38:39], v[141:142]
	v_add_f64_e32 v[44:45], v[44:45], v[143:144]
	ds_load_b128 v[141:144], v1 offset:1264
	s_wait_loadcnt_dscnt 0x801
	v_mul_f64_e32 v[159:160], v[2:3], v[36:37]
	v_mul_f64_e32 v[36:37], v[4:5], v[36:37]
	v_fma_f64 v[145:146], v[153:154], v[30:31], v[145:146]
	v_fma_f64 v[151:152], v[151:152], v[30:31], -v[32:33]
	scratch_load_b128 v[30:33], off, off offset:688
	s_wait_loadcnt_dscnt 0x800
	v_mul_f64_e32 v[153:154], v[141:142], v[42:43]
	v_add_f64_e32 v[38:39], v[38:39], v[157:158]
	v_add_f64_e32 v[44:45], v[44:45], v[155:156]
	v_mul_f64_e32 v[155:156], v[143:144], v[42:43]
	v_fma_f64 v[157:158], v[4:5], v[34:35], v[159:160]
	v_fma_f64 v[159:160], v[2:3], v[34:35], -v[36:37]
	ds_load_b128 v[2:5], v1 offset:1280
	scratch_load_b128 v[34:37], off, off offset:704
	v_fma_f64 v[143:144], v[143:144], v[40:41], v[153:154]
	v_add_f64_e32 v[38:39], v[38:39], v[151:152]
	v_add_f64_e32 v[145:146], v[44:45], v[145:146]
	ds_load_b128 v[42:45], v1 offset:1296
	v_fma_f64 v[141:142], v[141:142], v[40:41], -v[155:156]
	s_wait_loadcnt_dscnt 0x701
	v_mul_f64_e32 v[151:152], v[2:3], v[149:150]
	v_mul_f64_e32 v[149:150], v[4:5], v[149:150]
	s_wait_dscnt 0x0
	v_mul_f64_e32 v[155:156], v[42:43], v[8:9]
	v_mul_f64_e32 v[8:9], v[44:45], v[8:9]
	v_add_f64_e32 v[153:154], v[38:39], v[159:160]
	v_add_f64_e32 v[145:146], v[145:146], v[157:158]
	scratch_load_b128 v[38:41], off, off offset:720
	v_fma_f64 v[151:152], v[4:5], v[147:148], v[151:152]
	v_fma_f64 v[147:148], v[2:3], v[147:148], -v[149:150]
	v_fma_f64 v[44:45], v[44:45], v[6:7], v[155:156]
	v_fma_f64 v[6:7], v[42:43], v[6:7], -v[8:9]
	v_add_f64_e32 v[149:150], v[153:154], v[141:142]
	v_add_f64_e32 v[145:146], v[145:146], v[143:144]
	ds_load_b128 v[2:5], v1 offset:1312
	ds_load_b128 v[141:144], v1 offset:1328
	s_wait_loadcnt_dscnt 0x701
	v_mul_f64_e32 v[153:154], v[2:3], v[12:13]
	v_mul_f64_e32 v[12:13], v[4:5], v[12:13]
	v_add_f64_e32 v[8:9], v[149:150], v[147:148]
	v_add_f64_e32 v[42:43], v[145:146], v[151:152]
	s_wait_loadcnt_dscnt 0x600
	v_mul_f64_e32 v[145:146], v[141:142], v[16:17]
	v_mul_f64_e32 v[16:17], v[143:144], v[16:17]
	v_fma_f64 v[147:148], v[4:5], v[10:11], v[153:154]
	v_fma_f64 v[10:11], v[2:3], v[10:11], -v[12:13]
	v_add_f64_e32 v[12:13], v[8:9], v[6:7]
	v_add_f64_e32 v[42:43], v[42:43], v[44:45]
	ds_load_b128 v[2:5], v1 offset:1344
	ds_load_b128 v[6:9], v1 offset:1360
	v_fma_f64 v[143:144], v[143:144], v[14:15], v[145:146]
	v_fma_f64 v[14:15], v[141:142], v[14:15], -v[16:17]
	s_wait_loadcnt_dscnt 0x501
	v_mul_f64_e32 v[44:45], v[2:3], v[20:21]
	v_mul_f64_e32 v[20:21], v[4:5], v[20:21]
	s_wait_loadcnt_dscnt 0x400
	v_mul_f64_e32 v[16:17], v[6:7], v[24:25]
	v_mul_f64_e32 v[24:25], v[8:9], v[24:25]
	v_add_f64_e32 v[10:11], v[12:13], v[10:11]
	v_add_f64_e32 v[12:13], v[42:43], v[147:148]
	v_fma_f64 v[42:43], v[4:5], v[18:19], v[44:45]
	v_fma_f64 v[18:19], v[2:3], v[18:19], -v[20:21]
	v_fma_f64 v[8:9], v[8:9], v[22:23], v[16:17]
	v_fma_f64 v[6:7], v[6:7], v[22:23], -v[24:25]
	v_add_f64_e32 v[14:15], v[10:11], v[14:15]
	v_add_f64_e32 v[20:21], v[12:13], v[143:144]
	ds_load_b128 v[2:5], v1 offset:1376
	ds_load_b128 v[10:13], v1 offset:1392
	s_wait_loadcnt_dscnt 0x301
	v_mul_f64_e32 v[44:45], v[2:3], v[28:29]
	v_mul_f64_e32 v[28:29], v[4:5], v[28:29]
	v_add_f64_e32 v[14:15], v[14:15], v[18:19]
	v_add_f64_e32 v[16:17], v[20:21], v[42:43]
	s_wait_loadcnt_dscnt 0x200
	v_mul_f64_e32 v[18:19], v[10:11], v[32:33]
	v_mul_f64_e32 v[20:21], v[12:13], v[32:33]
	v_fma_f64 v[22:23], v[4:5], v[26:27], v[44:45]
	v_fma_f64 v[24:25], v[2:3], v[26:27], -v[28:29]
	v_add_f64_e32 v[14:15], v[14:15], v[6:7]
	v_add_f64_e32 v[16:17], v[16:17], v[8:9]
	ds_load_b128 v[2:5], v1 offset:1408
	ds_load_b128 v[6:9], v1 offset:1424
	v_fma_f64 v[12:13], v[12:13], v[30:31], v[18:19]
	v_fma_f64 v[10:11], v[10:11], v[30:31], -v[20:21]
	s_wait_loadcnt_dscnt 0x101
	v_mul_f64_e32 v[26:27], v[2:3], v[36:37]
	v_mul_f64_e32 v[28:29], v[4:5], v[36:37]
	v_add_f64_e32 v[14:15], v[14:15], v[24:25]
	v_add_f64_e32 v[16:17], v[16:17], v[22:23]
	s_wait_loadcnt_dscnt 0x0
	v_mul_f64_e32 v[18:19], v[6:7], v[40:41]
	v_mul_f64_e32 v[20:21], v[8:9], v[40:41]
	v_fma_f64 v[4:5], v[4:5], v[34:35], v[26:27]
	v_fma_f64 v[1:2], v[2:3], v[34:35], -v[28:29]
	v_add_f64_e32 v[10:11], v[14:15], v[10:11]
	v_add_f64_e32 v[12:13], v[16:17], v[12:13]
	v_fma_f64 v[8:9], v[8:9], v[38:39], v[18:19]
	v_fma_f64 v[6:7], v[6:7], v[38:39], -v[20:21]
	s_delay_alu instid0(VALU_DEP_4) | instskip(NEXT) | instid1(VALU_DEP_4)
	v_add_f64_e32 v[1:2], v[10:11], v[1:2]
	v_add_f64_e32 v[3:4], v[12:13], v[4:5]
	s_delay_alu instid0(VALU_DEP_2) | instskip(NEXT) | instid1(VALU_DEP_2)
	v_add_f64_e32 v[1:2], v[1:2], v[6:7]
	v_add_f64_e32 v[3:4], v[3:4], v[8:9]
	s_delay_alu instid0(VALU_DEP_2) | instskip(NEXT) | instid1(VALU_DEP_2)
	v_add_f64_e64 v[1:2], v[137:138], -v[1:2]
	v_add_f64_e64 v[3:4], v[139:140], -v[3:4]
	scratch_store_b128 off, v[1:4], off offset:240
	v_cmpx_lt_u32_e32 13, v0
	s_cbranch_execz .LBB44_257
; %bb.256:
	scratch_load_b128 v[1:4], off, s45
	v_mov_b32_e32 v5, 0
	s_delay_alu instid0(VALU_DEP_1)
	v_dual_mov_b32 v6, v5 :: v_dual_mov_b32 v7, v5
	v_mov_b32_e32 v8, v5
	scratch_store_b128 off, v[5:8], off offset:224
	s_wait_loadcnt 0x0
	ds_store_b128 v136, v[1:4]
.LBB44_257:
	s_wait_alu 0xfffe
	s_or_b32 exec_lo, exec_lo, s0
	s_wait_storecnt_dscnt 0x0
	s_barrier_signal -1
	s_barrier_wait -1
	global_inv scope:SCOPE_SE
	s_clause 0x7
	scratch_load_b128 v[2:5], off, off offset:240
	scratch_load_b128 v[6:9], off, off offset:256
	;; [unrolled: 1-line block ×8, first 2 shown]
	v_mov_b32_e32 v1, 0
	s_mov_b32 s0, exec_lo
	ds_load_b128 v[34:37], v1 offset:944
	s_clause 0x1
	scratch_load_b128 v[38:41], off, off offset:368
	scratch_load_b128 v[42:45], off, off offset:224
	ds_load_b128 v[137:140], v1 offset:960
	scratch_load_b128 v[141:144], off, off offset:384
	s_wait_loadcnt_dscnt 0xa01
	v_mul_f64_e32 v[145:146], v[36:37], v[4:5]
	v_mul_f64_e32 v[4:5], v[34:35], v[4:5]
	s_delay_alu instid0(VALU_DEP_2) | instskip(NEXT) | instid1(VALU_DEP_2)
	v_fma_f64 v[151:152], v[34:35], v[2:3], -v[145:146]
	v_fma_f64 v[153:154], v[36:37], v[2:3], v[4:5]
	ds_load_b128 v[2:5], v1 offset:976
	s_wait_loadcnt_dscnt 0x901
	v_mul_f64_e32 v[149:150], v[137:138], v[8:9]
	v_mul_f64_e32 v[8:9], v[139:140], v[8:9]
	scratch_load_b128 v[34:37], off, off offset:400
	ds_load_b128 v[145:148], v1 offset:992
	s_wait_loadcnt_dscnt 0x901
	v_mul_f64_e32 v[155:156], v[2:3], v[12:13]
	v_mul_f64_e32 v[12:13], v[4:5], v[12:13]
	v_fma_f64 v[139:140], v[139:140], v[6:7], v[149:150]
	v_fma_f64 v[137:138], v[137:138], v[6:7], -v[8:9]
	v_add_f64_e32 v[149:150], 0, v[151:152]
	v_add_f64_e32 v[151:152], 0, v[153:154]
	scratch_load_b128 v[6:9], off, off offset:416
	v_fma_f64 v[155:156], v[4:5], v[10:11], v[155:156]
	v_fma_f64 v[157:158], v[2:3], v[10:11], -v[12:13]
	ds_load_b128 v[2:5], v1 offset:1008
	s_wait_loadcnt_dscnt 0x901
	v_mul_f64_e32 v[153:154], v[145:146], v[16:17]
	v_mul_f64_e32 v[16:17], v[147:148], v[16:17]
	scratch_load_b128 v[10:13], off, off offset:432
	v_add_f64_e32 v[149:150], v[149:150], v[137:138]
	v_add_f64_e32 v[151:152], v[151:152], v[139:140]
	s_wait_loadcnt_dscnt 0x900
	v_mul_f64_e32 v[159:160], v[2:3], v[20:21]
	v_mul_f64_e32 v[20:21], v[4:5], v[20:21]
	ds_load_b128 v[137:140], v1 offset:1024
	v_fma_f64 v[147:148], v[147:148], v[14:15], v[153:154]
	v_fma_f64 v[145:146], v[145:146], v[14:15], -v[16:17]
	scratch_load_b128 v[14:17], off, off offset:448
	v_add_f64_e32 v[149:150], v[149:150], v[157:158]
	v_add_f64_e32 v[151:152], v[151:152], v[155:156]
	v_fma_f64 v[155:156], v[4:5], v[18:19], v[159:160]
	v_fma_f64 v[157:158], v[2:3], v[18:19], -v[20:21]
	ds_load_b128 v[2:5], v1 offset:1040
	s_wait_loadcnt_dscnt 0x901
	v_mul_f64_e32 v[153:154], v[137:138], v[24:25]
	v_mul_f64_e32 v[24:25], v[139:140], v[24:25]
	scratch_load_b128 v[18:21], off, off offset:464
	s_wait_loadcnt_dscnt 0x900
	v_mul_f64_e32 v[159:160], v[2:3], v[28:29]
	v_mul_f64_e32 v[28:29], v[4:5], v[28:29]
	v_add_f64_e32 v[149:150], v[149:150], v[145:146]
	v_add_f64_e32 v[151:152], v[151:152], v[147:148]
	ds_load_b128 v[145:148], v1 offset:1056
	v_fma_f64 v[139:140], v[139:140], v[22:23], v[153:154]
	v_fma_f64 v[137:138], v[137:138], v[22:23], -v[24:25]
	scratch_load_b128 v[22:25], off, off offset:480
	v_add_f64_e32 v[149:150], v[149:150], v[157:158]
	v_add_f64_e32 v[151:152], v[151:152], v[155:156]
	v_fma_f64 v[155:156], v[4:5], v[26:27], v[159:160]
	v_fma_f64 v[157:158], v[2:3], v[26:27], -v[28:29]
	ds_load_b128 v[2:5], v1 offset:1072
	s_wait_loadcnt_dscnt 0x901
	v_mul_f64_e32 v[153:154], v[145:146], v[32:33]
	v_mul_f64_e32 v[32:33], v[147:148], v[32:33]
	scratch_load_b128 v[26:29], off, off offset:496
	s_wait_loadcnt_dscnt 0x900
	v_mul_f64_e32 v[159:160], v[2:3], v[40:41]
	v_mul_f64_e32 v[40:41], v[4:5], v[40:41]
	v_add_f64_e32 v[149:150], v[149:150], v[137:138]
	v_add_f64_e32 v[151:152], v[151:152], v[139:140]
	ds_load_b128 v[137:140], v1 offset:1088
	v_fma_f64 v[147:148], v[147:148], v[30:31], v[153:154]
	v_fma_f64 v[145:146], v[145:146], v[30:31], -v[32:33]
	scratch_load_b128 v[30:33], off, off offset:512
	v_add_f64_e32 v[149:150], v[149:150], v[157:158]
	v_add_f64_e32 v[151:152], v[151:152], v[155:156]
	v_fma_f64 v[157:158], v[4:5], v[38:39], v[159:160]
	v_fma_f64 v[159:160], v[2:3], v[38:39], -v[40:41]
	ds_load_b128 v[2:5], v1 offset:1104
	s_wait_loadcnt_dscnt 0x801
	v_mul_f64_e32 v[153:154], v[137:138], v[143:144]
	v_mul_f64_e32 v[155:156], v[139:140], v[143:144]
	scratch_load_b128 v[38:41], off, off offset:528
	v_add_f64_e32 v[149:150], v[149:150], v[145:146]
	v_add_f64_e32 v[147:148], v[151:152], v[147:148]
	ds_load_b128 v[143:146], v1 offset:1120
	v_fma_f64 v[153:154], v[139:140], v[141:142], v[153:154]
	v_fma_f64 v[141:142], v[137:138], v[141:142], -v[155:156]
	scratch_load_b128 v[137:140], off, off offset:544
	s_wait_loadcnt_dscnt 0x901
	v_mul_f64_e32 v[151:152], v[2:3], v[36:37]
	v_mul_f64_e32 v[36:37], v[4:5], v[36:37]
	v_add_f64_e32 v[149:150], v[149:150], v[159:160]
	v_add_f64_e32 v[147:148], v[147:148], v[157:158]
	s_delay_alu instid0(VALU_DEP_4) | instskip(NEXT) | instid1(VALU_DEP_4)
	v_fma_f64 v[151:152], v[4:5], v[34:35], v[151:152]
	v_fma_f64 v[157:158], v[2:3], v[34:35], -v[36:37]
	ds_load_b128 v[2:5], v1 offset:1136
	s_wait_loadcnt_dscnt 0x801
	v_mul_f64_e32 v[155:156], v[143:144], v[8:9]
	v_mul_f64_e32 v[8:9], v[145:146], v[8:9]
	scratch_load_b128 v[34:37], off, off offset:560
	s_wait_loadcnt_dscnt 0x800
	v_mul_f64_e32 v[159:160], v[2:3], v[12:13]
	v_add_f64_e32 v[141:142], v[149:150], v[141:142]
	v_add_f64_e32 v[153:154], v[147:148], v[153:154]
	v_mul_f64_e32 v[12:13], v[4:5], v[12:13]
	ds_load_b128 v[147:150], v1 offset:1152
	v_fma_f64 v[145:146], v[145:146], v[6:7], v[155:156]
	v_fma_f64 v[143:144], v[143:144], v[6:7], -v[8:9]
	scratch_load_b128 v[6:9], off, off offset:576
	v_fma_f64 v[155:156], v[4:5], v[10:11], v[159:160]
	v_add_f64_e32 v[141:142], v[141:142], v[157:158]
	v_add_f64_e32 v[151:152], v[153:154], v[151:152]
	v_fma_f64 v[157:158], v[2:3], v[10:11], -v[12:13]
	ds_load_b128 v[2:5], v1 offset:1168
	s_wait_loadcnt_dscnt 0x801
	v_mul_f64_e32 v[153:154], v[147:148], v[16:17]
	v_mul_f64_e32 v[16:17], v[149:150], v[16:17]
	scratch_load_b128 v[10:13], off, off offset:592
	v_add_f64_e32 v[159:160], v[141:142], v[143:144]
	v_add_f64_e32 v[145:146], v[151:152], v[145:146]
	s_wait_loadcnt_dscnt 0x800
	v_mul_f64_e32 v[151:152], v[2:3], v[20:21]
	v_mul_f64_e32 v[20:21], v[4:5], v[20:21]
	v_fma_f64 v[149:150], v[149:150], v[14:15], v[153:154]
	v_fma_f64 v[147:148], v[147:148], v[14:15], -v[16:17]
	ds_load_b128 v[141:144], v1 offset:1184
	scratch_load_b128 v[14:17], off, off offset:608
	v_add_f64_e32 v[153:154], v[159:160], v[157:158]
	v_add_f64_e32 v[145:146], v[145:146], v[155:156]
	v_fma_f64 v[151:152], v[4:5], v[18:19], v[151:152]
	v_fma_f64 v[157:158], v[2:3], v[18:19], -v[20:21]
	ds_load_b128 v[2:5], v1 offset:1200
	s_wait_loadcnt_dscnt 0x801
	v_mul_f64_e32 v[155:156], v[141:142], v[24:25]
	v_mul_f64_e32 v[24:25], v[143:144], v[24:25]
	scratch_load_b128 v[18:21], off, off offset:624
	s_wait_loadcnt_dscnt 0x800
	v_mul_f64_e32 v[159:160], v[2:3], v[28:29]
	v_mul_f64_e32 v[28:29], v[4:5], v[28:29]
	v_add_f64_e32 v[153:154], v[153:154], v[147:148]
	v_add_f64_e32 v[149:150], v[145:146], v[149:150]
	ds_load_b128 v[145:148], v1 offset:1216
	v_fma_f64 v[143:144], v[143:144], v[22:23], v[155:156]
	v_fma_f64 v[141:142], v[141:142], v[22:23], -v[24:25]
	scratch_load_b128 v[22:25], off, off offset:640
	v_fma_f64 v[155:156], v[4:5], v[26:27], v[159:160]
	v_add_f64_e32 v[153:154], v[153:154], v[157:158]
	v_add_f64_e32 v[149:150], v[149:150], v[151:152]
	v_fma_f64 v[157:158], v[2:3], v[26:27], -v[28:29]
	ds_load_b128 v[2:5], v1 offset:1232
	s_wait_loadcnt_dscnt 0x801
	v_mul_f64_e32 v[151:152], v[145:146], v[32:33]
	v_mul_f64_e32 v[32:33], v[147:148], v[32:33]
	scratch_load_b128 v[26:29], off, off offset:656
	s_wait_loadcnt_dscnt 0x800
	v_mul_f64_e32 v[159:160], v[2:3], v[40:41]
	v_mul_f64_e32 v[40:41], v[4:5], v[40:41]
	v_add_f64_e32 v[153:154], v[153:154], v[141:142]
	v_add_f64_e32 v[149:150], v[149:150], v[143:144]
	ds_load_b128 v[141:144], v1 offset:1248
	v_fma_f64 v[147:148], v[147:148], v[30:31], v[151:152]
	v_fma_f64 v[145:146], v[145:146], v[30:31], -v[32:33]
	scratch_load_b128 v[30:33], off, off offset:672
	v_add_f64_e32 v[151:152], v[153:154], v[157:158]
	v_add_f64_e32 v[149:150], v[149:150], v[155:156]
	v_fma_f64 v[155:156], v[4:5], v[38:39], v[159:160]
	v_fma_f64 v[157:158], v[2:3], v[38:39], -v[40:41]
	ds_load_b128 v[2:5], v1 offset:1264
	s_wait_loadcnt_dscnt 0x801
	v_mul_f64_e32 v[153:154], v[141:142], v[139:140]
	v_mul_f64_e32 v[139:140], v[143:144], v[139:140]
	scratch_load_b128 v[38:41], off, off offset:688
	s_wait_loadcnt_dscnt 0x800
	v_mul_f64_e32 v[159:160], v[2:3], v[36:37]
	v_mul_f64_e32 v[36:37], v[4:5], v[36:37]
	v_add_f64_e32 v[151:152], v[151:152], v[145:146]
	v_add_f64_e32 v[149:150], v[149:150], v[147:148]
	ds_load_b128 v[145:148], v1 offset:1280
	v_fma_f64 v[143:144], v[143:144], v[137:138], v[153:154]
	v_fma_f64 v[141:142], v[141:142], v[137:138], -v[139:140]
	scratch_load_b128 v[137:140], off, off offset:704
	v_add_f64_e32 v[151:152], v[151:152], v[157:158]
	v_add_f64_e32 v[149:150], v[149:150], v[155:156]
	v_fma_f64 v[155:156], v[4:5], v[34:35], v[159:160]
	v_fma_f64 v[157:158], v[2:3], v[34:35], -v[36:37]
	ds_load_b128 v[2:5], v1 offset:1296
	s_wait_loadcnt_dscnt 0x801
	v_mul_f64_e32 v[153:154], v[145:146], v[8:9]
	v_mul_f64_e32 v[8:9], v[147:148], v[8:9]
	scratch_load_b128 v[34:37], off, off offset:720
	s_wait_loadcnt_dscnt 0x800
	v_mul_f64_e32 v[159:160], v[2:3], v[12:13]
	v_mul_f64_e32 v[12:13], v[4:5], v[12:13]
	v_add_f64_e32 v[151:152], v[151:152], v[141:142]
	v_add_f64_e32 v[149:150], v[149:150], v[143:144]
	ds_load_b128 v[141:144], v1 offset:1312
	v_fma_f64 v[147:148], v[147:148], v[6:7], v[153:154]
	v_fma_f64 v[6:7], v[145:146], v[6:7], -v[8:9]
	v_add_f64_e32 v[8:9], v[151:152], v[157:158]
	v_add_f64_e32 v[145:146], v[149:150], v[155:156]
	s_wait_loadcnt_dscnt 0x700
	v_mul_f64_e32 v[149:150], v[141:142], v[16:17]
	v_mul_f64_e32 v[16:17], v[143:144], v[16:17]
	v_fma_f64 v[151:152], v[4:5], v[10:11], v[159:160]
	v_fma_f64 v[10:11], v[2:3], v[10:11], -v[12:13]
	v_add_f64_e32 v[12:13], v[8:9], v[6:7]
	v_add_f64_e32 v[145:146], v[145:146], v[147:148]
	ds_load_b128 v[2:5], v1 offset:1328
	ds_load_b128 v[6:9], v1 offset:1344
	v_fma_f64 v[143:144], v[143:144], v[14:15], v[149:150]
	v_fma_f64 v[14:15], v[141:142], v[14:15], -v[16:17]
	s_wait_loadcnt_dscnt 0x601
	v_mul_f64_e32 v[147:148], v[2:3], v[20:21]
	v_mul_f64_e32 v[20:21], v[4:5], v[20:21]
	s_wait_loadcnt_dscnt 0x500
	v_mul_f64_e32 v[16:17], v[6:7], v[24:25]
	v_mul_f64_e32 v[24:25], v[8:9], v[24:25]
	v_add_f64_e32 v[10:11], v[12:13], v[10:11]
	v_add_f64_e32 v[12:13], v[145:146], v[151:152]
	v_fma_f64 v[141:142], v[4:5], v[18:19], v[147:148]
	v_fma_f64 v[18:19], v[2:3], v[18:19], -v[20:21]
	v_fma_f64 v[8:9], v[8:9], v[22:23], v[16:17]
	v_fma_f64 v[6:7], v[6:7], v[22:23], -v[24:25]
	v_add_f64_e32 v[14:15], v[10:11], v[14:15]
	v_add_f64_e32 v[20:21], v[12:13], v[143:144]
	ds_load_b128 v[2:5], v1 offset:1360
	ds_load_b128 v[10:13], v1 offset:1376
	s_wait_loadcnt_dscnt 0x401
	v_mul_f64_e32 v[143:144], v[2:3], v[28:29]
	v_mul_f64_e32 v[28:29], v[4:5], v[28:29]
	v_add_f64_e32 v[14:15], v[14:15], v[18:19]
	v_add_f64_e32 v[16:17], v[20:21], v[141:142]
	s_wait_loadcnt_dscnt 0x300
	v_mul_f64_e32 v[18:19], v[10:11], v[32:33]
	v_mul_f64_e32 v[20:21], v[12:13], v[32:33]
	v_fma_f64 v[22:23], v[4:5], v[26:27], v[143:144]
	v_fma_f64 v[24:25], v[2:3], v[26:27], -v[28:29]
	v_add_f64_e32 v[14:15], v[14:15], v[6:7]
	v_add_f64_e32 v[16:17], v[16:17], v[8:9]
	ds_load_b128 v[2:5], v1 offset:1392
	ds_load_b128 v[6:9], v1 offset:1408
	v_fma_f64 v[12:13], v[12:13], v[30:31], v[18:19]
	v_fma_f64 v[10:11], v[10:11], v[30:31], -v[20:21]
	s_wait_loadcnt_dscnt 0x201
	v_mul_f64_e32 v[26:27], v[2:3], v[40:41]
	v_mul_f64_e32 v[28:29], v[4:5], v[40:41]
	s_wait_loadcnt_dscnt 0x100
	v_mul_f64_e32 v[18:19], v[6:7], v[139:140]
	v_mul_f64_e32 v[20:21], v[8:9], v[139:140]
	v_add_f64_e32 v[14:15], v[14:15], v[24:25]
	v_add_f64_e32 v[16:17], v[16:17], v[22:23]
	v_fma_f64 v[22:23], v[4:5], v[38:39], v[26:27]
	v_fma_f64 v[24:25], v[2:3], v[38:39], -v[28:29]
	ds_load_b128 v[2:5], v1 offset:1424
	v_fma_f64 v[8:9], v[8:9], v[137:138], v[18:19]
	v_fma_f64 v[6:7], v[6:7], v[137:138], -v[20:21]
	v_add_f64_e32 v[10:11], v[14:15], v[10:11]
	v_add_f64_e32 v[12:13], v[16:17], v[12:13]
	s_wait_loadcnt_dscnt 0x0
	v_mul_f64_e32 v[14:15], v[2:3], v[36:37]
	v_mul_f64_e32 v[16:17], v[4:5], v[36:37]
	s_delay_alu instid0(VALU_DEP_4) | instskip(NEXT) | instid1(VALU_DEP_4)
	v_add_f64_e32 v[10:11], v[10:11], v[24:25]
	v_add_f64_e32 v[12:13], v[12:13], v[22:23]
	s_delay_alu instid0(VALU_DEP_4) | instskip(NEXT) | instid1(VALU_DEP_4)
	v_fma_f64 v[4:5], v[4:5], v[34:35], v[14:15]
	v_fma_f64 v[2:3], v[2:3], v[34:35], -v[16:17]
	s_delay_alu instid0(VALU_DEP_4) | instskip(NEXT) | instid1(VALU_DEP_4)
	v_add_f64_e32 v[6:7], v[10:11], v[6:7]
	v_add_f64_e32 v[8:9], v[12:13], v[8:9]
	s_delay_alu instid0(VALU_DEP_2) | instskip(NEXT) | instid1(VALU_DEP_2)
	v_add_f64_e32 v[2:3], v[6:7], v[2:3]
	v_add_f64_e32 v[4:5], v[8:9], v[4:5]
	s_delay_alu instid0(VALU_DEP_2) | instskip(NEXT) | instid1(VALU_DEP_2)
	v_add_f64_e64 v[2:3], v[42:43], -v[2:3]
	v_add_f64_e64 v[4:5], v[44:45], -v[4:5]
	scratch_store_b128 off, v[2:5], off offset:224
	v_cmpx_lt_u32_e32 12, v0
	s_cbranch_execz .LBB44_259
; %bb.258:
	scratch_load_b128 v[5:8], off, s46
	v_dual_mov_b32 v2, v1 :: v_dual_mov_b32 v3, v1
	v_mov_b32_e32 v4, v1
	scratch_store_b128 off, v[1:4], off offset:208
	s_wait_loadcnt 0x0
	ds_store_b128 v136, v[5:8]
.LBB44_259:
	s_wait_alu 0xfffe
	s_or_b32 exec_lo, exec_lo, s0
	s_wait_storecnt_dscnt 0x0
	s_barrier_signal -1
	s_barrier_wait -1
	global_inv scope:SCOPE_SE
	s_clause 0x8
	scratch_load_b128 v[2:5], off, off offset:224
	scratch_load_b128 v[6:9], off, off offset:240
	;; [unrolled: 1-line block ×9, first 2 shown]
	ds_load_b128 v[38:41], v1 offset:928
	ds_load_b128 v[42:45], v1 offset:944
	s_clause 0x1
	scratch_load_b128 v[137:140], off, off offset:208
	scratch_load_b128 v[141:144], off, off offset:368
	s_mov_b32 s0, exec_lo
	s_wait_loadcnt_dscnt 0xa01
	v_mul_f64_e32 v[145:146], v[40:41], v[4:5]
	v_mul_f64_e32 v[4:5], v[38:39], v[4:5]
	s_wait_loadcnt_dscnt 0x900
	v_mul_f64_e32 v[149:150], v[42:43], v[8:9]
	v_mul_f64_e32 v[8:9], v[44:45], v[8:9]
	s_delay_alu instid0(VALU_DEP_4) | instskip(NEXT) | instid1(VALU_DEP_4)
	v_fma_f64 v[151:152], v[38:39], v[2:3], -v[145:146]
	v_fma_f64 v[153:154], v[40:41], v[2:3], v[4:5]
	ds_load_b128 v[2:5], v1 offset:960
	ds_load_b128 v[145:148], v1 offset:976
	scratch_load_b128 v[38:41], off, off offset:384
	v_fma_f64 v[44:45], v[44:45], v[6:7], v[149:150]
	v_fma_f64 v[42:43], v[42:43], v[6:7], -v[8:9]
	scratch_load_b128 v[6:9], off, off offset:400
	s_wait_loadcnt_dscnt 0xa01
	v_mul_f64_e32 v[155:156], v[2:3], v[12:13]
	v_mul_f64_e32 v[12:13], v[4:5], v[12:13]
	v_add_f64_e32 v[149:150], 0, v[151:152]
	v_add_f64_e32 v[151:152], 0, v[153:154]
	s_wait_loadcnt_dscnt 0x900
	v_mul_f64_e32 v[153:154], v[145:146], v[16:17]
	v_mul_f64_e32 v[16:17], v[147:148], v[16:17]
	v_fma_f64 v[155:156], v[4:5], v[10:11], v[155:156]
	v_fma_f64 v[157:158], v[2:3], v[10:11], -v[12:13]
	ds_load_b128 v[2:5], v1 offset:992
	scratch_load_b128 v[10:13], off, off offset:416
	v_add_f64_e32 v[149:150], v[149:150], v[42:43]
	v_add_f64_e32 v[151:152], v[151:152], v[44:45]
	ds_load_b128 v[42:45], v1 offset:1008
	v_fma_f64 v[147:148], v[147:148], v[14:15], v[153:154]
	v_fma_f64 v[145:146], v[145:146], v[14:15], -v[16:17]
	scratch_load_b128 v[14:17], off, off offset:432
	s_wait_loadcnt_dscnt 0xa01
	v_mul_f64_e32 v[159:160], v[2:3], v[20:21]
	v_mul_f64_e32 v[20:21], v[4:5], v[20:21]
	s_wait_loadcnt_dscnt 0x900
	v_mul_f64_e32 v[153:154], v[42:43], v[24:25]
	v_mul_f64_e32 v[24:25], v[44:45], v[24:25]
	v_add_f64_e32 v[149:150], v[149:150], v[157:158]
	v_add_f64_e32 v[151:152], v[151:152], v[155:156]
	v_fma_f64 v[155:156], v[4:5], v[18:19], v[159:160]
	v_fma_f64 v[157:158], v[2:3], v[18:19], -v[20:21]
	ds_load_b128 v[2:5], v1 offset:1024
	scratch_load_b128 v[18:21], off, off offset:448
	v_fma_f64 v[44:45], v[44:45], v[22:23], v[153:154]
	v_fma_f64 v[42:43], v[42:43], v[22:23], -v[24:25]
	scratch_load_b128 v[22:25], off, off offset:464
	v_add_f64_e32 v[149:150], v[149:150], v[145:146]
	v_add_f64_e32 v[151:152], v[151:152], v[147:148]
	ds_load_b128 v[145:148], v1 offset:1040
	s_wait_loadcnt_dscnt 0xa01
	v_mul_f64_e32 v[159:160], v[2:3], v[28:29]
	v_mul_f64_e32 v[28:29], v[4:5], v[28:29]
	s_wait_loadcnt_dscnt 0x900
	v_mul_f64_e32 v[153:154], v[145:146], v[32:33]
	v_mul_f64_e32 v[32:33], v[147:148], v[32:33]
	v_add_f64_e32 v[149:150], v[149:150], v[157:158]
	v_add_f64_e32 v[151:152], v[151:152], v[155:156]
	v_fma_f64 v[155:156], v[4:5], v[26:27], v[159:160]
	v_fma_f64 v[157:158], v[2:3], v[26:27], -v[28:29]
	ds_load_b128 v[2:5], v1 offset:1056
	scratch_load_b128 v[26:29], off, off offset:480
	v_fma_f64 v[147:148], v[147:148], v[30:31], v[153:154]
	v_fma_f64 v[145:146], v[145:146], v[30:31], -v[32:33]
	scratch_load_b128 v[30:33], off, off offset:496
	v_add_f64_e32 v[149:150], v[149:150], v[42:43]
	v_add_f64_e32 v[151:152], v[151:152], v[44:45]
	ds_load_b128 v[42:45], v1 offset:1072
	s_wait_loadcnt_dscnt 0xa01
	v_mul_f64_e32 v[159:160], v[2:3], v[36:37]
	v_mul_f64_e32 v[36:37], v[4:5], v[36:37]
	s_wait_loadcnt_dscnt 0x800
	v_mul_f64_e32 v[153:154], v[42:43], v[143:144]
	v_add_f64_e32 v[149:150], v[149:150], v[157:158]
	v_add_f64_e32 v[151:152], v[151:152], v[155:156]
	v_mul_f64_e32 v[155:156], v[44:45], v[143:144]
	v_fma_f64 v[157:158], v[4:5], v[34:35], v[159:160]
	v_fma_f64 v[159:160], v[2:3], v[34:35], -v[36:37]
	ds_load_b128 v[2:5], v1 offset:1088
	scratch_load_b128 v[34:37], off, off offset:512
	v_fma_f64 v[44:45], v[44:45], v[141:142], v[153:154]
	v_add_f64_e32 v[149:150], v[149:150], v[145:146]
	v_add_f64_e32 v[147:148], v[151:152], v[147:148]
	ds_load_b128 v[143:146], v1 offset:1104
	v_fma_f64 v[141:142], v[42:43], v[141:142], -v[155:156]
	s_wait_loadcnt_dscnt 0x801
	v_mul_f64_e32 v[151:152], v[2:3], v[40:41]
	v_mul_f64_e32 v[161:162], v[4:5], v[40:41]
	scratch_load_b128 v[40:43], off, off offset:528
	s_wait_loadcnt_dscnt 0x800
	v_mul_f64_e32 v[155:156], v[143:144], v[8:9]
	v_mul_f64_e32 v[8:9], v[145:146], v[8:9]
	v_add_f64_e32 v[149:150], v[149:150], v[159:160]
	v_add_f64_e32 v[147:148], v[147:148], v[157:158]
	v_fma_f64 v[157:158], v[4:5], v[38:39], v[151:152]
	v_fma_f64 v[38:39], v[2:3], v[38:39], -v[161:162]
	ds_load_b128 v[2:5], v1 offset:1120
	ds_load_b128 v[151:154], v1 offset:1136
	v_fma_f64 v[145:146], v[145:146], v[6:7], v[155:156]
	v_fma_f64 v[143:144], v[143:144], v[6:7], -v[8:9]
	scratch_load_b128 v[6:9], off, off offset:560
	v_add_f64_e32 v[141:142], v[149:150], v[141:142]
	v_add_f64_e32 v[44:45], v[147:148], v[44:45]
	scratch_load_b128 v[147:150], off, off offset:544
	s_wait_loadcnt_dscnt 0x901
	v_mul_f64_e32 v[159:160], v[2:3], v[12:13]
	v_mul_f64_e32 v[12:13], v[4:5], v[12:13]
	s_wait_loadcnt_dscnt 0x800
	v_mul_f64_e32 v[155:156], v[151:152], v[16:17]
	v_mul_f64_e32 v[16:17], v[153:154], v[16:17]
	v_add_f64_e32 v[38:39], v[141:142], v[38:39]
	v_add_f64_e32 v[44:45], v[44:45], v[157:158]
	v_fma_f64 v[157:158], v[4:5], v[10:11], v[159:160]
	v_fma_f64 v[159:160], v[2:3], v[10:11], -v[12:13]
	ds_load_b128 v[2:5], v1 offset:1152
	scratch_load_b128 v[10:13], off, off offset:576
	v_fma_f64 v[153:154], v[153:154], v[14:15], v[155:156]
	v_fma_f64 v[151:152], v[151:152], v[14:15], -v[16:17]
	scratch_load_b128 v[14:17], off, off offset:592
	v_add_f64_e32 v[38:39], v[38:39], v[143:144]
	v_add_f64_e32 v[44:45], v[44:45], v[145:146]
	ds_load_b128 v[141:144], v1 offset:1168
	s_wait_loadcnt_dscnt 0x901
	v_mul_f64_e32 v[145:146], v[2:3], v[20:21]
	v_mul_f64_e32 v[20:21], v[4:5], v[20:21]
	s_wait_loadcnt_dscnt 0x800
	v_mul_f64_e32 v[155:156], v[141:142], v[24:25]
	v_mul_f64_e32 v[24:25], v[143:144], v[24:25]
	v_add_f64_e32 v[38:39], v[38:39], v[159:160]
	v_add_f64_e32 v[44:45], v[44:45], v[157:158]
	v_fma_f64 v[145:146], v[4:5], v[18:19], v[145:146]
	v_fma_f64 v[157:158], v[2:3], v[18:19], -v[20:21]
	ds_load_b128 v[2:5], v1 offset:1184
	scratch_load_b128 v[18:21], off, off offset:608
	v_fma_f64 v[143:144], v[143:144], v[22:23], v[155:156]
	v_fma_f64 v[141:142], v[141:142], v[22:23], -v[24:25]
	scratch_load_b128 v[22:25], off, off offset:624
	v_add_f64_e32 v[38:39], v[38:39], v[151:152]
	v_add_f64_e32 v[44:45], v[44:45], v[153:154]
	ds_load_b128 v[151:154], v1 offset:1200
	s_wait_loadcnt_dscnt 0x901
	v_mul_f64_e32 v[159:160], v[2:3], v[28:29]
	v_mul_f64_e32 v[28:29], v[4:5], v[28:29]
	v_add_f64_e32 v[38:39], v[38:39], v[157:158]
	v_add_f64_e32 v[44:45], v[44:45], v[145:146]
	s_wait_loadcnt_dscnt 0x800
	v_mul_f64_e32 v[145:146], v[151:152], v[32:33]
	v_mul_f64_e32 v[32:33], v[153:154], v[32:33]
	v_fma_f64 v[155:156], v[4:5], v[26:27], v[159:160]
	v_fma_f64 v[157:158], v[2:3], v[26:27], -v[28:29]
	ds_load_b128 v[2:5], v1 offset:1216
	scratch_load_b128 v[26:29], off, off offset:640
	v_add_f64_e32 v[38:39], v[38:39], v[141:142]
	v_add_f64_e32 v[44:45], v[44:45], v[143:144]
	ds_load_b128 v[141:144], v1 offset:1232
	s_wait_loadcnt_dscnt 0x801
	v_mul_f64_e32 v[159:160], v[2:3], v[36:37]
	v_mul_f64_e32 v[36:37], v[4:5], v[36:37]
	v_fma_f64 v[145:146], v[153:154], v[30:31], v[145:146]
	v_fma_f64 v[151:152], v[151:152], v[30:31], -v[32:33]
	scratch_load_b128 v[30:33], off, off offset:656
	s_wait_loadcnt_dscnt 0x800
	v_mul_f64_e32 v[153:154], v[141:142], v[42:43]
	v_add_f64_e32 v[38:39], v[38:39], v[157:158]
	v_add_f64_e32 v[44:45], v[44:45], v[155:156]
	v_mul_f64_e32 v[155:156], v[143:144], v[42:43]
	v_fma_f64 v[157:158], v[4:5], v[34:35], v[159:160]
	v_fma_f64 v[159:160], v[2:3], v[34:35], -v[36:37]
	ds_load_b128 v[2:5], v1 offset:1248
	scratch_load_b128 v[34:37], off, off offset:672
	v_fma_f64 v[143:144], v[143:144], v[40:41], v[153:154]
	v_add_f64_e32 v[38:39], v[38:39], v[151:152]
	v_add_f64_e32 v[145:146], v[44:45], v[145:146]
	ds_load_b128 v[42:45], v1 offset:1264
	v_fma_f64 v[141:142], v[141:142], v[40:41], -v[155:156]
	s_wait_loadcnt_dscnt 0x701
	v_mul_f64_e32 v[151:152], v[2:3], v[149:150]
	v_mul_f64_e32 v[149:150], v[4:5], v[149:150]
	s_wait_dscnt 0x0
	v_mul_f64_e32 v[155:156], v[42:43], v[8:9]
	v_mul_f64_e32 v[8:9], v[44:45], v[8:9]
	v_add_f64_e32 v[153:154], v[38:39], v[159:160]
	v_add_f64_e32 v[145:146], v[145:146], v[157:158]
	scratch_load_b128 v[38:41], off, off offset:688
	v_fma_f64 v[151:152], v[4:5], v[147:148], v[151:152]
	v_fma_f64 v[149:150], v[2:3], v[147:148], -v[149:150]
	ds_load_b128 v[2:5], v1 offset:1280
	v_fma_f64 v[44:45], v[44:45], v[6:7], v[155:156]
	v_fma_f64 v[42:43], v[42:43], v[6:7], -v[8:9]
	scratch_load_b128 v[6:9], off, off offset:720
	v_add_f64_e32 v[153:154], v[153:154], v[141:142]
	v_add_f64_e32 v[157:158], v[145:146], v[143:144]
	scratch_load_b128 v[141:144], off, off offset:704
	ds_load_b128 v[145:148], v1 offset:1296
	s_wait_loadcnt_dscnt 0x901
	v_mul_f64_e32 v[159:160], v[2:3], v[12:13]
	v_mul_f64_e32 v[12:13], v[4:5], v[12:13]
	v_add_f64_e32 v[149:150], v[153:154], v[149:150]
	v_add_f64_e32 v[151:152], v[157:158], v[151:152]
	s_wait_loadcnt_dscnt 0x800
	v_mul_f64_e32 v[153:154], v[145:146], v[16:17]
	v_mul_f64_e32 v[16:17], v[147:148], v[16:17]
	v_fma_f64 v[155:156], v[4:5], v[10:11], v[159:160]
	v_fma_f64 v[157:158], v[2:3], v[10:11], -v[12:13]
	ds_load_b128 v[2:5], v1 offset:1312
	ds_load_b128 v[10:13], v1 offset:1328
	v_add_f64_e32 v[42:43], v[149:150], v[42:43]
	v_add_f64_e32 v[44:45], v[151:152], v[44:45]
	s_wait_loadcnt_dscnt 0x701
	v_mul_f64_e32 v[149:150], v[2:3], v[20:21]
	v_mul_f64_e32 v[20:21], v[4:5], v[20:21]
	v_fma_f64 v[147:148], v[147:148], v[14:15], v[153:154]
	v_fma_f64 v[14:15], v[145:146], v[14:15], -v[16:17]
	v_add_f64_e32 v[16:17], v[42:43], v[157:158]
	v_add_f64_e32 v[42:43], v[44:45], v[155:156]
	s_wait_loadcnt_dscnt 0x600
	v_mul_f64_e32 v[44:45], v[10:11], v[24:25]
	v_mul_f64_e32 v[24:25], v[12:13], v[24:25]
	v_fma_f64 v[145:146], v[4:5], v[18:19], v[149:150]
	v_fma_f64 v[18:19], v[2:3], v[18:19], -v[20:21]
	v_add_f64_e32 v[20:21], v[16:17], v[14:15]
	v_add_f64_e32 v[42:43], v[42:43], v[147:148]
	ds_load_b128 v[2:5], v1 offset:1344
	ds_load_b128 v[14:17], v1 offset:1360
	v_fma_f64 v[12:13], v[12:13], v[22:23], v[44:45]
	v_fma_f64 v[10:11], v[10:11], v[22:23], -v[24:25]
	s_wait_loadcnt_dscnt 0x501
	v_mul_f64_e32 v[147:148], v[2:3], v[28:29]
	v_mul_f64_e32 v[28:29], v[4:5], v[28:29]
	s_wait_loadcnt_dscnt 0x400
	v_mul_f64_e32 v[22:23], v[14:15], v[32:33]
	v_mul_f64_e32 v[24:25], v[16:17], v[32:33]
	v_add_f64_e32 v[18:19], v[20:21], v[18:19]
	v_add_f64_e32 v[20:21], v[42:43], v[145:146]
	v_fma_f64 v[32:33], v[4:5], v[26:27], v[147:148]
	v_fma_f64 v[26:27], v[2:3], v[26:27], -v[28:29]
	v_fma_f64 v[16:17], v[16:17], v[30:31], v[22:23]
	v_fma_f64 v[14:15], v[14:15], v[30:31], -v[24:25]
	v_add_f64_e32 v[18:19], v[18:19], v[10:11]
	v_add_f64_e32 v[20:21], v[20:21], v[12:13]
	ds_load_b128 v[2:5], v1 offset:1376
	ds_load_b128 v[10:13], v1 offset:1392
	s_wait_loadcnt_dscnt 0x301
	v_mul_f64_e32 v[28:29], v[2:3], v[36:37]
	v_mul_f64_e32 v[36:37], v[4:5], v[36:37]
	v_add_f64_e32 v[18:19], v[18:19], v[26:27]
	v_add_f64_e32 v[20:21], v[20:21], v[32:33]
	s_wait_loadcnt_dscnt 0x200
	v_mul_f64_e32 v[22:23], v[10:11], v[40:41]
	v_mul_f64_e32 v[24:25], v[12:13], v[40:41]
	v_fma_f64 v[26:27], v[4:5], v[34:35], v[28:29]
	v_fma_f64 v[28:29], v[2:3], v[34:35], -v[36:37]
	v_add_f64_e32 v[18:19], v[18:19], v[14:15]
	v_add_f64_e32 v[20:21], v[20:21], v[16:17]
	ds_load_b128 v[2:5], v1 offset:1408
	ds_load_b128 v[14:17], v1 offset:1424
	v_fma_f64 v[12:13], v[12:13], v[38:39], v[22:23]
	v_fma_f64 v[10:11], v[10:11], v[38:39], -v[24:25]
	s_wait_loadcnt_dscnt 0x1
	v_mul_f64_e32 v[30:31], v[2:3], v[143:144]
	v_mul_f64_e32 v[32:33], v[4:5], v[143:144]
	s_wait_dscnt 0x0
	v_mul_f64_e32 v[22:23], v[14:15], v[8:9]
	v_mul_f64_e32 v[8:9], v[16:17], v[8:9]
	v_add_f64_e32 v[18:19], v[18:19], v[28:29]
	v_add_f64_e32 v[20:21], v[20:21], v[26:27]
	v_fma_f64 v[4:5], v[4:5], v[141:142], v[30:31]
	v_fma_f64 v[1:2], v[2:3], v[141:142], -v[32:33]
	v_fma_f64 v[16:17], v[16:17], v[6:7], v[22:23]
	v_fma_f64 v[6:7], v[14:15], v[6:7], -v[8:9]
	v_add_f64_e32 v[10:11], v[18:19], v[10:11]
	v_add_f64_e32 v[12:13], v[20:21], v[12:13]
	s_delay_alu instid0(VALU_DEP_2) | instskip(NEXT) | instid1(VALU_DEP_2)
	v_add_f64_e32 v[1:2], v[10:11], v[1:2]
	v_add_f64_e32 v[3:4], v[12:13], v[4:5]
	s_delay_alu instid0(VALU_DEP_2) | instskip(NEXT) | instid1(VALU_DEP_2)
	;; [unrolled: 3-line block ×3, first 2 shown]
	v_add_f64_e64 v[1:2], v[137:138], -v[1:2]
	v_add_f64_e64 v[3:4], v[139:140], -v[3:4]
	scratch_store_b128 off, v[1:4], off offset:208
	v_cmpx_lt_u32_e32 11, v0
	s_cbranch_execz .LBB44_261
; %bb.260:
	scratch_load_b128 v[1:4], off, s47
	v_mov_b32_e32 v5, 0
	s_delay_alu instid0(VALU_DEP_1)
	v_dual_mov_b32 v6, v5 :: v_dual_mov_b32 v7, v5
	v_mov_b32_e32 v8, v5
	scratch_store_b128 off, v[5:8], off offset:192
	s_wait_loadcnt 0x0
	ds_store_b128 v136, v[1:4]
.LBB44_261:
	s_wait_alu 0xfffe
	s_or_b32 exec_lo, exec_lo, s0
	s_wait_storecnt_dscnt 0x0
	s_barrier_signal -1
	s_barrier_wait -1
	global_inv scope:SCOPE_SE
	s_clause 0x7
	scratch_load_b128 v[2:5], off, off offset:208
	scratch_load_b128 v[6:9], off, off offset:224
	;; [unrolled: 1-line block ×8, first 2 shown]
	v_mov_b32_e32 v1, 0
	s_mov_b32 s0, exec_lo
	ds_load_b128 v[34:37], v1 offset:912
	s_clause 0x1
	scratch_load_b128 v[38:41], off, off offset:336
	scratch_load_b128 v[42:45], off, off offset:192
	ds_load_b128 v[137:140], v1 offset:928
	scratch_load_b128 v[141:144], off, off offset:352
	s_wait_loadcnt_dscnt 0xa01
	v_mul_f64_e32 v[145:146], v[36:37], v[4:5]
	v_mul_f64_e32 v[4:5], v[34:35], v[4:5]
	s_delay_alu instid0(VALU_DEP_2) | instskip(NEXT) | instid1(VALU_DEP_2)
	v_fma_f64 v[151:152], v[34:35], v[2:3], -v[145:146]
	v_fma_f64 v[153:154], v[36:37], v[2:3], v[4:5]
	ds_load_b128 v[2:5], v1 offset:944
	s_wait_loadcnt_dscnt 0x901
	v_mul_f64_e32 v[149:150], v[137:138], v[8:9]
	v_mul_f64_e32 v[8:9], v[139:140], v[8:9]
	scratch_load_b128 v[34:37], off, off offset:368
	ds_load_b128 v[145:148], v1 offset:960
	s_wait_loadcnt_dscnt 0x901
	v_mul_f64_e32 v[155:156], v[2:3], v[12:13]
	v_mul_f64_e32 v[12:13], v[4:5], v[12:13]
	v_fma_f64 v[139:140], v[139:140], v[6:7], v[149:150]
	v_fma_f64 v[137:138], v[137:138], v[6:7], -v[8:9]
	v_add_f64_e32 v[149:150], 0, v[151:152]
	v_add_f64_e32 v[151:152], 0, v[153:154]
	scratch_load_b128 v[6:9], off, off offset:384
	v_fma_f64 v[155:156], v[4:5], v[10:11], v[155:156]
	v_fma_f64 v[157:158], v[2:3], v[10:11], -v[12:13]
	ds_load_b128 v[2:5], v1 offset:976
	s_wait_loadcnt_dscnt 0x901
	v_mul_f64_e32 v[153:154], v[145:146], v[16:17]
	v_mul_f64_e32 v[16:17], v[147:148], v[16:17]
	scratch_load_b128 v[10:13], off, off offset:400
	v_add_f64_e32 v[149:150], v[149:150], v[137:138]
	v_add_f64_e32 v[151:152], v[151:152], v[139:140]
	s_wait_loadcnt_dscnt 0x900
	v_mul_f64_e32 v[159:160], v[2:3], v[20:21]
	v_mul_f64_e32 v[20:21], v[4:5], v[20:21]
	ds_load_b128 v[137:140], v1 offset:992
	v_fma_f64 v[147:148], v[147:148], v[14:15], v[153:154]
	v_fma_f64 v[145:146], v[145:146], v[14:15], -v[16:17]
	scratch_load_b128 v[14:17], off, off offset:416
	v_add_f64_e32 v[149:150], v[149:150], v[157:158]
	v_add_f64_e32 v[151:152], v[151:152], v[155:156]
	v_fma_f64 v[155:156], v[4:5], v[18:19], v[159:160]
	v_fma_f64 v[157:158], v[2:3], v[18:19], -v[20:21]
	ds_load_b128 v[2:5], v1 offset:1008
	s_wait_loadcnt_dscnt 0x901
	v_mul_f64_e32 v[153:154], v[137:138], v[24:25]
	v_mul_f64_e32 v[24:25], v[139:140], v[24:25]
	scratch_load_b128 v[18:21], off, off offset:432
	s_wait_loadcnt_dscnt 0x900
	v_mul_f64_e32 v[159:160], v[2:3], v[28:29]
	v_mul_f64_e32 v[28:29], v[4:5], v[28:29]
	v_add_f64_e32 v[149:150], v[149:150], v[145:146]
	v_add_f64_e32 v[151:152], v[151:152], v[147:148]
	ds_load_b128 v[145:148], v1 offset:1024
	v_fma_f64 v[139:140], v[139:140], v[22:23], v[153:154]
	v_fma_f64 v[137:138], v[137:138], v[22:23], -v[24:25]
	scratch_load_b128 v[22:25], off, off offset:448
	v_add_f64_e32 v[149:150], v[149:150], v[157:158]
	v_add_f64_e32 v[151:152], v[151:152], v[155:156]
	v_fma_f64 v[155:156], v[4:5], v[26:27], v[159:160]
	v_fma_f64 v[157:158], v[2:3], v[26:27], -v[28:29]
	ds_load_b128 v[2:5], v1 offset:1040
	s_wait_loadcnt_dscnt 0x901
	v_mul_f64_e32 v[153:154], v[145:146], v[32:33]
	v_mul_f64_e32 v[32:33], v[147:148], v[32:33]
	scratch_load_b128 v[26:29], off, off offset:464
	s_wait_loadcnt_dscnt 0x900
	v_mul_f64_e32 v[159:160], v[2:3], v[40:41]
	v_mul_f64_e32 v[40:41], v[4:5], v[40:41]
	v_add_f64_e32 v[149:150], v[149:150], v[137:138]
	v_add_f64_e32 v[151:152], v[151:152], v[139:140]
	ds_load_b128 v[137:140], v1 offset:1056
	v_fma_f64 v[147:148], v[147:148], v[30:31], v[153:154]
	v_fma_f64 v[145:146], v[145:146], v[30:31], -v[32:33]
	scratch_load_b128 v[30:33], off, off offset:480
	v_add_f64_e32 v[149:150], v[149:150], v[157:158]
	v_add_f64_e32 v[151:152], v[151:152], v[155:156]
	v_fma_f64 v[157:158], v[4:5], v[38:39], v[159:160]
	v_fma_f64 v[159:160], v[2:3], v[38:39], -v[40:41]
	ds_load_b128 v[2:5], v1 offset:1072
	s_wait_loadcnt_dscnt 0x801
	v_mul_f64_e32 v[153:154], v[137:138], v[143:144]
	v_mul_f64_e32 v[155:156], v[139:140], v[143:144]
	scratch_load_b128 v[38:41], off, off offset:496
	v_add_f64_e32 v[149:150], v[149:150], v[145:146]
	v_add_f64_e32 v[147:148], v[151:152], v[147:148]
	ds_load_b128 v[143:146], v1 offset:1088
	v_fma_f64 v[153:154], v[139:140], v[141:142], v[153:154]
	v_fma_f64 v[141:142], v[137:138], v[141:142], -v[155:156]
	scratch_load_b128 v[137:140], off, off offset:512
	s_wait_loadcnt_dscnt 0x901
	v_mul_f64_e32 v[151:152], v[2:3], v[36:37]
	v_mul_f64_e32 v[36:37], v[4:5], v[36:37]
	v_add_f64_e32 v[149:150], v[149:150], v[159:160]
	v_add_f64_e32 v[147:148], v[147:148], v[157:158]
	s_delay_alu instid0(VALU_DEP_4) | instskip(NEXT) | instid1(VALU_DEP_4)
	v_fma_f64 v[151:152], v[4:5], v[34:35], v[151:152]
	v_fma_f64 v[157:158], v[2:3], v[34:35], -v[36:37]
	ds_load_b128 v[2:5], v1 offset:1104
	s_wait_loadcnt_dscnt 0x801
	v_mul_f64_e32 v[155:156], v[143:144], v[8:9]
	v_mul_f64_e32 v[8:9], v[145:146], v[8:9]
	scratch_load_b128 v[34:37], off, off offset:528
	s_wait_loadcnt_dscnt 0x800
	v_mul_f64_e32 v[159:160], v[2:3], v[12:13]
	v_add_f64_e32 v[141:142], v[149:150], v[141:142]
	v_add_f64_e32 v[153:154], v[147:148], v[153:154]
	v_mul_f64_e32 v[12:13], v[4:5], v[12:13]
	ds_load_b128 v[147:150], v1 offset:1120
	v_fma_f64 v[145:146], v[145:146], v[6:7], v[155:156]
	v_fma_f64 v[143:144], v[143:144], v[6:7], -v[8:9]
	scratch_load_b128 v[6:9], off, off offset:544
	v_fma_f64 v[155:156], v[4:5], v[10:11], v[159:160]
	v_add_f64_e32 v[141:142], v[141:142], v[157:158]
	v_add_f64_e32 v[151:152], v[153:154], v[151:152]
	v_fma_f64 v[157:158], v[2:3], v[10:11], -v[12:13]
	ds_load_b128 v[2:5], v1 offset:1136
	s_wait_loadcnt_dscnt 0x801
	v_mul_f64_e32 v[153:154], v[147:148], v[16:17]
	v_mul_f64_e32 v[16:17], v[149:150], v[16:17]
	scratch_load_b128 v[10:13], off, off offset:560
	v_add_f64_e32 v[159:160], v[141:142], v[143:144]
	v_add_f64_e32 v[145:146], v[151:152], v[145:146]
	s_wait_loadcnt_dscnt 0x800
	v_mul_f64_e32 v[151:152], v[2:3], v[20:21]
	v_mul_f64_e32 v[20:21], v[4:5], v[20:21]
	v_fma_f64 v[149:150], v[149:150], v[14:15], v[153:154]
	v_fma_f64 v[147:148], v[147:148], v[14:15], -v[16:17]
	ds_load_b128 v[141:144], v1 offset:1152
	scratch_load_b128 v[14:17], off, off offset:576
	v_add_f64_e32 v[153:154], v[159:160], v[157:158]
	v_add_f64_e32 v[145:146], v[145:146], v[155:156]
	v_fma_f64 v[151:152], v[4:5], v[18:19], v[151:152]
	v_fma_f64 v[157:158], v[2:3], v[18:19], -v[20:21]
	ds_load_b128 v[2:5], v1 offset:1168
	s_wait_loadcnt_dscnt 0x801
	v_mul_f64_e32 v[155:156], v[141:142], v[24:25]
	v_mul_f64_e32 v[24:25], v[143:144], v[24:25]
	scratch_load_b128 v[18:21], off, off offset:592
	s_wait_loadcnt_dscnt 0x800
	v_mul_f64_e32 v[159:160], v[2:3], v[28:29]
	v_mul_f64_e32 v[28:29], v[4:5], v[28:29]
	v_add_f64_e32 v[153:154], v[153:154], v[147:148]
	v_add_f64_e32 v[149:150], v[145:146], v[149:150]
	ds_load_b128 v[145:148], v1 offset:1184
	v_fma_f64 v[143:144], v[143:144], v[22:23], v[155:156]
	v_fma_f64 v[141:142], v[141:142], v[22:23], -v[24:25]
	scratch_load_b128 v[22:25], off, off offset:608
	v_fma_f64 v[155:156], v[4:5], v[26:27], v[159:160]
	v_add_f64_e32 v[153:154], v[153:154], v[157:158]
	v_add_f64_e32 v[149:150], v[149:150], v[151:152]
	v_fma_f64 v[157:158], v[2:3], v[26:27], -v[28:29]
	ds_load_b128 v[2:5], v1 offset:1200
	s_wait_loadcnt_dscnt 0x801
	v_mul_f64_e32 v[151:152], v[145:146], v[32:33]
	v_mul_f64_e32 v[32:33], v[147:148], v[32:33]
	scratch_load_b128 v[26:29], off, off offset:624
	s_wait_loadcnt_dscnt 0x800
	v_mul_f64_e32 v[159:160], v[2:3], v[40:41]
	v_mul_f64_e32 v[40:41], v[4:5], v[40:41]
	v_add_f64_e32 v[153:154], v[153:154], v[141:142]
	v_add_f64_e32 v[149:150], v[149:150], v[143:144]
	ds_load_b128 v[141:144], v1 offset:1216
	v_fma_f64 v[147:148], v[147:148], v[30:31], v[151:152]
	v_fma_f64 v[145:146], v[145:146], v[30:31], -v[32:33]
	scratch_load_b128 v[30:33], off, off offset:640
	v_add_f64_e32 v[151:152], v[153:154], v[157:158]
	v_add_f64_e32 v[149:150], v[149:150], v[155:156]
	v_fma_f64 v[155:156], v[4:5], v[38:39], v[159:160]
	v_fma_f64 v[157:158], v[2:3], v[38:39], -v[40:41]
	ds_load_b128 v[2:5], v1 offset:1232
	s_wait_loadcnt_dscnt 0x801
	v_mul_f64_e32 v[153:154], v[141:142], v[139:140]
	v_mul_f64_e32 v[139:140], v[143:144], v[139:140]
	scratch_load_b128 v[38:41], off, off offset:656
	s_wait_loadcnt_dscnt 0x800
	v_mul_f64_e32 v[159:160], v[2:3], v[36:37]
	v_mul_f64_e32 v[36:37], v[4:5], v[36:37]
	v_add_f64_e32 v[151:152], v[151:152], v[145:146]
	v_add_f64_e32 v[149:150], v[149:150], v[147:148]
	ds_load_b128 v[145:148], v1 offset:1248
	v_fma_f64 v[143:144], v[143:144], v[137:138], v[153:154]
	v_fma_f64 v[141:142], v[141:142], v[137:138], -v[139:140]
	scratch_load_b128 v[137:140], off, off offset:672
	v_add_f64_e32 v[151:152], v[151:152], v[157:158]
	v_add_f64_e32 v[149:150], v[149:150], v[155:156]
	v_fma_f64 v[155:156], v[4:5], v[34:35], v[159:160]
	;; [unrolled: 18-line block ×3, first 2 shown]
	v_fma_f64 v[157:158], v[2:3], v[10:11], -v[12:13]
	ds_load_b128 v[2:5], v1 offset:1296
	s_wait_loadcnt_dscnt 0x801
	v_mul_f64_e32 v[153:154], v[141:142], v[16:17]
	v_mul_f64_e32 v[16:17], v[143:144], v[16:17]
	scratch_load_b128 v[10:13], off, off offset:720
	s_wait_loadcnt_dscnt 0x800
	v_mul_f64_e32 v[159:160], v[2:3], v[20:21]
	v_mul_f64_e32 v[20:21], v[4:5], v[20:21]
	v_add_f64_e32 v[151:152], v[151:152], v[145:146]
	v_add_f64_e32 v[149:150], v[149:150], v[147:148]
	ds_load_b128 v[145:148], v1 offset:1312
	v_fma_f64 v[143:144], v[143:144], v[14:15], v[153:154]
	v_fma_f64 v[14:15], v[141:142], v[14:15], -v[16:17]
	v_add_f64_e32 v[16:17], v[151:152], v[157:158]
	v_add_f64_e32 v[141:142], v[149:150], v[155:156]
	s_wait_loadcnt_dscnt 0x700
	v_mul_f64_e32 v[149:150], v[145:146], v[24:25]
	v_mul_f64_e32 v[24:25], v[147:148], v[24:25]
	v_fma_f64 v[151:152], v[4:5], v[18:19], v[159:160]
	v_fma_f64 v[18:19], v[2:3], v[18:19], -v[20:21]
	v_add_f64_e32 v[20:21], v[16:17], v[14:15]
	v_add_f64_e32 v[141:142], v[141:142], v[143:144]
	ds_load_b128 v[2:5], v1 offset:1328
	ds_load_b128 v[14:17], v1 offset:1344
	v_fma_f64 v[147:148], v[147:148], v[22:23], v[149:150]
	v_fma_f64 v[22:23], v[145:146], v[22:23], -v[24:25]
	s_wait_loadcnt_dscnt 0x601
	v_mul_f64_e32 v[143:144], v[2:3], v[28:29]
	v_mul_f64_e32 v[28:29], v[4:5], v[28:29]
	s_wait_loadcnt_dscnt 0x500
	v_mul_f64_e32 v[24:25], v[14:15], v[32:33]
	v_mul_f64_e32 v[32:33], v[16:17], v[32:33]
	v_add_f64_e32 v[18:19], v[20:21], v[18:19]
	v_add_f64_e32 v[20:21], v[141:142], v[151:152]
	v_fma_f64 v[141:142], v[4:5], v[26:27], v[143:144]
	v_fma_f64 v[26:27], v[2:3], v[26:27], -v[28:29]
	v_fma_f64 v[16:17], v[16:17], v[30:31], v[24:25]
	v_fma_f64 v[14:15], v[14:15], v[30:31], -v[32:33]
	v_add_f64_e32 v[22:23], v[18:19], v[22:23]
	v_add_f64_e32 v[28:29], v[20:21], v[147:148]
	ds_load_b128 v[2:5], v1 offset:1360
	ds_load_b128 v[18:21], v1 offset:1376
	s_wait_loadcnt_dscnt 0x401
	v_mul_f64_e32 v[143:144], v[2:3], v[40:41]
	v_mul_f64_e32 v[40:41], v[4:5], v[40:41]
	v_add_f64_e32 v[22:23], v[22:23], v[26:27]
	v_add_f64_e32 v[24:25], v[28:29], v[141:142]
	s_wait_loadcnt_dscnt 0x300
	v_mul_f64_e32 v[26:27], v[18:19], v[139:140]
	v_mul_f64_e32 v[28:29], v[20:21], v[139:140]
	v_fma_f64 v[30:31], v[4:5], v[38:39], v[143:144]
	v_fma_f64 v[32:33], v[2:3], v[38:39], -v[40:41]
	v_add_f64_e32 v[22:23], v[22:23], v[14:15]
	v_add_f64_e32 v[24:25], v[24:25], v[16:17]
	ds_load_b128 v[2:5], v1 offset:1392
	ds_load_b128 v[14:17], v1 offset:1408
	v_fma_f64 v[20:21], v[20:21], v[137:138], v[26:27]
	v_fma_f64 v[18:19], v[18:19], v[137:138], -v[28:29]
	s_wait_loadcnt_dscnt 0x201
	v_mul_f64_e32 v[38:39], v[2:3], v[36:37]
	v_mul_f64_e32 v[36:37], v[4:5], v[36:37]
	s_wait_loadcnt_dscnt 0x100
	v_mul_f64_e32 v[26:27], v[14:15], v[8:9]
	v_mul_f64_e32 v[8:9], v[16:17], v[8:9]
	v_add_f64_e32 v[22:23], v[22:23], v[32:33]
	v_add_f64_e32 v[24:25], v[24:25], v[30:31]
	v_fma_f64 v[28:29], v[4:5], v[34:35], v[38:39]
	v_fma_f64 v[30:31], v[2:3], v[34:35], -v[36:37]
	ds_load_b128 v[2:5], v1 offset:1424
	v_fma_f64 v[16:17], v[16:17], v[6:7], v[26:27]
	v_fma_f64 v[6:7], v[14:15], v[6:7], -v[8:9]
	v_add_f64_e32 v[18:19], v[22:23], v[18:19]
	v_add_f64_e32 v[20:21], v[24:25], v[20:21]
	s_wait_loadcnt_dscnt 0x0
	v_mul_f64_e32 v[22:23], v[2:3], v[12:13]
	v_mul_f64_e32 v[12:13], v[4:5], v[12:13]
	s_delay_alu instid0(VALU_DEP_4) | instskip(NEXT) | instid1(VALU_DEP_4)
	v_add_f64_e32 v[8:9], v[18:19], v[30:31]
	v_add_f64_e32 v[14:15], v[20:21], v[28:29]
	s_delay_alu instid0(VALU_DEP_4) | instskip(NEXT) | instid1(VALU_DEP_4)
	v_fma_f64 v[4:5], v[4:5], v[10:11], v[22:23]
	v_fma_f64 v[2:3], v[2:3], v[10:11], -v[12:13]
	s_delay_alu instid0(VALU_DEP_4) | instskip(NEXT) | instid1(VALU_DEP_4)
	v_add_f64_e32 v[6:7], v[8:9], v[6:7]
	v_add_f64_e32 v[8:9], v[14:15], v[16:17]
	s_delay_alu instid0(VALU_DEP_2) | instskip(NEXT) | instid1(VALU_DEP_2)
	v_add_f64_e32 v[2:3], v[6:7], v[2:3]
	v_add_f64_e32 v[4:5], v[8:9], v[4:5]
	s_delay_alu instid0(VALU_DEP_2) | instskip(NEXT) | instid1(VALU_DEP_2)
	v_add_f64_e64 v[2:3], v[42:43], -v[2:3]
	v_add_f64_e64 v[4:5], v[44:45], -v[4:5]
	scratch_store_b128 off, v[2:5], off offset:192
	v_cmpx_lt_u32_e32 10, v0
	s_cbranch_execz .LBB44_263
; %bb.262:
	scratch_load_b128 v[5:8], off, s48
	v_dual_mov_b32 v2, v1 :: v_dual_mov_b32 v3, v1
	v_mov_b32_e32 v4, v1
	scratch_store_b128 off, v[1:4], off offset:176
	s_wait_loadcnt 0x0
	ds_store_b128 v136, v[5:8]
.LBB44_263:
	s_wait_alu 0xfffe
	s_or_b32 exec_lo, exec_lo, s0
	s_wait_storecnt_dscnt 0x0
	s_barrier_signal -1
	s_barrier_wait -1
	global_inv scope:SCOPE_SE
	s_clause 0x8
	scratch_load_b128 v[2:5], off, off offset:192
	scratch_load_b128 v[6:9], off, off offset:208
	;; [unrolled: 1-line block ×9, first 2 shown]
	ds_load_b128 v[38:41], v1 offset:896
	ds_load_b128 v[42:45], v1 offset:912
	s_clause 0x1
	scratch_load_b128 v[137:140], off, off offset:176
	scratch_load_b128 v[141:144], off, off offset:336
	s_mov_b32 s0, exec_lo
	s_wait_loadcnt_dscnt 0xa01
	v_mul_f64_e32 v[145:146], v[40:41], v[4:5]
	v_mul_f64_e32 v[4:5], v[38:39], v[4:5]
	s_wait_loadcnt_dscnt 0x900
	v_mul_f64_e32 v[149:150], v[42:43], v[8:9]
	v_mul_f64_e32 v[8:9], v[44:45], v[8:9]
	s_delay_alu instid0(VALU_DEP_4) | instskip(NEXT) | instid1(VALU_DEP_4)
	v_fma_f64 v[151:152], v[38:39], v[2:3], -v[145:146]
	v_fma_f64 v[153:154], v[40:41], v[2:3], v[4:5]
	ds_load_b128 v[2:5], v1 offset:928
	ds_load_b128 v[145:148], v1 offset:944
	scratch_load_b128 v[38:41], off, off offset:352
	v_fma_f64 v[44:45], v[44:45], v[6:7], v[149:150]
	v_fma_f64 v[42:43], v[42:43], v[6:7], -v[8:9]
	scratch_load_b128 v[6:9], off, off offset:368
	s_wait_loadcnt_dscnt 0xa01
	v_mul_f64_e32 v[155:156], v[2:3], v[12:13]
	v_mul_f64_e32 v[12:13], v[4:5], v[12:13]
	v_add_f64_e32 v[149:150], 0, v[151:152]
	v_add_f64_e32 v[151:152], 0, v[153:154]
	s_wait_loadcnt_dscnt 0x900
	v_mul_f64_e32 v[153:154], v[145:146], v[16:17]
	v_mul_f64_e32 v[16:17], v[147:148], v[16:17]
	v_fma_f64 v[155:156], v[4:5], v[10:11], v[155:156]
	v_fma_f64 v[157:158], v[2:3], v[10:11], -v[12:13]
	ds_load_b128 v[2:5], v1 offset:960
	scratch_load_b128 v[10:13], off, off offset:384
	v_add_f64_e32 v[149:150], v[149:150], v[42:43]
	v_add_f64_e32 v[151:152], v[151:152], v[44:45]
	ds_load_b128 v[42:45], v1 offset:976
	v_fma_f64 v[147:148], v[147:148], v[14:15], v[153:154]
	v_fma_f64 v[145:146], v[145:146], v[14:15], -v[16:17]
	scratch_load_b128 v[14:17], off, off offset:400
	s_wait_loadcnt_dscnt 0xa01
	v_mul_f64_e32 v[159:160], v[2:3], v[20:21]
	v_mul_f64_e32 v[20:21], v[4:5], v[20:21]
	s_wait_loadcnt_dscnt 0x900
	v_mul_f64_e32 v[153:154], v[42:43], v[24:25]
	v_mul_f64_e32 v[24:25], v[44:45], v[24:25]
	v_add_f64_e32 v[149:150], v[149:150], v[157:158]
	v_add_f64_e32 v[151:152], v[151:152], v[155:156]
	v_fma_f64 v[155:156], v[4:5], v[18:19], v[159:160]
	v_fma_f64 v[157:158], v[2:3], v[18:19], -v[20:21]
	ds_load_b128 v[2:5], v1 offset:992
	scratch_load_b128 v[18:21], off, off offset:416
	v_fma_f64 v[44:45], v[44:45], v[22:23], v[153:154]
	v_fma_f64 v[42:43], v[42:43], v[22:23], -v[24:25]
	scratch_load_b128 v[22:25], off, off offset:432
	v_add_f64_e32 v[149:150], v[149:150], v[145:146]
	v_add_f64_e32 v[151:152], v[151:152], v[147:148]
	ds_load_b128 v[145:148], v1 offset:1008
	s_wait_loadcnt_dscnt 0xa01
	v_mul_f64_e32 v[159:160], v[2:3], v[28:29]
	v_mul_f64_e32 v[28:29], v[4:5], v[28:29]
	s_wait_loadcnt_dscnt 0x900
	v_mul_f64_e32 v[153:154], v[145:146], v[32:33]
	v_mul_f64_e32 v[32:33], v[147:148], v[32:33]
	v_add_f64_e32 v[149:150], v[149:150], v[157:158]
	v_add_f64_e32 v[151:152], v[151:152], v[155:156]
	v_fma_f64 v[155:156], v[4:5], v[26:27], v[159:160]
	v_fma_f64 v[157:158], v[2:3], v[26:27], -v[28:29]
	ds_load_b128 v[2:5], v1 offset:1024
	scratch_load_b128 v[26:29], off, off offset:448
	v_fma_f64 v[147:148], v[147:148], v[30:31], v[153:154]
	v_fma_f64 v[145:146], v[145:146], v[30:31], -v[32:33]
	scratch_load_b128 v[30:33], off, off offset:464
	v_add_f64_e32 v[149:150], v[149:150], v[42:43]
	v_add_f64_e32 v[151:152], v[151:152], v[44:45]
	ds_load_b128 v[42:45], v1 offset:1040
	s_wait_loadcnt_dscnt 0xa01
	v_mul_f64_e32 v[159:160], v[2:3], v[36:37]
	v_mul_f64_e32 v[36:37], v[4:5], v[36:37]
	s_wait_loadcnt_dscnt 0x800
	v_mul_f64_e32 v[153:154], v[42:43], v[143:144]
	v_add_f64_e32 v[149:150], v[149:150], v[157:158]
	v_add_f64_e32 v[151:152], v[151:152], v[155:156]
	v_mul_f64_e32 v[155:156], v[44:45], v[143:144]
	v_fma_f64 v[157:158], v[4:5], v[34:35], v[159:160]
	v_fma_f64 v[159:160], v[2:3], v[34:35], -v[36:37]
	ds_load_b128 v[2:5], v1 offset:1056
	scratch_load_b128 v[34:37], off, off offset:480
	v_fma_f64 v[44:45], v[44:45], v[141:142], v[153:154]
	v_add_f64_e32 v[149:150], v[149:150], v[145:146]
	v_add_f64_e32 v[147:148], v[151:152], v[147:148]
	ds_load_b128 v[143:146], v1 offset:1072
	v_fma_f64 v[141:142], v[42:43], v[141:142], -v[155:156]
	s_wait_loadcnt_dscnt 0x801
	v_mul_f64_e32 v[151:152], v[2:3], v[40:41]
	v_mul_f64_e32 v[161:162], v[4:5], v[40:41]
	scratch_load_b128 v[40:43], off, off offset:496
	s_wait_loadcnt_dscnt 0x800
	v_mul_f64_e32 v[155:156], v[143:144], v[8:9]
	v_mul_f64_e32 v[8:9], v[145:146], v[8:9]
	v_add_f64_e32 v[149:150], v[149:150], v[159:160]
	v_add_f64_e32 v[147:148], v[147:148], v[157:158]
	v_fma_f64 v[157:158], v[4:5], v[38:39], v[151:152]
	v_fma_f64 v[38:39], v[2:3], v[38:39], -v[161:162]
	ds_load_b128 v[2:5], v1 offset:1088
	ds_load_b128 v[151:154], v1 offset:1104
	v_fma_f64 v[145:146], v[145:146], v[6:7], v[155:156]
	v_fma_f64 v[143:144], v[143:144], v[6:7], -v[8:9]
	scratch_load_b128 v[6:9], off, off offset:528
	v_add_f64_e32 v[141:142], v[149:150], v[141:142]
	v_add_f64_e32 v[44:45], v[147:148], v[44:45]
	scratch_load_b128 v[147:150], off, off offset:512
	s_wait_loadcnt_dscnt 0x901
	v_mul_f64_e32 v[159:160], v[2:3], v[12:13]
	v_mul_f64_e32 v[12:13], v[4:5], v[12:13]
	s_wait_loadcnt_dscnt 0x800
	v_mul_f64_e32 v[155:156], v[151:152], v[16:17]
	v_mul_f64_e32 v[16:17], v[153:154], v[16:17]
	v_add_f64_e32 v[38:39], v[141:142], v[38:39]
	v_add_f64_e32 v[44:45], v[44:45], v[157:158]
	v_fma_f64 v[157:158], v[4:5], v[10:11], v[159:160]
	v_fma_f64 v[159:160], v[2:3], v[10:11], -v[12:13]
	ds_load_b128 v[2:5], v1 offset:1120
	scratch_load_b128 v[10:13], off, off offset:544
	v_fma_f64 v[153:154], v[153:154], v[14:15], v[155:156]
	v_fma_f64 v[151:152], v[151:152], v[14:15], -v[16:17]
	scratch_load_b128 v[14:17], off, off offset:560
	v_add_f64_e32 v[38:39], v[38:39], v[143:144]
	v_add_f64_e32 v[44:45], v[44:45], v[145:146]
	ds_load_b128 v[141:144], v1 offset:1136
	s_wait_loadcnt_dscnt 0x901
	v_mul_f64_e32 v[145:146], v[2:3], v[20:21]
	v_mul_f64_e32 v[20:21], v[4:5], v[20:21]
	s_wait_loadcnt_dscnt 0x800
	v_mul_f64_e32 v[155:156], v[141:142], v[24:25]
	v_mul_f64_e32 v[24:25], v[143:144], v[24:25]
	v_add_f64_e32 v[38:39], v[38:39], v[159:160]
	v_add_f64_e32 v[44:45], v[44:45], v[157:158]
	v_fma_f64 v[145:146], v[4:5], v[18:19], v[145:146]
	v_fma_f64 v[157:158], v[2:3], v[18:19], -v[20:21]
	ds_load_b128 v[2:5], v1 offset:1152
	scratch_load_b128 v[18:21], off, off offset:576
	v_fma_f64 v[143:144], v[143:144], v[22:23], v[155:156]
	v_fma_f64 v[141:142], v[141:142], v[22:23], -v[24:25]
	scratch_load_b128 v[22:25], off, off offset:592
	v_add_f64_e32 v[38:39], v[38:39], v[151:152]
	v_add_f64_e32 v[44:45], v[44:45], v[153:154]
	ds_load_b128 v[151:154], v1 offset:1168
	s_wait_loadcnt_dscnt 0x901
	v_mul_f64_e32 v[159:160], v[2:3], v[28:29]
	v_mul_f64_e32 v[28:29], v[4:5], v[28:29]
	v_add_f64_e32 v[38:39], v[38:39], v[157:158]
	v_add_f64_e32 v[44:45], v[44:45], v[145:146]
	s_wait_loadcnt_dscnt 0x800
	v_mul_f64_e32 v[145:146], v[151:152], v[32:33]
	v_mul_f64_e32 v[32:33], v[153:154], v[32:33]
	v_fma_f64 v[155:156], v[4:5], v[26:27], v[159:160]
	v_fma_f64 v[157:158], v[2:3], v[26:27], -v[28:29]
	ds_load_b128 v[2:5], v1 offset:1184
	scratch_load_b128 v[26:29], off, off offset:608
	v_add_f64_e32 v[38:39], v[38:39], v[141:142]
	v_add_f64_e32 v[44:45], v[44:45], v[143:144]
	ds_load_b128 v[141:144], v1 offset:1200
	s_wait_loadcnt_dscnt 0x801
	v_mul_f64_e32 v[159:160], v[2:3], v[36:37]
	v_mul_f64_e32 v[36:37], v[4:5], v[36:37]
	v_fma_f64 v[145:146], v[153:154], v[30:31], v[145:146]
	v_fma_f64 v[151:152], v[151:152], v[30:31], -v[32:33]
	scratch_load_b128 v[30:33], off, off offset:624
	s_wait_loadcnt_dscnt 0x800
	v_mul_f64_e32 v[153:154], v[141:142], v[42:43]
	v_add_f64_e32 v[38:39], v[38:39], v[157:158]
	v_add_f64_e32 v[44:45], v[44:45], v[155:156]
	v_mul_f64_e32 v[155:156], v[143:144], v[42:43]
	v_fma_f64 v[157:158], v[4:5], v[34:35], v[159:160]
	v_fma_f64 v[159:160], v[2:3], v[34:35], -v[36:37]
	ds_load_b128 v[2:5], v1 offset:1216
	scratch_load_b128 v[34:37], off, off offset:640
	v_fma_f64 v[143:144], v[143:144], v[40:41], v[153:154]
	v_add_f64_e32 v[38:39], v[38:39], v[151:152]
	v_add_f64_e32 v[145:146], v[44:45], v[145:146]
	ds_load_b128 v[42:45], v1 offset:1232
	v_fma_f64 v[141:142], v[141:142], v[40:41], -v[155:156]
	s_wait_loadcnt_dscnt 0x701
	v_mul_f64_e32 v[151:152], v[2:3], v[149:150]
	v_mul_f64_e32 v[149:150], v[4:5], v[149:150]
	s_wait_dscnt 0x0
	v_mul_f64_e32 v[155:156], v[42:43], v[8:9]
	v_mul_f64_e32 v[8:9], v[44:45], v[8:9]
	v_add_f64_e32 v[153:154], v[38:39], v[159:160]
	v_add_f64_e32 v[145:146], v[145:146], v[157:158]
	scratch_load_b128 v[38:41], off, off offset:656
	v_fma_f64 v[151:152], v[4:5], v[147:148], v[151:152]
	v_fma_f64 v[149:150], v[2:3], v[147:148], -v[149:150]
	ds_load_b128 v[2:5], v1 offset:1248
	v_fma_f64 v[44:45], v[44:45], v[6:7], v[155:156]
	v_fma_f64 v[42:43], v[42:43], v[6:7], -v[8:9]
	scratch_load_b128 v[6:9], off, off offset:688
	v_add_f64_e32 v[153:154], v[153:154], v[141:142]
	v_add_f64_e32 v[157:158], v[145:146], v[143:144]
	scratch_load_b128 v[141:144], off, off offset:672
	ds_load_b128 v[145:148], v1 offset:1264
	s_wait_loadcnt_dscnt 0x901
	v_mul_f64_e32 v[159:160], v[2:3], v[12:13]
	v_mul_f64_e32 v[12:13], v[4:5], v[12:13]
	v_add_f64_e32 v[149:150], v[153:154], v[149:150]
	v_add_f64_e32 v[151:152], v[157:158], v[151:152]
	s_wait_loadcnt_dscnt 0x800
	v_mul_f64_e32 v[153:154], v[145:146], v[16:17]
	v_mul_f64_e32 v[16:17], v[147:148], v[16:17]
	v_fma_f64 v[155:156], v[4:5], v[10:11], v[159:160]
	v_fma_f64 v[157:158], v[2:3], v[10:11], -v[12:13]
	ds_load_b128 v[2:5], v1 offset:1280
	scratch_load_b128 v[10:13], off, off offset:704
	v_add_f64_e32 v[149:150], v[149:150], v[42:43]
	v_add_f64_e32 v[151:152], v[151:152], v[44:45]
	ds_load_b128 v[42:45], v1 offset:1296
	s_wait_loadcnt_dscnt 0x801
	v_mul_f64_e32 v[159:160], v[2:3], v[20:21]
	v_mul_f64_e32 v[20:21], v[4:5], v[20:21]
	v_fma_f64 v[147:148], v[147:148], v[14:15], v[153:154]
	v_fma_f64 v[145:146], v[145:146], v[14:15], -v[16:17]
	scratch_load_b128 v[14:17], off, off offset:720
	s_wait_loadcnt_dscnt 0x800
	v_mul_f64_e32 v[153:154], v[42:43], v[24:25]
	v_mul_f64_e32 v[24:25], v[44:45], v[24:25]
	v_add_f64_e32 v[149:150], v[149:150], v[157:158]
	v_add_f64_e32 v[151:152], v[151:152], v[155:156]
	v_fma_f64 v[155:156], v[4:5], v[18:19], v[159:160]
	v_fma_f64 v[157:158], v[2:3], v[18:19], -v[20:21]
	ds_load_b128 v[2:5], v1 offset:1312
	ds_load_b128 v[18:21], v1 offset:1328
	v_fma_f64 v[44:45], v[44:45], v[22:23], v[153:154]
	v_fma_f64 v[22:23], v[42:43], v[22:23], -v[24:25]
	v_add_f64_e32 v[145:146], v[149:150], v[145:146]
	v_add_f64_e32 v[147:148], v[151:152], v[147:148]
	s_wait_loadcnt_dscnt 0x701
	v_mul_f64_e32 v[149:150], v[2:3], v[28:29]
	v_mul_f64_e32 v[28:29], v[4:5], v[28:29]
	s_delay_alu instid0(VALU_DEP_4) | instskip(NEXT) | instid1(VALU_DEP_4)
	v_add_f64_e32 v[24:25], v[145:146], v[157:158]
	v_add_f64_e32 v[42:43], v[147:148], v[155:156]
	s_wait_loadcnt_dscnt 0x600
	v_mul_f64_e32 v[145:146], v[18:19], v[32:33]
	v_mul_f64_e32 v[32:33], v[20:21], v[32:33]
	v_fma_f64 v[147:148], v[4:5], v[26:27], v[149:150]
	v_fma_f64 v[26:27], v[2:3], v[26:27], -v[28:29]
	v_add_f64_e32 v[28:29], v[24:25], v[22:23]
	v_add_f64_e32 v[42:43], v[42:43], v[44:45]
	ds_load_b128 v[2:5], v1 offset:1344
	ds_load_b128 v[22:25], v1 offset:1360
	v_fma_f64 v[20:21], v[20:21], v[30:31], v[145:146]
	v_fma_f64 v[18:19], v[18:19], v[30:31], -v[32:33]
	s_wait_loadcnt_dscnt 0x501
	v_mul_f64_e32 v[44:45], v[2:3], v[36:37]
	v_mul_f64_e32 v[36:37], v[4:5], v[36:37]
	v_add_f64_e32 v[26:27], v[28:29], v[26:27]
	v_add_f64_e32 v[28:29], v[42:43], v[147:148]
	s_wait_loadcnt_dscnt 0x400
	v_mul_f64_e32 v[30:31], v[22:23], v[40:41]
	v_mul_f64_e32 v[32:33], v[24:25], v[40:41]
	v_fma_f64 v[40:41], v[4:5], v[34:35], v[44:45]
	v_fma_f64 v[34:35], v[2:3], v[34:35], -v[36:37]
	v_add_f64_e32 v[26:27], v[26:27], v[18:19]
	v_add_f64_e32 v[28:29], v[28:29], v[20:21]
	ds_load_b128 v[2:5], v1 offset:1376
	ds_load_b128 v[18:21], v1 offset:1392
	v_fma_f64 v[24:25], v[24:25], v[38:39], v[30:31]
	v_fma_f64 v[22:23], v[22:23], v[38:39], -v[32:33]
	s_wait_loadcnt_dscnt 0x201
	v_mul_f64_e32 v[36:37], v[2:3], v[143:144]
	v_mul_f64_e32 v[42:43], v[4:5], v[143:144]
	s_wait_dscnt 0x0
	v_mul_f64_e32 v[30:31], v[18:19], v[8:9]
	v_mul_f64_e32 v[8:9], v[20:21], v[8:9]
	v_add_f64_e32 v[26:27], v[26:27], v[34:35]
	v_add_f64_e32 v[28:29], v[28:29], v[40:41]
	v_fma_f64 v[32:33], v[4:5], v[141:142], v[36:37]
	v_fma_f64 v[34:35], v[2:3], v[141:142], -v[42:43]
	v_fma_f64 v[20:21], v[20:21], v[6:7], v[30:31]
	v_fma_f64 v[6:7], v[18:19], v[6:7], -v[8:9]
	v_add_f64_e32 v[26:27], v[26:27], v[22:23]
	v_add_f64_e32 v[28:29], v[28:29], v[24:25]
	ds_load_b128 v[2:5], v1 offset:1408
	ds_load_b128 v[22:25], v1 offset:1424
	s_wait_loadcnt_dscnt 0x101
	v_mul_f64_e32 v[36:37], v[2:3], v[12:13]
	v_mul_f64_e32 v[12:13], v[4:5], v[12:13]
	v_add_f64_e32 v[8:9], v[26:27], v[34:35]
	v_add_f64_e32 v[18:19], v[28:29], v[32:33]
	s_wait_loadcnt_dscnt 0x0
	v_mul_f64_e32 v[26:27], v[22:23], v[16:17]
	v_mul_f64_e32 v[16:17], v[24:25], v[16:17]
	v_fma_f64 v[4:5], v[4:5], v[10:11], v[36:37]
	v_fma_f64 v[1:2], v[2:3], v[10:11], -v[12:13]
	v_add_f64_e32 v[6:7], v[8:9], v[6:7]
	v_add_f64_e32 v[8:9], v[18:19], v[20:21]
	v_fma_f64 v[10:11], v[24:25], v[14:15], v[26:27]
	v_fma_f64 v[12:13], v[22:23], v[14:15], -v[16:17]
	s_delay_alu instid0(VALU_DEP_4) | instskip(NEXT) | instid1(VALU_DEP_4)
	v_add_f64_e32 v[1:2], v[6:7], v[1:2]
	v_add_f64_e32 v[3:4], v[8:9], v[4:5]
	s_delay_alu instid0(VALU_DEP_2) | instskip(NEXT) | instid1(VALU_DEP_2)
	v_add_f64_e32 v[1:2], v[1:2], v[12:13]
	v_add_f64_e32 v[3:4], v[3:4], v[10:11]
	s_delay_alu instid0(VALU_DEP_2) | instskip(NEXT) | instid1(VALU_DEP_2)
	v_add_f64_e64 v[1:2], v[137:138], -v[1:2]
	v_add_f64_e64 v[3:4], v[139:140], -v[3:4]
	scratch_store_b128 off, v[1:4], off offset:176
	v_cmpx_lt_u32_e32 9, v0
	s_cbranch_execz .LBB44_265
; %bb.264:
	scratch_load_b128 v[1:4], off, s49
	v_mov_b32_e32 v5, 0
	s_delay_alu instid0(VALU_DEP_1)
	v_dual_mov_b32 v6, v5 :: v_dual_mov_b32 v7, v5
	v_mov_b32_e32 v8, v5
	scratch_store_b128 off, v[5:8], off offset:160
	s_wait_loadcnt 0x0
	ds_store_b128 v136, v[1:4]
.LBB44_265:
	s_wait_alu 0xfffe
	s_or_b32 exec_lo, exec_lo, s0
	s_wait_storecnt_dscnt 0x0
	s_barrier_signal -1
	s_barrier_wait -1
	global_inv scope:SCOPE_SE
	s_clause 0x7
	scratch_load_b128 v[2:5], off, off offset:176
	scratch_load_b128 v[6:9], off, off offset:192
	;; [unrolled: 1-line block ×8, first 2 shown]
	v_mov_b32_e32 v1, 0
	s_mov_b32 s0, exec_lo
	ds_load_b128 v[38:41], v1 offset:880
	s_clause 0x1
	scratch_load_b128 v[34:37], off, off offset:304
	scratch_load_b128 v[42:45], off, off offset:160
	ds_load_b128 v[137:140], v1 offset:896
	scratch_load_b128 v[141:144], off, off offset:320
	s_wait_loadcnt_dscnt 0xa01
	v_mul_f64_e32 v[145:146], v[40:41], v[4:5]
	v_mul_f64_e32 v[4:5], v[38:39], v[4:5]
	s_delay_alu instid0(VALU_DEP_2) | instskip(NEXT) | instid1(VALU_DEP_2)
	v_fma_f64 v[151:152], v[38:39], v[2:3], -v[145:146]
	v_fma_f64 v[153:154], v[40:41], v[2:3], v[4:5]
	ds_load_b128 v[2:5], v1 offset:912
	s_wait_loadcnt_dscnt 0x901
	v_mul_f64_e32 v[149:150], v[137:138], v[8:9]
	v_mul_f64_e32 v[8:9], v[139:140], v[8:9]
	scratch_load_b128 v[38:41], off, off offset:336
	ds_load_b128 v[145:148], v1 offset:928
	s_wait_loadcnt_dscnt 0x901
	v_mul_f64_e32 v[155:156], v[2:3], v[12:13]
	v_mul_f64_e32 v[12:13], v[4:5], v[12:13]
	v_fma_f64 v[139:140], v[139:140], v[6:7], v[149:150]
	v_fma_f64 v[137:138], v[137:138], v[6:7], -v[8:9]
	v_add_f64_e32 v[149:150], 0, v[151:152]
	v_add_f64_e32 v[151:152], 0, v[153:154]
	scratch_load_b128 v[6:9], off, off offset:352
	v_fma_f64 v[155:156], v[4:5], v[10:11], v[155:156]
	v_fma_f64 v[157:158], v[2:3], v[10:11], -v[12:13]
	ds_load_b128 v[2:5], v1 offset:944
	s_wait_loadcnt_dscnt 0x901
	v_mul_f64_e32 v[153:154], v[145:146], v[16:17]
	v_mul_f64_e32 v[16:17], v[147:148], v[16:17]
	scratch_load_b128 v[10:13], off, off offset:368
	v_add_f64_e32 v[149:150], v[149:150], v[137:138]
	v_add_f64_e32 v[151:152], v[151:152], v[139:140]
	s_wait_loadcnt_dscnt 0x900
	v_mul_f64_e32 v[159:160], v[2:3], v[20:21]
	v_mul_f64_e32 v[20:21], v[4:5], v[20:21]
	ds_load_b128 v[137:140], v1 offset:960
	v_fma_f64 v[147:148], v[147:148], v[14:15], v[153:154]
	v_fma_f64 v[145:146], v[145:146], v[14:15], -v[16:17]
	scratch_load_b128 v[14:17], off, off offset:384
	v_add_f64_e32 v[149:150], v[149:150], v[157:158]
	v_add_f64_e32 v[151:152], v[151:152], v[155:156]
	v_fma_f64 v[155:156], v[4:5], v[18:19], v[159:160]
	v_fma_f64 v[157:158], v[2:3], v[18:19], -v[20:21]
	ds_load_b128 v[2:5], v1 offset:976
	s_wait_loadcnt_dscnt 0x901
	v_mul_f64_e32 v[153:154], v[137:138], v[24:25]
	v_mul_f64_e32 v[24:25], v[139:140], v[24:25]
	scratch_load_b128 v[18:21], off, off offset:400
	s_wait_loadcnt_dscnt 0x900
	v_mul_f64_e32 v[159:160], v[2:3], v[28:29]
	v_mul_f64_e32 v[28:29], v[4:5], v[28:29]
	v_add_f64_e32 v[149:150], v[149:150], v[145:146]
	v_add_f64_e32 v[151:152], v[151:152], v[147:148]
	ds_load_b128 v[145:148], v1 offset:992
	v_fma_f64 v[139:140], v[139:140], v[22:23], v[153:154]
	v_fma_f64 v[137:138], v[137:138], v[22:23], -v[24:25]
	scratch_load_b128 v[22:25], off, off offset:416
	v_add_f64_e32 v[149:150], v[149:150], v[157:158]
	v_add_f64_e32 v[151:152], v[151:152], v[155:156]
	v_fma_f64 v[155:156], v[4:5], v[26:27], v[159:160]
	v_fma_f64 v[157:158], v[2:3], v[26:27], -v[28:29]
	ds_load_b128 v[2:5], v1 offset:1008
	s_wait_loadcnt_dscnt 0x901
	v_mul_f64_e32 v[153:154], v[145:146], v[32:33]
	v_mul_f64_e32 v[32:33], v[147:148], v[32:33]
	scratch_load_b128 v[26:29], off, off offset:432
	s_wait_loadcnt_dscnt 0x900
	v_mul_f64_e32 v[159:160], v[2:3], v[36:37]
	v_mul_f64_e32 v[36:37], v[4:5], v[36:37]
	v_add_f64_e32 v[149:150], v[149:150], v[137:138]
	v_add_f64_e32 v[151:152], v[151:152], v[139:140]
	ds_load_b128 v[137:140], v1 offset:1024
	v_fma_f64 v[147:148], v[147:148], v[30:31], v[153:154]
	v_fma_f64 v[145:146], v[145:146], v[30:31], -v[32:33]
	scratch_load_b128 v[30:33], off, off offset:448
	v_add_f64_e32 v[149:150], v[149:150], v[157:158]
	v_add_f64_e32 v[151:152], v[151:152], v[155:156]
	v_fma_f64 v[157:158], v[4:5], v[34:35], v[159:160]
	v_fma_f64 v[159:160], v[2:3], v[34:35], -v[36:37]
	ds_load_b128 v[2:5], v1 offset:1040
	s_wait_loadcnt_dscnt 0x801
	v_mul_f64_e32 v[153:154], v[137:138], v[143:144]
	v_mul_f64_e32 v[155:156], v[139:140], v[143:144]
	scratch_load_b128 v[34:37], off, off offset:464
	v_add_f64_e32 v[149:150], v[149:150], v[145:146]
	v_add_f64_e32 v[147:148], v[151:152], v[147:148]
	ds_load_b128 v[143:146], v1 offset:1056
	v_fma_f64 v[153:154], v[139:140], v[141:142], v[153:154]
	v_fma_f64 v[141:142], v[137:138], v[141:142], -v[155:156]
	scratch_load_b128 v[137:140], off, off offset:480
	s_wait_loadcnt_dscnt 0x901
	v_mul_f64_e32 v[151:152], v[2:3], v[40:41]
	v_mul_f64_e32 v[40:41], v[4:5], v[40:41]
	v_add_f64_e32 v[149:150], v[149:150], v[159:160]
	v_add_f64_e32 v[147:148], v[147:148], v[157:158]
	s_delay_alu instid0(VALU_DEP_4) | instskip(NEXT) | instid1(VALU_DEP_4)
	v_fma_f64 v[151:152], v[4:5], v[38:39], v[151:152]
	v_fma_f64 v[157:158], v[2:3], v[38:39], -v[40:41]
	ds_load_b128 v[2:5], v1 offset:1072
	s_wait_loadcnt_dscnt 0x801
	v_mul_f64_e32 v[155:156], v[143:144], v[8:9]
	v_mul_f64_e32 v[8:9], v[145:146], v[8:9]
	scratch_load_b128 v[38:41], off, off offset:496
	s_wait_loadcnt_dscnt 0x800
	v_mul_f64_e32 v[159:160], v[2:3], v[12:13]
	v_add_f64_e32 v[141:142], v[149:150], v[141:142]
	v_add_f64_e32 v[153:154], v[147:148], v[153:154]
	v_mul_f64_e32 v[12:13], v[4:5], v[12:13]
	ds_load_b128 v[147:150], v1 offset:1088
	v_fma_f64 v[145:146], v[145:146], v[6:7], v[155:156]
	v_fma_f64 v[143:144], v[143:144], v[6:7], -v[8:9]
	scratch_load_b128 v[6:9], off, off offset:512
	v_fma_f64 v[155:156], v[4:5], v[10:11], v[159:160]
	v_add_f64_e32 v[141:142], v[141:142], v[157:158]
	v_add_f64_e32 v[151:152], v[153:154], v[151:152]
	v_fma_f64 v[157:158], v[2:3], v[10:11], -v[12:13]
	ds_load_b128 v[2:5], v1 offset:1104
	s_wait_loadcnt_dscnt 0x801
	v_mul_f64_e32 v[153:154], v[147:148], v[16:17]
	v_mul_f64_e32 v[16:17], v[149:150], v[16:17]
	scratch_load_b128 v[10:13], off, off offset:528
	v_add_f64_e32 v[159:160], v[141:142], v[143:144]
	v_add_f64_e32 v[145:146], v[151:152], v[145:146]
	s_wait_loadcnt_dscnt 0x800
	v_mul_f64_e32 v[151:152], v[2:3], v[20:21]
	v_mul_f64_e32 v[20:21], v[4:5], v[20:21]
	v_fma_f64 v[149:150], v[149:150], v[14:15], v[153:154]
	v_fma_f64 v[147:148], v[147:148], v[14:15], -v[16:17]
	ds_load_b128 v[141:144], v1 offset:1120
	scratch_load_b128 v[14:17], off, off offset:544
	v_add_f64_e32 v[153:154], v[159:160], v[157:158]
	v_add_f64_e32 v[145:146], v[145:146], v[155:156]
	v_fma_f64 v[151:152], v[4:5], v[18:19], v[151:152]
	v_fma_f64 v[157:158], v[2:3], v[18:19], -v[20:21]
	ds_load_b128 v[2:5], v1 offset:1136
	s_wait_loadcnt_dscnt 0x801
	v_mul_f64_e32 v[155:156], v[141:142], v[24:25]
	v_mul_f64_e32 v[24:25], v[143:144], v[24:25]
	scratch_load_b128 v[18:21], off, off offset:560
	s_wait_loadcnt_dscnt 0x800
	v_mul_f64_e32 v[159:160], v[2:3], v[28:29]
	v_mul_f64_e32 v[28:29], v[4:5], v[28:29]
	v_add_f64_e32 v[153:154], v[153:154], v[147:148]
	v_add_f64_e32 v[149:150], v[145:146], v[149:150]
	ds_load_b128 v[145:148], v1 offset:1152
	v_fma_f64 v[143:144], v[143:144], v[22:23], v[155:156]
	v_fma_f64 v[141:142], v[141:142], v[22:23], -v[24:25]
	scratch_load_b128 v[22:25], off, off offset:576
	v_fma_f64 v[155:156], v[4:5], v[26:27], v[159:160]
	v_add_f64_e32 v[153:154], v[153:154], v[157:158]
	v_add_f64_e32 v[149:150], v[149:150], v[151:152]
	v_fma_f64 v[157:158], v[2:3], v[26:27], -v[28:29]
	ds_load_b128 v[2:5], v1 offset:1168
	s_wait_loadcnt_dscnt 0x801
	v_mul_f64_e32 v[151:152], v[145:146], v[32:33]
	v_mul_f64_e32 v[32:33], v[147:148], v[32:33]
	scratch_load_b128 v[26:29], off, off offset:592
	s_wait_loadcnt_dscnt 0x800
	v_mul_f64_e32 v[159:160], v[2:3], v[36:37]
	v_mul_f64_e32 v[36:37], v[4:5], v[36:37]
	v_add_f64_e32 v[153:154], v[153:154], v[141:142]
	v_add_f64_e32 v[149:150], v[149:150], v[143:144]
	ds_load_b128 v[141:144], v1 offset:1184
	v_fma_f64 v[147:148], v[147:148], v[30:31], v[151:152]
	v_fma_f64 v[145:146], v[145:146], v[30:31], -v[32:33]
	scratch_load_b128 v[30:33], off, off offset:608
	v_add_f64_e32 v[151:152], v[153:154], v[157:158]
	v_add_f64_e32 v[149:150], v[149:150], v[155:156]
	v_fma_f64 v[155:156], v[4:5], v[34:35], v[159:160]
	v_fma_f64 v[157:158], v[2:3], v[34:35], -v[36:37]
	ds_load_b128 v[2:5], v1 offset:1200
	s_wait_loadcnt_dscnt 0x801
	v_mul_f64_e32 v[153:154], v[141:142], v[139:140]
	v_mul_f64_e32 v[139:140], v[143:144], v[139:140]
	scratch_load_b128 v[34:37], off, off offset:624
	s_wait_loadcnt_dscnt 0x800
	v_mul_f64_e32 v[159:160], v[2:3], v[40:41]
	v_mul_f64_e32 v[40:41], v[4:5], v[40:41]
	v_add_f64_e32 v[151:152], v[151:152], v[145:146]
	v_add_f64_e32 v[149:150], v[149:150], v[147:148]
	ds_load_b128 v[145:148], v1 offset:1216
	v_fma_f64 v[143:144], v[143:144], v[137:138], v[153:154]
	v_fma_f64 v[141:142], v[141:142], v[137:138], -v[139:140]
	scratch_load_b128 v[137:140], off, off offset:640
	v_add_f64_e32 v[151:152], v[151:152], v[157:158]
	v_add_f64_e32 v[149:150], v[149:150], v[155:156]
	v_fma_f64 v[155:156], v[4:5], v[38:39], v[159:160]
	;; [unrolled: 18-line block ×4, first 2 shown]
	v_fma_f64 v[157:158], v[2:3], v[18:19], -v[20:21]
	ds_load_b128 v[2:5], v1 offset:1296
	s_wait_loadcnt_dscnt 0x801
	v_mul_f64_e32 v[153:154], v[145:146], v[24:25]
	v_mul_f64_e32 v[24:25], v[147:148], v[24:25]
	scratch_load_b128 v[18:21], off, off offset:720
	s_wait_loadcnt_dscnt 0x800
	v_mul_f64_e32 v[159:160], v[2:3], v[28:29]
	v_mul_f64_e32 v[28:29], v[4:5], v[28:29]
	v_add_f64_e32 v[151:152], v[151:152], v[141:142]
	v_add_f64_e32 v[149:150], v[149:150], v[143:144]
	ds_load_b128 v[141:144], v1 offset:1312
	v_fma_f64 v[147:148], v[147:148], v[22:23], v[153:154]
	v_fma_f64 v[22:23], v[145:146], v[22:23], -v[24:25]
	v_add_f64_e32 v[24:25], v[151:152], v[157:158]
	v_add_f64_e32 v[145:146], v[149:150], v[155:156]
	s_wait_loadcnt_dscnt 0x700
	v_mul_f64_e32 v[149:150], v[141:142], v[32:33]
	v_mul_f64_e32 v[32:33], v[143:144], v[32:33]
	v_fma_f64 v[151:152], v[4:5], v[26:27], v[159:160]
	v_fma_f64 v[26:27], v[2:3], v[26:27], -v[28:29]
	v_add_f64_e32 v[28:29], v[24:25], v[22:23]
	v_add_f64_e32 v[145:146], v[145:146], v[147:148]
	ds_load_b128 v[2:5], v1 offset:1328
	ds_load_b128 v[22:25], v1 offset:1344
	v_fma_f64 v[143:144], v[143:144], v[30:31], v[149:150]
	v_fma_f64 v[30:31], v[141:142], v[30:31], -v[32:33]
	s_wait_loadcnt_dscnt 0x601
	v_mul_f64_e32 v[147:148], v[2:3], v[36:37]
	v_mul_f64_e32 v[36:37], v[4:5], v[36:37]
	s_wait_loadcnt_dscnt 0x500
	v_mul_f64_e32 v[32:33], v[22:23], v[139:140]
	v_mul_f64_e32 v[139:140], v[24:25], v[139:140]
	v_add_f64_e32 v[26:27], v[28:29], v[26:27]
	v_add_f64_e32 v[28:29], v[145:146], v[151:152]
	v_fma_f64 v[141:142], v[4:5], v[34:35], v[147:148]
	v_fma_f64 v[34:35], v[2:3], v[34:35], -v[36:37]
	v_fma_f64 v[24:25], v[24:25], v[137:138], v[32:33]
	v_fma_f64 v[22:23], v[22:23], v[137:138], -v[139:140]
	v_add_f64_e32 v[30:31], v[26:27], v[30:31]
	v_add_f64_e32 v[36:37], v[28:29], v[143:144]
	ds_load_b128 v[2:5], v1 offset:1360
	ds_load_b128 v[26:29], v1 offset:1376
	s_wait_loadcnt_dscnt 0x401
	v_mul_f64_e32 v[143:144], v[2:3], v[40:41]
	v_mul_f64_e32 v[40:41], v[4:5], v[40:41]
	v_add_f64_e32 v[30:31], v[30:31], v[34:35]
	v_add_f64_e32 v[32:33], v[36:37], v[141:142]
	s_wait_loadcnt_dscnt 0x300
	v_mul_f64_e32 v[34:35], v[26:27], v[8:9]
	v_mul_f64_e32 v[8:9], v[28:29], v[8:9]
	v_fma_f64 v[36:37], v[4:5], v[38:39], v[143:144]
	v_fma_f64 v[38:39], v[2:3], v[38:39], -v[40:41]
	v_add_f64_e32 v[30:31], v[30:31], v[22:23]
	v_add_f64_e32 v[32:33], v[32:33], v[24:25]
	ds_load_b128 v[2:5], v1 offset:1392
	ds_load_b128 v[22:25], v1 offset:1408
	v_fma_f64 v[28:29], v[28:29], v[6:7], v[34:35]
	v_fma_f64 v[6:7], v[26:27], v[6:7], -v[8:9]
	s_wait_loadcnt_dscnt 0x201
	v_mul_f64_e32 v[40:41], v[2:3], v[12:13]
	v_mul_f64_e32 v[12:13], v[4:5], v[12:13]
	v_add_f64_e32 v[8:9], v[30:31], v[38:39]
	v_add_f64_e32 v[26:27], v[32:33], v[36:37]
	s_wait_loadcnt_dscnt 0x100
	v_mul_f64_e32 v[30:31], v[22:23], v[16:17]
	v_mul_f64_e32 v[16:17], v[24:25], v[16:17]
	v_fma_f64 v[32:33], v[4:5], v[10:11], v[40:41]
	v_fma_f64 v[10:11], v[2:3], v[10:11], -v[12:13]
	ds_load_b128 v[2:5], v1 offset:1424
	v_add_f64_e32 v[6:7], v[8:9], v[6:7]
	v_add_f64_e32 v[8:9], v[26:27], v[28:29]
	v_fma_f64 v[24:25], v[24:25], v[14:15], v[30:31]
	v_fma_f64 v[14:15], v[22:23], v[14:15], -v[16:17]
	s_wait_loadcnt_dscnt 0x0
	v_mul_f64_e32 v[12:13], v[2:3], v[20:21]
	v_mul_f64_e32 v[20:21], v[4:5], v[20:21]
	v_add_f64_e32 v[6:7], v[6:7], v[10:11]
	v_add_f64_e32 v[8:9], v[8:9], v[32:33]
	s_delay_alu instid0(VALU_DEP_4) | instskip(NEXT) | instid1(VALU_DEP_4)
	v_fma_f64 v[4:5], v[4:5], v[18:19], v[12:13]
	v_fma_f64 v[2:3], v[2:3], v[18:19], -v[20:21]
	s_delay_alu instid0(VALU_DEP_4) | instskip(NEXT) | instid1(VALU_DEP_4)
	v_add_f64_e32 v[6:7], v[6:7], v[14:15]
	v_add_f64_e32 v[8:9], v[8:9], v[24:25]
	s_delay_alu instid0(VALU_DEP_2) | instskip(NEXT) | instid1(VALU_DEP_2)
	v_add_f64_e32 v[2:3], v[6:7], v[2:3]
	v_add_f64_e32 v[4:5], v[8:9], v[4:5]
	s_delay_alu instid0(VALU_DEP_2) | instskip(NEXT) | instid1(VALU_DEP_2)
	v_add_f64_e64 v[2:3], v[42:43], -v[2:3]
	v_add_f64_e64 v[4:5], v[44:45], -v[4:5]
	scratch_store_b128 off, v[2:5], off offset:160
	v_cmpx_lt_u32_e32 8, v0
	s_cbranch_execz .LBB44_267
; %bb.266:
	scratch_load_b128 v[5:8], off, s50
	v_dual_mov_b32 v2, v1 :: v_dual_mov_b32 v3, v1
	v_mov_b32_e32 v4, v1
	scratch_store_b128 off, v[1:4], off offset:144
	s_wait_loadcnt 0x0
	ds_store_b128 v136, v[5:8]
.LBB44_267:
	s_wait_alu 0xfffe
	s_or_b32 exec_lo, exec_lo, s0
	s_wait_storecnt_dscnt 0x0
	s_barrier_signal -1
	s_barrier_wait -1
	global_inv scope:SCOPE_SE
	s_clause 0x8
	scratch_load_b128 v[2:5], off, off offset:160
	scratch_load_b128 v[6:9], off, off offset:176
	;; [unrolled: 1-line block ×9, first 2 shown]
	ds_load_b128 v[38:41], v1 offset:864
	ds_load_b128 v[42:45], v1 offset:880
	s_clause 0x1
	scratch_load_b128 v[137:140], off, off offset:144
	scratch_load_b128 v[141:144], off, off offset:304
	s_mov_b32 s0, exec_lo
	s_wait_loadcnt_dscnt 0xa01
	v_mul_f64_e32 v[145:146], v[40:41], v[4:5]
	v_mul_f64_e32 v[4:5], v[38:39], v[4:5]
	s_wait_loadcnt_dscnt 0x900
	v_mul_f64_e32 v[149:150], v[42:43], v[8:9]
	v_mul_f64_e32 v[8:9], v[44:45], v[8:9]
	s_delay_alu instid0(VALU_DEP_4) | instskip(NEXT) | instid1(VALU_DEP_4)
	v_fma_f64 v[151:152], v[38:39], v[2:3], -v[145:146]
	v_fma_f64 v[153:154], v[40:41], v[2:3], v[4:5]
	ds_load_b128 v[2:5], v1 offset:896
	ds_load_b128 v[145:148], v1 offset:912
	scratch_load_b128 v[38:41], off, off offset:320
	v_fma_f64 v[44:45], v[44:45], v[6:7], v[149:150]
	v_fma_f64 v[42:43], v[42:43], v[6:7], -v[8:9]
	scratch_load_b128 v[6:9], off, off offset:336
	s_wait_loadcnt_dscnt 0xa01
	v_mul_f64_e32 v[155:156], v[2:3], v[12:13]
	v_mul_f64_e32 v[12:13], v[4:5], v[12:13]
	v_add_f64_e32 v[149:150], 0, v[151:152]
	v_add_f64_e32 v[151:152], 0, v[153:154]
	s_wait_loadcnt_dscnt 0x900
	v_mul_f64_e32 v[153:154], v[145:146], v[16:17]
	v_mul_f64_e32 v[16:17], v[147:148], v[16:17]
	v_fma_f64 v[155:156], v[4:5], v[10:11], v[155:156]
	v_fma_f64 v[157:158], v[2:3], v[10:11], -v[12:13]
	ds_load_b128 v[2:5], v1 offset:928
	scratch_load_b128 v[10:13], off, off offset:352
	v_add_f64_e32 v[149:150], v[149:150], v[42:43]
	v_add_f64_e32 v[151:152], v[151:152], v[44:45]
	ds_load_b128 v[42:45], v1 offset:944
	v_fma_f64 v[147:148], v[147:148], v[14:15], v[153:154]
	v_fma_f64 v[145:146], v[145:146], v[14:15], -v[16:17]
	scratch_load_b128 v[14:17], off, off offset:368
	s_wait_loadcnt_dscnt 0xa01
	v_mul_f64_e32 v[159:160], v[2:3], v[20:21]
	v_mul_f64_e32 v[20:21], v[4:5], v[20:21]
	s_wait_loadcnt_dscnt 0x900
	v_mul_f64_e32 v[153:154], v[42:43], v[24:25]
	v_mul_f64_e32 v[24:25], v[44:45], v[24:25]
	v_add_f64_e32 v[149:150], v[149:150], v[157:158]
	v_add_f64_e32 v[151:152], v[151:152], v[155:156]
	v_fma_f64 v[155:156], v[4:5], v[18:19], v[159:160]
	v_fma_f64 v[157:158], v[2:3], v[18:19], -v[20:21]
	ds_load_b128 v[2:5], v1 offset:960
	scratch_load_b128 v[18:21], off, off offset:384
	v_fma_f64 v[44:45], v[44:45], v[22:23], v[153:154]
	v_fma_f64 v[42:43], v[42:43], v[22:23], -v[24:25]
	scratch_load_b128 v[22:25], off, off offset:400
	v_add_f64_e32 v[149:150], v[149:150], v[145:146]
	v_add_f64_e32 v[151:152], v[151:152], v[147:148]
	ds_load_b128 v[145:148], v1 offset:976
	s_wait_loadcnt_dscnt 0xa01
	v_mul_f64_e32 v[159:160], v[2:3], v[28:29]
	v_mul_f64_e32 v[28:29], v[4:5], v[28:29]
	s_wait_loadcnt_dscnt 0x900
	v_mul_f64_e32 v[153:154], v[145:146], v[32:33]
	v_mul_f64_e32 v[32:33], v[147:148], v[32:33]
	v_add_f64_e32 v[149:150], v[149:150], v[157:158]
	v_add_f64_e32 v[151:152], v[151:152], v[155:156]
	v_fma_f64 v[155:156], v[4:5], v[26:27], v[159:160]
	v_fma_f64 v[157:158], v[2:3], v[26:27], -v[28:29]
	ds_load_b128 v[2:5], v1 offset:992
	scratch_load_b128 v[26:29], off, off offset:416
	v_fma_f64 v[147:148], v[147:148], v[30:31], v[153:154]
	v_fma_f64 v[145:146], v[145:146], v[30:31], -v[32:33]
	scratch_load_b128 v[30:33], off, off offset:432
	v_add_f64_e32 v[149:150], v[149:150], v[42:43]
	v_add_f64_e32 v[151:152], v[151:152], v[44:45]
	ds_load_b128 v[42:45], v1 offset:1008
	s_wait_loadcnt_dscnt 0xa01
	v_mul_f64_e32 v[159:160], v[2:3], v[36:37]
	v_mul_f64_e32 v[36:37], v[4:5], v[36:37]
	s_wait_loadcnt_dscnt 0x800
	v_mul_f64_e32 v[153:154], v[42:43], v[143:144]
	v_add_f64_e32 v[149:150], v[149:150], v[157:158]
	v_add_f64_e32 v[151:152], v[151:152], v[155:156]
	v_mul_f64_e32 v[155:156], v[44:45], v[143:144]
	v_fma_f64 v[157:158], v[4:5], v[34:35], v[159:160]
	v_fma_f64 v[159:160], v[2:3], v[34:35], -v[36:37]
	ds_load_b128 v[2:5], v1 offset:1024
	scratch_load_b128 v[34:37], off, off offset:448
	v_fma_f64 v[44:45], v[44:45], v[141:142], v[153:154]
	v_add_f64_e32 v[149:150], v[149:150], v[145:146]
	v_add_f64_e32 v[147:148], v[151:152], v[147:148]
	ds_load_b128 v[143:146], v1 offset:1040
	v_fma_f64 v[141:142], v[42:43], v[141:142], -v[155:156]
	s_wait_loadcnt_dscnt 0x801
	v_mul_f64_e32 v[151:152], v[2:3], v[40:41]
	v_mul_f64_e32 v[161:162], v[4:5], v[40:41]
	scratch_load_b128 v[40:43], off, off offset:464
	s_wait_loadcnt_dscnt 0x800
	v_mul_f64_e32 v[155:156], v[143:144], v[8:9]
	v_mul_f64_e32 v[8:9], v[145:146], v[8:9]
	v_add_f64_e32 v[149:150], v[149:150], v[159:160]
	v_add_f64_e32 v[147:148], v[147:148], v[157:158]
	v_fma_f64 v[157:158], v[4:5], v[38:39], v[151:152]
	v_fma_f64 v[38:39], v[2:3], v[38:39], -v[161:162]
	ds_load_b128 v[2:5], v1 offset:1056
	ds_load_b128 v[151:154], v1 offset:1072
	v_fma_f64 v[145:146], v[145:146], v[6:7], v[155:156]
	v_fma_f64 v[143:144], v[143:144], v[6:7], -v[8:9]
	scratch_load_b128 v[6:9], off, off offset:496
	v_add_f64_e32 v[141:142], v[149:150], v[141:142]
	v_add_f64_e32 v[44:45], v[147:148], v[44:45]
	scratch_load_b128 v[147:150], off, off offset:480
	s_wait_loadcnt_dscnt 0x901
	v_mul_f64_e32 v[159:160], v[2:3], v[12:13]
	v_mul_f64_e32 v[12:13], v[4:5], v[12:13]
	s_wait_loadcnt_dscnt 0x800
	v_mul_f64_e32 v[155:156], v[151:152], v[16:17]
	v_mul_f64_e32 v[16:17], v[153:154], v[16:17]
	v_add_f64_e32 v[38:39], v[141:142], v[38:39]
	v_add_f64_e32 v[44:45], v[44:45], v[157:158]
	v_fma_f64 v[157:158], v[4:5], v[10:11], v[159:160]
	v_fma_f64 v[159:160], v[2:3], v[10:11], -v[12:13]
	ds_load_b128 v[2:5], v1 offset:1088
	scratch_load_b128 v[10:13], off, off offset:512
	v_fma_f64 v[153:154], v[153:154], v[14:15], v[155:156]
	v_fma_f64 v[151:152], v[151:152], v[14:15], -v[16:17]
	scratch_load_b128 v[14:17], off, off offset:528
	v_add_f64_e32 v[38:39], v[38:39], v[143:144]
	v_add_f64_e32 v[44:45], v[44:45], v[145:146]
	ds_load_b128 v[141:144], v1 offset:1104
	s_wait_loadcnt_dscnt 0x901
	v_mul_f64_e32 v[145:146], v[2:3], v[20:21]
	v_mul_f64_e32 v[20:21], v[4:5], v[20:21]
	s_wait_loadcnt_dscnt 0x800
	v_mul_f64_e32 v[155:156], v[141:142], v[24:25]
	v_mul_f64_e32 v[24:25], v[143:144], v[24:25]
	v_add_f64_e32 v[38:39], v[38:39], v[159:160]
	v_add_f64_e32 v[44:45], v[44:45], v[157:158]
	v_fma_f64 v[145:146], v[4:5], v[18:19], v[145:146]
	v_fma_f64 v[157:158], v[2:3], v[18:19], -v[20:21]
	ds_load_b128 v[2:5], v1 offset:1120
	scratch_load_b128 v[18:21], off, off offset:544
	v_fma_f64 v[143:144], v[143:144], v[22:23], v[155:156]
	v_fma_f64 v[141:142], v[141:142], v[22:23], -v[24:25]
	scratch_load_b128 v[22:25], off, off offset:560
	v_add_f64_e32 v[38:39], v[38:39], v[151:152]
	v_add_f64_e32 v[44:45], v[44:45], v[153:154]
	ds_load_b128 v[151:154], v1 offset:1136
	s_wait_loadcnt_dscnt 0x901
	v_mul_f64_e32 v[159:160], v[2:3], v[28:29]
	v_mul_f64_e32 v[28:29], v[4:5], v[28:29]
	v_add_f64_e32 v[38:39], v[38:39], v[157:158]
	v_add_f64_e32 v[44:45], v[44:45], v[145:146]
	s_wait_loadcnt_dscnt 0x800
	v_mul_f64_e32 v[145:146], v[151:152], v[32:33]
	v_mul_f64_e32 v[32:33], v[153:154], v[32:33]
	v_fma_f64 v[155:156], v[4:5], v[26:27], v[159:160]
	v_fma_f64 v[157:158], v[2:3], v[26:27], -v[28:29]
	ds_load_b128 v[2:5], v1 offset:1152
	scratch_load_b128 v[26:29], off, off offset:576
	v_add_f64_e32 v[38:39], v[38:39], v[141:142]
	v_add_f64_e32 v[44:45], v[44:45], v[143:144]
	ds_load_b128 v[141:144], v1 offset:1168
	s_wait_loadcnt_dscnt 0x801
	v_mul_f64_e32 v[159:160], v[2:3], v[36:37]
	v_mul_f64_e32 v[36:37], v[4:5], v[36:37]
	v_fma_f64 v[145:146], v[153:154], v[30:31], v[145:146]
	v_fma_f64 v[151:152], v[151:152], v[30:31], -v[32:33]
	scratch_load_b128 v[30:33], off, off offset:592
	s_wait_loadcnt_dscnt 0x800
	v_mul_f64_e32 v[153:154], v[141:142], v[42:43]
	v_add_f64_e32 v[38:39], v[38:39], v[157:158]
	v_add_f64_e32 v[44:45], v[44:45], v[155:156]
	v_mul_f64_e32 v[155:156], v[143:144], v[42:43]
	v_fma_f64 v[157:158], v[4:5], v[34:35], v[159:160]
	v_fma_f64 v[159:160], v[2:3], v[34:35], -v[36:37]
	ds_load_b128 v[2:5], v1 offset:1184
	scratch_load_b128 v[34:37], off, off offset:608
	v_fma_f64 v[143:144], v[143:144], v[40:41], v[153:154]
	v_add_f64_e32 v[38:39], v[38:39], v[151:152]
	v_add_f64_e32 v[145:146], v[44:45], v[145:146]
	ds_load_b128 v[42:45], v1 offset:1200
	v_fma_f64 v[141:142], v[141:142], v[40:41], -v[155:156]
	s_wait_loadcnt_dscnt 0x701
	v_mul_f64_e32 v[151:152], v[2:3], v[149:150]
	v_mul_f64_e32 v[149:150], v[4:5], v[149:150]
	s_wait_dscnt 0x0
	v_mul_f64_e32 v[155:156], v[42:43], v[8:9]
	v_mul_f64_e32 v[8:9], v[44:45], v[8:9]
	v_add_f64_e32 v[153:154], v[38:39], v[159:160]
	v_add_f64_e32 v[145:146], v[145:146], v[157:158]
	scratch_load_b128 v[38:41], off, off offset:624
	v_fma_f64 v[151:152], v[4:5], v[147:148], v[151:152]
	v_fma_f64 v[149:150], v[2:3], v[147:148], -v[149:150]
	ds_load_b128 v[2:5], v1 offset:1216
	v_fma_f64 v[44:45], v[44:45], v[6:7], v[155:156]
	v_fma_f64 v[42:43], v[42:43], v[6:7], -v[8:9]
	scratch_load_b128 v[6:9], off, off offset:656
	v_add_f64_e32 v[153:154], v[153:154], v[141:142]
	v_add_f64_e32 v[157:158], v[145:146], v[143:144]
	scratch_load_b128 v[141:144], off, off offset:640
	ds_load_b128 v[145:148], v1 offset:1232
	s_wait_loadcnt_dscnt 0x901
	v_mul_f64_e32 v[159:160], v[2:3], v[12:13]
	v_mul_f64_e32 v[12:13], v[4:5], v[12:13]
	v_add_f64_e32 v[149:150], v[153:154], v[149:150]
	v_add_f64_e32 v[151:152], v[157:158], v[151:152]
	s_wait_loadcnt_dscnt 0x800
	v_mul_f64_e32 v[153:154], v[145:146], v[16:17]
	v_mul_f64_e32 v[16:17], v[147:148], v[16:17]
	v_fma_f64 v[155:156], v[4:5], v[10:11], v[159:160]
	v_fma_f64 v[157:158], v[2:3], v[10:11], -v[12:13]
	ds_load_b128 v[2:5], v1 offset:1248
	scratch_load_b128 v[10:13], off, off offset:672
	v_add_f64_e32 v[149:150], v[149:150], v[42:43]
	v_add_f64_e32 v[151:152], v[151:152], v[44:45]
	ds_load_b128 v[42:45], v1 offset:1264
	s_wait_loadcnt_dscnt 0x801
	v_mul_f64_e32 v[159:160], v[2:3], v[20:21]
	v_mul_f64_e32 v[20:21], v[4:5], v[20:21]
	v_fma_f64 v[147:148], v[147:148], v[14:15], v[153:154]
	v_fma_f64 v[145:146], v[145:146], v[14:15], -v[16:17]
	scratch_load_b128 v[14:17], off, off offset:688
	s_wait_loadcnt_dscnt 0x800
	v_mul_f64_e32 v[153:154], v[42:43], v[24:25]
	v_mul_f64_e32 v[24:25], v[44:45], v[24:25]
	v_add_f64_e32 v[149:150], v[149:150], v[157:158]
	v_add_f64_e32 v[151:152], v[151:152], v[155:156]
	v_fma_f64 v[155:156], v[4:5], v[18:19], v[159:160]
	v_fma_f64 v[157:158], v[2:3], v[18:19], -v[20:21]
	ds_load_b128 v[2:5], v1 offset:1280
	scratch_load_b128 v[18:21], off, off offset:704
	v_fma_f64 v[44:45], v[44:45], v[22:23], v[153:154]
	v_fma_f64 v[42:43], v[42:43], v[22:23], -v[24:25]
	scratch_load_b128 v[22:25], off, off offset:720
	v_add_f64_e32 v[149:150], v[149:150], v[145:146]
	v_add_f64_e32 v[151:152], v[151:152], v[147:148]
	ds_load_b128 v[145:148], v1 offset:1296
	s_wait_loadcnt_dscnt 0x901
	v_mul_f64_e32 v[159:160], v[2:3], v[28:29]
	v_mul_f64_e32 v[28:29], v[4:5], v[28:29]
	s_wait_loadcnt_dscnt 0x800
	v_mul_f64_e32 v[153:154], v[145:146], v[32:33]
	v_mul_f64_e32 v[32:33], v[147:148], v[32:33]
	v_add_f64_e32 v[149:150], v[149:150], v[157:158]
	v_add_f64_e32 v[151:152], v[151:152], v[155:156]
	v_fma_f64 v[155:156], v[4:5], v[26:27], v[159:160]
	v_fma_f64 v[157:158], v[2:3], v[26:27], -v[28:29]
	ds_load_b128 v[2:5], v1 offset:1312
	ds_load_b128 v[26:29], v1 offset:1328
	v_fma_f64 v[147:148], v[147:148], v[30:31], v[153:154]
	v_fma_f64 v[30:31], v[145:146], v[30:31], -v[32:33]
	v_add_f64_e32 v[42:43], v[149:150], v[42:43]
	v_add_f64_e32 v[44:45], v[151:152], v[44:45]
	s_wait_loadcnt_dscnt 0x701
	v_mul_f64_e32 v[149:150], v[2:3], v[36:37]
	v_mul_f64_e32 v[36:37], v[4:5], v[36:37]
	s_delay_alu instid0(VALU_DEP_4) | instskip(NEXT) | instid1(VALU_DEP_4)
	v_add_f64_e32 v[32:33], v[42:43], v[157:158]
	v_add_f64_e32 v[42:43], v[44:45], v[155:156]
	s_delay_alu instid0(VALU_DEP_4) | instskip(NEXT) | instid1(VALU_DEP_4)
	v_fma_f64 v[145:146], v[4:5], v[34:35], v[149:150]
	v_fma_f64 v[34:35], v[2:3], v[34:35], -v[36:37]
	s_wait_loadcnt_dscnt 0x600
	v_mul_f64_e32 v[44:45], v[26:27], v[40:41]
	v_mul_f64_e32 v[40:41], v[28:29], v[40:41]
	v_add_f64_e32 v[36:37], v[32:33], v[30:31]
	v_add_f64_e32 v[42:43], v[42:43], v[147:148]
	ds_load_b128 v[2:5], v1 offset:1344
	ds_load_b128 v[30:33], v1 offset:1360
	v_fma_f64 v[28:29], v[28:29], v[38:39], v[44:45]
	v_fma_f64 v[26:27], v[26:27], v[38:39], -v[40:41]
	s_wait_loadcnt_dscnt 0x401
	v_mul_f64_e32 v[147:148], v[2:3], v[143:144]
	v_mul_f64_e32 v[143:144], v[4:5], v[143:144]
	s_wait_dscnt 0x0
	v_mul_f64_e32 v[38:39], v[30:31], v[8:9]
	v_mul_f64_e32 v[8:9], v[32:33], v[8:9]
	v_add_f64_e32 v[34:35], v[36:37], v[34:35]
	v_add_f64_e32 v[36:37], v[42:43], v[145:146]
	v_fma_f64 v[40:41], v[4:5], v[141:142], v[147:148]
	v_fma_f64 v[42:43], v[2:3], v[141:142], -v[143:144]
	v_fma_f64 v[32:33], v[32:33], v[6:7], v[38:39]
	v_fma_f64 v[6:7], v[30:31], v[6:7], -v[8:9]
	v_add_f64_e32 v[34:35], v[34:35], v[26:27]
	v_add_f64_e32 v[36:37], v[36:37], v[28:29]
	ds_load_b128 v[2:5], v1 offset:1376
	ds_load_b128 v[26:29], v1 offset:1392
	s_wait_loadcnt_dscnt 0x301
	v_mul_f64_e32 v[44:45], v[2:3], v[12:13]
	v_mul_f64_e32 v[12:13], v[4:5], v[12:13]
	v_add_f64_e32 v[8:9], v[34:35], v[42:43]
	v_add_f64_e32 v[30:31], v[36:37], v[40:41]
	s_wait_loadcnt_dscnt 0x200
	v_mul_f64_e32 v[34:35], v[26:27], v[16:17]
	v_mul_f64_e32 v[16:17], v[28:29], v[16:17]
	v_fma_f64 v[36:37], v[4:5], v[10:11], v[44:45]
	v_fma_f64 v[10:11], v[2:3], v[10:11], -v[12:13]
	v_add_f64_e32 v[12:13], v[8:9], v[6:7]
	v_add_f64_e32 v[30:31], v[30:31], v[32:33]
	ds_load_b128 v[2:5], v1 offset:1408
	ds_load_b128 v[6:9], v1 offset:1424
	v_fma_f64 v[28:29], v[28:29], v[14:15], v[34:35]
	v_fma_f64 v[14:15], v[26:27], v[14:15], -v[16:17]
	s_wait_loadcnt_dscnt 0x101
	v_mul_f64_e32 v[32:33], v[2:3], v[20:21]
	v_mul_f64_e32 v[20:21], v[4:5], v[20:21]
	s_wait_loadcnt_dscnt 0x0
	v_mul_f64_e32 v[16:17], v[6:7], v[24:25]
	v_mul_f64_e32 v[24:25], v[8:9], v[24:25]
	v_add_f64_e32 v[10:11], v[12:13], v[10:11]
	v_add_f64_e32 v[12:13], v[30:31], v[36:37]
	v_fma_f64 v[4:5], v[4:5], v[18:19], v[32:33]
	v_fma_f64 v[1:2], v[2:3], v[18:19], -v[20:21]
	v_fma_f64 v[8:9], v[8:9], v[22:23], v[16:17]
	v_fma_f64 v[6:7], v[6:7], v[22:23], -v[24:25]
	v_add_f64_e32 v[10:11], v[10:11], v[14:15]
	v_add_f64_e32 v[12:13], v[12:13], v[28:29]
	s_delay_alu instid0(VALU_DEP_2) | instskip(NEXT) | instid1(VALU_DEP_2)
	v_add_f64_e32 v[1:2], v[10:11], v[1:2]
	v_add_f64_e32 v[3:4], v[12:13], v[4:5]
	s_delay_alu instid0(VALU_DEP_2) | instskip(NEXT) | instid1(VALU_DEP_2)
	;; [unrolled: 3-line block ×3, first 2 shown]
	v_add_f64_e64 v[1:2], v[137:138], -v[1:2]
	v_add_f64_e64 v[3:4], v[139:140], -v[3:4]
	scratch_store_b128 off, v[1:4], off offset:144
	v_cmpx_lt_u32_e32 7, v0
	s_cbranch_execz .LBB44_269
; %bb.268:
	scratch_load_b128 v[1:4], off, s51
	v_mov_b32_e32 v5, 0
	s_delay_alu instid0(VALU_DEP_1)
	v_dual_mov_b32 v6, v5 :: v_dual_mov_b32 v7, v5
	v_mov_b32_e32 v8, v5
	scratch_store_b128 off, v[5:8], off offset:128
	s_wait_loadcnt 0x0
	ds_store_b128 v136, v[1:4]
.LBB44_269:
	s_wait_alu 0xfffe
	s_or_b32 exec_lo, exec_lo, s0
	s_wait_storecnt_dscnt 0x0
	s_barrier_signal -1
	s_barrier_wait -1
	global_inv scope:SCOPE_SE
	s_clause 0x7
	scratch_load_b128 v[2:5], off, off offset:144
	scratch_load_b128 v[6:9], off, off offset:160
	;; [unrolled: 1-line block ×8, first 2 shown]
	v_mov_b32_e32 v1, 0
	s_mov_b32 s0, exec_lo
	ds_load_b128 v[38:41], v1 offset:848
	s_clause 0x1
	scratch_load_b128 v[34:37], off, off offset:272
	scratch_load_b128 v[42:45], off, off offset:128
	ds_load_b128 v[137:140], v1 offset:864
	scratch_load_b128 v[141:144], off, off offset:288
	s_wait_loadcnt_dscnt 0xa01
	v_mul_f64_e32 v[145:146], v[40:41], v[4:5]
	v_mul_f64_e32 v[4:5], v[38:39], v[4:5]
	s_delay_alu instid0(VALU_DEP_2) | instskip(NEXT) | instid1(VALU_DEP_2)
	v_fma_f64 v[151:152], v[38:39], v[2:3], -v[145:146]
	v_fma_f64 v[153:154], v[40:41], v[2:3], v[4:5]
	ds_load_b128 v[2:5], v1 offset:880
	s_wait_loadcnt_dscnt 0x901
	v_mul_f64_e32 v[149:150], v[137:138], v[8:9]
	v_mul_f64_e32 v[8:9], v[139:140], v[8:9]
	scratch_load_b128 v[38:41], off, off offset:304
	ds_load_b128 v[145:148], v1 offset:896
	s_wait_loadcnt_dscnt 0x901
	v_mul_f64_e32 v[155:156], v[2:3], v[12:13]
	v_mul_f64_e32 v[12:13], v[4:5], v[12:13]
	v_fma_f64 v[139:140], v[139:140], v[6:7], v[149:150]
	v_fma_f64 v[137:138], v[137:138], v[6:7], -v[8:9]
	v_add_f64_e32 v[149:150], 0, v[151:152]
	v_add_f64_e32 v[151:152], 0, v[153:154]
	scratch_load_b128 v[6:9], off, off offset:320
	v_fma_f64 v[155:156], v[4:5], v[10:11], v[155:156]
	v_fma_f64 v[157:158], v[2:3], v[10:11], -v[12:13]
	ds_load_b128 v[2:5], v1 offset:912
	s_wait_loadcnt_dscnt 0x901
	v_mul_f64_e32 v[153:154], v[145:146], v[16:17]
	v_mul_f64_e32 v[16:17], v[147:148], v[16:17]
	scratch_load_b128 v[10:13], off, off offset:336
	v_add_f64_e32 v[149:150], v[149:150], v[137:138]
	v_add_f64_e32 v[151:152], v[151:152], v[139:140]
	s_wait_loadcnt_dscnt 0x900
	v_mul_f64_e32 v[159:160], v[2:3], v[20:21]
	v_mul_f64_e32 v[20:21], v[4:5], v[20:21]
	ds_load_b128 v[137:140], v1 offset:928
	v_fma_f64 v[147:148], v[147:148], v[14:15], v[153:154]
	v_fma_f64 v[145:146], v[145:146], v[14:15], -v[16:17]
	scratch_load_b128 v[14:17], off, off offset:352
	v_add_f64_e32 v[149:150], v[149:150], v[157:158]
	v_add_f64_e32 v[151:152], v[151:152], v[155:156]
	v_fma_f64 v[155:156], v[4:5], v[18:19], v[159:160]
	v_fma_f64 v[157:158], v[2:3], v[18:19], -v[20:21]
	ds_load_b128 v[2:5], v1 offset:944
	s_wait_loadcnt_dscnt 0x901
	v_mul_f64_e32 v[153:154], v[137:138], v[24:25]
	v_mul_f64_e32 v[24:25], v[139:140], v[24:25]
	scratch_load_b128 v[18:21], off, off offset:368
	s_wait_loadcnt_dscnt 0x900
	v_mul_f64_e32 v[159:160], v[2:3], v[28:29]
	v_mul_f64_e32 v[28:29], v[4:5], v[28:29]
	v_add_f64_e32 v[149:150], v[149:150], v[145:146]
	v_add_f64_e32 v[151:152], v[151:152], v[147:148]
	ds_load_b128 v[145:148], v1 offset:960
	v_fma_f64 v[139:140], v[139:140], v[22:23], v[153:154]
	v_fma_f64 v[137:138], v[137:138], v[22:23], -v[24:25]
	scratch_load_b128 v[22:25], off, off offset:384
	v_add_f64_e32 v[149:150], v[149:150], v[157:158]
	v_add_f64_e32 v[151:152], v[151:152], v[155:156]
	v_fma_f64 v[155:156], v[4:5], v[26:27], v[159:160]
	v_fma_f64 v[157:158], v[2:3], v[26:27], -v[28:29]
	ds_load_b128 v[2:5], v1 offset:976
	s_wait_loadcnt_dscnt 0x901
	v_mul_f64_e32 v[153:154], v[145:146], v[32:33]
	v_mul_f64_e32 v[32:33], v[147:148], v[32:33]
	scratch_load_b128 v[26:29], off, off offset:400
	s_wait_loadcnt_dscnt 0x900
	v_mul_f64_e32 v[159:160], v[2:3], v[36:37]
	v_mul_f64_e32 v[36:37], v[4:5], v[36:37]
	v_add_f64_e32 v[149:150], v[149:150], v[137:138]
	v_add_f64_e32 v[151:152], v[151:152], v[139:140]
	ds_load_b128 v[137:140], v1 offset:992
	v_fma_f64 v[147:148], v[147:148], v[30:31], v[153:154]
	v_fma_f64 v[145:146], v[145:146], v[30:31], -v[32:33]
	scratch_load_b128 v[30:33], off, off offset:416
	v_add_f64_e32 v[149:150], v[149:150], v[157:158]
	v_add_f64_e32 v[151:152], v[151:152], v[155:156]
	v_fma_f64 v[157:158], v[4:5], v[34:35], v[159:160]
	v_fma_f64 v[159:160], v[2:3], v[34:35], -v[36:37]
	ds_load_b128 v[2:5], v1 offset:1008
	s_wait_loadcnt_dscnt 0x801
	v_mul_f64_e32 v[153:154], v[137:138], v[143:144]
	v_mul_f64_e32 v[155:156], v[139:140], v[143:144]
	scratch_load_b128 v[34:37], off, off offset:432
	v_add_f64_e32 v[149:150], v[149:150], v[145:146]
	v_add_f64_e32 v[147:148], v[151:152], v[147:148]
	ds_load_b128 v[143:146], v1 offset:1024
	v_fma_f64 v[153:154], v[139:140], v[141:142], v[153:154]
	v_fma_f64 v[141:142], v[137:138], v[141:142], -v[155:156]
	scratch_load_b128 v[137:140], off, off offset:448
	s_wait_loadcnt_dscnt 0x901
	v_mul_f64_e32 v[151:152], v[2:3], v[40:41]
	v_mul_f64_e32 v[40:41], v[4:5], v[40:41]
	v_add_f64_e32 v[149:150], v[149:150], v[159:160]
	v_add_f64_e32 v[147:148], v[147:148], v[157:158]
	s_delay_alu instid0(VALU_DEP_4) | instskip(NEXT) | instid1(VALU_DEP_4)
	v_fma_f64 v[151:152], v[4:5], v[38:39], v[151:152]
	v_fma_f64 v[157:158], v[2:3], v[38:39], -v[40:41]
	ds_load_b128 v[2:5], v1 offset:1040
	s_wait_loadcnt_dscnt 0x801
	v_mul_f64_e32 v[155:156], v[143:144], v[8:9]
	v_mul_f64_e32 v[8:9], v[145:146], v[8:9]
	scratch_load_b128 v[38:41], off, off offset:464
	s_wait_loadcnt_dscnt 0x800
	v_mul_f64_e32 v[159:160], v[2:3], v[12:13]
	v_add_f64_e32 v[141:142], v[149:150], v[141:142]
	v_add_f64_e32 v[153:154], v[147:148], v[153:154]
	v_mul_f64_e32 v[12:13], v[4:5], v[12:13]
	ds_load_b128 v[147:150], v1 offset:1056
	v_fma_f64 v[145:146], v[145:146], v[6:7], v[155:156]
	v_fma_f64 v[143:144], v[143:144], v[6:7], -v[8:9]
	scratch_load_b128 v[6:9], off, off offset:480
	v_fma_f64 v[155:156], v[4:5], v[10:11], v[159:160]
	v_add_f64_e32 v[141:142], v[141:142], v[157:158]
	v_add_f64_e32 v[151:152], v[153:154], v[151:152]
	v_fma_f64 v[157:158], v[2:3], v[10:11], -v[12:13]
	ds_load_b128 v[2:5], v1 offset:1072
	s_wait_loadcnt_dscnt 0x801
	v_mul_f64_e32 v[153:154], v[147:148], v[16:17]
	v_mul_f64_e32 v[16:17], v[149:150], v[16:17]
	scratch_load_b128 v[10:13], off, off offset:496
	v_add_f64_e32 v[159:160], v[141:142], v[143:144]
	v_add_f64_e32 v[145:146], v[151:152], v[145:146]
	s_wait_loadcnt_dscnt 0x800
	v_mul_f64_e32 v[151:152], v[2:3], v[20:21]
	v_mul_f64_e32 v[20:21], v[4:5], v[20:21]
	v_fma_f64 v[149:150], v[149:150], v[14:15], v[153:154]
	v_fma_f64 v[147:148], v[147:148], v[14:15], -v[16:17]
	ds_load_b128 v[141:144], v1 offset:1088
	scratch_load_b128 v[14:17], off, off offset:512
	v_add_f64_e32 v[153:154], v[159:160], v[157:158]
	v_add_f64_e32 v[145:146], v[145:146], v[155:156]
	v_fma_f64 v[151:152], v[4:5], v[18:19], v[151:152]
	v_fma_f64 v[157:158], v[2:3], v[18:19], -v[20:21]
	ds_load_b128 v[2:5], v1 offset:1104
	s_wait_loadcnt_dscnt 0x801
	v_mul_f64_e32 v[155:156], v[141:142], v[24:25]
	v_mul_f64_e32 v[24:25], v[143:144], v[24:25]
	scratch_load_b128 v[18:21], off, off offset:528
	s_wait_loadcnt_dscnt 0x800
	v_mul_f64_e32 v[159:160], v[2:3], v[28:29]
	v_mul_f64_e32 v[28:29], v[4:5], v[28:29]
	v_add_f64_e32 v[153:154], v[153:154], v[147:148]
	v_add_f64_e32 v[149:150], v[145:146], v[149:150]
	ds_load_b128 v[145:148], v1 offset:1120
	v_fma_f64 v[143:144], v[143:144], v[22:23], v[155:156]
	v_fma_f64 v[141:142], v[141:142], v[22:23], -v[24:25]
	scratch_load_b128 v[22:25], off, off offset:544
	v_fma_f64 v[155:156], v[4:5], v[26:27], v[159:160]
	v_add_f64_e32 v[153:154], v[153:154], v[157:158]
	v_add_f64_e32 v[149:150], v[149:150], v[151:152]
	v_fma_f64 v[157:158], v[2:3], v[26:27], -v[28:29]
	ds_load_b128 v[2:5], v1 offset:1136
	s_wait_loadcnt_dscnt 0x801
	v_mul_f64_e32 v[151:152], v[145:146], v[32:33]
	v_mul_f64_e32 v[32:33], v[147:148], v[32:33]
	scratch_load_b128 v[26:29], off, off offset:560
	s_wait_loadcnt_dscnt 0x800
	v_mul_f64_e32 v[159:160], v[2:3], v[36:37]
	v_mul_f64_e32 v[36:37], v[4:5], v[36:37]
	v_add_f64_e32 v[153:154], v[153:154], v[141:142]
	v_add_f64_e32 v[149:150], v[149:150], v[143:144]
	ds_load_b128 v[141:144], v1 offset:1152
	v_fma_f64 v[147:148], v[147:148], v[30:31], v[151:152]
	v_fma_f64 v[145:146], v[145:146], v[30:31], -v[32:33]
	scratch_load_b128 v[30:33], off, off offset:576
	v_add_f64_e32 v[151:152], v[153:154], v[157:158]
	v_add_f64_e32 v[149:150], v[149:150], v[155:156]
	v_fma_f64 v[155:156], v[4:5], v[34:35], v[159:160]
	v_fma_f64 v[157:158], v[2:3], v[34:35], -v[36:37]
	ds_load_b128 v[2:5], v1 offset:1168
	s_wait_loadcnt_dscnt 0x801
	v_mul_f64_e32 v[153:154], v[141:142], v[139:140]
	v_mul_f64_e32 v[139:140], v[143:144], v[139:140]
	scratch_load_b128 v[34:37], off, off offset:592
	s_wait_loadcnt_dscnt 0x800
	v_mul_f64_e32 v[159:160], v[2:3], v[40:41]
	v_mul_f64_e32 v[40:41], v[4:5], v[40:41]
	v_add_f64_e32 v[151:152], v[151:152], v[145:146]
	v_add_f64_e32 v[149:150], v[149:150], v[147:148]
	ds_load_b128 v[145:148], v1 offset:1184
	v_fma_f64 v[143:144], v[143:144], v[137:138], v[153:154]
	v_fma_f64 v[141:142], v[141:142], v[137:138], -v[139:140]
	scratch_load_b128 v[137:140], off, off offset:608
	v_add_f64_e32 v[151:152], v[151:152], v[157:158]
	v_add_f64_e32 v[149:150], v[149:150], v[155:156]
	v_fma_f64 v[155:156], v[4:5], v[38:39], v[159:160]
	;; [unrolled: 18-line block ×5, first 2 shown]
	v_fma_f64 v[157:158], v[2:3], v[26:27], -v[28:29]
	ds_load_b128 v[2:5], v1 offset:1296
	s_wait_loadcnt_dscnt 0x801
	v_mul_f64_e32 v[153:154], v[141:142], v[32:33]
	v_mul_f64_e32 v[32:33], v[143:144], v[32:33]
	scratch_load_b128 v[26:29], off, off offset:720
	s_wait_loadcnt_dscnt 0x800
	v_mul_f64_e32 v[159:160], v[2:3], v[36:37]
	v_mul_f64_e32 v[36:37], v[4:5], v[36:37]
	v_add_f64_e32 v[151:152], v[151:152], v[145:146]
	v_add_f64_e32 v[149:150], v[149:150], v[147:148]
	ds_load_b128 v[145:148], v1 offset:1312
	v_fma_f64 v[143:144], v[143:144], v[30:31], v[153:154]
	v_fma_f64 v[30:31], v[141:142], v[30:31], -v[32:33]
	v_add_f64_e32 v[32:33], v[151:152], v[157:158]
	v_add_f64_e32 v[141:142], v[149:150], v[155:156]
	s_wait_loadcnt_dscnt 0x700
	v_mul_f64_e32 v[149:150], v[145:146], v[139:140]
	v_mul_f64_e32 v[139:140], v[147:148], v[139:140]
	v_fma_f64 v[151:152], v[4:5], v[34:35], v[159:160]
	v_fma_f64 v[34:35], v[2:3], v[34:35], -v[36:37]
	v_add_f64_e32 v[36:37], v[32:33], v[30:31]
	v_add_f64_e32 v[141:142], v[141:142], v[143:144]
	ds_load_b128 v[2:5], v1 offset:1328
	ds_load_b128 v[30:33], v1 offset:1344
	v_fma_f64 v[147:148], v[147:148], v[137:138], v[149:150]
	v_fma_f64 v[137:138], v[145:146], v[137:138], -v[139:140]
	s_wait_loadcnt_dscnt 0x601
	v_mul_f64_e32 v[143:144], v[2:3], v[40:41]
	v_mul_f64_e32 v[40:41], v[4:5], v[40:41]
	s_wait_loadcnt_dscnt 0x500
	v_mul_f64_e32 v[139:140], v[30:31], v[8:9]
	v_mul_f64_e32 v[8:9], v[32:33], v[8:9]
	v_add_f64_e32 v[34:35], v[36:37], v[34:35]
	v_add_f64_e32 v[36:37], v[141:142], v[151:152]
	v_fma_f64 v[141:142], v[4:5], v[38:39], v[143:144]
	v_fma_f64 v[38:39], v[2:3], v[38:39], -v[40:41]
	v_fma_f64 v[32:33], v[32:33], v[6:7], v[139:140]
	v_fma_f64 v[6:7], v[30:31], v[6:7], -v[8:9]
	v_add_f64_e32 v[40:41], v[34:35], v[137:138]
	v_add_f64_e32 v[137:138], v[36:37], v[147:148]
	ds_load_b128 v[2:5], v1 offset:1360
	ds_load_b128 v[34:37], v1 offset:1376
	s_wait_loadcnt_dscnt 0x401
	v_mul_f64_e32 v[143:144], v[2:3], v[12:13]
	v_mul_f64_e32 v[12:13], v[4:5], v[12:13]
	v_add_f64_e32 v[8:9], v[40:41], v[38:39]
	v_add_f64_e32 v[30:31], v[137:138], v[141:142]
	s_wait_loadcnt_dscnt 0x300
	v_mul_f64_e32 v[38:39], v[34:35], v[16:17]
	v_mul_f64_e32 v[16:17], v[36:37], v[16:17]
	v_fma_f64 v[40:41], v[4:5], v[10:11], v[143:144]
	v_fma_f64 v[10:11], v[2:3], v[10:11], -v[12:13]
	v_add_f64_e32 v[12:13], v[8:9], v[6:7]
	v_add_f64_e32 v[30:31], v[30:31], v[32:33]
	ds_load_b128 v[2:5], v1 offset:1392
	ds_load_b128 v[6:9], v1 offset:1408
	v_fma_f64 v[36:37], v[36:37], v[14:15], v[38:39]
	v_fma_f64 v[14:15], v[34:35], v[14:15], -v[16:17]
	s_wait_loadcnt_dscnt 0x201
	v_mul_f64_e32 v[32:33], v[2:3], v[20:21]
	v_mul_f64_e32 v[20:21], v[4:5], v[20:21]
	s_wait_loadcnt_dscnt 0x100
	v_mul_f64_e32 v[16:17], v[6:7], v[24:25]
	v_mul_f64_e32 v[24:25], v[8:9], v[24:25]
	v_add_f64_e32 v[10:11], v[12:13], v[10:11]
	v_add_f64_e32 v[12:13], v[30:31], v[40:41]
	v_fma_f64 v[30:31], v[4:5], v[18:19], v[32:33]
	v_fma_f64 v[18:19], v[2:3], v[18:19], -v[20:21]
	ds_load_b128 v[2:5], v1 offset:1424
	v_fma_f64 v[8:9], v[8:9], v[22:23], v[16:17]
	v_fma_f64 v[6:7], v[6:7], v[22:23], -v[24:25]
	v_add_f64_e32 v[10:11], v[10:11], v[14:15]
	v_add_f64_e32 v[12:13], v[12:13], v[36:37]
	s_wait_loadcnt_dscnt 0x0
	v_mul_f64_e32 v[14:15], v[2:3], v[28:29]
	v_mul_f64_e32 v[20:21], v[4:5], v[28:29]
	s_delay_alu instid0(VALU_DEP_4) | instskip(NEXT) | instid1(VALU_DEP_4)
	v_add_f64_e32 v[10:11], v[10:11], v[18:19]
	v_add_f64_e32 v[12:13], v[12:13], v[30:31]
	s_delay_alu instid0(VALU_DEP_4) | instskip(NEXT) | instid1(VALU_DEP_4)
	v_fma_f64 v[4:5], v[4:5], v[26:27], v[14:15]
	v_fma_f64 v[2:3], v[2:3], v[26:27], -v[20:21]
	s_delay_alu instid0(VALU_DEP_4) | instskip(NEXT) | instid1(VALU_DEP_4)
	v_add_f64_e32 v[6:7], v[10:11], v[6:7]
	v_add_f64_e32 v[8:9], v[12:13], v[8:9]
	s_delay_alu instid0(VALU_DEP_2) | instskip(NEXT) | instid1(VALU_DEP_2)
	v_add_f64_e32 v[2:3], v[6:7], v[2:3]
	v_add_f64_e32 v[4:5], v[8:9], v[4:5]
	s_delay_alu instid0(VALU_DEP_2) | instskip(NEXT) | instid1(VALU_DEP_2)
	v_add_f64_e64 v[2:3], v[42:43], -v[2:3]
	v_add_f64_e64 v[4:5], v[44:45], -v[4:5]
	scratch_store_b128 off, v[2:5], off offset:128
	v_cmpx_lt_u32_e32 6, v0
	s_cbranch_execz .LBB44_271
; %bb.270:
	scratch_load_b128 v[5:8], off, s52
	v_dual_mov_b32 v2, v1 :: v_dual_mov_b32 v3, v1
	v_mov_b32_e32 v4, v1
	scratch_store_b128 off, v[1:4], off offset:112
	s_wait_loadcnt 0x0
	ds_store_b128 v136, v[5:8]
.LBB44_271:
	s_wait_alu 0xfffe
	s_or_b32 exec_lo, exec_lo, s0
	s_wait_storecnt_dscnt 0x0
	s_barrier_signal -1
	s_barrier_wait -1
	global_inv scope:SCOPE_SE
	s_clause 0x8
	scratch_load_b128 v[2:5], off, off offset:128
	scratch_load_b128 v[6:9], off, off offset:144
	;; [unrolled: 1-line block ×9, first 2 shown]
	ds_load_b128 v[42:45], v1 offset:832
	ds_load_b128 v[38:41], v1 offset:848
	s_clause 0x1
	scratch_load_b128 v[137:140], off, off offset:112
	scratch_load_b128 v[141:144], off, off offset:272
	s_mov_b32 s0, exec_lo
	s_wait_loadcnt_dscnt 0xa01
	v_mul_f64_e32 v[145:146], v[44:45], v[4:5]
	v_mul_f64_e32 v[4:5], v[42:43], v[4:5]
	s_wait_loadcnt_dscnt 0x900
	v_mul_f64_e32 v[149:150], v[38:39], v[8:9]
	v_mul_f64_e32 v[8:9], v[40:41], v[8:9]
	s_delay_alu instid0(VALU_DEP_4) | instskip(NEXT) | instid1(VALU_DEP_4)
	v_fma_f64 v[151:152], v[42:43], v[2:3], -v[145:146]
	v_fma_f64 v[153:154], v[44:45], v[2:3], v[4:5]
	ds_load_b128 v[2:5], v1 offset:864
	ds_load_b128 v[145:148], v1 offset:880
	scratch_load_b128 v[42:45], off, off offset:288
	v_fma_f64 v[40:41], v[40:41], v[6:7], v[149:150]
	v_fma_f64 v[38:39], v[38:39], v[6:7], -v[8:9]
	scratch_load_b128 v[6:9], off, off offset:304
	s_wait_loadcnt_dscnt 0xa01
	v_mul_f64_e32 v[155:156], v[2:3], v[12:13]
	v_mul_f64_e32 v[12:13], v[4:5], v[12:13]
	v_add_f64_e32 v[149:150], 0, v[151:152]
	v_add_f64_e32 v[151:152], 0, v[153:154]
	s_wait_loadcnt_dscnt 0x900
	v_mul_f64_e32 v[153:154], v[145:146], v[16:17]
	v_mul_f64_e32 v[16:17], v[147:148], v[16:17]
	v_fma_f64 v[155:156], v[4:5], v[10:11], v[155:156]
	v_fma_f64 v[157:158], v[2:3], v[10:11], -v[12:13]
	ds_load_b128 v[2:5], v1 offset:896
	scratch_load_b128 v[10:13], off, off offset:320
	v_add_f64_e32 v[149:150], v[149:150], v[38:39]
	v_add_f64_e32 v[151:152], v[151:152], v[40:41]
	ds_load_b128 v[38:41], v1 offset:912
	v_fma_f64 v[147:148], v[147:148], v[14:15], v[153:154]
	v_fma_f64 v[145:146], v[145:146], v[14:15], -v[16:17]
	scratch_load_b128 v[14:17], off, off offset:336
	s_wait_loadcnt_dscnt 0xa01
	v_mul_f64_e32 v[159:160], v[2:3], v[20:21]
	v_mul_f64_e32 v[20:21], v[4:5], v[20:21]
	s_wait_loadcnt_dscnt 0x900
	v_mul_f64_e32 v[153:154], v[38:39], v[24:25]
	v_mul_f64_e32 v[24:25], v[40:41], v[24:25]
	v_add_f64_e32 v[149:150], v[149:150], v[157:158]
	v_add_f64_e32 v[151:152], v[151:152], v[155:156]
	v_fma_f64 v[155:156], v[4:5], v[18:19], v[159:160]
	v_fma_f64 v[157:158], v[2:3], v[18:19], -v[20:21]
	ds_load_b128 v[2:5], v1 offset:928
	scratch_load_b128 v[18:21], off, off offset:352
	v_fma_f64 v[40:41], v[40:41], v[22:23], v[153:154]
	v_fma_f64 v[38:39], v[38:39], v[22:23], -v[24:25]
	scratch_load_b128 v[22:25], off, off offset:368
	v_add_f64_e32 v[149:150], v[149:150], v[145:146]
	v_add_f64_e32 v[151:152], v[151:152], v[147:148]
	ds_load_b128 v[145:148], v1 offset:944
	s_wait_loadcnt_dscnt 0xa01
	v_mul_f64_e32 v[159:160], v[2:3], v[28:29]
	v_mul_f64_e32 v[28:29], v[4:5], v[28:29]
	s_wait_loadcnt_dscnt 0x900
	v_mul_f64_e32 v[153:154], v[145:146], v[32:33]
	v_mul_f64_e32 v[32:33], v[147:148], v[32:33]
	v_add_f64_e32 v[149:150], v[149:150], v[157:158]
	v_add_f64_e32 v[151:152], v[151:152], v[155:156]
	v_fma_f64 v[155:156], v[4:5], v[26:27], v[159:160]
	v_fma_f64 v[157:158], v[2:3], v[26:27], -v[28:29]
	ds_load_b128 v[2:5], v1 offset:960
	scratch_load_b128 v[26:29], off, off offset:384
	v_fma_f64 v[147:148], v[147:148], v[30:31], v[153:154]
	v_fma_f64 v[145:146], v[145:146], v[30:31], -v[32:33]
	scratch_load_b128 v[30:33], off, off offset:400
	v_add_f64_e32 v[149:150], v[149:150], v[38:39]
	v_add_f64_e32 v[151:152], v[151:152], v[40:41]
	ds_load_b128 v[38:41], v1 offset:976
	s_wait_loadcnt_dscnt 0xa01
	v_mul_f64_e32 v[159:160], v[2:3], v[36:37]
	v_mul_f64_e32 v[36:37], v[4:5], v[36:37]
	s_wait_loadcnt_dscnt 0x800
	v_mul_f64_e32 v[153:154], v[38:39], v[143:144]
	v_add_f64_e32 v[149:150], v[149:150], v[157:158]
	v_add_f64_e32 v[151:152], v[151:152], v[155:156]
	v_mul_f64_e32 v[155:156], v[40:41], v[143:144]
	v_fma_f64 v[157:158], v[4:5], v[34:35], v[159:160]
	v_fma_f64 v[159:160], v[2:3], v[34:35], -v[36:37]
	ds_load_b128 v[2:5], v1 offset:992
	scratch_load_b128 v[34:37], off, off offset:416
	v_fma_f64 v[153:154], v[40:41], v[141:142], v[153:154]
	v_add_f64_e32 v[149:150], v[149:150], v[145:146]
	v_add_f64_e32 v[147:148], v[151:152], v[147:148]
	ds_load_b128 v[143:146], v1 offset:1008
	v_fma_f64 v[141:142], v[38:39], v[141:142], -v[155:156]
	scratch_load_b128 v[38:41], off, off offset:432
	s_wait_loadcnt_dscnt 0x901
	v_mul_f64_e32 v[151:152], v[2:3], v[44:45]
	v_mul_f64_e32 v[44:45], v[4:5], v[44:45]
	s_wait_loadcnt_dscnt 0x800
	v_mul_f64_e32 v[155:156], v[143:144], v[8:9]
	v_mul_f64_e32 v[8:9], v[145:146], v[8:9]
	v_add_f64_e32 v[149:150], v[149:150], v[159:160]
	v_add_f64_e32 v[147:148], v[147:148], v[157:158]
	v_fma_f64 v[151:152], v[4:5], v[42:43], v[151:152]
	v_fma_f64 v[157:158], v[2:3], v[42:43], -v[44:45]
	ds_load_b128 v[2:5], v1 offset:1024
	scratch_load_b128 v[42:45], off, off offset:448
	v_fma_f64 v[145:146], v[145:146], v[6:7], v[155:156]
	v_fma_f64 v[143:144], v[143:144], v[6:7], -v[8:9]
	scratch_load_b128 v[6:9], off, off offset:464
	v_add_f64_e32 v[141:142], v[149:150], v[141:142]
	v_add_f64_e32 v[153:154], v[147:148], v[153:154]
	ds_load_b128 v[147:150], v1 offset:1040
	s_wait_loadcnt_dscnt 0x901
	v_mul_f64_e32 v[159:160], v[2:3], v[12:13]
	v_mul_f64_e32 v[12:13], v[4:5], v[12:13]
	v_add_f64_e32 v[141:142], v[141:142], v[157:158]
	v_add_f64_e32 v[151:152], v[153:154], v[151:152]
	s_wait_loadcnt_dscnt 0x800
	v_mul_f64_e32 v[153:154], v[147:148], v[16:17]
	v_mul_f64_e32 v[16:17], v[149:150], v[16:17]
	v_fma_f64 v[155:156], v[4:5], v[10:11], v[159:160]
	v_fma_f64 v[157:158], v[2:3], v[10:11], -v[12:13]
	ds_load_b128 v[2:5], v1 offset:1056
	scratch_load_b128 v[10:13], off, off offset:480
	v_add_f64_e32 v[159:160], v[141:142], v[143:144]
	v_add_f64_e32 v[145:146], v[151:152], v[145:146]
	ds_load_b128 v[141:144], v1 offset:1072
	s_wait_loadcnt_dscnt 0x801
	v_mul_f64_e32 v[151:152], v[2:3], v[20:21]
	v_mul_f64_e32 v[20:21], v[4:5], v[20:21]
	v_fma_f64 v[149:150], v[149:150], v[14:15], v[153:154]
	v_fma_f64 v[147:148], v[147:148], v[14:15], -v[16:17]
	scratch_load_b128 v[14:17], off, off offset:496
	v_add_f64_e32 v[153:154], v[159:160], v[157:158]
	v_add_f64_e32 v[145:146], v[145:146], v[155:156]
	s_wait_loadcnt_dscnt 0x800
	v_mul_f64_e32 v[155:156], v[141:142], v[24:25]
	v_mul_f64_e32 v[24:25], v[143:144], v[24:25]
	v_fma_f64 v[151:152], v[4:5], v[18:19], v[151:152]
	v_fma_f64 v[157:158], v[2:3], v[18:19], -v[20:21]
	ds_load_b128 v[2:5], v1 offset:1088
	scratch_load_b128 v[18:21], off, off offset:512
	v_add_f64_e32 v[153:154], v[153:154], v[147:148]
	v_add_f64_e32 v[149:150], v[145:146], v[149:150]
	ds_load_b128 v[145:148], v1 offset:1104
	s_wait_loadcnt_dscnt 0x801
	v_mul_f64_e32 v[159:160], v[2:3], v[28:29]
	v_mul_f64_e32 v[28:29], v[4:5], v[28:29]
	v_fma_f64 v[143:144], v[143:144], v[22:23], v[155:156]
	v_fma_f64 v[141:142], v[141:142], v[22:23], -v[24:25]
	scratch_load_b128 v[22:25], off, off offset:528
	;; [unrolled: 18-line block ×4, first 2 shown]
	s_wait_loadcnt_dscnt 0x800
	v_mul_f64_e32 v[153:154], v[145:146], v[8:9]
	v_mul_f64_e32 v[8:9], v[147:148], v[8:9]
	v_add_f64_e32 v[151:152], v[151:152], v[157:158]
	v_add_f64_e32 v[149:150], v[149:150], v[155:156]
	v_fma_f64 v[155:156], v[4:5], v[42:43], v[159:160]
	v_fma_f64 v[157:158], v[2:3], v[42:43], -v[44:45]
	ds_load_b128 v[2:5], v1 offset:1184
	scratch_load_b128 v[42:45], off, off offset:608
	v_fma_f64 v[147:148], v[147:148], v[6:7], v[153:154]
	v_fma_f64 v[145:146], v[145:146], v[6:7], -v[8:9]
	scratch_load_b128 v[6:9], off, off offset:624
	v_add_f64_e32 v[151:152], v[151:152], v[141:142]
	v_add_f64_e32 v[149:150], v[149:150], v[143:144]
	ds_load_b128 v[141:144], v1 offset:1200
	s_wait_loadcnt_dscnt 0x901
	v_mul_f64_e32 v[159:160], v[2:3], v[12:13]
	v_mul_f64_e32 v[12:13], v[4:5], v[12:13]
	s_wait_loadcnt_dscnt 0x800
	v_mul_f64_e32 v[153:154], v[141:142], v[16:17]
	v_mul_f64_e32 v[16:17], v[143:144], v[16:17]
	v_add_f64_e32 v[151:152], v[151:152], v[157:158]
	v_add_f64_e32 v[149:150], v[149:150], v[155:156]
	v_fma_f64 v[155:156], v[4:5], v[10:11], v[159:160]
	v_fma_f64 v[157:158], v[2:3], v[10:11], -v[12:13]
	ds_load_b128 v[2:5], v1 offset:1216
	scratch_load_b128 v[10:13], off, off offset:640
	v_fma_f64 v[143:144], v[143:144], v[14:15], v[153:154]
	v_fma_f64 v[141:142], v[141:142], v[14:15], -v[16:17]
	scratch_load_b128 v[14:17], off, off offset:656
	v_add_f64_e32 v[151:152], v[151:152], v[145:146]
	v_add_f64_e32 v[149:150], v[149:150], v[147:148]
	ds_load_b128 v[145:148], v1 offset:1232
	s_wait_loadcnt_dscnt 0x901
	v_mul_f64_e32 v[159:160], v[2:3], v[20:21]
	v_mul_f64_e32 v[20:21], v[4:5], v[20:21]
	;; [unrolled: 18-line block ×4, first 2 shown]
	s_wait_loadcnt_dscnt 0x800
	v_mul_f64_e32 v[153:154], v[145:146], v[40:41]
	v_mul_f64_e32 v[40:41], v[147:148], v[40:41]
	v_add_f64_e32 v[151:152], v[151:152], v[157:158]
	v_add_f64_e32 v[149:150], v[149:150], v[155:156]
	v_fma_f64 v[155:156], v[4:5], v[34:35], v[159:160]
	v_fma_f64 v[157:158], v[2:3], v[34:35], -v[36:37]
	ds_load_b128 v[2:5], v1 offset:1312
	ds_load_b128 v[34:37], v1 offset:1328
	v_fma_f64 v[147:148], v[147:148], v[38:39], v[153:154]
	v_fma_f64 v[38:39], v[145:146], v[38:39], -v[40:41]
	v_add_f64_e32 v[141:142], v[151:152], v[141:142]
	v_add_f64_e32 v[143:144], v[149:150], v[143:144]
	s_wait_loadcnt_dscnt 0x701
	v_mul_f64_e32 v[149:150], v[2:3], v[44:45]
	v_mul_f64_e32 v[44:45], v[4:5], v[44:45]
	s_delay_alu instid0(VALU_DEP_4) | instskip(NEXT) | instid1(VALU_DEP_4)
	v_add_f64_e32 v[40:41], v[141:142], v[157:158]
	v_add_f64_e32 v[141:142], v[143:144], v[155:156]
	s_wait_loadcnt_dscnt 0x600
	v_mul_f64_e32 v[143:144], v[34:35], v[8:9]
	v_mul_f64_e32 v[8:9], v[36:37], v[8:9]
	v_fma_f64 v[145:146], v[4:5], v[42:43], v[149:150]
	v_fma_f64 v[42:43], v[2:3], v[42:43], -v[44:45]
	v_add_f64_e32 v[44:45], v[40:41], v[38:39]
	v_add_f64_e32 v[141:142], v[141:142], v[147:148]
	ds_load_b128 v[2:5], v1 offset:1344
	ds_load_b128 v[38:41], v1 offset:1360
	v_fma_f64 v[36:37], v[36:37], v[6:7], v[143:144]
	v_fma_f64 v[6:7], v[34:35], v[6:7], -v[8:9]
	s_wait_loadcnt_dscnt 0x501
	v_mul_f64_e32 v[147:148], v[2:3], v[12:13]
	v_mul_f64_e32 v[12:13], v[4:5], v[12:13]
	v_add_f64_e32 v[8:9], v[44:45], v[42:43]
	v_add_f64_e32 v[34:35], v[141:142], v[145:146]
	s_wait_loadcnt_dscnt 0x400
	v_mul_f64_e32 v[42:43], v[38:39], v[16:17]
	v_mul_f64_e32 v[16:17], v[40:41], v[16:17]
	v_fma_f64 v[44:45], v[4:5], v[10:11], v[147:148]
	v_fma_f64 v[10:11], v[2:3], v[10:11], -v[12:13]
	v_add_f64_e32 v[12:13], v[8:9], v[6:7]
	v_add_f64_e32 v[34:35], v[34:35], v[36:37]
	ds_load_b128 v[2:5], v1 offset:1376
	ds_load_b128 v[6:9], v1 offset:1392
	v_fma_f64 v[40:41], v[40:41], v[14:15], v[42:43]
	v_fma_f64 v[14:15], v[38:39], v[14:15], -v[16:17]
	s_wait_loadcnt_dscnt 0x301
	v_mul_f64_e32 v[36:37], v[2:3], v[20:21]
	v_mul_f64_e32 v[20:21], v[4:5], v[20:21]
	s_wait_loadcnt_dscnt 0x200
	v_mul_f64_e32 v[16:17], v[6:7], v[24:25]
	v_mul_f64_e32 v[24:25], v[8:9], v[24:25]
	v_add_f64_e32 v[10:11], v[12:13], v[10:11]
	v_add_f64_e32 v[12:13], v[34:35], v[44:45]
	v_fma_f64 v[34:35], v[4:5], v[18:19], v[36:37]
	v_fma_f64 v[18:19], v[2:3], v[18:19], -v[20:21]
	v_fma_f64 v[8:9], v[8:9], v[22:23], v[16:17]
	v_fma_f64 v[6:7], v[6:7], v[22:23], -v[24:25]
	v_add_f64_e32 v[14:15], v[10:11], v[14:15]
	v_add_f64_e32 v[20:21], v[12:13], v[40:41]
	ds_load_b128 v[2:5], v1 offset:1408
	ds_load_b128 v[10:13], v1 offset:1424
	s_wait_loadcnt_dscnt 0x101
	v_mul_f64_e32 v[36:37], v[2:3], v[28:29]
	v_mul_f64_e32 v[28:29], v[4:5], v[28:29]
	v_add_f64_e32 v[14:15], v[14:15], v[18:19]
	v_add_f64_e32 v[16:17], v[20:21], v[34:35]
	s_wait_loadcnt_dscnt 0x0
	v_mul_f64_e32 v[18:19], v[10:11], v[32:33]
	v_mul_f64_e32 v[20:21], v[12:13], v[32:33]
	v_fma_f64 v[4:5], v[4:5], v[26:27], v[36:37]
	v_fma_f64 v[1:2], v[2:3], v[26:27], -v[28:29]
	v_add_f64_e32 v[6:7], v[14:15], v[6:7]
	v_add_f64_e32 v[8:9], v[16:17], v[8:9]
	v_fma_f64 v[12:13], v[12:13], v[30:31], v[18:19]
	v_fma_f64 v[10:11], v[10:11], v[30:31], -v[20:21]
	s_delay_alu instid0(VALU_DEP_4) | instskip(NEXT) | instid1(VALU_DEP_4)
	v_add_f64_e32 v[1:2], v[6:7], v[1:2]
	v_add_f64_e32 v[3:4], v[8:9], v[4:5]
	s_delay_alu instid0(VALU_DEP_2) | instskip(NEXT) | instid1(VALU_DEP_2)
	v_add_f64_e32 v[1:2], v[1:2], v[10:11]
	v_add_f64_e32 v[3:4], v[3:4], v[12:13]
	s_delay_alu instid0(VALU_DEP_2) | instskip(NEXT) | instid1(VALU_DEP_2)
	v_add_f64_e64 v[1:2], v[137:138], -v[1:2]
	v_add_f64_e64 v[3:4], v[139:140], -v[3:4]
	scratch_store_b128 off, v[1:4], off offset:112
	v_cmpx_lt_u32_e32 5, v0
	s_cbranch_execz .LBB44_273
; %bb.272:
	scratch_load_b128 v[1:4], off, s53
	v_mov_b32_e32 v5, 0
	s_delay_alu instid0(VALU_DEP_1)
	v_dual_mov_b32 v6, v5 :: v_dual_mov_b32 v7, v5
	v_mov_b32_e32 v8, v5
	scratch_store_b128 off, v[5:8], off offset:96
	s_wait_loadcnt 0x0
	ds_store_b128 v136, v[1:4]
.LBB44_273:
	s_wait_alu 0xfffe
	s_or_b32 exec_lo, exec_lo, s0
	s_wait_storecnt_dscnt 0x0
	s_barrier_signal -1
	s_barrier_wait -1
	global_inv scope:SCOPE_SE
	s_clause 0x7
	scratch_load_b128 v[2:5], off, off offset:112
	scratch_load_b128 v[6:9], off, off offset:128
	;; [unrolled: 1-line block ×8, first 2 shown]
	v_mov_b32_e32 v1, 0
	s_mov_b32 s0, exec_lo
	ds_load_b128 v[38:41], v1 offset:816
	s_clause 0x1
	scratch_load_b128 v[34:37], off, off offset:240
	scratch_load_b128 v[42:45], off, off offset:96
	ds_load_b128 v[137:140], v1 offset:832
	scratch_load_b128 v[141:144], off, off offset:256
	s_wait_loadcnt_dscnt 0xa01
	v_mul_f64_e32 v[145:146], v[40:41], v[4:5]
	v_mul_f64_e32 v[4:5], v[38:39], v[4:5]
	s_delay_alu instid0(VALU_DEP_2) | instskip(NEXT) | instid1(VALU_DEP_2)
	v_fma_f64 v[151:152], v[38:39], v[2:3], -v[145:146]
	v_fma_f64 v[153:154], v[40:41], v[2:3], v[4:5]
	ds_load_b128 v[2:5], v1 offset:848
	s_wait_loadcnt_dscnt 0x901
	v_mul_f64_e32 v[149:150], v[137:138], v[8:9]
	v_mul_f64_e32 v[8:9], v[139:140], v[8:9]
	scratch_load_b128 v[38:41], off, off offset:272
	ds_load_b128 v[145:148], v1 offset:864
	s_wait_loadcnt_dscnt 0x901
	v_mul_f64_e32 v[155:156], v[2:3], v[12:13]
	v_mul_f64_e32 v[12:13], v[4:5], v[12:13]
	v_fma_f64 v[139:140], v[139:140], v[6:7], v[149:150]
	v_fma_f64 v[137:138], v[137:138], v[6:7], -v[8:9]
	v_add_f64_e32 v[149:150], 0, v[151:152]
	v_add_f64_e32 v[151:152], 0, v[153:154]
	scratch_load_b128 v[6:9], off, off offset:288
	v_fma_f64 v[155:156], v[4:5], v[10:11], v[155:156]
	v_fma_f64 v[157:158], v[2:3], v[10:11], -v[12:13]
	ds_load_b128 v[2:5], v1 offset:880
	s_wait_loadcnt_dscnt 0x901
	v_mul_f64_e32 v[153:154], v[145:146], v[16:17]
	v_mul_f64_e32 v[16:17], v[147:148], v[16:17]
	scratch_load_b128 v[10:13], off, off offset:304
	v_add_f64_e32 v[149:150], v[149:150], v[137:138]
	v_add_f64_e32 v[151:152], v[151:152], v[139:140]
	s_wait_loadcnt_dscnt 0x900
	v_mul_f64_e32 v[159:160], v[2:3], v[20:21]
	v_mul_f64_e32 v[20:21], v[4:5], v[20:21]
	ds_load_b128 v[137:140], v1 offset:896
	v_fma_f64 v[147:148], v[147:148], v[14:15], v[153:154]
	v_fma_f64 v[145:146], v[145:146], v[14:15], -v[16:17]
	scratch_load_b128 v[14:17], off, off offset:320
	v_add_f64_e32 v[149:150], v[149:150], v[157:158]
	v_add_f64_e32 v[151:152], v[151:152], v[155:156]
	v_fma_f64 v[155:156], v[4:5], v[18:19], v[159:160]
	v_fma_f64 v[157:158], v[2:3], v[18:19], -v[20:21]
	ds_load_b128 v[2:5], v1 offset:912
	s_wait_loadcnt_dscnt 0x901
	v_mul_f64_e32 v[153:154], v[137:138], v[24:25]
	v_mul_f64_e32 v[24:25], v[139:140], v[24:25]
	scratch_load_b128 v[18:21], off, off offset:336
	s_wait_loadcnt_dscnt 0x900
	v_mul_f64_e32 v[159:160], v[2:3], v[28:29]
	v_mul_f64_e32 v[28:29], v[4:5], v[28:29]
	v_add_f64_e32 v[149:150], v[149:150], v[145:146]
	v_add_f64_e32 v[151:152], v[151:152], v[147:148]
	ds_load_b128 v[145:148], v1 offset:928
	v_fma_f64 v[139:140], v[139:140], v[22:23], v[153:154]
	v_fma_f64 v[137:138], v[137:138], v[22:23], -v[24:25]
	scratch_load_b128 v[22:25], off, off offset:352
	v_add_f64_e32 v[149:150], v[149:150], v[157:158]
	v_add_f64_e32 v[151:152], v[151:152], v[155:156]
	v_fma_f64 v[155:156], v[4:5], v[26:27], v[159:160]
	v_fma_f64 v[157:158], v[2:3], v[26:27], -v[28:29]
	ds_load_b128 v[2:5], v1 offset:944
	s_wait_loadcnt_dscnt 0x901
	v_mul_f64_e32 v[153:154], v[145:146], v[32:33]
	v_mul_f64_e32 v[32:33], v[147:148], v[32:33]
	scratch_load_b128 v[26:29], off, off offset:368
	s_wait_loadcnt_dscnt 0x900
	v_mul_f64_e32 v[159:160], v[2:3], v[36:37]
	v_mul_f64_e32 v[36:37], v[4:5], v[36:37]
	v_add_f64_e32 v[149:150], v[149:150], v[137:138]
	v_add_f64_e32 v[151:152], v[151:152], v[139:140]
	ds_load_b128 v[137:140], v1 offset:960
	v_fma_f64 v[147:148], v[147:148], v[30:31], v[153:154]
	v_fma_f64 v[145:146], v[145:146], v[30:31], -v[32:33]
	scratch_load_b128 v[30:33], off, off offset:384
	v_add_f64_e32 v[149:150], v[149:150], v[157:158]
	v_add_f64_e32 v[151:152], v[151:152], v[155:156]
	v_fma_f64 v[157:158], v[4:5], v[34:35], v[159:160]
	v_fma_f64 v[159:160], v[2:3], v[34:35], -v[36:37]
	ds_load_b128 v[2:5], v1 offset:976
	s_wait_loadcnt_dscnt 0x801
	v_mul_f64_e32 v[153:154], v[137:138], v[143:144]
	v_mul_f64_e32 v[155:156], v[139:140], v[143:144]
	scratch_load_b128 v[34:37], off, off offset:400
	v_add_f64_e32 v[149:150], v[149:150], v[145:146]
	v_add_f64_e32 v[147:148], v[151:152], v[147:148]
	ds_load_b128 v[143:146], v1 offset:992
	v_fma_f64 v[153:154], v[139:140], v[141:142], v[153:154]
	v_fma_f64 v[141:142], v[137:138], v[141:142], -v[155:156]
	scratch_load_b128 v[137:140], off, off offset:416
	s_wait_loadcnt_dscnt 0x901
	v_mul_f64_e32 v[151:152], v[2:3], v[40:41]
	v_mul_f64_e32 v[40:41], v[4:5], v[40:41]
	v_add_f64_e32 v[149:150], v[149:150], v[159:160]
	v_add_f64_e32 v[147:148], v[147:148], v[157:158]
	s_delay_alu instid0(VALU_DEP_4) | instskip(NEXT) | instid1(VALU_DEP_4)
	v_fma_f64 v[151:152], v[4:5], v[38:39], v[151:152]
	v_fma_f64 v[157:158], v[2:3], v[38:39], -v[40:41]
	ds_load_b128 v[2:5], v1 offset:1008
	s_wait_loadcnt_dscnt 0x801
	v_mul_f64_e32 v[155:156], v[143:144], v[8:9]
	v_mul_f64_e32 v[8:9], v[145:146], v[8:9]
	scratch_load_b128 v[38:41], off, off offset:432
	s_wait_loadcnt_dscnt 0x800
	v_mul_f64_e32 v[159:160], v[2:3], v[12:13]
	v_add_f64_e32 v[141:142], v[149:150], v[141:142]
	v_add_f64_e32 v[153:154], v[147:148], v[153:154]
	v_mul_f64_e32 v[12:13], v[4:5], v[12:13]
	ds_load_b128 v[147:150], v1 offset:1024
	v_fma_f64 v[145:146], v[145:146], v[6:7], v[155:156]
	v_fma_f64 v[143:144], v[143:144], v[6:7], -v[8:9]
	scratch_load_b128 v[6:9], off, off offset:448
	v_fma_f64 v[155:156], v[4:5], v[10:11], v[159:160]
	v_add_f64_e32 v[141:142], v[141:142], v[157:158]
	v_add_f64_e32 v[151:152], v[153:154], v[151:152]
	v_fma_f64 v[157:158], v[2:3], v[10:11], -v[12:13]
	ds_load_b128 v[2:5], v1 offset:1040
	s_wait_loadcnt_dscnt 0x801
	v_mul_f64_e32 v[153:154], v[147:148], v[16:17]
	v_mul_f64_e32 v[16:17], v[149:150], v[16:17]
	scratch_load_b128 v[10:13], off, off offset:464
	v_add_f64_e32 v[159:160], v[141:142], v[143:144]
	v_add_f64_e32 v[145:146], v[151:152], v[145:146]
	s_wait_loadcnt_dscnt 0x800
	v_mul_f64_e32 v[151:152], v[2:3], v[20:21]
	v_mul_f64_e32 v[20:21], v[4:5], v[20:21]
	v_fma_f64 v[149:150], v[149:150], v[14:15], v[153:154]
	v_fma_f64 v[147:148], v[147:148], v[14:15], -v[16:17]
	ds_load_b128 v[141:144], v1 offset:1056
	scratch_load_b128 v[14:17], off, off offset:480
	v_add_f64_e32 v[153:154], v[159:160], v[157:158]
	v_add_f64_e32 v[145:146], v[145:146], v[155:156]
	v_fma_f64 v[151:152], v[4:5], v[18:19], v[151:152]
	v_fma_f64 v[157:158], v[2:3], v[18:19], -v[20:21]
	ds_load_b128 v[2:5], v1 offset:1072
	s_wait_loadcnt_dscnt 0x801
	v_mul_f64_e32 v[155:156], v[141:142], v[24:25]
	v_mul_f64_e32 v[24:25], v[143:144], v[24:25]
	scratch_load_b128 v[18:21], off, off offset:496
	s_wait_loadcnt_dscnt 0x800
	v_mul_f64_e32 v[159:160], v[2:3], v[28:29]
	v_mul_f64_e32 v[28:29], v[4:5], v[28:29]
	v_add_f64_e32 v[153:154], v[153:154], v[147:148]
	v_add_f64_e32 v[149:150], v[145:146], v[149:150]
	ds_load_b128 v[145:148], v1 offset:1088
	v_fma_f64 v[143:144], v[143:144], v[22:23], v[155:156]
	v_fma_f64 v[141:142], v[141:142], v[22:23], -v[24:25]
	scratch_load_b128 v[22:25], off, off offset:512
	v_fma_f64 v[155:156], v[4:5], v[26:27], v[159:160]
	v_add_f64_e32 v[153:154], v[153:154], v[157:158]
	v_add_f64_e32 v[149:150], v[149:150], v[151:152]
	v_fma_f64 v[157:158], v[2:3], v[26:27], -v[28:29]
	ds_load_b128 v[2:5], v1 offset:1104
	s_wait_loadcnt_dscnt 0x801
	v_mul_f64_e32 v[151:152], v[145:146], v[32:33]
	v_mul_f64_e32 v[32:33], v[147:148], v[32:33]
	scratch_load_b128 v[26:29], off, off offset:528
	s_wait_loadcnt_dscnt 0x800
	v_mul_f64_e32 v[159:160], v[2:3], v[36:37]
	v_mul_f64_e32 v[36:37], v[4:5], v[36:37]
	v_add_f64_e32 v[153:154], v[153:154], v[141:142]
	v_add_f64_e32 v[149:150], v[149:150], v[143:144]
	ds_load_b128 v[141:144], v1 offset:1120
	v_fma_f64 v[147:148], v[147:148], v[30:31], v[151:152]
	v_fma_f64 v[145:146], v[145:146], v[30:31], -v[32:33]
	scratch_load_b128 v[30:33], off, off offset:544
	v_add_f64_e32 v[151:152], v[153:154], v[157:158]
	v_add_f64_e32 v[149:150], v[149:150], v[155:156]
	v_fma_f64 v[155:156], v[4:5], v[34:35], v[159:160]
	v_fma_f64 v[157:158], v[2:3], v[34:35], -v[36:37]
	ds_load_b128 v[2:5], v1 offset:1136
	s_wait_loadcnt_dscnt 0x801
	v_mul_f64_e32 v[153:154], v[141:142], v[139:140]
	v_mul_f64_e32 v[139:140], v[143:144], v[139:140]
	scratch_load_b128 v[34:37], off, off offset:560
	s_wait_loadcnt_dscnt 0x800
	v_mul_f64_e32 v[159:160], v[2:3], v[40:41]
	v_mul_f64_e32 v[40:41], v[4:5], v[40:41]
	v_add_f64_e32 v[151:152], v[151:152], v[145:146]
	v_add_f64_e32 v[149:150], v[149:150], v[147:148]
	ds_load_b128 v[145:148], v1 offset:1152
	v_fma_f64 v[143:144], v[143:144], v[137:138], v[153:154]
	v_fma_f64 v[141:142], v[141:142], v[137:138], -v[139:140]
	scratch_load_b128 v[137:140], off, off offset:576
	v_add_f64_e32 v[151:152], v[151:152], v[157:158]
	v_add_f64_e32 v[149:150], v[149:150], v[155:156]
	v_fma_f64 v[155:156], v[4:5], v[38:39], v[159:160]
	;; [unrolled: 18-line block ×6, first 2 shown]
	v_fma_f64 v[159:160], v[2:3], v[34:35], -v[36:37]
	ds_load_b128 v[2:5], v1 offset:1296
	s_wait_loadcnt_dscnt 0x801
	v_mul_f64_e32 v[153:154], v[145:146], v[139:140]
	v_mul_f64_e32 v[155:156], v[147:148], v[139:140]
	scratch_load_b128 v[34:37], off, off offset:720
	v_add_f64_e32 v[151:152], v[151:152], v[141:142]
	v_add_f64_e32 v[143:144], v[149:150], v[143:144]
	s_wait_loadcnt_dscnt 0x800
	v_mul_f64_e32 v[149:150], v[2:3], v[40:41]
	v_mul_f64_e32 v[40:41], v[4:5], v[40:41]
	ds_load_b128 v[139:142], v1 offset:1312
	v_fma_f64 v[147:148], v[147:148], v[137:138], v[153:154]
	v_fma_f64 v[137:138], v[145:146], v[137:138], -v[155:156]
	v_add_f64_e32 v[145:146], v[151:152], v[159:160]
	v_add_f64_e32 v[143:144], v[143:144], v[157:158]
	s_wait_loadcnt_dscnt 0x700
	v_mul_f64_e32 v[151:152], v[139:140], v[8:9]
	v_mul_f64_e32 v[8:9], v[141:142], v[8:9]
	v_fma_f64 v[149:150], v[4:5], v[38:39], v[149:150]
	v_fma_f64 v[153:154], v[2:3], v[38:39], -v[40:41]
	ds_load_b128 v[2:5], v1 offset:1328
	ds_load_b128 v[38:41], v1 offset:1344
	v_add_f64_e32 v[137:138], v[145:146], v[137:138]
	v_add_f64_e32 v[143:144], v[143:144], v[147:148]
	s_wait_loadcnt_dscnt 0x601
	v_mul_f64_e32 v[145:146], v[2:3], v[12:13]
	v_mul_f64_e32 v[12:13], v[4:5], v[12:13]
	v_fma_f64 v[141:142], v[141:142], v[6:7], v[151:152]
	v_fma_f64 v[6:7], v[139:140], v[6:7], -v[8:9]
	s_wait_loadcnt_dscnt 0x500
	v_mul_f64_e32 v[139:140], v[38:39], v[16:17]
	v_mul_f64_e32 v[16:17], v[40:41], v[16:17]
	v_add_f64_e32 v[8:9], v[137:138], v[153:154]
	v_add_f64_e32 v[137:138], v[143:144], v[149:150]
	v_fma_f64 v[143:144], v[4:5], v[10:11], v[145:146]
	v_fma_f64 v[10:11], v[2:3], v[10:11], -v[12:13]
	v_fma_f64 v[40:41], v[40:41], v[14:15], v[139:140]
	v_fma_f64 v[14:15], v[38:39], v[14:15], -v[16:17]
	v_add_f64_e32 v[12:13], v[8:9], v[6:7]
	v_add_f64_e32 v[137:138], v[137:138], v[141:142]
	ds_load_b128 v[2:5], v1 offset:1360
	ds_load_b128 v[6:9], v1 offset:1376
	s_wait_loadcnt_dscnt 0x401
	v_mul_f64_e32 v[141:142], v[2:3], v[20:21]
	v_mul_f64_e32 v[20:21], v[4:5], v[20:21]
	s_wait_loadcnt_dscnt 0x300
	v_mul_f64_e32 v[16:17], v[6:7], v[24:25]
	v_mul_f64_e32 v[24:25], v[8:9], v[24:25]
	v_add_f64_e32 v[10:11], v[12:13], v[10:11]
	v_add_f64_e32 v[12:13], v[137:138], v[143:144]
	v_fma_f64 v[38:39], v[4:5], v[18:19], v[141:142]
	v_fma_f64 v[18:19], v[2:3], v[18:19], -v[20:21]
	v_fma_f64 v[8:9], v[8:9], v[22:23], v[16:17]
	v_fma_f64 v[6:7], v[6:7], v[22:23], -v[24:25]
	v_add_f64_e32 v[14:15], v[10:11], v[14:15]
	v_add_f64_e32 v[20:21], v[12:13], v[40:41]
	ds_load_b128 v[2:5], v1 offset:1392
	ds_load_b128 v[10:13], v1 offset:1408
	s_wait_loadcnt_dscnt 0x201
	v_mul_f64_e32 v[40:41], v[2:3], v[28:29]
	v_mul_f64_e32 v[28:29], v[4:5], v[28:29]
	v_add_f64_e32 v[14:15], v[14:15], v[18:19]
	v_add_f64_e32 v[16:17], v[20:21], v[38:39]
	s_wait_loadcnt_dscnt 0x100
	v_mul_f64_e32 v[18:19], v[10:11], v[32:33]
	v_mul_f64_e32 v[20:21], v[12:13], v[32:33]
	v_fma_f64 v[22:23], v[4:5], v[26:27], v[40:41]
	v_fma_f64 v[24:25], v[2:3], v[26:27], -v[28:29]
	ds_load_b128 v[2:5], v1 offset:1424
	v_add_f64_e32 v[6:7], v[14:15], v[6:7]
	v_add_f64_e32 v[8:9], v[16:17], v[8:9]
	v_fma_f64 v[12:13], v[12:13], v[30:31], v[18:19]
	v_fma_f64 v[10:11], v[10:11], v[30:31], -v[20:21]
	s_wait_loadcnt_dscnt 0x0
	v_mul_f64_e32 v[14:15], v[2:3], v[36:37]
	v_mul_f64_e32 v[16:17], v[4:5], v[36:37]
	v_add_f64_e32 v[6:7], v[6:7], v[24:25]
	v_add_f64_e32 v[8:9], v[8:9], v[22:23]
	s_delay_alu instid0(VALU_DEP_4) | instskip(NEXT) | instid1(VALU_DEP_4)
	v_fma_f64 v[4:5], v[4:5], v[34:35], v[14:15]
	v_fma_f64 v[2:3], v[2:3], v[34:35], -v[16:17]
	s_delay_alu instid0(VALU_DEP_4) | instskip(NEXT) | instid1(VALU_DEP_4)
	v_add_f64_e32 v[6:7], v[6:7], v[10:11]
	v_add_f64_e32 v[8:9], v[8:9], v[12:13]
	s_delay_alu instid0(VALU_DEP_2) | instskip(NEXT) | instid1(VALU_DEP_2)
	v_add_f64_e32 v[2:3], v[6:7], v[2:3]
	v_add_f64_e32 v[4:5], v[8:9], v[4:5]
	s_delay_alu instid0(VALU_DEP_2) | instskip(NEXT) | instid1(VALU_DEP_2)
	v_add_f64_e64 v[2:3], v[42:43], -v[2:3]
	v_add_f64_e64 v[4:5], v[44:45], -v[4:5]
	scratch_store_b128 off, v[2:5], off offset:96
	v_cmpx_lt_u32_e32 4, v0
	s_cbranch_execz .LBB44_275
; %bb.274:
	scratch_load_b128 v[5:8], off, s15
	v_dual_mov_b32 v2, v1 :: v_dual_mov_b32 v3, v1
	v_mov_b32_e32 v4, v1
	scratch_store_b128 off, v[1:4], off offset:80
	s_wait_loadcnt 0x0
	ds_store_b128 v136, v[5:8]
.LBB44_275:
	s_wait_alu 0xfffe
	s_or_b32 exec_lo, exec_lo, s0
	s_wait_storecnt_dscnt 0x0
	s_barrier_signal -1
	s_barrier_wait -1
	global_inv scope:SCOPE_SE
	s_clause 0x8
	scratch_load_b128 v[2:5], off, off offset:96
	scratch_load_b128 v[6:9], off, off offset:112
	;; [unrolled: 1-line block ×9, first 2 shown]
	ds_load_b128 v[42:45], v1 offset:800
	ds_load_b128 v[38:41], v1 offset:816
	s_clause 0x1
	scratch_load_b128 v[137:140], off, off offset:80
	scratch_load_b128 v[141:144], off, off offset:240
	s_mov_b32 s0, exec_lo
	s_wait_loadcnt_dscnt 0xa01
	v_mul_f64_e32 v[145:146], v[44:45], v[4:5]
	v_mul_f64_e32 v[4:5], v[42:43], v[4:5]
	s_wait_loadcnt_dscnt 0x900
	v_mul_f64_e32 v[149:150], v[38:39], v[8:9]
	v_mul_f64_e32 v[8:9], v[40:41], v[8:9]
	s_delay_alu instid0(VALU_DEP_4) | instskip(NEXT) | instid1(VALU_DEP_4)
	v_fma_f64 v[151:152], v[42:43], v[2:3], -v[145:146]
	v_fma_f64 v[153:154], v[44:45], v[2:3], v[4:5]
	ds_load_b128 v[2:5], v1 offset:832
	ds_load_b128 v[145:148], v1 offset:848
	scratch_load_b128 v[42:45], off, off offset:256
	v_fma_f64 v[40:41], v[40:41], v[6:7], v[149:150]
	v_fma_f64 v[38:39], v[38:39], v[6:7], -v[8:9]
	scratch_load_b128 v[6:9], off, off offset:272
	s_wait_loadcnt_dscnt 0xa01
	v_mul_f64_e32 v[155:156], v[2:3], v[12:13]
	v_mul_f64_e32 v[12:13], v[4:5], v[12:13]
	v_add_f64_e32 v[149:150], 0, v[151:152]
	v_add_f64_e32 v[151:152], 0, v[153:154]
	s_wait_loadcnt_dscnt 0x900
	v_mul_f64_e32 v[153:154], v[145:146], v[16:17]
	v_mul_f64_e32 v[16:17], v[147:148], v[16:17]
	v_fma_f64 v[155:156], v[4:5], v[10:11], v[155:156]
	v_fma_f64 v[157:158], v[2:3], v[10:11], -v[12:13]
	ds_load_b128 v[2:5], v1 offset:864
	scratch_load_b128 v[10:13], off, off offset:288
	v_add_f64_e32 v[149:150], v[149:150], v[38:39]
	v_add_f64_e32 v[151:152], v[151:152], v[40:41]
	ds_load_b128 v[38:41], v1 offset:880
	v_fma_f64 v[147:148], v[147:148], v[14:15], v[153:154]
	v_fma_f64 v[145:146], v[145:146], v[14:15], -v[16:17]
	scratch_load_b128 v[14:17], off, off offset:304
	s_wait_loadcnt_dscnt 0xa01
	v_mul_f64_e32 v[159:160], v[2:3], v[20:21]
	v_mul_f64_e32 v[20:21], v[4:5], v[20:21]
	s_wait_loadcnt_dscnt 0x900
	v_mul_f64_e32 v[153:154], v[38:39], v[24:25]
	v_mul_f64_e32 v[24:25], v[40:41], v[24:25]
	v_add_f64_e32 v[149:150], v[149:150], v[157:158]
	v_add_f64_e32 v[151:152], v[151:152], v[155:156]
	v_fma_f64 v[155:156], v[4:5], v[18:19], v[159:160]
	v_fma_f64 v[157:158], v[2:3], v[18:19], -v[20:21]
	ds_load_b128 v[2:5], v1 offset:896
	scratch_load_b128 v[18:21], off, off offset:320
	v_fma_f64 v[40:41], v[40:41], v[22:23], v[153:154]
	v_fma_f64 v[38:39], v[38:39], v[22:23], -v[24:25]
	scratch_load_b128 v[22:25], off, off offset:336
	v_add_f64_e32 v[149:150], v[149:150], v[145:146]
	v_add_f64_e32 v[151:152], v[151:152], v[147:148]
	ds_load_b128 v[145:148], v1 offset:912
	s_wait_loadcnt_dscnt 0xa01
	v_mul_f64_e32 v[159:160], v[2:3], v[28:29]
	v_mul_f64_e32 v[28:29], v[4:5], v[28:29]
	s_wait_loadcnt_dscnt 0x900
	v_mul_f64_e32 v[153:154], v[145:146], v[32:33]
	v_mul_f64_e32 v[32:33], v[147:148], v[32:33]
	v_add_f64_e32 v[149:150], v[149:150], v[157:158]
	v_add_f64_e32 v[151:152], v[151:152], v[155:156]
	v_fma_f64 v[155:156], v[4:5], v[26:27], v[159:160]
	v_fma_f64 v[157:158], v[2:3], v[26:27], -v[28:29]
	ds_load_b128 v[2:5], v1 offset:928
	scratch_load_b128 v[26:29], off, off offset:352
	v_fma_f64 v[147:148], v[147:148], v[30:31], v[153:154]
	v_fma_f64 v[145:146], v[145:146], v[30:31], -v[32:33]
	scratch_load_b128 v[30:33], off, off offset:368
	v_add_f64_e32 v[149:150], v[149:150], v[38:39]
	v_add_f64_e32 v[151:152], v[151:152], v[40:41]
	ds_load_b128 v[38:41], v1 offset:944
	s_wait_loadcnt_dscnt 0xa01
	v_mul_f64_e32 v[159:160], v[2:3], v[36:37]
	v_mul_f64_e32 v[36:37], v[4:5], v[36:37]
	s_wait_loadcnt_dscnt 0x800
	v_mul_f64_e32 v[153:154], v[38:39], v[143:144]
	v_add_f64_e32 v[149:150], v[149:150], v[157:158]
	v_add_f64_e32 v[151:152], v[151:152], v[155:156]
	v_mul_f64_e32 v[155:156], v[40:41], v[143:144]
	v_fma_f64 v[157:158], v[4:5], v[34:35], v[159:160]
	v_fma_f64 v[159:160], v[2:3], v[34:35], -v[36:37]
	ds_load_b128 v[2:5], v1 offset:960
	scratch_load_b128 v[34:37], off, off offset:384
	v_fma_f64 v[153:154], v[40:41], v[141:142], v[153:154]
	v_add_f64_e32 v[149:150], v[149:150], v[145:146]
	v_add_f64_e32 v[147:148], v[151:152], v[147:148]
	ds_load_b128 v[143:146], v1 offset:976
	v_fma_f64 v[141:142], v[38:39], v[141:142], -v[155:156]
	scratch_load_b128 v[38:41], off, off offset:400
	s_wait_loadcnt_dscnt 0x901
	v_mul_f64_e32 v[151:152], v[2:3], v[44:45]
	v_mul_f64_e32 v[44:45], v[4:5], v[44:45]
	s_wait_loadcnt_dscnt 0x800
	v_mul_f64_e32 v[155:156], v[143:144], v[8:9]
	v_mul_f64_e32 v[8:9], v[145:146], v[8:9]
	v_add_f64_e32 v[149:150], v[149:150], v[159:160]
	v_add_f64_e32 v[147:148], v[147:148], v[157:158]
	v_fma_f64 v[151:152], v[4:5], v[42:43], v[151:152]
	v_fma_f64 v[157:158], v[2:3], v[42:43], -v[44:45]
	ds_load_b128 v[2:5], v1 offset:992
	scratch_load_b128 v[42:45], off, off offset:416
	v_fma_f64 v[145:146], v[145:146], v[6:7], v[155:156]
	v_fma_f64 v[143:144], v[143:144], v[6:7], -v[8:9]
	scratch_load_b128 v[6:9], off, off offset:432
	v_add_f64_e32 v[141:142], v[149:150], v[141:142]
	v_add_f64_e32 v[153:154], v[147:148], v[153:154]
	ds_load_b128 v[147:150], v1 offset:1008
	s_wait_loadcnt_dscnt 0x901
	v_mul_f64_e32 v[159:160], v[2:3], v[12:13]
	v_mul_f64_e32 v[12:13], v[4:5], v[12:13]
	v_add_f64_e32 v[141:142], v[141:142], v[157:158]
	v_add_f64_e32 v[151:152], v[153:154], v[151:152]
	s_wait_loadcnt_dscnt 0x800
	v_mul_f64_e32 v[153:154], v[147:148], v[16:17]
	v_mul_f64_e32 v[16:17], v[149:150], v[16:17]
	v_fma_f64 v[155:156], v[4:5], v[10:11], v[159:160]
	v_fma_f64 v[157:158], v[2:3], v[10:11], -v[12:13]
	ds_load_b128 v[2:5], v1 offset:1024
	scratch_load_b128 v[10:13], off, off offset:448
	v_add_f64_e32 v[159:160], v[141:142], v[143:144]
	v_add_f64_e32 v[145:146], v[151:152], v[145:146]
	ds_load_b128 v[141:144], v1 offset:1040
	s_wait_loadcnt_dscnt 0x801
	v_mul_f64_e32 v[151:152], v[2:3], v[20:21]
	v_mul_f64_e32 v[20:21], v[4:5], v[20:21]
	v_fma_f64 v[149:150], v[149:150], v[14:15], v[153:154]
	v_fma_f64 v[147:148], v[147:148], v[14:15], -v[16:17]
	scratch_load_b128 v[14:17], off, off offset:464
	v_add_f64_e32 v[153:154], v[159:160], v[157:158]
	v_add_f64_e32 v[145:146], v[145:146], v[155:156]
	s_wait_loadcnt_dscnt 0x800
	v_mul_f64_e32 v[155:156], v[141:142], v[24:25]
	v_mul_f64_e32 v[24:25], v[143:144], v[24:25]
	v_fma_f64 v[151:152], v[4:5], v[18:19], v[151:152]
	v_fma_f64 v[157:158], v[2:3], v[18:19], -v[20:21]
	ds_load_b128 v[2:5], v1 offset:1056
	scratch_load_b128 v[18:21], off, off offset:480
	v_add_f64_e32 v[153:154], v[153:154], v[147:148]
	v_add_f64_e32 v[149:150], v[145:146], v[149:150]
	ds_load_b128 v[145:148], v1 offset:1072
	s_wait_loadcnt_dscnt 0x801
	v_mul_f64_e32 v[159:160], v[2:3], v[28:29]
	v_mul_f64_e32 v[28:29], v[4:5], v[28:29]
	v_fma_f64 v[143:144], v[143:144], v[22:23], v[155:156]
	v_fma_f64 v[141:142], v[141:142], v[22:23], -v[24:25]
	scratch_load_b128 v[22:25], off, off offset:496
	;; [unrolled: 18-line block ×4, first 2 shown]
	s_wait_loadcnt_dscnt 0x800
	v_mul_f64_e32 v[153:154], v[145:146], v[8:9]
	v_mul_f64_e32 v[8:9], v[147:148], v[8:9]
	v_add_f64_e32 v[151:152], v[151:152], v[157:158]
	v_add_f64_e32 v[149:150], v[149:150], v[155:156]
	v_fma_f64 v[155:156], v[4:5], v[42:43], v[159:160]
	v_fma_f64 v[157:158], v[2:3], v[42:43], -v[44:45]
	ds_load_b128 v[2:5], v1 offset:1152
	scratch_load_b128 v[42:45], off, off offset:576
	v_fma_f64 v[147:148], v[147:148], v[6:7], v[153:154]
	v_fma_f64 v[145:146], v[145:146], v[6:7], -v[8:9]
	scratch_load_b128 v[6:9], off, off offset:592
	v_add_f64_e32 v[151:152], v[151:152], v[141:142]
	v_add_f64_e32 v[149:150], v[149:150], v[143:144]
	ds_load_b128 v[141:144], v1 offset:1168
	s_wait_loadcnt_dscnt 0x901
	v_mul_f64_e32 v[159:160], v[2:3], v[12:13]
	v_mul_f64_e32 v[12:13], v[4:5], v[12:13]
	s_wait_loadcnt_dscnt 0x800
	v_mul_f64_e32 v[153:154], v[141:142], v[16:17]
	v_mul_f64_e32 v[16:17], v[143:144], v[16:17]
	v_add_f64_e32 v[151:152], v[151:152], v[157:158]
	v_add_f64_e32 v[149:150], v[149:150], v[155:156]
	v_fma_f64 v[155:156], v[4:5], v[10:11], v[159:160]
	v_fma_f64 v[157:158], v[2:3], v[10:11], -v[12:13]
	ds_load_b128 v[2:5], v1 offset:1184
	scratch_load_b128 v[10:13], off, off offset:608
	v_fma_f64 v[143:144], v[143:144], v[14:15], v[153:154]
	v_fma_f64 v[141:142], v[141:142], v[14:15], -v[16:17]
	scratch_load_b128 v[14:17], off, off offset:624
	v_add_f64_e32 v[151:152], v[151:152], v[145:146]
	v_add_f64_e32 v[149:150], v[149:150], v[147:148]
	ds_load_b128 v[145:148], v1 offset:1200
	s_wait_loadcnt_dscnt 0x901
	v_mul_f64_e32 v[159:160], v[2:3], v[20:21]
	v_mul_f64_e32 v[20:21], v[4:5], v[20:21]
	;; [unrolled: 18-line block ×5, first 2 shown]
	s_wait_loadcnt_dscnt 0x800
	v_mul_f64_e32 v[153:154], v[141:142], v[8:9]
	v_mul_f64_e32 v[8:9], v[143:144], v[8:9]
	v_add_f64_e32 v[151:152], v[151:152], v[157:158]
	v_add_f64_e32 v[149:150], v[149:150], v[155:156]
	v_fma_f64 v[155:156], v[4:5], v[42:43], v[159:160]
	v_fma_f64 v[157:158], v[2:3], v[42:43], -v[44:45]
	ds_load_b128 v[2:5], v1 offset:1312
	ds_load_b128 v[42:45], v1 offset:1328
	v_fma_f64 v[143:144], v[143:144], v[6:7], v[153:154]
	v_fma_f64 v[6:7], v[141:142], v[6:7], -v[8:9]
	v_add_f64_e32 v[145:146], v[151:152], v[145:146]
	v_add_f64_e32 v[147:148], v[149:150], v[147:148]
	s_wait_loadcnt_dscnt 0x701
	v_mul_f64_e32 v[149:150], v[2:3], v[12:13]
	v_mul_f64_e32 v[12:13], v[4:5], v[12:13]
	s_delay_alu instid0(VALU_DEP_4) | instskip(NEXT) | instid1(VALU_DEP_4)
	v_add_f64_e32 v[8:9], v[145:146], v[157:158]
	v_add_f64_e32 v[141:142], v[147:148], v[155:156]
	s_wait_loadcnt_dscnt 0x600
	v_mul_f64_e32 v[145:146], v[42:43], v[16:17]
	v_mul_f64_e32 v[16:17], v[44:45], v[16:17]
	v_fma_f64 v[147:148], v[4:5], v[10:11], v[149:150]
	v_fma_f64 v[10:11], v[2:3], v[10:11], -v[12:13]
	v_add_f64_e32 v[12:13], v[8:9], v[6:7]
	v_add_f64_e32 v[141:142], v[141:142], v[143:144]
	ds_load_b128 v[2:5], v1 offset:1344
	ds_load_b128 v[6:9], v1 offset:1360
	v_fma_f64 v[44:45], v[44:45], v[14:15], v[145:146]
	v_fma_f64 v[14:15], v[42:43], v[14:15], -v[16:17]
	s_wait_loadcnt_dscnt 0x501
	v_mul_f64_e32 v[143:144], v[2:3], v[20:21]
	v_mul_f64_e32 v[20:21], v[4:5], v[20:21]
	s_wait_loadcnt_dscnt 0x400
	v_mul_f64_e32 v[16:17], v[6:7], v[24:25]
	v_mul_f64_e32 v[24:25], v[8:9], v[24:25]
	v_add_f64_e32 v[10:11], v[12:13], v[10:11]
	v_add_f64_e32 v[12:13], v[141:142], v[147:148]
	v_fma_f64 v[42:43], v[4:5], v[18:19], v[143:144]
	v_fma_f64 v[18:19], v[2:3], v[18:19], -v[20:21]
	v_fma_f64 v[8:9], v[8:9], v[22:23], v[16:17]
	v_fma_f64 v[6:7], v[6:7], v[22:23], -v[24:25]
	v_add_f64_e32 v[14:15], v[10:11], v[14:15]
	v_add_f64_e32 v[20:21], v[12:13], v[44:45]
	ds_load_b128 v[2:5], v1 offset:1376
	ds_load_b128 v[10:13], v1 offset:1392
	s_wait_loadcnt_dscnt 0x301
	v_mul_f64_e32 v[44:45], v[2:3], v[28:29]
	v_mul_f64_e32 v[28:29], v[4:5], v[28:29]
	v_add_f64_e32 v[14:15], v[14:15], v[18:19]
	v_add_f64_e32 v[16:17], v[20:21], v[42:43]
	s_wait_loadcnt_dscnt 0x200
	v_mul_f64_e32 v[18:19], v[10:11], v[32:33]
	v_mul_f64_e32 v[20:21], v[12:13], v[32:33]
	v_fma_f64 v[22:23], v[4:5], v[26:27], v[44:45]
	v_fma_f64 v[24:25], v[2:3], v[26:27], -v[28:29]
	v_add_f64_e32 v[14:15], v[14:15], v[6:7]
	v_add_f64_e32 v[16:17], v[16:17], v[8:9]
	ds_load_b128 v[2:5], v1 offset:1408
	ds_load_b128 v[6:9], v1 offset:1424
	v_fma_f64 v[12:13], v[12:13], v[30:31], v[18:19]
	v_fma_f64 v[10:11], v[10:11], v[30:31], -v[20:21]
	s_wait_loadcnt_dscnt 0x101
	v_mul_f64_e32 v[26:27], v[2:3], v[36:37]
	v_mul_f64_e32 v[28:29], v[4:5], v[36:37]
	s_wait_loadcnt_dscnt 0x0
	v_mul_f64_e32 v[18:19], v[6:7], v[40:41]
	v_mul_f64_e32 v[20:21], v[8:9], v[40:41]
	v_add_f64_e32 v[14:15], v[14:15], v[24:25]
	v_add_f64_e32 v[16:17], v[16:17], v[22:23]
	v_fma_f64 v[4:5], v[4:5], v[34:35], v[26:27]
	v_fma_f64 v[1:2], v[2:3], v[34:35], -v[28:29]
	v_fma_f64 v[8:9], v[8:9], v[38:39], v[18:19]
	v_fma_f64 v[6:7], v[6:7], v[38:39], -v[20:21]
	v_add_f64_e32 v[10:11], v[14:15], v[10:11]
	v_add_f64_e32 v[12:13], v[16:17], v[12:13]
	s_delay_alu instid0(VALU_DEP_2) | instskip(NEXT) | instid1(VALU_DEP_2)
	v_add_f64_e32 v[1:2], v[10:11], v[1:2]
	v_add_f64_e32 v[3:4], v[12:13], v[4:5]
	s_delay_alu instid0(VALU_DEP_2) | instskip(NEXT) | instid1(VALU_DEP_2)
	;; [unrolled: 3-line block ×3, first 2 shown]
	v_add_f64_e64 v[1:2], v[137:138], -v[1:2]
	v_add_f64_e64 v[3:4], v[139:140], -v[3:4]
	scratch_store_b128 off, v[1:4], off offset:80
	v_cmpx_lt_u32_e32 3, v0
	s_cbranch_execz .LBB44_277
; %bb.276:
	scratch_load_b128 v[1:4], off, s21
	v_mov_b32_e32 v5, 0
	s_delay_alu instid0(VALU_DEP_1)
	v_dual_mov_b32 v6, v5 :: v_dual_mov_b32 v7, v5
	v_mov_b32_e32 v8, v5
	scratch_store_b128 off, v[5:8], off offset:64
	s_wait_loadcnt 0x0
	ds_store_b128 v136, v[1:4]
.LBB44_277:
	s_wait_alu 0xfffe
	s_or_b32 exec_lo, exec_lo, s0
	s_wait_storecnt_dscnt 0x0
	s_barrier_signal -1
	s_barrier_wait -1
	global_inv scope:SCOPE_SE
	s_clause 0x7
	scratch_load_b128 v[2:5], off, off offset:80
	scratch_load_b128 v[6:9], off, off offset:96
	;; [unrolled: 1-line block ×8, first 2 shown]
	v_mov_b32_e32 v1, 0
	s_mov_b32 s0, exec_lo
	ds_load_b128 v[38:41], v1 offset:784
	s_clause 0x1
	scratch_load_b128 v[34:37], off, off offset:208
	scratch_load_b128 v[42:45], off, off offset:64
	ds_load_b128 v[137:140], v1 offset:800
	scratch_load_b128 v[141:144], off, off offset:224
	s_wait_loadcnt_dscnt 0xa01
	v_mul_f64_e32 v[145:146], v[40:41], v[4:5]
	v_mul_f64_e32 v[4:5], v[38:39], v[4:5]
	s_delay_alu instid0(VALU_DEP_2) | instskip(NEXT) | instid1(VALU_DEP_2)
	v_fma_f64 v[151:152], v[38:39], v[2:3], -v[145:146]
	v_fma_f64 v[153:154], v[40:41], v[2:3], v[4:5]
	ds_load_b128 v[2:5], v1 offset:816
	s_wait_loadcnt_dscnt 0x901
	v_mul_f64_e32 v[149:150], v[137:138], v[8:9]
	v_mul_f64_e32 v[8:9], v[139:140], v[8:9]
	scratch_load_b128 v[38:41], off, off offset:240
	ds_load_b128 v[145:148], v1 offset:832
	s_wait_loadcnt_dscnt 0x901
	v_mul_f64_e32 v[155:156], v[2:3], v[12:13]
	v_mul_f64_e32 v[12:13], v[4:5], v[12:13]
	v_fma_f64 v[139:140], v[139:140], v[6:7], v[149:150]
	v_fma_f64 v[137:138], v[137:138], v[6:7], -v[8:9]
	v_add_f64_e32 v[149:150], 0, v[151:152]
	v_add_f64_e32 v[151:152], 0, v[153:154]
	scratch_load_b128 v[6:9], off, off offset:256
	v_fma_f64 v[155:156], v[4:5], v[10:11], v[155:156]
	v_fma_f64 v[157:158], v[2:3], v[10:11], -v[12:13]
	ds_load_b128 v[2:5], v1 offset:848
	s_wait_loadcnt_dscnt 0x901
	v_mul_f64_e32 v[153:154], v[145:146], v[16:17]
	v_mul_f64_e32 v[16:17], v[147:148], v[16:17]
	scratch_load_b128 v[10:13], off, off offset:272
	v_add_f64_e32 v[149:150], v[149:150], v[137:138]
	v_add_f64_e32 v[151:152], v[151:152], v[139:140]
	s_wait_loadcnt_dscnt 0x900
	v_mul_f64_e32 v[159:160], v[2:3], v[20:21]
	v_mul_f64_e32 v[20:21], v[4:5], v[20:21]
	ds_load_b128 v[137:140], v1 offset:864
	v_fma_f64 v[147:148], v[147:148], v[14:15], v[153:154]
	v_fma_f64 v[145:146], v[145:146], v[14:15], -v[16:17]
	scratch_load_b128 v[14:17], off, off offset:288
	v_add_f64_e32 v[149:150], v[149:150], v[157:158]
	v_add_f64_e32 v[151:152], v[151:152], v[155:156]
	v_fma_f64 v[155:156], v[4:5], v[18:19], v[159:160]
	v_fma_f64 v[157:158], v[2:3], v[18:19], -v[20:21]
	ds_load_b128 v[2:5], v1 offset:880
	s_wait_loadcnt_dscnt 0x901
	v_mul_f64_e32 v[153:154], v[137:138], v[24:25]
	v_mul_f64_e32 v[24:25], v[139:140], v[24:25]
	scratch_load_b128 v[18:21], off, off offset:304
	s_wait_loadcnt_dscnt 0x900
	v_mul_f64_e32 v[159:160], v[2:3], v[28:29]
	v_mul_f64_e32 v[28:29], v[4:5], v[28:29]
	v_add_f64_e32 v[149:150], v[149:150], v[145:146]
	v_add_f64_e32 v[151:152], v[151:152], v[147:148]
	ds_load_b128 v[145:148], v1 offset:896
	v_fma_f64 v[139:140], v[139:140], v[22:23], v[153:154]
	v_fma_f64 v[137:138], v[137:138], v[22:23], -v[24:25]
	scratch_load_b128 v[22:25], off, off offset:320
	v_add_f64_e32 v[149:150], v[149:150], v[157:158]
	v_add_f64_e32 v[151:152], v[151:152], v[155:156]
	v_fma_f64 v[155:156], v[4:5], v[26:27], v[159:160]
	v_fma_f64 v[157:158], v[2:3], v[26:27], -v[28:29]
	ds_load_b128 v[2:5], v1 offset:912
	s_wait_loadcnt_dscnt 0x901
	v_mul_f64_e32 v[153:154], v[145:146], v[32:33]
	v_mul_f64_e32 v[32:33], v[147:148], v[32:33]
	scratch_load_b128 v[26:29], off, off offset:336
	s_wait_loadcnt_dscnt 0x900
	v_mul_f64_e32 v[159:160], v[2:3], v[36:37]
	v_mul_f64_e32 v[36:37], v[4:5], v[36:37]
	v_add_f64_e32 v[149:150], v[149:150], v[137:138]
	v_add_f64_e32 v[151:152], v[151:152], v[139:140]
	ds_load_b128 v[137:140], v1 offset:928
	v_fma_f64 v[147:148], v[147:148], v[30:31], v[153:154]
	v_fma_f64 v[145:146], v[145:146], v[30:31], -v[32:33]
	scratch_load_b128 v[30:33], off, off offset:352
	v_add_f64_e32 v[149:150], v[149:150], v[157:158]
	v_add_f64_e32 v[151:152], v[151:152], v[155:156]
	v_fma_f64 v[157:158], v[4:5], v[34:35], v[159:160]
	v_fma_f64 v[159:160], v[2:3], v[34:35], -v[36:37]
	ds_load_b128 v[2:5], v1 offset:944
	s_wait_loadcnt_dscnt 0x801
	v_mul_f64_e32 v[153:154], v[137:138], v[143:144]
	v_mul_f64_e32 v[155:156], v[139:140], v[143:144]
	scratch_load_b128 v[34:37], off, off offset:368
	v_add_f64_e32 v[149:150], v[149:150], v[145:146]
	v_add_f64_e32 v[147:148], v[151:152], v[147:148]
	ds_load_b128 v[143:146], v1 offset:960
	v_fma_f64 v[153:154], v[139:140], v[141:142], v[153:154]
	v_fma_f64 v[141:142], v[137:138], v[141:142], -v[155:156]
	scratch_load_b128 v[137:140], off, off offset:384
	s_wait_loadcnt_dscnt 0x901
	v_mul_f64_e32 v[151:152], v[2:3], v[40:41]
	v_mul_f64_e32 v[40:41], v[4:5], v[40:41]
	v_add_f64_e32 v[149:150], v[149:150], v[159:160]
	v_add_f64_e32 v[147:148], v[147:148], v[157:158]
	s_delay_alu instid0(VALU_DEP_4) | instskip(NEXT) | instid1(VALU_DEP_4)
	v_fma_f64 v[151:152], v[4:5], v[38:39], v[151:152]
	v_fma_f64 v[157:158], v[2:3], v[38:39], -v[40:41]
	ds_load_b128 v[2:5], v1 offset:976
	s_wait_loadcnt_dscnt 0x801
	v_mul_f64_e32 v[155:156], v[143:144], v[8:9]
	v_mul_f64_e32 v[8:9], v[145:146], v[8:9]
	scratch_load_b128 v[38:41], off, off offset:400
	s_wait_loadcnt_dscnt 0x800
	v_mul_f64_e32 v[159:160], v[2:3], v[12:13]
	v_add_f64_e32 v[141:142], v[149:150], v[141:142]
	v_add_f64_e32 v[153:154], v[147:148], v[153:154]
	v_mul_f64_e32 v[12:13], v[4:5], v[12:13]
	ds_load_b128 v[147:150], v1 offset:992
	v_fma_f64 v[145:146], v[145:146], v[6:7], v[155:156]
	v_fma_f64 v[143:144], v[143:144], v[6:7], -v[8:9]
	scratch_load_b128 v[6:9], off, off offset:416
	v_fma_f64 v[155:156], v[4:5], v[10:11], v[159:160]
	v_add_f64_e32 v[141:142], v[141:142], v[157:158]
	v_add_f64_e32 v[151:152], v[153:154], v[151:152]
	v_fma_f64 v[157:158], v[2:3], v[10:11], -v[12:13]
	ds_load_b128 v[2:5], v1 offset:1008
	s_wait_loadcnt_dscnt 0x801
	v_mul_f64_e32 v[153:154], v[147:148], v[16:17]
	v_mul_f64_e32 v[16:17], v[149:150], v[16:17]
	scratch_load_b128 v[10:13], off, off offset:432
	v_add_f64_e32 v[159:160], v[141:142], v[143:144]
	v_add_f64_e32 v[145:146], v[151:152], v[145:146]
	s_wait_loadcnt_dscnt 0x800
	v_mul_f64_e32 v[151:152], v[2:3], v[20:21]
	v_mul_f64_e32 v[20:21], v[4:5], v[20:21]
	v_fma_f64 v[149:150], v[149:150], v[14:15], v[153:154]
	v_fma_f64 v[147:148], v[147:148], v[14:15], -v[16:17]
	ds_load_b128 v[141:144], v1 offset:1024
	scratch_load_b128 v[14:17], off, off offset:448
	v_add_f64_e32 v[153:154], v[159:160], v[157:158]
	v_add_f64_e32 v[145:146], v[145:146], v[155:156]
	v_fma_f64 v[151:152], v[4:5], v[18:19], v[151:152]
	v_fma_f64 v[157:158], v[2:3], v[18:19], -v[20:21]
	ds_load_b128 v[2:5], v1 offset:1040
	s_wait_loadcnt_dscnt 0x801
	v_mul_f64_e32 v[155:156], v[141:142], v[24:25]
	v_mul_f64_e32 v[24:25], v[143:144], v[24:25]
	scratch_load_b128 v[18:21], off, off offset:464
	s_wait_loadcnt_dscnt 0x800
	v_mul_f64_e32 v[159:160], v[2:3], v[28:29]
	v_mul_f64_e32 v[28:29], v[4:5], v[28:29]
	v_add_f64_e32 v[153:154], v[153:154], v[147:148]
	v_add_f64_e32 v[149:150], v[145:146], v[149:150]
	ds_load_b128 v[145:148], v1 offset:1056
	v_fma_f64 v[143:144], v[143:144], v[22:23], v[155:156]
	v_fma_f64 v[141:142], v[141:142], v[22:23], -v[24:25]
	scratch_load_b128 v[22:25], off, off offset:480
	v_fma_f64 v[155:156], v[4:5], v[26:27], v[159:160]
	v_add_f64_e32 v[153:154], v[153:154], v[157:158]
	v_add_f64_e32 v[149:150], v[149:150], v[151:152]
	v_fma_f64 v[157:158], v[2:3], v[26:27], -v[28:29]
	ds_load_b128 v[2:5], v1 offset:1072
	s_wait_loadcnt_dscnt 0x801
	v_mul_f64_e32 v[151:152], v[145:146], v[32:33]
	v_mul_f64_e32 v[32:33], v[147:148], v[32:33]
	scratch_load_b128 v[26:29], off, off offset:496
	s_wait_loadcnt_dscnt 0x800
	v_mul_f64_e32 v[159:160], v[2:3], v[36:37]
	v_mul_f64_e32 v[36:37], v[4:5], v[36:37]
	v_add_f64_e32 v[153:154], v[153:154], v[141:142]
	v_add_f64_e32 v[149:150], v[149:150], v[143:144]
	ds_load_b128 v[141:144], v1 offset:1088
	v_fma_f64 v[147:148], v[147:148], v[30:31], v[151:152]
	v_fma_f64 v[145:146], v[145:146], v[30:31], -v[32:33]
	scratch_load_b128 v[30:33], off, off offset:512
	v_add_f64_e32 v[151:152], v[153:154], v[157:158]
	v_add_f64_e32 v[149:150], v[149:150], v[155:156]
	v_fma_f64 v[155:156], v[4:5], v[34:35], v[159:160]
	v_fma_f64 v[157:158], v[2:3], v[34:35], -v[36:37]
	ds_load_b128 v[2:5], v1 offset:1104
	s_wait_loadcnt_dscnt 0x801
	v_mul_f64_e32 v[153:154], v[141:142], v[139:140]
	v_mul_f64_e32 v[139:140], v[143:144], v[139:140]
	scratch_load_b128 v[34:37], off, off offset:528
	s_wait_loadcnt_dscnt 0x800
	v_mul_f64_e32 v[159:160], v[2:3], v[40:41]
	v_mul_f64_e32 v[40:41], v[4:5], v[40:41]
	v_add_f64_e32 v[151:152], v[151:152], v[145:146]
	v_add_f64_e32 v[149:150], v[149:150], v[147:148]
	ds_load_b128 v[145:148], v1 offset:1120
	v_fma_f64 v[143:144], v[143:144], v[137:138], v[153:154]
	v_fma_f64 v[141:142], v[141:142], v[137:138], -v[139:140]
	scratch_load_b128 v[137:140], off, off offset:544
	v_add_f64_e32 v[151:152], v[151:152], v[157:158]
	v_add_f64_e32 v[149:150], v[149:150], v[155:156]
	v_fma_f64 v[155:156], v[4:5], v[38:39], v[159:160]
	;; [unrolled: 18-line block ×6, first 2 shown]
	v_fma_f64 v[159:160], v[2:3], v[34:35], -v[36:37]
	ds_load_b128 v[2:5], v1 offset:1264
	s_wait_loadcnt_dscnt 0x801
	v_mul_f64_e32 v[153:154], v[145:146], v[139:140]
	v_mul_f64_e32 v[155:156], v[147:148], v[139:140]
	scratch_load_b128 v[34:37], off, off offset:688
	v_add_f64_e32 v[151:152], v[151:152], v[141:142]
	v_add_f64_e32 v[143:144], v[149:150], v[143:144]
	s_wait_loadcnt_dscnt 0x800
	v_mul_f64_e32 v[149:150], v[2:3], v[40:41]
	v_mul_f64_e32 v[40:41], v[4:5], v[40:41]
	ds_load_b128 v[139:142], v1 offset:1280
	v_fma_f64 v[147:148], v[147:148], v[137:138], v[153:154]
	v_fma_f64 v[137:138], v[145:146], v[137:138], -v[155:156]
	v_add_f64_e32 v[151:152], v[151:152], v[159:160]
	v_add_f64_e32 v[153:154], v[143:144], v[157:158]
	scratch_load_b128 v[143:146], off, off offset:704
	v_fma_f64 v[157:158], v[4:5], v[38:39], v[149:150]
	v_fma_f64 v[159:160], v[2:3], v[38:39], -v[40:41]
	ds_load_b128 v[2:5], v1 offset:1296
	s_wait_loadcnt_dscnt 0x801
	v_mul_f64_e32 v[155:156], v[139:140], v[8:9]
	v_mul_f64_e32 v[8:9], v[141:142], v[8:9]
	scratch_load_b128 v[38:41], off, off offset:720
	v_add_f64_e32 v[137:138], v[151:152], v[137:138]
	v_add_f64_e32 v[151:152], v[153:154], v[147:148]
	s_wait_loadcnt_dscnt 0x800
	v_mul_f64_e32 v[153:154], v[2:3], v[12:13]
	v_mul_f64_e32 v[12:13], v[4:5], v[12:13]
	ds_load_b128 v[147:150], v1 offset:1312
	v_fma_f64 v[141:142], v[141:142], v[6:7], v[155:156]
	v_fma_f64 v[6:7], v[139:140], v[6:7], -v[8:9]
	s_wait_loadcnt_dscnt 0x700
	v_mul_f64_e32 v[139:140], v[147:148], v[16:17]
	v_mul_f64_e32 v[16:17], v[149:150], v[16:17]
	v_add_f64_e32 v[8:9], v[137:138], v[159:160]
	v_add_f64_e32 v[137:138], v[151:152], v[157:158]
	v_fma_f64 v[151:152], v[4:5], v[10:11], v[153:154]
	v_fma_f64 v[10:11], v[2:3], v[10:11], -v[12:13]
	v_fma_f64 v[139:140], v[149:150], v[14:15], v[139:140]
	v_fma_f64 v[14:15], v[147:148], v[14:15], -v[16:17]
	v_add_f64_e32 v[12:13], v[8:9], v[6:7]
	v_add_f64_e32 v[137:138], v[137:138], v[141:142]
	ds_load_b128 v[2:5], v1 offset:1328
	ds_load_b128 v[6:9], v1 offset:1344
	s_wait_loadcnt_dscnt 0x601
	v_mul_f64_e32 v[141:142], v[2:3], v[20:21]
	v_mul_f64_e32 v[20:21], v[4:5], v[20:21]
	s_wait_loadcnt_dscnt 0x500
	v_mul_f64_e32 v[16:17], v[6:7], v[24:25]
	v_mul_f64_e32 v[24:25], v[8:9], v[24:25]
	v_add_f64_e32 v[10:11], v[12:13], v[10:11]
	v_add_f64_e32 v[12:13], v[137:138], v[151:152]
	v_fma_f64 v[137:138], v[4:5], v[18:19], v[141:142]
	v_fma_f64 v[18:19], v[2:3], v[18:19], -v[20:21]
	v_fma_f64 v[8:9], v[8:9], v[22:23], v[16:17]
	v_fma_f64 v[6:7], v[6:7], v[22:23], -v[24:25]
	v_add_f64_e32 v[14:15], v[10:11], v[14:15]
	v_add_f64_e32 v[20:21], v[12:13], v[139:140]
	ds_load_b128 v[2:5], v1 offset:1360
	ds_load_b128 v[10:13], v1 offset:1376
	s_wait_loadcnt_dscnt 0x401
	v_mul_f64_e32 v[139:140], v[2:3], v[28:29]
	v_mul_f64_e32 v[28:29], v[4:5], v[28:29]
	v_add_f64_e32 v[14:15], v[14:15], v[18:19]
	v_add_f64_e32 v[16:17], v[20:21], v[137:138]
	s_wait_loadcnt_dscnt 0x300
	v_mul_f64_e32 v[18:19], v[10:11], v[32:33]
	v_mul_f64_e32 v[20:21], v[12:13], v[32:33]
	v_fma_f64 v[22:23], v[4:5], v[26:27], v[139:140]
	v_fma_f64 v[24:25], v[2:3], v[26:27], -v[28:29]
	v_add_f64_e32 v[14:15], v[14:15], v[6:7]
	v_add_f64_e32 v[16:17], v[16:17], v[8:9]
	ds_load_b128 v[2:5], v1 offset:1392
	ds_load_b128 v[6:9], v1 offset:1408
	v_fma_f64 v[12:13], v[12:13], v[30:31], v[18:19]
	v_fma_f64 v[10:11], v[10:11], v[30:31], -v[20:21]
	s_wait_loadcnt_dscnt 0x201
	v_mul_f64_e32 v[26:27], v[2:3], v[36:37]
	v_mul_f64_e32 v[28:29], v[4:5], v[36:37]
	v_add_f64_e32 v[14:15], v[14:15], v[24:25]
	v_add_f64_e32 v[16:17], v[16:17], v[22:23]
	s_wait_loadcnt_dscnt 0x100
	v_mul_f64_e32 v[18:19], v[6:7], v[145:146]
	v_mul_f64_e32 v[20:21], v[8:9], v[145:146]
	v_fma_f64 v[22:23], v[4:5], v[34:35], v[26:27]
	v_fma_f64 v[24:25], v[2:3], v[34:35], -v[28:29]
	ds_load_b128 v[2:5], v1 offset:1424
	v_add_f64_e32 v[10:11], v[14:15], v[10:11]
	v_add_f64_e32 v[12:13], v[16:17], v[12:13]
	s_wait_loadcnt_dscnt 0x0
	v_mul_f64_e32 v[14:15], v[2:3], v[40:41]
	v_mul_f64_e32 v[16:17], v[4:5], v[40:41]
	v_fma_f64 v[8:9], v[8:9], v[143:144], v[18:19]
	v_fma_f64 v[6:7], v[6:7], v[143:144], -v[20:21]
	v_add_f64_e32 v[10:11], v[10:11], v[24:25]
	v_add_f64_e32 v[12:13], v[12:13], v[22:23]
	v_fma_f64 v[4:5], v[4:5], v[38:39], v[14:15]
	v_fma_f64 v[2:3], v[2:3], v[38:39], -v[16:17]
	s_delay_alu instid0(VALU_DEP_4) | instskip(NEXT) | instid1(VALU_DEP_4)
	v_add_f64_e32 v[6:7], v[10:11], v[6:7]
	v_add_f64_e32 v[8:9], v[12:13], v[8:9]
	s_delay_alu instid0(VALU_DEP_2) | instskip(NEXT) | instid1(VALU_DEP_2)
	v_add_f64_e32 v[2:3], v[6:7], v[2:3]
	v_add_f64_e32 v[4:5], v[8:9], v[4:5]
	s_delay_alu instid0(VALU_DEP_2) | instskip(NEXT) | instid1(VALU_DEP_2)
	v_add_f64_e64 v[2:3], v[42:43], -v[2:3]
	v_add_f64_e64 v[4:5], v[44:45], -v[4:5]
	scratch_store_b128 off, v[2:5], off offset:64
	v_cmpx_lt_u32_e32 2, v0
	s_cbranch_execz .LBB44_279
; %bb.278:
	scratch_load_b128 v[5:8], off, s22
	v_dual_mov_b32 v2, v1 :: v_dual_mov_b32 v3, v1
	v_mov_b32_e32 v4, v1
	scratch_store_b128 off, v[1:4], off offset:48
	s_wait_loadcnt 0x0
	ds_store_b128 v136, v[5:8]
.LBB44_279:
	s_wait_alu 0xfffe
	s_or_b32 exec_lo, exec_lo, s0
	s_wait_storecnt_dscnt 0x0
	s_barrier_signal -1
	s_barrier_wait -1
	global_inv scope:SCOPE_SE
	s_clause 0x8
	scratch_load_b128 v[2:5], off, off offset:64
	scratch_load_b128 v[6:9], off, off offset:80
	;; [unrolled: 1-line block ×9, first 2 shown]
	ds_load_b128 v[42:45], v1 offset:768
	ds_load_b128 v[38:41], v1 offset:784
	s_clause 0x1
	scratch_load_b128 v[137:140], off, off offset:48
	scratch_load_b128 v[141:144], off, off offset:208
	s_mov_b32 s0, exec_lo
	s_wait_loadcnt_dscnt 0xa01
	v_mul_f64_e32 v[145:146], v[44:45], v[4:5]
	v_mul_f64_e32 v[4:5], v[42:43], v[4:5]
	s_wait_loadcnt_dscnt 0x900
	v_mul_f64_e32 v[149:150], v[38:39], v[8:9]
	v_mul_f64_e32 v[8:9], v[40:41], v[8:9]
	s_delay_alu instid0(VALU_DEP_4) | instskip(NEXT) | instid1(VALU_DEP_4)
	v_fma_f64 v[151:152], v[42:43], v[2:3], -v[145:146]
	v_fma_f64 v[153:154], v[44:45], v[2:3], v[4:5]
	ds_load_b128 v[2:5], v1 offset:800
	ds_load_b128 v[145:148], v1 offset:816
	scratch_load_b128 v[42:45], off, off offset:224
	v_fma_f64 v[40:41], v[40:41], v[6:7], v[149:150]
	v_fma_f64 v[38:39], v[38:39], v[6:7], -v[8:9]
	scratch_load_b128 v[6:9], off, off offset:240
	s_wait_loadcnt_dscnt 0xa01
	v_mul_f64_e32 v[155:156], v[2:3], v[12:13]
	v_mul_f64_e32 v[12:13], v[4:5], v[12:13]
	v_add_f64_e32 v[149:150], 0, v[151:152]
	v_add_f64_e32 v[151:152], 0, v[153:154]
	s_wait_loadcnt_dscnt 0x900
	v_mul_f64_e32 v[153:154], v[145:146], v[16:17]
	v_mul_f64_e32 v[16:17], v[147:148], v[16:17]
	v_fma_f64 v[155:156], v[4:5], v[10:11], v[155:156]
	v_fma_f64 v[157:158], v[2:3], v[10:11], -v[12:13]
	ds_load_b128 v[2:5], v1 offset:832
	scratch_load_b128 v[10:13], off, off offset:256
	v_add_f64_e32 v[149:150], v[149:150], v[38:39]
	v_add_f64_e32 v[151:152], v[151:152], v[40:41]
	ds_load_b128 v[38:41], v1 offset:848
	v_fma_f64 v[147:148], v[147:148], v[14:15], v[153:154]
	v_fma_f64 v[145:146], v[145:146], v[14:15], -v[16:17]
	scratch_load_b128 v[14:17], off, off offset:272
	s_wait_loadcnt_dscnt 0xa01
	v_mul_f64_e32 v[159:160], v[2:3], v[20:21]
	v_mul_f64_e32 v[20:21], v[4:5], v[20:21]
	s_wait_loadcnt_dscnt 0x900
	v_mul_f64_e32 v[153:154], v[38:39], v[24:25]
	v_mul_f64_e32 v[24:25], v[40:41], v[24:25]
	v_add_f64_e32 v[149:150], v[149:150], v[157:158]
	v_add_f64_e32 v[151:152], v[151:152], v[155:156]
	v_fma_f64 v[155:156], v[4:5], v[18:19], v[159:160]
	v_fma_f64 v[157:158], v[2:3], v[18:19], -v[20:21]
	ds_load_b128 v[2:5], v1 offset:864
	scratch_load_b128 v[18:21], off, off offset:288
	v_fma_f64 v[40:41], v[40:41], v[22:23], v[153:154]
	v_fma_f64 v[38:39], v[38:39], v[22:23], -v[24:25]
	scratch_load_b128 v[22:25], off, off offset:304
	v_add_f64_e32 v[149:150], v[149:150], v[145:146]
	v_add_f64_e32 v[151:152], v[151:152], v[147:148]
	ds_load_b128 v[145:148], v1 offset:880
	s_wait_loadcnt_dscnt 0xa01
	v_mul_f64_e32 v[159:160], v[2:3], v[28:29]
	v_mul_f64_e32 v[28:29], v[4:5], v[28:29]
	s_wait_loadcnt_dscnt 0x900
	v_mul_f64_e32 v[153:154], v[145:146], v[32:33]
	v_mul_f64_e32 v[32:33], v[147:148], v[32:33]
	v_add_f64_e32 v[149:150], v[149:150], v[157:158]
	v_add_f64_e32 v[151:152], v[151:152], v[155:156]
	v_fma_f64 v[155:156], v[4:5], v[26:27], v[159:160]
	v_fma_f64 v[157:158], v[2:3], v[26:27], -v[28:29]
	ds_load_b128 v[2:5], v1 offset:896
	scratch_load_b128 v[26:29], off, off offset:320
	v_fma_f64 v[147:148], v[147:148], v[30:31], v[153:154]
	v_fma_f64 v[145:146], v[145:146], v[30:31], -v[32:33]
	scratch_load_b128 v[30:33], off, off offset:336
	v_add_f64_e32 v[149:150], v[149:150], v[38:39]
	v_add_f64_e32 v[151:152], v[151:152], v[40:41]
	ds_load_b128 v[38:41], v1 offset:912
	s_wait_loadcnt_dscnt 0xa01
	v_mul_f64_e32 v[159:160], v[2:3], v[36:37]
	v_mul_f64_e32 v[36:37], v[4:5], v[36:37]
	s_wait_loadcnt_dscnt 0x800
	v_mul_f64_e32 v[153:154], v[38:39], v[143:144]
	v_add_f64_e32 v[149:150], v[149:150], v[157:158]
	v_add_f64_e32 v[151:152], v[151:152], v[155:156]
	v_mul_f64_e32 v[155:156], v[40:41], v[143:144]
	v_fma_f64 v[157:158], v[4:5], v[34:35], v[159:160]
	v_fma_f64 v[159:160], v[2:3], v[34:35], -v[36:37]
	ds_load_b128 v[2:5], v1 offset:928
	scratch_load_b128 v[34:37], off, off offset:352
	v_fma_f64 v[153:154], v[40:41], v[141:142], v[153:154]
	v_add_f64_e32 v[149:150], v[149:150], v[145:146]
	v_add_f64_e32 v[147:148], v[151:152], v[147:148]
	ds_load_b128 v[143:146], v1 offset:944
	v_fma_f64 v[141:142], v[38:39], v[141:142], -v[155:156]
	scratch_load_b128 v[38:41], off, off offset:368
	s_wait_loadcnt_dscnt 0x901
	v_mul_f64_e32 v[151:152], v[2:3], v[44:45]
	v_mul_f64_e32 v[44:45], v[4:5], v[44:45]
	s_wait_loadcnt_dscnt 0x800
	v_mul_f64_e32 v[155:156], v[143:144], v[8:9]
	v_mul_f64_e32 v[8:9], v[145:146], v[8:9]
	v_add_f64_e32 v[149:150], v[149:150], v[159:160]
	v_add_f64_e32 v[147:148], v[147:148], v[157:158]
	v_fma_f64 v[151:152], v[4:5], v[42:43], v[151:152]
	v_fma_f64 v[157:158], v[2:3], v[42:43], -v[44:45]
	ds_load_b128 v[2:5], v1 offset:960
	scratch_load_b128 v[42:45], off, off offset:384
	v_fma_f64 v[145:146], v[145:146], v[6:7], v[155:156]
	v_fma_f64 v[143:144], v[143:144], v[6:7], -v[8:9]
	scratch_load_b128 v[6:9], off, off offset:400
	v_add_f64_e32 v[141:142], v[149:150], v[141:142]
	v_add_f64_e32 v[153:154], v[147:148], v[153:154]
	ds_load_b128 v[147:150], v1 offset:976
	s_wait_loadcnt_dscnt 0x901
	v_mul_f64_e32 v[159:160], v[2:3], v[12:13]
	v_mul_f64_e32 v[12:13], v[4:5], v[12:13]
	v_add_f64_e32 v[141:142], v[141:142], v[157:158]
	v_add_f64_e32 v[151:152], v[153:154], v[151:152]
	s_wait_loadcnt_dscnt 0x800
	v_mul_f64_e32 v[153:154], v[147:148], v[16:17]
	v_mul_f64_e32 v[16:17], v[149:150], v[16:17]
	v_fma_f64 v[155:156], v[4:5], v[10:11], v[159:160]
	v_fma_f64 v[157:158], v[2:3], v[10:11], -v[12:13]
	ds_load_b128 v[2:5], v1 offset:992
	scratch_load_b128 v[10:13], off, off offset:416
	v_add_f64_e32 v[159:160], v[141:142], v[143:144]
	v_add_f64_e32 v[145:146], v[151:152], v[145:146]
	ds_load_b128 v[141:144], v1 offset:1008
	s_wait_loadcnt_dscnt 0x801
	v_mul_f64_e32 v[151:152], v[2:3], v[20:21]
	v_mul_f64_e32 v[20:21], v[4:5], v[20:21]
	v_fma_f64 v[149:150], v[149:150], v[14:15], v[153:154]
	v_fma_f64 v[147:148], v[147:148], v[14:15], -v[16:17]
	scratch_load_b128 v[14:17], off, off offset:432
	v_add_f64_e32 v[153:154], v[159:160], v[157:158]
	v_add_f64_e32 v[145:146], v[145:146], v[155:156]
	s_wait_loadcnt_dscnt 0x800
	v_mul_f64_e32 v[155:156], v[141:142], v[24:25]
	v_mul_f64_e32 v[24:25], v[143:144], v[24:25]
	v_fma_f64 v[151:152], v[4:5], v[18:19], v[151:152]
	v_fma_f64 v[157:158], v[2:3], v[18:19], -v[20:21]
	ds_load_b128 v[2:5], v1 offset:1024
	scratch_load_b128 v[18:21], off, off offset:448
	v_add_f64_e32 v[153:154], v[153:154], v[147:148]
	v_add_f64_e32 v[149:150], v[145:146], v[149:150]
	ds_load_b128 v[145:148], v1 offset:1040
	s_wait_loadcnt_dscnt 0x801
	v_mul_f64_e32 v[159:160], v[2:3], v[28:29]
	v_mul_f64_e32 v[28:29], v[4:5], v[28:29]
	v_fma_f64 v[143:144], v[143:144], v[22:23], v[155:156]
	v_fma_f64 v[141:142], v[141:142], v[22:23], -v[24:25]
	scratch_load_b128 v[22:25], off, off offset:464
	;; [unrolled: 18-line block ×4, first 2 shown]
	s_wait_loadcnt_dscnt 0x800
	v_mul_f64_e32 v[153:154], v[145:146], v[8:9]
	v_mul_f64_e32 v[8:9], v[147:148], v[8:9]
	v_add_f64_e32 v[151:152], v[151:152], v[157:158]
	v_add_f64_e32 v[149:150], v[149:150], v[155:156]
	v_fma_f64 v[155:156], v[4:5], v[42:43], v[159:160]
	v_fma_f64 v[157:158], v[2:3], v[42:43], -v[44:45]
	ds_load_b128 v[2:5], v1 offset:1120
	scratch_load_b128 v[42:45], off, off offset:544
	v_fma_f64 v[147:148], v[147:148], v[6:7], v[153:154]
	v_fma_f64 v[145:146], v[145:146], v[6:7], -v[8:9]
	scratch_load_b128 v[6:9], off, off offset:560
	v_add_f64_e32 v[151:152], v[151:152], v[141:142]
	v_add_f64_e32 v[149:150], v[149:150], v[143:144]
	ds_load_b128 v[141:144], v1 offset:1136
	s_wait_loadcnt_dscnt 0x901
	v_mul_f64_e32 v[159:160], v[2:3], v[12:13]
	v_mul_f64_e32 v[12:13], v[4:5], v[12:13]
	s_wait_loadcnt_dscnt 0x800
	v_mul_f64_e32 v[153:154], v[141:142], v[16:17]
	v_mul_f64_e32 v[16:17], v[143:144], v[16:17]
	v_add_f64_e32 v[151:152], v[151:152], v[157:158]
	v_add_f64_e32 v[149:150], v[149:150], v[155:156]
	v_fma_f64 v[155:156], v[4:5], v[10:11], v[159:160]
	v_fma_f64 v[157:158], v[2:3], v[10:11], -v[12:13]
	ds_load_b128 v[2:5], v1 offset:1152
	scratch_load_b128 v[10:13], off, off offset:576
	v_fma_f64 v[143:144], v[143:144], v[14:15], v[153:154]
	v_fma_f64 v[141:142], v[141:142], v[14:15], -v[16:17]
	scratch_load_b128 v[14:17], off, off offset:592
	v_add_f64_e32 v[151:152], v[151:152], v[145:146]
	v_add_f64_e32 v[149:150], v[149:150], v[147:148]
	ds_load_b128 v[145:148], v1 offset:1168
	s_wait_loadcnt_dscnt 0x901
	v_mul_f64_e32 v[159:160], v[2:3], v[20:21]
	v_mul_f64_e32 v[20:21], v[4:5], v[20:21]
	;; [unrolled: 18-line block ×6, first 2 shown]
	s_wait_loadcnt_dscnt 0x800
	v_mul_f64_e32 v[153:154], v[145:146], v[16:17]
	v_mul_f64_e32 v[16:17], v[147:148], v[16:17]
	v_add_f64_e32 v[151:152], v[151:152], v[157:158]
	v_add_f64_e32 v[149:150], v[149:150], v[155:156]
	v_fma_f64 v[155:156], v[4:5], v[10:11], v[159:160]
	v_fma_f64 v[157:158], v[2:3], v[10:11], -v[12:13]
	ds_load_b128 v[2:5], v1 offset:1312
	ds_load_b128 v[10:13], v1 offset:1328
	v_fma_f64 v[147:148], v[147:148], v[14:15], v[153:154]
	v_fma_f64 v[14:15], v[145:146], v[14:15], -v[16:17]
	v_add_f64_e32 v[141:142], v[151:152], v[141:142]
	v_add_f64_e32 v[143:144], v[149:150], v[143:144]
	s_wait_loadcnt_dscnt 0x701
	v_mul_f64_e32 v[149:150], v[2:3], v[20:21]
	v_mul_f64_e32 v[20:21], v[4:5], v[20:21]
	s_delay_alu instid0(VALU_DEP_4) | instskip(NEXT) | instid1(VALU_DEP_4)
	v_add_f64_e32 v[16:17], v[141:142], v[157:158]
	v_add_f64_e32 v[141:142], v[143:144], v[155:156]
	s_wait_loadcnt_dscnt 0x600
	v_mul_f64_e32 v[143:144], v[10:11], v[24:25]
	v_mul_f64_e32 v[24:25], v[12:13], v[24:25]
	v_fma_f64 v[145:146], v[4:5], v[18:19], v[149:150]
	v_fma_f64 v[18:19], v[2:3], v[18:19], -v[20:21]
	v_add_f64_e32 v[20:21], v[16:17], v[14:15]
	v_add_f64_e32 v[141:142], v[141:142], v[147:148]
	ds_load_b128 v[2:5], v1 offset:1344
	ds_load_b128 v[14:17], v1 offset:1360
	v_fma_f64 v[12:13], v[12:13], v[22:23], v[143:144]
	v_fma_f64 v[10:11], v[10:11], v[22:23], -v[24:25]
	s_wait_loadcnt_dscnt 0x501
	v_mul_f64_e32 v[147:148], v[2:3], v[28:29]
	v_mul_f64_e32 v[28:29], v[4:5], v[28:29]
	s_wait_loadcnt_dscnt 0x400
	v_mul_f64_e32 v[22:23], v[14:15], v[32:33]
	v_mul_f64_e32 v[24:25], v[16:17], v[32:33]
	v_add_f64_e32 v[18:19], v[20:21], v[18:19]
	v_add_f64_e32 v[20:21], v[141:142], v[145:146]
	v_fma_f64 v[32:33], v[4:5], v[26:27], v[147:148]
	v_fma_f64 v[26:27], v[2:3], v[26:27], -v[28:29]
	v_fma_f64 v[16:17], v[16:17], v[30:31], v[22:23]
	v_fma_f64 v[14:15], v[14:15], v[30:31], -v[24:25]
	v_add_f64_e32 v[18:19], v[18:19], v[10:11]
	v_add_f64_e32 v[20:21], v[20:21], v[12:13]
	ds_load_b128 v[2:5], v1 offset:1376
	ds_load_b128 v[10:13], v1 offset:1392
	s_wait_loadcnt_dscnt 0x301
	v_mul_f64_e32 v[28:29], v[2:3], v[36:37]
	v_mul_f64_e32 v[36:37], v[4:5], v[36:37]
	s_wait_loadcnt_dscnt 0x200
	v_mul_f64_e32 v[22:23], v[10:11], v[40:41]
	v_mul_f64_e32 v[24:25], v[12:13], v[40:41]
	v_add_f64_e32 v[18:19], v[18:19], v[26:27]
	v_add_f64_e32 v[20:21], v[20:21], v[32:33]
	v_fma_f64 v[26:27], v[4:5], v[34:35], v[28:29]
	v_fma_f64 v[28:29], v[2:3], v[34:35], -v[36:37]
	v_fma_f64 v[12:13], v[12:13], v[38:39], v[22:23]
	v_fma_f64 v[10:11], v[10:11], v[38:39], -v[24:25]
	v_add_f64_e32 v[18:19], v[18:19], v[14:15]
	v_add_f64_e32 v[20:21], v[20:21], v[16:17]
	ds_load_b128 v[2:5], v1 offset:1408
	ds_load_b128 v[14:17], v1 offset:1424
	s_wait_loadcnt_dscnt 0x101
	v_mul_f64_e32 v[30:31], v[2:3], v[44:45]
	v_mul_f64_e32 v[32:33], v[4:5], v[44:45]
	s_wait_loadcnt_dscnt 0x0
	v_mul_f64_e32 v[22:23], v[14:15], v[8:9]
	v_mul_f64_e32 v[8:9], v[16:17], v[8:9]
	v_add_f64_e32 v[18:19], v[18:19], v[28:29]
	v_add_f64_e32 v[20:21], v[20:21], v[26:27]
	v_fma_f64 v[4:5], v[4:5], v[42:43], v[30:31]
	v_fma_f64 v[1:2], v[2:3], v[42:43], -v[32:33]
	v_fma_f64 v[16:17], v[16:17], v[6:7], v[22:23]
	v_fma_f64 v[6:7], v[14:15], v[6:7], -v[8:9]
	v_add_f64_e32 v[10:11], v[18:19], v[10:11]
	v_add_f64_e32 v[12:13], v[20:21], v[12:13]
	s_delay_alu instid0(VALU_DEP_2) | instskip(NEXT) | instid1(VALU_DEP_2)
	v_add_f64_e32 v[1:2], v[10:11], v[1:2]
	v_add_f64_e32 v[3:4], v[12:13], v[4:5]
	s_delay_alu instid0(VALU_DEP_2) | instskip(NEXT) | instid1(VALU_DEP_2)
	;; [unrolled: 3-line block ×3, first 2 shown]
	v_add_f64_e64 v[1:2], v[137:138], -v[1:2]
	v_add_f64_e64 v[3:4], v[139:140], -v[3:4]
	scratch_store_b128 off, v[1:4], off offset:48
	v_cmpx_lt_u32_e32 1, v0
	s_cbranch_execz .LBB44_281
; %bb.280:
	scratch_load_b128 v[1:4], off, s25
	v_mov_b32_e32 v5, 0
	s_delay_alu instid0(VALU_DEP_1)
	v_dual_mov_b32 v6, v5 :: v_dual_mov_b32 v7, v5
	v_mov_b32_e32 v8, v5
	scratch_store_b128 off, v[5:8], off offset:32
	s_wait_loadcnt 0x0
	ds_store_b128 v136, v[1:4]
.LBB44_281:
	s_wait_alu 0xfffe
	s_or_b32 exec_lo, exec_lo, s0
	s_wait_storecnt_dscnt 0x0
	s_barrier_signal -1
	s_barrier_wait -1
	global_inv scope:SCOPE_SE
	s_clause 0x7
	scratch_load_b128 v[2:5], off, off offset:48
	scratch_load_b128 v[6:9], off, off offset:64
	;; [unrolled: 1-line block ×8, first 2 shown]
	v_mov_b32_e32 v1, 0
	s_mov_b32 s0, exec_lo
	ds_load_b128 v[38:41], v1 offset:752
	s_clause 0x1
	scratch_load_b128 v[34:37], off, off offset:176
	scratch_load_b128 v[42:45], off, off offset:32
	ds_load_b128 v[137:140], v1 offset:768
	scratch_load_b128 v[141:144], off, off offset:192
	s_wait_loadcnt_dscnt 0xa01
	v_mul_f64_e32 v[145:146], v[40:41], v[4:5]
	v_mul_f64_e32 v[4:5], v[38:39], v[4:5]
	s_delay_alu instid0(VALU_DEP_2) | instskip(NEXT) | instid1(VALU_DEP_2)
	v_fma_f64 v[151:152], v[38:39], v[2:3], -v[145:146]
	v_fma_f64 v[153:154], v[40:41], v[2:3], v[4:5]
	ds_load_b128 v[2:5], v1 offset:784
	s_wait_loadcnt_dscnt 0x901
	v_mul_f64_e32 v[149:150], v[137:138], v[8:9]
	v_mul_f64_e32 v[8:9], v[139:140], v[8:9]
	scratch_load_b128 v[38:41], off, off offset:208
	ds_load_b128 v[145:148], v1 offset:800
	s_wait_loadcnt_dscnt 0x901
	v_mul_f64_e32 v[155:156], v[2:3], v[12:13]
	v_mul_f64_e32 v[12:13], v[4:5], v[12:13]
	v_fma_f64 v[139:140], v[139:140], v[6:7], v[149:150]
	v_fma_f64 v[137:138], v[137:138], v[6:7], -v[8:9]
	v_add_f64_e32 v[149:150], 0, v[151:152]
	v_add_f64_e32 v[151:152], 0, v[153:154]
	scratch_load_b128 v[6:9], off, off offset:224
	v_fma_f64 v[155:156], v[4:5], v[10:11], v[155:156]
	v_fma_f64 v[157:158], v[2:3], v[10:11], -v[12:13]
	ds_load_b128 v[2:5], v1 offset:816
	s_wait_loadcnt_dscnt 0x901
	v_mul_f64_e32 v[153:154], v[145:146], v[16:17]
	v_mul_f64_e32 v[16:17], v[147:148], v[16:17]
	scratch_load_b128 v[10:13], off, off offset:240
	v_add_f64_e32 v[149:150], v[149:150], v[137:138]
	v_add_f64_e32 v[151:152], v[151:152], v[139:140]
	s_wait_loadcnt_dscnt 0x900
	v_mul_f64_e32 v[159:160], v[2:3], v[20:21]
	v_mul_f64_e32 v[20:21], v[4:5], v[20:21]
	ds_load_b128 v[137:140], v1 offset:832
	v_fma_f64 v[147:148], v[147:148], v[14:15], v[153:154]
	v_fma_f64 v[145:146], v[145:146], v[14:15], -v[16:17]
	scratch_load_b128 v[14:17], off, off offset:256
	v_add_f64_e32 v[149:150], v[149:150], v[157:158]
	v_add_f64_e32 v[151:152], v[151:152], v[155:156]
	v_fma_f64 v[155:156], v[4:5], v[18:19], v[159:160]
	v_fma_f64 v[157:158], v[2:3], v[18:19], -v[20:21]
	ds_load_b128 v[2:5], v1 offset:848
	s_wait_loadcnt_dscnt 0x901
	v_mul_f64_e32 v[153:154], v[137:138], v[24:25]
	v_mul_f64_e32 v[24:25], v[139:140], v[24:25]
	scratch_load_b128 v[18:21], off, off offset:272
	s_wait_loadcnt_dscnt 0x900
	v_mul_f64_e32 v[159:160], v[2:3], v[28:29]
	v_mul_f64_e32 v[28:29], v[4:5], v[28:29]
	v_add_f64_e32 v[149:150], v[149:150], v[145:146]
	v_add_f64_e32 v[151:152], v[151:152], v[147:148]
	ds_load_b128 v[145:148], v1 offset:864
	v_fma_f64 v[139:140], v[139:140], v[22:23], v[153:154]
	v_fma_f64 v[137:138], v[137:138], v[22:23], -v[24:25]
	scratch_load_b128 v[22:25], off, off offset:288
	v_add_f64_e32 v[149:150], v[149:150], v[157:158]
	v_add_f64_e32 v[151:152], v[151:152], v[155:156]
	v_fma_f64 v[155:156], v[4:5], v[26:27], v[159:160]
	v_fma_f64 v[157:158], v[2:3], v[26:27], -v[28:29]
	ds_load_b128 v[2:5], v1 offset:880
	s_wait_loadcnt_dscnt 0x901
	v_mul_f64_e32 v[153:154], v[145:146], v[32:33]
	v_mul_f64_e32 v[32:33], v[147:148], v[32:33]
	scratch_load_b128 v[26:29], off, off offset:304
	s_wait_loadcnt_dscnt 0x900
	v_mul_f64_e32 v[159:160], v[2:3], v[36:37]
	v_mul_f64_e32 v[36:37], v[4:5], v[36:37]
	v_add_f64_e32 v[149:150], v[149:150], v[137:138]
	v_add_f64_e32 v[151:152], v[151:152], v[139:140]
	ds_load_b128 v[137:140], v1 offset:896
	v_fma_f64 v[147:148], v[147:148], v[30:31], v[153:154]
	v_fma_f64 v[145:146], v[145:146], v[30:31], -v[32:33]
	scratch_load_b128 v[30:33], off, off offset:320
	v_add_f64_e32 v[149:150], v[149:150], v[157:158]
	v_add_f64_e32 v[151:152], v[151:152], v[155:156]
	v_fma_f64 v[157:158], v[4:5], v[34:35], v[159:160]
	v_fma_f64 v[159:160], v[2:3], v[34:35], -v[36:37]
	ds_load_b128 v[2:5], v1 offset:912
	s_wait_loadcnt_dscnt 0x801
	v_mul_f64_e32 v[153:154], v[137:138], v[143:144]
	v_mul_f64_e32 v[155:156], v[139:140], v[143:144]
	scratch_load_b128 v[34:37], off, off offset:336
	v_add_f64_e32 v[149:150], v[149:150], v[145:146]
	v_add_f64_e32 v[147:148], v[151:152], v[147:148]
	ds_load_b128 v[143:146], v1 offset:928
	v_fma_f64 v[153:154], v[139:140], v[141:142], v[153:154]
	v_fma_f64 v[141:142], v[137:138], v[141:142], -v[155:156]
	scratch_load_b128 v[137:140], off, off offset:352
	s_wait_loadcnt_dscnt 0x901
	v_mul_f64_e32 v[151:152], v[2:3], v[40:41]
	v_mul_f64_e32 v[40:41], v[4:5], v[40:41]
	v_add_f64_e32 v[149:150], v[149:150], v[159:160]
	v_add_f64_e32 v[147:148], v[147:148], v[157:158]
	s_delay_alu instid0(VALU_DEP_4) | instskip(NEXT) | instid1(VALU_DEP_4)
	v_fma_f64 v[151:152], v[4:5], v[38:39], v[151:152]
	v_fma_f64 v[157:158], v[2:3], v[38:39], -v[40:41]
	ds_load_b128 v[2:5], v1 offset:944
	s_wait_loadcnt_dscnt 0x801
	v_mul_f64_e32 v[155:156], v[143:144], v[8:9]
	v_mul_f64_e32 v[8:9], v[145:146], v[8:9]
	scratch_load_b128 v[38:41], off, off offset:368
	s_wait_loadcnt_dscnt 0x800
	v_mul_f64_e32 v[159:160], v[2:3], v[12:13]
	v_add_f64_e32 v[141:142], v[149:150], v[141:142]
	v_add_f64_e32 v[153:154], v[147:148], v[153:154]
	v_mul_f64_e32 v[12:13], v[4:5], v[12:13]
	ds_load_b128 v[147:150], v1 offset:960
	v_fma_f64 v[145:146], v[145:146], v[6:7], v[155:156]
	v_fma_f64 v[143:144], v[143:144], v[6:7], -v[8:9]
	scratch_load_b128 v[6:9], off, off offset:384
	v_fma_f64 v[155:156], v[4:5], v[10:11], v[159:160]
	v_add_f64_e32 v[141:142], v[141:142], v[157:158]
	v_add_f64_e32 v[151:152], v[153:154], v[151:152]
	v_fma_f64 v[157:158], v[2:3], v[10:11], -v[12:13]
	ds_load_b128 v[2:5], v1 offset:976
	s_wait_loadcnt_dscnt 0x801
	v_mul_f64_e32 v[153:154], v[147:148], v[16:17]
	v_mul_f64_e32 v[16:17], v[149:150], v[16:17]
	scratch_load_b128 v[10:13], off, off offset:400
	v_add_f64_e32 v[159:160], v[141:142], v[143:144]
	v_add_f64_e32 v[145:146], v[151:152], v[145:146]
	s_wait_loadcnt_dscnt 0x800
	v_mul_f64_e32 v[151:152], v[2:3], v[20:21]
	v_mul_f64_e32 v[20:21], v[4:5], v[20:21]
	v_fma_f64 v[149:150], v[149:150], v[14:15], v[153:154]
	v_fma_f64 v[147:148], v[147:148], v[14:15], -v[16:17]
	ds_load_b128 v[141:144], v1 offset:992
	scratch_load_b128 v[14:17], off, off offset:416
	v_add_f64_e32 v[153:154], v[159:160], v[157:158]
	v_add_f64_e32 v[145:146], v[145:146], v[155:156]
	v_fma_f64 v[151:152], v[4:5], v[18:19], v[151:152]
	v_fma_f64 v[157:158], v[2:3], v[18:19], -v[20:21]
	ds_load_b128 v[2:5], v1 offset:1008
	s_wait_loadcnt_dscnt 0x801
	v_mul_f64_e32 v[155:156], v[141:142], v[24:25]
	v_mul_f64_e32 v[24:25], v[143:144], v[24:25]
	scratch_load_b128 v[18:21], off, off offset:432
	s_wait_loadcnt_dscnt 0x800
	v_mul_f64_e32 v[159:160], v[2:3], v[28:29]
	v_mul_f64_e32 v[28:29], v[4:5], v[28:29]
	v_add_f64_e32 v[153:154], v[153:154], v[147:148]
	v_add_f64_e32 v[149:150], v[145:146], v[149:150]
	ds_load_b128 v[145:148], v1 offset:1024
	v_fma_f64 v[143:144], v[143:144], v[22:23], v[155:156]
	v_fma_f64 v[141:142], v[141:142], v[22:23], -v[24:25]
	scratch_load_b128 v[22:25], off, off offset:448
	v_fma_f64 v[155:156], v[4:5], v[26:27], v[159:160]
	v_add_f64_e32 v[153:154], v[153:154], v[157:158]
	v_add_f64_e32 v[149:150], v[149:150], v[151:152]
	v_fma_f64 v[157:158], v[2:3], v[26:27], -v[28:29]
	ds_load_b128 v[2:5], v1 offset:1040
	s_wait_loadcnt_dscnt 0x801
	v_mul_f64_e32 v[151:152], v[145:146], v[32:33]
	v_mul_f64_e32 v[32:33], v[147:148], v[32:33]
	scratch_load_b128 v[26:29], off, off offset:464
	s_wait_loadcnt_dscnt 0x800
	v_mul_f64_e32 v[159:160], v[2:3], v[36:37]
	v_mul_f64_e32 v[36:37], v[4:5], v[36:37]
	v_add_f64_e32 v[153:154], v[153:154], v[141:142]
	v_add_f64_e32 v[149:150], v[149:150], v[143:144]
	ds_load_b128 v[141:144], v1 offset:1056
	v_fma_f64 v[147:148], v[147:148], v[30:31], v[151:152]
	v_fma_f64 v[145:146], v[145:146], v[30:31], -v[32:33]
	scratch_load_b128 v[30:33], off, off offset:480
	v_add_f64_e32 v[151:152], v[153:154], v[157:158]
	v_add_f64_e32 v[149:150], v[149:150], v[155:156]
	v_fma_f64 v[155:156], v[4:5], v[34:35], v[159:160]
	v_fma_f64 v[157:158], v[2:3], v[34:35], -v[36:37]
	ds_load_b128 v[2:5], v1 offset:1072
	s_wait_loadcnt_dscnt 0x801
	v_mul_f64_e32 v[153:154], v[141:142], v[139:140]
	v_mul_f64_e32 v[139:140], v[143:144], v[139:140]
	scratch_load_b128 v[34:37], off, off offset:496
	s_wait_loadcnt_dscnt 0x800
	v_mul_f64_e32 v[159:160], v[2:3], v[40:41]
	v_mul_f64_e32 v[40:41], v[4:5], v[40:41]
	v_add_f64_e32 v[151:152], v[151:152], v[145:146]
	v_add_f64_e32 v[149:150], v[149:150], v[147:148]
	ds_load_b128 v[145:148], v1 offset:1088
	v_fma_f64 v[143:144], v[143:144], v[137:138], v[153:154]
	v_fma_f64 v[141:142], v[141:142], v[137:138], -v[139:140]
	scratch_load_b128 v[137:140], off, off offset:512
	v_add_f64_e32 v[151:152], v[151:152], v[157:158]
	v_add_f64_e32 v[149:150], v[149:150], v[155:156]
	v_fma_f64 v[155:156], v[4:5], v[38:39], v[159:160]
	;; [unrolled: 18-line block ×6, first 2 shown]
	v_fma_f64 v[159:160], v[2:3], v[34:35], -v[36:37]
	ds_load_b128 v[2:5], v1 offset:1232
	s_wait_loadcnt_dscnt 0x801
	v_mul_f64_e32 v[153:154], v[145:146], v[139:140]
	v_mul_f64_e32 v[155:156], v[147:148], v[139:140]
	scratch_load_b128 v[34:37], off, off offset:656
	v_add_f64_e32 v[151:152], v[151:152], v[141:142]
	v_add_f64_e32 v[143:144], v[149:150], v[143:144]
	s_wait_loadcnt_dscnt 0x800
	v_mul_f64_e32 v[149:150], v[2:3], v[40:41]
	v_mul_f64_e32 v[40:41], v[4:5], v[40:41]
	ds_load_b128 v[139:142], v1 offset:1248
	v_fma_f64 v[147:148], v[147:148], v[137:138], v[153:154]
	v_fma_f64 v[137:138], v[145:146], v[137:138], -v[155:156]
	v_add_f64_e32 v[151:152], v[151:152], v[159:160]
	v_add_f64_e32 v[153:154], v[143:144], v[157:158]
	scratch_load_b128 v[143:146], off, off offset:672
	v_fma_f64 v[157:158], v[4:5], v[38:39], v[149:150]
	v_fma_f64 v[159:160], v[2:3], v[38:39], -v[40:41]
	ds_load_b128 v[2:5], v1 offset:1264
	s_wait_loadcnt_dscnt 0x801
	v_mul_f64_e32 v[155:156], v[139:140], v[8:9]
	v_mul_f64_e32 v[8:9], v[141:142], v[8:9]
	scratch_load_b128 v[38:41], off, off offset:688
	v_add_f64_e32 v[137:138], v[151:152], v[137:138]
	v_add_f64_e32 v[151:152], v[153:154], v[147:148]
	s_wait_loadcnt_dscnt 0x800
	v_mul_f64_e32 v[153:154], v[2:3], v[12:13]
	v_mul_f64_e32 v[12:13], v[4:5], v[12:13]
	ds_load_b128 v[147:150], v1 offset:1280
	v_fma_f64 v[141:142], v[141:142], v[6:7], v[155:156]
	v_fma_f64 v[139:140], v[139:140], v[6:7], -v[8:9]
	scratch_load_b128 v[6:9], off, off offset:704
	v_add_f64_e32 v[137:138], v[137:138], v[159:160]
	v_add_f64_e32 v[151:152], v[151:152], v[157:158]
	v_fma_f64 v[153:154], v[4:5], v[10:11], v[153:154]
	v_fma_f64 v[157:158], v[2:3], v[10:11], -v[12:13]
	ds_load_b128 v[2:5], v1 offset:1296
	s_wait_loadcnt_dscnt 0x801
	v_mul_f64_e32 v[155:156], v[147:148], v[16:17]
	v_mul_f64_e32 v[16:17], v[149:150], v[16:17]
	scratch_load_b128 v[10:13], off, off offset:720
	v_add_f64_e32 v[159:160], v[137:138], v[139:140]
	v_add_f64_e32 v[141:142], v[151:152], v[141:142]
	s_wait_loadcnt_dscnt 0x800
	v_mul_f64_e32 v[151:152], v[2:3], v[20:21]
	v_mul_f64_e32 v[20:21], v[4:5], v[20:21]
	ds_load_b128 v[137:140], v1 offset:1312
	v_fma_f64 v[149:150], v[149:150], v[14:15], v[155:156]
	v_fma_f64 v[14:15], v[147:148], v[14:15], -v[16:17]
	s_wait_loadcnt_dscnt 0x700
	v_mul_f64_e32 v[147:148], v[137:138], v[24:25]
	v_mul_f64_e32 v[24:25], v[139:140], v[24:25]
	v_add_f64_e32 v[16:17], v[159:160], v[157:158]
	v_add_f64_e32 v[141:142], v[141:142], v[153:154]
	v_fma_f64 v[151:152], v[4:5], v[18:19], v[151:152]
	v_fma_f64 v[18:19], v[2:3], v[18:19], -v[20:21]
	v_fma_f64 v[139:140], v[139:140], v[22:23], v[147:148]
	v_fma_f64 v[22:23], v[137:138], v[22:23], -v[24:25]
	v_add_f64_e32 v[20:21], v[16:17], v[14:15]
	v_add_f64_e32 v[141:142], v[141:142], v[149:150]
	ds_load_b128 v[2:5], v1 offset:1328
	ds_load_b128 v[14:17], v1 offset:1344
	s_wait_loadcnt_dscnt 0x601
	v_mul_f64_e32 v[149:150], v[2:3], v[28:29]
	v_mul_f64_e32 v[28:29], v[4:5], v[28:29]
	s_wait_loadcnt_dscnt 0x500
	v_mul_f64_e32 v[24:25], v[14:15], v[32:33]
	v_mul_f64_e32 v[32:33], v[16:17], v[32:33]
	v_add_f64_e32 v[18:19], v[20:21], v[18:19]
	v_add_f64_e32 v[20:21], v[141:142], v[151:152]
	v_fma_f64 v[137:138], v[4:5], v[26:27], v[149:150]
	v_fma_f64 v[26:27], v[2:3], v[26:27], -v[28:29]
	v_fma_f64 v[16:17], v[16:17], v[30:31], v[24:25]
	v_fma_f64 v[14:15], v[14:15], v[30:31], -v[32:33]
	v_add_f64_e32 v[22:23], v[18:19], v[22:23]
	v_add_f64_e32 v[28:29], v[20:21], v[139:140]
	ds_load_b128 v[2:5], v1 offset:1360
	ds_load_b128 v[18:21], v1 offset:1376
	s_wait_loadcnt_dscnt 0x401
	v_mul_f64_e32 v[139:140], v[2:3], v[36:37]
	v_mul_f64_e32 v[36:37], v[4:5], v[36:37]
	v_add_f64_e32 v[22:23], v[22:23], v[26:27]
	v_add_f64_e32 v[24:25], v[28:29], v[137:138]
	s_wait_loadcnt_dscnt 0x300
	v_mul_f64_e32 v[26:27], v[18:19], v[145:146]
	v_mul_f64_e32 v[28:29], v[20:21], v[145:146]
	v_fma_f64 v[30:31], v[4:5], v[34:35], v[139:140]
	v_fma_f64 v[32:33], v[2:3], v[34:35], -v[36:37]
	v_add_f64_e32 v[22:23], v[22:23], v[14:15]
	v_add_f64_e32 v[24:25], v[24:25], v[16:17]
	ds_load_b128 v[2:5], v1 offset:1392
	ds_load_b128 v[14:17], v1 offset:1408
	v_fma_f64 v[20:21], v[20:21], v[143:144], v[26:27]
	v_fma_f64 v[18:19], v[18:19], v[143:144], -v[28:29]
	s_wait_loadcnt_dscnt 0x201
	v_mul_f64_e32 v[34:35], v[2:3], v[40:41]
	v_mul_f64_e32 v[36:37], v[4:5], v[40:41]
	s_wait_loadcnt_dscnt 0x100
	v_mul_f64_e32 v[26:27], v[14:15], v[8:9]
	v_mul_f64_e32 v[8:9], v[16:17], v[8:9]
	v_add_f64_e32 v[22:23], v[22:23], v[32:33]
	v_add_f64_e32 v[24:25], v[24:25], v[30:31]
	v_fma_f64 v[28:29], v[4:5], v[38:39], v[34:35]
	v_fma_f64 v[30:31], v[2:3], v[38:39], -v[36:37]
	ds_load_b128 v[2:5], v1 offset:1424
	v_fma_f64 v[16:17], v[16:17], v[6:7], v[26:27]
	v_fma_f64 v[6:7], v[14:15], v[6:7], -v[8:9]
	v_add_f64_e32 v[18:19], v[22:23], v[18:19]
	v_add_f64_e32 v[20:21], v[24:25], v[20:21]
	s_wait_loadcnt_dscnt 0x0
	v_mul_f64_e32 v[22:23], v[2:3], v[12:13]
	v_mul_f64_e32 v[12:13], v[4:5], v[12:13]
	s_delay_alu instid0(VALU_DEP_4) | instskip(NEXT) | instid1(VALU_DEP_4)
	v_add_f64_e32 v[8:9], v[18:19], v[30:31]
	v_add_f64_e32 v[14:15], v[20:21], v[28:29]
	s_delay_alu instid0(VALU_DEP_4) | instskip(NEXT) | instid1(VALU_DEP_4)
	v_fma_f64 v[4:5], v[4:5], v[10:11], v[22:23]
	v_fma_f64 v[2:3], v[2:3], v[10:11], -v[12:13]
	s_delay_alu instid0(VALU_DEP_4) | instskip(NEXT) | instid1(VALU_DEP_4)
	v_add_f64_e32 v[6:7], v[8:9], v[6:7]
	v_add_f64_e32 v[8:9], v[14:15], v[16:17]
	s_delay_alu instid0(VALU_DEP_2) | instskip(NEXT) | instid1(VALU_DEP_2)
	v_add_f64_e32 v[2:3], v[6:7], v[2:3]
	v_add_f64_e32 v[4:5], v[8:9], v[4:5]
	s_delay_alu instid0(VALU_DEP_2) | instskip(NEXT) | instid1(VALU_DEP_2)
	v_add_f64_e64 v[2:3], v[42:43], -v[2:3]
	v_add_f64_e64 v[4:5], v[44:45], -v[4:5]
	scratch_store_b128 off, v[2:5], off offset:32
	v_cmpx_ne_u32_e32 0, v0
	s_cbranch_execz .LBB44_283
; %bb.282:
	scratch_load_b128 v[5:8], off, off offset:16
	v_dual_mov_b32 v2, v1 :: v_dual_mov_b32 v3, v1
	v_mov_b32_e32 v4, v1
	scratch_store_b128 off, v[1:4], off offset:16
	s_wait_loadcnt 0x0
	ds_store_b128 v136, v[5:8]
.LBB44_283:
	s_wait_alu 0xfffe
	s_or_b32 exec_lo, exec_lo, s0
	s_wait_storecnt_dscnt 0x0
	s_barrier_signal -1
	s_barrier_wait -1
	global_inv scope:SCOPE_SE
	s_clause 0x8
	scratch_load_b128 v[2:5], off, off offset:32
	scratch_load_b128 v[6:9], off, off offset:48
	scratch_load_b128 v[10:13], off, off offset:64
	scratch_load_b128 v[14:17], off, off offset:80
	scratch_load_b128 v[18:21], off, off offset:96
	scratch_load_b128 v[22:25], off, off offset:112
	scratch_load_b128 v[26:29], off, off offset:128
	scratch_load_b128 v[30:33], off, off offset:144
	scratch_load_b128 v[34:37], off, off offset:160
	ds_load_b128 v[42:45], v1 offset:736
	ds_load_b128 v[38:41], v1 offset:752
	s_clause 0x1
	scratch_load_b128 v[136:139], off, off offset:16
	scratch_load_b128 v[140:143], off, off offset:176
	s_and_b32 vcc_lo, exec_lo, s18
	s_wait_loadcnt_dscnt 0xa01
	v_mul_f64_e32 v[144:145], v[44:45], v[4:5]
	v_mul_f64_e32 v[4:5], v[42:43], v[4:5]
	s_wait_loadcnt_dscnt 0x900
	v_mul_f64_e32 v[148:149], v[38:39], v[8:9]
	v_mul_f64_e32 v[8:9], v[40:41], v[8:9]
	s_delay_alu instid0(VALU_DEP_4) | instskip(NEXT) | instid1(VALU_DEP_4)
	v_fma_f64 v[150:151], v[42:43], v[2:3], -v[144:145]
	v_fma_f64 v[152:153], v[44:45], v[2:3], v[4:5]
	ds_load_b128 v[2:5], v1 offset:768
	ds_load_b128 v[144:147], v1 offset:784
	scratch_load_b128 v[42:45], off, off offset:192
	v_fma_f64 v[40:41], v[40:41], v[6:7], v[148:149]
	v_fma_f64 v[38:39], v[38:39], v[6:7], -v[8:9]
	scratch_load_b128 v[6:9], off, off offset:208
	s_wait_loadcnt_dscnt 0xa01
	v_mul_f64_e32 v[154:155], v[2:3], v[12:13]
	v_mul_f64_e32 v[12:13], v[4:5], v[12:13]
	v_add_f64_e32 v[148:149], 0, v[150:151]
	v_add_f64_e32 v[150:151], 0, v[152:153]
	s_wait_loadcnt_dscnt 0x900
	v_mul_f64_e32 v[152:153], v[144:145], v[16:17]
	v_mul_f64_e32 v[16:17], v[146:147], v[16:17]
	v_fma_f64 v[154:155], v[4:5], v[10:11], v[154:155]
	v_fma_f64 v[156:157], v[2:3], v[10:11], -v[12:13]
	ds_load_b128 v[2:5], v1 offset:800
	scratch_load_b128 v[10:13], off, off offset:224
	v_add_f64_e32 v[148:149], v[148:149], v[38:39]
	v_add_f64_e32 v[150:151], v[150:151], v[40:41]
	ds_load_b128 v[38:41], v1 offset:816
	v_fma_f64 v[146:147], v[146:147], v[14:15], v[152:153]
	v_fma_f64 v[144:145], v[144:145], v[14:15], -v[16:17]
	scratch_load_b128 v[14:17], off, off offset:240
	s_wait_loadcnt_dscnt 0xa01
	v_mul_f64_e32 v[158:159], v[2:3], v[20:21]
	v_mul_f64_e32 v[20:21], v[4:5], v[20:21]
	s_wait_loadcnt_dscnt 0x900
	v_mul_f64_e32 v[152:153], v[38:39], v[24:25]
	v_mul_f64_e32 v[24:25], v[40:41], v[24:25]
	v_add_f64_e32 v[148:149], v[148:149], v[156:157]
	v_add_f64_e32 v[150:151], v[150:151], v[154:155]
	v_fma_f64 v[154:155], v[4:5], v[18:19], v[158:159]
	v_fma_f64 v[156:157], v[2:3], v[18:19], -v[20:21]
	ds_load_b128 v[2:5], v1 offset:832
	scratch_load_b128 v[18:21], off, off offset:256
	v_fma_f64 v[40:41], v[40:41], v[22:23], v[152:153]
	v_fma_f64 v[38:39], v[38:39], v[22:23], -v[24:25]
	scratch_load_b128 v[22:25], off, off offset:272
	v_add_f64_e32 v[148:149], v[148:149], v[144:145]
	v_add_f64_e32 v[150:151], v[150:151], v[146:147]
	ds_load_b128 v[144:147], v1 offset:848
	s_wait_loadcnt_dscnt 0xa01
	v_mul_f64_e32 v[158:159], v[2:3], v[28:29]
	v_mul_f64_e32 v[28:29], v[4:5], v[28:29]
	s_wait_loadcnt_dscnt 0x900
	v_mul_f64_e32 v[152:153], v[144:145], v[32:33]
	v_mul_f64_e32 v[32:33], v[146:147], v[32:33]
	v_add_f64_e32 v[148:149], v[148:149], v[156:157]
	v_add_f64_e32 v[150:151], v[150:151], v[154:155]
	v_fma_f64 v[154:155], v[4:5], v[26:27], v[158:159]
	v_fma_f64 v[156:157], v[2:3], v[26:27], -v[28:29]
	ds_load_b128 v[2:5], v1 offset:864
	scratch_load_b128 v[26:29], off, off offset:288
	v_fma_f64 v[146:147], v[146:147], v[30:31], v[152:153]
	v_fma_f64 v[144:145], v[144:145], v[30:31], -v[32:33]
	scratch_load_b128 v[30:33], off, off offset:304
	v_add_f64_e32 v[148:149], v[148:149], v[38:39]
	v_add_f64_e32 v[150:151], v[150:151], v[40:41]
	ds_load_b128 v[38:41], v1 offset:880
	s_wait_loadcnt_dscnt 0xa01
	v_mul_f64_e32 v[158:159], v[2:3], v[36:37]
	v_mul_f64_e32 v[36:37], v[4:5], v[36:37]
	s_wait_loadcnt_dscnt 0x800
	v_mul_f64_e32 v[152:153], v[38:39], v[142:143]
	v_add_f64_e32 v[148:149], v[148:149], v[156:157]
	v_add_f64_e32 v[150:151], v[150:151], v[154:155]
	v_mul_f64_e32 v[154:155], v[40:41], v[142:143]
	v_fma_f64 v[156:157], v[4:5], v[34:35], v[158:159]
	v_fma_f64 v[158:159], v[2:3], v[34:35], -v[36:37]
	ds_load_b128 v[2:5], v1 offset:896
	scratch_load_b128 v[34:37], off, off offset:320
	v_fma_f64 v[152:153], v[40:41], v[140:141], v[152:153]
	v_add_f64_e32 v[148:149], v[148:149], v[144:145]
	v_add_f64_e32 v[146:147], v[150:151], v[146:147]
	ds_load_b128 v[142:145], v1 offset:912
	v_fma_f64 v[140:141], v[38:39], v[140:141], -v[154:155]
	scratch_load_b128 v[38:41], off, off offset:336
	s_wait_loadcnt_dscnt 0x901
	v_mul_f64_e32 v[150:151], v[2:3], v[44:45]
	v_mul_f64_e32 v[44:45], v[4:5], v[44:45]
	s_wait_loadcnt_dscnt 0x800
	v_mul_f64_e32 v[154:155], v[142:143], v[8:9]
	v_mul_f64_e32 v[8:9], v[144:145], v[8:9]
	v_add_f64_e32 v[148:149], v[148:149], v[158:159]
	v_add_f64_e32 v[146:147], v[146:147], v[156:157]
	v_fma_f64 v[150:151], v[4:5], v[42:43], v[150:151]
	v_fma_f64 v[156:157], v[2:3], v[42:43], -v[44:45]
	ds_load_b128 v[2:5], v1 offset:928
	scratch_load_b128 v[42:45], off, off offset:352
	v_fma_f64 v[144:145], v[144:145], v[6:7], v[154:155]
	v_fma_f64 v[142:143], v[142:143], v[6:7], -v[8:9]
	scratch_load_b128 v[6:9], off, off offset:368
	v_add_f64_e32 v[140:141], v[148:149], v[140:141]
	v_add_f64_e32 v[152:153], v[146:147], v[152:153]
	ds_load_b128 v[146:149], v1 offset:944
	s_wait_loadcnt_dscnt 0x901
	v_mul_f64_e32 v[158:159], v[2:3], v[12:13]
	v_mul_f64_e32 v[12:13], v[4:5], v[12:13]
	v_add_f64_e32 v[140:141], v[140:141], v[156:157]
	v_add_f64_e32 v[150:151], v[152:153], v[150:151]
	s_wait_loadcnt_dscnt 0x800
	v_mul_f64_e32 v[152:153], v[146:147], v[16:17]
	v_mul_f64_e32 v[16:17], v[148:149], v[16:17]
	v_fma_f64 v[154:155], v[4:5], v[10:11], v[158:159]
	v_fma_f64 v[156:157], v[2:3], v[10:11], -v[12:13]
	ds_load_b128 v[2:5], v1 offset:960
	scratch_load_b128 v[10:13], off, off offset:384
	v_add_f64_e32 v[158:159], v[140:141], v[142:143]
	v_add_f64_e32 v[144:145], v[150:151], v[144:145]
	ds_load_b128 v[140:143], v1 offset:976
	s_wait_loadcnt_dscnt 0x801
	v_mul_f64_e32 v[150:151], v[2:3], v[20:21]
	v_mul_f64_e32 v[20:21], v[4:5], v[20:21]
	v_fma_f64 v[148:149], v[148:149], v[14:15], v[152:153]
	v_fma_f64 v[146:147], v[146:147], v[14:15], -v[16:17]
	scratch_load_b128 v[14:17], off, off offset:400
	v_add_f64_e32 v[152:153], v[158:159], v[156:157]
	v_add_f64_e32 v[144:145], v[144:145], v[154:155]
	s_wait_loadcnt_dscnt 0x800
	v_mul_f64_e32 v[154:155], v[140:141], v[24:25]
	v_mul_f64_e32 v[24:25], v[142:143], v[24:25]
	v_fma_f64 v[150:151], v[4:5], v[18:19], v[150:151]
	v_fma_f64 v[156:157], v[2:3], v[18:19], -v[20:21]
	ds_load_b128 v[2:5], v1 offset:992
	scratch_load_b128 v[18:21], off, off offset:416
	v_add_f64_e32 v[152:153], v[152:153], v[146:147]
	v_add_f64_e32 v[148:149], v[144:145], v[148:149]
	ds_load_b128 v[144:147], v1 offset:1008
	s_wait_loadcnt_dscnt 0x801
	v_mul_f64_e32 v[158:159], v[2:3], v[28:29]
	v_mul_f64_e32 v[28:29], v[4:5], v[28:29]
	v_fma_f64 v[142:143], v[142:143], v[22:23], v[154:155]
	v_fma_f64 v[140:141], v[140:141], v[22:23], -v[24:25]
	scratch_load_b128 v[22:25], off, off offset:432
	;; [unrolled: 18-line block ×4, first 2 shown]
	s_wait_loadcnt_dscnt 0x800
	v_mul_f64_e32 v[152:153], v[144:145], v[8:9]
	v_mul_f64_e32 v[8:9], v[146:147], v[8:9]
	v_add_f64_e32 v[150:151], v[150:151], v[156:157]
	v_add_f64_e32 v[148:149], v[148:149], v[154:155]
	v_fma_f64 v[154:155], v[4:5], v[42:43], v[158:159]
	v_fma_f64 v[156:157], v[2:3], v[42:43], -v[44:45]
	ds_load_b128 v[2:5], v1 offset:1088
	scratch_load_b128 v[42:45], off, off offset:512
	v_fma_f64 v[146:147], v[146:147], v[6:7], v[152:153]
	v_fma_f64 v[144:145], v[144:145], v[6:7], -v[8:9]
	scratch_load_b128 v[6:9], off, off offset:528
	v_add_f64_e32 v[150:151], v[150:151], v[140:141]
	v_add_f64_e32 v[148:149], v[148:149], v[142:143]
	ds_load_b128 v[140:143], v1 offset:1104
	s_wait_loadcnt_dscnt 0x901
	v_mul_f64_e32 v[158:159], v[2:3], v[12:13]
	v_mul_f64_e32 v[12:13], v[4:5], v[12:13]
	s_wait_loadcnt_dscnt 0x800
	v_mul_f64_e32 v[152:153], v[140:141], v[16:17]
	v_mul_f64_e32 v[16:17], v[142:143], v[16:17]
	v_add_f64_e32 v[150:151], v[150:151], v[156:157]
	v_add_f64_e32 v[148:149], v[148:149], v[154:155]
	v_fma_f64 v[154:155], v[4:5], v[10:11], v[158:159]
	v_fma_f64 v[156:157], v[2:3], v[10:11], -v[12:13]
	ds_load_b128 v[2:5], v1 offset:1120
	scratch_load_b128 v[10:13], off, off offset:544
	v_fma_f64 v[142:143], v[142:143], v[14:15], v[152:153]
	v_fma_f64 v[140:141], v[140:141], v[14:15], -v[16:17]
	scratch_load_b128 v[14:17], off, off offset:560
	v_add_f64_e32 v[150:151], v[150:151], v[144:145]
	v_add_f64_e32 v[148:149], v[148:149], v[146:147]
	ds_load_b128 v[144:147], v1 offset:1136
	s_wait_loadcnt_dscnt 0x901
	v_mul_f64_e32 v[158:159], v[2:3], v[20:21]
	v_mul_f64_e32 v[20:21], v[4:5], v[20:21]
	;; [unrolled: 18-line block ×7, first 2 shown]
	s_wait_loadcnt_dscnt 0x800
	v_mul_f64_e32 v[152:153], v[140:141], v[24:25]
	v_mul_f64_e32 v[24:25], v[142:143], v[24:25]
	v_add_f64_e32 v[150:151], v[150:151], v[156:157]
	v_add_f64_e32 v[148:149], v[148:149], v[154:155]
	v_fma_f64 v[154:155], v[4:5], v[18:19], v[158:159]
	v_fma_f64 v[156:157], v[2:3], v[18:19], -v[20:21]
	ds_load_b128 v[2:5], v1 offset:1312
	ds_load_b128 v[18:21], v1 offset:1328
	v_fma_f64 v[142:143], v[142:143], v[22:23], v[152:153]
	v_fma_f64 v[22:23], v[140:141], v[22:23], -v[24:25]
	v_add_f64_e32 v[144:145], v[150:151], v[144:145]
	v_add_f64_e32 v[146:147], v[148:149], v[146:147]
	s_wait_loadcnt_dscnt 0x701
	v_mul_f64_e32 v[148:149], v[2:3], v[28:29]
	v_mul_f64_e32 v[28:29], v[4:5], v[28:29]
	s_delay_alu instid0(VALU_DEP_4) | instskip(NEXT) | instid1(VALU_DEP_4)
	v_add_f64_e32 v[24:25], v[144:145], v[156:157]
	v_add_f64_e32 v[140:141], v[146:147], v[154:155]
	s_wait_loadcnt_dscnt 0x600
	v_mul_f64_e32 v[144:145], v[18:19], v[32:33]
	v_mul_f64_e32 v[32:33], v[20:21], v[32:33]
	v_fma_f64 v[146:147], v[4:5], v[26:27], v[148:149]
	v_fma_f64 v[26:27], v[2:3], v[26:27], -v[28:29]
	v_add_f64_e32 v[28:29], v[24:25], v[22:23]
	v_add_f64_e32 v[140:141], v[140:141], v[142:143]
	ds_load_b128 v[2:5], v1 offset:1344
	ds_load_b128 v[22:25], v1 offset:1360
	v_fma_f64 v[20:21], v[20:21], v[30:31], v[144:145]
	v_fma_f64 v[18:19], v[18:19], v[30:31], -v[32:33]
	s_wait_loadcnt_dscnt 0x501
	v_mul_f64_e32 v[142:143], v[2:3], v[36:37]
	v_mul_f64_e32 v[36:37], v[4:5], v[36:37]
	s_wait_loadcnt_dscnt 0x400
	v_mul_f64_e32 v[30:31], v[22:23], v[40:41]
	v_mul_f64_e32 v[32:33], v[24:25], v[40:41]
	v_add_f64_e32 v[26:27], v[28:29], v[26:27]
	v_add_f64_e32 v[28:29], v[140:141], v[146:147]
	v_fma_f64 v[40:41], v[4:5], v[34:35], v[142:143]
	v_fma_f64 v[34:35], v[2:3], v[34:35], -v[36:37]
	v_fma_f64 v[24:25], v[24:25], v[38:39], v[30:31]
	v_fma_f64 v[22:23], v[22:23], v[38:39], -v[32:33]
	v_add_f64_e32 v[26:27], v[26:27], v[18:19]
	v_add_f64_e32 v[28:29], v[28:29], v[20:21]
	ds_load_b128 v[2:5], v1 offset:1376
	ds_load_b128 v[18:21], v1 offset:1392
	s_wait_loadcnt_dscnt 0x301
	v_mul_f64_e32 v[36:37], v[2:3], v[44:45]
	v_mul_f64_e32 v[44:45], v[4:5], v[44:45]
	s_wait_loadcnt_dscnt 0x200
	v_mul_f64_e32 v[30:31], v[18:19], v[8:9]
	v_mul_f64_e32 v[8:9], v[20:21], v[8:9]
	v_add_f64_e32 v[26:27], v[26:27], v[34:35]
	v_add_f64_e32 v[28:29], v[28:29], v[40:41]
	v_fma_f64 v[32:33], v[4:5], v[42:43], v[36:37]
	v_fma_f64 v[34:35], v[2:3], v[42:43], -v[44:45]
	v_fma_f64 v[20:21], v[20:21], v[6:7], v[30:31]
	v_fma_f64 v[6:7], v[18:19], v[6:7], -v[8:9]
	v_add_f64_e32 v[26:27], v[26:27], v[22:23]
	v_add_f64_e32 v[28:29], v[28:29], v[24:25]
	ds_load_b128 v[2:5], v1 offset:1408
	ds_load_b128 v[22:25], v1 offset:1424
	s_wait_loadcnt_dscnt 0x101
	v_mul_f64_e32 v[0:1], v[2:3], v[12:13]
	v_mul_f64_e32 v[12:13], v[4:5], v[12:13]
	v_add_f64_e32 v[8:9], v[26:27], v[34:35]
	v_add_f64_e32 v[18:19], v[28:29], v[32:33]
	s_wait_loadcnt_dscnt 0x0
	v_mul_f64_e32 v[26:27], v[22:23], v[16:17]
	v_mul_f64_e32 v[16:17], v[24:25], v[16:17]
	v_fma_f64 v[0:1], v[4:5], v[10:11], v[0:1]
	v_fma_f64 v[2:3], v[2:3], v[10:11], -v[12:13]
	v_add_f64_e32 v[4:5], v[8:9], v[6:7]
	v_add_f64_e32 v[6:7], v[18:19], v[20:21]
	v_fma_f64 v[8:9], v[24:25], v[14:15], v[26:27]
	v_fma_f64 v[10:11], v[22:23], v[14:15], -v[16:17]
	s_delay_alu instid0(VALU_DEP_4) | instskip(NEXT) | instid1(VALU_DEP_4)
	v_add_f64_e32 v[2:3], v[4:5], v[2:3]
	v_add_f64_e32 v[0:1], v[6:7], v[0:1]
	s_delay_alu instid0(VALU_DEP_2) | instskip(NEXT) | instid1(VALU_DEP_2)
	v_add_f64_e32 v[2:3], v[2:3], v[10:11]
	v_add_f64_e32 v[4:5], v[0:1], v[8:9]
	s_delay_alu instid0(VALU_DEP_2) | instskip(NEXT) | instid1(VALU_DEP_2)
	v_add_f64_e64 v[0:1], v[136:137], -v[2:3]
	v_add_f64_e64 v[2:3], v[138:139], -v[4:5]
	scratch_store_b128 off, v[0:3], off offset:16
	s_wait_alu 0xfffe
	s_cbranch_vccz .LBB44_372
; %bb.284:
	v_mov_b32_e32 v0, 0
	global_load_b32 v1, v0, s[2:3] offset:172
	s_wait_loadcnt 0x0
	v_cmp_ne_u32_e32 vcc_lo, 44, v1
	s_cbranch_vccz .LBB44_286
; %bb.285:
	v_lshlrev_b32_e32 v1, 4, v1
	s_delay_alu instid0(VALU_DEP_1)
	v_add_nc_u32_e32 v9, 16, v1
	s_clause 0x1
	scratch_load_b128 v[1:4], v9, off offset:-16
	scratch_load_b128 v[5:8], off, s20
	s_wait_loadcnt 0x1
	scratch_store_b128 off, v[1:4], s20
	s_wait_loadcnt 0x0
	scratch_store_b128 v9, v[5:8], off offset:-16
.LBB44_286:
	global_load_b32 v0, v0, s[2:3] offset:168
	s_wait_loadcnt 0x0
	v_cmp_eq_u32_e32 vcc_lo, 43, v0
	s_cbranch_vccnz .LBB44_288
; %bb.287:
	v_lshlrev_b32_e32 v0, 4, v0
	s_delay_alu instid0(VALU_DEP_1)
	v_add_nc_u32_e32 v8, 16, v0
	s_clause 0x1
	scratch_load_b128 v[0:3], v8, off offset:-16
	scratch_load_b128 v[4:7], off, s24
	s_wait_loadcnt 0x1
	scratch_store_b128 off, v[0:3], s24
	s_wait_loadcnt 0x0
	scratch_store_b128 v8, v[4:7], off offset:-16
.LBB44_288:
	v_mov_b32_e32 v0, 0
	global_load_b32 v1, v0, s[2:3] offset:164
	s_wait_loadcnt 0x0
	v_cmp_eq_u32_e32 vcc_lo, 42, v1
	s_cbranch_vccnz .LBB44_290
; %bb.289:
	v_lshlrev_b32_e32 v1, 4, v1
	s_delay_alu instid0(VALU_DEP_1)
	v_add_nc_u32_e32 v9, 16, v1
	s_clause 0x1
	scratch_load_b128 v[1:4], v9, off offset:-16
	scratch_load_b128 v[5:8], off, s4
	s_wait_loadcnt 0x1
	scratch_store_b128 off, v[1:4], s4
	s_wait_loadcnt 0x0
	scratch_store_b128 v9, v[5:8], off offset:-16
.LBB44_290:
	global_load_b32 v0, v0, s[2:3] offset:160
	s_wait_loadcnt 0x0
	v_cmp_eq_u32_e32 vcc_lo, 41, v0
	s_cbranch_vccnz .LBB44_292
; %bb.291:
	v_lshlrev_b32_e32 v0, 4, v0
	s_delay_alu instid0(VALU_DEP_1)
	v_add_nc_u32_e32 v8, 16, v0
	s_clause 0x1
	scratch_load_b128 v[0:3], v8, off offset:-16
	scratch_load_b128 v[4:7], off, s5
	s_wait_loadcnt 0x1
	scratch_store_b128 off, v[0:3], s5
	s_wait_loadcnt 0x0
	scratch_store_b128 v8, v[4:7], off offset:-16
.LBB44_292:
	v_mov_b32_e32 v0, 0
	global_load_b32 v1, v0, s[2:3] offset:156
	s_wait_loadcnt 0x0
	v_cmp_eq_u32_e32 vcc_lo, 40, v1
	s_cbranch_vccnz .LBB44_294
; %bb.293:
	v_lshlrev_b32_e32 v1, 4, v1
	s_delay_alu instid0(VALU_DEP_1)
	v_add_nc_u32_e32 v9, 16, v1
	s_clause 0x1
	scratch_load_b128 v[1:4], v9, off offset:-16
	scratch_load_b128 v[5:8], off, s8
	s_wait_loadcnt 0x1
	scratch_store_b128 off, v[1:4], s8
	s_wait_loadcnt 0x0
	scratch_store_b128 v9, v[5:8], off offset:-16
.LBB44_294:
	;; [unrolled: 33-line block ×21, first 2 shown]
	global_load_b32 v0, v0, s[2:3]
	s_wait_loadcnt 0x0
	v_cmp_eq_u32_e32 vcc_lo, 1, v0
	s_cbranch_vccnz .LBB44_372
; %bb.371:
	v_lshlrev_b32_e32 v0, 4, v0
	s_delay_alu instid0(VALU_DEP_1)
	v_add_nc_u32_e32 v8, 16, v0
	scratch_load_b128 v[0:3], v8, off offset:-16
	scratch_load_b128 v[4:7], off, off offset:16
	s_wait_loadcnt 0x1
	scratch_store_b128 off, v[0:3], off offset:16
	s_wait_loadcnt 0x0
	scratch_store_b128 v8, v[4:7], off offset:-16
.LBB44_372:
	scratch_load_b128 v[0:3], off, off offset:16
	s_clause 0x10
	scratch_load_b128 v[4:7], off, s25
	scratch_load_b128 v[8:11], off, s22
	;; [unrolled: 1-line block ×17, first 2 shown]
	s_wait_loadcnt 0x11
	global_store_b128 v[46:47], v[0:3], off
	s_wait_loadcnt 0x10
	global_store_b128 v[48:49], v[4:7], off
	s_clause 0x2
	scratch_load_b128 v[0:3], off, s40
	scratch_load_b128 v[4:7], off, s39
	scratch_load_b128 v[44:47], off, s38
	s_wait_loadcnt 0x12
	global_store_b128 v[50:51], v[8:11], off
	s_clause 0x1
	scratch_load_b128 v[8:11], off, s37
	scratch_load_b128 v[48:51], off, s36
	s_wait_loadcnt 0x13
	global_store_b128 v[52:53], v[12:15], off
	s_wait_loadcnt 0x12
	global_store_b128 v[54:55], v[16:19], off
	s_clause 0x1
	scratch_load_b128 v[12:15], off, s35
	scratch_load_b128 v[16:19], off, s34
	s_wait_loadcnt 0x13
	global_store_b128 v[56:57], v[20:23], off
	s_clause 0x1
	scratch_load_b128 v[20:23], off, s33
	scratch_load_b128 v[52:55], off, s31
	s_wait_loadcnt 0x14
	global_store_b128 v[58:59], v[24:27], off
	s_clause 0x1
	scratch_load_b128 v[24:27], off, s30
	scratch_load_b128 v[56:59], off, s29
	s_wait_loadcnt 0x15
	global_store_b128 v[60:61], v[28:31], off
	s_wait_loadcnt 0x14
	global_store_b128 v[62:63], v[32:35], off
	s_clause 0x1
	scratch_load_b128 v[28:31], off, s28
	scratch_load_b128 v[32:35], off, s27
	s_wait_loadcnt 0x15
	global_store_b128 v[64:65], v[36:39], off
	s_clause 0x1
	scratch_load_b128 v[36:39], off, s26
	scratch_load_b128 v[60:63], off, s23
	;; [unrolled: 17-line block ×4, first 2 shown]
	s_wait_loadcnt 0x1a
	global_store_b128 v[82:83], v[0:3], off
	s_wait_loadcnt 0x19
	global_store_b128 v[84:85], v[4:7], off
	;; [unrolled: 2-line block ×27, first 2 shown]
	s_nop 0
	s_sendmsg sendmsg(MSG_DEALLOC_VGPRS)
	s_endpgm
	.section	.rodata,"a",@progbits
	.p2align	6, 0x0
	.amdhsa_kernel _ZN9rocsolver6v33100L18getri_kernel_smallILi45E19rocblas_complex_numIdEPS3_EEvT1_iilPiilS6_bb
		.amdhsa_group_segment_fixed_size 1448
		.amdhsa_private_segment_fixed_size 752
		.amdhsa_kernarg_size 60
		.amdhsa_user_sgpr_count 2
		.amdhsa_user_sgpr_dispatch_ptr 0
		.amdhsa_user_sgpr_queue_ptr 0
		.amdhsa_user_sgpr_kernarg_segment_ptr 1
		.amdhsa_user_sgpr_dispatch_id 0
		.amdhsa_user_sgpr_private_segment_size 0
		.amdhsa_wavefront_size32 1
		.amdhsa_uses_dynamic_stack 0
		.amdhsa_enable_private_segment 1
		.amdhsa_system_sgpr_workgroup_id_x 1
		.amdhsa_system_sgpr_workgroup_id_y 0
		.amdhsa_system_sgpr_workgroup_id_z 0
		.amdhsa_system_sgpr_workgroup_info 0
		.amdhsa_system_vgpr_workitem_id 0
		.amdhsa_next_free_vgpr 164
		.amdhsa_next_free_sgpr 74
		.amdhsa_reserve_vcc 1
		.amdhsa_float_round_mode_32 0
		.amdhsa_float_round_mode_16_64 0
		.amdhsa_float_denorm_mode_32 3
		.amdhsa_float_denorm_mode_16_64 3
		.amdhsa_fp16_overflow 0
		.amdhsa_workgroup_processor_mode 1
		.amdhsa_memory_ordered 1
		.amdhsa_forward_progress 1
		.amdhsa_inst_pref_size 255
		.amdhsa_round_robin_scheduling 0
		.amdhsa_exception_fp_ieee_invalid_op 0
		.amdhsa_exception_fp_denorm_src 0
		.amdhsa_exception_fp_ieee_div_zero 0
		.amdhsa_exception_fp_ieee_overflow 0
		.amdhsa_exception_fp_ieee_underflow 0
		.amdhsa_exception_fp_ieee_inexact 0
		.amdhsa_exception_int_div_zero 0
	.end_amdhsa_kernel
	.section	.text._ZN9rocsolver6v33100L18getri_kernel_smallILi45E19rocblas_complex_numIdEPS3_EEvT1_iilPiilS6_bb,"axG",@progbits,_ZN9rocsolver6v33100L18getri_kernel_smallILi45E19rocblas_complex_numIdEPS3_EEvT1_iilPiilS6_bb,comdat
.Lfunc_end44:
	.size	_ZN9rocsolver6v33100L18getri_kernel_smallILi45E19rocblas_complex_numIdEPS3_EEvT1_iilPiilS6_bb, .Lfunc_end44-_ZN9rocsolver6v33100L18getri_kernel_smallILi45E19rocblas_complex_numIdEPS3_EEvT1_iilPiilS6_bb
                                        ; -- End function
	.set _ZN9rocsolver6v33100L18getri_kernel_smallILi45E19rocblas_complex_numIdEPS3_EEvT1_iilPiilS6_bb.num_vgpr, 164
	.set _ZN9rocsolver6v33100L18getri_kernel_smallILi45E19rocblas_complex_numIdEPS3_EEvT1_iilPiilS6_bb.num_agpr, 0
	.set _ZN9rocsolver6v33100L18getri_kernel_smallILi45E19rocblas_complex_numIdEPS3_EEvT1_iilPiilS6_bb.numbered_sgpr, 74
	.set _ZN9rocsolver6v33100L18getri_kernel_smallILi45E19rocblas_complex_numIdEPS3_EEvT1_iilPiilS6_bb.num_named_barrier, 0
	.set _ZN9rocsolver6v33100L18getri_kernel_smallILi45E19rocblas_complex_numIdEPS3_EEvT1_iilPiilS6_bb.private_seg_size, 752
	.set _ZN9rocsolver6v33100L18getri_kernel_smallILi45E19rocblas_complex_numIdEPS3_EEvT1_iilPiilS6_bb.uses_vcc, 1
	.set _ZN9rocsolver6v33100L18getri_kernel_smallILi45E19rocblas_complex_numIdEPS3_EEvT1_iilPiilS6_bb.uses_flat_scratch, 1
	.set _ZN9rocsolver6v33100L18getri_kernel_smallILi45E19rocblas_complex_numIdEPS3_EEvT1_iilPiilS6_bb.has_dyn_sized_stack, 0
	.set _ZN9rocsolver6v33100L18getri_kernel_smallILi45E19rocblas_complex_numIdEPS3_EEvT1_iilPiilS6_bb.has_recursion, 0
	.set _ZN9rocsolver6v33100L18getri_kernel_smallILi45E19rocblas_complex_numIdEPS3_EEvT1_iilPiilS6_bb.has_indirect_call, 0
	.section	.AMDGPU.csdata,"",@progbits
; Kernel info:
; codeLenInByte = 85676
; TotalNumSgprs: 76
; NumVgprs: 164
; ScratchSize: 752
; MemoryBound: 0
; FloatMode: 240
; IeeeMode: 1
; LDSByteSize: 1448 bytes/workgroup (compile time only)
; SGPRBlocks: 0
; VGPRBlocks: 20
; NumSGPRsForWavesPerEU: 76
; NumVGPRsForWavesPerEU: 164
; Occupancy: 9
; WaveLimiterHint : 1
; COMPUTE_PGM_RSRC2:SCRATCH_EN: 1
; COMPUTE_PGM_RSRC2:USER_SGPR: 2
; COMPUTE_PGM_RSRC2:TRAP_HANDLER: 0
; COMPUTE_PGM_RSRC2:TGID_X_EN: 1
; COMPUTE_PGM_RSRC2:TGID_Y_EN: 0
; COMPUTE_PGM_RSRC2:TGID_Z_EN: 0
; COMPUTE_PGM_RSRC2:TIDIG_COMP_CNT: 0
	.section	.text._ZN9rocsolver6v33100L18getri_kernel_smallILi46E19rocblas_complex_numIdEPS3_EEvT1_iilPiilS6_bb,"axG",@progbits,_ZN9rocsolver6v33100L18getri_kernel_smallILi46E19rocblas_complex_numIdEPS3_EEvT1_iilPiilS6_bb,comdat
	.globl	_ZN9rocsolver6v33100L18getri_kernel_smallILi46E19rocblas_complex_numIdEPS3_EEvT1_iilPiilS6_bb ; -- Begin function _ZN9rocsolver6v33100L18getri_kernel_smallILi46E19rocblas_complex_numIdEPS3_EEvT1_iilPiilS6_bb
	.p2align	8
	.type	_ZN9rocsolver6v33100L18getri_kernel_smallILi46E19rocblas_complex_numIdEPS3_EEvT1_iilPiilS6_bb,@function
_ZN9rocsolver6v33100L18getri_kernel_smallILi46E19rocblas_complex_numIdEPS3_EEvT1_iilPiilS6_bb: ; @_ZN9rocsolver6v33100L18getri_kernel_smallILi46E19rocblas_complex_numIdEPS3_EEvT1_iilPiilS6_bb
; %bb.0:
	s_mov_b32 s2, exec_lo
	v_cmpx_gt_u32_e32 46, v0
	s_cbranch_execz .LBB45_198
; %bb.1:
	s_clause 0x2
	s_load_b32 s2, s[0:1], 0x38
	s_load_b128 s[12:15], s[0:1], 0x10
	s_load_b128 s[4:7], s[0:1], 0x28
	s_mov_b32 s16, ttmp9
	s_wait_kmcnt 0x0
	s_bitcmp1_b32 s2, 8
	s_cselect_b32 s18, -1, 0
	s_bfe_u32 s2, s2, 0x10008
	s_ashr_i32 s17, ttmp9, 31
	s_cmp_eq_u32 s2, 0
                                        ; implicit-def: $sgpr2_sgpr3
	s_cbranch_scc1 .LBB45_3
; %bb.2:
	s_load_b32 s2, s[0:1], 0x20
	s_mul_u64 s[4:5], s[4:5], s[16:17]
	s_delay_alu instid0(SALU_CYCLE_1) | instskip(NEXT) | instid1(SALU_CYCLE_1)
	s_lshl_b64 s[4:5], s[4:5], 2
	s_add_nc_u64 s[4:5], s[14:15], s[4:5]
	s_wait_kmcnt 0x0
	s_ashr_i32 s3, s2, 31
	s_delay_alu instid0(SALU_CYCLE_1) | instskip(NEXT) | instid1(SALU_CYCLE_1)
	s_lshl_b64 s[2:3], s[2:3], 2
	s_add_nc_u64 s[2:3], s[4:5], s[2:3]
.LBB45_3:
	s_clause 0x1
	s_load_b128 s[8:11], s[0:1], 0x0
	s_load_b32 s55, s[0:1], 0x38
	s_mul_u64 s[0:1], s[12:13], s[16:17]
	v_lshlrev_b32_e32 v13, 4, v0
	s_lshl_b64 s[0:1], s[0:1], 4
	s_movk_i32 s12, 0xd0
	s_movk_i32 s13, 0xe0
	;; [unrolled: 1-line block ×15, first 2 shown]
	s_wait_kmcnt 0x0
	v_add3_u32 v1, s11, s11, v0
	s_ashr_i32 s5, s10, 31
	s_mov_b32 s4, s10
	s_add_nc_u64 s[0:1], s[8:9], s[0:1]
	s_lshl_b64 s[4:5], s[4:5], 4
	v_add_nc_u32_e32 v9, s11, v1
	v_ashrrev_i32_e32 v2, 31, v1
	s_add_nc_u64 s[0:1], s[0:1], s[4:5]
	s_ashr_i32 s9, s11, 31
	v_add_co_u32 v46, s4, s0, v13
	v_ashrrev_i32_e32 v10, 31, v9
	s_mov_b32 s8, s11
	v_lshlrev_b64_e32 v[11:12], 4, v[1:2]
	v_add_co_ci_u32_e64 v47, null, s1, 0, s4
	s_lshl_b64 s[8:9], s[8:9], 4
	v_lshlrev_b64_e32 v[14:15], 4, v[9:10]
	v_add_co_u32 v48, vcc_lo, v46, s8
	s_delay_alu instid0(VALU_DEP_1)
	v_add_co_ci_u32_e64 v49, null, s9, v47, vcc_lo
	v_add_co_u32 v50, vcc_lo, s0, v11
	s_wait_alu 0xfffd
	v_add_co_ci_u32_e64 v51, null, s1, v12, vcc_lo
	v_add_co_u32 v52, vcc_lo, s0, v14
	s_wait_alu 0xfffd
	v_add_co_ci_u32_e64 v53, null, s1, v15, vcc_lo
	s_clause 0x3
	global_load_b128 v[1:4], v13, s[0:1]
	global_load_b128 v[5:8], v[48:49], off
	global_load_b128 v[14:17], v[50:51], off
	;; [unrolled: 1-line block ×3, first 2 shown]
	v_add_nc_u32_e32 v9, s11, v9
	s_movk_i32 s4, 0x70
	s_movk_i32 s5, 0x80
	;; [unrolled: 1-line block ×4, first 2 shown]
	v_add_nc_u32_e32 v11, s11, v9
	v_ashrrev_i32_e32 v10, 31, v9
	s_movk_i32 s10, 0xb0
	s_movk_i32 s37, 0x1c0
	;; [unrolled: 1-line block ×3, first 2 shown]
	v_add_nc_u32_e32 v22, s11, v11
	v_ashrrev_i32_e32 v12, 31, v11
	v_lshlrev_b64_e32 v[9:10], 4, v[9:10]
	s_movk_i32 s56, 0x1e0
	s_movk_i32 s57, 0x1f0
	v_add_nc_u32_e32 v24, s11, v22
	v_ashrrev_i32_e32 v23, 31, v22
	v_lshlrev_b64_e32 v[11:12], 4, v[11:12]
	v_add_co_u32 v54, vcc_lo, s0, v9
	s_delay_alu instid0(VALU_DEP_4)
	v_add_nc_u32_e32 v26, s11, v24
	v_ashrrev_i32_e32 v25, 31, v24
	s_wait_alu 0xfffd
	v_add_co_ci_u32_e64 v55, null, s1, v10, vcc_lo
	v_lshlrev_b64_e32 v[22:23], 4, v[22:23]
	v_add_nc_u32_e32 v30, s11, v26
	v_ashrrev_i32_e32 v27, 31, v26
	v_lshlrev_b64_e32 v[24:25], 4, v[24:25]
	v_add_co_u32 v56, vcc_lo, s0, v11
	s_delay_alu instid0(VALU_DEP_4)
	v_add_nc_u32_e32 v34, s11, v30
	v_ashrrev_i32_e32 v31, 31, v30
	v_lshlrev_b64_e32 v[32:33], 4, v[26:27]
	s_wait_alu 0xfffd
	v_add_co_ci_u32_e64 v57, null, s1, v12, vcc_lo
	v_add_nc_u32_e32 v38, s11, v34
	v_ashrrev_i32_e32 v35, 31, v34
	global_load_b128 v[9:12], v[54:55], off
	v_add_co_u32 v58, vcc_lo, s0, v22
	v_add_nc_u32_e32 v42, s11, v38
	v_ashrrev_i32_e32 v39, 31, v38
	v_lshlrev_b64_e32 v[30:31], 4, v[30:31]
	s_wait_alu 0xfffd
	v_add_co_ci_u32_e64 v59, null, s1, v23, vcc_lo
	v_add_nc_u32_e32 v70, s11, v42
	v_ashrrev_i32_e32 v43, 31, v42
	v_add_co_u32 v60, vcc_lo, s0, v24
	v_lshlrev_b64_e32 v[40:41], 4, v[34:35]
	s_delay_alu instid0(VALU_DEP_4)
	v_add_nc_u32_e32 v74, s11, v70
	v_ashrrev_i32_e32 v71, 31, v70
	s_wait_alu 0xfffd
	v_add_co_ci_u32_e64 v61, null, s1, v25, vcc_lo
	v_add_co_u32 v62, vcc_lo, s0, v32
	v_lshlrev_b64_e32 v[38:39], 4, v[38:39]
	s_wait_alu 0xfffd
	v_add_co_ci_u32_e64 v63, null, s1, v33, vcc_lo
	v_add_co_u32 v64, vcc_lo, s0, v30
	v_lshlrev_b64_e32 v[72:73], 4, v[42:43]
	v_add_nc_u32_e32 v78, s11, v74
	s_wait_alu 0xfffd
	v_add_co_ci_u32_e64 v65, null, s1, v31, vcc_lo
	v_add_co_u32 v66, vcc_lo, s0, v40
	v_lshlrev_b64_e32 v[76:77], 4, v[70:71]
	s_wait_alu 0xfffd
	v_add_co_ci_u32_e64 v67, null, s1, v41, vcc_lo
	v_add_co_u32 v68, vcc_lo, s0, v38
	s_clause 0x1
	global_load_b128 v[22:25], v[56:57], off
	global_load_b128 v[26:29], v[58:59], off
	v_ashrrev_i32_e32 v79, 31, v78
	v_add_nc_u32_e32 v80, s11, v78
	s_wait_alu 0xfffd
	v_add_co_ci_u32_e64 v69, null, s1, v39, vcc_lo
	v_add_co_u32 v70, vcc_lo, s0, v72
	s_wait_alu 0xfffd
	v_add_co_ci_u32_e64 v71, null, s1, v73, vcc_lo
	v_add_co_u32 v72, vcc_lo, s0, v76
	s_wait_alu 0xfffd
	v_add_co_ci_u32_e64 v73, null, s1, v77, vcc_lo
	v_lshlrev_b64_e32 v[76:77], 4, v[78:79]
	v_add_nc_u32_e32 v78, s11, v80
	v_ashrrev_i32_e32 v75, 31, v74
	s_clause 0x1
	global_load_b128 v[30:33], v[60:61], off
	global_load_b128 v[34:37], v[62:63], off
	v_ashrrev_i32_e32 v81, 31, v80
	s_clause 0x1
	global_load_b128 v[38:41], v[64:65], off
	global_load_b128 v[42:45], v[66:67], off
	v_add_nc_u32_e32 v82, s11, v78
	v_lshlrev_b64_e32 v[74:75], 4, v[74:75]
	v_ashrrev_i32_e32 v79, 31, v78
	v_lshlrev_b64_e32 v[80:81], 4, v[80:81]
	s_clause 0x1
	global_load_b128 v[114:117], v[68:69], off
	global_load_b128 v[118:121], v[70:71], off
	v_add_nc_u32_e32 v86, s11, v82
	v_ashrrev_i32_e32 v83, 31, v82
	v_add_co_u32 v74, vcc_lo, s0, v74
	v_lshlrev_b64_e32 v[84:85], 4, v[78:79]
	s_wait_alu 0xfffd
	v_add_co_ci_u32_e64 v75, null, s1, v75, vcc_lo
	v_add_co_u32 v76, vcc_lo, s0, v76
	v_ashrrev_i32_e32 v87, 31, v86
	v_add_nc_u32_e32 v88, s11, v86
	s_wait_alu 0xfffd
	v_add_co_ci_u32_e64 v77, null, s1, v77, vcc_lo
	v_add_co_u32 v78, vcc_lo, s0, v80
	s_wait_alu 0xfffd
	v_add_co_ci_u32_e64 v79, null, s1, v81, vcc_lo
	v_add_co_u32 v80, vcc_lo, s0, v84
	s_wait_alu 0xfffd
	v_add_co_ci_u32_e64 v81, null, s1, v85, vcc_lo
	v_lshlrev_b64_e32 v[84:85], 4, v[86:87]
	v_add_nc_u32_e32 v86, s11, v88
	s_clause 0x1
	global_load_b128 v[122:125], v[72:73], off
	global_load_b128 v[126:129], v[74:75], off
	v_ashrrev_i32_e32 v89, 31, v88
	v_lshlrev_b64_e32 v[82:83], 4, v[82:83]
	s_clause 0x1
	global_load_b128 v[130:133], v[76:77], off
	global_load_b128 v[134:137], v[78:79], off
	v_add_nc_u32_e32 v90, s11, v86
	v_ashrrev_i32_e32 v87, 31, v86
	v_lshlrev_b64_e32 v[88:89], 4, v[88:89]
	s_movk_i32 s58, 0x200
	v_add_co_u32 v82, vcc_lo, s0, v82
	v_add_nc_u32_e32 v94, s11, v90
	v_lshlrev_b64_e32 v[92:93], 4, v[86:87]
	s_wait_alu 0xfffd
	v_add_co_ci_u32_e64 v83, null, s1, v83, vcc_lo
	v_add_co_u32 v84, vcc_lo, s0, v84
	v_ashrrev_i32_e32 v91, 31, v90
	v_ashrrev_i32_e32 v95, 31, v94
	v_add_nc_u32_e32 v96, s11, v94
	s_wait_alu 0xfffd
	v_add_co_ci_u32_e64 v85, null, s1, v85, vcc_lo
	v_add_co_u32 v86, vcc_lo, s0, v88
	s_wait_alu 0xfffd
	v_add_co_ci_u32_e64 v87, null, s1, v89, vcc_lo
	v_add_co_u32 v88, vcc_lo, s0, v92
	v_lshlrev_b64_e32 v[90:91], 4, v[90:91]
	s_wait_alu 0xfffd
	v_add_co_ci_u32_e64 v89, null, s1, v93, vcc_lo
	v_lshlrev_b64_e32 v[92:93], 4, v[94:95]
	v_add_nc_u32_e32 v94, s11, v96
	v_ashrrev_i32_e32 v97, 31, v96
	v_add_co_u32 v90, vcc_lo, s0, v90
	s_wait_alu 0xfffd
	v_add_co_ci_u32_e64 v91, null, s1, v91, vcc_lo
	v_add_nc_u32_e32 v98, s11, v94
	v_add_co_u32 v92, vcc_lo, s0, v92
	v_ashrrev_i32_e32 v95, 31, v94
	s_wait_alu 0xfffd
	v_add_co_ci_u32_e64 v93, null, s1, v93, vcc_lo
	v_add_nc_u32_e32 v102, s11, v98
	s_clause 0x1
	global_load_b128 v[138:141], v[80:81], off
	global_load_b128 v[142:145], v[82:83], off
	v_lshlrev_b64_e32 v[96:97], 4, v[96:97]
	s_clause 0x3
	global_load_b128 v[146:149], v[84:85], off
	global_load_b128 v[150:153], v[86:87], off
	;; [unrolled: 1-line block ×4, first 2 shown]
	v_lshlrev_b64_e32 v[100:101], 4, v[94:95]
	global_load_b128 v[162:165], v[92:93], off
	v_add_nc_u32_e32 v104, s11, v102
	v_ashrrev_i32_e32 v99, 31, v98
	v_ashrrev_i32_e32 v103, 31, v102
	v_add_co_u32 v94, vcc_lo, s0, v96
	s_delay_alu instid0(VALU_DEP_4)
	v_ashrrev_i32_e32 v105, 31, v104
	s_wait_alu 0xfffd
	v_add_co_ci_u32_e64 v95, null, s1, v97, vcc_lo
	v_lshlrev_b64_e32 v[98:99], 4, v[98:99]
	v_add_co_u32 v96, vcc_lo, s0, v100
	s_wait_alu 0xfffd
	v_add_co_ci_u32_e64 v97, null, s1, v101, vcc_lo
	v_lshlrev_b64_e32 v[100:101], 4, v[102:103]
	v_lshlrev_b64_e32 v[102:103], 4, v[104:105]
	v_add_co_u32 v98, vcc_lo, s0, v98
	s_wait_alu 0xfffd
	v_add_co_ci_u32_e64 v99, null, s1, v99, vcc_lo
	s_delay_alu instid0(VALU_DEP_4)
	v_add_co_u32 v100, vcc_lo, s0, v100
	s_wait_alu 0xfffd
	v_add_co_ci_u32_e64 v101, null, s1, v101, vcc_lo
	v_add_co_u32 v102, vcc_lo, s0, v102
	s_wait_alu 0xfffd
	v_add_co_ci_u32_e64 v103, null, s1, v103, vcc_lo
	s_clause 0x1
	global_load_b128 v[166:169], v[94:95], off
	global_load_b128 v[170:173], v[96:97], off
	s_movk_i32 s59, 0x210
	s_movk_i32 s60, 0x220
	;; [unrolled: 1-line block ×13, first 2 shown]
	s_wait_alu 0xfffe
	s_add_co_i32 s52, s4, 16
	s_add_co_i32 s51, s5, 16
	;; [unrolled: 1-line block ×37, first 2 shown]
	s_mov_b32 s41, 32
	s_mov_b32 s40, 48
	;; [unrolled: 1-line block ×3, first 2 shown]
	s_movk_i32 s38, 0x50
	s_wait_loadcnt 0x19
	scratch_store_b128 off, v[1:4], off offset:16
	s_wait_loadcnt 0x18
	scratch_store_b128 off, v[5:8], off offset:32
	s_clause 0x1
	global_load_b128 v[1:4], v[98:99], off
	global_load_b128 v[5:8], v[100:101], off
	s_wait_loadcnt 0x19
	scratch_store_b128 off, v[14:17], off offset:48
	s_wait_loadcnt 0x18
	scratch_store_b128 off, v[18:21], off offset:64
	global_load_b128 v[14:17], v[102:103], off
	v_add_nc_u32_e32 v18, s11, v104
	s_delay_alu instid0(VALU_DEP_1) | instskip(SKIP_1) | instid1(VALU_DEP_1)
	v_ashrrev_i32_e32 v19, 31, v18
	v_add_nc_u32_e32 v20, s11, v18
	v_ashrrev_i32_e32 v21, 31, v20
	s_wait_loadcnt 0x18
	scratch_store_b128 off, v[9:12], off offset:80
	v_lshlrev_b64_e32 v[11:12], 4, v[18:19]
	v_add_nc_u32_e32 v9, s11, v20
	v_lshlrev_b64_e32 v[18:19], 4, v[20:21]
	s_delay_alu instid0(VALU_DEP_3) | instskip(NEXT) | instid1(VALU_DEP_3)
	v_add_co_u32 v104, vcc_lo, s0, v11
	v_add_nc_u32_e32 v11, s11, v9
	v_ashrrev_i32_e32 v10, 31, v9
	s_wait_alu 0xfffd
	v_add_co_ci_u32_e64 v105, null, s1, v12, vcc_lo
	v_add_co_u32 v106, vcc_lo, s0, v18
	s_delay_alu instid0(VALU_DEP_3) | instskip(SKIP_3) | instid1(VALU_DEP_3)
	v_lshlrev_b64_e32 v[9:10], 4, v[9:10]
	v_ashrrev_i32_e32 v12, 31, v11
	s_wait_alu 0xfffd
	v_add_co_ci_u32_e64 v107, null, s1, v19, vcc_lo
	v_add_co_u32 v108, vcc_lo, s0, v9
	s_wait_alu 0xfffd
	v_add_co_ci_u32_e64 v109, null, s1, v10, vcc_lo
	s_wait_loadcnt 0x17
	scratch_store_b128 off, v[22:25], off offset:96
	v_add_nc_u32_e32 v22, s11, v11
	s_wait_loadcnt 0x16
	scratch_store_b128 off, v[26:29], off offset:112
	s_wait_loadcnt 0x15
	scratch_store_b128 off, v[30:33], off offset:128
	v_add_nc_u32_e32 v112, s11, v22
	v_lshlrev_b64_e32 v[24:25], 4, v[11:12]
	s_clause 0x1
	global_load_b128 v[9:12], v[104:105], off
	global_load_b128 v[18:21], v[106:107], off
	s_wait_loadcnt 0x16
	scratch_store_b128 off, v[34:37], off offset:144
	v_ashrrev_i32_e32 v23, 31, v22
	v_add_nc_u32_e32 v30, s11, v112
	v_ashrrev_i32_e32 v113, 31, v112
	s_wait_loadcnt 0x15
	scratch_store_b128 off, v[38:41], off offset:160
	s_wait_loadcnt 0x14
	scratch_store_b128 off, v[42:45], off offset:176
	v_add_co_u32 v110, vcc_lo, s0, v24
	v_add_nc_u32_e32 v34, s11, v30
	v_lshlrev_b64_e32 v[22:23], 4, v[22:23]
	v_ashrrev_i32_e32 v31, 31, v30
	v_lshlrev_b64_e32 v[32:33], 4, v[112:113]
	s_wait_alu 0xfffd
	v_add_co_ci_u32_e64 v111, null, s1, v25, vcc_lo
	v_add_nc_u32_e32 v38, s11, v34
	v_add_co_u32 v112, vcc_lo, s0, v22
	v_lshlrev_b64_e32 v[30:31], 4, v[30:31]
	v_ashrrev_i32_e32 v35, 31, v34
	s_delay_alu instid0(VALU_DEP_4)
	v_add_nc_u32_e32 v42, s11, v38
	s_wait_alu 0xfffd
	v_add_co_ci_u32_e64 v113, null, s1, v23, vcc_lo
	s_clause 0x1
	global_load_b128 v[22:25], v[108:109], off
	global_load_b128 v[26:29], v[110:111], off
	s_wait_loadcnt 0x15
	scratch_store_b128 off, v[114:117], off offset:192
	v_add_co_u32 v114, vcc_lo, s0, v32
	s_wait_loadcnt 0x14
	scratch_store_b128 off, v[118:121], off offset:208
	s_wait_loadcnt 0x13
	scratch_store_b128 off, v[122:125], off offset:224
	v_add_nc_u32_e32 v122, s11, v42
	v_ashrrev_i32_e32 v39, 31, v38
	s_wait_alu 0xfffd
	v_add_co_ci_u32_e64 v115, null, s1, v33, vcc_lo
	v_ashrrev_i32_e32 v43, 31, v42
	v_lshlrev_b64_e32 v[40:41], 4, v[34:35]
	v_add_co_u32 v116, vcc_lo, s0, v30
	v_ashrrev_i32_e32 v123, 31, v122
	s_wait_alu 0xfffd
	v_add_co_ci_u32_e64 v117, null, s1, v31, vcc_lo
	s_clause 0x1
	global_load_b128 v[30:33], v[112:113], off
	global_load_b128 v[34:37], v[114:115], off
	v_lshlrev_b64_e32 v[38:39], 4, v[38:39]
	s_wait_loadcnt 0x14
	scratch_store_b128 off, v[126:129], off offset:240
	v_add_nc_u32_e32 v126, s11, v122
	v_lshlrev_b64_e32 v[124:125], 4, v[42:43]
	v_add_co_u32 v118, vcc_lo, s0, v40
	v_lshlrev_b64_e32 v[128:129], 4, v[122:123]
	s_wait_loadcnt 0x13
	scratch_store_b128 off, v[130:133], off offset:256
	s_wait_loadcnt 0x12
	scratch_store_b128 off, v[134:137], off offset:272
	v_add_nc_u32_e32 v130, s11, v126
	s_wait_alu 0xfffd
	v_add_co_ci_u32_e64 v119, null, s1, v41, vcc_lo
	v_add_co_u32 v120, vcc_lo, s0, v38
	s_wait_alu 0xfffd
	v_add_co_ci_u32_e64 v121, null, s1, v39, vcc_lo
	v_ashrrev_i32_e32 v127, 31, v126
	v_add_co_u32 v122, vcc_lo, s0, v124
	s_wait_alu 0xfffd
	v_add_co_ci_u32_e64 v123, null, s1, v125, vcc_lo
	v_add_co_u32 v124, vcc_lo, s0, v128
	v_add_nc_u32_e32 v128, s11, v130
	v_lshlrev_b64_e32 v[126:127], 4, v[126:127]
	v_ashrrev_i32_e32 v131, 31, v130
	s_wait_alu 0xfffd
	v_add_co_ci_u32_e64 v125, null, s1, v129, vcc_lo
	v_add_nc_u32_e32 v132, s11, v128
	v_ashrrev_i32_e32 v129, 31, v128
	v_add_co_u32 v126, vcc_lo, s0, v126
	s_wait_alu 0xfffd
	v_add_co_ci_u32_e64 v127, null, s1, v127, vcc_lo
	v_add_nc_u32_e32 v136, s11, v132
	s_clause 0x1
	global_load_b128 v[38:41], v[116:117], off
	global_load_b128 v[42:45], v[118:119], off
	s_wait_loadcnt 0x13
	scratch_store_b128 off, v[138:141], off offset:288
	s_wait_loadcnt 0x12
	scratch_store_b128 off, v[142:145], off offset:304
	;; [unrolled: 2-line block ×3, first 2 shown]
	v_lshlrev_b64_e32 v[130:131], 4, v[130:131]
	s_clause 0x1
	global_load_b128 v[138:141], v[120:121], off
	global_load_b128 v[142:145], v[122:123], off
	s_wait_loadcnt 0x12
	scratch_store_b128 off, v[150:153], off offset:336
	s_wait_loadcnt 0x11
	scratch_store_b128 off, v[154:157], off offset:352
	;; [unrolled: 2-line block ×3, first 2 shown]
	v_lshlrev_b64_e32 v[134:135], 4, v[128:129]
	s_clause 0x1
	global_load_b128 v[146:149], v[124:125], off
	global_load_b128 v[150:153], v[126:127], off
	s_wait_loadcnt 0x11
	scratch_store_b128 off, v[162:165], off offset:384
	v_add_nc_u32_e32 v162, s11, v136
	v_ashrrev_i32_e32 v133, 31, v132
	v_ashrrev_i32_e32 v137, 31, v136
	v_add_co_u32 v128, vcc_lo, s0, v130
	s_delay_alu instid0(VALU_DEP_4)
	v_ashrrev_i32_e32 v163, 31, v162
	s_wait_alu 0xfffd
	v_add_co_ci_u32_e64 v129, null, s1, v131, vcc_lo
	v_lshlrev_b64_e32 v[132:133], 4, v[132:133]
	v_add_co_u32 v130, vcc_lo, s0, v134
	s_wait_alu 0xfffd
	v_add_co_ci_u32_e64 v131, null, s1, v135, vcc_lo
	v_lshlrev_b64_e32 v[134:135], 4, v[136:137]
	v_lshlrev_b64_e32 v[136:137], 4, v[162:163]
	v_add_co_u32 v132, vcc_lo, s0, v132
	s_wait_alu 0xfffd
	v_add_co_ci_u32_e64 v133, null, s1, v133, vcc_lo
	s_delay_alu instid0(VALU_DEP_4)
	v_add_co_u32 v134, vcc_lo, s0, v134
	s_wait_alu 0xfffd
	v_add_co_ci_u32_e64 v135, null, s1, v135, vcc_lo
	v_add_co_u32 v136, vcc_lo, s0, v136
	s_wait_alu 0xfffd
	v_add_co_ci_u32_e64 v137, null, s1, v137, vcc_lo
	s_wait_loadcnt 0x10
	scratch_store_b128 off, v[166:169], off offset:400
	s_wait_loadcnt 0xf
	scratch_store_b128 off, v[170:173], off offset:416
	s_clause 0x1
	global_load_b128 v[154:157], v[128:129], off
	global_load_b128 v[158:161], v[130:131], off
	s_movk_i32 s0, 0x50
	s_movk_i32 s1, 0x60
	;; [unrolled: 1-line block ×3, first 2 shown]
	s_wait_alu 0xfffe
	s_add_co_i32 s54, s0, 16
	s_add_co_i32 s53, s1, 16
	;; [unrolled: 1-line block ×4, first 2 shown]
	s_bitcmp0_b32 s55, 0
	s_mov_b32 s1, -1
	s_wait_loadcnt 0x10
	scratch_store_b128 off, v[1:4], off offset:432
	s_wait_loadcnt 0xf
	scratch_store_b128 off, v[5:8], off offset:448
	s_clause 0x1
	global_load_b128 v[1:4], v[132:133], off
	global_load_b128 v[5:8], v[134:135], off
	s_wait_loadcnt 0x10
	scratch_store_b128 off, v[14:17], off offset:464
	global_load_b128 v[14:17], v[136:137], off
	s_wait_loadcnt 0x10
	scratch_store_b128 off, v[9:12], off offset:480
	s_wait_loadcnt 0xf
	scratch_store_b128 off, v[18:21], off offset:496
	;; [unrolled: 2-line block ×17, first 2 shown]
	s_cbranch_scc1 .LBB45_196
; %bb.4:
	v_cmp_eq_u32_e64 s0, 0, v0
	s_and_saveexec_b32 s1, s0
; %bb.5:
	v_mov_b32_e32 v1, 0
	ds_store_b32 v1, v1 offset:1472
; %bb.6:
	s_wait_alu 0xfffe
	s_or_b32 exec_lo, exec_lo, s1
	s_wait_storecnt_dscnt 0x0
	s_barrier_signal -1
	s_barrier_wait -1
	global_inv scope:SCOPE_SE
	scratch_load_b128 v[1:4], v13, off offset:16
	s_wait_loadcnt 0x0
	v_cmp_eq_f64_e32 vcc_lo, 0, v[1:2]
	v_cmp_eq_f64_e64 s1, 0, v[3:4]
	s_and_b32 s1, vcc_lo, s1
	s_wait_alu 0xfffe
	s_and_saveexec_b32 s55, s1
	s_cbranch_execz .LBB45_10
; %bb.7:
	v_mov_b32_e32 v1, 0
	s_mov_b32 s56, 0
	ds_load_b32 v2, v1 offset:1472
	s_wait_dscnt 0x0
	v_readfirstlane_b32 s1, v2
	v_add_nc_u32_e32 v2, 1, v0
	s_cmp_eq_u32 s1, 0
	s_delay_alu instid0(VALU_DEP_1) | instskip(SKIP_1) | instid1(SALU_CYCLE_1)
	v_cmp_gt_i32_e32 vcc_lo, s1, v2
	s_cselect_b32 s57, -1, 0
	s_or_b32 s57, s57, vcc_lo
	s_delay_alu instid0(SALU_CYCLE_1)
	s_and_b32 exec_lo, exec_lo, s57
	s_cbranch_execz .LBB45_10
; %bb.8:
	v_mov_b32_e32 v3, s1
.LBB45_9:                               ; =>This Inner Loop Header: Depth=1
	ds_cmpstore_rtn_b32 v3, v1, v2, v3 offset:1472
	s_wait_dscnt 0x0
	v_cmp_ne_u32_e32 vcc_lo, 0, v3
	v_cmp_le_i32_e64 s1, v3, v2
	s_and_b32 s1, vcc_lo, s1
	s_wait_alu 0xfffe
	s_and_b32 s1, exec_lo, s1
	s_wait_alu 0xfffe
	s_or_b32 s56, s1, s56
	s_delay_alu instid0(SALU_CYCLE_1)
	s_and_not1_b32 exec_lo, exec_lo, s56
	s_cbranch_execnz .LBB45_9
.LBB45_10:
	s_or_b32 exec_lo, exec_lo, s55
	v_mov_b32_e32 v1, 0
	s_barrier_signal -1
	s_barrier_wait -1
	global_inv scope:SCOPE_SE
	ds_load_b32 v2, v1 offset:1472
	s_and_saveexec_b32 s1, s0
	s_cbranch_execz .LBB45_12
; %bb.11:
	s_lshl_b64 s[56:57], s[16:17], 2
	s_delay_alu instid0(SALU_CYCLE_1)
	s_add_nc_u64 s[56:57], s[6:7], s[56:57]
	s_wait_dscnt 0x0
	global_store_b32 v1, v2, s[56:57]
.LBB45_12:
	s_wait_alu 0xfffe
	s_or_b32 exec_lo, exec_lo, s1
	s_wait_dscnt 0x0
	v_cmp_ne_u32_e32 vcc_lo, 0, v2
	s_mov_b32 s1, 0
	s_cbranch_vccnz .LBB45_196
; %bb.13:
	v_add_nc_u32_e32 v14, 16, v13
                                        ; implicit-def: $vgpr1_vgpr2
                                        ; implicit-def: $vgpr9_vgpr10
	scratch_load_b128 v[5:8], v14, off
	s_wait_loadcnt 0x0
	v_cmp_ngt_f64_e64 s1, |v[5:6]|, |v[7:8]|
	s_wait_alu 0xfffe
	s_and_saveexec_b32 s55, s1
	s_delay_alu instid0(SALU_CYCLE_1)
	s_xor_b32 s1, exec_lo, s55
	s_cbranch_execz .LBB45_15
; %bb.14:
	v_div_scale_f64 v[1:2], null, v[7:8], v[7:8], v[5:6]
	v_div_scale_f64 v[11:12], vcc_lo, v[5:6], v[7:8], v[5:6]
	s_delay_alu instid0(VALU_DEP_2) | instskip(NEXT) | instid1(TRANS32_DEP_1)
	v_rcp_f64_e32 v[3:4], v[1:2]
	v_fma_f64 v[9:10], -v[1:2], v[3:4], 1.0
	s_delay_alu instid0(VALU_DEP_1) | instskip(NEXT) | instid1(VALU_DEP_1)
	v_fma_f64 v[3:4], v[3:4], v[9:10], v[3:4]
	v_fma_f64 v[9:10], -v[1:2], v[3:4], 1.0
	s_delay_alu instid0(VALU_DEP_1) | instskip(NEXT) | instid1(VALU_DEP_1)
	v_fma_f64 v[3:4], v[3:4], v[9:10], v[3:4]
	v_mul_f64_e32 v[9:10], v[11:12], v[3:4]
	s_delay_alu instid0(VALU_DEP_1) | instskip(SKIP_1) | instid1(VALU_DEP_1)
	v_fma_f64 v[1:2], -v[1:2], v[9:10], v[11:12]
	s_wait_alu 0xfffd
	v_div_fmas_f64 v[1:2], v[1:2], v[3:4], v[9:10]
	s_delay_alu instid0(VALU_DEP_1) | instskip(NEXT) | instid1(VALU_DEP_1)
	v_div_fixup_f64 v[1:2], v[1:2], v[7:8], v[5:6]
	v_fma_f64 v[3:4], v[5:6], v[1:2], v[7:8]
	s_delay_alu instid0(VALU_DEP_1) | instskip(SKIP_1) | instid1(VALU_DEP_2)
	v_div_scale_f64 v[5:6], null, v[3:4], v[3:4], 1.0
	v_div_scale_f64 v[11:12], vcc_lo, 1.0, v[3:4], 1.0
	v_rcp_f64_e32 v[7:8], v[5:6]
	s_delay_alu instid0(TRANS32_DEP_1) | instskip(NEXT) | instid1(VALU_DEP_1)
	v_fma_f64 v[9:10], -v[5:6], v[7:8], 1.0
	v_fma_f64 v[7:8], v[7:8], v[9:10], v[7:8]
	s_delay_alu instid0(VALU_DEP_1) | instskip(NEXT) | instid1(VALU_DEP_1)
	v_fma_f64 v[9:10], -v[5:6], v[7:8], 1.0
	v_fma_f64 v[7:8], v[7:8], v[9:10], v[7:8]
	s_delay_alu instid0(VALU_DEP_1) | instskip(NEXT) | instid1(VALU_DEP_1)
	v_mul_f64_e32 v[9:10], v[11:12], v[7:8]
	v_fma_f64 v[5:6], -v[5:6], v[9:10], v[11:12]
	s_wait_alu 0xfffd
	s_delay_alu instid0(VALU_DEP_1) | instskip(NEXT) | instid1(VALU_DEP_1)
	v_div_fmas_f64 v[5:6], v[5:6], v[7:8], v[9:10]
	v_div_fixup_f64 v[3:4], v[5:6], v[3:4], 1.0
                                        ; implicit-def: $vgpr5_vgpr6
	s_delay_alu instid0(VALU_DEP_1) | instskip(SKIP_1) | instid1(VALU_DEP_2)
	v_mul_f64_e32 v[1:2], v[1:2], v[3:4]
	v_xor_b32_e32 v4, 0x80000000, v4
	v_xor_b32_e32 v10, 0x80000000, v2
	s_delay_alu instid0(VALU_DEP_3)
	v_mov_b32_e32 v9, v1
.LBB45_15:
	s_wait_alu 0xfffe
	s_and_not1_saveexec_b32 s1, s1
	s_cbranch_execz .LBB45_17
; %bb.16:
	v_div_scale_f64 v[1:2], null, v[5:6], v[5:6], v[7:8]
	v_div_scale_f64 v[11:12], vcc_lo, v[7:8], v[5:6], v[7:8]
	s_delay_alu instid0(VALU_DEP_2) | instskip(NEXT) | instid1(TRANS32_DEP_1)
	v_rcp_f64_e32 v[3:4], v[1:2]
	v_fma_f64 v[9:10], -v[1:2], v[3:4], 1.0
	s_delay_alu instid0(VALU_DEP_1) | instskip(NEXT) | instid1(VALU_DEP_1)
	v_fma_f64 v[3:4], v[3:4], v[9:10], v[3:4]
	v_fma_f64 v[9:10], -v[1:2], v[3:4], 1.0
	s_delay_alu instid0(VALU_DEP_1) | instskip(NEXT) | instid1(VALU_DEP_1)
	v_fma_f64 v[3:4], v[3:4], v[9:10], v[3:4]
	v_mul_f64_e32 v[9:10], v[11:12], v[3:4]
	s_delay_alu instid0(VALU_DEP_1) | instskip(SKIP_1) | instid1(VALU_DEP_1)
	v_fma_f64 v[1:2], -v[1:2], v[9:10], v[11:12]
	s_wait_alu 0xfffd
	v_div_fmas_f64 v[1:2], v[1:2], v[3:4], v[9:10]
	s_delay_alu instid0(VALU_DEP_1) | instskip(NEXT) | instid1(VALU_DEP_1)
	v_div_fixup_f64 v[3:4], v[1:2], v[5:6], v[7:8]
	v_fma_f64 v[1:2], v[7:8], v[3:4], v[5:6]
	s_delay_alu instid0(VALU_DEP_1) | instskip(NEXT) | instid1(VALU_DEP_1)
	v_div_scale_f64 v[5:6], null, v[1:2], v[1:2], 1.0
	v_rcp_f64_e32 v[7:8], v[5:6]
	s_delay_alu instid0(TRANS32_DEP_1) | instskip(NEXT) | instid1(VALU_DEP_1)
	v_fma_f64 v[9:10], -v[5:6], v[7:8], 1.0
	v_fma_f64 v[7:8], v[7:8], v[9:10], v[7:8]
	s_delay_alu instid0(VALU_DEP_1) | instskip(NEXT) | instid1(VALU_DEP_1)
	v_fma_f64 v[9:10], -v[5:6], v[7:8], 1.0
	v_fma_f64 v[7:8], v[7:8], v[9:10], v[7:8]
	v_div_scale_f64 v[9:10], vcc_lo, 1.0, v[1:2], 1.0
	s_delay_alu instid0(VALU_DEP_1) | instskip(NEXT) | instid1(VALU_DEP_1)
	v_mul_f64_e32 v[11:12], v[9:10], v[7:8]
	v_fma_f64 v[5:6], -v[5:6], v[11:12], v[9:10]
	s_wait_alu 0xfffd
	s_delay_alu instid0(VALU_DEP_1) | instskip(NEXT) | instid1(VALU_DEP_1)
	v_div_fmas_f64 v[5:6], v[5:6], v[7:8], v[11:12]
	v_div_fixup_f64 v[1:2], v[5:6], v[1:2], 1.0
	s_delay_alu instid0(VALU_DEP_1)
	v_mul_f64_e64 v[3:4], v[3:4], -v[1:2]
	v_xor_b32_e32 v10, 0x80000000, v2
	v_mov_b32_e32 v9, v1
.LBB45_17:
	s_wait_alu 0xfffe
	s_or_b32 exec_lo, exec_lo, s1
	scratch_store_b128 v14, v[1:4], off
	scratch_load_b128 v[15:18], off, s41
	v_xor_b32_e32 v12, 0x80000000, v4
	v_mov_b32_e32 v11, v3
	v_add_nc_u32_e32 v5, 0x2e0, v13
	ds_store_b128 v13, v[9:12]
	s_wait_loadcnt 0x0
	ds_store_b128 v13, v[15:18] offset:736
	s_wait_storecnt_dscnt 0x0
	s_barrier_signal -1
	s_barrier_wait -1
	global_inv scope:SCOPE_SE
	s_and_saveexec_b32 s1, s0
	s_cbranch_execz .LBB45_19
; %bb.18:
	scratch_load_b128 v[1:4], v14, off
	ds_load_b128 v[6:9], v5
	v_mov_b32_e32 v10, 0
	ds_load_b128 v[15:18], v10 offset:16
	s_wait_loadcnt_dscnt 0x1
	v_mul_f64_e32 v[10:11], v[6:7], v[3:4]
	v_mul_f64_e32 v[3:4], v[8:9], v[3:4]
	s_delay_alu instid0(VALU_DEP_2) | instskip(NEXT) | instid1(VALU_DEP_2)
	v_fma_f64 v[8:9], v[8:9], v[1:2], v[10:11]
	v_fma_f64 v[1:2], v[6:7], v[1:2], -v[3:4]
	s_delay_alu instid0(VALU_DEP_2) | instskip(NEXT) | instid1(VALU_DEP_2)
	v_add_f64_e32 v[3:4], 0, v[8:9]
	v_add_f64_e32 v[1:2], 0, v[1:2]
	s_wait_dscnt 0x0
	s_delay_alu instid0(VALU_DEP_2) | instskip(NEXT) | instid1(VALU_DEP_2)
	v_mul_f64_e32 v[6:7], v[3:4], v[17:18]
	v_mul_f64_e32 v[8:9], v[1:2], v[17:18]
	s_delay_alu instid0(VALU_DEP_2) | instskip(NEXT) | instid1(VALU_DEP_2)
	v_fma_f64 v[1:2], v[1:2], v[15:16], -v[6:7]
	v_fma_f64 v[3:4], v[3:4], v[15:16], v[8:9]
	scratch_store_b128 off, v[1:4], off offset:32
.LBB45_19:
	s_wait_alu 0xfffe
	s_or_b32 exec_lo, exec_lo, s1
	s_wait_loadcnt 0x0
	s_wait_storecnt 0x0
	s_barrier_signal -1
	s_barrier_wait -1
	global_inv scope:SCOPE_SE
	scratch_load_b128 v[1:4], off, s40
	s_mov_b32 s1, exec_lo
	s_wait_loadcnt 0x0
	ds_store_b128 v5, v[1:4]
	s_wait_dscnt 0x0
	s_barrier_signal -1
	s_barrier_wait -1
	global_inv scope:SCOPE_SE
	v_cmpx_gt_u32_e32 2, v0
	s_cbranch_execz .LBB45_23
; %bb.20:
	scratch_load_b128 v[1:4], v14, off
	ds_load_b128 v[6:9], v5
	s_wait_loadcnt_dscnt 0x0
	v_mul_f64_e32 v[10:11], v[8:9], v[3:4]
	v_mul_f64_e32 v[3:4], v[6:7], v[3:4]
	s_delay_alu instid0(VALU_DEP_2) | instskip(NEXT) | instid1(VALU_DEP_2)
	v_fma_f64 v[6:7], v[6:7], v[1:2], -v[10:11]
	v_fma_f64 v[3:4], v[8:9], v[1:2], v[3:4]
	s_delay_alu instid0(VALU_DEP_2) | instskip(NEXT) | instid1(VALU_DEP_2)
	v_add_f64_e32 v[1:2], 0, v[6:7]
	v_add_f64_e32 v[3:4], 0, v[3:4]
	s_and_saveexec_b32 s55, s0
	s_cbranch_execz .LBB45_22
; %bb.21:
	scratch_load_b128 v[6:9], off, off offset:32
	v_mov_b32_e32 v10, 0
	ds_load_b128 v[15:18], v10 offset:752
	s_wait_loadcnt_dscnt 0x0
	v_mul_f64_e32 v[10:11], v[15:16], v[8:9]
	v_mul_f64_e32 v[8:9], v[17:18], v[8:9]
	s_delay_alu instid0(VALU_DEP_2) | instskip(NEXT) | instid1(VALU_DEP_2)
	v_fma_f64 v[10:11], v[17:18], v[6:7], v[10:11]
	v_fma_f64 v[6:7], v[15:16], v[6:7], -v[8:9]
	s_delay_alu instid0(VALU_DEP_2) | instskip(NEXT) | instid1(VALU_DEP_2)
	v_add_f64_e32 v[3:4], v[3:4], v[10:11]
	v_add_f64_e32 v[1:2], v[1:2], v[6:7]
.LBB45_22:
	s_or_b32 exec_lo, exec_lo, s55
	v_mov_b32_e32 v6, 0
	ds_load_b128 v[6:9], v6 offset:32
	s_wait_dscnt 0x0
	v_mul_f64_e32 v[10:11], v[3:4], v[8:9]
	v_mul_f64_e32 v[8:9], v[1:2], v[8:9]
	s_delay_alu instid0(VALU_DEP_2) | instskip(NEXT) | instid1(VALU_DEP_2)
	v_fma_f64 v[1:2], v[1:2], v[6:7], -v[10:11]
	v_fma_f64 v[3:4], v[3:4], v[6:7], v[8:9]
	scratch_store_b128 off, v[1:4], off offset:48
.LBB45_23:
	s_wait_alu 0xfffe
	s_or_b32 exec_lo, exec_lo, s1
	s_wait_loadcnt 0x0
	s_wait_storecnt 0x0
	s_barrier_signal -1
	s_barrier_wait -1
	global_inv scope:SCOPE_SE
	scratch_load_b128 v[1:4], off, s39
	v_add_nc_u32_e32 v6, -1, v0
	s_mov_b32 s0, exec_lo
	s_wait_loadcnt 0x0
	ds_store_b128 v5, v[1:4]
	s_wait_dscnt 0x0
	s_barrier_signal -1
	s_barrier_wait -1
	global_inv scope:SCOPE_SE
	v_cmpx_gt_u32_e32 3, v0
	s_cbranch_execz .LBB45_27
; %bb.24:
	v_dual_mov_b32 v1, 0 :: v_dual_add_nc_u32 v8, 0x2e0, v13
	v_mov_b32_e32 v3, 0
	v_dual_mov_b32 v2, 0 :: v_dual_add_nc_u32 v7, -1, v0
	v_mov_b32_e32 v4, 0
	v_or_b32_e32 v9, 8, v14
	s_mov_b32 s1, 0
.LBB45_25:                              ; =>This Inner Loop Header: Depth=1
	scratch_load_b128 v[15:18], v9, off offset:-8
	ds_load_b128 v[19:22], v8
	v_add_nc_u32_e32 v7, 1, v7
	v_add_nc_u32_e32 v8, 16, v8
	v_add_nc_u32_e32 v9, 16, v9
	s_delay_alu instid0(VALU_DEP_3)
	v_cmp_lt_u32_e32 vcc_lo, 1, v7
	s_wait_alu 0xfffe
	s_or_b32 s1, vcc_lo, s1
	s_wait_loadcnt_dscnt 0x0
	v_mul_f64_e32 v[10:11], v[21:22], v[17:18]
	v_mul_f64_e32 v[17:18], v[19:20], v[17:18]
	s_delay_alu instid0(VALU_DEP_2) | instskip(NEXT) | instid1(VALU_DEP_2)
	v_fma_f64 v[10:11], v[19:20], v[15:16], -v[10:11]
	v_fma_f64 v[15:16], v[21:22], v[15:16], v[17:18]
	s_delay_alu instid0(VALU_DEP_2) | instskip(NEXT) | instid1(VALU_DEP_2)
	v_add_f64_e32 v[3:4], v[3:4], v[10:11]
	v_add_f64_e32 v[1:2], v[1:2], v[15:16]
	s_wait_alu 0xfffe
	s_and_not1_b32 exec_lo, exec_lo, s1
	s_cbranch_execnz .LBB45_25
; %bb.26:
	s_or_b32 exec_lo, exec_lo, s1
	v_mov_b32_e32 v7, 0
	ds_load_b128 v[7:10], v7 offset:48
	s_wait_dscnt 0x0
	v_mul_f64_e32 v[11:12], v[1:2], v[9:10]
	v_mul_f64_e32 v[15:16], v[3:4], v[9:10]
	s_delay_alu instid0(VALU_DEP_2) | instskip(NEXT) | instid1(VALU_DEP_2)
	v_fma_f64 v[9:10], v[3:4], v[7:8], -v[11:12]
	v_fma_f64 v[11:12], v[1:2], v[7:8], v[15:16]
	scratch_store_b128 off, v[9:12], off offset:64
.LBB45_27:
	s_wait_alu 0xfffe
	s_or_b32 exec_lo, exec_lo, s0
	s_wait_loadcnt 0x0
	s_wait_storecnt 0x0
	s_barrier_signal -1
	s_barrier_wait -1
	global_inv scope:SCOPE_SE
	scratch_load_b128 v[1:4], off, s38
	s_mov_b32 s0, exec_lo
	s_wait_loadcnt 0x0
	ds_store_b128 v5, v[1:4]
	s_wait_dscnt 0x0
	s_barrier_signal -1
	s_barrier_wait -1
	global_inv scope:SCOPE_SE
	v_cmpx_gt_u32_e32 4, v0
	s_cbranch_execz .LBB45_31
; %bb.28:
	v_dual_mov_b32 v1, 0 :: v_dual_add_nc_u32 v8, 0x2e0, v13
	v_mov_b32_e32 v3, 0
	v_dual_mov_b32 v2, 0 :: v_dual_add_nc_u32 v7, -1, v0
	v_mov_b32_e32 v4, 0
	v_or_b32_e32 v9, 8, v14
	s_mov_b32 s1, 0
.LBB45_29:                              ; =>This Inner Loop Header: Depth=1
	scratch_load_b128 v[15:18], v9, off offset:-8
	ds_load_b128 v[19:22], v8
	v_add_nc_u32_e32 v7, 1, v7
	v_add_nc_u32_e32 v8, 16, v8
	v_add_nc_u32_e32 v9, 16, v9
	s_delay_alu instid0(VALU_DEP_3)
	v_cmp_lt_u32_e32 vcc_lo, 2, v7
	s_wait_alu 0xfffe
	s_or_b32 s1, vcc_lo, s1
	s_wait_loadcnt_dscnt 0x0
	v_mul_f64_e32 v[10:11], v[21:22], v[17:18]
	v_mul_f64_e32 v[17:18], v[19:20], v[17:18]
	s_delay_alu instid0(VALU_DEP_2) | instskip(NEXT) | instid1(VALU_DEP_2)
	v_fma_f64 v[10:11], v[19:20], v[15:16], -v[10:11]
	v_fma_f64 v[15:16], v[21:22], v[15:16], v[17:18]
	s_delay_alu instid0(VALU_DEP_2) | instskip(NEXT) | instid1(VALU_DEP_2)
	v_add_f64_e32 v[3:4], v[3:4], v[10:11]
	v_add_f64_e32 v[1:2], v[1:2], v[15:16]
	s_wait_alu 0xfffe
	s_and_not1_b32 exec_lo, exec_lo, s1
	s_cbranch_execnz .LBB45_29
; %bb.30:
	s_or_b32 exec_lo, exec_lo, s1
	v_mov_b32_e32 v7, 0
	ds_load_b128 v[7:10], v7 offset:64
	s_wait_dscnt 0x0
	v_mul_f64_e32 v[11:12], v[1:2], v[9:10]
	v_mul_f64_e32 v[15:16], v[3:4], v[9:10]
	s_delay_alu instid0(VALU_DEP_2) | instskip(NEXT) | instid1(VALU_DEP_2)
	v_fma_f64 v[9:10], v[3:4], v[7:8], -v[11:12]
	v_fma_f64 v[11:12], v[1:2], v[7:8], v[15:16]
	scratch_store_b128 off, v[9:12], off offset:80
.LBB45_31:
	s_wait_alu 0xfffe
	s_or_b32 exec_lo, exec_lo, s0
	s_wait_loadcnt 0x0
	s_wait_storecnt 0x0
	s_barrier_signal -1
	s_barrier_wait -1
	global_inv scope:SCOPE_SE
	scratch_load_b128 v[1:4], off, s54
	;; [unrolled: 58-line block ×19, first 2 shown]
	s_mov_b32 s0, exec_lo
	s_wait_loadcnt 0x0
	ds_store_b128 v5, v[1:4]
	s_wait_dscnt 0x0
	s_barrier_signal -1
	s_barrier_wait -1
	global_inv scope:SCOPE_SE
	v_cmpx_gt_u32_e32 22, v0
	s_cbranch_execz .LBB45_103
; %bb.100:
	v_dual_mov_b32 v1, 0 :: v_dual_add_nc_u32 v8, 0x2e0, v13
	v_mov_b32_e32 v3, 0
	v_dual_mov_b32 v2, 0 :: v_dual_add_nc_u32 v7, -1, v0
	v_mov_b32_e32 v4, 0
	v_or_b32_e32 v9, 8, v14
	s_mov_b32 s1, 0
.LBB45_101:                             ; =>This Inner Loop Header: Depth=1
	scratch_load_b128 v[15:18], v9, off offset:-8
	ds_load_b128 v[19:22], v8
	v_add_nc_u32_e32 v7, 1, v7
	v_add_nc_u32_e32 v8, 16, v8
	v_add_nc_u32_e32 v9, 16, v9
	s_delay_alu instid0(VALU_DEP_3)
	v_cmp_lt_u32_e32 vcc_lo, 20, v7
	s_wait_alu 0xfffe
	s_or_b32 s1, vcc_lo, s1
	s_wait_loadcnt_dscnt 0x0
	v_mul_f64_e32 v[10:11], v[21:22], v[17:18]
	v_mul_f64_e32 v[17:18], v[19:20], v[17:18]
	s_delay_alu instid0(VALU_DEP_2) | instskip(NEXT) | instid1(VALU_DEP_2)
	v_fma_f64 v[10:11], v[19:20], v[15:16], -v[10:11]
	v_fma_f64 v[15:16], v[21:22], v[15:16], v[17:18]
	s_delay_alu instid0(VALU_DEP_2) | instskip(NEXT) | instid1(VALU_DEP_2)
	v_add_f64_e32 v[3:4], v[3:4], v[10:11]
	v_add_f64_e32 v[1:2], v[1:2], v[15:16]
	s_wait_alu 0xfffe
	s_and_not1_b32 exec_lo, exec_lo, s1
	s_cbranch_execnz .LBB45_101
; %bb.102:
	s_or_b32 exec_lo, exec_lo, s1
	v_mov_b32_e32 v7, 0
	ds_load_b128 v[7:10], v7 offset:352
	s_wait_dscnt 0x0
	v_mul_f64_e32 v[11:12], v[1:2], v[9:10]
	v_mul_f64_e32 v[15:16], v[3:4], v[9:10]
	s_delay_alu instid0(VALU_DEP_2) | instskip(NEXT) | instid1(VALU_DEP_2)
	v_fma_f64 v[9:10], v[3:4], v[7:8], -v[11:12]
	v_fma_f64 v[11:12], v[1:2], v[7:8], v[15:16]
	scratch_store_b128 off, v[9:12], off offset:368
.LBB45_103:
	s_wait_alu 0xfffe
	s_or_b32 exec_lo, exec_lo, s0
	s_wait_loadcnt 0x0
	s_wait_storecnt 0x0
	s_barrier_signal -1
	s_barrier_wait -1
	global_inv scope:SCOPE_SE
	scratch_load_b128 v[1:4], off, s23
	s_mov_b32 s0, exec_lo
	s_wait_loadcnt 0x0
	ds_store_b128 v5, v[1:4]
	s_wait_dscnt 0x0
	s_barrier_signal -1
	s_barrier_wait -1
	global_inv scope:SCOPE_SE
	v_cmpx_gt_u32_e32 23, v0
	s_cbranch_execz .LBB45_107
; %bb.104:
	v_dual_mov_b32 v1, 0 :: v_dual_add_nc_u32 v8, 0x2e0, v13
	v_mov_b32_e32 v3, 0
	v_dual_mov_b32 v2, 0 :: v_dual_add_nc_u32 v7, -1, v0
	v_mov_b32_e32 v4, 0
	v_or_b32_e32 v9, 8, v14
	s_mov_b32 s1, 0
.LBB45_105:                             ; =>This Inner Loop Header: Depth=1
	scratch_load_b128 v[15:18], v9, off offset:-8
	ds_load_b128 v[19:22], v8
	v_add_nc_u32_e32 v7, 1, v7
	v_add_nc_u32_e32 v8, 16, v8
	v_add_nc_u32_e32 v9, 16, v9
	s_delay_alu instid0(VALU_DEP_3)
	v_cmp_lt_u32_e32 vcc_lo, 21, v7
	s_wait_alu 0xfffe
	s_or_b32 s1, vcc_lo, s1
	s_wait_loadcnt_dscnt 0x0
	v_mul_f64_e32 v[10:11], v[21:22], v[17:18]
	v_mul_f64_e32 v[17:18], v[19:20], v[17:18]
	s_delay_alu instid0(VALU_DEP_2) | instskip(NEXT) | instid1(VALU_DEP_2)
	v_fma_f64 v[10:11], v[19:20], v[15:16], -v[10:11]
	v_fma_f64 v[15:16], v[21:22], v[15:16], v[17:18]
	s_delay_alu instid0(VALU_DEP_2) | instskip(NEXT) | instid1(VALU_DEP_2)
	v_add_f64_e32 v[3:4], v[3:4], v[10:11]
	v_add_f64_e32 v[1:2], v[1:2], v[15:16]
	s_wait_alu 0xfffe
	s_and_not1_b32 exec_lo, exec_lo, s1
	s_cbranch_execnz .LBB45_105
; %bb.106:
	s_or_b32 exec_lo, exec_lo, s1
	v_mov_b32_e32 v7, 0
	ds_load_b128 v[7:10], v7 offset:368
	s_wait_dscnt 0x0
	v_mul_f64_e32 v[11:12], v[1:2], v[9:10]
	v_mul_f64_e32 v[15:16], v[3:4], v[9:10]
	s_delay_alu instid0(VALU_DEP_2) | instskip(NEXT) | instid1(VALU_DEP_2)
	v_fma_f64 v[9:10], v[3:4], v[7:8], -v[11:12]
	v_fma_f64 v[11:12], v[1:2], v[7:8], v[15:16]
	scratch_store_b128 off, v[9:12], off offset:384
.LBB45_107:
	s_wait_alu 0xfffe
	s_or_b32 exec_lo, exec_lo, s0
	s_wait_loadcnt 0x0
	s_wait_storecnt 0x0
	s_barrier_signal -1
	s_barrier_wait -1
	global_inv scope:SCOPE_SE
	scratch_load_b128 v[1:4], off, s24
	;; [unrolled: 58-line block ×23, first 2 shown]
	s_mov_b32 s0, exec_lo
	s_wait_loadcnt 0x0
	ds_store_b128 v5, v[1:4]
	s_wait_dscnt 0x0
	s_barrier_signal -1
	s_barrier_wait -1
	global_inv scope:SCOPE_SE
	v_cmpx_ne_u32_e32 45, v0
	s_cbranch_execz .LBB45_195
; %bb.192:
	v_mov_b32_e32 v1, 0
	v_dual_mov_b32 v2, 0 :: v_dual_mov_b32 v3, 0
	v_mov_b32_e32 v4, 0
	v_or_b32_e32 v7, 8, v14
	s_mov_b32 s1, 0
.LBB45_193:                             ; =>This Inner Loop Header: Depth=1
	scratch_load_b128 v[8:11], v7, off offset:-8
	ds_load_b128 v[12:15], v5
	v_add_nc_u32_e32 v6, 1, v6
	v_add_nc_u32_e32 v5, 16, v5
	;; [unrolled: 1-line block ×3, first 2 shown]
	s_delay_alu instid0(VALU_DEP_3)
	v_cmp_lt_u32_e32 vcc_lo, 43, v6
	s_wait_alu 0xfffe
	s_or_b32 s1, vcc_lo, s1
	s_wait_loadcnt_dscnt 0x0
	v_mul_f64_e32 v[16:17], v[14:15], v[10:11]
	v_mul_f64_e32 v[10:11], v[12:13], v[10:11]
	s_delay_alu instid0(VALU_DEP_2) | instskip(NEXT) | instid1(VALU_DEP_2)
	v_fma_f64 v[12:13], v[12:13], v[8:9], -v[16:17]
	v_fma_f64 v[8:9], v[14:15], v[8:9], v[10:11]
	s_delay_alu instid0(VALU_DEP_2) | instskip(NEXT) | instid1(VALU_DEP_2)
	v_add_f64_e32 v[3:4], v[3:4], v[12:13]
	v_add_f64_e32 v[1:2], v[1:2], v[8:9]
	s_wait_alu 0xfffe
	s_and_not1_b32 exec_lo, exec_lo, s1
	s_cbranch_execnz .LBB45_193
; %bb.194:
	s_or_b32 exec_lo, exec_lo, s1
	v_mov_b32_e32 v5, 0
	ds_load_b128 v[5:8], v5 offset:720
	s_wait_dscnt 0x0
	v_mul_f64_e32 v[9:10], v[1:2], v[7:8]
	v_mul_f64_e32 v[7:8], v[3:4], v[7:8]
	s_delay_alu instid0(VALU_DEP_2) | instskip(NEXT) | instid1(VALU_DEP_2)
	v_fma_f64 v[3:4], v[3:4], v[5:6], -v[9:10]
	v_fma_f64 v[5:6], v[1:2], v[5:6], v[7:8]
	scratch_store_b128 off, v[3:6], off offset:736
.LBB45_195:
	s_wait_alu 0xfffe
	s_or_b32 exec_lo, exec_lo, s0
	s_mov_b32 s1, -1
	s_wait_loadcnt 0x0
	s_wait_storecnt 0x0
	s_barrier_signal -1
	s_barrier_wait -1
	global_inv scope:SCOPE_SE
.LBB45_196:
	s_wait_alu 0xfffe
	s_and_b32 vcc_lo, exec_lo, s1
	s_wait_alu 0xfffe
	s_cbranch_vccz .LBB45_198
; %bb.197:
	v_mov_b32_e32 v1, 0
	s_lshl_b64 s[0:1], s[16:17], 2
	s_wait_alu 0xfffe
	s_add_nc_u64 s[0:1], s[6:7], s[0:1]
	global_load_b32 v1, v1, s[0:1]
	s_wait_loadcnt 0x0
	v_cmp_ne_u32_e32 vcc_lo, 0, v1
	s_cbranch_vccz .LBB45_199
.LBB45_198:
	s_nop 0
	s_sendmsg sendmsg(MSG_DEALLOC_VGPRS)
	s_endpgm
.LBB45_199:
	v_lshl_add_u32 v138, v0, 4, 0x2e0
	s_mov_b32 s0, exec_lo
	v_cmpx_eq_u32_e32 45, v0
	s_cbranch_execz .LBB45_201
; %bb.200:
	scratch_load_b128 v[1:4], off, s28
	v_mov_b32_e32 v5, 0
	s_delay_alu instid0(VALU_DEP_1)
	v_dual_mov_b32 v6, v5 :: v_dual_mov_b32 v7, v5
	v_mov_b32_e32 v8, v5
	scratch_store_b128 off, v[5:8], off offset:720
	s_wait_loadcnt 0x0
	ds_store_b128 v138, v[1:4]
.LBB45_201:
	s_wait_alu 0xfffe
	s_or_b32 exec_lo, exec_lo, s0
	s_wait_storecnt_dscnt 0x0
	s_barrier_signal -1
	s_barrier_wait -1
	global_inv scope:SCOPE_SE
	s_clause 0x1
	scratch_load_b128 v[2:5], off, off offset:736
	scratch_load_b128 v[6:9], off, off offset:720
	v_mov_b32_e32 v1, 0
	s_mov_b32 s0, exec_lo
	ds_load_b128 v[10:13], v1 offset:1456
	s_wait_loadcnt_dscnt 0x100
	v_mul_f64_e32 v[14:15], v[12:13], v[4:5]
	v_mul_f64_e32 v[4:5], v[10:11], v[4:5]
	s_delay_alu instid0(VALU_DEP_2) | instskip(NEXT) | instid1(VALU_DEP_2)
	v_fma_f64 v[10:11], v[10:11], v[2:3], -v[14:15]
	v_fma_f64 v[2:3], v[12:13], v[2:3], v[4:5]
	s_delay_alu instid0(VALU_DEP_2) | instskip(NEXT) | instid1(VALU_DEP_2)
	v_add_f64_e32 v[4:5], 0, v[10:11]
	v_add_f64_e32 v[10:11], 0, v[2:3]
	s_wait_loadcnt 0x0
	s_delay_alu instid0(VALU_DEP_2) | instskip(NEXT) | instid1(VALU_DEP_2)
	v_add_f64_e64 v[2:3], v[6:7], -v[4:5]
	v_add_f64_e64 v[4:5], v[8:9], -v[10:11]
	scratch_store_b128 off, v[2:5], off offset:720
	v_cmpx_lt_u32_e32 43, v0
	s_cbranch_execz .LBB45_203
; %bb.202:
	scratch_load_b128 v[5:8], off, s27
	v_dual_mov_b32 v2, v1 :: v_dual_mov_b32 v3, v1
	v_mov_b32_e32 v4, v1
	scratch_store_b128 off, v[1:4], off offset:704
	s_wait_loadcnt 0x0
	ds_store_b128 v138, v[5:8]
.LBB45_203:
	s_wait_alu 0xfffe
	s_or_b32 exec_lo, exec_lo, s0
	s_wait_storecnt_dscnt 0x0
	s_barrier_signal -1
	s_barrier_wait -1
	global_inv scope:SCOPE_SE
	s_clause 0x2
	scratch_load_b128 v[2:5], off, off offset:720
	scratch_load_b128 v[6:9], off, off offset:736
	;; [unrolled: 1-line block ×3, first 2 shown]
	ds_load_b128 v[14:17], v1 offset:1440
	ds_load_b128 v[18:21], v1 offset:1456
	s_mov_b32 s0, exec_lo
	s_wait_loadcnt_dscnt 0x201
	v_mul_f64_e32 v[22:23], v[16:17], v[4:5]
	v_mul_f64_e32 v[4:5], v[14:15], v[4:5]
	s_wait_loadcnt_dscnt 0x100
	v_mul_f64_e32 v[24:25], v[18:19], v[8:9]
	v_mul_f64_e32 v[8:9], v[20:21], v[8:9]
	s_delay_alu instid0(VALU_DEP_4) | instskip(NEXT) | instid1(VALU_DEP_4)
	v_fma_f64 v[14:15], v[14:15], v[2:3], -v[22:23]
	v_fma_f64 v[1:2], v[16:17], v[2:3], v[4:5]
	s_delay_alu instid0(VALU_DEP_4) | instskip(NEXT) | instid1(VALU_DEP_4)
	v_fma_f64 v[3:4], v[20:21], v[6:7], v[24:25]
	v_fma_f64 v[5:6], v[18:19], v[6:7], -v[8:9]
	s_delay_alu instid0(VALU_DEP_4) | instskip(NEXT) | instid1(VALU_DEP_4)
	v_add_f64_e32 v[7:8], 0, v[14:15]
	v_add_f64_e32 v[1:2], 0, v[1:2]
	s_delay_alu instid0(VALU_DEP_2) | instskip(NEXT) | instid1(VALU_DEP_2)
	v_add_f64_e32 v[5:6], v[7:8], v[5:6]
	v_add_f64_e32 v[3:4], v[1:2], v[3:4]
	s_wait_loadcnt 0x0
	s_delay_alu instid0(VALU_DEP_2) | instskip(NEXT) | instid1(VALU_DEP_2)
	v_add_f64_e64 v[1:2], v[10:11], -v[5:6]
	v_add_f64_e64 v[3:4], v[12:13], -v[3:4]
	scratch_store_b128 off, v[1:4], off offset:704
	v_cmpx_lt_u32_e32 42, v0
	s_cbranch_execz .LBB45_205
; %bb.204:
	scratch_load_b128 v[1:4], off, s33
	v_mov_b32_e32 v5, 0
	s_delay_alu instid0(VALU_DEP_1)
	v_dual_mov_b32 v6, v5 :: v_dual_mov_b32 v7, v5
	v_mov_b32_e32 v8, v5
	scratch_store_b128 off, v[5:8], off offset:688
	s_wait_loadcnt 0x0
	ds_store_b128 v138, v[1:4]
.LBB45_205:
	s_wait_alu 0xfffe
	s_or_b32 exec_lo, exec_lo, s0
	s_wait_storecnt_dscnt 0x0
	s_barrier_signal -1
	s_barrier_wait -1
	global_inv scope:SCOPE_SE
	s_clause 0x3
	scratch_load_b128 v[2:5], off, off offset:704
	scratch_load_b128 v[6:9], off, off offset:720
	scratch_load_b128 v[10:13], off, off offset:736
	scratch_load_b128 v[14:17], off, off offset:688
	v_mov_b32_e32 v1, 0
	ds_load_b128 v[18:21], v1 offset:1424
	ds_load_b128 v[22:25], v1 offset:1440
	s_mov_b32 s0, exec_lo
	s_wait_loadcnt_dscnt 0x301
	v_mul_f64_e32 v[26:27], v[20:21], v[4:5]
	v_mul_f64_e32 v[4:5], v[18:19], v[4:5]
	s_wait_loadcnt_dscnt 0x200
	v_mul_f64_e32 v[28:29], v[22:23], v[8:9]
	v_mul_f64_e32 v[8:9], v[24:25], v[8:9]
	s_delay_alu instid0(VALU_DEP_4) | instskip(NEXT) | instid1(VALU_DEP_4)
	v_fma_f64 v[18:19], v[18:19], v[2:3], -v[26:27]
	v_fma_f64 v[20:21], v[20:21], v[2:3], v[4:5]
	ds_load_b128 v[2:5], v1 offset:1456
	v_fma_f64 v[24:25], v[24:25], v[6:7], v[28:29]
	v_fma_f64 v[6:7], v[22:23], v[6:7], -v[8:9]
	s_wait_loadcnt_dscnt 0x100
	v_mul_f64_e32 v[26:27], v[2:3], v[12:13]
	v_mul_f64_e32 v[12:13], v[4:5], v[12:13]
	v_add_f64_e32 v[8:9], 0, v[18:19]
	v_add_f64_e32 v[18:19], 0, v[20:21]
	s_delay_alu instid0(VALU_DEP_4) | instskip(NEXT) | instid1(VALU_DEP_4)
	v_fma_f64 v[4:5], v[4:5], v[10:11], v[26:27]
	v_fma_f64 v[2:3], v[2:3], v[10:11], -v[12:13]
	s_delay_alu instid0(VALU_DEP_4) | instskip(NEXT) | instid1(VALU_DEP_4)
	v_add_f64_e32 v[6:7], v[8:9], v[6:7]
	v_add_f64_e32 v[8:9], v[18:19], v[24:25]
	s_delay_alu instid0(VALU_DEP_2) | instskip(NEXT) | instid1(VALU_DEP_2)
	v_add_f64_e32 v[2:3], v[6:7], v[2:3]
	v_add_f64_e32 v[4:5], v[8:9], v[4:5]
	s_wait_loadcnt 0x0
	s_delay_alu instid0(VALU_DEP_2) | instskip(NEXT) | instid1(VALU_DEP_2)
	v_add_f64_e64 v[2:3], v[14:15], -v[2:3]
	v_add_f64_e64 v[4:5], v[16:17], -v[4:5]
	scratch_store_b128 off, v[2:5], off offset:688
	v_cmpx_lt_u32_e32 41, v0
	s_cbranch_execz .LBB45_207
; %bb.206:
	scratch_load_b128 v[5:8], off, s31
	v_dual_mov_b32 v2, v1 :: v_dual_mov_b32 v3, v1
	v_mov_b32_e32 v4, v1
	scratch_store_b128 off, v[1:4], off offset:672
	s_wait_loadcnt 0x0
	ds_store_b128 v138, v[5:8]
.LBB45_207:
	s_wait_alu 0xfffe
	s_or_b32 exec_lo, exec_lo, s0
	s_wait_storecnt_dscnt 0x0
	s_barrier_signal -1
	s_barrier_wait -1
	global_inv scope:SCOPE_SE
	s_clause 0x4
	scratch_load_b128 v[2:5], off, off offset:688
	scratch_load_b128 v[6:9], off, off offset:704
	;; [unrolled: 1-line block ×5, first 2 shown]
	ds_load_b128 v[22:25], v1 offset:1408
	ds_load_b128 v[26:29], v1 offset:1424
	s_mov_b32 s0, exec_lo
	s_wait_loadcnt_dscnt 0x401
	v_mul_f64_e32 v[30:31], v[24:25], v[4:5]
	v_mul_f64_e32 v[4:5], v[22:23], v[4:5]
	s_wait_loadcnt_dscnt 0x300
	v_mul_f64_e32 v[32:33], v[26:27], v[8:9]
	v_mul_f64_e32 v[8:9], v[28:29], v[8:9]
	s_delay_alu instid0(VALU_DEP_4) | instskip(NEXT) | instid1(VALU_DEP_4)
	v_fma_f64 v[30:31], v[22:23], v[2:3], -v[30:31]
	v_fma_f64 v[34:35], v[24:25], v[2:3], v[4:5]
	ds_load_b128 v[2:5], v1 offset:1440
	ds_load_b128 v[22:25], v1 offset:1456
	v_fma_f64 v[28:29], v[28:29], v[6:7], v[32:33]
	v_fma_f64 v[6:7], v[26:27], v[6:7], -v[8:9]
	s_wait_loadcnt_dscnt 0x201
	v_mul_f64_e32 v[36:37], v[2:3], v[12:13]
	v_mul_f64_e32 v[12:13], v[4:5], v[12:13]
	v_add_f64_e32 v[8:9], 0, v[30:31]
	v_add_f64_e32 v[26:27], 0, v[34:35]
	s_wait_loadcnt_dscnt 0x100
	v_mul_f64_e32 v[30:31], v[22:23], v[16:17]
	v_mul_f64_e32 v[16:17], v[24:25], v[16:17]
	v_fma_f64 v[4:5], v[4:5], v[10:11], v[36:37]
	v_fma_f64 v[1:2], v[2:3], v[10:11], -v[12:13]
	v_add_f64_e32 v[6:7], v[8:9], v[6:7]
	v_add_f64_e32 v[8:9], v[26:27], v[28:29]
	v_fma_f64 v[10:11], v[24:25], v[14:15], v[30:31]
	v_fma_f64 v[12:13], v[22:23], v[14:15], -v[16:17]
	s_delay_alu instid0(VALU_DEP_4) | instskip(NEXT) | instid1(VALU_DEP_4)
	v_add_f64_e32 v[1:2], v[6:7], v[1:2]
	v_add_f64_e32 v[3:4], v[8:9], v[4:5]
	s_delay_alu instid0(VALU_DEP_2) | instskip(NEXT) | instid1(VALU_DEP_2)
	v_add_f64_e32 v[1:2], v[1:2], v[12:13]
	v_add_f64_e32 v[3:4], v[3:4], v[10:11]
	s_wait_loadcnt 0x0
	s_delay_alu instid0(VALU_DEP_2) | instskip(NEXT) | instid1(VALU_DEP_2)
	v_add_f64_e64 v[1:2], v[18:19], -v[1:2]
	v_add_f64_e64 v[3:4], v[20:21], -v[3:4]
	scratch_store_b128 off, v[1:4], off offset:672
	v_cmpx_lt_u32_e32 40, v0
	s_cbranch_execz .LBB45_209
; %bb.208:
	scratch_load_b128 v[1:4], off, s37
	v_mov_b32_e32 v5, 0
	s_delay_alu instid0(VALU_DEP_1)
	v_dual_mov_b32 v6, v5 :: v_dual_mov_b32 v7, v5
	v_mov_b32_e32 v8, v5
	scratch_store_b128 off, v[5:8], off offset:656
	s_wait_loadcnt 0x0
	ds_store_b128 v138, v[1:4]
.LBB45_209:
	s_wait_alu 0xfffe
	s_or_b32 exec_lo, exec_lo, s0
	s_wait_storecnt_dscnt 0x0
	s_barrier_signal -1
	s_barrier_wait -1
	global_inv scope:SCOPE_SE
	s_clause 0x5
	scratch_load_b128 v[2:5], off, off offset:672
	scratch_load_b128 v[6:9], off, off offset:688
	scratch_load_b128 v[10:13], off, off offset:704
	scratch_load_b128 v[14:17], off, off offset:720
	scratch_load_b128 v[18:21], off, off offset:736
	scratch_load_b128 v[22:25], off, off offset:656
	v_mov_b32_e32 v1, 0
	ds_load_b128 v[26:29], v1 offset:1392
	ds_load_b128 v[30:33], v1 offset:1408
	s_mov_b32 s0, exec_lo
	s_wait_loadcnt_dscnt 0x501
	v_mul_f64_e32 v[34:35], v[28:29], v[4:5]
	v_mul_f64_e32 v[4:5], v[26:27], v[4:5]
	s_wait_loadcnt_dscnt 0x400
	v_mul_f64_e32 v[36:37], v[30:31], v[8:9]
	v_mul_f64_e32 v[8:9], v[32:33], v[8:9]
	s_delay_alu instid0(VALU_DEP_4) | instskip(NEXT) | instid1(VALU_DEP_4)
	v_fma_f64 v[34:35], v[26:27], v[2:3], -v[34:35]
	v_fma_f64 v[38:39], v[28:29], v[2:3], v[4:5]
	ds_load_b128 v[2:5], v1 offset:1424
	ds_load_b128 v[26:29], v1 offset:1440
	v_fma_f64 v[32:33], v[32:33], v[6:7], v[36:37]
	v_fma_f64 v[6:7], v[30:31], v[6:7], -v[8:9]
	s_wait_loadcnt_dscnt 0x301
	v_mul_f64_e32 v[40:41], v[2:3], v[12:13]
	v_mul_f64_e32 v[12:13], v[4:5], v[12:13]
	v_add_f64_e32 v[8:9], 0, v[34:35]
	v_add_f64_e32 v[30:31], 0, v[38:39]
	s_wait_loadcnt_dscnt 0x200
	v_mul_f64_e32 v[34:35], v[26:27], v[16:17]
	v_mul_f64_e32 v[16:17], v[28:29], v[16:17]
	v_fma_f64 v[36:37], v[4:5], v[10:11], v[40:41]
	v_fma_f64 v[10:11], v[2:3], v[10:11], -v[12:13]
	ds_load_b128 v[2:5], v1 offset:1456
	v_add_f64_e32 v[6:7], v[8:9], v[6:7]
	v_add_f64_e32 v[8:9], v[30:31], v[32:33]
	v_fma_f64 v[28:29], v[28:29], v[14:15], v[34:35]
	v_fma_f64 v[14:15], v[26:27], v[14:15], -v[16:17]
	s_wait_loadcnt_dscnt 0x100
	v_mul_f64_e32 v[12:13], v[2:3], v[20:21]
	v_mul_f64_e32 v[20:21], v[4:5], v[20:21]
	v_add_f64_e32 v[6:7], v[6:7], v[10:11]
	v_add_f64_e32 v[8:9], v[8:9], v[36:37]
	s_delay_alu instid0(VALU_DEP_4) | instskip(NEXT) | instid1(VALU_DEP_4)
	v_fma_f64 v[4:5], v[4:5], v[18:19], v[12:13]
	v_fma_f64 v[2:3], v[2:3], v[18:19], -v[20:21]
	s_delay_alu instid0(VALU_DEP_4) | instskip(NEXT) | instid1(VALU_DEP_4)
	v_add_f64_e32 v[6:7], v[6:7], v[14:15]
	v_add_f64_e32 v[8:9], v[8:9], v[28:29]
	s_delay_alu instid0(VALU_DEP_2) | instskip(NEXT) | instid1(VALU_DEP_2)
	v_add_f64_e32 v[2:3], v[6:7], v[2:3]
	v_add_f64_e32 v[4:5], v[8:9], v[4:5]
	s_wait_loadcnt 0x0
	s_delay_alu instid0(VALU_DEP_2) | instskip(NEXT) | instid1(VALU_DEP_2)
	v_add_f64_e64 v[2:3], v[22:23], -v[2:3]
	v_add_f64_e64 v[4:5], v[24:25], -v[4:5]
	scratch_store_b128 off, v[2:5], off offset:656
	v_cmpx_lt_u32_e32 39, v0
	s_cbranch_execz .LBB45_211
; %bb.210:
	scratch_load_b128 v[5:8], off, s36
	v_dual_mov_b32 v2, v1 :: v_dual_mov_b32 v3, v1
	v_mov_b32_e32 v4, v1
	scratch_store_b128 off, v[1:4], off offset:640
	s_wait_loadcnt 0x0
	ds_store_b128 v138, v[5:8]
.LBB45_211:
	s_wait_alu 0xfffe
	s_or_b32 exec_lo, exec_lo, s0
	s_wait_storecnt_dscnt 0x0
	s_barrier_signal -1
	s_barrier_wait -1
	global_inv scope:SCOPE_SE
	s_clause 0x5
	scratch_load_b128 v[2:5], off, off offset:656
	scratch_load_b128 v[6:9], off, off offset:672
	;; [unrolled: 1-line block ×6, first 2 shown]
	ds_load_b128 v[26:29], v1 offset:1376
	ds_load_b128 v[34:37], v1 offset:1392
	scratch_load_b128 v[30:33], off, off offset:640
	s_mov_b32 s0, exec_lo
	s_wait_loadcnt_dscnt 0x601
	v_mul_f64_e32 v[38:39], v[28:29], v[4:5]
	v_mul_f64_e32 v[4:5], v[26:27], v[4:5]
	s_wait_loadcnt_dscnt 0x500
	v_mul_f64_e32 v[40:41], v[34:35], v[8:9]
	v_mul_f64_e32 v[8:9], v[36:37], v[8:9]
	s_delay_alu instid0(VALU_DEP_4) | instskip(NEXT) | instid1(VALU_DEP_4)
	v_fma_f64 v[38:39], v[26:27], v[2:3], -v[38:39]
	v_fma_f64 v[42:43], v[28:29], v[2:3], v[4:5]
	ds_load_b128 v[2:5], v1 offset:1408
	ds_load_b128 v[26:29], v1 offset:1424
	v_fma_f64 v[36:37], v[36:37], v[6:7], v[40:41]
	v_fma_f64 v[6:7], v[34:35], v[6:7], -v[8:9]
	s_wait_loadcnt_dscnt 0x401
	v_mul_f64_e32 v[44:45], v[2:3], v[12:13]
	v_mul_f64_e32 v[12:13], v[4:5], v[12:13]
	v_add_f64_e32 v[8:9], 0, v[38:39]
	v_add_f64_e32 v[34:35], 0, v[42:43]
	s_wait_loadcnt_dscnt 0x300
	v_mul_f64_e32 v[38:39], v[26:27], v[16:17]
	v_mul_f64_e32 v[16:17], v[28:29], v[16:17]
	v_fma_f64 v[40:41], v[4:5], v[10:11], v[44:45]
	v_fma_f64 v[10:11], v[2:3], v[10:11], -v[12:13]
	v_add_f64_e32 v[12:13], v[8:9], v[6:7]
	v_add_f64_e32 v[34:35], v[34:35], v[36:37]
	ds_load_b128 v[2:5], v1 offset:1440
	ds_load_b128 v[6:9], v1 offset:1456
	v_fma_f64 v[28:29], v[28:29], v[14:15], v[38:39]
	v_fma_f64 v[14:15], v[26:27], v[14:15], -v[16:17]
	s_wait_loadcnt_dscnt 0x201
	v_mul_f64_e32 v[36:37], v[2:3], v[20:21]
	v_mul_f64_e32 v[20:21], v[4:5], v[20:21]
	s_wait_loadcnt_dscnt 0x100
	v_mul_f64_e32 v[16:17], v[6:7], v[24:25]
	v_mul_f64_e32 v[24:25], v[8:9], v[24:25]
	v_add_f64_e32 v[10:11], v[12:13], v[10:11]
	v_add_f64_e32 v[12:13], v[34:35], v[40:41]
	v_fma_f64 v[4:5], v[4:5], v[18:19], v[36:37]
	v_fma_f64 v[1:2], v[2:3], v[18:19], -v[20:21]
	v_fma_f64 v[8:9], v[8:9], v[22:23], v[16:17]
	v_fma_f64 v[6:7], v[6:7], v[22:23], -v[24:25]
	v_add_f64_e32 v[10:11], v[10:11], v[14:15]
	v_add_f64_e32 v[12:13], v[12:13], v[28:29]
	s_delay_alu instid0(VALU_DEP_2) | instskip(NEXT) | instid1(VALU_DEP_2)
	v_add_f64_e32 v[1:2], v[10:11], v[1:2]
	v_add_f64_e32 v[3:4], v[12:13], v[4:5]
	s_delay_alu instid0(VALU_DEP_2) | instskip(NEXT) | instid1(VALU_DEP_2)
	v_add_f64_e32 v[1:2], v[1:2], v[6:7]
	v_add_f64_e32 v[3:4], v[3:4], v[8:9]
	s_wait_loadcnt 0x0
	s_delay_alu instid0(VALU_DEP_2) | instskip(NEXT) | instid1(VALU_DEP_2)
	v_add_f64_e64 v[1:2], v[30:31], -v[1:2]
	v_add_f64_e64 v[3:4], v[32:33], -v[3:4]
	scratch_store_b128 off, v[1:4], off offset:640
	v_cmpx_lt_u32_e32 38, v0
	s_cbranch_execz .LBB45_213
; %bb.212:
	scratch_load_b128 v[1:4], off, s5
	v_mov_b32_e32 v5, 0
	s_delay_alu instid0(VALU_DEP_1)
	v_dual_mov_b32 v6, v5 :: v_dual_mov_b32 v7, v5
	v_mov_b32_e32 v8, v5
	scratch_store_b128 off, v[5:8], off offset:624
	s_wait_loadcnt 0x0
	ds_store_b128 v138, v[1:4]
.LBB45_213:
	s_wait_alu 0xfffe
	s_or_b32 exec_lo, exec_lo, s0
	s_wait_storecnt_dscnt 0x0
	s_barrier_signal -1
	s_barrier_wait -1
	global_inv scope:SCOPE_SE
	s_clause 0x6
	scratch_load_b128 v[2:5], off, off offset:640
	scratch_load_b128 v[6:9], off, off offset:656
	;; [unrolled: 1-line block ×7, first 2 shown]
	v_mov_b32_e32 v1, 0
	scratch_load_b128 v[38:41], off, off offset:624
	s_mov_b32 s0, exec_lo
	ds_load_b128 v[30:33], v1 offset:1360
	ds_load_b128 v[34:37], v1 offset:1376
	s_wait_loadcnt_dscnt 0x701
	v_mul_f64_e32 v[42:43], v[32:33], v[4:5]
	v_mul_f64_e32 v[4:5], v[30:31], v[4:5]
	s_wait_loadcnt_dscnt 0x600
	v_mul_f64_e32 v[44:45], v[34:35], v[8:9]
	v_mul_f64_e32 v[8:9], v[36:37], v[8:9]
	s_delay_alu instid0(VALU_DEP_4) | instskip(NEXT) | instid1(VALU_DEP_4)
	v_fma_f64 v[30:31], v[30:31], v[2:3], -v[42:43]
	v_fma_f64 v[32:33], v[32:33], v[2:3], v[4:5]
	ds_load_b128 v[2:5], v1 offset:1392
	v_fma_f64 v[36:37], v[36:37], v[6:7], v[44:45]
	v_fma_f64 v[34:35], v[34:35], v[6:7], -v[8:9]
	ds_load_b128 v[6:9], v1 offset:1408
	s_wait_loadcnt_dscnt 0x501
	v_mul_f64_e32 v[42:43], v[2:3], v[12:13]
	v_mul_f64_e32 v[12:13], v[4:5], v[12:13]
	s_wait_loadcnt_dscnt 0x400
	v_mul_f64_e32 v[44:45], v[6:7], v[16:17]
	v_mul_f64_e32 v[16:17], v[8:9], v[16:17]
	v_add_f64_e32 v[30:31], 0, v[30:31]
	v_add_f64_e32 v[32:33], 0, v[32:33]
	v_fma_f64 v[42:43], v[4:5], v[10:11], v[42:43]
	v_fma_f64 v[10:11], v[2:3], v[10:11], -v[12:13]
	ds_load_b128 v[2:5], v1 offset:1424
	v_add_f64_e32 v[12:13], v[30:31], v[34:35]
	v_add_f64_e32 v[30:31], v[32:33], v[36:37]
	v_fma_f64 v[34:35], v[8:9], v[14:15], v[44:45]
	v_fma_f64 v[14:15], v[6:7], v[14:15], -v[16:17]
	ds_load_b128 v[6:9], v1 offset:1440
	s_wait_loadcnt_dscnt 0x301
	v_mul_f64_e32 v[32:33], v[2:3], v[20:21]
	v_mul_f64_e32 v[20:21], v[4:5], v[20:21]
	s_wait_loadcnt_dscnt 0x200
	v_mul_f64_e32 v[16:17], v[6:7], v[24:25]
	v_mul_f64_e32 v[24:25], v[8:9], v[24:25]
	v_add_f64_e32 v[10:11], v[12:13], v[10:11]
	v_add_f64_e32 v[12:13], v[30:31], v[42:43]
	v_fma_f64 v[30:31], v[4:5], v[18:19], v[32:33]
	v_fma_f64 v[18:19], v[2:3], v[18:19], -v[20:21]
	ds_load_b128 v[2:5], v1 offset:1456
	v_fma_f64 v[8:9], v[8:9], v[22:23], v[16:17]
	v_fma_f64 v[6:7], v[6:7], v[22:23], -v[24:25]
	s_wait_loadcnt_dscnt 0x100
	v_mul_f64_e32 v[20:21], v[4:5], v[28:29]
	v_add_f64_e32 v[10:11], v[10:11], v[14:15]
	v_add_f64_e32 v[12:13], v[12:13], v[34:35]
	v_mul_f64_e32 v[14:15], v[2:3], v[28:29]
	s_delay_alu instid0(VALU_DEP_4) | instskip(NEXT) | instid1(VALU_DEP_4)
	v_fma_f64 v[2:3], v[2:3], v[26:27], -v[20:21]
	v_add_f64_e32 v[10:11], v[10:11], v[18:19]
	s_delay_alu instid0(VALU_DEP_4) | instskip(NEXT) | instid1(VALU_DEP_4)
	v_add_f64_e32 v[12:13], v[12:13], v[30:31]
	v_fma_f64 v[4:5], v[4:5], v[26:27], v[14:15]
	s_delay_alu instid0(VALU_DEP_3) | instskip(NEXT) | instid1(VALU_DEP_3)
	v_add_f64_e32 v[6:7], v[10:11], v[6:7]
	v_add_f64_e32 v[8:9], v[12:13], v[8:9]
	s_delay_alu instid0(VALU_DEP_2) | instskip(NEXT) | instid1(VALU_DEP_2)
	v_add_f64_e32 v[2:3], v[6:7], v[2:3]
	v_add_f64_e32 v[4:5], v[8:9], v[4:5]
	s_wait_loadcnt 0x0
	s_delay_alu instid0(VALU_DEP_2) | instskip(NEXT) | instid1(VALU_DEP_2)
	v_add_f64_e64 v[2:3], v[38:39], -v[2:3]
	v_add_f64_e64 v[4:5], v[40:41], -v[4:5]
	scratch_store_b128 off, v[2:5], off offset:624
	v_cmpx_lt_u32_e32 37, v0
	s_cbranch_execz .LBB45_215
; %bb.214:
	scratch_load_b128 v[5:8], off, s4
	v_dual_mov_b32 v2, v1 :: v_dual_mov_b32 v3, v1
	v_mov_b32_e32 v4, v1
	scratch_store_b128 off, v[1:4], off offset:608
	s_wait_loadcnt 0x0
	ds_store_b128 v138, v[5:8]
.LBB45_215:
	s_wait_alu 0xfffe
	s_or_b32 exec_lo, exec_lo, s0
	s_wait_storecnt_dscnt 0x0
	s_barrier_signal -1
	s_barrier_wait -1
	global_inv scope:SCOPE_SE
	s_clause 0x7
	scratch_load_b128 v[2:5], off, off offset:624
	scratch_load_b128 v[6:9], off, off offset:640
	;; [unrolled: 1-line block ×8, first 2 shown]
	ds_load_b128 v[34:37], v1 offset:1344
	ds_load_b128 v[38:41], v1 offset:1360
	s_mov_b32 s0, exec_lo
	s_wait_loadcnt_dscnt 0x701
	v_mul_f64_e32 v[42:43], v[36:37], v[4:5]
	v_mul_f64_e32 v[4:5], v[34:35], v[4:5]
	s_wait_loadcnt_dscnt 0x600
	v_mul_f64_e32 v[44:45], v[38:39], v[8:9]
	v_mul_f64_e32 v[8:9], v[40:41], v[8:9]
	s_delay_alu instid0(VALU_DEP_4) | instskip(NEXT) | instid1(VALU_DEP_4)
	v_fma_f64 v[42:43], v[34:35], v[2:3], -v[42:43]
	v_fma_f64 v[139:140], v[36:37], v[2:3], v[4:5]
	ds_load_b128 v[2:5], v1 offset:1376
	scratch_load_b128 v[34:37], off, off offset:608
	v_fma_f64 v[40:41], v[40:41], v[6:7], v[44:45]
	v_fma_f64 v[38:39], v[38:39], v[6:7], -v[8:9]
	ds_load_b128 v[6:9], v1 offset:1392
	s_wait_loadcnt_dscnt 0x601
	v_mul_f64_e32 v[141:142], v[2:3], v[12:13]
	v_mul_f64_e32 v[12:13], v[4:5], v[12:13]
	v_add_f64_e32 v[42:43], 0, v[42:43]
	v_add_f64_e32 v[44:45], 0, v[139:140]
	s_wait_loadcnt_dscnt 0x500
	v_mul_f64_e32 v[139:140], v[6:7], v[16:17]
	v_mul_f64_e32 v[16:17], v[8:9], v[16:17]
	v_fma_f64 v[141:142], v[4:5], v[10:11], v[141:142]
	v_fma_f64 v[10:11], v[2:3], v[10:11], -v[12:13]
	ds_load_b128 v[2:5], v1 offset:1408
	v_add_f64_e32 v[12:13], v[42:43], v[38:39]
	v_add_f64_e32 v[38:39], v[44:45], v[40:41]
	v_fma_f64 v[42:43], v[8:9], v[14:15], v[139:140]
	v_fma_f64 v[14:15], v[6:7], v[14:15], -v[16:17]
	ds_load_b128 v[6:9], v1 offset:1424
	s_wait_loadcnt_dscnt 0x401
	v_mul_f64_e32 v[40:41], v[2:3], v[20:21]
	v_mul_f64_e32 v[20:21], v[4:5], v[20:21]
	s_wait_loadcnt_dscnt 0x300
	v_mul_f64_e32 v[16:17], v[6:7], v[24:25]
	v_mul_f64_e32 v[24:25], v[8:9], v[24:25]
	v_add_f64_e32 v[10:11], v[12:13], v[10:11]
	v_add_f64_e32 v[12:13], v[38:39], v[141:142]
	v_fma_f64 v[38:39], v[4:5], v[18:19], v[40:41]
	v_fma_f64 v[18:19], v[2:3], v[18:19], -v[20:21]
	ds_load_b128 v[2:5], v1 offset:1440
	v_fma_f64 v[16:17], v[8:9], v[22:23], v[16:17]
	v_fma_f64 v[22:23], v[6:7], v[22:23], -v[24:25]
	ds_load_b128 v[6:9], v1 offset:1456
	s_wait_loadcnt_dscnt 0x201
	v_mul_f64_e32 v[20:21], v[4:5], v[28:29]
	v_add_f64_e32 v[10:11], v[10:11], v[14:15]
	v_add_f64_e32 v[12:13], v[12:13], v[42:43]
	v_mul_f64_e32 v[14:15], v[2:3], v[28:29]
	s_wait_loadcnt_dscnt 0x100
	v_mul_f64_e32 v[24:25], v[8:9], v[32:33]
	v_fma_f64 v[1:2], v[2:3], v[26:27], -v[20:21]
	v_add_f64_e32 v[10:11], v[10:11], v[18:19]
	v_add_f64_e32 v[12:13], v[12:13], v[38:39]
	v_mul_f64_e32 v[18:19], v[6:7], v[32:33]
	v_fma_f64 v[4:5], v[4:5], v[26:27], v[14:15]
	v_fma_f64 v[6:7], v[6:7], v[30:31], -v[24:25]
	v_add_f64_e32 v[10:11], v[10:11], v[22:23]
	v_add_f64_e32 v[12:13], v[12:13], v[16:17]
	v_fma_f64 v[8:9], v[8:9], v[30:31], v[18:19]
	s_delay_alu instid0(VALU_DEP_3) | instskip(NEXT) | instid1(VALU_DEP_3)
	v_add_f64_e32 v[1:2], v[10:11], v[1:2]
	v_add_f64_e32 v[3:4], v[12:13], v[4:5]
	s_delay_alu instid0(VALU_DEP_2) | instskip(NEXT) | instid1(VALU_DEP_2)
	v_add_f64_e32 v[1:2], v[1:2], v[6:7]
	v_add_f64_e32 v[3:4], v[3:4], v[8:9]
	s_wait_loadcnt 0x0
	s_delay_alu instid0(VALU_DEP_2) | instskip(NEXT) | instid1(VALU_DEP_2)
	v_add_f64_e64 v[1:2], v[34:35], -v[1:2]
	v_add_f64_e64 v[3:4], v[36:37], -v[3:4]
	scratch_store_b128 off, v[1:4], off offset:608
	v_cmpx_lt_u32_e32 36, v0
	s_cbranch_execz .LBB45_217
; %bb.216:
	scratch_load_b128 v[1:4], off, s9
	v_mov_b32_e32 v5, 0
	s_delay_alu instid0(VALU_DEP_1)
	v_dual_mov_b32 v6, v5 :: v_dual_mov_b32 v7, v5
	v_mov_b32_e32 v8, v5
	scratch_store_b128 off, v[5:8], off offset:592
	s_wait_loadcnt 0x0
	ds_store_b128 v138, v[1:4]
.LBB45_217:
	s_wait_alu 0xfffe
	s_or_b32 exec_lo, exec_lo, s0
	s_wait_storecnt_dscnt 0x0
	s_barrier_signal -1
	s_barrier_wait -1
	global_inv scope:SCOPE_SE
	s_clause 0x7
	scratch_load_b128 v[2:5], off, off offset:608
	scratch_load_b128 v[6:9], off, off offset:624
	;; [unrolled: 1-line block ×8, first 2 shown]
	v_mov_b32_e32 v1, 0
	s_mov_b32 s0, exec_lo
	ds_load_b128 v[34:37], v1 offset:1328
	s_clause 0x1
	scratch_load_b128 v[38:41], off, off offset:736
	scratch_load_b128 v[42:45], off, off offset:592
	ds_load_b128 v[139:142], v1 offset:1344
	s_wait_loadcnt_dscnt 0x901
	v_mul_f64_e32 v[143:144], v[36:37], v[4:5]
	v_mul_f64_e32 v[4:5], v[34:35], v[4:5]
	s_wait_loadcnt_dscnt 0x800
	v_mul_f64_e32 v[145:146], v[139:140], v[8:9]
	v_mul_f64_e32 v[8:9], v[141:142], v[8:9]
	s_delay_alu instid0(VALU_DEP_4) | instskip(NEXT) | instid1(VALU_DEP_4)
	v_fma_f64 v[143:144], v[34:35], v[2:3], -v[143:144]
	v_fma_f64 v[147:148], v[36:37], v[2:3], v[4:5]
	ds_load_b128 v[2:5], v1 offset:1360
	ds_load_b128 v[34:37], v1 offset:1376
	v_fma_f64 v[141:142], v[141:142], v[6:7], v[145:146]
	v_fma_f64 v[6:7], v[139:140], v[6:7], -v[8:9]
	s_wait_loadcnt_dscnt 0x701
	v_mul_f64_e32 v[149:150], v[2:3], v[12:13]
	v_mul_f64_e32 v[12:13], v[4:5], v[12:13]
	v_add_f64_e32 v[8:9], 0, v[143:144]
	v_add_f64_e32 v[139:140], 0, v[147:148]
	s_wait_loadcnt_dscnt 0x600
	v_mul_f64_e32 v[143:144], v[34:35], v[16:17]
	v_mul_f64_e32 v[16:17], v[36:37], v[16:17]
	v_fma_f64 v[145:146], v[4:5], v[10:11], v[149:150]
	v_fma_f64 v[10:11], v[2:3], v[10:11], -v[12:13]
	v_add_f64_e32 v[12:13], v[8:9], v[6:7]
	v_add_f64_e32 v[139:140], v[139:140], v[141:142]
	ds_load_b128 v[2:5], v1 offset:1392
	ds_load_b128 v[6:9], v1 offset:1408
	v_fma_f64 v[36:37], v[36:37], v[14:15], v[143:144]
	v_fma_f64 v[14:15], v[34:35], v[14:15], -v[16:17]
	s_wait_loadcnt_dscnt 0x501
	v_mul_f64_e32 v[141:142], v[2:3], v[20:21]
	v_mul_f64_e32 v[20:21], v[4:5], v[20:21]
	s_wait_loadcnt_dscnt 0x400
	v_mul_f64_e32 v[16:17], v[6:7], v[24:25]
	v_mul_f64_e32 v[24:25], v[8:9], v[24:25]
	v_add_f64_e32 v[10:11], v[12:13], v[10:11]
	v_add_f64_e32 v[12:13], v[139:140], v[145:146]
	v_fma_f64 v[34:35], v[4:5], v[18:19], v[141:142]
	v_fma_f64 v[18:19], v[2:3], v[18:19], -v[20:21]
	v_fma_f64 v[8:9], v[8:9], v[22:23], v[16:17]
	v_fma_f64 v[6:7], v[6:7], v[22:23], -v[24:25]
	v_add_f64_e32 v[14:15], v[10:11], v[14:15]
	v_add_f64_e32 v[20:21], v[12:13], v[36:37]
	ds_load_b128 v[2:5], v1 offset:1424
	ds_load_b128 v[10:13], v1 offset:1440
	s_wait_loadcnt_dscnt 0x301
	v_mul_f64_e32 v[36:37], v[2:3], v[28:29]
	v_mul_f64_e32 v[28:29], v[4:5], v[28:29]
	v_add_f64_e32 v[14:15], v[14:15], v[18:19]
	v_add_f64_e32 v[16:17], v[20:21], v[34:35]
	s_wait_loadcnt_dscnt 0x200
	v_mul_f64_e32 v[18:19], v[10:11], v[32:33]
	v_mul_f64_e32 v[20:21], v[12:13], v[32:33]
	v_fma_f64 v[22:23], v[4:5], v[26:27], v[36:37]
	v_fma_f64 v[24:25], v[2:3], v[26:27], -v[28:29]
	ds_load_b128 v[2:5], v1 offset:1456
	v_add_f64_e32 v[6:7], v[14:15], v[6:7]
	v_add_f64_e32 v[8:9], v[16:17], v[8:9]
	v_fma_f64 v[12:13], v[12:13], v[30:31], v[18:19]
	v_fma_f64 v[10:11], v[10:11], v[30:31], -v[20:21]
	s_wait_loadcnt_dscnt 0x100
	v_mul_f64_e32 v[14:15], v[2:3], v[40:41]
	v_mul_f64_e32 v[16:17], v[4:5], v[40:41]
	v_add_f64_e32 v[6:7], v[6:7], v[24:25]
	v_add_f64_e32 v[8:9], v[8:9], v[22:23]
	s_delay_alu instid0(VALU_DEP_4) | instskip(NEXT) | instid1(VALU_DEP_4)
	v_fma_f64 v[4:5], v[4:5], v[38:39], v[14:15]
	v_fma_f64 v[2:3], v[2:3], v[38:39], -v[16:17]
	s_delay_alu instid0(VALU_DEP_4) | instskip(NEXT) | instid1(VALU_DEP_4)
	v_add_f64_e32 v[6:7], v[6:7], v[10:11]
	v_add_f64_e32 v[8:9], v[8:9], v[12:13]
	s_delay_alu instid0(VALU_DEP_2) | instskip(NEXT) | instid1(VALU_DEP_2)
	v_add_f64_e32 v[2:3], v[6:7], v[2:3]
	v_add_f64_e32 v[4:5], v[8:9], v[4:5]
	s_wait_loadcnt 0x0
	s_delay_alu instid0(VALU_DEP_2) | instskip(NEXT) | instid1(VALU_DEP_2)
	v_add_f64_e64 v[2:3], v[42:43], -v[2:3]
	v_add_f64_e64 v[4:5], v[44:45], -v[4:5]
	scratch_store_b128 off, v[2:5], off offset:592
	v_cmpx_lt_u32_e32 35, v0
	s_cbranch_execz .LBB45_219
; %bb.218:
	scratch_load_b128 v[5:8], off, s8
	v_dual_mov_b32 v2, v1 :: v_dual_mov_b32 v3, v1
	v_mov_b32_e32 v4, v1
	scratch_store_b128 off, v[1:4], off offset:576
	s_wait_loadcnt 0x0
	ds_store_b128 v138, v[5:8]
.LBB45_219:
	s_wait_alu 0xfffe
	s_or_b32 exec_lo, exec_lo, s0
	s_wait_storecnt_dscnt 0x0
	s_barrier_signal -1
	s_barrier_wait -1
	global_inv scope:SCOPE_SE
	s_clause 0x8
	scratch_load_b128 v[2:5], off, off offset:592
	scratch_load_b128 v[6:9], off, off offset:608
	;; [unrolled: 1-line block ×9, first 2 shown]
	ds_load_b128 v[38:41], v1 offset:1312
	ds_load_b128 v[42:45], v1 offset:1328
	s_clause 0x1
	scratch_load_b128 v[139:142], off, off offset:576
	scratch_load_b128 v[143:146], off, off offset:736
	s_mov_b32 s0, exec_lo
	s_wait_loadcnt_dscnt 0xa01
	v_mul_f64_e32 v[147:148], v[40:41], v[4:5]
	v_mul_f64_e32 v[4:5], v[38:39], v[4:5]
	s_wait_loadcnt_dscnt 0x900
	v_mul_f64_e32 v[149:150], v[42:43], v[8:9]
	v_mul_f64_e32 v[8:9], v[44:45], v[8:9]
	s_delay_alu instid0(VALU_DEP_4) | instskip(NEXT) | instid1(VALU_DEP_4)
	v_fma_f64 v[147:148], v[38:39], v[2:3], -v[147:148]
	v_fma_f64 v[151:152], v[40:41], v[2:3], v[4:5]
	ds_load_b128 v[2:5], v1 offset:1344
	ds_load_b128 v[38:41], v1 offset:1360
	v_fma_f64 v[44:45], v[44:45], v[6:7], v[149:150]
	v_fma_f64 v[6:7], v[42:43], v[6:7], -v[8:9]
	s_wait_loadcnt_dscnt 0x801
	v_mul_f64_e32 v[153:154], v[2:3], v[12:13]
	v_mul_f64_e32 v[12:13], v[4:5], v[12:13]
	v_add_f64_e32 v[8:9], 0, v[147:148]
	v_add_f64_e32 v[42:43], 0, v[151:152]
	s_wait_loadcnt_dscnt 0x700
	v_mul_f64_e32 v[147:148], v[38:39], v[16:17]
	v_mul_f64_e32 v[16:17], v[40:41], v[16:17]
	v_fma_f64 v[149:150], v[4:5], v[10:11], v[153:154]
	v_fma_f64 v[10:11], v[2:3], v[10:11], -v[12:13]
	v_add_f64_e32 v[12:13], v[8:9], v[6:7]
	v_add_f64_e32 v[42:43], v[42:43], v[44:45]
	ds_load_b128 v[2:5], v1 offset:1376
	ds_load_b128 v[6:9], v1 offset:1392
	v_fma_f64 v[40:41], v[40:41], v[14:15], v[147:148]
	v_fma_f64 v[14:15], v[38:39], v[14:15], -v[16:17]
	s_wait_loadcnt_dscnt 0x601
	v_mul_f64_e32 v[44:45], v[2:3], v[20:21]
	v_mul_f64_e32 v[20:21], v[4:5], v[20:21]
	s_wait_loadcnt_dscnt 0x500
	v_mul_f64_e32 v[16:17], v[6:7], v[24:25]
	v_mul_f64_e32 v[24:25], v[8:9], v[24:25]
	v_add_f64_e32 v[10:11], v[12:13], v[10:11]
	v_add_f64_e32 v[12:13], v[42:43], v[149:150]
	v_fma_f64 v[38:39], v[4:5], v[18:19], v[44:45]
	v_fma_f64 v[18:19], v[2:3], v[18:19], -v[20:21]
	v_fma_f64 v[8:9], v[8:9], v[22:23], v[16:17]
	v_fma_f64 v[6:7], v[6:7], v[22:23], -v[24:25]
	v_add_f64_e32 v[14:15], v[10:11], v[14:15]
	v_add_f64_e32 v[20:21], v[12:13], v[40:41]
	ds_load_b128 v[2:5], v1 offset:1408
	ds_load_b128 v[10:13], v1 offset:1424
	s_wait_loadcnt_dscnt 0x401
	v_mul_f64_e32 v[40:41], v[2:3], v[28:29]
	v_mul_f64_e32 v[28:29], v[4:5], v[28:29]
	v_add_f64_e32 v[14:15], v[14:15], v[18:19]
	v_add_f64_e32 v[16:17], v[20:21], v[38:39]
	s_wait_loadcnt_dscnt 0x300
	v_mul_f64_e32 v[18:19], v[10:11], v[32:33]
	v_mul_f64_e32 v[20:21], v[12:13], v[32:33]
	v_fma_f64 v[22:23], v[4:5], v[26:27], v[40:41]
	v_fma_f64 v[24:25], v[2:3], v[26:27], -v[28:29]
	v_add_f64_e32 v[14:15], v[14:15], v[6:7]
	v_add_f64_e32 v[16:17], v[16:17], v[8:9]
	ds_load_b128 v[2:5], v1 offset:1440
	ds_load_b128 v[6:9], v1 offset:1456
	v_fma_f64 v[12:13], v[12:13], v[30:31], v[18:19]
	v_fma_f64 v[10:11], v[10:11], v[30:31], -v[20:21]
	s_wait_loadcnt_dscnt 0x201
	v_mul_f64_e32 v[26:27], v[2:3], v[36:37]
	v_mul_f64_e32 v[28:29], v[4:5], v[36:37]
	s_wait_loadcnt_dscnt 0x0
	v_mul_f64_e32 v[18:19], v[6:7], v[145:146]
	v_mul_f64_e32 v[20:21], v[8:9], v[145:146]
	v_add_f64_e32 v[14:15], v[14:15], v[24:25]
	v_add_f64_e32 v[16:17], v[16:17], v[22:23]
	v_fma_f64 v[4:5], v[4:5], v[34:35], v[26:27]
	v_fma_f64 v[1:2], v[2:3], v[34:35], -v[28:29]
	v_fma_f64 v[8:9], v[8:9], v[143:144], v[18:19]
	v_fma_f64 v[6:7], v[6:7], v[143:144], -v[20:21]
	v_add_f64_e32 v[10:11], v[14:15], v[10:11]
	v_add_f64_e32 v[12:13], v[16:17], v[12:13]
	s_delay_alu instid0(VALU_DEP_2) | instskip(NEXT) | instid1(VALU_DEP_2)
	v_add_f64_e32 v[1:2], v[10:11], v[1:2]
	v_add_f64_e32 v[3:4], v[12:13], v[4:5]
	s_delay_alu instid0(VALU_DEP_2) | instskip(NEXT) | instid1(VALU_DEP_2)
	;; [unrolled: 3-line block ×3, first 2 shown]
	v_add_f64_e64 v[1:2], v[139:140], -v[1:2]
	v_add_f64_e64 v[3:4], v[141:142], -v[3:4]
	scratch_store_b128 off, v[1:4], off offset:576
	v_cmpx_lt_u32_e32 34, v0
	s_cbranch_execz .LBB45_221
; %bb.220:
	scratch_load_b128 v[1:4], off, s11
	v_mov_b32_e32 v5, 0
	s_delay_alu instid0(VALU_DEP_1)
	v_dual_mov_b32 v6, v5 :: v_dual_mov_b32 v7, v5
	v_mov_b32_e32 v8, v5
	scratch_store_b128 off, v[5:8], off offset:560
	s_wait_loadcnt 0x0
	ds_store_b128 v138, v[1:4]
.LBB45_221:
	s_wait_alu 0xfffe
	s_or_b32 exec_lo, exec_lo, s0
	s_wait_storecnt_dscnt 0x0
	s_barrier_signal -1
	s_barrier_wait -1
	global_inv scope:SCOPE_SE
	s_clause 0x7
	scratch_load_b128 v[2:5], off, off offset:576
	scratch_load_b128 v[6:9], off, off offset:592
	;; [unrolled: 1-line block ×8, first 2 shown]
	v_mov_b32_e32 v1, 0
	s_mov_b32 s0, exec_lo
	ds_load_b128 v[34:37], v1 offset:1296
	s_clause 0x1
	scratch_load_b128 v[38:41], off, off offset:704
	scratch_load_b128 v[42:45], off, off offset:560
	ds_load_b128 v[139:142], v1 offset:1312
	scratch_load_b128 v[143:146], off, off offset:720
	s_wait_loadcnt_dscnt 0xa01
	v_mul_f64_e32 v[147:148], v[36:37], v[4:5]
	v_mul_f64_e32 v[4:5], v[34:35], v[4:5]
	s_delay_alu instid0(VALU_DEP_2) | instskip(NEXT) | instid1(VALU_DEP_2)
	v_fma_f64 v[153:154], v[34:35], v[2:3], -v[147:148]
	v_fma_f64 v[155:156], v[36:37], v[2:3], v[4:5]
	ds_load_b128 v[2:5], v1 offset:1328
	s_wait_loadcnt_dscnt 0x901
	v_mul_f64_e32 v[151:152], v[139:140], v[8:9]
	v_mul_f64_e32 v[8:9], v[141:142], v[8:9]
	scratch_load_b128 v[34:37], off, off offset:736
	ds_load_b128 v[147:150], v1 offset:1344
	s_wait_loadcnt_dscnt 0x901
	v_mul_f64_e32 v[157:158], v[2:3], v[12:13]
	v_mul_f64_e32 v[12:13], v[4:5], v[12:13]
	v_fma_f64 v[141:142], v[141:142], v[6:7], v[151:152]
	v_fma_f64 v[6:7], v[139:140], v[6:7], -v[8:9]
	v_add_f64_e32 v[8:9], 0, v[153:154]
	v_add_f64_e32 v[139:140], 0, v[155:156]
	s_wait_loadcnt_dscnt 0x800
	v_mul_f64_e32 v[151:152], v[147:148], v[16:17]
	v_mul_f64_e32 v[16:17], v[149:150], v[16:17]
	v_fma_f64 v[153:154], v[4:5], v[10:11], v[157:158]
	v_fma_f64 v[10:11], v[2:3], v[10:11], -v[12:13]
	v_add_f64_e32 v[12:13], v[8:9], v[6:7]
	v_add_f64_e32 v[139:140], v[139:140], v[141:142]
	ds_load_b128 v[2:5], v1 offset:1360
	ds_load_b128 v[6:9], v1 offset:1376
	v_fma_f64 v[149:150], v[149:150], v[14:15], v[151:152]
	v_fma_f64 v[14:15], v[147:148], v[14:15], -v[16:17]
	s_wait_loadcnt_dscnt 0x701
	v_mul_f64_e32 v[141:142], v[2:3], v[20:21]
	v_mul_f64_e32 v[20:21], v[4:5], v[20:21]
	s_wait_loadcnt_dscnt 0x600
	v_mul_f64_e32 v[16:17], v[6:7], v[24:25]
	v_mul_f64_e32 v[24:25], v[8:9], v[24:25]
	v_add_f64_e32 v[10:11], v[12:13], v[10:11]
	v_add_f64_e32 v[12:13], v[139:140], v[153:154]
	v_fma_f64 v[139:140], v[4:5], v[18:19], v[141:142]
	v_fma_f64 v[18:19], v[2:3], v[18:19], -v[20:21]
	v_fma_f64 v[8:9], v[8:9], v[22:23], v[16:17]
	v_fma_f64 v[6:7], v[6:7], v[22:23], -v[24:25]
	v_add_f64_e32 v[14:15], v[10:11], v[14:15]
	v_add_f64_e32 v[20:21], v[12:13], v[149:150]
	ds_load_b128 v[2:5], v1 offset:1392
	ds_load_b128 v[10:13], v1 offset:1408
	s_wait_loadcnt_dscnt 0x501
	v_mul_f64_e32 v[141:142], v[2:3], v[28:29]
	v_mul_f64_e32 v[28:29], v[4:5], v[28:29]
	v_add_f64_e32 v[14:15], v[14:15], v[18:19]
	v_add_f64_e32 v[16:17], v[20:21], v[139:140]
	s_wait_loadcnt_dscnt 0x400
	v_mul_f64_e32 v[18:19], v[10:11], v[32:33]
	v_mul_f64_e32 v[20:21], v[12:13], v[32:33]
	v_fma_f64 v[22:23], v[4:5], v[26:27], v[141:142]
	v_fma_f64 v[24:25], v[2:3], v[26:27], -v[28:29]
	v_add_f64_e32 v[14:15], v[14:15], v[6:7]
	v_add_f64_e32 v[16:17], v[16:17], v[8:9]
	ds_load_b128 v[2:5], v1 offset:1424
	ds_load_b128 v[6:9], v1 offset:1440
	v_fma_f64 v[12:13], v[12:13], v[30:31], v[18:19]
	v_fma_f64 v[10:11], v[10:11], v[30:31], -v[20:21]
	s_wait_loadcnt_dscnt 0x301
	v_mul_f64_e32 v[26:27], v[2:3], v[40:41]
	v_mul_f64_e32 v[28:29], v[4:5], v[40:41]
	s_wait_loadcnt_dscnt 0x100
	v_mul_f64_e32 v[18:19], v[6:7], v[145:146]
	v_mul_f64_e32 v[20:21], v[8:9], v[145:146]
	v_add_f64_e32 v[14:15], v[14:15], v[24:25]
	v_add_f64_e32 v[16:17], v[16:17], v[22:23]
	v_fma_f64 v[22:23], v[4:5], v[38:39], v[26:27]
	v_fma_f64 v[24:25], v[2:3], v[38:39], -v[28:29]
	ds_load_b128 v[2:5], v1 offset:1456
	v_fma_f64 v[8:9], v[8:9], v[143:144], v[18:19]
	v_fma_f64 v[6:7], v[6:7], v[143:144], -v[20:21]
	v_add_f64_e32 v[10:11], v[14:15], v[10:11]
	v_add_f64_e32 v[12:13], v[16:17], v[12:13]
	s_wait_loadcnt_dscnt 0x0
	v_mul_f64_e32 v[14:15], v[2:3], v[36:37]
	v_mul_f64_e32 v[16:17], v[4:5], v[36:37]
	s_delay_alu instid0(VALU_DEP_4) | instskip(NEXT) | instid1(VALU_DEP_4)
	v_add_f64_e32 v[10:11], v[10:11], v[24:25]
	v_add_f64_e32 v[12:13], v[12:13], v[22:23]
	s_delay_alu instid0(VALU_DEP_4) | instskip(NEXT) | instid1(VALU_DEP_4)
	v_fma_f64 v[4:5], v[4:5], v[34:35], v[14:15]
	v_fma_f64 v[2:3], v[2:3], v[34:35], -v[16:17]
	s_delay_alu instid0(VALU_DEP_4) | instskip(NEXT) | instid1(VALU_DEP_4)
	v_add_f64_e32 v[6:7], v[10:11], v[6:7]
	v_add_f64_e32 v[8:9], v[12:13], v[8:9]
	s_delay_alu instid0(VALU_DEP_2) | instskip(NEXT) | instid1(VALU_DEP_2)
	v_add_f64_e32 v[2:3], v[6:7], v[2:3]
	v_add_f64_e32 v[4:5], v[8:9], v[4:5]
	s_delay_alu instid0(VALU_DEP_2) | instskip(NEXT) | instid1(VALU_DEP_2)
	v_add_f64_e64 v[2:3], v[42:43], -v[2:3]
	v_add_f64_e64 v[4:5], v[44:45], -v[4:5]
	scratch_store_b128 off, v[2:5], off offset:560
	v_cmpx_lt_u32_e32 33, v0
	s_cbranch_execz .LBB45_223
; %bb.222:
	scratch_load_b128 v[5:8], off, s10
	v_dual_mov_b32 v2, v1 :: v_dual_mov_b32 v3, v1
	v_mov_b32_e32 v4, v1
	scratch_store_b128 off, v[1:4], off offset:544
	s_wait_loadcnt 0x0
	ds_store_b128 v138, v[5:8]
.LBB45_223:
	s_wait_alu 0xfffe
	s_or_b32 exec_lo, exec_lo, s0
	s_wait_storecnt_dscnt 0x0
	s_barrier_signal -1
	s_barrier_wait -1
	global_inv scope:SCOPE_SE
	s_clause 0x8
	scratch_load_b128 v[2:5], off, off offset:560
	scratch_load_b128 v[6:9], off, off offset:576
	;; [unrolled: 1-line block ×9, first 2 shown]
	ds_load_b128 v[38:41], v1 offset:1280
	ds_load_b128 v[42:45], v1 offset:1296
	s_clause 0x1
	scratch_load_b128 v[139:142], off, off offset:544
	scratch_load_b128 v[143:146], off, off offset:704
	s_mov_b32 s0, exec_lo
	s_wait_loadcnt_dscnt 0xa01
	v_mul_f64_e32 v[147:148], v[40:41], v[4:5]
	v_mul_f64_e32 v[4:5], v[38:39], v[4:5]
	s_wait_loadcnt_dscnt 0x900
	v_mul_f64_e32 v[151:152], v[42:43], v[8:9]
	v_mul_f64_e32 v[8:9], v[44:45], v[8:9]
	s_delay_alu instid0(VALU_DEP_4) | instskip(NEXT) | instid1(VALU_DEP_4)
	v_fma_f64 v[153:154], v[38:39], v[2:3], -v[147:148]
	v_fma_f64 v[155:156], v[40:41], v[2:3], v[4:5]
	ds_load_b128 v[2:5], v1 offset:1312
	ds_load_b128 v[147:150], v1 offset:1328
	scratch_load_b128 v[38:41], off, off offset:720
	v_fma_f64 v[44:45], v[44:45], v[6:7], v[151:152]
	v_fma_f64 v[42:43], v[42:43], v[6:7], -v[8:9]
	scratch_load_b128 v[6:9], off, off offset:736
	s_wait_loadcnt_dscnt 0xa01
	v_mul_f64_e32 v[157:158], v[2:3], v[12:13]
	v_mul_f64_e32 v[12:13], v[4:5], v[12:13]
	v_add_f64_e32 v[151:152], 0, v[153:154]
	v_add_f64_e32 v[153:154], 0, v[155:156]
	s_wait_loadcnt_dscnt 0x900
	v_mul_f64_e32 v[155:156], v[147:148], v[16:17]
	v_mul_f64_e32 v[16:17], v[149:150], v[16:17]
	v_fma_f64 v[157:158], v[4:5], v[10:11], v[157:158]
	v_fma_f64 v[159:160], v[2:3], v[10:11], -v[12:13]
	ds_load_b128 v[2:5], v1 offset:1344
	ds_load_b128 v[10:13], v1 offset:1360
	v_add_f64_e32 v[42:43], v[151:152], v[42:43]
	v_add_f64_e32 v[44:45], v[153:154], v[44:45]
	v_fma_f64 v[149:150], v[149:150], v[14:15], v[155:156]
	v_fma_f64 v[14:15], v[147:148], v[14:15], -v[16:17]
	s_wait_loadcnt_dscnt 0x801
	v_mul_f64_e32 v[151:152], v[2:3], v[20:21]
	v_mul_f64_e32 v[20:21], v[4:5], v[20:21]
	v_add_f64_e32 v[16:17], v[42:43], v[159:160]
	v_add_f64_e32 v[42:43], v[44:45], v[157:158]
	s_wait_loadcnt_dscnt 0x700
	v_mul_f64_e32 v[44:45], v[10:11], v[24:25]
	v_mul_f64_e32 v[24:25], v[12:13], v[24:25]
	v_fma_f64 v[147:148], v[4:5], v[18:19], v[151:152]
	v_fma_f64 v[18:19], v[2:3], v[18:19], -v[20:21]
	v_add_f64_e32 v[20:21], v[16:17], v[14:15]
	v_add_f64_e32 v[42:43], v[42:43], v[149:150]
	ds_load_b128 v[2:5], v1 offset:1376
	ds_load_b128 v[14:17], v1 offset:1392
	v_fma_f64 v[12:13], v[12:13], v[22:23], v[44:45]
	v_fma_f64 v[10:11], v[10:11], v[22:23], -v[24:25]
	s_wait_loadcnt_dscnt 0x601
	v_mul_f64_e32 v[149:150], v[2:3], v[28:29]
	v_mul_f64_e32 v[28:29], v[4:5], v[28:29]
	s_wait_loadcnt_dscnt 0x500
	v_mul_f64_e32 v[22:23], v[14:15], v[32:33]
	v_mul_f64_e32 v[24:25], v[16:17], v[32:33]
	v_add_f64_e32 v[18:19], v[20:21], v[18:19]
	v_add_f64_e32 v[20:21], v[42:43], v[147:148]
	v_fma_f64 v[32:33], v[4:5], v[26:27], v[149:150]
	v_fma_f64 v[26:27], v[2:3], v[26:27], -v[28:29]
	v_fma_f64 v[16:17], v[16:17], v[30:31], v[22:23]
	v_fma_f64 v[14:15], v[14:15], v[30:31], -v[24:25]
	v_add_f64_e32 v[18:19], v[18:19], v[10:11]
	v_add_f64_e32 v[20:21], v[20:21], v[12:13]
	ds_load_b128 v[2:5], v1 offset:1408
	ds_load_b128 v[10:13], v1 offset:1424
	s_wait_loadcnt_dscnt 0x401
	v_mul_f64_e32 v[28:29], v[2:3], v[36:37]
	v_mul_f64_e32 v[36:37], v[4:5], v[36:37]
	s_wait_loadcnt_dscnt 0x200
	v_mul_f64_e32 v[22:23], v[10:11], v[145:146]
	v_mul_f64_e32 v[24:25], v[12:13], v[145:146]
	v_add_f64_e32 v[18:19], v[18:19], v[26:27]
	v_add_f64_e32 v[20:21], v[20:21], v[32:33]
	v_fma_f64 v[26:27], v[4:5], v[34:35], v[28:29]
	v_fma_f64 v[28:29], v[2:3], v[34:35], -v[36:37]
	v_fma_f64 v[12:13], v[12:13], v[143:144], v[22:23]
	v_fma_f64 v[10:11], v[10:11], v[143:144], -v[24:25]
	v_add_f64_e32 v[18:19], v[18:19], v[14:15]
	v_add_f64_e32 v[20:21], v[20:21], v[16:17]
	ds_load_b128 v[2:5], v1 offset:1440
	ds_load_b128 v[14:17], v1 offset:1456
	s_wait_loadcnt_dscnt 0x101
	v_mul_f64_e32 v[30:31], v[2:3], v[40:41]
	v_mul_f64_e32 v[32:33], v[4:5], v[40:41]
	s_wait_loadcnt_dscnt 0x0
	v_mul_f64_e32 v[22:23], v[14:15], v[8:9]
	v_mul_f64_e32 v[8:9], v[16:17], v[8:9]
	v_add_f64_e32 v[18:19], v[18:19], v[28:29]
	v_add_f64_e32 v[20:21], v[20:21], v[26:27]
	v_fma_f64 v[4:5], v[4:5], v[38:39], v[30:31]
	v_fma_f64 v[1:2], v[2:3], v[38:39], -v[32:33]
	v_fma_f64 v[16:17], v[16:17], v[6:7], v[22:23]
	v_fma_f64 v[6:7], v[14:15], v[6:7], -v[8:9]
	v_add_f64_e32 v[10:11], v[18:19], v[10:11]
	v_add_f64_e32 v[12:13], v[20:21], v[12:13]
	s_delay_alu instid0(VALU_DEP_2) | instskip(NEXT) | instid1(VALU_DEP_2)
	v_add_f64_e32 v[1:2], v[10:11], v[1:2]
	v_add_f64_e32 v[3:4], v[12:13], v[4:5]
	s_delay_alu instid0(VALU_DEP_2) | instskip(NEXT) | instid1(VALU_DEP_2)
	;; [unrolled: 3-line block ×3, first 2 shown]
	v_add_f64_e64 v[1:2], v[139:140], -v[1:2]
	v_add_f64_e64 v[3:4], v[141:142], -v[3:4]
	scratch_store_b128 off, v[1:4], off offset:544
	v_cmpx_lt_u32_e32 32, v0
	s_cbranch_execz .LBB45_225
; %bb.224:
	scratch_load_b128 v[1:4], off, s13
	v_mov_b32_e32 v5, 0
	s_delay_alu instid0(VALU_DEP_1)
	v_dual_mov_b32 v6, v5 :: v_dual_mov_b32 v7, v5
	v_mov_b32_e32 v8, v5
	scratch_store_b128 off, v[5:8], off offset:528
	s_wait_loadcnt 0x0
	ds_store_b128 v138, v[1:4]
.LBB45_225:
	s_wait_alu 0xfffe
	s_or_b32 exec_lo, exec_lo, s0
	s_wait_storecnt_dscnt 0x0
	s_barrier_signal -1
	s_barrier_wait -1
	global_inv scope:SCOPE_SE
	s_clause 0x7
	scratch_load_b128 v[2:5], off, off offset:544
	scratch_load_b128 v[6:9], off, off offset:560
	;; [unrolled: 1-line block ×8, first 2 shown]
	v_mov_b32_e32 v1, 0
	s_mov_b32 s0, exec_lo
	ds_load_b128 v[34:37], v1 offset:1264
	s_clause 0x1
	scratch_load_b128 v[38:41], off, off offset:672
	scratch_load_b128 v[42:45], off, off offset:528
	ds_load_b128 v[139:142], v1 offset:1280
	scratch_load_b128 v[143:146], off, off offset:688
	s_wait_loadcnt_dscnt 0xa01
	v_mul_f64_e32 v[147:148], v[36:37], v[4:5]
	v_mul_f64_e32 v[4:5], v[34:35], v[4:5]
	s_delay_alu instid0(VALU_DEP_2) | instskip(NEXT) | instid1(VALU_DEP_2)
	v_fma_f64 v[153:154], v[34:35], v[2:3], -v[147:148]
	v_fma_f64 v[155:156], v[36:37], v[2:3], v[4:5]
	ds_load_b128 v[2:5], v1 offset:1296
	s_wait_loadcnt_dscnt 0x901
	v_mul_f64_e32 v[151:152], v[139:140], v[8:9]
	v_mul_f64_e32 v[8:9], v[141:142], v[8:9]
	scratch_load_b128 v[34:37], off, off offset:704
	ds_load_b128 v[147:150], v1 offset:1312
	s_wait_loadcnt_dscnt 0x901
	v_mul_f64_e32 v[157:158], v[2:3], v[12:13]
	v_mul_f64_e32 v[12:13], v[4:5], v[12:13]
	v_fma_f64 v[141:142], v[141:142], v[6:7], v[151:152]
	v_fma_f64 v[139:140], v[139:140], v[6:7], -v[8:9]
	v_add_f64_e32 v[151:152], 0, v[153:154]
	v_add_f64_e32 v[153:154], 0, v[155:156]
	scratch_load_b128 v[6:9], off, off offset:720
	v_fma_f64 v[157:158], v[4:5], v[10:11], v[157:158]
	v_fma_f64 v[159:160], v[2:3], v[10:11], -v[12:13]
	ds_load_b128 v[2:5], v1 offset:1328
	s_wait_loadcnt_dscnt 0x901
	v_mul_f64_e32 v[155:156], v[147:148], v[16:17]
	v_mul_f64_e32 v[16:17], v[149:150], v[16:17]
	scratch_load_b128 v[10:13], off, off offset:736
	v_add_f64_e32 v[151:152], v[151:152], v[139:140]
	v_add_f64_e32 v[153:154], v[153:154], v[141:142]
	s_wait_loadcnt_dscnt 0x900
	v_mul_f64_e32 v[161:162], v[2:3], v[20:21]
	v_mul_f64_e32 v[20:21], v[4:5], v[20:21]
	ds_load_b128 v[139:142], v1 offset:1344
	v_fma_f64 v[149:150], v[149:150], v[14:15], v[155:156]
	v_fma_f64 v[14:15], v[147:148], v[14:15], -v[16:17]
	v_add_f64_e32 v[16:17], v[151:152], v[159:160]
	v_add_f64_e32 v[147:148], v[153:154], v[157:158]
	s_wait_loadcnt_dscnt 0x800
	v_mul_f64_e32 v[151:152], v[139:140], v[24:25]
	v_mul_f64_e32 v[24:25], v[141:142], v[24:25]
	v_fma_f64 v[153:154], v[4:5], v[18:19], v[161:162]
	v_fma_f64 v[18:19], v[2:3], v[18:19], -v[20:21]
	v_add_f64_e32 v[20:21], v[16:17], v[14:15]
	v_add_f64_e32 v[147:148], v[147:148], v[149:150]
	ds_load_b128 v[2:5], v1 offset:1360
	ds_load_b128 v[14:17], v1 offset:1376
	v_fma_f64 v[141:142], v[141:142], v[22:23], v[151:152]
	v_fma_f64 v[22:23], v[139:140], v[22:23], -v[24:25]
	s_wait_loadcnt_dscnt 0x701
	v_mul_f64_e32 v[149:150], v[2:3], v[28:29]
	v_mul_f64_e32 v[28:29], v[4:5], v[28:29]
	s_wait_loadcnt_dscnt 0x600
	v_mul_f64_e32 v[24:25], v[14:15], v[32:33]
	v_mul_f64_e32 v[32:33], v[16:17], v[32:33]
	v_add_f64_e32 v[18:19], v[20:21], v[18:19]
	v_add_f64_e32 v[20:21], v[147:148], v[153:154]
	v_fma_f64 v[139:140], v[4:5], v[26:27], v[149:150]
	v_fma_f64 v[26:27], v[2:3], v[26:27], -v[28:29]
	v_fma_f64 v[16:17], v[16:17], v[30:31], v[24:25]
	v_fma_f64 v[14:15], v[14:15], v[30:31], -v[32:33]
	v_add_f64_e32 v[22:23], v[18:19], v[22:23]
	v_add_f64_e32 v[28:29], v[20:21], v[141:142]
	ds_load_b128 v[2:5], v1 offset:1392
	ds_load_b128 v[18:21], v1 offset:1408
	s_wait_loadcnt_dscnt 0x501
	v_mul_f64_e32 v[141:142], v[2:3], v[40:41]
	v_mul_f64_e32 v[40:41], v[4:5], v[40:41]
	v_add_f64_e32 v[22:23], v[22:23], v[26:27]
	v_add_f64_e32 v[24:25], v[28:29], v[139:140]
	s_wait_loadcnt_dscnt 0x300
	v_mul_f64_e32 v[26:27], v[18:19], v[145:146]
	v_mul_f64_e32 v[28:29], v[20:21], v[145:146]
	v_fma_f64 v[30:31], v[4:5], v[38:39], v[141:142]
	v_fma_f64 v[32:33], v[2:3], v[38:39], -v[40:41]
	v_add_f64_e32 v[22:23], v[22:23], v[14:15]
	v_add_f64_e32 v[24:25], v[24:25], v[16:17]
	ds_load_b128 v[2:5], v1 offset:1424
	ds_load_b128 v[14:17], v1 offset:1440
	v_fma_f64 v[20:21], v[20:21], v[143:144], v[26:27]
	v_fma_f64 v[18:19], v[18:19], v[143:144], -v[28:29]
	s_wait_loadcnt_dscnt 0x201
	v_mul_f64_e32 v[38:39], v[2:3], v[36:37]
	v_mul_f64_e32 v[36:37], v[4:5], v[36:37]
	v_add_f64_e32 v[22:23], v[22:23], v[32:33]
	v_add_f64_e32 v[24:25], v[24:25], v[30:31]
	s_wait_loadcnt_dscnt 0x100
	v_mul_f64_e32 v[26:27], v[14:15], v[8:9]
	v_mul_f64_e32 v[8:9], v[16:17], v[8:9]
	v_fma_f64 v[28:29], v[4:5], v[34:35], v[38:39]
	v_fma_f64 v[30:31], v[2:3], v[34:35], -v[36:37]
	ds_load_b128 v[2:5], v1 offset:1456
	v_add_f64_e32 v[18:19], v[22:23], v[18:19]
	v_add_f64_e32 v[20:21], v[24:25], v[20:21]
	s_wait_loadcnt_dscnt 0x0
	v_mul_f64_e32 v[22:23], v[2:3], v[12:13]
	v_mul_f64_e32 v[12:13], v[4:5], v[12:13]
	v_fma_f64 v[16:17], v[16:17], v[6:7], v[26:27]
	v_fma_f64 v[6:7], v[14:15], v[6:7], -v[8:9]
	v_add_f64_e32 v[8:9], v[18:19], v[30:31]
	v_add_f64_e32 v[14:15], v[20:21], v[28:29]
	v_fma_f64 v[4:5], v[4:5], v[10:11], v[22:23]
	v_fma_f64 v[2:3], v[2:3], v[10:11], -v[12:13]
	s_delay_alu instid0(VALU_DEP_4) | instskip(NEXT) | instid1(VALU_DEP_4)
	v_add_f64_e32 v[6:7], v[8:9], v[6:7]
	v_add_f64_e32 v[8:9], v[14:15], v[16:17]
	s_delay_alu instid0(VALU_DEP_2) | instskip(NEXT) | instid1(VALU_DEP_2)
	v_add_f64_e32 v[2:3], v[6:7], v[2:3]
	v_add_f64_e32 v[4:5], v[8:9], v[4:5]
	s_delay_alu instid0(VALU_DEP_2) | instskip(NEXT) | instid1(VALU_DEP_2)
	v_add_f64_e64 v[2:3], v[42:43], -v[2:3]
	v_add_f64_e64 v[4:5], v[44:45], -v[4:5]
	scratch_store_b128 off, v[2:5], off offset:528
	v_cmpx_lt_u32_e32 31, v0
	s_cbranch_execz .LBB45_227
; %bb.226:
	scratch_load_b128 v[5:8], off, s12
	v_dual_mov_b32 v2, v1 :: v_dual_mov_b32 v3, v1
	v_mov_b32_e32 v4, v1
	scratch_store_b128 off, v[1:4], off offset:512
	s_wait_loadcnt 0x0
	ds_store_b128 v138, v[5:8]
.LBB45_227:
	s_wait_alu 0xfffe
	s_or_b32 exec_lo, exec_lo, s0
	s_wait_storecnt_dscnt 0x0
	s_barrier_signal -1
	s_barrier_wait -1
	global_inv scope:SCOPE_SE
	s_clause 0x8
	scratch_load_b128 v[2:5], off, off offset:528
	scratch_load_b128 v[6:9], off, off offset:544
	;; [unrolled: 1-line block ×9, first 2 shown]
	ds_load_b128 v[38:41], v1 offset:1248
	ds_load_b128 v[42:45], v1 offset:1264
	s_clause 0x1
	scratch_load_b128 v[139:142], off, off offset:512
	scratch_load_b128 v[143:146], off, off offset:672
	s_mov_b32 s0, exec_lo
	s_wait_loadcnt_dscnt 0xa01
	v_mul_f64_e32 v[147:148], v[40:41], v[4:5]
	v_mul_f64_e32 v[4:5], v[38:39], v[4:5]
	s_wait_loadcnt_dscnt 0x900
	v_mul_f64_e32 v[151:152], v[42:43], v[8:9]
	v_mul_f64_e32 v[8:9], v[44:45], v[8:9]
	s_delay_alu instid0(VALU_DEP_4) | instskip(NEXT) | instid1(VALU_DEP_4)
	v_fma_f64 v[153:154], v[38:39], v[2:3], -v[147:148]
	v_fma_f64 v[155:156], v[40:41], v[2:3], v[4:5]
	ds_load_b128 v[2:5], v1 offset:1280
	ds_load_b128 v[147:150], v1 offset:1296
	scratch_load_b128 v[38:41], off, off offset:688
	v_fma_f64 v[44:45], v[44:45], v[6:7], v[151:152]
	v_fma_f64 v[42:43], v[42:43], v[6:7], -v[8:9]
	scratch_load_b128 v[6:9], off, off offset:704
	s_wait_loadcnt_dscnt 0xa01
	v_mul_f64_e32 v[157:158], v[2:3], v[12:13]
	v_mul_f64_e32 v[12:13], v[4:5], v[12:13]
	v_add_f64_e32 v[151:152], 0, v[153:154]
	v_add_f64_e32 v[153:154], 0, v[155:156]
	s_wait_loadcnt_dscnt 0x900
	v_mul_f64_e32 v[155:156], v[147:148], v[16:17]
	v_mul_f64_e32 v[16:17], v[149:150], v[16:17]
	v_fma_f64 v[157:158], v[4:5], v[10:11], v[157:158]
	v_fma_f64 v[159:160], v[2:3], v[10:11], -v[12:13]
	ds_load_b128 v[2:5], v1 offset:1312
	scratch_load_b128 v[10:13], off, off offset:720
	v_add_f64_e32 v[151:152], v[151:152], v[42:43]
	v_add_f64_e32 v[153:154], v[153:154], v[44:45]
	ds_load_b128 v[42:45], v1 offset:1328
	v_fma_f64 v[149:150], v[149:150], v[14:15], v[155:156]
	v_fma_f64 v[147:148], v[147:148], v[14:15], -v[16:17]
	scratch_load_b128 v[14:17], off, off offset:736
	s_wait_loadcnt_dscnt 0xa01
	v_mul_f64_e32 v[161:162], v[2:3], v[20:21]
	v_mul_f64_e32 v[20:21], v[4:5], v[20:21]
	s_wait_loadcnt_dscnt 0x900
	v_mul_f64_e32 v[155:156], v[42:43], v[24:25]
	v_mul_f64_e32 v[24:25], v[44:45], v[24:25]
	v_add_f64_e32 v[151:152], v[151:152], v[159:160]
	v_add_f64_e32 v[153:154], v[153:154], v[157:158]
	v_fma_f64 v[157:158], v[4:5], v[18:19], v[161:162]
	v_fma_f64 v[159:160], v[2:3], v[18:19], -v[20:21]
	ds_load_b128 v[2:5], v1 offset:1344
	ds_load_b128 v[18:21], v1 offset:1360
	v_fma_f64 v[44:45], v[44:45], v[22:23], v[155:156]
	v_fma_f64 v[22:23], v[42:43], v[22:23], -v[24:25]
	v_add_f64_e32 v[147:148], v[151:152], v[147:148]
	v_add_f64_e32 v[149:150], v[153:154], v[149:150]
	s_wait_loadcnt_dscnt 0x801
	v_mul_f64_e32 v[151:152], v[2:3], v[28:29]
	v_mul_f64_e32 v[28:29], v[4:5], v[28:29]
	s_delay_alu instid0(VALU_DEP_4) | instskip(NEXT) | instid1(VALU_DEP_4)
	v_add_f64_e32 v[24:25], v[147:148], v[159:160]
	v_add_f64_e32 v[42:43], v[149:150], v[157:158]
	s_wait_loadcnt_dscnt 0x700
	v_mul_f64_e32 v[147:148], v[18:19], v[32:33]
	v_mul_f64_e32 v[32:33], v[20:21], v[32:33]
	v_fma_f64 v[149:150], v[4:5], v[26:27], v[151:152]
	v_fma_f64 v[26:27], v[2:3], v[26:27], -v[28:29]
	v_add_f64_e32 v[28:29], v[24:25], v[22:23]
	v_add_f64_e32 v[42:43], v[42:43], v[44:45]
	ds_load_b128 v[2:5], v1 offset:1376
	ds_load_b128 v[22:25], v1 offset:1392
	v_fma_f64 v[20:21], v[20:21], v[30:31], v[147:148]
	v_fma_f64 v[18:19], v[18:19], v[30:31], -v[32:33]
	s_wait_loadcnt_dscnt 0x601
	v_mul_f64_e32 v[44:45], v[2:3], v[36:37]
	v_mul_f64_e32 v[36:37], v[4:5], v[36:37]
	s_wait_loadcnt_dscnt 0x400
	v_mul_f64_e32 v[30:31], v[22:23], v[145:146]
	v_mul_f64_e32 v[32:33], v[24:25], v[145:146]
	v_add_f64_e32 v[26:27], v[28:29], v[26:27]
	v_add_f64_e32 v[28:29], v[42:43], v[149:150]
	v_fma_f64 v[42:43], v[4:5], v[34:35], v[44:45]
	v_fma_f64 v[34:35], v[2:3], v[34:35], -v[36:37]
	v_fma_f64 v[24:25], v[24:25], v[143:144], v[30:31]
	v_fma_f64 v[22:23], v[22:23], v[143:144], -v[32:33]
	v_add_f64_e32 v[26:27], v[26:27], v[18:19]
	v_add_f64_e32 v[28:29], v[28:29], v[20:21]
	ds_load_b128 v[2:5], v1 offset:1408
	ds_load_b128 v[18:21], v1 offset:1424
	s_wait_loadcnt_dscnt 0x301
	v_mul_f64_e32 v[36:37], v[2:3], v[40:41]
	v_mul_f64_e32 v[40:41], v[4:5], v[40:41]
	s_wait_loadcnt_dscnt 0x200
	v_mul_f64_e32 v[30:31], v[18:19], v[8:9]
	v_mul_f64_e32 v[8:9], v[20:21], v[8:9]
	v_add_f64_e32 v[26:27], v[26:27], v[34:35]
	v_add_f64_e32 v[28:29], v[28:29], v[42:43]
	v_fma_f64 v[32:33], v[4:5], v[38:39], v[36:37]
	v_fma_f64 v[34:35], v[2:3], v[38:39], -v[40:41]
	v_fma_f64 v[20:21], v[20:21], v[6:7], v[30:31]
	v_fma_f64 v[6:7], v[18:19], v[6:7], -v[8:9]
	v_add_f64_e32 v[26:27], v[26:27], v[22:23]
	v_add_f64_e32 v[28:29], v[28:29], v[24:25]
	ds_load_b128 v[2:5], v1 offset:1440
	ds_load_b128 v[22:25], v1 offset:1456
	s_wait_loadcnt_dscnt 0x101
	v_mul_f64_e32 v[36:37], v[2:3], v[12:13]
	v_mul_f64_e32 v[12:13], v[4:5], v[12:13]
	v_add_f64_e32 v[8:9], v[26:27], v[34:35]
	v_add_f64_e32 v[18:19], v[28:29], v[32:33]
	s_wait_loadcnt_dscnt 0x0
	v_mul_f64_e32 v[26:27], v[22:23], v[16:17]
	v_mul_f64_e32 v[16:17], v[24:25], v[16:17]
	v_fma_f64 v[4:5], v[4:5], v[10:11], v[36:37]
	v_fma_f64 v[1:2], v[2:3], v[10:11], -v[12:13]
	v_add_f64_e32 v[6:7], v[8:9], v[6:7]
	v_add_f64_e32 v[8:9], v[18:19], v[20:21]
	v_fma_f64 v[10:11], v[24:25], v[14:15], v[26:27]
	v_fma_f64 v[12:13], v[22:23], v[14:15], -v[16:17]
	s_delay_alu instid0(VALU_DEP_4) | instskip(NEXT) | instid1(VALU_DEP_4)
	v_add_f64_e32 v[1:2], v[6:7], v[1:2]
	v_add_f64_e32 v[3:4], v[8:9], v[4:5]
	s_delay_alu instid0(VALU_DEP_2) | instskip(NEXT) | instid1(VALU_DEP_2)
	v_add_f64_e32 v[1:2], v[1:2], v[12:13]
	v_add_f64_e32 v[3:4], v[3:4], v[10:11]
	s_delay_alu instid0(VALU_DEP_2) | instskip(NEXT) | instid1(VALU_DEP_2)
	v_add_f64_e64 v[1:2], v[139:140], -v[1:2]
	v_add_f64_e64 v[3:4], v[141:142], -v[3:4]
	scratch_store_b128 off, v[1:4], off offset:512
	v_cmpx_lt_u32_e32 30, v0
	s_cbranch_execz .LBB45_229
; %bb.228:
	scratch_load_b128 v[1:4], off, s15
	v_mov_b32_e32 v5, 0
	s_delay_alu instid0(VALU_DEP_1)
	v_dual_mov_b32 v6, v5 :: v_dual_mov_b32 v7, v5
	v_mov_b32_e32 v8, v5
	scratch_store_b128 off, v[5:8], off offset:496
	s_wait_loadcnt 0x0
	ds_store_b128 v138, v[1:4]
.LBB45_229:
	s_wait_alu 0xfffe
	s_or_b32 exec_lo, exec_lo, s0
	s_wait_storecnt_dscnt 0x0
	s_barrier_signal -1
	s_barrier_wait -1
	global_inv scope:SCOPE_SE
	s_clause 0x7
	scratch_load_b128 v[2:5], off, off offset:512
	scratch_load_b128 v[6:9], off, off offset:528
	;; [unrolled: 1-line block ×8, first 2 shown]
	v_mov_b32_e32 v1, 0
	s_mov_b32 s0, exec_lo
	ds_load_b128 v[34:37], v1 offset:1232
	s_clause 0x1
	scratch_load_b128 v[38:41], off, off offset:640
	scratch_load_b128 v[42:45], off, off offset:496
	ds_load_b128 v[139:142], v1 offset:1248
	scratch_load_b128 v[143:146], off, off offset:656
	s_wait_loadcnt_dscnt 0xa01
	v_mul_f64_e32 v[147:148], v[36:37], v[4:5]
	v_mul_f64_e32 v[4:5], v[34:35], v[4:5]
	s_delay_alu instid0(VALU_DEP_2) | instskip(NEXT) | instid1(VALU_DEP_2)
	v_fma_f64 v[153:154], v[34:35], v[2:3], -v[147:148]
	v_fma_f64 v[155:156], v[36:37], v[2:3], v[4:5]
	ds_load_b128 v[2:5], v1 offset:1264
	s_wait_loadcnt_dscnt 0x901
	v_mul_f64_e32 v[151:152], v[139:140], v[8:9]
	v_mul_f64_e32 v[8:9], v[141:142], v[8:9]
	scratch_load_b128 v[34:37], off, off offset:672
	ds_load_b128 v[147:150], v1 offset:1280
	s_wait_loadcnt_dscnt 0x901
	v_mul_f64_e32 v[157:158], v[2:3], v[12:13]
	v_mul_f64_e32 v[12:13], v[4:5], v[12:13]
	v_fma_f64 v[141:142], v[141:142], v[6:7], v[151:152]
	v_fma_f64 v[139:140], v[139:140], v[6:7], -v[8:9]
	v_add_f64_e32 v[151:152], 0, v[153:154]
	v_add_f64_e32 v[153:154], 0, v[155:156]
	scratch_load_b128 v[6:9], off, off offset:688
	v_fma_f64 v[157:158], v[4:5], v[10:11], v[157:158]
	v_fma_f64 v[159:160], v[2:3], v[10:11], -v[12:13]
	ds_load_b128 v[2:5], v1 offset:1296
	s_wait_loadcnt_dscnt 0x901
	v_mul_f64_e32 v[155:156], v[147:148], v[16:17]
	v_mul_f64_e32 v[16:17], v[149:150], v[16:17]
	scratch_load_b128 v[10:13], off, off offset:704
	v_add_f64_e32 v[151:152], v[151:152], v[139:140]
	v_add_f64_e32 v[153:154], v[153:154], v[141:142]
	s_wait_loadcnt_dscnt 0x900
	v_mul_f64_e32 v[161:162], v[2:3], v[20:21]
	v_mul_f64_e32 v[20:21], v[4:5], v[20:21]
	ds_load_b128 v[139:142], v1 offset:1312
	v_fma_f64 v[149:150], v[149:150], v[14:15], v[155:156]
	v_fma_f64 v[147:148], v[147:148], v[14:15], -v[16:17]
	scratch_load_b128 v[14:17], off, off offset:720
	v_add_f64_e32 v[151:152], v[151:152], v[159:160]
	v_add_f64_e32 v[153:154], v[153:154], v[157:158]
	v_fma_f64 v[157:158], v[4:5], v[18:19], v[161:162]
	v_fma_f64 v[159:160], v[2:3], v[18:19], -v[20:21]
	ds_load_b128 v[2:5], v1 offset:1328
	s_wait_loadcnt_dscnt 0x901
	v_mul_f64_e32 v[155:156], v[139:140], v[24:25]
	v_mul_f64_e32 v[24:25], v[141:142], v[24:25]
	scratch_load_b128 v[18:21], off, off offset:736
	s_wait_loadcnt_dscnt 0x900
	v_mul_f64_e32 v[161:162], v[2:3], v[28:29]
	v_mul_f64_e32 v[28:29], v[4:5], v[28:29]
	v_add_f64_e32 v[151:152], v[151:152], v[147:148]
	v_add_f64_e32 v[153:154], v[153:154], v[149:150]
	ds_load_b128 v[147:150], v1 offset:1344
	v_fma_f64 v[141:142], v[141:142], v[22:23], v[155:156]
	v_fma_f64 v[22:23], v[139:140], v[22:23], -v[24:25]
	v_add_f64_e32 v[24:25], v[151:152], v[159:160]
	v_add_f64_e32 v[139:140], v[153:154], v[157:158]
	s_wait_loadcnt_dscnt 0x800
	v_mul_f64_e32 v[151:152], v[147:148], v[32:33]
	v_mul_f64_e32 v[32:33], v[149:150], v[32:33]
	v_fma_f64 v[153:154], v[4:5], v[26:27], v[161:162]
	v_fma_f64 v[26:27], v[2:3], v[26:27], -v[28:29]
	v_add_f64_e32 v[28:29], v[24:25], v[22:23]
	v_add_f64_e32 v[139:140], v[139:140], v[141:142]
	ds_load_b128 v[2:5], v1 offset:1360
	ds_load_b128 v[22:25], v1 offset:1376
	v_fma_f64 v[149:150], v[149:150], v[30:31], v[151:152]
	v_fma_f64 v[30:31], v[147:148], v[30:31], -v[32:33]
	s_wait_loadcnt_dscnt 0x701
	v_mul_f64_e32 v[141:142], v[2:3], v[40:41]
	v_mul_f64_e32 v[40:41], v[4:5], v[40:41]
	s_wait_loadcnt_dscnt 0x500
	v_mul_f64_e32 v[32:33], v[22:23], v[145:146]
	v_add_f64_e32 v[26:27], v[28:29], v[26:27]
	v_add_f64_e32 v[28:29], v[139:140], v[153:154]
	v_mul_f64_e32 v[139:140], v[24:25], v[145:146]
	v_fma_f64 v[141:142], v[4:5], v[38:39], v[141:142]
	v_fma_f64 v[38:39], v[2:3], v[38:39], -v[40:41]
	v_fma_f64 v[24:25], v[24:25], v[143:144], v[32:33]
	v_add_f64_e32 v[30:31], v[26:27], v[30:31]
	v_add_f64_e32 v[40:41], v[28:29], v[149:150]
	ds_load_b128 v[2:5], v1 offset:1392
	ds_load_b128 v[26:29], v1 offset:1408
	v_fma_f64 v[22:23], v[22:23], v[143:144], -v[139:140]
	s_wait_loadcnt_dscnt 0x401
	v_mul_f64_e32 v[145:146], v[2:3], v[36:37]
	v_mul_f64_e32 v[36:37], v[4:5], v[36:37]
	v_add_f64_e32 v[30:31], v[30:31], v[38:39]
	v_add_f64_e32 v[32:33], v[40:41], v[141:142]
	s_wait_loadcnt_dscnt 0x300
	v_mul_f64_e32 v[38:39], v[26:27], v[8:9]
	v_mul_f64_e32 v[8:9], v[28:29], v[8:9]
	v_fma_f64 v[40:41], v[4:5], v[34:35], v[145:146]
	v_fma_f64 v[34:35], v[2:3], v[34:35], -v[36:37]
	v_add_f64_e32 v[30:31], v[30:31], v[22:23]
	v_add_f64_e32 v[32:33], v[32:33], v[24:25]
	ds_load_b128 v[2:5], v1 offset:1424
	ds_load_b128 v[22:25], v1 offset:1440
	v_fma_f64 v[28:29], v[28:29], v[6:7], v[38:39]
	v_fma_f64 v[6:7], v[26:27], v[6:7], -v[8:9]
	s_wait_loadcnt_dscnt 0x201
	v_mul_f64_e32 v[36:37], v[2:3], v[12:13]
	v_mul_f64_e32 v[12:13], v[4:5], v[12:13]
	v_add_f64_e32 v[8:9], v[30:31], v[34:35]
	v_add_f64_e32 v[26:27], v[32:33], v[40:41]
	s_wait_loadcnt_dscnt 0x100
	v_mul_f64_e32 v[30:31], v[22:23], v[16:17]
	v_mul_f64_e32 v[16:17], v[24:25], v[16:17]
	v_fma_f64 v[32:33], v[4:5], v[10:11], v[36:37]
	v_fma_f64 v[10:11], v[2:3], v[10:11], -v[12:13]
	ds_load_b128 v[2:5], v1 offset:1456
	v_add_f64_e32 v[6:7], v[8:9], v[6:7]
	v_add_f64_e32 v[8:9], v[26:27], v[28:29]
	v_fma_f64 v[24:25], v[24:25], v[14:15], v[30:31]
	v_fma_f64 v[14:15], v[22:23], v[14:15], -v[16:17]
	s_wait_loadcnt_dscnt 0x0
	v_mul_f64_e32 v[12:13], v[2:3], v[20:21]
	v_mul_f64_e32 v[20:21], v[4:5], v[20:21]
	v_add_f64_e32 v[6:7], v[6:7], v[10:11]
	v_add_f64_e32 v[8:9], v[8:9], v[32:33]
	s_delay_alu instid0(VALU_DEP_4) | instskip(NEXT) | instid1(VALU_DEP_4)
	v_fma_f64 v[4:5], v[4:5], v[18:19], v[12:13]
	v_fma_f64 v[2:3], v[2:3], v[18:19], -v[20:21]
	s_delay_alu instid0(VALU_DEP_4) | instskip(NEXT) | instid1(VALU_DEP_4)
	v_add_f64_e32 v[6:7], v[6:7], v[14:15]
	v_add_f64_e32 v[8:9], v[8:9], v[24:25]
	s_delay_alu instid0(VALU_DEP_2) | instskip(NEXT) | instid1(VALU_DEP_2)
	v_add_f64_e32 v[2:3], v[6:7], v[2:3]
	v_add_f64_e32 v[4:5], v[8:9], v[4:5]
	s_delay_alu instid0(VALU_DEP_2) | instskip(NEXT) | instid1(VALU_DEP_2)
	v_add_f64_e64 v[2:3], v[42:43], -v[2:3]
	v_add_f64_e64 v[4:5], v[44:45], -v[4:5]
	scratch_store_b128 off, v[2:5], off offset:496
	v_cmpx_lt_u32_e32 29, v0
	s_cbranch_execz .LBB45_231
; %bb.230:
	scratch_load_b128 v[5:8], off, s14
	v_dual_mov_b32 v2, v1 :: v_dual_mov_b32 v3, v1
	v_mov_b32_e32 v4, v1
	scratch_store_b128 off, v[1:4], off offset:480
	s_wait_loadcnt 0x0
	ds_store_b128 v138, v[5:8]
.LBB45_231:
	s_wait_alu 0xfffe
	s_or_b32 exec_lo, exec_lo, s0
	s_wait_storecnt_dscnt 0x0
	s_barrier_signal -1
	s_barrier_wait -1
	global_inv scope:SCOPE_SE
	s_clause 0x8
	scratch_load_b128 v[2:5], off, off offset:496
	scratch_load_b128 v[6:9], off, off offset:512
	;; [unrolled: 1-line block ×9, first 2 shown]
	ds_load_b128 v[38:41], v1 offset:1216
	ds_load_b128 v[42:45], v1 offset:1232
	s_clause 0x1
	scratch_load_b128 v[139:142], off, off offset:480
	scratch_load_b128 v[143:146], off, off offset:640
	s_mov_b32 s0, exec_lo
	s_wait_loadcnt_dscnt 0xa01
	v_mul_f64_e32 v[147:148], v[40:41], v[4:5]
	v_mul_f64_e32 v[4:5], v[38:39], v[4:5]
	s_wait_loadcnt_dscnt 0x900
	v_mul_f64_e32 v[151:152], v[42:43], v[8:9]
	v_mul_f64_e32 v[8:9], v[44:45], v[8:9]
	s_delay_alu instid0(VALU_DEP_4) | instskip(NEXT) | instid1(VALU_DEP_4)
	v_fma_f64 v[153:154], v[38:39], v[2:3], -v[147:148]
	v_fma_f64 v[155:156], v[40:41], v[2:3], v[4:5]
	ds_load_b128 v[2:5], v1 offset:1248
	ds_load_b128 v[147:150], v1 offset:1264
	scratch_load_b128 v[38:41], off, off offset:656
	v_fma_f64 v[44:45], v[44:45], v[6:7], v[151:152]
	v_fma_f64 v[42:43], v[42:43], v[6:7], -v[8:9]
	scratch_load_b128 v[6:9], off, off offset:672
	s_wait_loadcnt_dscnt 0xa01
	v_mul_f64_e32 v[157:158], v[2:3], v[12:13]
	v_mul_f64_e32 v[12:13], v[4:5], v[12:13]
	v_add_f64_e32 v[151:152], 0, v[153:154]
	v_add_f64_e32 v[153:154], 0, v[155:156]
	s_wait_loadcnt_dscnt 0x900
	v_mul_f64_e32 v[155:156], v[147:148], v[16:17]
	v_mul_f64_e32 v[16:17], v[149:150], v[16:17]
	v_fma_f64 v[157:158], v[4:5], v[10:11], v[157:158]
	v_fma_f64 v[159:160], v[2:3], v[10:11], -v[12:13]
	ds_load_b128 v[2:5], v1 offset:1280
	scratch_load_b128 v[10:13], off, off offset:688
	v_add_f64_e32 v[151:152], v[151:152], v[42:43]
	v_add_f64_e32 v[153:154], v[153:154], v[44:45]
	ds_load_b128 v[42:45], v1 offset:1296
	v_fma_f64 v[149:150], v[149:150], v[14:15], v[155:156]
	v_fma_f64 v[147:148], v[147:148], v[14:15], -v[16:17]
	scratch_load_b128 v[14:17], off, off offset:704
	s_wait_loadcnt_dscnt 0xa01
	v_mul_f64_e32 v[161:162], v[2:3], v[20:21]
	v_mul_f64_e32 v[20:21], v[4:5], v[20:21]
	s_wait_loadcnt_dscnt 0x900
	v_mul_f64_e32 v[155:156], v[42:43], v[24:25]
	v_mul_f64_e32 v[24:25], v[44:45], v[24:25]
	v_add_f64_e32 v[151:152], v[151:152], v[159:160]
	v_add_f64_e32 v[153:154], v[153:154], v[157:158]
	v_fma_f64 v[157:158], v[4:5], v[18:19], v[161:162]
	v_fma_f64 v[159:160], v[2:3], v[18:19], -v[20:21]
	ds_load_b128 v[2:5], v1 offset:1312
	scratch_load_b128 v[18:21], off, off offset:720
	v_fma_f64 v[44:45], v[44:45], v[22:23], v[155:156]
	v_fma_f64 v[42:43], v[42:43], v[22:23], -v[24:25]
	scratch_load_b128 v[22:25], off, off offset:736
	v_add_f64_e32 v[151:152], v[151:152], v[147:148]
	v_add_f64_e32 v[153:154], v[153:154], v[149:150]
	ds_load_b128 v[147:150], v1 offset:1328
	s_wait_loadcnt_dscnt 0xa01
	v_mul_f64_e32 v[161:162], v[2:3], v[28:29]
	v_mul_f64_e32 v[28:29], v[4:5], v[28:29]
	s_wait_loadcnt_dscnt 0x900
	v_mul_f64_e32 v[155:156], v[147:148], v[32:33]
	v_mul_f64_e32 v[32:33], v[149:150], v[32:33]
	v_add_f64_e32 v[151:152], v[151:152], v[159:160]
	v_add_f64_e32 v[153:154], v[153:154], v[157:158]
	v_fma_f64 v[157:158], v[4:5], v[26:27], v[161:162]
	v_fma_f64 v[159:160], v[2:3], v[26:27], -v[28:29]
	ds_load_b128 v[2:5], v1 offset:1344
	ds_load_b128 v[26:29], v1 offset:1360
	v_fma_f64 v[149:150], v[149:150], v[30:31], v[155:156]
	v_fma_f64 v[30:31], v[147:148], v[30:31], -v[32:33]
	v_add_f64_e32 v[42:43], v[151:152], v[42:43]
	v_add_f64_e32 v[44:45], v[153:154], v[44:45]
	s_wait_loadcnt_dscnt 0x801
	v_mul_f64_e32 v[151:152], v[2:3], v[36:37]
	v_mul_f64_e32 v[36:37], v[4:5], v[36:37]
	s_delay_alu instid0(VALU_DEP_4) | instskip(NEXT) | instid1(VALU_DEP_4)
	v_add_f64_e32 v[32:33], v[42:43], v[159:160]
	v_add_f64_e32 v[42:43], v[44:45], v[157:158]
	s_wait_loadcnt_dscnt 0x600
	v_mul_f64_e32 v[44:45], v[26:27], v[145:146]
	v_mul_f64_e32 v[145:146], v[28:29], v[145:146]
	v_fma_f64 v[147:148], v[4:5], v[34:35], v[151:152]
	v_fma_f64 v[34:35], v[2:3], v[34:35], -v[36:37]
	v_add_f64_e32 v[36:37], v[32:33], v[30:31]
	v_add_f64_e32 v[42:43], v[42:43], v[149:150]
	ds_load_b128 v[2:5], v1 offset:1376
	ds_load_b128 v[30:33], v1 offset:1392
	v_fma_f64 v[28:29], v[28:29], v[143:144], v[44:45]
	v_fma_f64 v[26:27], v[26:27], v[143:144], -v[145:146]
	s_wait_loadcnt_dscnt 0x501
	v_mul_f64_e32 v[149:150], v[2:3], v[40:41]
	v_mul_f64_e32 v[40:41], v[4:5], v[40:41]
	v_add_f64_e32 v[34:35], v[36:37], v[34:35]
	v_add_f64_e32 v[36:37], v[42:43], v[147:148]
	s_wait_loadcnt_dscnt 0x400
	v_mul_f64_e32 v[42:43], v[30:31], v[8:9]
	v_mul_f64_e32 v[8:9], v[32:33], v[8:9]
	v_fma_f64 v[44:45], v[4:5], v[38:39], v[149:150]
	v_fma_f64 v[38:39], v[2:3], v[38:39], -v[40:41]
	v_add_f64_e32 v[34:35], v[34:35], v[26:27]
	v_add_f64_e32 v[36:37], v[36:37], v[28:29]
	ds_load_b128 v[2:5], v1 offset:1408
	ds_load_b128 v[26:29], v1 offset:1424
	v_fma_f64 v[32:33], v[32:33], v[6:7], v[42:43]
	v_fma_f64 v[6:7], v[30:31], v[6:7], -v[8:9]
	s_wait_loadcnt_dscnt 0x301
	v_mul_f64_e32 v[40:41], v[2:3], v[12:13]
	v_mul_f64_e32 v[12:13], v[4:5], v[12:13]
	;; [unrolled: 16-line block ×3, first 2 shown]
	s_wait_loadcnt_dscnt 0x0
	v_mul_f64_e32 v[16:17], v[6:7], v[24:25]
	v_mul_f64_e32 v[24:25], v[8:9], v[24:25]
	v_add_f64_e32 v[10:11], v[12:13], v[10:11]
	v_add_f64_e32 v[12:13], v[30:31], v[36:37]
	v_fma_f64 v[4:5], v[4:5], v[18:19], v[32:33]
	v_fma_f64 v[1:2], v[2:3], v[18:19], -v[20:21]
	v_fma_f64 v[8:9], v[8:9], v[22:23], v[16:17]
	v_fma_f64 v[6:7], v[6:7], v[22:23], -v[24:25]
	v_add_f64_e32 v[10:11], v[10:11], v[14:15]
	v_add_f64_e32 v[12:13], v[12:13], v[28:29]
	s_delay_alu instid0(VALU_DEP_2) | instskip(NEXT) | instid1(VALU_DEP_2)
	v_add_f64_e32 v[1:2], v[10:11], v[1:2]
	v_add_f64_e32 v[3:4], v[12:13], v[4:5]
	s_delay_alu instid0(VALU_DEP_2) | instskip(NEXT) | instid1(VALU_DEP_2)
	;; [unrolled: 3-line block ×3, first 2 shown]
	v_add_f64_e64 v[1:2], v[139:140], -v[1:2]
	v_add_f64_e64 v[3:4], v[141:142], -v[3:4]
	scratch_store_b128 off, v[1:4], off offset:480
	v_cmpx_lt_u32_e32 28, v0
	s_cbranch_execz .LBB45_233
; %bb.232:
	scratch_load_b128 v[1:4], off, s20
	v_mov_b32_e32 v5, 0
	s_delay_alu instid0(VALU_DEP_1)
	v_dual_mov_b32 v6, v5 :: v_dual_mov_b32 v7, v5
	v_mov_b32_e32 v8, v5
	scratch_store_b128 off, v[5:8], off offset:464
	s_wait_loadcnt 0x0
	ds_store_b128 v138, v[1:4]
.LBB45_233:
	s_wait_alu 0xfffe
	s_or_b32 exec_lo, exec_lo, s0
	s_wait_storecnt_dscnt 0x0
	s_barrier_signal -1
	s_barrier_wait -1
	global_inv scope:SCOPE_SE
	s_clause 0x7
	scratch_load_b128 v[2:5], off, off offset:480
	scratch_load_b128 v[6:9], off, off offset:496
	;; [unrolled: 1-line block ×8, first 2 shown]
	v_mov_b32_e32 v1, 0
	s_mov_b32 s0, exec_lo
	ds_load_b128 v[34:37], v1 offset:1200
	s_clause 0x1
	scratch_load_b128 v[38:41], off, off offset:608
	scratch_load_b128 v[42:45], off, off offset:464
	ds_load_b128 v[139:142], v1 offset:1216
	scratch_load_b128 v[143:146], off, off offset:624
	s_wait_loadcnt_dscnt 0xa01
	v_mul_f64_e32 v[147:148], v[36:37], v[4:5]
	v_mul_f64_e32 v[4:5], v[34:35], v[4:5]
	s_delay_alu instid0(VALU_DEP_2) | instskip(NEXT) | instid1(VALU_DEP_2)
	v_fma_f64 v[153:154], v[34:35], v[2:3], -v[147:148]
	v_fma_f64 v[155:156], v[36:37], v[2:3], v[4:5]
	ds_load_b128 v[2:5], v1 offset:1232
	s_wait_loadcnt_dscnt 0x901
	v_mul_f64_e32 v[151:152], v[139:140], v[8:9]
	v_mul_f64_e32 v[8:9], v[141:142], v[8:9]
	scratch_load_b128 v[34:37], off, off offset:640
	ds_load_b128 v[147:150], v1 offset:1248
	s_wait_loadcnt_dscnt 0x901
	v_mul_f64_e32 v[157:158], v[2:3], v[12:13]
	v_mul_f64_e32 v[12:13], v[4:5], v[12:13]
	v_fma_f64 v[141:142], v[141:142], v[6:7], v[151:152]
	v_fma_f64 v[139:140], v[139:140], v[6:7], -v[8:9]
	v_add_f64_e32 v[151:152], 0, v[153:154]
	v_add_f64_e32 v[153:154], 0, v[155:156]
	scratch_load_b128 v[6:9], off, off offset:656
	v_fma_f64 v[157:158], v[4:5], v[10:11], v[157:158]
	v_fma_f64 v[159:160], v[2:3], v[10:11], -v[12:13]
	ds_load_b128 v[2:5], v1 offset:1264
	s_wait_loadcnt_dscnt 0x901
	v_mul_f64_e32 v[155:156], v[147:148], v[16:17]
	v_mul_f64_e32 v[16:17], v[149:150], v[16:17]
	scratch_load_b128 v[10:13], off, off offset:672
	v_add_f64_e32 v[151:152], v[151:152], v[139:140]
	v_add_f64_e32 v[153:154], v[153:154], v[141:142]
	s_wait_loadcnt_dscnt 0x900
	v_mul_f64_e32 v[161:162], v[2:3], v[20:21]
	v_mul_f64_e32 v[20:21], v[4:5], v[20:21]
	ds_load_b128 v[139:142], v1 offset:1280
	v_fma_f64 v[149:150], v[149:150], v[14:15], v[155:156]
	v_fma_f64 v[147:148], v[147:148], v[14:15], -v[16:17]
	scratch_load_b128 v[14:17], off, off offset:688
	v_add_f64_e32 v[151:152], v[151:152], v[159:160]
	v_add_f64_e32 v[153:154], v[153:154], v[157:158]
	v_fma_f64 v[157:158], v[4:5], v[18:19], v[161:162]
	v_fma_f64 v[159:160], v[2:3], v[18:19], -v[20:21]
	ds_load_b128 v[2:5], v1 offset:1296
	s_wait_loadcnt_dscnt 0x901
	v_mul_f64_e32 v[155:156], v[139:140], v[24:25]
	v_mul_f64_e32 v[24:25], v[141:142], v[24:25]
	scratch_load_b128 v[18:21], off, off offset:704
	s_wait_loadcnt_dscnt 0x900
	v_mul_f64_e32 v[161:162], v[2:3], v[28:29]
	v_mul_f64_e32 v[28:29], v[4:5], v[28:29]
	v_add_f64_e32 v[151:152], v[151:152], v[147:148]
	v_add_f64_e32 v[153:154], v[153:154], v[149:150]
	ds_load_b128 v[147:150], v1 offset:1312
	v_fma_f64 v[141:142], v[141:142], v[22:23], v[155:156]
	v_fma_f64 v[139:140], v[139:140], v[22:23], -v[24:25]
	scratch_load_b128 v[22:25], off, off offset:720
	v_add_f64_e32 v[151:152], v[151:152], v[159:160]
	v_add_f64_e32 v[153:154], v[153:154], v[157:158]
	v_fma_f64 v[157:158], v[4:5], v[26:27], v[161:162]
	v_fma_f64 v[159:160], v[2:3], v[26:27], -v[28:29]
	ds_load_b128 v[2:5], v1 offset:1328
	s_wait_loadcnt_dscnt 0x901
	v_mul_f64_e32 v[155:156], v[147:148], v[32:33]
	v_mul_f64_e32 v[32:33], v[149:150], v[32:33]
	scratch_load_b128 v[26:29], off, off offset:736
	s_wait_loadcnt_dscnt 0x900
	v_mul_f64_e32 v[161:162], v[2:3], v[40:41]
	v_mul_f64_e32 v[40:41], v[4:5], v[40:41]
	v_add_f64_e32 v[151:152], v[151:152], v[139:140]
	v_add_f64_e32 v[153:154], v[153:154], v[141:142]
	ds_load_b128 v[139:142], v1 offset:1344
	v_fma_f64 v[149:150], v[149:150], v[30:31], v[155:156]
	v_fma_f64 v[30:31], v[147:148], v[30:31], -v[32:33]
	v_add_f64_e32 v[32:33], v[151:152], v[159:160]
	v_add_f64_e32 v[147:148], v[153:154], v[157:158]
	s_wait_loadcnt_dscnt 0x700
	v_mul_f64_e32 v[151:152], v[139:140], v[145:146]
	v_mul_f64_e32 v[145:146], v[141:142], v[145:146]
	v_fma_f64 v[153:154], v[4:5], v[38:39], v[161:162]
	v_fma_f64 v[38:39], v[2:3], v[38:39], -v[40:41]
	v_add_f64_e32 v[40:41], v[32:33], v[30:31]
	v_add_f64_e32 v[147:148], v[147:148], v[149:150]
	ds_load_b128 v[2:5], v1 offset:1360
	ds_load_b128 v[30:33], v1 offset:1376
	v_fma_f64 v[141:142], v[141:142], v[143:144], v[151:152]
	v_fma_f64 v[139:140], v[139:140], v[143:144], -v[145:146]
	s_wait_loadcnt_dscnt 0x601
	v_mul_f64_e32 v[149:150], v[2:3], v[36:37]
	v_mul_f64_e32 v[36:37], v[4:5], v[36:37]
	v_add_f64_e32 v[38:39], v[40:41], v[38:39]
	v_add_f64_e32 v[40:41], v[147:148], v[153:154]
	s_wait_loadcnt_dscnt 0x500
	v_mul_f64_e32 v[143:144], v[30:31], v[8:9]
	v_mul_f64_e32 v[8:9], v[32:33], v[8:9]
	v_fma_f64 v[145:146], v[4:5], v[34:35], v[149:150]
	v_fma_f64 v[147:148], v[2:3], v[34:35], -v[36:37]
	ds_load_b128 v[2:5], v1 offset:1392
	ds_load_b128 v[34:37], v1 offset:1408
	v_add_f64_e32 v[38:39], v[38:39], v[139:140]
	v_add_f64_e32 v[40:41], v[40:41], v[141:142]
	s_wait_loadcnt_dscnt 0x401
	v_mul_f64_e32 v[139:140], v[2:3], v[12:13]
	v_mul_f64_e32 v[12:13], v[4:5], v[12:13]
	v_fma_f64 v[32:33], v[32:33], v[6:7], v[143:144]
	v_fma_f64 v[6:7], v[30:31], v[6:7], -v[8:9]
	v_add_f64_e32 v[8:9], v[38:39], v[147:148]
	v_add_f64_e32 v[30:31], v[40:41], v[145:146]
	s_wait_loadcnt_dscnt 0x300
	v_mul_f64_e32 v[38:39], v[34:35], v[16:17]
	v_mul_f64_e32 v[16:17], v[36:37], v[16:17]
	v_fma_f64 v[40:41], v[4:5], v[10:11], v[139:140]
	v_fma_f64 v[10:11], v[2:3], v[10:11], -v[12:13]
	v_add_f64_e32 v[12:13], v[8:9], v[6:7]
	v_add_f64_e32 v[30:31], v[30:31], v[32:33]
	ds_load_b128 v[2:5], v1 offset:1424
	ds_load_b128 v[6:9], v1 offset:1440
	v_fma_f64 v[36:37], v[36:37], v[14:15], v[38:39]
	v_fma_f64 v[14:15], v[34:35], v[14:15], -v[16:17]
	s_wait_loadcnt_dscnt 0x201
	v_mul_f64_e32 v[32:33], v[2:3], v[20:21]
	v_mul_f64_e32 v[20:21], v[4:5], v[20:21]
	s_wait_loadcnt_dscnt 0x100
	v_mul_f64_e32 v[16:17], v[6:7], v[24:25]
	v_mul_f64_e32 v[24:25], v[8:9], v[24:25]
	v_add_f64_e32 v[10:11], v[12:13], v[10:11]
	v_add_f64_e32 v[12:13], v[30:31], v[40:41]
	v_fma_f64 v[30:31], v[4:5], v[18:19], v[32:33]
	v_fma_f64 v[18:19], v[2:3], v[18:19], -v[20:21]
	ds_load_b128 v[2:5], v1 offset:1456
	v_fma_f64 v[8:9], v[8:9], v[22:23], v[16:17]
	v_fma_f64 v[6:7], v[6:7], v[22:23], -v[24:25]
	v_add_f64_e32 v[10:11], v[10:11], v[14:15]
	v_add_f64_e32 v[12:13], v[12:13], v[36:37]
	s_wait_loadcnt_dscnt 0x0
	v_mul_f64_e32 v[14:15], v[2:3], v[28:29]
	v_mul_f64_e32 v[20:21], v[4:5], v[28:29]
	s_delay_alu instid0(VALU_DEP_4) | instskip(NEXT) | instid1(VALU_DEP_4)
	v_add_f64_e32 v[10:11], v[10:11], v[18:19]
	v_add_f64_e32 v[12:13], v[12:13], v[30:31]
	s_delay_alu instid0(VALU_DEP_4) | instskip(NEXT) | instid1(VALU_DEP_4)
	v_fma_f64 v[4:5], v[4:5], v[26:27], v[14:15]
	v_fma_f64 v[2:3], v[2:3], v[26:27], -v[20:21]
	s_delay_alu instid0(VALU_DEP_4) | instskip(NEXT) | instid1(VALU_DEP_4)
	v_add_f64_e32 v[6:7], v[10:11], v[6:7]
	v_add_f64_e32 v[8:9], v[12:13], v[8:9]
	s_delay_alu instid0(VALU_DEP_2) | instskip(NEXT) | instid1(VALU_DEP_2)
	v_add_f64_e32 v[2:3], v[6:7], v[2:3]
	v_add_f64_e32 v[4:5], v[8:9], v[4:5]
	s_delay_alu instid0(VALU_DEP_2) | instskip(NEXT) | instid1(VALU_DEP_2)
	v_add_f64_e64 v[2:3], v[42:43], -v[2:3]
	v_add_f64_e64 v[4:5], v[44:45], -v[4:5]
	scratch_store_b128 off, v[2:5], off offset:464
	v_cmpx_lt_u32_e32 27, v0
	s_cbranch_execz .LBB45_235
; %bb.234:
	scratch_load_b128 v[5:8], off, s19
	v_dual_mov_b32 v2, v1 :: v_dual_mov_b32 v3, v1
	v_mov_b32_e32 v4, v1
	scratch_store_b128 off, v[1:4], off offset:448
	s_wait_loadcnt 0x0
	ds_store_b128 v138, v[5:8]
.LBB45_235:
	s_wait_alu 0xfffe
	s_or_b32 exec_lo, exec_lo, s0
	s_wait_storecnt_dscnt 0x0
	s_barrier_signal -1
	s_barrier_wait -1
	global_inv scope:SCOPE_SE
	s_clause 0x8
	scratch_load_b128 v[2:5], off, off offset:464
	scratch_load_b128 v[6:9], off, off offset:480
	;; [unrolled: 1-line block ×9, first 2 shown]
	ds_load_b128 v[38:41], v1 offset:1184
	ds_load_b128 v[42:45], v1 offset:1200
	s_clause 0x1
	scratch_load_b128 v[139:142], off, off offset:448
	scratch_load_b128 v[143:146], off, off offset:608
	s_mov_b32 s0, exec_lo
	s_wait_loadcnt_dscnt 0xa01
	v_mul_f64_e32 v[147:148], v[40:41], v[4:5]
	v_mul_f64_e32 v[4:5], v[38:39], v[4:5]
	s_wait_loadcnt_dscnt 0x900
	v_mul_f64_e32 v[151:152], v[42:43], v[8:9]
	v_mul_f64_e32 v[8:9], v[44:45], v[8:9]
	s_delay_alu instid0(VALU_DEP_4) | instskip(NEXT) | instid1(VALU_DEP_4)
	v_fma_f64 v[153:154], v[38:39], v[2:3], -v[147:148]
	v_fma_f64 v[155:156], v[40:41], v[2:3], v[4:5]
	ds_load_b128 v[2:5], v1 offset:1216
	ds_load_b128 v[147:150], v1 offset:1232
	scratch_load_b128 v[38:41], off, off offset:624
	v_fma_f64 v[44:45], v[44:45], v[6:7], v[151:152]
	v_fma_f64 v[42:43], v[42:43], v[6:7], -v[8:9]
	scratch_load_b128 v[6:9], off, off offset:640
	s_wait_loadcnt_dscnt 0xa01
	v_mul_f64_e32 v[157:158], v[2:3], v[12:13]
	v_mul_f64_e32 v[12:13], v[4:5], v[12:13]
	v_add_f64_e32 v[151:152], 0, v[153:154]
	v_add_f64_e32 v[153:154], 0, v[155:156]
	s_wait_loadcnt_dscnt 0x900
	v_mul_f64_e32 v[155:156], v[147:148], v[16:17]
	v_mul_f64_e32 v[16:17], v[149:150], v[16:17]
	v_fma_f64 v[157:158], v[4:5], v[10:11], v[157:158]
	v_fma_f64 v[159:160], v[2:3], v[10:11], -v[12:13]
	ds_load_b128 v[2:5], v1 offset:1248
	scratch_load_b128 v[10:13], off, off offset:656
	v_add_f64_e32 v[151:152], v[151:152], v[42:43]
	v_add_f64_e32 v[153:154], v[153:154], v[44:45]
	ds_load_b128 v[42:45], v1 offset:1264
	v_fma_f64 v[149:150], v[149:150], v[14:15], v[155:156]
	v_fma_f64 v[147:148], v[147:148], v[14:15], -v[16:17]
	scratch_load_b128 v[14:17], off, off offset:672
	s_wait_loadcnt_dscnt 0xa01
	v_mul_f64_e32 v[161:162], v[2:3], v[20:21]
	v_mul_f64_e32 v[20:21], v[4:5], v[20:21]
	s_wait_loadcnt_dscnt 0x900
	v_mul_f64_e32 v[155:156], v[42:43], v[24:25]
	v_mul_f64_e32 v[24:25], v[44:45], v[24:25]
	v_add_f64_e32 v[151:152], v[151:152], v[159:160]
	v_add_f64_e32 v[153:154], v[153:154], v[157:158]
	v_fma_f64 v[157:158], v[4:5], v[18:19], v[161:162]
	v_fma_f64 v[159:160], v[2:3], v[18:19], -v[20:21]
	ds_load_b128 v[2:5], v1 offset:1280
	scratch_load_b128 v[18:21], off, off offset:688
	v_fma_f64 v[44:45], v[44:45], v[22:23], v[155:156]
	v_fma_f64 v[42:43], v[42:43], v[22:23], -v[24:25]
	scratch_load_b128 v[22:25], off, off offset:704
	v_add_f64_e32 v[151:152], v[151:152], v[147:148]
	v_add_f64_e32 v[153:154], v[153:154], v[149:150]
	ds_load_b128 v[147:150], v1 offset:1296
	s_wait_loadcnt_dscnt 0xa01
	v_mul_f64_e32 v[161:162], v[2:3], v[28:29]
	v_mul_f64_e32 v[28:29], v[4:5], v[28:29]
	s_wait_loadcnt_dscnt 0x900
	v_mul_f64_e32 v[155:156], v[147:148], v[32:33]
	v_mul_f64_e32 v[32:33], v[149:150], v[32:33]
	v_add_f64_e32 v[151:152], v[151:152], v[159:160]
	v_add_f64_e32 v[153:154], v[153:154], v[157:158]
	v_fma_f64 v[157:158], v[4:5], v[26:27], v[161:162]
	v_fma_f64 v[159:160], v[2:3], v[26:27], -v[28:29]
	ds_load_b128 v[2:5], v1 offset:1312
	scratch_load_b128 v[26:29], off, off offset:720
	v_fma_f64 v[149:150], v[149:150], v[30:31], v[155:156]
	v_fma_f64 v[147:148], v[147:148], v[30:31], -v[32:33]
	scratch_load_b128 v[30:33], off, off offset:736
	v_add_f64_e32 v[151:152], v[151:152], v[42:43]
	v_add_f64_e32 v[153:154], v[153:154], v[44:45]
	ds_load_b128 v[42:45], v1 offset:1328
	s_wait_loadcnt_dscnt 0xa01
	v_mul_f64_e32 v[161:162], v[2:3], v[36:37]
	v_mul_f64_e32 v[36:37], v[4:5], v[36:37]
	s_wait_loadcnt_dscnt 0x800
	v_mul_f64_e32 v[155:156], v[42:43], v[145:146]
	v_mul_f64_e32 v[145:146], v[44:45], v[145:146]
	v_add_f64_e32 v[151:152], v[151:152], v[159:160]
	v_add_f64_e32 v[153:154], v[153:154], v[157:158]
	v_fma_f64 v[157:158], v[4:5], v[34:35], v[161:162]
	v_fma_f64 v[159:160], v[2:3], v[34:35], -v[36:37]
	ds_load_b128 v[2:5], v1 offset:1344
	ds_load_b128 v[34:37], v1 offset:1360
	v_fma_f64 v[44:45], v[44:45], v[143:144], v[155:156]
	v_fma_f64 v[42:43], v[42:43], v[143:144], -v[145:146]
	v_add_f64_e32 v[147:148], v[151:152], v[147:148]
	v_add_f64_e32 v[149:150], v[153:154], v[149:150]
	s_wait_loadcnt_dscnt 0x701
	v_mul_f64_e32 v[151:152], v[2:3], v[40:41]
	v_mul_f64_e32 v[40:41], v[4:5], v[40:41]
	s_delay_alu instid0(VALU_DEP_4) | instskip(NEXT) | instid1(VALU_DEP_4)
	v_add_f64_e32 v[143:144], v[147:148], v[159:160]
	v_add_f64_e32 v[145:146], v[149:150], v[157:158]
	s_wait_loadcnt_dscnt 0x600
	v_mul_f64_e32 v[147:148], v[34:35], v[8:9]
	v_mul_f64_e32 v[8:9], v[36:37], v[8:9]
	v_fma_f64 v[149:150], v[4:5], v[38:39], v[151:152]
	v_fma_f64 v[151:152], v[2:3], v[38:39], -v[40:41]
	ds_load_b128 v[2:5], v1 offset:1376
	ds_load_b128 v[38:41], v1 offset:1392
	v_add_f64_e32 v[42:43], v[143:144], v[42:43]
	v_add_f64_e32 v[44:45], v[145:146], v[44:45]
	v_fma_f64 v[36:37], v[36:37], v[6:7], v[147:148]
	s_wait_loadcnt_dscnt 0x501
	v_mul_f64_e32 v[143:144], v[2:3], v[12:13]
	v_mul_f64_e32 v[12:13], v[4:5], v[12:13]
	v_fma_f64 v[6:7], v[34:35], v[6:7], -v[8:9]
	v_add_f64_e32 v[8:9], v[42:43], v[151:152]
	v_add_f64_e32 v[34:35], v[44:45], v[149:150]
	s_wait_loadcnt_dscnt 0x400
	v_mul_f64_e32 v[42:43], v[38:39], v[16:17]
	v_mul_f64_e32 v[16:17], v[40:41], v[16:17]
	v_fma_f64 v[44:45], v[4:5], v[10:11], v[143:144]
	v_fma_f64 v[10:11], v[2:3], v[10:11], -v[12:13]
	v_add_f64_e32 v[12:13], v[8:9], v[6:7]
	v_add_f64_e32 v[34:35], v[34:35], v[36:37]
	ds_load_b128 v[2:5], v1 offset:1408
	ds_load_b128 v[6:9], v1 offset:1424
	v_fma_f64 v[40:41], v[40:41], v[14:15], v[42:43]
	v_fma_f64 v[14:15], v[38:39], v[14:15], -v[16:17]
	s_wait_loadcnt_dscnt 0x301
	v_mul_f64_e32 v[36:37], v[2:3], v[20:21]
	v_mul_f64_e32 v[20:21], v[4:5], v[20:21]
	s_wait_loadcnt_dscnt 0x200
	v_mul_f64_e32 v[16:17], v[6:7], v[24:25]
	v_mul_f64_e32 v[24:25], v[8:9], v[24:25]
	v_add_f64_e32 v[10:11], v[12:13], v[10:11]
	v_add_f64_e32 v[12:13], v[34:35], v[44:45]
	v_fma_f64 v[34:35], v[4:5], v[18:19], v[36:37]
	v_fma_f64 v[18:19], v[2:3], v[18:19], -v[20:21]
	v_fma_f64 v[8:9], v[8:9], v[22:23], v[16:17]
	v_fma_f64 v[6:7], v[6:7], v[22:23], -v[24:25]
	v_add_f64_e32 v[14:15], v[10:11], v[14:15]
	v_add_f64_e32 v[20:21], v[12:13], v[40:41]
	ds_load_b128 v[2:5], v1 offset:1440
	ds_load_b128 v[10:13], v1 offset:1456
	s_wait_loadcnt_dscnt 0x101
	v_mul_f64_e32 v[36:37], v[2:3], v[28:29]
	v_mul_f64_e32 v[28:29], v[4:5], v[28:29]
	v_add_f64_e32 v[14:15], v[14:15], v[18:19]
	v_add_f64_e32 v[16:17], v[20:21], v[34:35]
	s_wait_loadcnt_dscnt 0x0
	v_mul_f64_e32 v[18:19], v[10:11], v[32:33]
	v_mul_f64_e32 v[20:21], v[12:13], v[32:33]
	v_fma_f64 v[4:5], v[4:5], v[26:27], v[36:37]
	v_fma_f64 v[1:2], v[2:3], v[26:27], -v[28:29]
	v_add_f64_e32 v[6:7], v[14:15], v[6:7]
	v_add_f64_e32 v[8:9], v[16:17], v[8:9]
	v_fma_f64 v[12:13], v[12:13], v[30:31], v[18:19]
	v_fma_f64 v[10:11], v[10:11], v[30:31], -v[20:21]
	s_delay_alu instid0(VALU_DEP_4) | instskip(NEXT) | instid1(VALU_DEP_4)
	v_add_f64_e32 v[1:2], v[6:7], v[1:2]
	v_add_f64_e32 v[3:4], v[8:9], v[4:5]
	s_delay_alu instid0(VALU_DEP_2) | instskip(NEXT) | instid1(VALU_DEP_2)
	v_add_f64_e32 v[1:2], v[1:2], v[10:11]
	v_add_f64_e32 v[3:4], v[3:4], v[12:13]
	s_delay_alu instid0(VALU_DEP_2) | instskip(NEXT) | instid1(VALU_DEP_2)
	v_add_f64_e64 v[1:2], v[139:140], -v[1:2]
	v_add_f64_e64 v[3:4], v[141:142], -v[3:4]
	scratch_store_b128 off, v[1:4], off offset:448
	v_cmpx_lt_u32_e32 26, v0
	s_cbranch_execz .LBB45_237
; %bb.236:
	scratch_load_b128 v[1:4], off, s22
	v_mov_b32_e32 v5, 0
	s_delay_alu instid0(VALU_DEP_1)
	v_dual_mov_b32 v6, v5 :: v_dual_mov_b32 v7, v5
	v_mov_b32_e32 v8, v5
	scratch_store_b128 off, v[5:8], off offset:432
	s_wait_loadcnt 0x0
	ds_store_b128 v138, v[1:4]
.LBB45_237:
	s_wait_alu 0xfffe
	s_or_b32 exec_lo, exec_lo, s0
	s_wait_storecnt_dscnt 0x0
	s_barrier_signal -1
	s_barrier_wait -1
	global_inv scope:SCOPE_SE
	s_clause 0x7
	scratch_load_b128 v[2:5], off, off offset:448
	scratch_load_b128 v[6:9], off, off offset:464
	;; [unrolled: 1-line block ×8, first 2 shown]
	v_mov_b32_e32 v1, 0
	s_mov_b32 s0, exec_lo
	ds_load_b128 v[34:37], v1 offset:1168
	s_clause 0x1
	scratch_load_b128 v[38:41], off, off offset:576
	scratch_load_b128 v[42:45], off, off offset:432
	ds_load_b128 v[139:142], v1 offset:1184
	scratch_load_b128 v[143:146], off, off offset:592
	s_wait_loadcnt_dscnt 0xa01
	v_mul_f64_e32 v[147:148], v[36:37], v[4:5]
	v_mul_f64_e32 v[4:5], v[34:35], v[4:5]
	s_delay_alu instid0(VALU_DEP_2) | instskip(NEXT) | instid1(VALU_DEP_2)
	v_fma_f64 v[153:154], v[34:35], v[2:3], -v[147:148]
	v_fma_f64 v[155:156], v[36:37], v[2:3], v[4:5]
	ds_load_b128 v[2:5], v1 offset:1200
	s_wait_loadcnt_dscnt 0x901
	v_mul_f64_e32 v[151:152], v[139:140], v[8:9]
	v_mul_f64_e32 v[8:9], v[141:142], v[8:9]
	scratch_load_b128 v[34:37], off, off offset:608
	ds_load_b128 v[147:150], v1 offset:1216
	s_wait_loadcnt_dscnt 0x901
	v_mul_f64_e32 v[157:158], v[2:3], v[12:13]
	v_mul_f64_e32 v[12:13], v[4:5], v[12:13]
	v_fma_f64 v[141:142], v[141:142], v[6:7], v[151:152]
	v_fma_f64 v[139:140], v[139:140], v[6:7], -v[8:9]
	v_add_f64_e32 v[151:152], 0, v[153:154]
	v_add_f64_e32 v[153:154], 0, v[155:156]
	scratch_load_b128 v[6:9], off, off offset:624
	v_fma_f64 v[157:158], v[4:5], v[10:11], v[157:158]
	v_fma_f64 v[159:160], v[2:3], v[10:11], -v[12:13]
	ds_load_b128 v[2:5], v1 offset:1232
	s_wait_loadcnt_dscnt 0x901
	v_mul_f64_e32 v[155:156], v[147:148], v[16:17]
	v_mul_f64_e32 v[16:17], v[149:150], v[16:17]
	scratch_load_b128 v[10:13], off, off offset:640
	v_add_f64_e32 v[151:152], v[151:152], v[139:140]
	v_add_f64_e32 v[153:154], v[153:154], v[141:142]
	s_wait_loadcnt_dscnt 0x900
	v_mul_f64_e32 v[161:162], v[2:3], v[20:21]
	v_mul_f64_e32 v[20:21], v[4:5], v[20:21]
	ds_load_b128 v[139:142], v1 offset:1248
	v_fma_f64 v[149:150], v[149:150], v[14:15], v[155:156]
	v_fma_f64 v[147:148], v[147:148], v[14:15], -v[16:17]
	scratch_load_b128 v[14:17], off, off offset:656
	v_add_f64_e32 v[151:152], v[151:152], v[159:160]
	v_add_f64_e32 v[153:154], v[153:154], v[157:158]
	v_fma_f64 v[157:158], v[4:5], v[18:19], v[161:162]
	v_fma_f64 v[159:160], v[2:3], v[18:19], -v[20:21]
	ds_load_b128 v[2:5], v1 offset:1264
	s_wait_loadcnt_dscnt 0x901
	v_mul_f64_e32 v[155:156], v[139:140], v[24:25]
	v_mul_f64_e32 v[24:25], v[141:142], v[24:25]
	scratch_load_b128 v[18:21], off, off offset:672
	s_wait_loadcnt_dscnt 0x900
	v_mul_f64_e32 v[161:162], v[2:3], v[28:29]
	v_mul_f64_e32 v[28:29], v[4:5], v[28:29]
	v_add_f64_e32 v[151:152], v[151:152], v[147:148]
	v_add_f64_e32 v[153:154], v[153:154], v[149:150]
	ds_load_b128 v[147:150], v1 offset:1280
	v_fma_f64 v[141:142], v[141:142], v[22:23], v[155:156]
	v_fma_f64 v[139:140], v[139:140], v[22:23], -v[24:25]
	scratch_load_b128 v[22:25], off, off offset:688
	v_add_f64_e32 v[151:152], v[151:152], v[159:160]
	v_add_f64_e32 v[153:154], v[153:154], v[157:158]
	v_fma_f64 v[157:158], v[4:5], v[26:27], v[161:162]
	v_fma_f64 v[159:160], v[2:3], v[26:27], -v[28:29]
	ds_load_b128 v[2:5], v1 offset:1296
	s_wait_loadcnt_dscnt 0x901
	v_mul_f64_e32 v[155:156], v[147:148], v[32:33]
	v_mul_f64_e32 v[32:33], v[149:150], v[32:33]
	scratch_load_b128 v[26:29], off, off offset:704
	s_wait_loadcnt_dscnt 0x900
	v_mul_f64_e32 v[161:162], v[2:3], v[40:41]
	v_mul_f64_e32 v[40:41], v[4:5], v[40:41]
	v_add_f64_e32 v[151:152], v[151:152], v[139:140]
	v_add_f64_e32 v[153:154], v[153:154], v[141:142]
	ds_load_b128 v[139:142], v1 offset:1312
	v_fma_f64 v[149:150], v[149:150], v[30:31], v[155:156]
	v_fma_f64 v[147:148], v[147:148], v[30:31], -v[32:33]
	scratch_load_b128 v[30:33], off, off offset:720
	v_add_f64_e32 v[151:152], v[151:152], v[159:160]
	v_add_f64_e32 v[153:154], v[153:154], v[157:158]
	v_fma_f64 v[159:160], v[4:5], v[38:39], v[161:162]
	v_fma_f64 v[161:162], v[2:3], v[38:39], -v[40:41]
	ds_load_b128 v[2:5], v1 offset:1328
	s_wait_loadcnt_dscnt 0x801
	v_mul_f64_e32 v[155:156], v[139:140], v[145:146]
	v_mul_f64_e32 v[157:158], v[141:142], v[145:146]
	scratch_load_b128 v[38:41], off, off offset:736
	v_add_f64_e32 v[151:152], v[151:152], v[147:148]
	v_add_f64_e32 v[149:150], v[153:154], v[149:150]
	ds_load_b128 v[145:148], v1 offset:1344
	v_fma_f64 v[141:142], v[141:142], v[143:144], v[155:156]
	v_fma_f64 v[139:140], v[139:140], v[143:144], -v[157:158]
	s_wait_loadcnt_dscnt 0x801
	v_mul_f64_e32 v[153:154], v[2:3], v[36:37]
	v_mul_f64_e32 v[36:37], v[4:5], v[36:37]
	v_add_f64_e32 v[143:144], v[151:152], v[161:162]
	v_add_f64_e32 v[149:150], v[149:150], v[159:160]
	s_delay_alu instid0(VALU_DEP_4) | instskip(NEXT) | instid1(VALU_DEP_4)
	v_fma_f64 v[153:154], v[4:5], v[34:35], v[153:154]
	v_fma_f64 v[155:156], v[2:3], v[34:35], -v[36:37]
	s_wait_loadcnt_dscnt 0x700
	v_mul_f64_e32 v[151:152], v[145:146], v[8:9]
	v_mul_f64_e32 v[8:9], v[147:148], v[8:9]
	ds_load_b128 v[2:5], v1 offset:1360
	ds_load_b128 v[34:37], v1 offset:1376
	v_add_f64_e32 v[139:140], v[143:144], v[139:140]
	v_add_f64_e32 v[141:142], v[149:150], v[141:142]
	s_wait_loadcnt_dscnt 0x601
	v_mul_f64_e32 v[143:144], v[2:3], v[12:13]
	v_mul_f64_e32 v[12:13], v[4:5], v[12:13]
	v_fma_f64 v[147:148], v[147:148], v[6:7], v[151:152]
	v_fma_f64 v[6:7], v[145:146], v[6:7], -v[8:9]
	v_add_f64_e32 v[8:9], v[139:140], v[155:156]
	v_add_f64_e32 v[139:140], v[141:142], v[153:154]
	s_wait_loadcnt_dscnt 0x500
	v_mul_f64_e32 v[141:142], v[34:35], v[16:17]
	v_mul_f64_e32 v[16:17], v[36:37], v[16:17]
	v_fma_f64 v[143:144], v[4:5], v[10:11], v[143:144]
	v_fma_f64 v[10:11], v[2:3], v[10:11], -v[12:13]
	v_add_f64_e32 v[12:13], v[8:9], v[6:7]
	v_add_f64_e32 v[139:140], v[139:140], v[147:148]
	ds_load_b128 v[2:5], v1 offset:1392
	ds_load_b128 v[6:9], v1 offset:1408
	v_fma_f64 v[36:37], v[36:37], v[14:15], v[141:142]
	v_fma_f64 v[14:15], v[34:35], v[14:15], -v[16:17]
	s_wait_loadcnt_dscnt 0x401
	v_mul_f64_e32 v[145:146], v[2:3], v[20:21]
	v_mul_f64_e32 v[20:21], v[4:5], v[20:21]
	s_wait_loadcnt_dscnt 0x300
	v_mul_f64_e32 v[16:17], v[6:7], v[24:25]
	v_mul_f64_e32 v[24:25], v[8:9], v[24:25]
	v_add_f64_e32 v[10:11], v[12:13], v[10:11]
	v_add_f64_e32 v[12:13], v[139:140], v[143:144]
	v_fma_f64 v[34:35], v[4:5], v[18:19], v[145:146]
	v_fma_f64 v[18:19], v[2:3], v[18:19], -v[20:21]
	v_fma_f64 v[8:9], v[8:9], v[22:23], v[16:17]
	v_fma_f64 v[6:7], v[6:7], v[22:23], -v[24:25]
	v_add_f64_e32 v[14:15], v[10:11], v[14:15]
	v_add_f64_e32 v[20:21], v[12:13], v[36:37]
	ds_load_b128 v[2:5], v1 offset:1424
	ds_load_b128 v[10:13], v1 offset:1440
	s_wait_loadcnt_dscnt 0x201
	v_mul_f64_e32 v[36:37], v[2:3], v[28:29]
	v_mul_f64_e32 v[28:29], v[4:5], v[28:29]
	v_add_f64_e32 v[14:15], v[14:15], v[18:19]
	v_add_f64_e32 v[16:17], v[20:21], v[34:35]
	s_wait_loadcnt_dscnt 0x100
	v_mul_f64_e32 v[18:19], v[10:11], v[32:33]
	v_mul_f64_e32 v[20:21], v[12:13], v[32:33]
	v_fma_f64 v[22:23], v[4:5], v[26:27], v[36:37]
	v_fma_f64 v[24:25], v[2:3], v[26:27], -v[28:29]
	ds_load_b128 v[2:5], v1 offset:1456
	v_add_f64_e32 v[6:7], v[14:15], v[6:7]
	v_add_f64_e32 v[8:9], v[16:17], v[8:9]
	v_fma_f64 v[12:13], v[12:13], v[30:31], v[18:19]
	v_fma_f64 v[10:11], v[10:11], v[30:31], -v[20:21]
	s_wait_loadcnt_dscnt 0x0
	v_mul_f64_e32 v[14:15], v[2:3], v[40:41]
	v_mul_f64_e32 v[16:17], v[4:5], v[40:41]
	v_add_f64_e32 v[6:7], v[6:7], v[24:25]
	v_add_f64_e32 v[8:9], v[8:9], v[22:23]
	s_delay_alu instid0(VALU_DEP_4) | instskip(NEXT) | instid1(VALU_DEP_4)
	v_fma_f64 v[4:5], v[4:5], v[38:39], v[14:15]
	v_fma_f64 v[2:3], v[2:3], v[38:39], -v[16:17]
	s_delay_alu instid0(VALU_DEP_4) | instskip(NEXT) | instid1(VALU_DEP_4)
	v_add_f64_e32 v[6:7], v[6:7], v[10:11]
	v_add_f64_e32 v[8:9], v[8:9], v[12:13]
	s_delay_alu instid0(VALU_DEP_2) | instskip(NEXT) | instid1(VALU_DEP_2)
	v_add_f64_e32 v[2:3], v[6:7], v[2:3]
	v_add_f64_e32 v[4:5], v[8:9], v[4:5]
	s_delay_alu instid0(VALU_DEP_2) | instskip(NEXT) | instid1(VALU_DEP_2)
	v_add_f64_e64 v[2:3], v[42:43], -v[2:3]
	v_add_f64_e64 v[4:5], v[44:45], -v[4:5]
	scratch_store_b128 off, v[2:5], off offset:432
	v_cmpx_lt_u32_e32 25, v0
	s_cbranch_execz .LBB45_239
; %bb.238:
	scratch_load_b128 v[5:8], off, s21
	v_dual_mov_b32 v2, v1 :: v_dual_mov_b32 v3, v1
	v_mov_b32_e32 v4, v1
	scratch_store_b128 off, v[1:4], off offset:416
	s_wait_loadcnt 0x0
	ds_store_b128 v138, v[5:8]
.LBB45_239:
	s_wait_alu 0xfffe
	s_or_b32 exec_lo, exec_lo, s0
	s_wait_storecnt_dscnt 0x0
	s_barrier_signal -1
	s_barrier_wait -1
	global_inv scope:SCOPE_SE
	s_clause 0x8
	scratch_load_b128 v[2:5], off, off offset:432
	scratch_load_b128 v[6:9], off, off offset:448
	;; [unrolled: 1-line block ×9, first 2 shown]
	ds_load_b128 v[38:41], v1 offset:1152
	ds_load_b128 v[42:45], v1 offset:1168
	s_clause 0x1
	scratch_load_b128 v[139:142], off, off offset:416
	scratch_load_b128 v[143:146], off, off offset:576
	s_mov_b32 s0, exec_lo
	s_wait_loadcnt_dscnt 0xa01
	v_mul_f64_e32 v[147:148], v[40:41], v[4:5]
	v_mul_f64_e32 v[4:5], v[38:39], v[4:5]
	s_wait_loadcnt_dscnt 0x900
	v_mul_f64_e32 v[151:152], v[42:43], v[8:9]
	v_mul_f64_e32 v[8:9], v[44:45], v[8:9]
	s_delay_alu instid0(VALU_DEP_4) | instskip(NEXT) | instid1(VALU_DEP_4)
	v_fma_f64 v[153:154], v[38:39], v[2:3], -v[147:148]
	v_fma_f64 v[155:156], v[40:41], v[2:3], v[4:5]
	ds_load_b128 v[2:5], v1 offset:1184
	ds_load_b128 v[147:150], v1 offset:1200
	scratch_load_b128 v[38:41], off, off offset:592
	v_fma_f64 v[44:45], v[44:45], v[6:7], v[151:152]
	v_fma_f64 v[42:43], v[42:43], v[6:7], -v[8:9]
	scratch_load_b128 v[6:9], off, off offset:608
	s_wait_loadcnt_dscnt 0xa01
	v_mul_f64_e32 v[157:158], v[2:3], v[12:13]
	v_mul_f64_e32 v[12:13], v[4:5], v[12:13]
	v_add_f64_e32 v[151:152], 0, v[153:154]
	v_add_f64_e32 v[153:154], 0, v[155:156]
	s_wait_loadcnt_dscnt 0x900
	v_mul_f64_e32 v[155:156], v[147:148], v[16:17]
	v_mul_f64_e32 v[16:17], v[149:150], v[16:17]
	v_fma_f64 v[157:158], v[4:5], v[10:11], v[157:158]
	v_fma_f64 v[159:160], v[2:3], v[10:11], -v[12:13]
	ds_load_b128 v[2:5], v1 offset:1216
	scratch_load_b128 v[10:13], off, off offset:624
	v_add_f64_e32 v[151:152], v[151:152], v[42:43]
	v_add_f64_e32 v[153:154], v[153:154], v[44:45]
	ds_load_b128 v[42:45], v1 offset:1232
	v_fma_f64 v[149:150], v[149:150], v[14:15], v[155:156]
	v_fma_f64 v[147:148], v[147:148], v[14:15], -v[16:17]
	scratch_load_b128 v[14:17], off, off offset:640
	s_wait_loadcnt_dscnt 0xa01
	v_mul_f64_e32 v[161:162], v[2:3], v[20:21]
	v_mul_f64_e32 v[20:21], v[4:5], v[20:21]
	s_wait_loadcnt_dscnt 0x900
	v_mul_f64_e32 v[155:156], v[42:43], v[24:25]
	v_mul_f64_e32 v[24:25], v[44:45], v[24:25]
	v_add_f64_e32 v[151:152], v[151:152], v[159:160]
	v_add_f64_e32 v[153:154], v[153:154], v[157:158]
	v_fma_f64 v[157:158], v[4:5], v[18:19], v[161:162]
	v_fma_f64 v[159:160], v[2:3], v[18:19], -v[20:21]
	ds_load_b128 v[2:5], v1 offset:1248
	scratch_load_b128 v[18:21], off, off offset:656
	v_fma_f64 v[44:45], v[44:45], v[22:23], v[155:156]
	v_fma_f64 v[42:43], v[42:43], v[22:23], -v[24:25]
	scratch_load_b128 v[22:25], off, off offset:672
	v_add_f64_e32 v[151:152], v[151:152], v[147:148]
	v_add_f64_e32 v[153:154], v[153:154], v[149:150]
	ds_load_b128 v[147:150], v1 offset:1264
	s_wait_loadcnt_dscnt 0xa01
	v_mul_f64_e32 v[161:162], v[2:3], v[28:29]
	v_mul_f64_e32 v[28:29], v[4:5], v[28:29]
	s_wait_loadcnt_dscnt 0x900
	v_mul_f64_e32 v[155:156], v[147:148], v[32:33]
	v_mul_f64_e32 v[32:33], v[149:150], v[32:33]
	v_add_f64_e32 v[151:152], v[151:152], v[159:160]
	v_add_f64_e32 v[153:154], v[153:154], v[157:158]
	v_fma_f64 v[157:158], v[4:5], v[26:27], v[161:162]
	v_fma_f64 v[159:160], v[2:3], v[26:27], -v[28:29]
	ds_load_b128 v[2:5], v1 offset:1280
	scratch_load_b128 v[26:29], off, off offset:688
	v_fma_f64 v[149:150], v[149:150], v[30:31], v[155:156]
	v_fma_f64 v[147:148], v[147:148], v[30:31], -v[32:33]
	scratch_load_b128 v[30:33], off, off offset:704
	v_add_f64_e32 v[151:152], v[151:152], v[42:43]
	v_add_f64_e32 v[153:154], v[153:154], v[44:45]
	ds_load_b128 v[42:45], v1 offset:1296
	s_wait_loadcnt_dscnt 0xa01
	v_mul_f64_e32 v[161:162], v[2:3], v[36:37]
	v_mul_f64_e32 v[36:37], v[4:5], v[36:37]
	s_wait_loadcnt_dscnt 0x800
	v_mul_f64_e32 v[155:156], v[42:43], v[145:146]
	v_add_f64_e32 v[151:152], v[151:152], v[159:160]
	v_add_f64_e32 v[153:154], v[153:154], v[157:158]
	v_mul_f64_e32 v[157:158], v[44:45], v[145:146]
	v_fma_f64 v[159:160], v[4:5], v[34:35], v[161:162]
	v_fma_f64 v[161:162], v[2:3], v[34:35], -v[36:37]
	ds_load_b128 v[2:5], v1 offset:1312
	scratch_load_b128 v[34:37], off, off offset:720
	v_fma_f64 v[44:45], v[44:45], v[143:144], v[155:156]
	v_add_f64_e32 v[151:152], v[151:152], v[147:148]
	v_add_f64_e32 v[149:150], v[153:154], v[149:150]
	ds_load_b128 v[145:148], v1 offset:1328
	v_fma_f64 v[143:144], v[42:43], v[143:144], -v[157:158]
	s_wait_loadcnt_dscnt 0x801
	v_mul_f64_e32 v[153:154], v[2:3], v[40:41]
	v_mul_f64_e32 v[163:164], v[4:5], v[40:41]
	scratch_load_b128 v[40:43], off, off offset:736
	s_wait_loadcnt_dscnt 0x800
	v_mul_f64_e32 v[155:156], v[145:146], v[8:9]
	v_mul_f64_e32 v[8:9], v[147:148], v[8:9]
	v_add_f64_e32 v[151:152], v[151:152], v[161:162]
	v_add_f64_e32 v[149:150], v[149:150], v[159:160]
	v_fma_f64 v[153:154], v[4:5], v[38:39], v[153:154]
	v_fma_f64 v[38:39], v[2:3], v[38:39], -v[163:164]
	v_fma_f64 v[147:148], v[147:148], v[6:7], v[155:156]
	v_fma_f64 v[6:7], v[145:146], v[6:7], -v[8:9]
	v_add_f64_e32 v[143:144], v[151:152], v[143:144]
	v_add_f64_e32 v[44:45], v[149:150], v[44:45]
	ds_load_b128 v[2:5], v1 offset:1344
	ds_load_b128 v[149:152], v1 offset:1360
	s_wait_loadcnt_dscnt 0x701
	v_mul_f64_e32 v[157:158], v[2:3], v[12:13]
	v_mul_f64_e32 v[12:13], v[4:5], v[12:13]
	v_add_f64_e32 v[8:9], v[143:144], v[38:39]
	v_add_f64_e32 v[38:39], v[44:45], v[153:154]
	s_wait_loadcnt_dscnt 0x600
	v_mul_f64_e32 v[44:45], v[149:150], v[16:17]
	v_mul_f64_e32 v[16:17], v[151:152], v[16:17]
	v_fma_f64 v[143:144], v[4:5], v[10:11], v[157:158]
	v_fma_f64 v[10:11], v[2:3], v[10:11], -v[12:13]
	v_add_f64_e32 v[12:13], v[8:9], v[6:7]
	v_add_f64_e32 v[38:39], v[38:39], v[147:148]
	ds_load_b128 v[2:5], v1 offset:1376
	ds_load_b128 v[6:9], v1 offset:1392
	v_fma_f64 v[44:45], v[151:152], v[14:15], v[44:45]
	v_fma_f64 v[14:15], v[149:150], v[14:15], -v[16:17]
	s_wait_loadcnt_dscnt 0x501
	v_mul_f64_e32 v[145:146], v[2:3], v[20:21]
	v_mul_f64_e32 v[20:21], v[4:5], v[20:21]
	s_wait_loadcnt_dscnt 0x400
	v_mul_f64_e32 v[16:17], v[6:7], v[24:25]
	v_mul_f64_e32 v[24:25], v[8:9], v[24:25]
	v_add_f64_e32 v[10:11], v[12:13], v[10:11]
	v_add_f64_e32 v[12:13], v[38:39], v[143:144]
	v_fma_f64 v[38:39], v[4:5], v[18:19], v[145:146]
	v_fma_f64 v[18:19], v[2:3], v[18:19], -v[20:21]
	v_fma_f64 v[8:9], v[8:9], v[22:23], v[16:17]
	v_fma_f64 v[6:7], v[6:7], v[22:23], -v[24:25]
	v_add_f64_e32 v[14:15], v[10:11], v[14:15]
	v_add_f64_e32 v[20:21], v[12:13], v[44:45]
	ds_load_b128 v[2:5], v1 offset:1408
	ds_load_b128 v[10:13], v1 offset:1424
	s_wait_loadcnt_dscnt 0x301
	v_mul_f64_e32 v[44:45], v[2:3], v[28:29]
	v_mul_f64_e32 v[28:29], v[4:5], v[28:29]
	v_add_f64_e32 v[14:15], v[14:15], v[18:19]
	v_add_f64_e32 v[16:17], v[20:21], v[38:39]
	s_wait_loadcnt_dscnt 0x200
	v_mul_f64_e32 v[18:19], v[10:11], v[32:33]
	v_mul_f64_e32 v[20:21], v[12:13], v[32:33]
	v_fma_f64 v[22:23], v[4:5], v[26:27], v[44:45]
	v_fma_f64 v[24:25], v[2:3], v[26:27], -v[28:29]
	v_add_f64_e32 v[14:15], v[14:15], v[6:7]
	v_add_f64_e32 v[16:17], v[16:17], v[8:9]
	ds_load_b128 v[2:5], v1 offset:1440
	ds_load_b128 v[6:9], v1 offset:1456
	v_fma_f64 v[12:13], v[12:13], v[30:31], v[18:19]
	v_fma_f64 v[10:11], v[10:11], v[30:31], -v[20:21]
	s_wait_loadcnt_dscnt 0x101
	v_mul_f64_e32 v[26:27], v[2:3], v[36:37]
	v_mul_f64_e32 v[28:29], v[4:5], v[36:37]
	s_wait_loadcnt_dscnt 0x0
	v_mul_f64_e32 v[18:19], v[6:7], v[42:43]
	v_add_f64_e32 v[14:15], v[14:15], v[24:25]
	v_add_f64_e32 v[16:17], v[16:17], v[22:23]
	v_mul_f64_e32 v[20:21], v[8:9], v[42:43]
	v_fma_f64 v[4:5], v[4:5], v[34:35], v[26:27]
	v_fma_f64 v[1:2], v[2:3], v[34:35], -v[28:29]
	v_fma_f64 v[8:9], v[8:9], v[40:41], v[18:19]
	v_add_f64_e32 v[10:11], v[14:15], v[10:11]
	v_add_f64_e32 v[12:13], v[16:17], v[12:13]
	v_fma_f64 v[6:7], v[6:7], v[40:41], -v[20:21]
	s_delay_alu instid0(VALU_DEP_3) | instskip(NEXT) | instid1(VALU_DEP_3)
	v_add_f64_e32 v[1:2], v[10:11], v[1:2]
	v_add_f64_e32 v[3:4], v[12:13], v[4:5]
	s_delay_alu instid0(VALU_DEP_2) | instskip(NEXT) | instid1(VALU_DEP_2)
	v_add_f64_e32 v[1:2], v[1:2], v[6:7]
	v_add_f64_e32 v[3:4], v[3:4], v[8:9]
	s_delay_alu instid0(VALU_DEP_2) | instskip(NEXT) | instid1(VALU_DEP_2)
	v_add_f64_e64 v[1:2], v[139:140], -v[1:2]
	v_add_f64_e64 v[3:4], v[141:142], -v[3:4]
	scratch_store_b128 off, v[1:4], off offset:416
	v_cmpx_lt_u32_e32 24, v0
	s_cbranch_execz .LBB45_241
; %bb.240:
	scratch_load_b128 v[1:4], off, s24
	v_mov_b32_e32 v5, 0
	s_delay_alu instid0(VALU_DEP_1)
	v_dual_mov_b32 v6, v5 :: v_dual_mov_b32 v7, v5
	v_mov_b32_e32 v8, v5
	scratch_store_b128 off, v[5:8], off offset:400
	s_wait_loadcnt 0x0
	ds_store_b128 v138, v[1:4]
.LBB45_241:
	s_wait_alu 0xfffe
	s_or_b32 exec_lo, exec_lo, s0
	s_wait_storecnt_dscnt 0x0
	s_barrier_signal -1
	s_barrier_wait -1
	global_inv scope:SCOPE_SE
	s_clause 0x7
	scratch_load_b128 v[2:5], off, off offset:416
	scratch_load_b128 v[6:9], off, off offset:432
	;; [unrolled: 1-line block ×8, first 2 shown]
	v_mov_b32_e32 v1, 0
	s_mov_b32 s0, exec_lo
	ds_load_b128 v[34:37], v1 offset:1136
	s_clause 0x1
	scratch_load_b128 v[38:41], off, off offset:544
	scratch_load_b128 v[42:45], off, off offset:400
	ds_load_b128 v[139:142], v1 offset:1152
	scratch_load_b128 v[143:146], off, off offset:560
	s_wait_loadcnt_dscnt 0xa01
	v_mul_f64_e32 v[147:148], v[36:37], v[4:5]
	v_mul_f64_e32 v[4:5], v[34:35], v[4:5]
	s_delay_alu instid0(VALU_DEP_2) | instskip(NEXT) | instid1(VALU_DEP_2)
	v_fma_f64 v[153:154], v[34:35], v[2:3], -v[147:148]
	v_fma_f64 v[155:156], v[36:37], v[2:3], v[4:5]
	ds_load_b128 v[2:5], v1 offset:1168
	s_wait_loadcnt_dscnt 0x901
	v_mul_f64_e32 v[151:152], v[139:140], v[8:9]
	v_mul_f64_e32 v[8:9], v[141:142], v[8:9]
	scratch_load_b128 v[34:37], off, off offset:576
	ds_load_b128 v[147:150], v1 offset:1184
	s_wait_loadcnt_dscnt 0x901
	v_mul_f64_e32 v[157:158], v[2:3], v[12:13]
	v_mul_f64_e32 v[12:13], v[4:5], v[12:13]
	v_fma_f64 v[141:142], v[141:142], v[6:7], v[151:152]
	v_fma_f64 v[139:140], v[139:140], v[6:7], -v[8:9]
	v_add_f64_e32 v[151:152], 0, v[153:154]
	v_add_f64_e32 v[153:154], 0, v[155:156]
	scratch_load_b128 v[6:9], off, off offset:592
	v_fma_f64 v[157:158], v[4:5], v[10:11], v[157:158]
	v_fma_f64 v[159:160], v[2:3], v[10:11], -v[12:13]
	ds_load_b128 v[2:5], v1 offset:1200
	s_wait_loadcnt_dscnt 0x901
	v_mul_f64_e32 v[155:156], v[147:148], v[16:17]
	v_mul_f64_e32 v[16:17], v[149:150], v[16:17]
	scratch_load_b128 v[10:13], off, off offset:608
	v_add_f64_e32 v[151:152], v[151:152], v[139:140]
	v_add_f64_e32 v[153:154], v[153:154], v[141:142]
	s_wait_loadcnt_dscnt 0x900
	v_mul_f64_e32 v[161:162], v[2:3], v[20:21]
	v_mul_f64_e32 v[20:21], v[4:5], v[20:21]
	ds_load_b128 v[139:142], v1 offset:1216
	v_fma_f64 v[149:150], v[149:150], v[14:15], v[155:156]
	v_fma_f64 v[147:148], v[147:148], v[14:15], -v[16:17]
	scratch_load_b128 v[14:17], off, off offset:624
	v_add_f64_e32 v[151:152], v[151:152], v[159:160]
	v_add_f64_e32 v[153:154], v[153:154], v[157:158]
	v_fma_f64 v[157:158], v[4:5], v[18:19], v[161:162]
	v_fma_f64 v[159:160], v[2:3], v[18:19], -v[20:21]
	ds_load_b128 v[2:5], v1 offset:1232
	s_wait_loadcnt_dscnt 0x901
	v_mul_f64_e32 v[155:156], v[139:140], v[24:25]
	v_mul_f64_e32 v[24:25], v[141:142], v[24:25]
	scratch_load_b128 v[18:21], off, off offset:640
	s_wait_loadcnt_dscnt 0x900
	v_mul_f64_e32 v[161:162], v[2:3], v[28:29]
	v_mul_f64_e32 v[28:29], v[4:5], v[28:29]
	v_add_f64_e32 v[151:152], v[151:152], v[147:148]
	v_add_f64_e32 v[153:154], v[153:154], v[149:150]
	ds_load_b128 v[147:150], v1 offset:1248
	v_fma_f64 v[141:142], v[141:142], v[22:23], v[155:156]
	v_fma_f64 v[139:140], v[139:140], v[22:23], -v[24:25]
	scratch_load_b128 v[22:25], off, off offset:656
	v_add_f64_e32 v[151:152], v[151:152], v[159:160]
	v_add_f64_e32 v[153:154], v[153:154], v[157:158]
	v_fma_f64 v[157:158], v[4:5], v[26:27], v[161:162]
	v_fma_f64 v[159:160], v[2:3], v[26:27], -v[28:29]
	ds_load_b128 v[2:5], v1 offset:1264
	s_wait_loadcnt_dscnt 0x901
	v_mul_f64_e32 v[155:156], v[147:148], v[32:33]
	v_mul_f64_e32 v[32:33], v[149:150], v[32:33]
	scratch_load_b128 v[26:29], off, off offset:672
	s_wait_loadcnt_dscnt 0x900
	v_mul_f64_e32 v[161:162], v[2:3], v[40:41]
	v_mul_f64_e32 v[40:41], v[4:5], v[40:41]
	v_add_f64_e32 v[151:152], v[151:152], v[139:140]
	v_add_f64_e32 v[153:154], v[153:154], v[141:142]
	ds_load_b128 v[139:142], v1 offset:1280
	v_fma_f64 v[149:150], v[149:150], v[30:31], v[155:156]
	v_fma_f64 v[147:148], v[147:148], v[30:31], -v[32:33]
	scratch_load_b128 v[30:33], off, off offset:688
	v_add_f64_e32 v[151:152], v[151:152], v[159:160]
	v_add_f64_e32 v[153:154], v[153:154], v[157:158]
	v_fma_f64 v[159:160], v[4:5], v[38:39], v[161:162]
	v_fma_f64 v[161:162], v[2:3], v[38:39], -v[40:41]
	ds_load_b128 v[2:5], v1 offset:1296
	s_wait_loadcnt_dscnt 0x801
	v_mul_f64_e32 v[155:156], v[139:140], v[145:146]
	v_mul_f64_e32 v[157:158], v[141:142], v[145:146]
	scratch_load_b128 v[38:41], off, off offset:704
	v_add_f64_e32 v[151:152], v[151:152], v[147:148]
	v_add_f64_e32 v[149:150], v[153:154], v[149:150]
	ds_load_b128 v[145:148], v1 offset:1312
	v_fma_f64 v[155:156], v[141:142], v[143:144], v[155:156]
	v_fma_f64 v[143:144], v[139:140], v[143:144], -v[157:158]
	scratch_load_b128 v[139:142], off, off offset:720
	s_wait_loadcnt_dscnt 0x901
	v_mul_f64_e32 v[153:154], v[2:3], v[36:37]
	v_mul_f64_e32 v[36:37], v[4:5], v[36:37]
	v_add_f64_e32 v[151:152], v[151:152], v[161:162]
	v_add_f64_e32 v[149:150], v[149:150], v[159:160]
	s_delay_alu instid0(VALU_DEP_4) | instskip(NEXT) | instid1(VALU_DEP_4)
	v_fma_f64 v[153:154], v[4:5], v[34:35], v[153:154]
	v_fma_f64 v[159:160], v[2:3], v[34:35], -v[36:37]
	ds_load_b128 v[2:5], v1 offset:1328
	s_wait_loadcnt_dscnt 0x801
	v_mul_f64_e32 v[157:158], v[145:146], v[8:9]
	v_mul_f64_e32 v[8:9], v[147:148], v[8:9]
	scratch_load_b128 v[34:37], off, off offset:736
	s_wait_loadcnt_dscnt 0x800
	v_mul_f64_e32 v[161:162], v[2:3], v[12:13]
	v_add_f64_e32 v[143:144], v[151:152], v[143:144]
	v_add_f64_e32 v[155:156], v[149:150], v[155:156]
	v_mul_f64_e32 v[12:13], v[4:5], v[12:13]
	ds_load_b128 v[149:152], v1 offset:1344
	v_fma_f64 v[147:148], v[147:148], v[6:7], v[157:158]
	v_fma_f64 v[6:7], v[145:146], v[6:7], -v[8:9]
	s_wait_loadcnt_dscnt 0x700
	v_mul_f64_e32 v[145:146], v[149:150], v[16:17]
	v_add_f64_e32 v[8:9], v[143:144], v[159:160]
	v_add_f64_e32 v[143:144], v[155:156], v[153:154]
	v_mul_f64_e32 v[16:17], v[151:152], v[16:17]
	v_fma_f64 v[153:154], v[4:5], v[10:11], v[161:162]
	v_fma_f64 v[10:11], v[2:3], v[10:11], -v[12:13]
	v_fma_f64 v[145:146], v[151:152], v[14:15], v[145:146]
	v_add_f64_e32 v[12:13], v[8:9], v[6:7]
	v_add_f64_e32 v[143:144], v[143:144], v[147:148]
	ds_load_b128 v[2:5], v1 offset:1360
	ds_load_b128 v[6:9], v1 offset:1376
	v_fma_f64 v[14:15], v[149:150], v[14:15], -v[16:17]
	s_wait_loadcnt_dscnt 0x601
	v_mul_f64_e32 v[147:148], v[2:3], v[20:21]
	v_mul_f64_e32 v[20:21], v[4:5], v[20:21]
	s_wait_loadcnt_dscnt 0x500
	v_mul_f64_e32 v[16:17], v[6:7], v[24:25]
	v_mul_f64_e32 v[24:25], v[8:9], v[24:25]
	v_add_f64_e32 v[10:11], v[12:13], v[10:11]
	v_add_f64_e32 v[12:13], v[143:144], v[153:154]
	v_fma_f64 v[143:144], v[4:5], v[18:19], v[147:148]
	v_fma_f64 v[18:19], v[2:3], v[18:19], -v[20:21]
	v_fma_f64 v[8:9], v[8:9], v[22:23], v[16:17]
	v_fma_f64 v[6:7], v[6:7], v[22:23], -v[24:25]
	v_add_f64_e32 v[14:15], v[10:11], v[14:15]
	v_add_f64_e32 v[20:21], v[12:13], v[145:146]
	ds_load_b128 v[2:5], v1 offset:1392
	ds_load_b128 v[10:13], v1 offset:1408
	s_wait_loadcnt_dscnt 0x401
	v_mul_f64_e32 v[145:146], v[2:3], v[28:29]
	v_mul_f64_e32 v[28:29], v[4:5], v[28:29]
	v_add_f64_e32 v[14:15], v[14:15], v[18:19]
	v_add_f64_e32 v[16:17], v[20:21], v[143:144]
	s_wait_loadcnt_dscnt 0x300
	v_mul_f64_e32 v[18:19], v[10:11], v[32:33]
	v_mul_f64_e32 v[20:21], v[12:13], v[32:33]
	v_fma_f64 v[22:23], v[4:5], v[26:27], v[145:146]
	v_fma_f64 v[24:25], v[2:3], v[26:27], -v[28:29]
	v_add_f64_e32 v[14:15], v[14:15], v[6:7]
	v_add_f64_e32 v[16:17], v[16:17], v[8:9]
	ds_load_b128 v[2:5], v1 offset:1424
	ds_load_b128 v[6:9], v1 offset:1440
	v_fma_f64 v[12:13], v[12:13], v[30:31], v[18:19]
	v_fma_f64 v[10:11], v[10:11], v[30:31], -v[20:21]
	s_wait_loadcnt_dscnt 0x201
	v_mul_f64_e32 v[26:27], v[2:3], v[40:41]
	v_mul_f64_e32 v[28:29], v[4:5], v[40:41]
	s_wait_loadcnt_dscnt 0x100
	v_mul_f64_e32 v[18:19], v[6:7], v[141:142]
	v_mul_f64_e32 v[20:21], v[8:9], v[141:142]
	v_add_f64_e32 v[14:15], v[14:15], v[24:25]
	v_add_f64_e32 v[16:17], v[16:17], v[22:23]
	v_fma_f64 v[22:23], v[4:5], v[38:39], v[26:27]
	v_fma_f64 v[24:25], v[2:3], v[38:39], -v[28:29]
	ds_load_b128 v[2:5], v1 offset:1456
	v_fma_f64 v[8:9], v[8:9], v[139:140], v[18:19]
	v_fma_f64 v[6:7], v[6:7], v[139:140], -v[20:21]
	v_add_f64_e32 v[10:11], v[14:15], v[10:11]
	v_add_f64_e32 v[12:13], v[16:17], v[12:13]
	s_wait_loadcnt_dscnt 0x0
	v_mul_f64_e32 v[14:15], v[2:3], v[36:37]
	v_mul_f64_e32 v[16:17], v[4:5], v[36:37]
	s_delay_alu instid0(VALU_DEP_4) | instskip(NEXT) | instid1(VALU_DEP_4)
	v_add_f64_e32 v[10:11], v[10:11], v[24:25]
	v_add_f64_e32 v[12:13], v[12:13], v[22:23]
	s_delay_alu instid0(VALU_DEP_4) | instskip(NEXT) | instid1(VALU_DEP_4)
	v_fma_f64 v[4:5], v[4:5], v[34:35], v[14:15]
	v_fma_f64 v[2:3], v[2:3], v[34:35], -v[16:17]
	s_delay_alu instid0(VALU_DEP_4) | instskip(NEXT) | instid1(VALU_DEP_4)
	v_add_f64_e32 v[6:7], v[10:11], v[6:7]
	v_add_f64_e32 v[8:9], v[12:13], v[8:9]
	s_delay_alu instid0(VALU_DEP_2) | instskip(NEXT) | instid1(VALU_DEP_2)
	v_add_f64_e32 v[2:3], v[6:7], v[2:3]
	v_add_f64_e32 v[4:5], v[8:9], v[4:5]
	s_delay_alu instid0(VALU_DEP_2) | instskip(NEXT) | instid1(VALU_DEP_2)
	v_add_f64_e64 v[2:3], v[42:43], -v[2:3]
	v_add_f64_e64 v[4:5], v[44:45], -v[4:5]
	scratch_store_b128 off, v[2:5], off offset:400
	v_cmpx_lt_u32_e32 23, v0
	s_cbranch_execz .LBB45_243
; %bb.242:
	scratch_load_b128 v[5:8], off, s23
	v_dual_mov_b32 v2, v1 :: v_dual_mov_b32 v3, v1
	v_mov_b32_e32 v4, v1
	scratch_store_b128 off, v[1:4], off offset:384
	s_wait_loadcnt 0x0
	ds_store_b128 v138, v[5:8]
.LBB45_243:
	s_wait_alu 0xfffe
	s_or_b32 exec_lo, exec_lo, s0
	s_wait_storecnt_dscnt 0x0
	s_barrier_signal -1
	s_barrier_wait -1
	global_inv scope:SCOPE_SE
	s_clause 0x8
	scratch_load_b128 v[2:5], off, off offset:400
	scratch_load_b128 v[6:9], off, off offset:416
	;; [unrolled: 1-line block ×9, first 2 shown]
	ds_load_b128 v[38:41], v1 offset:1120
	ds_load_b128 v[42:45], v1 offset:1136
	s_clause 0x1
	scratch_load_b128 v[139:142], off, off offset:384
	scratch_load_b128 v[143:146], off, off offset:544
	s_mov_b32 s0, exec_lo
	s_wait_loadcnt_dscnt 0xa01
	v_mul_f64_e32 v[147:148], v[40:41], v[4:5]
	v_mul_f64_e32 v[4:5], v[38:39], v[4:5]
	s_wait_loadcnt_dscnt 0x900
	v_mul_f64_e32 v[151:152], v[42:43], v[8:9]
	v_mul_f64_e32 v[8:9], v[44:45], v[8:9]
	s_delay_alu instid0(VALU_DEP_4) | instskip(NEXT) | instid1(VALU_DEP_4)
	v_fma_f64 v[153:154], v[38:39], v[2:3], -v[147:148]
	v_fma_f64 v[155:156], v[40:41], v[2:3], v[4:5]
	ds_load_b128 v[2:5], v1 offset:1152
	ds_load_b128 v[147:150], v1 offset:1168
	scratch_load_b128 v[38:41], off, off offset:560
	v_fma_f64 v[44:45], v[44:45], v[6:7], v[151:152]
	v_fma_f64 v[42:43], v[42:43], v[6:7], -v[8:9]
	scratch_load_b128 v[6:9], off, off offset:576
	s_wait_loadcnt_dscnt 0xa01
	v_mul_f64_e32 v[157:158], v[2:3], v[12:13]
	v_mul_f64_e32 v[12:13], v[4:5], v[12:13]
	v_add_f64_e32 v[151:152], 0, v[153:154]
	v_add_f64_e32 v[153:154], 0, v[155:156]
	s_wait_loadcnt_dscnt 0x900
	v_mul_f64_e32 v[155:156], v[147:148], v[16:17]
	v_mul_f64_e32 v[16:17], v[149:150], v[16:17]
	v_fma_f64 v[157:158], v[4:5], v[10:11], v[157:158]
	v_fma_f64 v[159:160], v[2:3], v[10:11], -v[12:13]
	ds_load_b128 v[2:5], v1 offset:1184
	scratch_load_b128 v[10:13], off, off offset:592
	v_add_f64_e32 v[151:152], v[151:152], v[42:43]
	v_add_f64_e32 v[153:154], v[153:154], v[44:45]
	ds_load_b128 v[42:45], v1 offset:1200
	v_fma_f64 v[149:150], v[149:150], v[14:15], v[155:156]
	v_fma_f64 v[147:148], v[147:148], v[14:15], -v[16:17]
	scratch_load_b128 v[14:17], off, off offset:608
	s_wait_loadcnt_dscnt 0xa01
	v_mul_f64_e32 v[161:162], v[2:3], v[20:21]
	v_mul_f64_e32 v[20:21], v[4:5], v[20:21]
	s_wait_loadcnt_dscnt 0x900
	v_mul_f64_e32 v[155:156], v[42:43], v[24:25]
	v_mul_f64_e32 v[24:25], v[44:45], v[24:25]
	v_add_f64_e32 v[151:152], v[151:152], v[159:160]
	v_add_f64_e32 v[153:154], v[153:154], v[157:158]
	v_fma_f64 v[157:158], v[4:5], v[18:19], v[161:162]
	v_fma_f64 v[159:160], v[2:3], v[18:19], -v[20:21]
	ds_load_b128 v[2:5], v1 offset:1216
	scratch_load_b128 v[18:21], off, off offset:624
	v_fma_f64 v[44:45], v[44:45], v[22:23], v[155:156]
	v_fma_f64 v[42:43], v[42:43], v[22:23], -v[24:25]
	scratch_load_b128 v[22:25], off, off offset:640
	v_add_f64_e32 v[151:152], v[151:152], v[147:148]
	v_add_f64_e32 v[153:154], v[153:154], v[149:150]
	ds_load_b128 v[147:150], v1 offset:1232
	s_wait_loadcnt_dscnt 0xa01
	v_mul_f64_e32 v[161:162], v[2:3], v[28:29]
	v_mul_f64_e32 v[28:29], v[4:5], v[28:29]
	s_wait_loadcnt_dscnt 0x900
	v_mul_f64_e32 v[155:156], v[147:148], v[32:33]
	v_mul_f64_e32 v[32:33], v[149:150], v[32:33]
	v_add_f64_e32 v[151:152], v[151:152], v[159:160]
	v_add_f64_e32 v[153:154], v[153:154], v[157:158]
	v_fma_f64 v[157:158], v[4:5], v[26:27], v[161:162]
	v_fma_f64 v[159:160], v[2:3], v[26:27], -v[28:29]
	ds_load_b128 v[2:5], v1 offset:1248
	scratch_load_b128 v[26:29], off, off offset:656
	v_fma_f64 v[149:150], v[149:150], v[30:31], v[155:156]
	v_fma_f64 v[147:148], v[147:148], v[30:31], -v[32:33]
	scratch_load_b128 v[30:33], off, off offset:672
	v_add_f64_e32 v[151:152], v[151:152], v[42:43]
	v_add_f64_e32 v[153:154], v[153:154], v[44:45]
	ds_load_b128 v[42:45], v1 offset:1264
	s_wait_loadcnt_dscnt 0xa01
	v_mul_f64_e32 v[161:162], v[2:3], v[36:37]
	v_mul_f64_e32 v[36:37], v[4:5], v[36:37]
	s_wait_loadcnt_dscnt 0x800
	v_mul_f64_e32 v[155:156], v[42:43], v[145:146]
	v_add_f64_e32 v[151:152], v[151:152], v[159:160]
	v_add_f64_e32 v[153:154], v[153:154], v[157:158]
	v_mul_f64_e32 v[157:158], v[44:45], v[145:146]
	v_fma_f64 v[159:160], v[4:5], v[34:35], v[161:162]
	v_fma_f64 v[161:162], v[2:3], v[34:35], -v[36:37]
	ds_load_b128 v[2:5], v1 offset:1280
	scratch_load_b128 v[34:37], off, off offset:688
	v_fma_f64 v[44:45], v[44:45], v[143:144], v[155:156]
	v_add_f64_e32 v[151:152], v[151:152], v[147:148]
	v_add_f64_e32 v[149:150], v[153:154], v[149:150]
	ds_load_b128 v[145:148], v1 offset:1296
	v_fma_f64 v[143:144], v[42:43], v[143:144], -v[157:158]
	s_wait_loadcnt_dscnt 0x801
	v_mul_f64_e32 v[153:154], v[2:3], v[40:41]
	v_mul_f64_e32 v[163:164], v[4:5], v[40:41]
	scratch_load_b128 v[40:43], off, off offset:704
	s_wait_loadcnt_dscnt 0x800
	v_mul_f64_e32 v[157:158], v[145:146], v[8:9]
	v_mul_f64_e32 v[8:9], v[147:148], v[8:9]
	v_add_f64_e32 v[151:152], v[151:152], v[161:162]
	v_add_f64_e32 v[149:150], v[149:150], v[159:160]
	v_fma_f64 v[159:160], v[4:5], v[38:39], v[153:154]
	v_fma_f64 v[38:39], v[2:3], v[38:39], -v[163:164]
	ds_load_b128 v[2:5], v1 offset:1312
	ds_load_b128 v[153:156], v1 offset:1328
	v_fma_f64 v[147:148], v[147:148], v[6:7], v[157:158]
	v_fma_f64 v[145:146], v[145:146], v[6:7], -v[8:9]
	scratch_load_b128 v[6:9], off, off offset:736
	v_add_f64_e32 v[143:144], v[151:152], v[143:144]
	v_add_f64_e32 v[44:45], v[149:150], v[44:45]
	scratch_load_b128 v[149:152], off, off offset:720
	s_wait_loadcnt_dscnt 0x901
	v_mul_f64_e32 v[161:162], v[2:3], v[12:13]
	v_mul_f64_e32 v[12:13], v[4:5], v[12:13]
	v_add_f64_e32 v[38:39], v[143:144], v[38:39]
	v_add_f64_e32 v[44:45], v[44:45], v[159:160]
	s_wait_loadcnt_dscnt 0x800
	v_mul_f64_e32 v[143:144], v[153:154], v[16:17]
	v_mul_f64_e32 v[16:17], v[155:156], v[16:17]
	v_fma_f64 v[157:158], v[4:5], v[10:11], v[161:162]
	v_fma_f64 v[159:160], v[2:3], v[10:11], -v[12:13]
	ds_load_b128 v[2:5], v1 offset:1344
	ds_load_b128 v[10:13], v1 offset:1360
	v_add_f64_e32 v[38:39], v[38:39], v[145:146]
	v_add_f64_e32 v[44:45], v[44:45], v[147:148]
	s_wait_loadcnt_dscnt 0x701
	v_mul_f64_e32 v[145:146], v[2:3], v[20:21]
	v_mul_f64_e32 v[20:21], v[4:5], v[20:21]
	v_fma_f64 v[143:144], v[155:156], v[14:15], v[143:144]
	v_fma_f64 v[14:15], v[153:154], v[14:15], -v[16:17]
	v_add_f64_e32 v[16:17], v[38:39], v[159:160]
	v_add_f64_e32 v[38:39], v[44:45], v[157:158]
	s_wait_loadcnt_dscnt 0x600
	v_mul_f64_e32 v[44:45], v[10:11], v[24:25]
	v_mul_f64_e32 v[24:25], v[12:13], v[24:25]
	v_fma_f64 v[145:146], v[4:5], v[18:19], v[145:146]
	v_fma_f64 v[18:19], v[2:3], v[18:19], -v[20:21]
	v_add_f64_e32 v[20:21], v[16:17], v[14:15]
	v_add_f64_e32 v[38:39], v[38:39], v[143:144]
	ds_load_b128 v[2:5], v1 offset:1376
	ds_load_b128 v[14:17], v1 offset:1392
	v_fma_f64 v[12:13], v[12:13], v[22:23], v[44:45]
	v_fma_f64 v[10:11], v[10:11], v[22:23], -v[24:25]
	s_wait_loadcnt_dscnt 0x501
	v_mul_f64_e32 v[143:144], v[2:3], v[28:29]
	v_mul_f64_e32 v[28:29], v[4:5], v[28:29]
	s_wait_loadcnt_dscnt 0x400
	v_mul_f64_e32 v[22:23], v[14:15], v[32:33]
	v_mul_f64_e32 v[24:25], v[16:17], v[32:33]
	v_add_f64_e32 v[18:19], v[20:21], v[18:19]
	v_add_f64_e32 v[20:21], v[38:39], v[145:146]
	v_fma_f64 v[32:33], v[4:5], v[26:27], v[143:144]
	v_fma_f64 v[26:27], v[2:3], v[26:27], -v[28:29]
	v_fma_f64 v[16:17], v[16:17], v[30:31], v[22:23]
	v_fma_f64 v[14:15], v[14:15], v[30:31], -v[24:25]
	v_add_f64_e32 v[18:19], v[18:19], v[10:11]
	v_add_f64_e32 v[20:21], v[20:21], v[12:13]
	ds_load_b128 v[2:5], v1 offset:1408
	ds_load_b128 v[10:13], v1 offset:1424
	s_wait_loadcnt_dscnt 0x301
	v_mul_f64_e32 v[28:29], v[2:3], v[36:37]
	v_mul_f64_e32 v[36:37], v[4:5], v[36:37]
	s_wait_loadcnt_dscnt 0x200
	v_mul_f64_e32 v[22:23], v[10:11], v[42:43]
	v_add_f64_e32 v[18:19], v[18:19], v[26:27]
	v_add_f64_e32 v[20:21], v[20:21], v[32:33]
	v_mul_f64_e32 v[24:25], v[12:13], v[42:43]
	v_fma_f64 v[26:27], v[4:5], v[34:35], v[28:29]
	v_fma_f64 v[28:29], v[2:3], v[34:35], -v[36:37]
	v_fma_f64 v[12:13], v[12:13], v[40:41], v[22:23]
	v_add_f64_e32 v[18:19], v[18:19], v[14:15]
	v_add_f64_e32 v[20:21], v[20:21], v[16:17]
	ds_load_b128 v[2:5], v1 offset:1440
	ds_load_b128 v[14:17], v1 offset:1456
	v_fma_f64 v[10:11], v[10:11], v[40:41], -v[24:25]
	s_wait_loadcnt_dscnt 0x1
	v_mul_f64_e32 v[30:31], v[2:3], v[151:152]
	v_mul_f64_e32 v[32:33], v[4:5], v[151:152]
	s_wait_dscnt 0x0
	v_mul_f64_e32 v[22:23], v[14:15], v[8:9]
	v_mul_f64_e32 v[8:9], v[16:17], v[8:9]
	v_add_f64_e32 v[18:19], v[18:19], v[28:29]
	v_add_f64_e32 v[20:21], v[20:21], v[26:27]
	v_fma_f64 v[4:5], v[4:5], v[149:150], v[30:31]
	v_fma_f64 v[1:2], v[2:3], v[149:150], -v[32:33]
	v_fma_f64 v[16:17], v[16:17], v[6:7], v[22:23]
	v_fma_f64 v[6:7], v[14:15], v[6:7], -v[8:9]
	v_add_f64_e32 v[10:11], v[18:19], v[10:11]
	v_add_f64_e32 v[12:13], v[20:21], v[12:13]
	s_delay_alu instid0(VALU_DEP_2) | instskip(NEXT) | instid1(VALU_DEP_2)
	v_add_f64_e32 v[1:2], v[10:11], v[1:2]
	v_add_f64_e32 v[3:4], v[12:13], v[4:5]
	s_delay_alu instid0(VALU_DEP_2) | instskip(NEXT) | instid1(VALU_DEP_2)
	;; [unrolled: 3-line block ×3, first 2 shown]
	v_add_f64_e64 v[1:2], v[139:140], -v[1:2]
	v_add_f64_e64 v[3:4], v[141:142], -v[3:4]
	scratch_store_b128 off, v[1:4], off offset:384
	v_cmpx_lt_u32_e32 22, v0
	s_cbranch_execz .LBB45_245
; %bb.244:
	scratch_load_b128 v[1:4], off, s26
	v_mov_b32_e32 v5, 0
	s_delay_alu instid0(VALU_DEP_1)
	v_dual_mov_b32 v6, v5 :: v_dual_mov_b32 v7, v5
	v_mov_b32_e32 v8, v5
	scratch_store_b128 off, v[5:8], off offset:368
	s_wait_loadcnt 0x0
	ds_store_b128 v138, v[1:4]
.LBB45_245:
	s_wait_alu 0xfffe
	s_or_b32 exec_lo, exec_lo, s0
	s_wait_storecnt_dscnt 0x0
	s_barrier_signal -1
	s_barrier_wait -1
	global_inv scope:SCOPE_SE
	s_clause 0x7
	scratch_load_b128 v[2:5], off, off offset:384
	scratch_load_b128 v[6:9], off, off offset:400
	;; [unrolled: 1-line block ×8, first 2 shown]
	v_mov_b32_e32 v1, 0
	s_mov_b32 s0, exec_lo
	ds_load_b128 v[34:37], v1 offset:1104
	s_clause 0x1
	scratch_load_b128 v[38:41], off, off offset:512
	scratch_load_b128 v[42:45], off, off offset:368
	ds_load_b128 v[139:142], v1 offset:1120
	scratch_load_b128 v[143:146], off, off offset:528
	s_wait_loadcnt_dscnt 0xa01
	v_mul_f64_e32 v[147:148], v[36:37], v[4:5]
	v_mul_f64_e32 v[4:5], v[34:35], v[4:5]
	s_delay_alu instid0(VALU_DEP_2) | instskip(NEXT) | instid1(VALU_DEP_2)
	v_fma_f64 v[153:154], v[34:35], v[2:3], -v[147:148]
	v_fma_f64 v[155:156], v[36:37], v[2:3], v[4:5]
	ds_load_b128 v[2:5], v1 offset:1136
	s_wait_loadcnt_dscnt 0x901
	v_mul_f64_e32 v[151:152], v[139:140], v[8:9]
	v_mul_f64_e32 v[8:9], v[141:142], v[8:9]
	scratch_load_b128 v[34:37], off, off offset:544
	ds_load_b128 v[147:150], v1 offset:1152
	s_wait_loadcnt_dscnt 0x901
	v_mul_f64_e32 v[157:158], v[2:3], v[12:13]
	v_mul_f64_e32 v[12:13], v[4:5], v[12:13]
	v_fma_f64 v[141:142], v[141:142], v[6:7], v[151:152]
	v_fma_f64 v[139:140], v[139:140], v[6:7], -v[8:9]
	v_add_f64_e32 v[151:152], 0, v[153:154]
	v_add_f64_e32 v[153:154], 0, v[155:156]
	scratch_load_b128 v[6:9], off, off offset:560
	v_fma_f64 v[157:158], v[4:5], v[10:11], v[157:158]
	v_fma_f64 v[159:160], v[2:3], v[10:11], -v[12:13]
	ds_load_b128 v[2:5], v1 offset:1168
	s_wait_loadcnt_dscnt 0x901
	v_mul_f64_e32 v[155:156], v[147:148], v[16:17]
	v_mul_f64_e32 v[16:17], v[149:150], v[16:17]
	scratch_load_b128 v[10:13], off, off offset:576
	v_add_f64_e32 v[151:152], v[151:152], v[139:140]
	v_add_f64_e32 v[153:154], v[153:154], v[141:142]
	s_wait_loadcnt_dscnt 0x900
	v_mul_f64_e32 v[161:162], v[2:3], v[20:21]
	v_mul_f64_e32 v[20:21], v[4:5], v[20:21]
	ds_load_b128 v[139:142], v1 offset:1184
	v_fma_f64 v[149:150], v[149:150], v[14:15], v[155:156]
	v_fma_f64 v[147:148], v[147:148], v[14:15], -v[16:17]
	scratch_load_b128 v[14:17], off, off offset:592
	v_add_f64_e32 v[151:152], v[151:152], v[159:160]
	v_add_f64_e32 v[153:154], v[153:154], v[157:158]
	v_fma_f64 v[157:158], v[4:5], v[18:19], v[161:162]
	v_fma_f64 v[159:160], v[2:3], v[18:19], -v[20:21]
	ds_load_b128 v[2:5], v1 offset:1200
	s_wait_loadcnt_dscnt 0x901
	v_mul_f64_e32 v[155:156], v[139:140], v[24:25]
	v_mul_f64_e32 v[24:25], v[141:142], v[24:25]
	scratch_load_b128 v[18:21], off, off offset:608
	s_wait_loadcnt_dscnt 0x900
	v_mul_f64_e32 v[161:162], v[2:3], v[28:29]
	v_mul_f64_e32 v[28:29], v[4:5], v[28:29]
	v_add_f64_e32 v[151:152], v[151:152], v[147:148]
	v_add_f64_e32 v[153:154], v[153:154], v[149:150]
	ds_load_b128 v[147:150], v1 offset:1216
	v_fma_f64 v[141:142], v[141:142], v[22:23], v[155:156]
	v_fma_f64 v[139:140], v[139:140], v[22:23], -v[24:25]
	scratch_load_b128 v[22:25], off, off offset:624
	v_add_f64_e32 v[151:152], v[151:152], v[159:160]
	v_add_f64_e32 v[153:154], v[153:154], v[157:158]
	v_fma_f64 v[157:158], v[4:5], v[26:27], v[161:162]
	v_fma_f64 v[159:160], v[2:3], v[26:27], -v[28:29]
	ds_load_b128 v[2:5], v1 offset:1232
	s_wait_loadcnt_dscnt 0x901
	v_mul_f64_e32 v[155:156], v[147:148], v[32:33]
	v_mul_f64_e32 v[32:33], v[149:150], v[32:33]
	scratch_load_b128 v[26:29], off, off offset:640
	s_wait_loadcnt_dscnt 0x900
	v_mul_f64_e32 v[161:162], v[2:3], v[40:41]
	v_mul_f64_e32 v[40:41], v[4:5], v[40:41]
	v_add_f64_e32 v[151:152], v[151:152], v[139:140]
	v_add_f64_e32 v[153:154], v[153:154], v[141:142]
	ds_load_b128 v[139:142], v1 offset:1248
	v_fma_f64 v[149:150], v[149:150], v[30:31], v[155:156]
	v_fma_f64 v[147:148], v[147:148], v[30:31], -v[32:33]
	scratch_load_b128 v[30:33], off, off offset:656
	v_add_f64_e32 v[151:152], v[151:152], v[159:160]
	v_add_f64_e32 v[153:154], v[153:154], v[157:158]
	v_fma_f64 v[159:160], v[4:5], v[38:39], v[161:162]
	v_fma_f64 v[161:162], v[2:3], v[38:39], -v[40:41]
	ds_load_b128 v[2:5], v1 offset:1264
	s_wait_loadcnt_dscnt 0x801
	v_mul_f64_e32 v[155:156], v[139:140], v[145:146]
	v_mul_f64_e32 v[157:158], v[141:142], v[145:146]
	scratch_load_b128 v[38:41], off, off offset:672
	v_add_f64_e32 v[151:152], v[151:152], v[147:148]
	v_add_f64_e32 v[149:150], v[153:154], v[149:150]
	ds_load_b128 v[145:148], v1 offset:1280
	v_fma_f64 v[155:156], v[141:142], v[143:144], v[155:156]
	v_fma_f64 v[143:144], v[139:140], v[143:144], -v[157:158]
	scratch_load_b128 v[139:142], off, off offset:688
	s_wait_loadcnt_dscnt 0x901
	v_mul_f64_e32 v[153:154], v[2:3], v[36:37]
	v_mul_f64_e32 v[36:37], v[4:5], v[36:37]
	v_add_f64_e32 v[151:152], v[151:152], v[161:162]
	v_add_f64_e32 v[149:150], v[149:150], v[159:160]
	s_delay_alu instid0(VALU_DEP_4) | instskip(NEXT) | instid1(VALU_DEP_4)
	v_fma_f64 v[153:154], v[4:5], v[34:35], v[153:154]
	v_fma_f64 v[159:160], v[2:3], v[34:35], -v[36:37]
	ds_load_b128 v[2:5], v1 offset:1296
	s_wait_loadcnt_dscnt 0x801
	v_mul_f64_e32 v[157:158], v[145:146], v[8:9]
	v_mul_f64_e32 v[8:9], v[147:148], v[8:9]
	scratch_load_b128 v[34:37], off, off offset:704
	s_wait_loadcnt_dscnt 0x800
	v_mul_f64_e32 v[161:162], v[2:3], v[12:13]
	v_add_f64_e32 v[143:144], v[151:152], v[143:144]
	v_add_f64_e32 v[155:156], v[149:150], v[155:156]
	v_mul_f64_e32 v[12:13], v[4:5], v[12:13]
	ds_load_b128 v[149:152], v1 offset:1312
	v_fma_f64 v[147:148], v[147:148], v[6:7], v[157:158]
	v_fma_f64 v[145:146], v[145:146], v[6:7], -v[8:9]
	scratch_load_b128 v[6:9], off, off offset:720
	v_fma_f64 v[157:158], v[4:5], v[10:11], v[161:162]
	v_add_f64_e32 v[143:144], v[143:144], v[159:160]
	v_add_f64_e32 v[153:154], v[155:156], v[153:154]
	v_fma_f64 v[159:160], v[2:3], v[10:11], -v[12:13]
	ds_load_b128 v[2:5], v1 offset:1328
	s_wait_loadcnt_dscnt 0x801
	v_mul_f64_e32 v[155:156], v[149:150], v[16:17]
	v_mul_f64_e32 v[16:17], v[151:152], v[16:17]
	scratch_load_b128 v[10:13], off, off offset:736
	v_add_f64_e32 v[161:162], v[143:144], v[145:146]
	v_add_f64_e32 v[147:148], v[153:154], v[147:148]
	s_wait_loadcnt_dscnt 0x800
	v_mul_f64_e32 v[153:154], v[2:3], v[20:21]
	v_mul_f64_e32 v[20:21], v[4:5], v[20:21]
	v_fma_f64 v[151:152], v[151:152], v[14:15], v[155:156]
	v_fma_f64 v[14:15], v[149:150], v[14:15], -v[16:17]
	ds_load_b128 v[143:146], v1 offset:1344
	s_wait_loadcnt_dscnt 0x700
	v_mul_f64_e32 v[149:150], v[143:144], v[24:25]
	v_mul_f64_e32 v[24:25], v[145:146], v[24:25]
	v_add_f64_e32 v[16:17], v[161:162], v[159:160]
	v_add_f64_e32 v[147:148], v[147:148], v[157:158]
	v_fma_f64 v[153:154], v[4:5], v[18:19], v[153:154]
	v_fma_f64 v[18:19], v[2:3], v[18:19], -v[20:21]
	v_fma_f64 v[145:146], v[145:146], v[22:23], v[149:150]
	v_fma_f64 v[22:23], v[143:144], v[22:23], -v[24:25]
	v_add_f64_e32 v[20:21], v[16:17], v[14:15]
	v_add_f64_e32 v[147:148], v[147:148], v[151:152]
	ds_load_b128 v[2:5], v1 offset:1360
	ds_load_b128 v[14:17], v1 offset:1376
	s_wait_loadcnt_dscnt 0x601
	v_mul_f64_e32 v[151:152], v[2:3], v[28:29]
	v_mul_f64_e32 v[28:29], v[4:5], v[28:29]
	s_wait_loadcnt_dscnt 0x500
	v_mul_f64_e32 v[24:25], v[14:15], v[32:33]
	v_mul_f64_e32 v[32:33], v[16:17], v[32:33]
	v_add_f64_e32 v[18:19], v[20:21], v[18:19]
	v_add_f64_e32 v[20:21], v[147:148], v[153:154]
	v_fma_f64 v[143:144], v[4:5], v[26:27], v[151:152]
	v_fma_f64 v[26:27], v[2:3], v[26:27], -v[28:29]
	v_fma_f64 v[16:17], v[16:17], v[30:31], v[24:25]
	v_fma_f64 v[14:15], v[14:15], v[30:31], -v[32:33]
	v_add_f64_e32 v[22:23], v[18:19], v[22:23]
	v_add_f64_e32 v[28:29], v[20:21], v[145:146]
	ds_load_b128 v[2:5], v1 offset:1392
	ds_load_b128 v[18:21], v1 offset:1408
	s_wait_loadcnt_dscnt 0x401
	v_mul_f64_e32 v[145:146], v[2:3], v[40:41]
	v_mul_f64_e32 v[40:41], v[4:5], v[40:41]
	v_add_f64_e32 v[22:23], v[22:23], v[26:27]
	v_add_f64_e32 v[24:25], v[28:29], v[143:144]
	s_wait_loadcnt_dscnt 0x300
	v_mul_f64_e32 v[26:27], v[18:19], v[141:142]
	v_mul_f64_e32 v[28:29], v[20:21], v[141:142]
	v_fma_f64 v[30:31], v[4:5], v[38:39], v[145:146]
	v_fma_f64 v[32:33], v[2:3], v[38:39], -v[40:41]
	v_add_f64_e32 v[22:23], v[22:23], v[14:15]
	v_add_f64_e32 v[24:25], v[24:25], v[16:17]
	ds_load_b128 v[2:5], v1 offset:1424
	ds_load_b128 v[14:17], v1 offset:1440
	v_fma_f64 v[20:21], v[20:21], v[139:140], v[26:27]
	v_fma_f64 v[18:19], v[18:19], v[139:140], -v[28:29]
	s_wait_loadcnt_dscnt 0x201
	v_mul_f64_e32 v[38:39], v[2:3], v[36:37]
	v_mul_f64_e32 v[36:37], v[4:5], v[36:37]
	s_wait_loadcnt_dscnt 0x100
	v_mul_f64_e32 v[26:27], v[14:15], v[8:9]
	v_mul_f64_e32 v[8:9], v[16:17], v[8:9]
	v_add_f64_e32 v[22:23], v[22:23], v[32:33]
	v_add_f64_e32 v[24:25], v[24:25], v[30:31]
	v_fma_f64 v[28:29], v[4:5], v[34:35], v[38:39]
	v_fma_f64 v[30:31], v[2:3], v[34:35], -v[36:37]
	ds_load_b128 v[2:5], v1 offset:1456
	v_fma_f64 v[16:17], v[16:17], v[6:7], v[26:27]
	v_fma_f64 v[6:7], v[14:15], v[6:7], -v[8:9]
	v_add_f64_e32 v[18:19], v[22:23], v[18:19]
	v_add_f64_e32 v[20:21], v[24:25], v[20:21]
	s_wait_loadcnt_dscnt 0x0
	v_mul_f64_e32 v[22:23], v[2:3], v[12:13]
	v_mul_f64_e32 v[12:13], v[4:5], v[12:13]
	s_delay_alu instid0(VALU_DEP_4) | instskip(NEXT) | instid1(VALU_DEP_4)
	v_add_f64_e32 v[8:9], v[18:19], v[30:31]
	v_add_f64_e32 v[14:15], v[20:21], v[28:29]
	s_delay_alu instid0(VALU_DEP_4) | instskip(NEXT) | instid1(VALU_DEP_4)
	v_fma_f64 v[4:5], v[4:5], v[10:11], v[22:23]
	v_fma_f64 v[2:3], v[2:3], v[10:11], -v[12:13]
	s_delay_alu instid0(VALU_DEP_4) | instskip(NEXT) | instid1(VALU_DEP_4)
	v_add_f64_e32 v[6:7], v[8:9], v[6:7]
	v_add_f64_e32 v[8:9], v[14:15], v[16:17]
	s_delay_alu instid0(VALU_DEP_2) | instskip(NEXT) | instid1(VALU_DEP_2)
	v_add_f64_e32 v[2:3], v[6:7], v[2:3]
	v_add_f64_e32 v[4:5], v[8:9], v[4:5]
	s_delay_alu instid0(VALU_DEP_2) | instskip(NEXT) | instid1(VALU_DEP_2)
	v_add_f64_e64 v[2:3], v[42:43], -v[2:3]
	v_add_f64_e64 v[4:5], v[44:45], -v[4:5]
	scratch_store_b128 off, v[2:5], off offset:368
	v_cmpx_lt_u32_e32 21, v0
	s_cbranch_execz .LBB45_247
; %bb.246:
	scratch_load_b128 v[5:8], off, s25
	v_dual_mov_b32 v2, v1 :: v_dual_mov_b32 v3, v1
	v_mov_b32_e32 v4, v1
	scratch_store_b128 off, v[1:4], off offset:352
	s_wait_loadcnt 0x0
	ds_store_b128 v138, v[5:8]
.LBB45_247:
	s_wait_alu 0xfffe
	s_or_b32 exec_lo, exec_lo, s0
	s_wait_storecnt_dscnt 0x0
	s_barrier_signal -1
	s_barrier_wait -1
	global_inv scope:SCOPE_SE
	s_clause 0x8
	scratch_load_b128 v[2:5], off, off offset:368
	scratch_load_b128 v[6:9], off, off offset:384
	;; [unrolled: 1-line block ×9, first 2 shown]
	ds_load_b128 v[38:41], v1 offset:1088
	ds_load_b128 v[42:45], v1 offset:1104
	s_clause 0x1
	scratch_load_b128 v[139:142], off, off offset:352
	scratch_load_b128 v[143:146], off, off offset:512
	s_mov_b32 s0, exec_lo
	s_wait_loadcnt_dscnt 0xa01
	v_mul_f64_e32 v[147:148], v[40:41], v[4:5]
	v_mul_f64_e32 v[4:5], v[38:39], v[4:5]
	s_wait_loadcnt_dscnt 0x900
	v_mul_f64_e32 v[151:152], v[42:43], v[8:9]
	v_mul_f64_e32 v[8:9], v[44:45], v[8:9]
	s_delay_alu instid0(VALU_DEP_4) | instskip(NEXT) | instid1(VALU_DEP_4)
	v_fma_f64 v[153:154], v[38:39], v[2:3], -v[147:148]
	v_fma_f64 v[155:156], v[40:41], v[2:3], v[4:5]
	ds_load_b128 v[2:5], v1 offset:1120
	ds_load_b128 v[147:150], v1 offset:1136
	scratch_load_b128 v[38:41], off, off offset:528
	v_fma_f64 v[44:45], v[44:45], v[6:7], v[151:152]
	v_fma_f64 v[42:43], v[42:43], v[6:7], -v[8:9]
	scratch_load_b128 v[6:9], off, off offset:544
	s_wait_loadcnt_dscnt 0xa01
	v_mul_f64_e32 v[157:158], v[2:3], v[12:13]
	v_mul_f64_e32 v[12:13], v[4:5], v[12:13]
	v_add_f64_e32 v[151:152], 0, v[153:154]
	v_add_f64_e32 v[153:154], 0, v[155:156]
	s_wait_loadcnt_dscnt 0x900
	v_mul_f64_e32 v[155:156], v[147:148], v[16:17]
	v_mul_f64_e32 v[16:17], v[149:150], v[16:17]
	v_fma_f64 v[157:158], v[4:5], v[10:11], v[157:158]
	v_fma_f64 v[159:160], v[2:3], v[10:11], -v[12:13]
	ds_load_b128 v[2:5], v1 offset:1152
	scratch_load_b128 v[10:13], off, off offset:560
	v_add_f64_e32 v[151:152], v[151:152], v[42:43]
	v_add_f64_e32 v[153:154], v[153:154], v[44:45]
	ds_load_b128 v[42:45], v1 offset:1168
	v_fma_f64 v[149:150], v[149:150], v[14:15], v[155:156]
	v_fma_f64 v[147:148], v[147:148], v[14:15], -v[16:17]
	scratch_load_b128 v[14:17], off, off offset:576
	s_wait_loadcnt_dscnt 0xa01
	v_mul_f64_e32 v[161:162], v[2:3], v[20:21]
	v_mul_f64_e32 v[20:21], v[4:5], v[20:21]
	s_wait_loadcnt_dscnt 0x900
	v_mul_f64_e32 v[155:156], v[42:43], v[24:25]
	v_mul_f64_e32 v[24:25], v[44:45], v[24:25]
	v_add_f64_e32 v[151:152], v[151:152], v[159:160]
	v_add_f64_e32 v[153:154], v[153:154], v[157:158]
	v_fma_f64 v[157:158], v[4:5], v[18:19], v[161:162]
	v_fma_f64 v[159:160], v[2:3], v[18:19], -v[20:21]
	ds_load_b128 v[2:5], v1 offset:1184
	scratch_load_b128 v[18:21], off, off offset:592
	v_fma_f64 v[44:45], v[44:45], v[22:23], v[155:156]
	v_fma_f64 v[42:43], v[42:43], v[22:23], -v[24:25]
	scratch_load_b128 v[22:25], off, off offset:608
	v_add_f64_e32 v[151:152], v[151:152], v[147:148]
	v_add_f64_e32 v[153:154], v[153:154], v[149:150]
	ds_load_b128 v[147:150], v1 offset:1200
	s_wait_loadcnt_dscnt 0xa01
	v_mul_f64_e32 v[161:162], v[2:3], v[28:29]
	v_mul_f64_e32 v[28:29], v[4:5], v[28:29]
	s_wait_loadcnt_dscnt 0x900
	v_mul_f64_e32 v[155:156], v[147:148], v[32:33]
	v_mul_f64_e32 v[32:33], v[149:150], v[32:33]
	v_add_f64_e32 v[151:152], v[151:152], v[159:160]
	v_add_f64_e32 v[153:154], v[153:154], v[157:158]
	v_fma_f64 v[157:158], v[4:5], v[26:27], v[161:162]
	v_fma_f64 v[159:160], v[2:3], v[26:27], -v[28:29]
	ds_load_b128 v[2:5], v1 offset:1216
	scratch_load_b128 v[26:29], off, off offset:624
	v_fma_f64 v[149:150], v[149:150], v[30:31], v[155:156]
	v_fma_f64 v[147:148], v[147:148], v[30:31], -v[32:33]
	scratch_load_b128 v[30:33], off, off offset:640
	v_add_f64_e32 v[151:152], v[151:152], v[42:43]
	v_add_f64_e32 v[153:154], v[153:154], v[44:45]
	ds_load_b128 v[42:45], v1 offset:1232
	s_wait_loadcnt_dscnt 0xa01
	v_mul_f64_e32 v[161:162], v[2:3], v[36:37]
	v_mul_f64_e32 v[36:37], v[4:5], v[36:37]
	s_wait_loadcnt_dscnt 0x800
	v_mul_f64_e32 v[155:156], v[42:43], v[145:146]
	v_add_f64_e32 v[151:152], v[151:152], v[159:160]
	v_add_f64_e32 v[153:154], v[153:154], v[157:158]
	v_mul_f64_e32 v[157:158], v[44:45], v[145:146]
	v_fma_f64 v[159:160], v[4:5], v[34:35], v[161:162]
	v_fma_f64 v[161:162], v[2:3], v[34:35], -v[36:37]
	ds_load_b128 v[2:5], v1 offset:1248
	scratch_load_b128 v[34:37], off, off offset:656
	v_fma_f64 v[44:45], v[44:45], v[143:144], v[155:156]
	v_add_f64_e32 v[151:152], v[151:152], v[147:148]
	v_add_f64_e32 v[149:150], v[153:154], v[149:150]
	ds_load_b128 v[145:148], v1 offset:1264
	v_fma_f64 v[143:144], v[42:43], v[143:144], -v[157:158]
	s_wait_loadcnt_dscnt 0x801
	v_mul_f64_e32 v[153:154], v[2:3], v[40:41]
	v_mul_f64_e32 v[163:164], v[4:5], v[40:41]
	scratch_load_b128 v[40:43], off, off offset:672
	s_wait_loadcnt_dscnt 0x800
	v_mul_f64_e32 v[157:158], v[145:146], v[8:9]
	v_mul_f64_e32 v[8:9], v[147:148], v[8:9]
	v_add_f64_e32 v[151:152], v[151:152], v[161:162]
	v_add_f64_e32 v[149:150], v[149:150], v[159:160]
	v_fma_f64 v[159:160], v[4:5], v[38:39], v[153:154]
	v_fma_f64 v[38:39], v[2:3], v[38:39], -v[163:164]
	ds_load_b128 v[2:5], v1 offset:1280
	ds_load_b128 v[153:156], v1 offset:1296
	v_fma_f64 v[147:148], v[147:148], v[6:7], v[157:158]
	v_fma_f64 v[145:146], v[145:146], v[6:7], -v[8:9]
	scratch_load_b128 v[6:9], off, off offset:704
	v_add_f64_e32 v[143:144], v[151:152], v[143:144]
	v_add_f64_e32 v[44:45], v[149:150], v[44:45]
	scratch_load_b128 v[149:152], off, off offset:688
	s_wait_loadcnt_dscnt 0x901
	v_mul_f64_e32 v[161:162], v[2:3], v[12:13]
	v_mul_f64_e32 v[12:13], v[4:5], v[12:13]
	s_wait_loadcnt_dscnt 0x800
	v_mul_f64_e32 v[157:158], v[153:154], v[16:17]
	v_mul_f64_e32 v[16:17], v[155:156], v[16:17]
	v_add_f64_e32 v[38:39], v[143:144], v[38:39]
	v_add_f64_e32 v[44:45], v[44:45], v[159:160]
	v_fma_f64 v[159:160], v[4:5], v[10:11], v[161:162]
	v_fma_f64 v[161:162], v[2:3], v[10:11], -v[12:13]
	ds_load_b128 v[2:5], v1 offset:1312
	scratch_load_b128 v[10:13], off, off offset:720
	v_fma_f64 v[155:156], v[155:156], v[14:15], v[157:158]
	v_fma_f64 v[153:154], v[153:154], v[14:15], -v[16:17]
	scratch_load_b128 v[14:17], off, off offset:736
	v_add_f64_e32 v[38:39], v[38:39], v[145:146]
	v_add_f64_e32 v[44:45], v[44:45], v[147:148]
	ds_load_b128 v[143:146], v1 offset:1328
	s_wait_loadcnt_dscnt 0x901
	v_mul_f64_e32 v[147:148], v[2:3], v[20:21]
	v_mul_f64_e32 v[20:21], v[4:5], v[20:21]
	s_wait_loadcnt_dscnt 0x800
	v_mul_f64_e32 v[157:158], v[143:144], v[24:25]
	v_mul_f64_e32 v[24:25], v[145:146], v[24:25]
	v_add_f64_e32 v[38:39], v[38:39], v[161:162]
	v_add_f64_e32 v[44:45], v[44:45], v[159:160]
	v_fma_f64 v[147:148], v[4:5], v[18:19], v[147:148]
	v_fma_f64 v[159:160], v[2:3], v[18:19], -v[20:21]
	ds_load_b128 v[2:5], v1 offset:1344
	ds_load_b128 v[18:21], v1 offset:1360
	v_fma_f64 v[145:146], v[145:146], v[22:23], v[157:158]
	v_fma_f64 v[22:23], v[143:144], v[22:23], -v[24:25]
	v_add_f64_e32 v[38:39], v[38:39], v[153:154]
	v_add_f64_e32 v[44:45], v[44:45], v[155:156]
	s_wait_loadcnt_dscnt 0x701
	v_mul_f64_e32 v[153:154], v[2:3], v[28:29]
	v_mul_f64_e32 v[28:29], v[4:5], v[28:29]
	s_delay_alu instid0(VALU_DEP_4) | instskip(NEXT) | instid1(VALU_DEP_4)
	v_add_f64_e32 v[24:25], v[38:39], v[159:160]
	v_add_f64_e32 v[38:39], v[44:45], v[147:148]
	s_wait_loadcnt_dscnt 0x600
	v_mul_f64_e32 v[44:45], v[18:19], v[32:33]
	v_mul_f64_e32 v[32:33], v[20:21], v[32:33]
	v_fma_f64 v[143:144], v[4:5], v[26:27], v[153:154]
	v_fma_f64 v[26:27], v[2:3], v[26:27], -v[28:29]
	v_add_f64_e32 v[28:29], v[24:25], v[22:23]
	v_add_f64_e32 v[38:39], v[38:39], v[145:146]
	ds_load_b128 v[2:5], v1 offset:1376
	ds_load_b128 v[22:25], v1 offset:1392
	v_fma_f64 v[20:21], v[20:21], v[30:31], v[44:45]
	v_fma_f64 v[18:19], v[18:19], v[30:31], -v[32:33]
	s_wait_loadcnt_dscnt 0x501
	v_mul_f64_e32 v[145:146], v[2:3], v[36:37]
	v_mul_f64_e32 v[36:37], v[4:5], v[36:37]
	s_wait_loadcnt_dscnt 0x400
	v_mul_f64_e32 v[30:31], v[22:23], v[42:43]
	v_add_f64_e32 v[26:27], v[28:29], v[26:27]
	v_add_f64_e32 v[28:29], v[38:39], v[143:144]
	v_mul_f64_e32 v[32:33], v[24:25], v[42:43]
	v_fma_f64 v[38:39], v[4:5], v[34:35], v[145:146]
	v_fma_f64 v[34:35], v[2:3], v[34:35], -v[36:37]
	v_fma_f64 v[24:25], v[24:25], v[40:41], v[30:31]
	v_add_f64_e32 v[26:27], v[26:27], v[18:19]
	v_add_f64_e32 v[28:29], v[28:29], v[20:21]
	ds_load_b128 v[2:5], v1 offset:1408
	ds_load_b128 v[18:21], v1 offset:1424
	v_fma_f64 v[22:23], v[22:23], v[40:41], -v[32:33]
	s_wait_loadcnt_dscnt 0x201
	v_mul_f64_e32 v[36:37], v[2:3], v[151:152]
	v_mul_f64_e32 v[42:43], v[4:5], v[151:152]
	s_wait_dscnt 0x0
	v_mul_f64_e32 v[30:31], v[18:19], v[8:9]
	v_mul_f64_e32 v[8:9], v[20:21], v[8:9]
	v_add_f64_e32 v[26:27], v[26:27], v[34:35]
	v_add_f64_e32 v[28:29], v[28:29], v[38:39]
	v_fma_f64 v[32:33], v[4:5], v[149:150], v[36:37]
	v_fma_f64 v[34:35], v[2:3], v[149:150], -v[42:43]
	v_fma_f64 v[20:21], v[20:21], v[6:7], v[30:31]
	v_fma_f64 v[6:7], v[18:19], v[6:7], -v[8:9]
	v_add_f64_e32 v[26:27], v[26:27], v[22:23]
	v_add_f64_e32 v[28:29], v[28:29], v[24:25]
	ds_load_b128 v[2:5], v1 offset:1440
	ds_load_b128 v[22:25], v1 offset:1456
	s_wait_loadcnt_dscnt 0x101
	v_mul_f64_e32 v[36:37], v[2:3], v[12:13]
	v_mul_f64_e32 v[12:13], v[4:5], v[12:13]
	v_add_f64_e32 v[8:9], v[26:27], v[34:35]
	v_add_f64_e32 v[18:19], v[28:29], v[32:33]
	s_wait_loadcnt_dscnt 0x0
	v_mul_f64_e32 v[26:27], v[22:23], v[16:17]
	v_mul_f64_e32 v[16:17], v[24:25], v[16:17]
	v_fma_f64 v[4:5], v[4:5], v[10:11], v[36:37]
	v_fma_f64 v[1:2], v[2:3], v[10:11], -v[12:13]
	v_add_f64_e32 v[6:7], v[8:9], v[6:7]
	v_add_f64_e32 v[8:9], v[18:19], v[20:21]
	v_fma_f64 v[10:11], v[24:25], v[14:15], v[26:27]
	v_fma_f64 v[12:13], v[22:23], v[14:15], -v[16:17]
	s_delay_alu instid0(VALU_DEP_4) | instskip(NEXT) | instid1(VALU_DEP_4)
	v_add_f64_e32 v[1:2], v[6:7], v[1:2]
	v_add_f64_e32 v[3:4], v[8:9], v[4:5]
	s_delay_alu instid0(VALU_DEP_2) | instskip(NEXT) | instid1(VALU_DEP_2)
	v_add_f64_e32 v[1:2], v[1:2], v[12:13]
	v_add_f64_e32 v[3:4], v[3:4], v[10:11]
	s_delay_alu instid0(VALU_DEP_2) | instskip(NEXT) | instid1(VALU_DEP_2)
	v_add_f64_e64 v[1:2], v[139:140], -v[1:2]
	v_add_f64_e64 v[3:4], v[141:142], -v[3:4]
	scratch_store_b128 off, v[1:4], off offset:352
	v_cmpx_lt_u32_e32 20, v0
	s_cbranch_execz .LBB45_249
; %bb.248:
	scratch_load_b128 v[1:4], off, s30
	v_mov_b32_e32 v5, 0
	s_delay_alu instid0(VALU_DEP_1)
	v_dual_mov_b32 v6, v5 :: v_dual_mov_b32 v7, v5
	v_mov_b32_e32 v8, v5
	scratch_store_b128 off, v[5:8], off offset:336
	s_wait_loadcnt 0x0
	ds_store_b128 v138, v[1:4]
.LBB45_249:
	s_wait_alu 0xfffe
	s_or_b32 exec_lo, exec_lo, s0
	s_wait_storecnt_dscnt 0x0
	s_barrier_signal -1
	s_barrier_wait -1
	global_inv scope:SCOPE_SE
	s_clause 0x7
	scratch_load_b128 v[2:5], off, off offset:352
	scratch_load_b128 v[6:9], off, off offset:368
	scratch_load_b128 v[10:13], off, off offset:384
	scratch_load_b128 v[14:17], off, off offset:400
	scratch_load_b128 v[18:21], off, off offset:416
	scratch_load_b128 v[22:25], off, off offset:432
	scratch_load_b128 v[26:29], off, off offset:448
	scratch_load_b128 v[30:33], off, off offset:464
	v_mov_b32_e32 v1, 0
	s_mov_b32 s0, exec_lo
	ds_load_b128 v[34:37], v1 offset:1072
	s_clause 0x1
	scratch_load_b128 v[38:41], off, off offset:480
	scratch_load_b128 v[42:45], off, off offset:336
	ds_load_b128 v[139:142], v1 offset:1088
	scratch_load_b128 v[143:146], off, off offset:496
	s_wait_loadcnt_dscnt 0xa01
	v_mul_f64_e32 v[147:148], v[36:37], v[4:5]
	v_mul_f64_e32 v[4:5], v[34:35], v[4:5]
	s_delay_alu instid0(VALU_DEP_2) | instskip(NEXT) | instid1(VALU_DEP_2)
	v_fma_f64 v[153:154], v[34:35], v[2:3], -v[147:148]
	v_fma_f64 v[155:156], v[36:37], v[2:3], v[4:5]
	ds_load_b128 v[2:5], v1 offset:1104
	s_wait_loadcnt_dscnt 0x901
	v_mul_f64_e32 v[151:152], v[139:140], v[8:9]
	v_mul_f64_e32 v[8:9], v[141:142], v[8:9]
	scratch_load_b128 v[34:37], off, off offset:512
	ds_load_b128 v[147:150], v1 offset:1120
	s_wait_loadcnt_dscnt 0x901
	v_mul_f64_e32 v[157:158], v[2:3], v[12:13]
	v_mul_f64_e32 v[12:13], v[4:5], v[12:13]
	v_fma_f64 v[141:142], v[141:142], v[6:7], v[151:152]
	v_fma_f64 v[139:140], v[139:140], v[6:7], -v[8:9]
	v_add_f64_e32 v[151:152], 0, v[153:154]
	v_add_f64_e32 v[153:154], 0, v[155:156]
	scratch_load_b128 v[6:9], off, off offset:528
	v_fma_f64 v[157:158], v[4:5], v[10:11], v[157:158]
	v_fma_f64 v[159:160], v[2:3], v[10:11], -v[12:13]
	ds_load_b128 v[2:5], v1 offset:1136
	s_wait_loadcnt_dscnt 0x901
	v_mul_f64_e32 v[155:156], v[147:148], v[16:17]
	v_mul_f64_e32 v[16:17], v[149:150], v[16:17]
	scratch_load_b128 v[10:13], off, off offset:544
	v_add_f64_e32 v[151:152], v[151:152], v[139:140]
	v_add_f64_e32 v[153:154], v[153:154], v[141:142]
	s_wait_loadcnt_dscnt 0x900
	v_mul_f64_e32 v[161:162], v[2:3], v[20:21]
	v_mul_f64_e32 v[20:21], v[4:5], v[20:21]
	ds_load_b128 v[139:142], v1 offset:1152
	v_fma_f64 v[149:150], v[149:150], v[14:15], v[155:156]
	v_fma_f64 v[147:148], v[147:148], v[14:15], -v[16:17]
	scratch_load_b128 v[14:17], off, off offset:560
	v_add_f64_e32 v[151:152], v[151:152], v[159:160]
	v_add_f64_e32 v[153:154], v[153:154], v[157:158]
	v_fma_f64 v[157:158], v[4:5], v[18:19], v[161:162]
	v_fma_f64 v[159:160], v[2:3], v[18:19], -v[20:21]
	ds_load_b128 v[2:5], v1 offset:1168
	s_wait_loadcnt_dscnt 0x901
	v_mul_f64_e32 v[155:156], v[139:140], v[24:25]
	v_mul_f64_e32 v[24:25], v[141:142], v[24:25]
	scratch_load_b128 v[18:21], off, off offset:576
	s_wait_loadcnt_dscnt 0x900
	v_mul_f64_e32 v[161:162], v[2:3], v[28:29]
	v_mul_f64_e32 v[28:29], v[4:5], v[28:29]
	v_add_f64_e32 v[151:152], v[151:152], v[147:148]
	v_add_f64_e32 v[153:154], v[153:154], v[149:150]
	ds_load_b128 v[147:150], v1 offset:1184
	v_fma_f64 v[141:142], v[141:142], v[22:23], v[155:156]
	v_fma_f64 v[139:140], v[139:140], v[22:23], -v[24:25]
	scratch_load_b128 v[22:25], off, off offset:592
	v_add_f64_e32 v[151:152], v[151:152], v[159:160]
	v_add_f64_e32 v[153:154], v[153:154], v[157:158]
	v_fma_f64 v[157:158], v[4:5], v[26:27], v[161:162]
	v_fma_f64 v[159:160], v[2:3], v[26:27], -v[28:29]
	ds_load_b128 v[2:5], v1 offset:1200
	s_wait_loadcnt_dscnt 0x901
	v_mul_f64_e32 v[155:156], v[147:148], v[32:33]
	v_mul_f64_e32 v[32:33], v[149:150], v[32:33]
	scratch_load_b128 v[26:29], off, off offset:608
	s_wait_loadcnt_dscnt 0x900
	v_mul_f64_e32 v[161:162], v[2:3], v[40:41]
	v_mul_f64_e32 v[40:41], v[4:5], v[40:41]
	v_add_f64_e32 v[151:152], v[151:152], v[139:140]
	v_add_f64_e32 v[153:154], v[153:154], v[141:142]
	ds_load_b128 v[139:142], v1 offset:1216
	v_fma_f64 v[149:150], v[149:150], v[30:31], v[155:156]
	v_fma_f64 v[147:148], v[147:148], v[30:31], -v[32:33]
	scratch_load_b128 v[30:33], off, off offset:624
	v_add_f64_e32 v[151:152], v[151:152], v[159:160]
	v_add_f64_e32 v[153:154], v[153:154], v[157:158]
	v_fma_f64 v[159:160], v[4:5], v[38:39], v[161:162]
	v_fma_f64 v[161:162], v[2:3], v[38:39], -v[40:41]
	ds_load_b128 v[2:5], v1 offset:1232
	s_wait_loadcnt_dscnt 0x801
	v_mul_f64_e32 v[155:156], v[139:140], v[145:146]
	v_mul_f64_e32 v[157:158], v[141:142], v[145:146]
	scratch_load_b128 v[38:41], off, off offset:640
	v_add_f64_e32 v[151:152], v[151:152], v[147:148]
	v_add_f64_e32 v[149:150], v[153:154], v[149:150]
	ds_load_b128 v[145:148], v1 offset:1248
	v_fma_f64 v[155:156], v[141:142], v[143:144], v[155:156]
	v_fma_f64 v[143:144], v[139:140], v[143:144], -v[157:158]
	scratch_load_b128 v[139:142], off, off offset:656
	s_wait_loadcnt_dscnt 0x901
	v_mul_f64_e32 v[153:154], v[2:3], v[36:37]
	v_mul_f64_e32 v[36:37], v[4:5], v[36:37]
	v_add_f64_e32 v[151:152], v[151:152], v[161:162]
	v_add_f64_e32 v[149:150], v[149:150], v[159:160]
	s_delay_alu instid0(VALU_DEP_4) | instskip(NEXT) | instid1(VALU_DEP_4)
	v_fma_f64 v[153:154], v[4:5], v[34:35], v[153:154]
	v_fma_f64 v[159:160], v[2:3], v[34:35], -v[36:37]
	ds_load_b128 v[2:5], v1 offset:1264
	s_wait_loadcnt_dscnt 0x801
	v_mul_f64_e32 v[157:158], v[145:146], v[8:9]
	v_mul_f64_e32 v[8:9], v[147:148], v[8:9]
	scratch_load_b128 v[34:37], off, off offset:672
	s_wait_loadcnt_dscnt 0x800
	v_mul_f64_e32 v[161:162], v[2:3], v[12:13]
	v_add_f64_e32 v[143:144], v[151:152], v[143:144]
	v_add_f64_e32 v[155:156], v[149:150], v[155:156]
	v_mul_f64_e32 v[12:13], v[4:5], v[12:13]
	ds_load_b128 v[149:152], v1 offset:1280
	v_fma_f64 v[147:148], v[147:148], v[6:7], v[157:158]
	v_fma_f64 v[145:146], v[145:146], v[6:7], -v[8:9]
	scratch_load_b128 v[6:9], off, off offset:688
	v_fma_f64 v[157:158], v[4:5], v[10:11], v[161:162]
	v_add_f64_e32 v[143:144], v[143:144], v[159:160]
	v_add_f64_e32 v[153:154], v[155:156], v[153:154]
	v_fma_f64 v[159:160], v[2:3], v[10:11], -v[12:13]
	ds_load_b128 v[2:5], v1 offset:1296
	s_wait_loadcnt_dscnt 0x801
	v_mul_f64_e32 v[155:156], v[149:150], v[16:17]
	v_mul_f64_e32 v[16:17], v[151:152], v[16:17]
	scratch_load_b128 v[10:13], off, off offset:704
	v_add_f64_e32 v[161:162], v[143:144], v[145:146]
	v_add_f64_e32 v[147:148], v[153:154], v[147:148]
	s_wait_loadcnt_dscnt 0x800
	v_mul_f64_e32 v[153:154], v[2:3], v[20:21]
	v_mul_f64_e32 v[20:21], v[4:5], v[20:21]
	v_fma_f64 v[151:152], v[151:152], v[14:15], v[155:156]
	v_fma_f64 v[149:150], v[149:150], v[14:15], -v[16:17]
	ds_load_b128 v[143:146], v1 offset:1312
	scratch_load_b128 v[14:17], off, off offset:720
	v_add_f64_e32 v[155:156], v[161:162], v[159:160]
	v_add_f64_e32 v[147:148], v[147:148], v[157:158]
	v_fma_f64 v[153:154], v[4:5], v[18:19], v[153:154]
	v_fma_f64 v[159:160], v[2:3], v[18:19], -v[20:21]
	ds_load_b128 v[2:5], v1 offset:1328
	s_wait_loadcnt_dscnt 0x801
	v_mul_f64_e32 v[157:158], v[143:144], v[24:25]
	v_mul_f64_e32 v[24:25], v[145:146], v[24:25]
	scratch_load_b128 v[18:21], off, off offset:736
	s_wait_loadcnt_dscnt 0x800
	v_mul_f64_e32 v[161:162], v[2:3], v[28:29]
	v_mul_f64_e32 v[28:29], v[4:5], v[28:29]
	v_add_f64_e32 v[155:156], v[155:156], v[149:150]
	v_add_f64_e32 v[151:152], v[147:148], v[151:152]
	ds_load_b128 v[147:150], v1 offset:1344
	v_fma_f64 v[145:146], v[145:146], v[22:23], v[157:158]
	v_fma_f64 v[22:23], v[143:144], v[22:23], -v[24:25]
	v_add_f64_e32 v[24:25], v[155:156], v[159:160]
	v_add_f64_e32 v[143:144], v[151:152], v[153:154]
	s_wait_loadcnt_dscnt 0x700
	v_mul_f64_e32 v[151:152], v[147:148], v[32:33]
	v_mul_f64_e32 v[32:33], v[149:150], v[32:33]
	v_fma_f64 v[153:154], v[4:5], v[26:27], v[161:162]
	v_fma_f64 v[26:27], v[2:3], v[26:27], -v[28:29]
	v_add_f64_e32 v[28:29], v[24:25], v[22:23]
	v_add_f64_e32 v[143:144], v[143:144], v[145:146]
	ds_load_b128 v[2:5], v1 offset:1360
	ds_load_b128 v[22:25], v1 offset:1376
	v_fma_f64 v[149:150], v[149:150], v[30:31], v[151:152]
	v_fma_f64 v[30:31], v[147:148], v[30:31], -v[32:33]
	s_wait_loadcnt_dscnt 0x601
	v_mul_f64_e32 v[145:146], v[2:3], v[40:41]
	v_mul_f64_e32 v[40:41], v[4:5], v[40:41]
	s_wait_loadcnt_dscnt 0x500
	v_mul_f64_e32 v[32:33], v[22:23], v[141:142]
	v_mul_f64_e32 v[141:142], v[24:25], v[141:142]
	v_add_f64_e32 v[26:27], v[28:29], v[26:27]
	v_add_f64_e32 v[28:29], v[143:144], v[153:154]
	v_fma_f64 v[143:144], v[4:5], v[38:39], v[145:146]
	v_fma_f64 v[38:39], v[2:3], v[38:39], -v[40:41]
	v_fma_f64 v[24:25], v[24:25], v[139:140], v[32:33]
	v_fma_f64 v[22:23], v[22:23], v[139:140], -v[141:142]
	v_add_f64_e32 v[30:31], v[26:27], v[30:31]
	v_add_f64_e32 v[40:41], v[28:29], v[149:150]
	ds_load_b128 v[2:5], v1 offset:1392
	ds_load_b128 v[26:29], v1 offset:1408
	s_wait_loadcnt_dscnt 0x401
	v_mul_f64_e32 v[145:146], v[2:3], v[36:37]
	v_mul_f64_e32 v[36:37], v[4:5], v[36:37]
	v_add_f64_e32 v[30:31], v[30:31], v[38:39]
	v_add_f64_e32 v[32:33], v[40:41], v[143:144]
	s_wait_loadcnt_dscnt 0x300
	v_mul_f64_e32 v[38:39], v[26:27], v[8:9]
	v_mul_f64_e32 v[8:9], v[28:29], v[8:9]
	v_fma_f64 v[40:41], v[4:5], v[34:35], v[145:146]
	v_fma_f64 v[34:35], v[2:3], v[34:35], -v[36:37]
	v_add_f64_e32 v[30:31], v[30:31], v[22:23]
	v_add_f64_e32 v[32:33], v[32:33], v[24:25]
	ds_load_b128 v[2:5], v1 offset:1424
	ds_load_b128 v[22:25], v1 offset:1440
	v_fma_f64 v[28:29], v[28:29], v[6:7], v[38:39]
	v_fma_f64 v[6:7], v[26:27], v[6:7], -v[8:9]
	s_wait_loadcnt_dscnt 0x201
	v_mul_f64_e32 v[36:37], v[2:3], v[12:13]
	v_mul_f64_e32 v[12:13], v[4:5], v[12:13]
	v_add_f64_e32 v[8:9], v[30:31], v[34:35]
	v_add_f64_e32 v[26:27], v[32:33], v[40:41]
	s_wait_loadcnt_dscnt 0x100
	v_mul_f64_e32 v[30:31], v[22:23], v[16:17]
	v_mul_f64_e32 v[16:17], v[24:25], v[16:17]
	v_fma_f64 v[32:33], v[4:5], v[10:11], v[36:37]
	v_fma_f64 v[10:11], v[2:3], v[10:11], -v[12:13]
	ds_load_b128 v[2:5], v1 offset:1456
	v_add_f64_e32 v[6:7], v[8:9], v[6:7]
	v_add_f64_e32 v[8:9], v[26:27], v[28:29]
	v_fma_f64 v[24:25], v[24:25], v[14:15], v[30:31]
	v_fma_f64 v[14:15], v[22:23], v[14:15], -v[16:17]
	s_wait_loadcnt_dscnt 0x0
	v_mul_f64_e32 v[12:13], v[2:3], v[20:21]
	v_mul_f64_e32 v[20:21], v[4:5], v[20:21]
	v_add_f64_e32 v[6:7], v[6:7], v[10:11]
	v_add_f64_e32 v[8:9], v[8:9], v[32:33]
	s_delay_alu instid0(VALU_DEP_4) | instskip(NEXT) | instid1(VALU_DEP_4)
	v_fma_f64 v[4:5], v[4:5], v[18:19], v[12:13]
	v_fma_f64 v[2:3], v[2:3], v[18:19], -v[20:21]
	s_delay_alu instid0(VALU_DEP_4) | instskip(NEXT) | instid1(VALU_DEP_4)
	v_add_f64_e32 v[6:7], v[6:7], v[14:15]
	v_add_f64_e32 v[8:9], v[8:9], v[24:25]
	s_delay_alu instid0(VALU_DEP_2) | instskip(NEXT) | instid1(VALU_DEP_2)
	v_add_f64_e32 v[2:3], v[6:7], v[2:3]
	v_add_f64_e32 v[4:5], v[8:9], v[4:5]
	s_delay_alu instid0(VALU_DEP_2) | instskip(NEXT) | instid1(VALU_DEP_2)
	v_add_f64_e64 v[2:3], v[42:43], -v[2:3]
	v_add_f64_e64 v[4:5], v[44:45], -v[4:5]
	scratch_store_b128 off, v[2:5], off offset:336
	v_cmpx_lt_u32_e32 19, v0
	s_cbranch_execz .LBB45_251
; %bb.250:
	scratch_load_b128 v[5:8], off, s29
	v_dual_mov_b32 v2, v1 :: v_dual_mov_b32 v3, v1
	v_mov_b32_e32 v4, v1
	scratch_store_b128 off, v[1:4], off offset:320
	s_wait_loadcnt 0x0
	ds_store_b128 v138, v[5:8]
.LBB45_251:
	s_wait_alu 0xfffe
	s_or_b32 exec_lo, exec_lo, s0
	s_wait_storecnt_dscnt 0x0
	s_barrier_signal -1
	s_barrier_wait -1
	global_inv scope:SCOPE_SE
	s_clause 0x8
	scratch_load_b128 v[2:5], off, off offset:336
	scratch_load_b128 v[6:9], off, off offset:352
	;; [unrolled: 1-line block ×9, first 2 shown]
	ds_load_b128 v[38:41], v1 offset:1056
	ds_load_b128 v[42:45], v1 offset:1072
	s_clause 0x1
	scratch_load_b128 v[139:142], off, off offset:320
	scratch_load_b128 v[143:146], off, off offset:480
	s_mov_b32 s0, exec_lo
	s_wait_loadcnt_dscnt 0xa01
	v_mul_f64_e32 v[147:148], v[40:41], v[4:5]
	v_mul_f64_e32 v[4:5], v[38:39], v[4:5]
	s_wait_loadcnt_dscnt 0x900
	v_mul_f64_e32 v[151:152], v[42:43], v[8:9]
	v_mul_f64_e32 v[8:9], v[44:45], v[8:9]
	s_delay_alu instid0(VALU_DEP_4) | instskip(NEXT) | instid1(VALU_DEP_4)
	v_fma_f64 v[153:154], v[38:39], v[2:3], -v[147:148]
	v_fma_f64 v[155:156], v[40:41], v[2:3], v[4:5]
	ds_load_b128 v[2:5], v1 offset:1088
	ds_load_b128 v[147:150], v1 offset:1104
	scratch_load_b128 v[38:41], off, off offset:496
	v_fma_f64 v[44:45], v[44:45], v[6:7], v[151:152]
	v_fma_f64 v[42:43], v[42:43], v[6:7], -v[8:9]
	scratch_load_b128 v[6:9], off, off offset:512
	s_wait_loadcnt_dscnt 0xa01
	v_mul_f64_e32 v[157:158], v[2:3], v[12:13]
	v_mul_f64_e32 v[12:13], v[4:5], v[12:13]
	v_add_f64_e32 v[151:152], 0, v[153:154]
	v_add_f64_e32 v[153:154], 0, v[155:156]
	s_wait_loadcnt_dscnt 0x900
	v_mul_f64_e32 v[155:156], v[147:148], v[16:17]
	v_mul_f64_e32 v[16:17], v[149:150], v[16:17]
	v_fma_f64 v[157:158], v[4:5], v[10:11], v[157:158]
	v_fma_f64 v[159:160], v[2:3], v[10:11], -v[12:13]
	ds_load_b128 v[2:5], v1 offset:1120
	scratch_load_b128 v[10:13], off, off offset:528
	v_add_f64_e32 v[151:152], v[151:152], v[42:43]
	v_add_f64_e32 v[153:154], v[153:154], v[44:45]
	ds_load_b128 v[42:45], v1 offset:1136
	v_fma_f64 v[149:150], v[149:150], v[14:15], v[155:156]
	v_fma_f64 v[147:148], v[147:148], v[14:15], -v[16:17]
	scratch_load_b128 v[14:17], off, off offset:544
	s_wait_loadcnt_dscnt 0xa01
	v_mul_f64_e32 v[161:162], v[2:3], v[20:21]
	v_mul_f64_e32 v[20:21], v[4:5], v[20:21]
	s_wait_loadcnt_dscnt 0x900
	v_mul_f64_e32 v[155:156], v[42:43], v[24:25]
	v_mul_f64_e32 v[24:25], v[44:45], v[24:25]
	v_add_f64_e32 v[151:152], v[151:152], v[159:160]
	v_add_f64_e32 v[153:154], v[153:154], v[157:158]
	v_fma_f64 v[157:158], v[4:5], v[18:19], v[161:162]
	v_fma_f64 v[159:160], v[2:3], v[18:19], -v[20:21]
	ds_load_b128 v[2:5], v1 offset:1152
	scratch_load_b128 v[18:21], off, off offset:560
	v_fma_f64 v[44:45], v[44:45], v[22:23], v[155:156]
	v_fma_f64 v[42:43], v[42:43], v[22:23], -v[24:25]
	scratch_load_b128 v[22:25], off, off offset:576
	v_add_f64_e32 v[151:152], v[151:152], v[147:148]
	v_add_f64_e32 v[153:154], v[153:154], v[149:150]
	ds_load_b128 v[147:150], v1 offset:1168
	s_wait_loadcnt_dscnt 0xa01
	v_mul_f64_e32 v[161:162], v[2:3], v[28:29]
	v_mul_f64_e32 v[28:29], v[4:5], v[28:29]
	s_wait_loadcnt_dscnt 0x900
	v_mul_f64_e32 v[155:156], v[147:148], v[32:33]
	v_mul_f64_e32 v[32:33], v[149:150], v[32:33]
	v_add_f64_e32 v[151:152], v[151:152], v[159:160]
	v_add_f64_e32 v[153:154], v[153:154], v[157:158]
	v_fma_f64 v[157:158], v[4:5], v[26:27], v[161:162]
	v_fma_f64 v[159:160], v[2:3], v[26:27], -v[28:29]
	ds_load_b128 v[2:5], v1 offset:1184
	scratch_load_b128 v[26:29], off, off offset:592
	v_fma_f64 v[149:150], v[149:150], v[30:31], v[155:156]
	v_fma_f64 v[147:148], v[147:148], v[30:31], -v[32:33]
	scratch_load_b128 v[30:33], off, off offset:608
	v_add_f64_e32 v[151:152], v[151:152], v[42:43]
	v_add_f64_e32 v[153:154], v[153:154], v[44:45]
	ds_load_b128 v[42:45], v1 offset:1200
	s_wait_loadcnt_dscnt 0xa01
	v_mul_f64_e32 v[161:162], v[2:3], v[36:37]
	v_mul_f64_e32 v[36:37], v[4:5], v[36:37]
	s_wait_loadcnt_dscnt 0x800
	v_mul_f64_e32 v[155:156], v[42:43], v[145:146]
	v_add_f64_e32 v[151:152], v[151:152], v[159:160]
	v_add_f64_e32 v[153:154], v[153:154], v[157:158]
	v_mul_f64_e32 v[157:158], v[44:45], v[145:146]
	v_fma_f64 v[159:160], v[4:5], v[34:35], v[161:162]
	v_fma_f64 v[161:162], v[2:3], v[34:35], -v[36:37]
	ds_load_b128 v[2:5], v1 offset:1216
	scratch_load_b128 v[34:37], off, off offset:624
	v_fma_f64 v[44:45], v[44:45], v[143:144], v[155:156]
	v_add_f64_e32 v[151:152], v[151:152], v[147:148]
	v_add_f64_e32 v[149:150], v[153:154], v[149:150]
	ds_load_b128 v[145:148], v1 offset:1232
	v_fma_f64 v[143:144], v[42:43], v[143:144], -v[157:158]
	s_wait_loadcnt_dscnt 0x801
	v_mul_f64_e32 v[153:154], v[2:3], v[40:41]
	v_mul_f64_e32 v[163:164], v[4:5], v[40:41]
	scratch_load_b128 v[40:43], off, off offset:640
	s_wait_loadcnt_dscnt 0x800
	v_mul_f64_e32 v[157:158], v[145:146], v[8:9]
	v_mul_f64_e32 v[8:9], v[147:148], v[8:9]
	v_add_f64_e32 v[151:152], v[151:152], v[161:162]
	v_add_f64_e32 v[149:150], v[149:150], v[159:160]
	v_fma_f64 v[159:160], v[4:5], v[38:39], v[153:154]
	v_fma_f64 v[38:39], v[2:3], v[38:39], -v[163:164]
	ds_load_b128 v[2:5], v1 offset:1248
	ds_load_b128 v[153:156], v1 offset:1264
	v_fma_f64 v[147:148], v[147:148], v[6:7], v[157:158]
	v_fma_f64 v[145:146], v[145:146], v[6:7], -v[8:9]
	scratch_load_b128 v[6:9], off, off offset:672
	v_add_f64_e32 v[143:144], v[151:152], v[143:144]
	v_add_f64_e32 v[44:45], v[149:150], v[44:45]
	scratch_load_b128 v[149:152], off, off offset:656
	s_wait_loadcnt_dscnt 0x901
	v_mul_f64_e32 v[161:162], v[2:3], v[12:13]
	v_mul_f64_e32 v[12:13], v[4:5], v[12:13]
	s_wait_loadcnt_dscnt 0x800
	v_mul_f64_e32 v[157:158], v[153:154], v[16:17]
	v_mul_f64_e32 v[16:17], v[155:156], v[16:17]
	v_add_f64_e32 v[38:39], v[143:144], v[38:39]
	v_add_f64_e32 v[44:45], v[44:45], v[159:160]
	v_fma_f64 v[159:160], v[4:5], v[10:11], v[161:162]
	v_fma_f64 v[161:162], v[2:3], v[10:11], -v[12:13]
	ds_load_b128 v[2:5], v1 offset:1280
	scratch_load_b128 v[10:13], off, off offset:688
	v_fma_f64 v[155:156], v[155:156], v[14:15], v[157:158]
	v_fma_f64 v[153:154], v[153:154], v[14:15], -v[16:17]
	scratch_load_b128 v[14:17], off, off offset:704
	v_add_f64_e32 v[38:39], v[38:39], v[145:146]
	v_add_f64_e32 v[44:45], v[44:45], v[147:148]
	ds_load_b128 v[143:146], v1 offset:1296
	s_wait_loadcnt_dscnt 0x901
	v_mul_f64_e32 v[147:148], v[2:3], v[20:21]
	v_mul_f64_e32 v[20:21], v[4:5], v[20:21]
	s_wait_loadcnt_dscnt 0x800
	v_mul_f64_e32 v[157:158], v[143:144], v[24:25]
	v_mul_f64_e32 v[24:25], v[145:146], v[24:25]
	v_add_f64_e32 v[38:39], v[38:39], v[161:162]
	v_add_f64_e32 v[44:45], v[44:45], v[159:160]
	v_fma_f64 v[147:148], v[4:5], v[18:19], v[147:148]
	v_fma_f64 v[159:160], v[2:3], v[18:19], -v[20:21]
	ds_load_b128 v[2:5], v1 offset:1312
	scratch_load_b128 v[18:21], off, off offset:720
	v_fma_f64 v[145:146], v[145:146], v[22:23], v[157:158]
	v_fma_f64 v[143:144], v[143:144], v[22:23], -v[24:25]
	scratch_load_b128 v[22:25], off, off offset:736
	v_add_f64_e32 v[38:39], v[38:39], v[153:154]
	v_add_f64_e32 v[44:45], v[44:45], v[155:156]
	ds_load_b128 v[153:156], v1 offset:1328
	s_wait_loadcnt_dscnt 0x901
	v_mul_f64_e32 v[161:162], v[2:3], v[28:29]
	v_mul_f64_e32 v[28:29], v[4:5], v[28:29]
	v_add_f64_e32 v[38:39], v[38:39], v[159:160]
	v_add_f64_e32 v[44:45], v[44:45], v[147:148]
	s_wait_loadcnt_dscnt 0x800
	v_mul_f64_e32 v[147:148], v[153:154], v[32:33]
	v_mul_f64_e32 v[32:33], v[155:156], v[32:33]
	v_fma_f64 v[157:158], v[4:5], v[26:27], v[161:162]
	v_fma_f64 v[159:160], v[2:3], v[26:27], -v[28:29]
	ds_load_b128 v[2:5], v1 offset:1344
	ds_load_b128 v[26:29], v1 offset:1360
	v_add_f64_e32 v[38:39], v[38:39], v[143:144]
	v_add_f64_e32 v[44:45], v[44:45], v[145:146]
	s_wait_loadcnt_dscnt 0x701
	v_mul_f64_e32 v[143:144], v[2:3], v[36:37]
	v_mul_f64_e32 v[36:37], v[4:5], v[36:37]
	v_fma_f64 v[145:146], v[155:156], v[30:31], v[147:148]
	v_fma_f64 v[30:31], v[153:154], v[30:31], -v[32:33]
	v_add_f64_e32 v[32:33], v[38:39], v[159:160]
	v_add_f64_e32 v[38:39], v[44:45], v[157:158]
	s_wait_loadcnt_dscnt 0x600
	v_mul_f64_e32 v[44:45], v[26:27], v[42:43]
	v_mul_f64_e32 v[42:43], v[28:29], v[42:43]
	v_fma_f64 v[143:144], v[4:5], v[34:35], v[143:144]
	v_fma_f64 v[34:35], v[2:3], v[34:35], -v[36:37]
	v_add_f64_e32 v[36:37], v[32:33], v[30:31]
	v_add_f64_e32 v[38:39], v[38:39], v[145:146]
	ds_load_b128 v[2:5], v1 offset:1376
	ds_load_b128 v[30:33], v1 offset:1392
	v_fma_f64 v[28:29], v[28:29], v[40:41], v[44:45]
	v_fma_f64 v[26:27], v[26:27], v[40:41], -v[42:43]
	s_wait_loadcnt_dscnt 0x401
	v_mul_f64_e32 v[145:146], v[2:3], v[151:152]
	v_mul_f64_e32 v[147:148], v[4:5], v[151:152]
	v_add_f64_e32 v[34:35], v[36:37], v[34:35]
	v_add_f64_e32 v[36:37], v[38:39], v[143:144]
	s_wait_dscnt 0x0
	v_mul_f64_e32 v[38:39], v[30:31], v[8:9]
	v_mul_f64_e32 v[8:9], v[32:33], v[8:9]
	v_fma_f64 v[40:41], v[4:5], v[149:150], v[145:146]
	v_fma_f64 v[42:43], v[2:3], v[149:150], -v[147:148]
	v_add_f64_e32 v[34:35], v[34:35], v[26:27]
	v_add_f64_e32 v[36:37], v[36:37], v[28:29]
	ds_load_b128 v[2:5], v1 offset:1408
	ds_load_b128 v[26:29], v1 offset:1424
	v_fma_f64 v[32:33], v[32:33], v[6:7], v[38:39]
	v_fma_f64 v[6:7], v[30:31], v[6:7], -v[8:9]
	s_wait_loadcnt_dscnt 0x301
	v_mul_f64_e32 v[44:45], v[2:3], v[12:13]
	v_mul_f64_e32 v[12:13], v[4:5], v[12:13]
	v_add_f64_e32 v[8:9], v[34:35], v[42:43]
	v_add_f64_e32 v[30:31], v[36:37], v[40:41]
	s_wait_loadcnt_dscnt 0x200
	v_mul_f64_e32 v[34:35], v[26:27], v[16:17]
	v_mul_f64_e32 v[16:17], v[28:29], v[16:17]
	v_fma_f64 v[36:37], v[4:5], v[10:11], v[44:45]
	v_fma_f64 v[10:11], v[2:3], v[10:11], -v[12:13]
	v_add_f64_e32 v[12:13], v[8:9], v[6:7]
	v_add_f64_e32 v[30:31], v[30:31], v[32:33]
	ds_load_b128 v[2:5], v1 offset:1440
	ds_load_b128 v[6:9], v1 offset:1456
	v_fma_f64 v[28:29], v[28:29], v[14:15], v[34:35]
	v_fma_f64 v[14:15], v[26:27], v[14:15], -v[16:17]
	s_wait_loadcnt_dscnt 0x101
	v_mul_f64_e32 v[32:33], v[2:3], v[20:21]
	v_mul_f64_e32 v[20:21], v[4:5], v[20:21]
	s_wait_loadcnt_dscnt 0x0
	v_mul_f64_e32 v[16:17], v[6:7], v[24:25]
	v_mul_f64_e32 v[24:25], v[8:9], v[24:25]
	v_add_f64_e32 v[10:11], v[12:13], v[10:11]
	v_add_f64_e32 v[12:13], v[30:31], v[36:37]
	v_fma_f64 v[4:5], v[4:5], v[18:19], v[32:33]
	v_fma_f64 v[1:2], v[2:3], v[18:19], -v[20:21]
	v_fma_f64 v[8:9], v[8:9], v[22:23], v[16:17]
	v_fma_f64 v[6:7], v[6:7], v[22:23], -v[24:25]
	v_add_f64_e32 v[10:11], v[10:11], v[14:15]
	v_add_f64_e32 v[12:13], v[12:13], v[28:29]
	s_delay_alu instid0(VALU_DEP_2) | instskip(NEXT) | instid1(VALU_DEP_2)
	v_add_f64_e32 v[1:2], v[10:11], v[1:2]
	v_add_f64_e32 v[3:4], v[12:13], v[4:5]
	s_delay_alu instid0(VALU_DEP_2) | instskip(NEXT) | instid1(VALU_DEP_2)
	;; [unrolled: 3-line block ×3, first 2 shown]
	v_add_f64_e64 v[1:2], v[139:140], -v[1:2]
	v_add_f64_e64 v[3:4], v[141:142], -v[3:4]
	scratch_store_b128 off, v[1:4], off offset:320
	v_cmpx_lt_u32_e32 18, v0
	s_cbranch_execz .LBB45_253
; %bb.252:
	scratch_load_b128 v[1:4], off, s34
	v_mov_b32_e32 v5, 0
	s_delay_alu instid0(VALU_DEP_1)
	v_dual_mov_b32 v6, v5 :: v_dual_mov_b32 v7, v5
	v_mov_b32_e32 v8, v5
	scratch_store_b128 off, v[5:8], off offset:304
	s_wait_loadcnt 0x0
	ds_store_b128 v138, v[1:4]
.LBB45_253:
	s_wait_alu 0xfffe
	s_or_b32 exec_lo, exec_lo, s0
	s_wait_storecnt_dscnt 0x0
	s_barrier_signal -1
	s_barrier_wait -1
	global_inv scope:SCOPE_SE
	s_clause 0x7
	scratch_load_b128 v[2:5], off, off offset:320
	scratch_load_b128 v[6:9], off, off offset:336
	;; [unrolled: 1-line block ×8, first 2 shown]
	v_mov_b32_e32 v1, 0
	s_mov_b32 s0, exec_lo
	ds_load_b128 v[34:37], v1 offset:1040
	s_clause 0x1
	scratch_load_b128 v[38:41], off, off offset:448
	scratch_load_b128 v[42:45], off, off offset:304
	ds_load_b128 v[139:142], v1 offset:1056
	scratch_load_b128 v[143:146], off, off offset:464
	s_wait_loadcnt_dscnt 0xa01
	v_mul_f64_e32 v[147:148], v[36:37], v[4:5]
	v_mul_f64_e32 v[4:5], v[34:35], v[4:5]
	s_delay_alu instid0(VALU_DEP_2) | instskip(NEXT) | instid1(VALU_DEP_2)
	v_fma_f64 v[153:154], v[34:35], v[2:3], -v[147:148]
	v_fma_f64 v[155:156], v[36:37], v[2:3], v[4:5]
	ds_load_b128 v[2:5], v1 offset:1072
	s_wait_loadcnt_dscnt 0x901
	v_mul_f64_e32 v[151:152], v[139:140], v[8:9]
	v_mul_f64_e32 v[8:9], v[141:142], v[8:9]
	scratch_load_b128 v[34:37], off, off offset:480
	ds_load_b128 v[147:150], v1 offset:1088
	s_wait_loadcnt_dscnt 0x901
	v_mul_f64_e32 v[157:158], v[2:3], v[12:13]
	v_mul_f64_e32 v[12:13], v[4:5], v[12:13]
	v_fma_f64 v[141:142], v[141:142], v[6:7], v[151:152]
	v_fma_f64 v[139:140], v[139:140], v[6:7], -v[8:9]
	v_add_f64_e32 v[151:152], 0, v[153:154]
	v_add_f64_e32 v[153:154], 0, v[155:156]
	scratch_load_b128 v[6:9], off, off offset:496
	v_fma_f64 v[157:158], v[4:5], v[10:11], v[157:158]
	v_fma_f64 v[159:160], v[2:3], v[10:11], -v[12:13]
	ds_load_b128 v[2:5], v1 offset:1104
	s_wait_loadcnt_dscnt 0x901
	v_mul_f64_e32 v[155:156], v[147:148], v[16:17]
	v_mul_f64_e32 v[16:17], v[149:150], v[16:17]
	scratch_load_b128 v[10:13], off, off offset:512
	v_add_f64_e32 v[151:152], v[151:152], v[139:140]
	v_add_f64_e32 v[153:154], v[153:154], v[141:142]
	s_wait_loadcnt_dscnt 0x900
	v_mul_f64_e32 v[161:162], v[2:3], v[20:21]
	v_mul_f64_e32 v[20:21], v[4:5], v[20:21]
	ds_load_b128 v[139:142], v1 offset:1120
	v_fma_f64 v[149:150], v[149:150], v[14:15], v[155:156]
	v_fma_f64 v[147:148], v[147:148], v[14:15], -v[16:17]
	scratch_load_b128 v[14:17], off, off offset:528
	v_add_f64_e32 v[151:152], v[151:152], v[159:160]
	v_add_f64_e32 v[153:154], v[153:154], v[157:158]
	v_fma_f64 v[157:158], v[4:5], v[18:19], v[161:162]
	v_fma_f64 v[159:160], v[2:3], v[18:19], -v[20:21]
	ds_load_b128 v[2:5], v1 offset:1136
	s_wait_loadcnt_dscnt 0x901
	v_mul_f64_e32 v[155:156], v[139:140], v[24:25]
	v_mul_f64_e32 v[24:25], v[141:142], v[24:25]
	scratch_load_b128 v[18:21], off, off offset:544
	s_wait_loadcnt_dscnt 0x900
	v_mul_f64_e32 v[161:162], v[2:3], v[28:29]
	v_mul_f64_e32 v[28:29], v[4:5], v[28:29]
	v_add_f64_e32 v[151:152], v[151:152], v[147:148]
	v_add_f64_e32 v[153:154], v[153:154], v[149:150]
	ds_load_b128 v[147:150], v1 offset:1152
	v_fma_f64 v[141:142], v[141:142], v[22:23], v[155:156]
	v_fma_f64 v[139:140], v[139:140], v[22:23], -v[24:25]
	scratch_load_b128 v[22:25], off, off offset:560
	v_add_f64_e32 v[151:152], v[151:152], v[159:160]
	v_add_f64_e32 v[153:154], v[153:154], v[157:158]
	v_fma_f64 v[157:158], v[4:5], v[26:27], v[161:162]
	v_fma_f64 v[159:160], v[2:3], v[26:27], -v[28:29]
	ds_load_b128 v[2:5], v1 offset:1168
	s_wait_loadcnt_dscnt 0x901
	v_mul_f64_e32 v[155:156], v[147:148], v[32:33]
	v_mul_f64_e32 v[32:33], v[149:150], v[32:33]
	scratch_load_b128 v[26:29], off, off offset:576
	s_wait_loadcnt_dscnt 0x900
	v_mul_f64_e32 v[161:162], v[2:3], v[40:41]
	v_mul_f64_e32 v[40:41], v[4:5], v[40:41]
	v_add_f64_e32 v[151:152], v[151:152], v[139:140]
	v_add_f64_e32 v[153:154], v[153:154], v[141:142]
	ds_load_b128 v[139:142], v1 offset:1184
	v_fma_f64 v[149:150], v[149:150], v[30:31], v[155:156]
	v_fma_f64 v[147:148], v[147:148], v[30:31], -v[32:33]
	scratch_load_b128 v[30:33], off, off offset:592
	v_add_f64_e32 v[151:152], v[151:152], v[159:160]
	v_add_f64_e32 v[153:154], v[153:154], v[157:158]
	v_fma_f64 v[159:160], v[4:5], v[38:39], v[161:162]
	v_fma_f64 v[161:162], v[2:3], v[38:39], -v[40:41]
	ds_load_b128 v[2:5], v1 offset:1200
	s_wait_loadcnt_dscnt 0x801
	v_mul_f64_e32 v[155:156], v[139:140], v[145:146]
	v_mul_f64_e32 v[157:158], v[141:142], v[145:146]
	scratch_load_b128 v[38:41], off, off offset:608
	v_add_f64_e32 v[151:152], v[151:152], v[147:148]
	v_add_f64_e32 v[149:150], v[153:154], v[149:150]
	ds_load_b128 v[145:148], v1 offset:1216
	v_fma_f64 v[155:156], v[141:142], v[143:144], v[155:156]
	v_fma_f64 v[143:144], v[139:140], v[143:144], -v[157:158]
	scratch_load_b128 v[139:142], off, off offset:624
	s_wait_loadcnt_dscnt 0x901
	v_mul_f64_e32 v[153:154], v[2:3], v[36:37]
	v_mul_f64_e32 v[36:37], v[4:5], v[36:37]
	v_add_f64_e32 v[151:152], v[151:152], v[161:162]
	v_add_f64_e32 v[149:150], v[149:150], v[159:160]
	s_delay_alu instid0(VALU_DEP_4) | instskip(NEXT) | instid1(VALU_DEP_4)
	v_fma_f64 v[153:154], v[4:5], v[34:35], v[153:154]
	v_fma_f64 v[159:160], v[2:3], v[34:35], -v[36:37]
	ds_load_b128 v[2:5], v1 offset:1232
	s_wait_loadcnt_dscnt 0x801
	v_mul_f64_e32 v[157:158], v[145:146], v[8:9]
	v_mul_f64_e32 v[8:9], v[147:148], v[8:9]
	scratch_load_b128 v[34:37], off, off offset:640
	s_wait_loadcnt_dscnt 0x800
	v_mul_f64_e32 v[161:162], v[2:3], v[12:13]
	v_add_f64_e32 v[143:144], v[151:152], v[143:144]
	v_add_f64_e32 v[155:156], v[149:150], v[155:156]
	v_mul_f64_e32 v[12:13], v[4:5], v[12:13]
	ds_load_b128 v[149:152], v1 offset:1248
	v_fma_f64 v[147:148], v[147:148], v[6:7], v[157:158]
	v_fma_f64 v[145:146], v[145:146], v[6:7], -v[8:9]
	scratch_load_b128 v[6:9], off, off offset:656
	v_fma_f64 v[157:158], v[4:5], v[10:11], v[161:162]
	v_add_f64_e32 v[143:144], v[143:144], v[159:160]
	v_add_f64_e32 v[153:154], v[155:156], v[153:154]
	v_fma_f64 v[159:160], v[2:3], v[10:11], -v[12:13]
	ds_load_b128 v[2:5], v1 offset:1264
	s_wait_loadcnt_dscnt 0x801
	v_mul_f64_e32 v[155:156], v[149:150], v[16:17]
	v_mul_f64_e32 v[16:17], v[151:152], v[16:17]
	scratch_load_b128 v[10:13], off, off offset:672
	v_add_f64_e32 v[161:162], v[143:144], v[145:146]
	v_add_f64_e32 v[147:148], v[153:154], v[147:148]
	s_wait_loadcnt_dscnt 0x800
	v_mul_f64_e32 v[153:154], v[2:3], v[20:21]
	v_mul_f64_e32 v[20:21], v[4:5], v[20:21]
	v_fma_f64 v[151:152], v[151:152], v[14:15], v[155:156]
	v_fma_f64 v[149:150], v[149:150], v[14:15], -v[16:17]
	ds_load_b128 v[143:146], v1 offset:1280
	scratch_load_b128 v[14:17], off, off offset:688
	v_add_f64_e32 v[155:156], v[161:162], v[159:160]
	v_add_f64_e32 v[147:148], v[147:148], v[157:158]
	v_fma_f64 v[153:154], v[4:5], v[18:19], v[153:154]
	v_fma_f64 v[159:160], v[2:3], v[18:19], -v[20:21]
	ds_load_b128 v[2:5], v1 offset:1296
	s_wait_loadcnt_dscnt 0x801
	v_mul_f64_e32 v[157:158], v[143:144], v[24:25]
	v_mul_f64_e32 v[24:25], v[145:146], v[24:25]
	scratch_load_b128 v[18:21], off, off offset:704
	s_wait_loadcnt_dscnt 0x800
	v_mul_f64_e32 v[161:162], v[2:3], v[28:29]
	v_mul_f64_e32 v[28:29], v[4:5], v[28:29]
	v_add_f64_e32 v[155:156], v[155:156], v[149:150]
	v_add_f64_e32 v[151:152], v[147:148], v[151:152]
	ds_load_b128 v[147:150], v1 offset:1312
	v_fma_f64 v[145:146], v[145:146], v[22:23], v[157:158]
	v_fma_f64 v[143:144], v[143:144], v[22:23], -v[24:25]
	scratch_load_b128 v[22:25], off, off offset:720
	v_fma_f64 v[157:158], v[4:5], v[26:27], v[161:162]
	v_add_f64_e32 v[155:156], v[155:156], v[159:160]
	v_add_f64_e32 v[151:152], v[151:152], v[153:154]
	v_fma_f64 v[159:160], v[2:3], v[26:27], -v[28:29]
	ds_load_b128 v[2:5], v1 offset:1328
	s_wait_loadcnt_dscnt 0x801
	v_mul_f64_e32 v[153:154], v[147:148], v[32:33]
	v_mul_f64_e32 v[32:33], v[149:150], v[32:33]
	scratch_load_b128 v[26:29], off, off offset:736
	s_wait_loadcnt_dscnt 0x800
	v_mul_f64_e32 v[161:162], v[2:3], v[40:41]
	v_mul_f64_e32 v[40:41], v[4:5], v[40:41]
	v_add_f64_e32 v[155:156], v[155:156], v[143:144]
	v_add_f64_e32 v[151:152], v[151:152], v[145:146]
	ds_load_b128 v[143:146], v1 offset:1344
	v_fma_f64 v[149:150], v[149:150], v[30:31], v[153:154]
	v_fma_f64 v[30:31], v[147:148], v[30:31], -v[32:33]
	v_fma_f64 v[153:154], v[4:5], v[38:39], v[161:162]
	v_fma_f64 v[38:39], v[2:3], v[38:39], -v[40:41]
	v_add_f64_e32 v[32:33], v[155:156], v[159:160]
	v_add_f64_e32 v[147:148], v[151:152], v[157:158]
	s_wait_loadcnt_dscnt 0x700
	v_mul_f64_e32 v[151:152], v[143:144], v[141:142]
	v_mul_f64_e32 v[141:142], v[145:146], v[141:142]
	s_delay_alu instid0(VALU_DEP_4) | instskip(NEXT) | instid1(VALU_DEP_4)
	v_add_f64_e32 v[40:41], v[32:33], v[30:31]
	v_add_f64_e32 v[147:148], v[147:148], v[149:150]
	ds_load_b128 v[2:5], v1 offset:1360
	ds_load_b128 v[30:33], v1 offset:1376
	v_fma_f64 v[145:146], v[145:146], v[139:140], v[151:152]
	v_fma_f64 v[139:140], v[143:144], v[139:140], -v[141:142]
	s_wait_loadcnt_dscnt 0x601
	v_mul_f64_e32 v[149:150], v[2:3], v[36:37]
	v_mul_f64_e32 v[36:37], v[4:5], v[36:37]
	s_wait_loadcnt_dscnt 0x500
	v_mul_f64_e32 v[141:142], v[30:31], v[8:9]
	v_mul_f64_e32 v[8:9], v[32:33], v[8:9]
	v_add_f64_e32 v[38:39], v[40:41], v[38:39]
	v_add_f64_e32 v[40:41], v[147:148], v[153:154]
	v_fma_f64 v[143:144], v[4:5], v[34:35], v[149:150]
	v_fma_f64 v[147:148], v[2:3], v[34:35], -v[36:37]
	ds_load_b128 v[2:5], v1 offset:1392
	ds_load_b128 v[34:37], v1 offset:1408
	v_fma_f64 v[32:33], v[32:33], v[6:7], v[141:142]
	v_fma_f64 v[6:7], v[30:31], v[6:7], -v[8:9]
	v_add_f64_e32 v[38:39], v[38:39], v[139:140]
	v_add_f64_e32 v[40:41], v[40:41], v[145:146]
	s_wait_loadcnt_dscnt 0x401
	v_mul_f64_e32 v[139:140], v[2:3], v[12:13]
	v_mul_f64_e32 v[12:13], v[4:5], v[12:13]
	s_delay_alu instid0(VALU_DEP_4) | instskip(NEXT) | instid1(VALU_DEP_4)
	v_add_f64_e32 v[8:9], v[38:39], v[147:148]
	v_add_f64_e32 v[30:31], v[40:41], v[143:144]
	s_wait_loadcnt_dscnt 0x300
	v_mul_f64_e32 v[38:39], v[34:35], v[16:17]
	v_mul_f64_e32 v[16:17], v[36:37], v[16:17]
	v_fma_f64 v[40:41], v[4:5], v[10:11], v[139:140]
	v_fma_f64 v[10:11], v[2:3], v[10:11], -v[12:13]
	v_add_f64_e32 v[12:13], v[8:9], v[6:7]
	v_add_f64_e32 v[30:31], v[30:31], v[32:33]
	ds_load_b128 v[2:5], v1 offset:1424
	ds_load_b128 v[6:9], v1 offset:1440
	v_fma_f64 v[36:37], v[36:37], v[14:15], v[38:39]
	v_fma_f64 v[14:15], v[34:35], v[14:15], -v[16:17]
	s_wait_loadcnt_dscnt 0x201
	v_mul_f64_e32 v[32:33], v[2:3], v[20:21]
	v_mul_f64_e32 v[20:21], v[4:5], v[20:21]
	s_wait_loadcnt_dscnt 0x100
	v_mul_f64_e32 v[16:17], v[6:7], v[24:25]
	v_mul_f64_e32 v[24:25], v[8:9], v[24:25]
	v_add_f64_e32 v[10:11], v[12:13], v[10:11]
	v_add_f64_e32 v[12:13], v[30:31], v[40:41]
	v_fma_f64 v[30:31], v[4:5], v[18:19], v[32:33]
	v_fma_f64 v[18:19], v[2:3], v[18:19], -v[20:21]
	ds_load_b128 v[2:5], v1 offset:1456
	v_fma_f64 v[8:9], v[8:9], v[22:23], v[16:17]
	v_fma_f64 v[6:7], v[6:7], v[22:23], -v[24:25]
	v_add_f64_e32 v[10:11], v[10:11], v[14:15]
	v_add_f64_e32 v[12:13], v[12:13], v[36:37]
	s_wait_loadcnt_dscnt 0x0
	v_mul_f64_e32 v[14:15], v[2:3], v[28:29]
	v_mul_f64_e32 v[20:21], v[4:5], v[28:29]
	s_delay_alu instid0(VALU_DEP_4) | instskip(NEXT) | instid1(VALU_DEP_4)
	v_add_f64_e32 v[10:11], v[10:11], v[18:19]
	v_add_f64_e32 v[12:13], v[12:13], v[30:31]
	s_delay_alu instid0(VALU_DEP_4) | instskip(NEXT) | instid1(VALU_DEP_4)
	v_fma_f64 v[4:5], v[4:5], v[26:27], v[14:15]
	v_fma_f64 v[2:3], v[2:3], v[26:27], -v[20:21]
	s_delay_alu instid0(VALU_DEP_4) | instskip(NEXT) | instid1(VALU_DEP_4)
	v_add_f64_e32 v[6:7], v[10:11], v[6:7]
	v_add_f64_e32 v[8:9], v[12:13], v[8:9]
	s_delay_alu instid0(VALU_DEP_2) | instskip(NEXT) | instid1(VALU_DEP_2)
	v_add_f64_e32 v[2:3], v[6:7], v[2:3]
	v_add_f64_e32 v[4:5], v[8:9], v[4:5]
	s_delay_alu instid0(VALU_DEP_2) | instskip(NEXT) | instid1(VALU_DEP_2)
	v_add_f64_e64 v[2:3], v[42:43], -v[2:3]
	v_add_f64_e64 v[4:5], v[44:45], -v[4:5]
	scratch_store_b128 off, v[2:5], off offset:304
	v_cmpx_lt_u32_e32 17, v0
	s_cbranch_execz .LBB45_255
; %bb.254:
	scratch_load_b128 v[5:8], off, s35
	v_dual_mov_b32 v2, v1 :: v_dual_mov_b32 v3, v1
	v_mov_b32_e32 v4, v1
	scratch_store_b128 off, v[1:4], off offset:288
	s_wait_loadcnt 0x0
	ds_store_b128 v138, v[5:8]
.LBB45_255:
	s_wait_alu 0xfffe
	s_or_b32 exec_lo, exec_lo, s0
	s_wait_storecnt_dscnt 0x0
	s_barrier_signal -1
	s_barrier_wait -1
	global_inv scope:SCOPE_SE
	s_clause 0x8
	scratch_load_b128 v[2:5], off, off offset:304
	scratch_load_b128 v[6:9], off, off offset:320
	;; [unrolled: 1-line block ×9, first 2 shown]
	ds_load_b128 v[38:41], v1 offset:1024
	ds_load_b128 v[42:45], v1 offset:1040
	s_clause 0x1
	scratch_load_b128 v[139:142], off, off offset:288
	scratch_load_b128 v[143:146], off, off offset:448
	s_mov_b32 s0, exec_lo
	s_wait_loadcnt_dscnt 0xa01
	v_mul_f64_e32 v[147:148], v[40:41], v[4:5]
	v_mul_f64_e32 v[4:5], v[38:39], v[4:5]
	s_wait_loadcnt_dscnt 0x900
	v_mul_f64_e32 v[151:152], v[42:43], v[8:9]
	v_mul_f64_e32 v[8:9], v[44:45], v[8:9]
	s_delay_alu instid0(VALU_DEP_4) | instskip(NEXT) | instid1(VALU_DEP_4)
	v_fma_f64 v[153:154], v[38:39], v[2:3], -v[147:148]
	v_fma_f64 v[155:156], v[40:41], v[2:3], v[4:5]
	ds_load_b128 v[2:5], v1 offset:1056
	ds_load_b128 v[147:150], v1 offset:1072
	scratch_load_b128 v[38:41], off, off offset:464
	v_fma_f64 v[44:45], v[44:45], v[6:7], v[151:152]
	v_fma_f64 v[42:43], v[42:43], v[6:7], -v[8:9]
	scratch_load_b128 v[6:9], off, off offset:480
	s_wait_loadcnt_dscnt 0xa01
	v_mul_f64_e32 v[157:158], v[2:3], v[12:13]
	v_mul_f64_e32 v[12:13], v[4:5], v[12:13]
	v_add_f64_e32 v[151:152], 0, v[153:154]
	v_add_f64_e32 v[153:154], 0, v[155:156]
	s_wait_loadcnt_dscnt 0x900
	v_mul_f64_e32 v[155:156], v[147:148], v[16:17]
	v_mul_f64_e32 v[16:17], v[149:150], v[16:17]
	v_fma_f64 v[157:158], v[4:5], v[10:11], v[157:158]
	v_fma_f64 v[159:160], v[2:3], v[10:11], -v[12:13]
	ds_load_b128 v[2:5], v1 offset:1088
	scratch_load_b128 v[10:13], off, off offset:496
	v_add_f64_e32 v[151:152], v[151:152], v[42:43]
	v_add_f64_e32 v[153:154], v[153:154], v[44:45]
	ds_load_b128 v[42:45], v1 offset:1104
	v_fma_f64 v[149:150], v[149:150], v[14:15], v[155:156]
	v_fma_f64 v[147:148], v[147:148], v[14:15], -v[16:17]
	scratch_load_b128 v[14:17], off, off offset:512
	s_wait_loadcnt_dscnt 0xa01
	v_mul_f64_e32 v[161:162], v[2:3], v[20:21]
	v_mul_f64_e32 v[20:21], v[4:5], v[20:21]
	s_wait_loadcnt_dscnt 0x900
	v_mul_f64_e32 v[155:156], v[42:43], v[24:25]
	v_mul_f64_e32 v[24:25], v[44:45], v[24:25]
	v_add_f64_e32 v[151:152], v[151:152], v[159:160]
	v_add_f64_e32 v[153:154], v[153:154], v[157:158]
	v_fma_f64 v[157:158], v[4:5], v[18:19], v[161:162]
	v_fma_f64 v[159:160], v[2:3], v[18:19], -v[20:21]
	ds_load_b128 v[2:5], v1 offset:1120
	scratch_load_b128 v[18:21], off, off offset:528
	v_fma_f64 v[44:45], v[44:45], v[22:23], v[155:156]
	v_fma_f64 v[42:43], v[42:43], v[22:23], -v[24:25]
	scratch_load_b128 v[22:25], off, off offset:544
	v_add_f64_e32 v[151:152], v[151:152], v[147:148]
	v_add_f64_e32 v[153:154], v[153:154], v[149:150]
	ds_load_b128 v[147:150], v1 offset:1136
	s_wait_loadcnt_dscnt 0xa01
	v_mul_f64_e32 v[161:162], v[2:3], v[28:29]
	v_mul_f64_e32 v[28:29], v[4:5], v[28:29]
	s_wait_loadcnt_dscnt 0x900
	v_mul_f64_e32 v[155:156], v[147:148], v[32:33]
	v_mul_f64_e32 v[32:33], v[149:150], v[32:33]
	v_add_f64_e32 v[151:152], v[151:152], v[159:160]
	v_add_f64_e32 v[153:154], v[153:154], v[157:158]
	v_fma_f64 v[157:158], v[4:5], v[26:27], v[161:162]
	v_fma_f64 v[159:160], v[2:3], v[26:27], -v[28:29]
	ds_load_b128 v[2:5], v1 offset:1152
	scratch_load_b128 v[26:29], off, off offset:560
	v_fma_f64 v[149:150], v[149:150], v[30:31], v[155:156]
	v_fma_f64 v[147:148], v[147:148], v[30:31], -v[32:33]
	scratch_load_b128 v[30:33], off, off offset:576
	v_add_f64_e32 v[151:152], v[151:152], v[42:43]
	v_add_f64_e32 v[153:154], v[153:154], v[44:45]
	ds_load_b128 v[42:45], v1 offset:1168
	s_wait_loadcnt_dscnt 0xa01
	v_mul_f64_e32 v[161:162], v[2:3], v[36:37]
	v_mul_f64_e32 v[36:37], v[4:5], v[36:37]
	s_wait_loadcnt_dscnt 0x800
	v_mul_f64_e32 v[155:156], v[42:43], v[145:146]
	v_add_f64_e32 v[151:152], v[151:152], v[159:160]
	v_add_f64_e32 v[153:154], v[153:154], v[157:158]
	v_mul_f64_e32 v[157:158], v[44:45], v[145:146]
	v_fma_f64 v[159:160], v[4:5], v[34:35], v[161:162]
	v_fma_f64 v[161:162], v[2:3], v[34:35], -v[36:37]
	ds_load_b128 v[2:5], v1 offset:1184
	scratch_load_b128 v[34:37], off, off offset:592
	v_fma_f64 v[44:45], v[44:45], v[143:144], v[155:156]
	v_add_f64_e32 v[151:152], v[151:152], v[147:148]
	v_add_f64_e32 v[149:150], v[153:154], v[149:150]
	ds_load_b128 v[145:148], v1 offset:1200
	v_fma_f64 v[143:144], v[42:43], v[143:144], -v[157:158]
	s_wait_loadcnt_dscnt 0x801
	v_mul_f64_e32 v[153:154], v[2:3], v[40:41]
	v_mul_f64_e32 v[163:164], v[4:5], v[40:41]
	scratch_load_b128 v[40:43], off, off offset:608
	s_wait_loadcnt_dscnt 0x800
	v_mul_f64_e32 v[157:158], v[145:146], v[8:9]
	v_mul_f64_e32 v[8:9], v[147:148], v[8:9]
	v_add_f64_e32 v[151:152], v[151:152], v[161:162]
	v_add_f64_e32 v[149:150], v[149:150], v[159:160]
	v_fma_f64 v[159:160], v[4:5], v[38:39], v[153:154]
	v_fma_f64 v[38:39], v[2:3], v[38:39], -v[163:164]
	ds_load_b128 v[2:5], v1 offset:1216
	ds_load_b128 v[153:156], v1 offset:1232
	v_fma_f64 v[147:148], v[147:148], v[6:7], v[157:158]
	v_fma_f64 v[145:146], v[145:146], v[6:7], -v[8:9]
	scratch_load_b128 v[6:9], off, off offset:640
	v_add_f64_e32 v[143:144], v[151:152], v[143:144]
	v_add_f64_e32 v[44:45], v[149:150], v[44:45]
	scratch_load_b128 v[149:152], off, off offset:624
	s_wait_loadcnt_dscnt 0x901
	v_mul_f64_e32 v[161:162], v[2:3], v[12:13]
	v_mul_f64_e32 v[12:13], v[4:5], v[12:13]
	s_wait_loadcnt_dscnt 0x800
	v_mul_f64_e32 v[157:158], v[153:154], v[16:17]
	v_mul_f64_e32 v[16:17], v[155:156], v[16:17]
	v_add_f64_e32 v[38:39], v[143:144], v[38:39]
	v_add_f64_e32 v[44:45], v[44:45], v[159:160]
	v_fma_f64 v[159:160], v[4:5], v[10:11], v[161:162]
	v_fma_f64 v[161:162], v[2:3], v[10:11], -v[12:13]
	ds_load_b128 v[2:5], v1 offset:1248
	scratch_load_b128 v[10:13], off, off offset:656
	v_fma_f64 v[155:156], v[155:156], v[14:15], v[157:158]
	v_fma_f64 v[153:154], v[153:154], v[14:15], -v[16:17]
	scratch_load_b128 v[14:17], off, off offset:672
	v_add_f64_e32 v[38:39], v[38:39], v[145:146]
	v_add_f64_e32 v[44:45], v[44:45], v[147:148]
	ds_load_b128 v[143:146], v1 offset:1264
	s_wait_loadcnt_dscnt 0x901
	v_mul_f64_e32 v[147:148], v[2:3], v[20:21]
	v_mul_f64_e32 v[20:21], v[4:5], v[20:21]
	s_wait_loadcnt_dscnt 0x800
	v_mul_f64_e32 v[157:158], v[143:144], v[24:25]
	v_mul_f64_e32 v[24:25], v[145:146], v[24:25]
	v_add_f64_e32 v[38:39], v[38:39], v[161:162]
	v_add_f64_e32 v[44:45], v[44:45], v[159:160]
	v_fma_f64 v[147:148], v[4:5], v[18:19], v[147:148]
	v_fma_f64 v[159:160], v[2:3], v[18:19], -v[20:21]
	ds_load_b128 v[2:5], v1 offset:1280
	scratch_load_b128 v[18:21], off, off offset:688
	v_fma_f64 v[145:146], v[145:146], v[22:23], v[157:158]
	v_fma_f64 v[143:144], v[143:144], v[22:23], -v[24:25]
	scratch_load_b128 v[22:25], off, off offset:704
	v_add_f64_e32 v[38:39], v[38:39], v[153:154]
	v_add_f64_e32 v[44:45], v[44:45], v[155:156]
	ds_load_b128 v[153:156], v1 offset:1296
	s_wait_loadcnt_dscnt 0x901
	v_mul_f64_e32 v[161:162], v[2:3], v[28:29]
	v_mul_f64_e32 v[28:29], v[4:5], v[28:29]
	v_add_f64_e32 v[38:39], v[38:39], v[159:160]
	v_add_f64_e32 v[44:45], v[44:45], v[147:148]
	s_wait_loadcnt_dscnt 0x800
	v_mul_f64_e32 v[147:148], v[153:154], v[32:33]
	v_mul_f64_e32 v[32:33], v[155:156], v[32:33]
	v_fma_f64 v[157:158], v[4:5], v[26:27], v[161:162]
	v_fma_f64 v[159:160], v[2:3], v[26:27], -v[28:29]
	ds_load_b128 v[2:5], v1 offset:1312
	scratch_load_b128 v[26:29], off, off offset:720
	v_add_f64_e32 v[38:39], v[38:39], v[143:144]
	v_add_f64_e32 v[44:45], v[44:45], v[145:146]
	ds_load_b128 v[143:146], v1 offset:1328
	s_wait_loadcnt_dscnt 0x801
	v_mul_f64_e32 v[161:162], v[2:3], v[36:37]
	v_mul_f64_e32 v[36:37], v[4:5], v[36:37]
	v_fma_f64 v[147:148], v[155:156], v[30:31], v[147:148]
	v_fma_f64 v[153:154], v[153:154], v[30:31], -v[32:33]
	scratch_load_b128 v[30:33], off, off offset:736
	s_wait_loadcnt_dscnt 0x800
	v_mul_f64_e32 v[155:156], v[143:144], v[42:43]
	v_add_f64_e32 v[38:39], v[38:39], v[159:160]
	v_add_f64_e32 v[44:45], v[44:45], v[157:158]
	v_mul_f64_e32 v[42:43], v[145:146], v[42:43]
	v_fma_f64 v[157:158], v[4:5], v[34:35], v[161:162]
	v_fma_f64 v[159:160], v[2:3], v[34:35], -v[36:37]
	ds_load_b128 v[2:5], v1 offset:1344
	ds_load_b128 v[34:37], v1 offset:1360
	v_fma_f64 v[145:146], v[145:146], v[40:41], v[155:156]
	v_add_f64_e32 v[38:39], v[38:39], v[153:154]
	v_add_f64_e32 v[44:45], v[44:45], v[147:148]
	v_fma_f64 v[40:41], v[143:144], v[40:41], -v[42:43]
	s_wait_loadcnt_dscnt 0x601
	v_mul_f64_e32 v[147:148], v[2:3], v[151:152]
	v_mul_f64_e32 v[151:152], v[4:5], v[151:152]
	v_add_f64_e32 v[38:39], v[38:39], v[159:160]
	v_add_f64_e32 v[42:43], v[44:45], v[157:158]
	s_wait_dscnt 0x0
	v_mul_f64_e32 v[44:45], v[34:35], v[8:9]
	v_mul_f64_e32 v[8:9], v[36:37], v[8:9]
	v_fma_f64 v[143:144], v[4:5], v[149:150], v[147:148]
	v_fma_f64 v[147:148], v[2:3], v[149:150], -v[151:152]
	v_add_f64_e32 v[149:150], v[38:39], v[40:41]
	v_add_f64_e32 v[42:43], v[42:43], v[145:146]
	ds_load_b128 v[2:5], v1 offset:1376
	ds_load_b128 v[38:41], v1 offset:1392
	v_fma_f64 v[36:37], v[36:37], v[6:7], v[44:45]
	v_fma_f64 v[6:7], v[34:35], v[6:7], -v[8:9]
	s_wait_loadcnt_dscnt 0x501
	v_mul_f64_e32 v[145:146], v[2:3], v[12:13]
	v_mul_f64_e32 v[12:13], v[4:5], v[12:13]
	v_add_f64_e32 v[8:9], v[149:150], v[147:148]
	v_add_f64_e32 v[34:35], v[42:43], v[143:144]
	s_wait_loadcnt_dscnt 0x400
	v_mul_f64_e32 v[42:43], v[38:39], v[16:17]
	v_mul_f64_e32 v[16:17], v[40:41], v[16:17]
	v_fma_f64 v[44:45], v[4:5], v[10:11], v[145:146]
	v_fma_f64 v[10:11], v[2:3], v[10:11], -v[12:13]
	v_add_f64_e32 v[12:13], v[8:9], v[6:7]
	v_add_f64_e32 v[34:35], v[34:35], v[36:37]
	ds_load_b128 v[2:5], v1 offset:1408
	ds_load_b128 v[6:9], v1 offset:1424
	v_fma_f64 v[40:41], v[40:41], v[14:15], v[42:43]
	v_fma_f64 v[14:15], v[38:39], v[14:15], -v[16:17]
	s_wait_loadcnt_dscnt 0x301
	v_mul_f64_e32 v[36:37], v[2:3], v[20:21]
	v_mul_f64_e32 v[20:21], v[4:5], v[20:21]
	s_wait_loadcnt_dscnt 0x200
	v_mul_f64_e32 v[16:17], v[6:7], v[24:25]
	v_mul_f64_e32 v[24:25], v[8:9], v[24:25]
	v_add_f64_e32 v[10:11], v[12:13], v[10:11]
	v_add_f64_e32 v[12:13], v[34:35], v[44:45]
	v_fma_f64 v[34:35], v[4:5], v[18:19], v[36:37]
	v_fma_f64 v[18:19], v[2:3], v[18:19], -v[20:21]
	v_fma_f64 v[8:9], v[8:9], v[22:23], v[16:17]
	v_fma_f64 v[6:7], v[6:7], v[22:23], -v[24:25]
	v_add_f64_e32 v[14:15], v[10:11], v[14:15]
	v_add_f64_e32 v[20:21], v[12:13], v[40:41]
	ds_load_b128 v[2:5], v1 offset:1440
	ds_load_b128 v[10:13], v1 offset:1456
	s_wait_loadcnt_dscnt 0x101
	v_mul_f64_e32 v[36:37], v[2:3], v[28:29]
	v_mul_f64_e32 v[28:29], v[4:5], v[28:29]
	v_add_f64_e32 v[14:15], v[14:15], v[18:19]
	v_add_f64_e32 v[16:17], v[20:21], v[34:35]
	s_wait_loadcnt_dscnt 0x0
	v_mul_f64_e32 v[18:19], v[10:11], v[32:33]
	v_mul_f64_e32 v[20:21], v[12:13], v[32:33]
	v_fma_f64 v[4:5], v[4:5], v[26:27], v[36:37]
	v_fma_f64 v[1:2], v[2:3], v[26:27], -v[28:29]
	v_add_f64_e32 v[6:7], v[14:15], v[6:7]
	v_add_f64_e32 v[8:9], v[16:17], v[8:9]
	v_fma_f64 v[12:13], v[12:13], v[30:31], v[18:19]
	v_fma_f64 v[10:11], v[10:11], v[30:31], -v[20:21]
	s_delay_alu instid0(VALU_DEP_4) | instskip(NEXT) | instid1(VALU_DEP_4)
	v_add_f64_e32 v[1:2], v[6:7], v[1:2]
	v_add_f64_e32 v[3:4], v[8:9], v[4:5]
	s_delay_alu instid0(VALU_DEP_2) | instskip(NEXT) | instid1(VALU_DEP_2)
	v_add_f64_e32 v[1:2], v[1:2], v[10:11]
	v_add_f64_e32 v[3:4], v[3:4], v[12:13]
	s_delay_alu instid0(VALU_DEP_2) | instskip(NEXT) | instid1(VALU_DEP_2)
	v_add_f64_e64 v[1:2], v[139:140], -v[1:2]
	v_add_f64_e64 v[3:4], v[141:142], -v[3:4]
	scratch_store_b128 off, v[1:4], off offset:288
	v_cmpx_lt_u32_e32 16, v0
	s_cbranch_execz .LBB45_257
; %bb.256:
	scratch_load_b128 v[1:4], off, s43
	v_mov_b32_e32 v5, 0
	s_delay_alu instid0(VALU_DEP_1)
	v_dual_mov_b32 v6, v5 :: v_dual_mov_b32 v7, v5
	v_mov_b32_e32 v8, v5
	scratch_store_b128 off, v[5:8], off offset:272
	s_wait_loadcnt 0x0
	ds_store_b128 v138, v[1:4]
.LBB45_257:
	s_wait_alu 0xfffe
	s_or_b32 exec_lo, exec_lo, s0
	s_wait_storecnt_dscnt 0x0
	s_barrier_signal -1
	s_barrier_wait -1
	global_inv scope:SCOPE_SE
	s_clause 0x7
	scratch_load_b128 v[2:5], off, off offset:288
	scratch_load_b128 v[6:9], off, off offset:304
	;; [unrolled: 1-line block ×8, first 2 shown]
	v_mov_b32_e32 v1, 0
	s_mov_b32 s0, exec_lo
	ds_load_b128 v[34:37], v1 offset:1008
	s_clause 0x1
	scratch_load_b128 v[38:41], off, off offset:416
	scratch_load_b128 v[42:45], off, off offset:272
	ds_load_b128 v[139:142], v1 offset:1024
	scratch_load_b128 v[143:146], off, off offset:432
	s_wait_loadcnt_dscnt 0xa01
	v_mul_f64_e32 v[147:148], v[36:37], v[4:5]
	v_mul_f64_e32 v[4:5], v[34:35], v[4:5]
	s_delay_alu instid0(VALU_DEP_2) | instskip(NEXT) | instid1(VALU_DEP_2)
	v_fma_f64 v[153:154], v[34:35], v[2:3], -v[147:148]
	v_fma_f64 v[155:156], v[36:37], v[2:3], v[4:5]
	ds_load_b128 v[2:5], v1 offset:1040
	s_wait_loadcnt_dscnt 0x901
	v_mul_f64_e32 v[151:152], v[139:140], v[8:9]
	v_mul_f64_e32 v[8:9], v[141:142], v[8:9]
	scratch_load_b128 v[34:37], off, off offset:448
	ds_load_b128 v[147:150], v1 offset:1056
	s_wait_loadcnt_dscnt 0x901
	v_mul_f64_e32 v[157:158], v[2:3], v[12:13]
	v_mul_f64_e32 v[12:13], v[4:5], v[12:13]
	v_fma_f64 v[141:142], v[141:142], v[6:7], v[151:152]
	v_fma_f64 v[139:140], v[139:140], v[6:7], -v[8:9]
	v_add_f64_e32 v[151:152], 0, v[153:154]
	v_add_f64_e32 v[153:154], 0, v[155:156]
	scratch_load_b128 v[6:9], off, off offset:464
	v_fma_f64 v[157:158], v[4:5], v[10:11], v[157:158]
	v_fma_f64 v[159:160], v[2:3], v[10:11], -v[12:13]
	ds_load_b128 v[2:5], v1 offset:1072
	s_wait_loadcnt_dscnt 0x901
	v_mul_f64_e32 v[155:156], v[147:148], v[16:17]
	v_mul_f64_e32 v[16:17], v[149:150], v[16:17]
	scratch_load_b128 v[10:13], off, off offset:480
	v_add_f64_e32 v[151:152], v[151:152], v[139:140]
	v_add_f64_e32 v[153:154], v[153:154], v[141:142]
	s_wait_loadcnt_dscnt 0x900
	v_mul_f64_e32 v[161:162], v[2:3], v[20:21]
	v_mul_f64_e32 v[20:21], v[4:5], v[20:21]
	ds_load_b128 v[139:142], v1 offset:1088
	v_fma_f64 v[149:150], v[149:150], v[14:15], v[155:156]
	v_fma_f64 v[147:148], v[147:148], v[14:15], -v[16:17]
	scratch_load_b128 v[14:17], off, off offset:496
	v_add_f64_e32 v[151:152], v[151:152], v[159:160]
	v_add_f64_e32 v[153:154], v[153:154], v[157:158]
	v_fma_f64 v[157:158], v[4:5], v[18:19], v[161:162]
	v_fma_f64 v[159:160], v[2:3], v[18:19], -v[20:21]
	ds_load_b128 v[2:5], v1 offset:1104
	s_wait_loadcnt_dscnt 0x901
	v_mul_f64_e32 v[155:156], v[139:140], v[24:25]
	v_mul_f64_e32 v[24:25], v[141:142], v[24:25]
	scratch_load_b128 v[18:21], off, off offset:512
	s_wait_loadcnt_dscnt 0x900
	v_mul_f64_e32 v[161:162], v[2:3], v[28:29]
	v_mul_f64_e32 v[28:29], v[4:5], v[28:29]
	v_add_f64_e32 v[151:152], v[151:152], v[147:148]
	v_add_f64_e32 v[153:154], v[153:154], v[149:150]
	ds_load_b128 v[147:150], v1 offset:1120
	v_fma_f64 v[141:142], v[141:142], v[22:23], v[155:156]
	v_fma_f64 v[139:140], v[139:140], v[22:23], -v[24:25]
	scratch_load_b128 v[22:25], off, off offset:528
	v_add_f64_e32 v[151:152], v[151:152], v[159:160]
	v_add_f64_e32 v[153:154], v[153:154], v[157:158]
	v_fma_f64 v[157:158], v[4:5], v[26:27], v[161:162]
	v_fma_f64 v[159:160], v[2:3], v[26:27], -v[28:29]
	ds_load_b128 v[2:5], v1 offset:1136
	s_wait_loadcnt_dscnt 0x901
	v_mul_f64_e32 v[155:156], v[147:148], v[32:33]
	v_mul_f64_e32 v[32:33], v[149:150], v[32:33]
	scratch_load_b128 v[26:29], off, off offset:544
	s_wait_loadcnt_dscnt 0x900
	v_mul_f64_e32 v[161:162], v[2:3], v[40:41]
	v_mul_f64_e32 v[40:41], v[4:5], v[40:41]
	v_add_f64_e32 v[151:152], v[151:152], v[139:140]
	v_add_f64_e32 v[153:154], v[153:154], v[141:142]
	ds_load_b128 v[139:142], v1 offset:1152
	v_fma_f64 v[149:150], v[149:150], v[30:31], v[155:156]
	v_fma_f64 v[147:148], v[147:148], v[30:31], -v[32:33]
	scratch_load_b128 v[30:33], off, off offset:560
	v_add_f64_e32 v[151:152], v[151:152], v[159:160]
	v_add_f64_e32 v[153:154], v[153:154], v[157:158]
	v_fma_f64 v[159:160], v[4:5], v[38:39], v[161:162]
	v_fma_f64 v[161:162], v[2:3], v[38:39], -v[40:41]
	ds_load_b128 v[2:5], v1 offset:1168
	s_wait_loadcnt_dscnt 0x801
	v_mul_f64_e32 v[155:156], v[139:140], v[145:146]
	v_mul_f64_e32 v[157:158], v[141:142], v[145:146]
	scratch_load_b128 v[38:41], off, off offset:576
	v_add_f64_e32 v[151:152], v[151:152], v[147:148]
	v_add_f64_e32 v[149:150], v[153:154], v[149:150]
	ds_load_b128 v[145:148], v1 offset:1184
	v_fma_f64 v[155:156], v[141:142], v[143:144], v[155:156]
	v_fma_f64 v[143:144], v[139:140], v[143:144], -v[157:158]
	scratch_load_b128 v[139:142], off, off offset:592
	s_wait_loadcnt_dscnt 0x901
	v_mul_f64_e32 v[153:154], v[2:3], v[36:37]
	v_mul_f64_e32 v[36:37], v[4:5], v[36:37]
	v_add_f64_e32 v[151:152], v[151:152], v[161:162]
	v_add_f64_e32 v[149:150], v[149:150], v[159:160]
	s_delay_alu instid0(VALU_DEP_4) | instskip(NEXT) | instid1(VALU_DEP_4)
	v_fma_f64 v[153:154], v[4:5], v[34:35], v[153:154]
	v_fma_f64 v[159:160], v[2:3], v[34:35], -v[36:37]
	ds_load_b128 v[2:5], v1 offset:1200
	s_wait_loadcnt_dscnt 0x801
	v_mul_f64_e32 v[157:158], v[145:146], v[8:9]
	v_mul_f64_e32 v[8:9], v[147:148], v[8:9]
	scratch_load_b128 v[34:37], off, off offset:608
	s_wait_loadcnt_dscnt 0x800
	v_mul_f64_e32 v[161:162], v[2:3], v[12:13]
	v_add_f64_e32 v[143:144], v[151:152], v[143:144]
	v_add_f64_e32 v[155:156], v[149:150], v[155:156]
	v_mul_f64_e32 v[12:13], v[4:5], v[12:13]
	ds_load_b128 v[149:152], v1 offset:1216
	v_fma_f64 v[147:148], v[147:148], v[6:7], v[157:158]
	v_fma_f64 v[145:146], v[145:146], v[6:7], -v[8:9]
	scratch_load_b128 v[6:9], off, off offset:624
	v_fma_f64 v[157:158], v[4:5], v[10:11], v[161:162]
	v_add_f64_e32 v[143:144], v[143:144], v[159:160]
	v_add_f64_e32 v[153:154], v[155:156], v[153:154]
	v_fma_f64 v[159:160], v[2:3], v[10:11], -v[12:13]
	ds_load_b128 v[2:5], v1 offset:1232
	s_wait_loadcnt_dscnt 0x801
	v_mul_f64_e32 v[155:156], v[149:150], v[16:17]
	v_mul_f64_e32 v[16:17], v[151:152], v[16:17]
	scratch_load_b128 v[10:13], off, off offset:640
	v_add_f64_e32 v[161:162], v[143:144], v[145:146]
	v_add_f64_e32 v[147:148], v[153:154], v[147:148]
	s_wait_loadcnt_dscnt 0x800
	v_mul_f64_e32 v[153:154], v[2:3], v[20:21]
	v_mul_f64_e32 v[20:21], v[4:5], v[20:21]
	v_fma_f64 v[151:152], v[151:152], v[14:15], v[155:156]
	v_fma_f64 v[149:150], v[149:150], v[14:15], -v[16:17]
	ds_load_b128 v[143:146], v1 offset:1248
	scratch_load_b128 v[14:17], off, off offset:656
	v_add_f64_e32 v[155:156], v[161:162], v[159:160]
	v_add_f64_e32 v[147:148], v[147:148], v[157:158]
	v_fma_f64 v[153:154], v[4:5], v[18:19], v[153:154]
	v_fma_f64 v[159:160], v[2:3], v[18:19], -v[20:21]
	ds_load_b128 v[2:5], v1 offset:1264
	s_wait_loadcnt_dscnt 0x801
	v_mul_f64_e32 v[157:158], v[143:144], v[24:25]
	v_mul_f64_e32 v[24:25], v[145:146], v[24:25]
	scratch_load_b128 v[18:21], off, off offset:672
	s_wait_loadcnt_dscnt 0x800
	v_mul_f64_e32 v[161:162], v[2:3], v[28:29]
	v_mul_f64_e32 v[28:29], v[4:5], v[28:29]
	v_add_f64_e32 v[155:156], v[155:156], v[149:150]
	v_add_f64_e32 v[151:152], v[147:148], v[151:152]
	ds_load_b128 v[147:150], v1 offset:1280
	v_fma_f64 v[145:146], v[145:146], v[22:23], v[157:158]
	v_fma_f64 v[143:144], v[143:144], v[22:23], -v[24:25]
	scratch_load_b128 v[22:25], off, off offset:688
	v_fma_f64 v[157:158], v[4:5], v[26:27], v[161:162]
	v_add_f64_e32 v[155:156], v[155:156], v[159:160]
	v_add_f64_e32 v[151:152], v[151:152], v[153:154]
	v_fma_f64 v[159:160], v[2:3], v[26:27], -v[28:29]
	ds_load_b128 v[2:5], v1 offset:1296
	s_wait_loadcnt_dscnt 0x801
	v_mul_f64_e32 v[153:154], v[147:148], v[32:33]
	v_mul_f64_e32 v[32:33], v[149:150], v[32:33]
	scratch_load_b128 v[26:29], off, off offset:704
	s_wait_loadcnt_dscnt 0x800
	v_mul_f64_e32 v[161:162], v[2:3], v[40:41]
	v_mul_f64_e32 v[40:41], v[4:5], v[40:41]
	v_add_f64_e32 v[155:156], v[155:156], v[143:144]
	v_add_f64_e32 v[151:152], v[151:152], v[145:146]
	ds_load_b128 v[143:146], v1 offset:1312
	v_fma_f64 v[149:150], v[149:150], v[30:31], v[153:154]
	v_fma_f64 v[147:148], v[147:148], v[30:31], -v[32:33]
	scratch_load_b128 v[30:33], off, off offset:720
	v_add_f64_e32 v[153:154], v[155:156], v[159:160]
	v_add_f64_e32 v[151:152], v[151:152], v[157:158]
	v_fma_f64 v[157:158], v[4:5], v[38:39], v[161:162]
	v_fma_f64 v[159:160], v[2:3], v[38:39], -v[40:41]
	ds_load_b128 v[2:5], v1 offset:1328
	s_wait_loadcnt_dscnt 0x801
	v_mul_f64_e32 v[155:156], v[143:144], v[141:142]
	v_mul_f64_e32 v[141:142], v[145:146], v[141:142]
	scratch_load_b128 v[38:41], off, off offset:736
	s_wait_loadcnt_dscnt 0x800
	v_mul_f64_e32 v[161:162], v[2:3], v[36:37]
	v_mul_f64_e32 v[36:37], v[4:5], v[36:37]
	v_add_f64_e32 v[153:154], v[153:154], v[147:148]
	v_add_f64_e32 v[151:152], v[151:152], v[149:150]
	ds_load_b128 v[147:150], v1 offset:1344
	v_fma_f64 v[145:146], v[145:146], v[139:140], v[155:156]
	v_fma_f64 v[139:140], v[143:144], v[139:140], -v[141:142]
	v_fma_f64 v[155:156], v[2:3], v[34:35], -v[36:37]
	v_add_f64_e32 v[141:142], v[153:154], v[159:160]
	v_add_f64_e32 v[143:144], v[151:152], v[157:158]
	s_wait_loadcnt_dscnt 0x700
	v_mul_f64_e32 v[151:152], v[147:148], v[8:9]
	v_mul_f64_e32 v[8:9], v[149:150], v[8:9]
	v_fma_f64 v[153:154], v[4:5], v[34:35], v[161:162]
	ds_load_b128 v[2:5], v1 offset:1360
	ds_load_b128 v[34:37], v1 offset:1376
	v_add_f64_e32 v[139:140], v[141:142], v[139:140]
	v_add_f64_e32 v[141:142], v[143:144], v[145:146]
	s_wait_loadcnt_dscnt 0x601
	v_mul_f64_e32 v[143:144], v[2:3], v[12:13]
	v_mul_f64_e32 v[12:13], v[4:5], v[12:13]
	v_fma_f64 v[145:146], v[149:150], v[6:7], v[151:152]
	v_fma_f64 v[6:7], v[147:148], v[6:7], -v[8:9]
	v_add_f64_e32 v[8:9], v[139:140], v[155:156]
	v_add_f64_e32 v[139:140], v[141:142], v[153:154]
	s_wait_loadcnt_dscnt 0x500
	v_mul_f64_e32 v[141:142], v[34:35], v[16:17]
	v_mul_f64_e32 v[16:17], v[36:37], v[16:17]
	v_fma_f64 v[143:144], v[4:5], v[10:11], v[143:144]
	v_fma_f64 v[10:11], v[2:3], v[10:11], -v[12:13]
	v_add_f64_e32 v[12:13], v[8:9], v[6:7]
	v_add_f64_e32 v[139:140], v[139:140], v[145:146]
	ds_load_b128 v[2:5], v1 offset:1392
	ds_load_b128 v[6:9], v1 offset:1408
	v_fma_f64 v[36:37], v[36:37], v[14:15], v[141:142]
	v_fma_f64 v[14:15], v[34:35], v[14:15], -v[16:17]
	s_wait_loadcnt_dscnt 0x401
	v_mul_f64_e32 v[145:146], v[2:3], v[20:21]
	v_mul_f64_e32 v[20:21], v[4:5], v[20:21]
	s_wait_loadcnt_dscnt 0x300
	v_mul_f64_e32 v[16:17], v[6:7], v[24:25]
	v_mul_f64_e32 v[24:25], v[8:9], v[24:25]
	v_add_f64_e32 v[10:11], v[12:13], v[10:11]
	v_add_f64_e32 v[12:13], v[139:140], v[143:144]
	v_fma_f64 v[34:35], v[4:5], v[18:19], v[145:146]
	v_fma_f64 v[18:19], v[2:3], v[18:19], -v[20:21]
	v_fma_f64 v[8:9], v[8:9], v[22:23], v[16:17]
	v_fma_f64 v[6:7], v[6:7], v[22:23], -v[24:25]
	v_add_f64_e32 v[14:15], v[10:11], v[14:15]
	v_add_f64_e32 v[20:21], v[12:13], v[36:37]
	ds_load_b128 v[2:5], v1 offset:1424
	ds_load_b128 v[10:13], v1 offset:1440
	s_wait_loadcnt_dscnt 0x201
	v_mul_f64_e32 v[36:37], v[2:3], v[28:29]
	v_mul_f64_e32 v[28:29], v[4:5], v[28:29]
	v_add_f64_e32 v[14:15], v[14:15], v[18:19]
	v_add_f64_e32 v[16:17], v[20:21], v[34:35]
	s_wait_loadcnt_dscnt 0x100
	v_mul_f64_e32 v[18:19], v[10:11], v[32:33]
	v_mul_f64_e32 v[20:21], v[12:13], v[32:33]
	v_fma_f64 v[22:23], v[4:5], v[26:27], v[36:37]
	v_fma_f64 v[24:25], v[2:3], v[26:27], -v[28:29]
	ds_load_b128 v[2:5], v1 offset:1456
	v_add_f64_e32 v[6:7], v[14:15], v[6:7]
	v_add_f64_e32 v[8:9], v[16:17], v[8:9]
	v_fma_f64 v[12:13], v[12:13], v[30:31], v[18:19]
	v_fma_f64 v[10:11], v[10:11], v[30:31], -v[20:21]
	s_wait_loadcnt_dscnt 0x0
	v_mul_f64_e32 v[14:15], v[2:3], v[40:41]
	v_mul_f64_e32 v[16:17], v[4:5], v[40:41]
	v_add_f64_e32 v[6:7], v[6:7], v[24:25]
	v_add_f64_e32 v[8:9], v[8:9], v[22:23]
	s_delay_alu instid0(VALU_DEP_4) | instskip(NEXT) | instid1(VALU_DEP_4)
	v_fma_f64 v[4:5], v[4:5], v[38:39], v[14:15]
	v_fma_f64 v[2:3], v[2:3], v[38:39], -v[16:17]
	s_delay_alu instid0(VALU_DEP_4) | instskip(NEXT) | instid1(VALU_DEP_4)
	v_add_f64_e32 v[6:7], v[6:7], v[10:11]
	v_add_f64_e32 v[8:9], v[8:9], v[12:13]
	s_delay_alu instid0(VALU_DEP_2) | instskip(NEXT) | instid1(VALU_DEP_2)
	v_add_f64_e32 v[2:3], v[6:7], v[2:3]
	v_add_f64_e32 v[4:5], v[8:9], v[4:5]
	s_delay_alu instid0(VALU_DEP_2) | instskip(NEXT) | instid1(VALU_DEP_2)
	v_add_f64_e64 v[2:3], v[42:43], -v[2:3]
	v_add_f64_e64 v[4:5], v[44:45], -v[4:5]
	scratch_store_b128 off, v[2:5], off offset:272
	v_cmpx_lt_u32_e32 15, v0
	s_cbranch_execz .LBB45_259
; %bb.258:
	scratch_load_b128 v[5:8], off, s44
	v_dual_mov_b32 v2, v1 :: v_dual_mov_b32 v3, v1
	v_mov_b32_e32 v4, v1
	scratch_store_b128 off, v[1:4], off offset:256
	s_wait_loadcnt 0x0
	ds_store_b128 v138, v[5:8]
.LBB45_259:
	s_wait_alu 0xfffe
	s_or_b32 exec_lo, exec_lo, s0
	s_wait_storecnt_dscnt 0x0
	s_barrier_signal -1
	s_barrier_wait -1
	global_inv scope:SCOPE_SE
	s_clause 0x8
	scratch_load_b128 v[2:5], off, off offset:272
	scratch_load_b128 v[6:9], off, off offset:288
	;; [unrolled: 1-line block ×9, first 2 shown]
	ds_load_b128 v[38:41], v1 offset:992
	ds_load_b128 v[42:45], v1 offset:1008
	s_clause 0x1
	scratch_load_b128 v[139:142], off, off offset:256
	scratch_load_b128 v[143:146], off, off offset:416
	s_mov_b32 s0, exec_lo
	s_wait_loadcnt_dscnt 0xa01
	v_mul_f64_e32 v[147:148], v[40:41], v[4:5]
	v_mul_f64_e32 v[4:5], v[38:39], v[4:5]
	s_wait_loadcnt_dscnt 0x900
	v_mul_f64_e32 v[151:152], v[42:43], v[8:9]
	v_mul_f64_e32 v[8:9], v[44:45], v[8:9]
	s_delay_alu instid0(VALU_DEP_4) | instskip(NEXT) | instid1(VALU_DEP_4)
	v_fma_f64 v[153:154], v[38:39], v[2:3], -v[147:148]
	v_fma_f64 v[155:156], v[40:41], v[2:3], v[4:5]
	ds_load_b128 v[2:5], v1 offset:1024
	ds_load_b128 v[147:150], v1 offset:1040
	scratch_load_b128 v[38:41], off, off offset:432
	v_fma_f64 v[44:45], v[44:45], v[6:7], v[151:152]
	v_fma_f64 v[42:43], v[42:43], v[6:7], -v[8:9]
	scratch_load_b128 v[6:9], off, off offset:448
	s_wait_loadcnt_dscnt 0xa01
	v_mul_f64_e32 v[157:158], v[2:3], v[12:13]
	v_mul_f64_e32 v[12:13], v[4:5], v[12:13]
	v_add_f64_e32 v[151:152], 0, v[153:154]
	v_add_f64_e32 v[153:154], 0, v[155:156]
	s_wait_loadcnt_dscnt 0x900
	v_mul_f64_e32 v[155:156], v[147:148], v[16:17]
	v_mul_f64_e32 v[16:17], v[149:150], v[16:17]
	v_fma_f64 v[157:158], v[4:5], v[10:11], v[157:158]
	v_fma_f64 v[159:160], v[2:3], v[10:11], -v[12:13]
	ds_load_b128 v[2:5], v1 offset:1056
	scratch_load_b128 v[10:13], off, off offset:464
	v_add_f64_e32 v[151:152], v[151:152], v[42:43]
	v_add_f64_e32 v[153:154], v[153:154], v[44:45]
	ds_load_b128 v[42:45], v1 offset:1072
	v_fma_f64 v[149:150], v[149:150], v[14:15], v[155:156]
	v_fma_f64 v[147:148], v[147:148], v[14:15], -v[16:17]
	scratch_load_b128 v[14:17], off, off offset:480
	s_wait_loadcnt_dscnt 0xa01
	v_mul_f64_e32 v[161:162], v[2:3], v[20:21]
	v_mul_f64_e32 v[20:21], v[4:5], v[20:21]
	s_wait_loadcnt_dscnt 0x900
	v_mul_f64_e32 v[155:156], v[42:43], v[24:25]
	v_mul_f64_e32 v[24:25], v[44:45], v[24:25]
	v_add_f64_e32 v[151:152], v[151:152], v[159:160]
	v_add_f64_e32 v[153:154], v[153:154], v[157:158]
	v_fma_f64 v[157:158], v[4:5], v[18:19], v[161:162]
	v_fma_f64 v[159:160], v[2:3], v[18:19], -v[20:21]
	ds_load_b128 v[2:5], v1 offset:1088
	scratch_load_b128 v[18:21], off, off offset:496
	v_fma_f64 v[44:45], v[44:45], v[22:23], v[155:156]
	v_fma_f64 v[42:43], v[42:43], v[22:23], -v[24:25]
	scratch_load_b128 v[22:25], off, off offset:512
	v_add_f64_e32 v[151:152], v[151:152], v[147:148]
	v_add_f64_e32 v[153:154], v[153:154], v[149:150]
	ds_load_b128 v[147:150], v1 offset:1104
	s_wait_loadcnt_dscnt 0xa01
	v_mul_f64_e32 v[161:162], v[2:3], v[28:29]
	v_mul_f64_e32 v[28:29], v[4:5], v[28:29]
	s_wait_loadcnt_dscnt 0x900
	v_mul_f64_e32 v[155:156], v[147:148], v[32:33]
	v_mul_f64_e32 v[32:33], v[149:150], v[32:33]
	v_add_f64_e32 v[151:152], v[151:152], v[159:160]
	v_add_f64_e32 v[153:154], v[153:154], v[157:158]
	v_fma_f64 v[157:158], v[4:5], v[26:27], v[161:162]
	v_fma_f64 v[159:160], v[2:3], v[26:27], -v[28:29]
	ds_load_b128 v[2:5], v1 offset:1120
	scratch_load_b128 v[26:29], off, off offset:528
	v_fma_f64 v[149:150], v[149:150], v[30:31], v[155:156]
	v_fma_f64 v[147:148], v[147:148], v[30:31], -v[32:33]
	scratch_load_b128 v[30:33], off, off offset:544
	v_add_f64_e32 v[151:152], v[151:152], v[42:43]
	v_add_f64_e32 v[153:154], v[153:154], v[44:45]
	ds_load_b128 v[42:45], v1 offset:1136
	s_wait_loadcnt_dscnt 0xa01
	v_mul_f64_e32 v[161:162], v[2:3], v[36:37]
	v_mul_f64_e32 v[36:37], v[4:5], v[36:37]
	s_wait_loadcnt_dscnt 0x800
	v_mul_f64_e32 v[155:156], v[42:43], v[145:146]
	v_add_f64_e32 v[151:152], v[151:152], v[159:160]
	v_add_f64_e32 v[153:154], v[153:154], v[157:158]
	v_mul_f64_e32 v[157:158], v[44:45], v[145:146]
	v_fma_f64 v[159:160], v[4:5], v[34:35], v[161:162]
	v_fma_f64 v[161:162], v[2:3], v[34:35], -v[36:37]
	ds_load_b128 v[2:5], v1 offset:1152
	scratch_load_b128 v[34:37], off, off offset:560
	v_fma_f64 v[44:45], v[44:45], v[143:144], v[155:156]
	v_add_f64_e32 v[151:152], v[151:152], v[147:148]
	v_add_f64_e32 v[149:150], v[153:154], v[149:150]
	ds_load_b128 v[145:148], v1 offset:1168
	v_fma_f64 v[143:144], v[42:43], v[143:144], -v[157:158]
	s_wait_loadcnt_dscnt 0x801
	v_mul_f64_e32 v[153:154], v[2:3], v[40:41]
	v_mul_f64_e32 v[163:164], v[4:5], v[40:41]
	scratch_load_b128 v[40:43], off, off offset:576
	s_wait_loadcnt_dscnt 0x800
	v_mul_f64_e32 v[157:158], v[145:146], v[8:9]
	v_mul_f64_e32 v[8:9], v[147:148], v[8:9]
	v_add_f64_e32 v[151:152], v[151:152], v[161:162]
	v_add_f64_e32 v[149:150], v[149:150], v[159:160]
	v_fma_f64 v[159:160], v[4:5], v[38:39], v[153:154]
	v_fma_f64 v[38:39], v[2:3], v[38:39], -v[163:164]
	ds_load_b128 v[2:5], v1 offset:1184
	ds_load_b128 v[153:156], v1 offset:1200
	v_fma_f64 v[147:148], v[147:148], v[6:7], v[157:158]
	v_fma_f64 v[145:146], v[145:146], v[6:7], -v[8:9]
	scratch_load_b128 v[6:9], off, off offset:608
	v_add_f64_e32 v[143:144], v[151:152], v[143:144]
	v_add_f64_e32 v[44:45], v[149:150], v[44:45]
	scratch_load_b128 v[149:152], off, off offset:592
	s_wait_loadcnt_dscnt 0x901
	v_mul_f64_e32 v[161:162], v[2:3], v[12:13]
	v_mul_f64_e32 v[12:13], v[4:5], v[12:13]
	s_wait_loadcnt_dscnt 0x800
	v_mul_f64_e32 v[157:158], v[153:154], v[16:17]
	v_mul_f64_e32 v[16:17], v[155:156], v[16:17]
	v_add_f64_e32 v[38:39], v[143:144], v[38:39]
	v_add_f64_e32 v[44:45], v[44:45], v[159:160]
	v_fma_f64 v[159:160], v[4:5], v[10:11], v[161:162]
	v_fma_f64 v[161:162], v[2:3], v[10:11], -v[12:13]
	ds_load_b128 v[2:5], v1 offset:1216
	scratch_load_b128 v[10:13], off, off offset:624
	v_fma_f64 v[155:156], v[155:156], v[14:15], v[157:158]
	v_fma_f64 v[153:154], v[153:154], v[14:15], -v[16:17]
	scratch_load_b128 v[14:17], off, off offset:640
	v_add_f64_e32 v[38:39], v[38:39], v[145:146]
	v_add_f64_e32 v[44:45], v[44:45], v[147:148]
	ds_load_b128 v[143:146], v1 offset:1232
	s_wait_loadcnt_dscnt 0x901
	v_mul_f64_e32 v[147:148], v[2:3], v[20:21]
	v_mul_f64_e32 v[20:21], v[4:5], v[20:21]
	s_wait_loadcnt_dscnt 0x800
	v_mul_f64_e32 v[157:158], v[143:144], v[24:25]
	v_mul_f64_e32 v[24:25], v[145:146], v[24:25]
	v_add_f64_e32 v[38:39], v[38:39], v[161:162]
	v_add_f64_e32 v[44:45], v[44:45], v[159:160]
	v_fma_f64 v[147:148], v[4:5], v[18:19], v[147:148]
	v_fma_f64 v[159:160], v[2:3], v[18:19], -v[20:21]
	ds_load_b128 v[2:5], v1 offset:1248
	scratch_load_b128 v[18:21], off, off offset:656
	v_fma_f64 v[145:146], v[145:146], v[22:23], v[157:158]
	v_fma_f64 v[143:144], v[143:144], v[22:23], -v[24:25]
	scratch_load_b128 v[22:25], off, off offset:672
	v_add_f64_e32 v[38:39], v[38:39], v[153:154]
	v_add_f64_e32 v[44:45], v[44:45], v[155:156]
	ds_load_b128 v[153:156], v1 offset:1264
	s_wait_loadcnt_dscnt 0x901
	v_mul_f64_e32 v[161:162], v[2:3], v[28:29]
	v_mul_f64_e32 v[28:29], v[4:5], v[28:29]
	v_add_f64_e32 v[38:39], v[38:39], v[159:160]
	v_add_f64_e32 v[44:45], v[44:45], v[147:148]
	s_wait_loadcnt_dscnt 0x800
	v_mul_f64_e32 v[147:148], v[153:154], v[32:33]
	v_mul_f64_e32 v[32:33], v[155:156], v[32:33]
	v_fma_f64 v[157:158], v[4:5], v[26:27], v[161:162]
	v_fma_f64 v[159:160], v[2:3], v[26:27], -v[28:29]
	ds_load_b128 v[2:5], v1 offset:1280
	scratch_load_b128 v[26:29], off, off offset:688
	v_add_f64_e32 v[38:39], v[38:39], v[143:144]
	v_add_f64_e32 v[44:45], v[44:45], v[145:146]
	ds_load_b128 v[143:146], v1 offset:1296
	s_wait_loadcnt_dscnt 0x801
	v_mul_f64_e32 v[161:162], v[2:3], v[36:37]
	v_mul_f64_e32 v[36:37], v[4:5], v[36:37]
	v_fma_f64 v[147:148], v[155:156], v[30:31], v[147:148]
	v_fma_f64 v[153:154], v[153:154], v[30:31], -v[32:33]
	scratch_load_b128 v[30:33], off, off offset:704
	s_wait_loadcnt_dscnt 0x800
	v_mul_f64_e32 v[155:156], v[143:144], v[42:43]
	v_add_f64_e32 v[38:39], v[38:39], v[159:160]
	v_add_f64_e32 v[44:45], v[44:45], v[157:158]
	v_mul_f64_e32 v[157:158], v[145:146], v[42:43]
	v_fma_f64 v[159:160], v[4:5], v[34:35], v[161:162]
	v_fma_f64 v[161:162], v[2:3], v[34:35], -v[36:37]
	ds_load_b128 v[2:5], v1 offset:1312
	scratch_load_b128 v[34:37], off, off offset:720
	v_fma_f64 v[145:146], v[145:146], v[40:41], v[155:156]
	v_add_f64_e32 v[38:39], v[38:39], v[153:154]
	v_add_f64_e32 v[147:148], v[44:45], v[147:148]
	ds_load_b128 v[42:45], v1 offset:1328
	v_fma_f64 v[143:144], v[143:144], v[40:41], -v[157:158]
	s_wait_loadcnt_dscnt 0x701
	v_mul_f64_e32 v[153:154], v[2:3], v[151:152]
	v_mul_f64_e32 v[151:152], v[4:5], v[151:152]
	s_wait_dscnt 0x0
	v_mul_f64_e32 v[157:158], v[42:43], v[8:9]
	v_mul_f64_e32 v[8:9], v[44:45], v[8:9]
	v_add_f64_e32 v[155:156], v[38:39], v[161:162]
	v_add_f64_e32 v[147:148], v[147:148], v[159:160]
	scratch_load_b128 v[38:41], off, off offset:736
	v_fma_f64 v[153:154], v[4:5], v[149:150], v[153:154]
	v_fma_f64 v[149:150], v[2:3], v[149:150], -v[151:152]
	v_fma_f64 v[44:45], v[44:45], v[6:7], v[157:158]
	v_fma_f64 v[6:7], v[42:43], v[6:7], -v[8:9]
	v_add_f64_e32 v[151:152], v[155:156], v[143:144]
	v_add_f64_e32 v[147:148], v[147:148], v[145:146]
	ds_load_b128 v[2:5], v1 offset:1344
	ds_load_b128 v[143:146], v1 offset:1360
	s_wait_loadcnt_dscnt 0x701
	v_mul_f64_e32 v[155:156], v[2:3], v[12:13]
	v_mul_f64_e32 v[12:13], v[4:5], v[12:13]
	v_add_f64_e32 v[8:9], v[151:152], v[149:150]
	v_add_f64_e32 v[42:43], v[147:148], v[153:154]
	s_wait_loadcnt_dscnt 0x600
	v_mul_f64_e32 v[147:148], v[143:144], v[16:17]
	v_mul_f64_e32 v[16:17], v[145:146], v[16:17]
	v_fma_f64 v[149:150], v[4:5], v[10:11], v[155:156]
	v_fma_f64 v[10:11], v[2:3], v[10:11], -v[12:13]
	v_add_f64_e32 v[12:13], v[8:9], v[6:7]
	v_add_f64_e32 v[42:43], v[42:43], v[44:45]
	ds_load_b128 v[2:5], v1 offset:1376
	ds_load_b128 v[6:9], v1 offset:1392
	v_fma_f64 v[145:146], v[145:146], v[14:15], v[147:148]
	v_fma_f64 v[14:15], v[143:144], v[14:15], -v[16:17]
	s_wait_loadcnt_dscnt 0x501
	v_mul_f64_e32 v[44:45], v[2:3], v[20:21]
	v_mul_f64_e32 v[20:21], v[4:5], v[20:21]
	s_wait_loadcnt_dscnt 0x400
	v_mul_f64_e32 v[16:17], v[6:7], v[24:25]
	v_mul_f64_e32 v[24:25], v[8:9], v[24:25]
	v_add_f64_e32 v[10:11], v[12:13], v[10:11]
	v_add_f64_e32 v[12:13], v[42:43], v[149:150]
	v_fma_f64 v[42:43], v[4:5], v[18:19], v[44:45]
	v_fma_f64 v[18:19], v[2:3], v[18:19], -v[20:21]
	v_fma_f64 v[8:9], v[8:9], v[22:23], v[16:17]
	v_fma_f64 v[6:7], v[6:7], v[22:23], -v[24:25]
	v_add_f64_e32 v[14:15], v[10:11], v[14:15]
	v_add_f64_e32 v[20:21], v[12:13], v[145:146]
	ds_load_b128 v[2:5], v1 offset:1408
	ds_load_b128 v[10:13], v1 offset:1424
	s_wait_loadcnt_dscnt 0x301
	v_mul_f64_e32 v[44:45], v[2:3], v[28:29]
	v_mul_f64_e32 v[28:29], v[4:5], v[28:29]
	v_add_f64_e32 v[14:15], v[14:15], v[18:19]
	v_add_f64_e32 v[16:17], v[20:21], v[42:43]
	s_wait_loadcnt_dscnt 0x200
	v_mul_f64_e32 v[18:19], v[10:11], v[32:33]
	v_mul_f64_e32 v[20:21], v[12:13], v[32:33]
	v_fma_f64 v[22:23], v[4:5], v[26:27], v[44:45]
	v_fma_f64 v[24:25], v[2:3], v[26:27], -v[28:29]
	v_add_f64_e32 v[14:15], v[14:15], v[6:7]
	v_add_f64_e32 v[16:17], v[16:17], v[8:9]
	ds_load_b128 v[2:5], v1 offset:1440
	ds_load_b128 v[6:9], v1 offset:1456
	v_fma_f64 v[12:13], v[12:13], v[30:31], v[18:19]
	v_fma_f64 v[10:11], v[10:11], v[30:31], -v[20:21]
	s_wait_loadcnt_dscnt 0x101
	v_mul_f64_e32 v[26:27], v[2:3], v[36:37]
	v_mul_f64_e32 v[28:29], v[4:5], v[36:37]
	v_add_f64_e32 v[14:15], v[14:15], v[24:25]
	v_add_f64_e32 v[16:17], v[16:17], v[22:23]
	s_wait_loadcnt_dscnt 0x0
	v_mul_f64_e32 v[18:19], v[6:7], v[40:41]
	v_mul_f64_e32 v[20:21], v[8:9], v[40:41]
	v_fma_f64 v[4:5], v[4:5], v[34:35], v[26:27]
	v_fma_f64 v[1:2], v[2:3], v[34:35], -v[28:29]
	v_add_f64_e32 v[10:11], v[14:15], v[10:11]
	v_add_f64_e32 v[12:13], v[16:17], v[12:13]
	v_fma_f64 v[8:9], v[8:9], v[38:39], v[18:19]
	v_fma_f64 v[6:7], v[6:7], v[38:39], -v[20:21]
	s_delay_alu instid0(VALU_DEP_4) | instskip(NEXT) | instid1(VALU_DEP_4)
	v_add_f64_e32 v[1:2], v[10:11], v[1:2]
	v_add_f64_e32 v[3:4], v[12:13], v[4:5]
	s_delay_alu instid0(VALU_DEP_2) | instskip(NEXT) | instid1(VALU_DEP_2)
	v_add_f64_e32 v[1:2], v[1:2], v[6:7]
	v_add_f64_e32 v[3:4], v[3:4], v[8:9]
	s_delay_alu instid0(VALU_DEP_2) | instskip(NEXT) | instid1(VALU_DEP_2)
	v_add_f64_e64 v[1:2], v[139:140], -v[1:2]
	v_add_f64_e64 v[3:4], v[141:142], -v[3:4]
	scratch_store_b128 off, v[1:4], off offset:256
	v_cmpx_lt_u32_e32 14, v0
	s_cbranch_execz .LBB45_261
; %bb.260:
	scratch_load_b128 v[1:4], off, s45
	v_mov_b32_e32 v5, 0
	s_delay_alu instid0(VALU_DEP_1)
	v_dual_mov_b32 v6, v5 :: v_dual_mov_b32 v7, v5
	v_mov_b32_e32 v8, v5
	scratch_store_b128 off, v[5:8], off offset:240
	s_wait_loadcnt 0x0
	ds_store_b128 v138, v[1:4]
.LBB45_261:
	s_wait_alu 0xfffe
	s_or_b32 exec_lo, exec_lo, s0
	s_wait_storecnt_dscnt 0x0
	s_barrier_signal -1
	s_barrier_wait -1
	global_inv scope:SCOPE_SE
	s_clause 0x7
	scratch_load_b128 v[2:5], off, off offset:256
	scratch_load_b128 v[6:9], off, off offset:272
	;; [unrolled: 1-line block ×8, first 2 shown]
	v_mov_b32_e32 v1, 0
	s_mov_b32 s0, exec_lo
	ds_load_b128 v[34:37], v1 offset:976
	s_clause 0x1
	scratch_load_b128 v[38:41], off, off offset:384
	scratch_load_b128 v[42:45], off, off offset:240
	ds_load_b128 v[139:142], v1 offset:992
	scratch_load_b128 v[143:146], off, off offset:400
	s_wait_loadcnt_dscnt 0xa01
	v_mul_f64_e32 v[147:148], v[36:37], v[4:5]
	v_mul_f64_e32 v[4:5], v[34:35], v[4:5]
	s_delay_alu instid0(VALU_DEP_2) | instskip(NEXT) | instid1(VALU_DEP_2)
	v_fma_f64 v[153:154], v[34:35], v[2:3], -v[147:148]
	v_fma_f64 v[155:156], v[36:37], v[2:3], v[4:5]
	ds_load_b128 v[2:5], v1 offset:1008
	s_wait_loadcnt_dscnt 0x901
	v_mul_f64_e32 v[151:152], v[139:140], v[8:9]
	v_mul_f64_e32 v[8:9], v[141:142], v[8:9]
	scratch_load_b128 v[34:37], off, off offset:416
	ds_load_b128 v[147:150], v1 offset:1024
	s_wait_loadcnt_dscnt 0x901
	v_mul_f64_e32 v[157:158], v[2:3], v[12:13]
	v_mul_f64_e32 v[12:13], v[4:5], v[12:13]
	v_fma_f64 v[141:142], v[141:142], v[6:7], v[151:152]
	v_fma_f64 v[139:140], v[139:140], v[6:7], -v[8:9]
	v_add_f64_e32 v[151:152], 0, v[153:154]
	v_add_f64_e32 v[153:154], 0, v[155:156]
	scratch_load_b128 v[6:9], off, off offset:432
	v_fma_f64 v[157:158], v[4:5], v[10:11], v[157:158]
	v_fma_f64 v[159:160], v[2:3], v[10:11], -v[12:13]
	ds_load_b128 v[2:5], v1 offset:1040
	s_wait_loadcnt_dscnt 0x901
	v_mul_f64_e32 v[155:156], v[147:148], v[16:17]
	v_mul_f64_e32 v[16:17], v[149:150], v[16:17]
	scratch_load_b128 v[10:13], off, off offset:448
	v_add_f64_e32 v[151:152], v[151:152], v[139:140]
	v_add_f64_e32 v[153:154], v[153:154], v[141:142]
	s_wait_loadcnt_dscnt 0x900
	v_mul_f64_e32 v[161:162], v[2:3], v[20:21]
	v_mul_f64_e32 v[20:21], v[4:5], v[20:21]
	ds_load_b128 v[139:142], v1 offset:1056
	v_fma_f64 v[149:150], v[149:150], v[14:15], v[155:156]
	v_fma_f64 v[147:148], v[147:148], v[14:15], -v[16:17]
	scratch_load_b128 v[14:17], off, off offset:464
	v_add_f64_e32 v[151:152], v[151:152], v[159:160]
	v_add_f64_e32 v[153:154], v[153:154], v[157:158]
	v_fma_f64 v[157:158], v[4:5], v[18:19], v[161:162]
	v_fma_f64 v[159:160], v[2:3], v[18:19], -v[20:21]
	ds_load_b128 v[2:5], v1 offset:1072
	s_wait_loadcnt_dscnt 0x901
	v_mul_f64_e32 v[155:156], v[139:140], v[24:25]
	v_mul_f64_e32 v[24:25], v[141:142], v[24:25]
	scratch_load_b128 v[18:21], off, off offset:480
	s_wait_loadcnt_dscnt 0x900
	v_mul_f64_e32 v[161:162], v[2:3], v[28:29]
	v_mul_f64_e32 v[28:29], v[4:5], v[28:29]
	v_add_f64_e32 v[151:152], v[151:152], v[147:148]
	v_add_f64_e32 v[153:154], v[153:154], v[149:150]
	ds_load_b128 v[147:150], v1 offset:1088
	v_fma_f64 v[141:142], v[141:142], v[22:23], v[155:156]
	v_fma_f64 v[139:140], v[139:140], v[22:23], -v[24:25]
	scratch_load_b128 v[22:25], off, off offset:496
	v_add_f64_e32 v[151:152], v[151:152], v[159:160]
	v_add_f64_e32 v[153:154], v[153:154], v[157:158]
	v_fma_f64 v[157:158], v[4:5], v[26:27], v[161:162]
	v_fma_f64 v[159:160], v[2:3], v[26:27], -v[28:29]
	ds_load_b128 v[2:5], v1 offset:1104
	s_wait_loadcnt_dscnt 0x901
	v_mul_f64_e32 v[155:156], v[147:148], v[32:33]
	v_mul_f64_e32 v[32:33], v[149:150], v[32:33]
	scratch_load_b128 v[26:29], off, off offset:512
	s_wait_loadcnt_dscnt 0x900
	v_mul_f64_e32 v[161:162], v[2:3], v[40:41]
	v_mul_f64_e32 v[40:41], v[4:5], v[40:41]
	v_add_f64_e32 v[151:152], v[151:152], v[139:140]
	v_add_f64_e32 v[153:154], v[153:154], v[141:142]
	ds_load_b128 v[139:142], v1 offset:1120
	v_fma_f64 v[149:150], v[149:150], v[30:31], v[155:156]
	v_fma_f64 v[147:148], v[147:148], v[30:31], -v[32:33]
	scratch_load_b128 v[30:33], off, off offset:528
	v_add_f64_e32 v[151:152], v[151:152], v[159:160]
	v_add_f64_e32 v[153:154], v[153:154], v[157:158]
	v_fma_f64 v[159:160], v[4:5], v[38:39], v[161:162]
	v_fma_f64 v[161:162], v[2:3], v[38:39], -v[40:41]
	ds_load_b128 v[2:5], v1 offset:1136
	s_wait_loadcnt_dscnt 0x801
	v_mul_f64_e32 v[155:156], v[139:140], v[145:146]
	v_mul_f64_e32 v[157:158], v[141:142], v[145:146]
	scratch_load_b128 v[38:41], off, off offset:544
	v_add_f64_e32 v[151:152], v[151:152], v[147:148]
	v_add_f64_e32 v[149:150], v[153:154], v[149:150]
	ds_load_b128 v[145:148], v1 offset:1152
	v_fma_f64 v[155:156], v[141:142], v[143:144], v[155:156]
	v_fma_f64 v[143:144], v[139:140], v[143:144], -v[157:158]
	scratch_load_b128 v[139:142], off, off offset:560
	s_wait_loadcnt_dscnt 0x901
	v_mul_f64_e32 v[153:154], v[2:3], v[36:37]
	v_mul_f64_e32 v[36:37], v[4:5], v[36:37]
	v_add_f64_e32 v[151:152], v[151:152], v[161:162]
	v_add_f64_e32 v[149:150], v[149:150], v[159:160]
	s_delay_alu instid0(VALU_DEP_4) | instskip(NEXT) | instid1(VALU_DEP_4)
	v_fma_f64 v[153:154], v[4:5], v[34:35], v[153:154]
	v_fma_f64 v[159:160], v[2:3], v[34:35], -v[36:37]
	ds_load_b128 v[2:5], v1 offset:1168
	s_wait_loadcnt_dscnt 0x801
	v_mul_f64_e32 v[157:158], v[145:146], v[8:9]
	v_mul_f64_e32 v[8:9], v[147:148], v[8:9]
	scratch_load_b128 v[34:37], off, off offset:576
	s_wait_loadcnt_dscnt 0x800
	v_mul_f64_e32 v[161:162], v[2:3], v[12:13]
	v_add_f64_e32 v[143:144], v[151:152], v[143:144]
	v_add_f64_e32 v[155:156], v[149:150], v[155:156]
	v_mul_f64_e32 v[12:13], v[4:5], v[12:13]
	ds_load_b128 v[149:152], v1 offset:1184
	v_fma_f64 v[147:148], v[147:148], v[6:7], v[157:158]
	v_fma_f64 v[145:146], v[145:146], v[6:7], -v[8:9]
	scratch_load_b128 v[6:9], off, off offset:592
	v_fma_f64 v[157:158], v[4:5], v[10:11], v[161:162]
	v_add_f64_e32 v[143:144], v[143:144], v[159:160]
	v_add_f64_e32 v[153:154], v[155:156], v[153:154]
	v_fma_f64 v[159:160], v[2:3], v[10:11], -v[12:13]
	ds_load_b128 v[2:5], v1 offset:1200
	s_wait_loadcnt_dscnt 0x801
	v_mul_f64_e32 v[155:156], v[149:150], v[16:17]
	v_mul_f64_e32 v[16:17], v[151:152], v[16:17]
	scratch_load_b128 v[10:13], off, off offset:608
	v_add_f64_e32 v[161:162], v[143:144], v[145:146]
	v_add_f64_e32 v[147:148], v[153:154], v[147:148]
	s_wait_loadcnt_dscnt 0x800
	v_mul_f64_e32 v[153:154], v[2:3], v[20:21]
	v_mul_f64_e32 v[20:21], v[4:5], v[20:21]
	v_fma_f64 v[151:152], v[151:152], v[14:15], v[155:156]
	v_fma_f64 v[149:150], v[149:150], v[14:15], -v[16:17]
	ds_load_b128 v[143:146], v1 offset:1216
	scratch_load_b128 v[14:17], off, off offset:624
	v_add_f64_e32 v[155:156], v[161:162], v[159:160]
	v_add_f64_e32 v[147:148], v[147:148], v[157:158]
	v_fma_f64 v[153:154], v[4:5], v[18:19], v[153:154]
	v_fma_f64 v[159:160], v[2:3], v[18:19], -v[20:21]
	ds_load_b128 v[2:5], v1 offset:1232
	s_wait_loadcnt_dscnt 0x801
	v_mul_f64_e32 v[157:158], v[143:144], v[24:25]
	v_mul_f64_e32 v[24:25], v[145:146], v[24:25]
	scratch_load_b128 v[18:21], off, off offset:640
	s_wait_loadcnt_dscnt 0x800
	v_mul_f64_e32 v[161:162], v[2:3], v[28:29]
	v_mul_f64_e32 v[28:29], v[4:5], v[28:29]
	v_add_f64_e32 v[155:156], v[155:156], v[149:150]
	v_add_f64_e32 v[151:152], v[147:148], v[151:152]
	ds_load_b128 v[147:150], v1 offset:1248
	v_fma_f64 v[145:146], v[145:146], v[22:23], v[157:158]
	v_fma_f64 v[143:144], v[143:144], v[22:23], -v[24:25]
	scratch_load_b128 v[22:25], off, off offset:656
	v_fma_f64 v[157:158], v[4:5], v[26:27], v[161:162]
	v_add_f64_e32 v[155:156], v[155:156], v[159:160]
	v_add_f64_e32 v[151:152], v[151:152], v[153:154]
	v_fma_f64 v[159:160], v[2:3], v[26:27], -v[28:29]
	ds_load_b128 v[2:5], v1 offset:1264
	s_wait_loadcnt_dscnt 0x801
	v_mul_f64_e32 v[153:154], v[147:148], v[32:33]
	v_mul_f64_e32 v[32:33], v[149:150], v[32:33]
	scratch_load_b128 v[26:29], off, off offset:672
	s_wait_loadcnt_dscnt 0x800
	v_mul_f64_e32 v[161:162], v[2:3], v[40:41]
	v_mul_f64_e32 v[40:41], v[4:5], v[40:41]
	v_add_f64_e32 v[155:156], v[155:156], v[143:144]
	v_add_f64_e32 v[151:152], v[151:152], v[145:146]
	ds_load_b128 v[143:146], v1 offset:1280
	v_fma_f64 v[149:150], v[149:150], v[30:31], v[153:154]
	v_fma_f64 v[147:148], v[147:148], v[30:31], -v[32:33]
	scratch_load_b128 v[30:33], off, off offset:688
	v_add_f64_e32 v[153:154], v[155:156], v[159:160]
	v_add_f64_e32 v[151:152], v[151:152], v[157:158]
	v_fma_f64 v[157:158], v[4:5], v[38:39], v[161:162]
	v_fma_f64 v[159:160], v[2:3], v[38:39], -v[40:41]
	ds_load_b128 v[2:5], v1 offset:1296
	s_wait_loadcnt_dscnt 0x801
	v_mul_f64_e32 v[155:156], v[143:144], v[141:142]
	v_mul_f64_e32 v[141:142], v[145:146], v[141:142]
	scratch_load_b128 v[38:41], off, off offset:704
	s_wait_loadcnt_dscnt 0x800
	v_mul_f64_e32 v[161:162], v[2:3], v[36:37]
	v_mul_f64_e32 v[36:37], v[4:5], v[36:37]
	v_add_f64_e32 v[153:154], v[153:154], v[147:148]
	v_add_f64_e32 v[151:152], v[151:152], v[149:150]
	ds_load_b128 v[147:150], v1 offset:1312
	v_fma_f64 v[145:146], v[145:146], v[139:140], v[155:156]
	v_fma_f64 v[143:144], v[143:144], v[139:140], -v[141:142]
	scratch_load_b128 v[139:142], off, off offset:720
	v_add_f64_e32 v[153:154], v[153:154], v[159:160]
	v_add_f64_e32 v[151:152], v[151:152], v[157:158]
	v_fma_f64 v[157:158], v[4:5], v[34:35], v[161:162]
	v_fma_f64 v[159:160], v[2:3], v[34:35], -v[36:37]
	ds_load_b128 v[2:5], v1 offset:1328
	s_wait_loadcnt_dscnt 0x801
	v_mul_f64_e32 v[155:156], v[147:148], v[8:9]
	v_mul_f64_e32 v[8:9], v[149:150], v[8:9]
	scratch_load_b128 v[34:37], off, off offset:736
	s_wait_loadcnt_dscnt 0x800
	v_mul_f64_e32 v[161:162], v[2:3], v[12:13]
	v_mul_f64_e32 v[12:13], v[4:5], v[12:13]
	v_add_f64_e32 v[153:154], v[153:154], v[143:144]
	v_add_f64_e32 v[151:152], v[151:152], v[145:146]
	ds_load_b128 v[143:146], v1 offset:1344
	v_fma_f64 v[149:150], v[149:150], v[6:7], v[155:156]
	v_fma_f64 v[6:7], v[147:148], v[6:7], -v[8:9]
	v_add_f64_e32 v[8:9], v[153:154], v[159:160]
	v_add_f64_e32 v[147:148], v[151:152], v[157:158]
	s_wait_loadcnt_dscnt 0x700
	v_mul_f64_e32 v[151:152], v[143:144], v[16:17]
	v_mul_f64_e32 v[16:17], v[145:146], v[16:17]
	v_fma_f64 v[153:154], v[4:5], v[10:11], v[161:162]
	v_fma_f64 v[10:11], v[2:3], v[10:11], -v[12:13]
	v_add_f64_e32 v[12:13], v[8:9], v[6:7]
	v_add_f64_e32 v[147:148], v[147:148], v[149:150]
	ds_load_b128 v[2:5], v1 offset:1360
	ds_load_b128 v[6:9], v1 offset:1376
	v_fma_f64 v[145:146], v[145:146], v[14:15], v[151:152]
	v_fma_f64 v[14:15], v[143:144], v[14:15], -v[16:17]
	s_wait_loadcnt_dscnt 0x601
	v_mul_f64_e32 v[149:150], v[2:3], v[20:21]
	v_mul_f64_e32 v[20:21], v[4:5], v[20:21]
	s_wait_loadcnt_dscnt 0x500
	v_mul_f64_e32 v[16:17], v[6:7], v[24:25]
	v_mul_f64_e32 v[24:25], v[8:9], v[24:25]
	v_add_f64_e32 v[10:11], v[12:13], v[10:11]
	v_add_f64_e32 v[12:13], v[147:148], v[153:154]
	v_fma_f64 v[143:144], v[4:5], v[18:19], v[149:150]
	v_fma_f64 v[18:19], v[2:3], v[18:19], -v[20:21]
	v_fma_f64 v[8:9], v[8:9], v[22:23], v[16:17]
	v_fma_f64 v[6:7], v[6:7], v[22:23], -v[24:25]
	v_add_f64_e32 v[14:15], v[10:11], v[14:15]
	v_add_f64_e32 v[20:21], v[12:13], v[145:146]
	ds_load_b128 v[2:5], v1 offset:1392
	ds_load_b128 v[10:13], v1 offset:1408
	s_wait_loadcnt_dscnt 0x401
	v_mul_f64_e32 v[145:146], v[2:3], v[28:29]
	v_mul_f64_e32 v[28:29], v[4:5], v[28:29]
	v_add_f64_e32 v[14:15], v[14:15], v[18:19]
	v_add_f64_e32 v[16:17], v[20:21], v[143:144]
	s_wait_loadcnt_dscnt 0x300
	v_mul_f64_e32 v[18:19], v[10:11], v[32:33]
	v_mul_f64_e32 v[20:21], v[12:13], v[32:33]
	v_fma_f64 v[22:23], v[4:5], v[26:27], v[145:146]
	v_fma_f64 v[24:25], v[2:3], v[26:27], -v[28:29]
	v_add_f64_e32 v[14:15], v[14:15], v[6:7]
	v_add_f64_e32 v[16:17], v[16:17], v[8:9]
	ds_load_b128 v[2:5], v1 offset:1424
	ds_load_b128 v[6:9], v1 offset:1440
	v_fma_f64 v[12:13], v[12:13], v[30:31], v[18:19]
	v_fma_f64 v[10:11], v[10:11], v[30:31], -v[20:21]
	s_wait_loadcnt_dscnt 0x201
	v_mul_f64_e32 v[26:27], v[2:3], v[40:41]
	v_mul_f64_e32 v[28:29], v[4:5], v[40:41]
	s_wait_loadcnt_dscnt 0x100
	v_mul_f64_e32 v[18:19], v[6:7], v[141:142]
	v_mul_f64_e32 v[20:21], v[8:9], v[141:142]
	v_add_f64_e32 v[14:15], v[14:15], v[24:25]
	v_add_f64_e32 v[16:17], v[16:17], v[22:23]
	v_fma_f64 v[22:23], v[4:5], v[38:39], v[26:27]
	v_fma_f64 v[24:25], v[2:3], v[38:39], -v[28:29]
	ds_load_b128 v[2:5], v1 offset:1456
	v_fma_f64 v[8:9], v[8:9], v[139:140], v[18:19]
	v_fma_f64 v[6:7], v[6:7], v[139:140], -v[20:21]
	v_add_f64_e32 v[10:11], v[14:15], v[10:11]
	v_add_f64_e32 v[12:13], v[16:17], v[12:13]
	s_wait_loadcnt_dscnt 0x0
	v_mul_f64_e32 v[14:15], v[2:3], v[36:37]
	v_mul_f64_e32 v[16:17], v[4:5], v[36:37]
	s_delay_alu instid0(VALU_DEP_4) | instskip(NEXT) | instid1(VALU_DEP_4)
	v_add_f64_e32 v[10:11], v[10:11], v[24:25]
	v_add_f64_e32 v[12:13], v[12:13], v[22:23]
	s_delay_alu instid0(VALU_DEP_4) | instskip(NEXT) | instid1(VALU_DEP_4)
	v_fma_f64 v[4:5], v[4:5], v[34:35], v[14:15]
	v_fma_f64 v[2:3], v[2:3], v[34:35], -v[16:17]
	s_delay_alu instid0(VALU_DEP_4) | instskip(NEXT) | instid1(VALU_DEP_4)
	v_add_f64_e32 v[6:7], v[10:11], v[6:7]
	v_add_f64_e32 v[8:9], v[12:13], v[8:9]
	s_delay_alu instid0(VALU_DEP_2) | instskip(NEXT) | instid1(VALU_DEP_2)
	v_add_f64_e32 v[2:3], v[6:7], v[2:3]
	v_add_f64_e32 v[4:5], v[8:9], v[4:5]
	s_delay_alu instid0(VALU_DEP_2) | instskip(NEXT) | instid1(VALU_DEP_2)
	v_add_f64_e64 v[2:3], v[42:43], -v[2:3]
	v_add_f64_e64 v[4:5], v[44:45], -v[4:5]
	scratch_store_b128 off, v[2:5], off offset:240
	v_cmpx_lt_u32_e32 13, v0
	s_cbranch_execz .LBB45_263
; %bb.262:
	scratch_load_b128 v[5:8], off, s46
	v_dual_mov_b32 v2, v1 :: v_dual_mov_b32 v3, v1
	v_mov_b32_e32 v4, v1
	scratch_store_b128 off, v[1:4], off offset:224
	s_wait_loadcnt 0x0
	ds_store_b128 v138, v[5:8]
.LBB45_263:
	s_wait_alu 0xfffe
	s_or_b32 exec_lo, exec_lo, s0
	s_wait_storecnt_dscnt 0x0
	s_barrier_signal -1
	s_barrier_wait -1
	global_inv scope:SCOPE_SE
	s_clause 0x8
	scratch_load_b128 v[2:5], off, off offset:240
	scratch_load_b128 v[6:9], off, off offset:256
	;; [unrolled: 1-line block ×9, first 2 shown]
	ds_load_b128 v[38:41], v1 offset:960
	ds_load_b128 v[42:45], v1 offset:976
	s_clause 0x1
	scratch_load_b128 v[139:142], off, off offset:224
	scratch_load_b128 v[143:146], off, off offset:384
	s_mov_b32 s0, exec_lo
	s_wait_loadcnt_dscnt 0xa01
	v_mul_f64_e32 v[147:148], v[40:41], v[4:5]
	v_mul_f64_e32 v[4:5], v[38:39], v[4:5]
	s_wait_loadcnt_dscnt 0x900
	v_mul_f64_e32 v[151:152], v[42:43], v[8:9]
	v_mul_f64_e32 v[8:9], v[44:45], v[8:9]
	s_delay_alu instid0(VALU_DEP_4) | instskip(NEXT) | instid1(VALU_DEP_4)
	v_fma_f64 v[153:154], v[38:39], v[2:3], -v[147:148]
	v_fma_f64 v[155:156], v[40:41], v[2:3], v[4:5]
	ds_load_b128 v[2:5], v1 offset:992
	ds_load_b128 v[147:150], v1 offset:1008
	scratch_load_b128 v[38:41], off, off offset:400
	v_fma_f64 v[44:45], v[44:45], v[6:7], v[151:152]
	v_fma_f64 v[42:43], v[42:43], v[6:7], -v[8:9]
	scratch_load_b128 v[6:9], off, off offset:416
	s_wait_loadcnt_dscnt 0xa01
	v_mul_f64_e32 v[157:158], v[2:3], v[12:13]
	v_mul_f64_e32 v[12:13], v[4:5], v[12:13]
	v_add_f64_e32 v[151:152], 0, v[153:154]
	v_add_f64_e32 v[153:154], 0, v[155:156]
	s_wait_loadcnt_dscnt 0x900
	v_mul_f64_e32 v[155:156], v[147:148], v[16:17]
	v_mul_f64_e32 v[16:17], v[149:150], v[16:17]
	v_fma_f64 v[157:158], v[4:5], v[10:11], v[157:158]
	v_fma_f64 v[159:160], v[2:3], v[10:11], -v[12:13]
	ds_load_b128 v[2:5], v1 offset:1024
	scratch_load_b128 v[10:13], off, off offset:432
	v_add_f64_e32 v[151:152], v[151:152], v[42:43]
	v_add_f64_e32 v[153:154], v[153:154], v[44:45]
	ds_load_b128 v[42:45], v1 offset:1040
	v_fma_f64 v[149:150], v[149:150], v[14:15], v[155:156]
	v_fma_f64 v[147:148], v[147:148], v[14:15], -v[16:17]
	scratch_load_b128 v[14:17], off, off offset:448
	s_wait_loadcnt_dscnt 0xa01
	v_mul_f64_e32 v[161:162], v[2:3], v[20:21]
	v_mul_f64_e32 v[20:21], v[4:5], v[20:21]
	s_wait_loadcnt_dscnt 0x900
	v_mul_f64_e32 v[155:156], v[42:43], v[24:25]
	v_mul_f64_e32 v[24:25], v[44:45], v[24:25]
	v_add_f64_e32 v[151:152], v[151:152], v[159:160]
	v_add_f64_e32 v[153:154], v[153:154], v[157:158]
	v_fma_f64 v[157:158], v[4:5], v[18:19], v[161:162]
	v_fma_f64 v[159:160], v[2:3], v[18:19], -v[20:21]
	ds_load_b128 v[2:5], v1 offset:1056
	scratch_load_b128 v[18:21], off, off offset:464
	v_fma_f64 v[44:45], v[44:45], v[22:23], v[155:156]
	v_fma_f64 v[42:43], v[42:43], v[22:23], -v[24:25]
	scratch_load_b128 v[22:25], off, off offset:480
	v_add_f64_e32 v[151:152], v[151:152], v[147:148]
	v_add_f64_e32 v[153:154], v[153:154], v[149:150]
	ds_load_b128 v[147:150], v1 offset:1072
	s_wait_loadcnt_dscnt 0xa01
	v_mul_f64_e32 v[161:162], v[2:3], v[28:29]
	v_mul_f64_e32 v[28:29], v[4:5], v[28:29]
	s_wait_loadcnt_dscnt 0x900
	v_mul_f64_e32 v[155:156], v[147:148], v[32:33]
	v_mul_f64_e32 v[32:33], v[149:150], v[32:33]
	v_add_f64_e32 v[151:152], v[151:152], v[159:160]
	v_add_f64_e32 v[153:154], v[153:154], v[157:158]
	v_fma_f64 v[157:158], v[4:5], v[26:27], v[161:162]
	v_fma_f64 v[159:160], v[2:3], v[26:27], -v[28:29]
	ds_load_b128 v[2:5], v1 offset:1088
	scratch_load_b128 v[26:29], off, off offset:496
	v_fma_f64 v[149:150], v[149:150], v[30:31], v[155:156]
	v_fma_f64 v[147:148], v[147:148], v[30:31], -v[32:33]
	scratch_load_b128 v[30:33], off, off offset:512
	v_add_f64_e32 v[151:152], v[151:152], v[42:43]
	v_add_f64_e32 v[153:154], v[153:154], v[44:45]
	ds_load_b128 v[42:45], v1 offset:1104
	s_wait_loadcnt_dscnt 0xa01
	v_mul_f64_e32 v[161:162], v[2:3], v[36:37]
	v_mul_f64_e32 v[36:37], v[4:5], v[36:37]
	s_wait_loadcnt_dscnt 0x800
	v_mul_f64_e32 v[155:156], v[42:43], v[145:146]
	v_add_f64_e32 v[151:152], v[151:152], v[159:160]
	v_add_f64_e32 v[153:154], v[153:154], v[157:158]
	v_mul_f64_e32 v[157:158], v[44:45], v[145:146]
	v_fma_f64 v[159:160], v[4:5], v[34:35], v[161:162]
	v_fma_f64 v[161:162], v[2:3], v[34:35], -v[36:37]
	ds_load_b128 v[2:5], v1 offset:1120
	scratch_load_b128 v[34:37], off, off offset:528
	v_fma_f64 v[44:45], v[44:45], v[143:144], v[155:156]
	v_add_f64_e32 v[151:152], v[151:152], v[147:148]
	v_add_f64_e32 v[149:150], v[153:154], v[149:150]
	ds_load_b128 v[145:148], v1 offset:1136
	v_fma_f64 v[143:144], v[42:43], v[143:144], -v[157:158]
	s_wait_loadcnt_dscnt 0x801
	v_mul_f64_e32 v[153:154], v[2:3], v[40:41]
	v_mul_f64_e32 v[163:164], v[4:5], v[40:41]
	scratch_load_b128 v[40:43], off, off offset:544
	s_wait_loadcnt_dscnt 0x800
	v_mul_f64_e32 v[157:158], v[145:146], v[8:9]
	v_mul_f64_e32 v[8:9], v[147:148], v[8:9]
	v_add_f64_e32 v[151:152], v[151:152], v[161:162]
	v_add_f64_e32 v[149:150], v[149:150], v[159:160]
	v_fma_f64 v[159:160], v[4:5], v[38:39], v[153:154]
	v_fma_f64 v[38:39], v[2:3], v[38:39], -v[163:164]
	ds_load_b128 v[2:5], v1 offset:1152
	ds_load_b128 v[153:156], v1 offset:1168
	v_fma_f64 v[147:148], v[147:148], v[6:7], v[157:158]
	v_fma_f64 v[145:146], v[145:146], v[6:7], -v[8:9]
	scratch_load_b128 v[6:9], off, off offset:576
	v_add_f64_e32 v[143:144], v[151:152], v[143:144]
	v_add_f64_e32 v[44:45], v[149:150], v[44:45]
	scratch_load_b128 v[149:152], off, off offset:560
	s_wait_loadcnt_dscnt 0x901
	v_mul_f64_e32 v[161:162], v[2:3], v[12:13]
	v_mul_f64_e32 v[12:13], v[4:5], v[12:13]
	s_wait_loadcnt_dscnt 0x800
	v_mul_f64_e32 v[157:158], v[153:154], v[16:17]
	v_mul_f64_e32 v[16:17], v[155:156], v[16:17]
	v_add_f64_e32 v[38:39], v[143:144], v[38:39]
	v_add_f64_e32 v[44:45], v[44:45], v[159:160]
	v_fma_f64 v[159:160], v[4:5], v[10:11], v[161:162]
	v_fma_f64 v[161:162], v[2:3], v[10:11], -v[12:13]
	ds_load_b128 v[2:5], v1 offset:1184
	scratch_load_b128 v[10:13], off, off offset:592
	v_fma_f64 v[155:156], v[155:156], v[14:15], v[157:158]
	v_fma_f64 v[153:154], v[153:154], v[14:15], -v[16:17]
	scratch_load_b128 v[14:17], off, off offset:608
	v_add_f64_e32 v[38:39], v[38:39], v[145:146]
	v_add_f64_e32 v[44:45], v[44:45], v[147:148]
	ds_load_b128 v[143:146], v1 offset:1200
	s_wait_loadcnt_dscnt 0x901
	v_mul_f64_e32 v[147:148], v[2:3], v[20:21]
	v_mul_f64_e32 v[20:21], v[4:5], v[20:21]
	s_wait_loadcnt_dscnt 0x800
	v_mul_f64_e32 v[157:158], v[143:144], v[24:25]
	v_mul_f64_e32 v[24:25], v[145:146], v[24:25]
	v_add_f64_e32 v[38:39], v[38:39], v[161:162]
	v_add_f64_e32 v[44:45], v[44:45], v[159:160]
	v_fma_f64 v[147:148], v[4:5], v[18:19], v[147:148]
	v_fma_f64 v[159:160], v[2:3], v[18:19], -v[20:21]
	ds_load_b128 v[2:5], v1 offset:1216
	scratch_load_b128 v[18:21], off, off offset:624
	v_fma_f64 v[145:146], v[145:146], v[22:23], v[157:158]
	v_fma_f64 v[143:144], v[143:144], v[22:23], -v[24:25]
	scratch_load_b128 v[22:25], off, off offset:640
	v_add_f64_e32 v[38:39], v[38:39], v[153:154]
	v_add_f64_e32 v[44:45], v[44:45], v[155:156]
	ds_load_b128 v[153:156], v1 offset:1232
	s_wait_loadcnt_dscnt 0x901
	v_mul_f64_e32 v[161:162], v[2:3], v[28:29]
	v_mul_f64_e32 v[28:29], v[4:5], v[28:29]
	v_add_f64_e32 v[38:39], v[38:39], v[159:160]
	v_add_f64_e32 v[44:45], v[44:45], v[147:148]
	s_wait_loadcnt_dscnt 0x800
	v_mul_f64_e32 v[147:148], v[153:154], v[32:33]
	v_mul_f64_e32 v[32:33], v[155:156], v[32:33]
	v_fma_f64 v[157:158], v[4:5], v[26:27], v[161:162]
	v_fma_f64 v[159:160], v[2:3], v[26:27], -v[28:29]
	ds_load_b128 v[2:5], v1 offset:1248
	scratch_load_b128 v[26:29], off, off offset:656
	v_add_f64_e32 v[38:39], v[38:39], v[143:144]
	v_add_f64_e32 v[44:45], v[44:45], v[145:146]
	ds_load_b128 v[143:146], v1 offset:1264
	s_wait_loadcnt_dscnt 0x801
	v_mul_f64_e32 v[161:162], v[2:3], v[36:37]
	v_mul_f64_e32 v[36:37], v[4:5], v[36:37]
	v_fma_f64 v[147:148], v[155:156], v[30:31], v[147:148]
	v_fma_f64 v[153:154], v[153:154], v[30:31], -v[32:33]
	scratch_load_b128 v[30:33], off, off offset:672
	s_wait_loadcnt_dscnt 0x800
	v_mul_f64_e32 v[155:156], v[143:144], v[42:43]
	v_add_f64_e32 v[38:39], v[38:39], v[159:160]
	v_add_f64_e32 v[44:45], v[44:45], v[157:158]
	v_mul_f64_e32 v[157:158], v[145:146], v[42:43]
	v_fma_f64 v[159:160], v[4:5], v[34:35], v[161:162]
	v_fma_f64 v[161:162], v[2:3], v[34:35], -v[36:37]
	ds_load_b128 v[2:5], v1 offset:1280
	scratch_load_b128 v[34:37], off, off offset:688
	v_fma_f64 v[145:146], v[145:146], v[40:41], v[155:156]
	v_add_f64_e32 v[38:39], v[38:39], v[153:154]
	v_add_f64_e32 v[147:148], v[44:45], v[147:148]
	ds_load_b128 v[42:45], v1 offset:1296
	v_fma_f64 v[143:144], v[143:144], v[40:41], -v[157:158]
	s_wait_loadcnt_dscnt 0x701
	v_mul_f64_e32 v[153:154], v[2:3], v[151:152]
	v_mul_f64_e32 v[151:152], v[4:5], v[151:152]
	s_wait_dscnt 0x0
	v_mul_f64_e32 v[157:158], v[42:43], v[8:9]
	v_mul_f64_e32 v[8:9], v[44:45], v[8:9]
	v_add_f64_e32 v[155:156], v[38:39], v[161:162]
	v_add_f64_e32 v[147:148], v[147:148], v[159:160]
	scratch_load_b128 v[38:41], off, off offset:704
	v_fma_f64 v[153:154], v[4:5], v[149:150], v[153:154]
	v_fma_f64 v[151:152], v[2:3], v[149:150], -v[151:152]
	ds_load_b128 v[2:5], v1 offset:1312
	v_fma_f64 v[44:45], v[44:45], v[6:7], v[157:158]
	v_fma_f64 v[42:43], v[42:43], v[6:7], -v[8:9]
	scratch_load_b128 v[6:9], off, off offset:736
	v_add_f64_e32 v[155:156], v[155:156], v[143:144]
	v_add_f64_e32 v[159:160], v[147:148], v[145:146]
	scratch_load_b128 v[143:146], off, off offset:720
	ds_load_b128 v[147:150], v1 offset:1328
	s_wait_loadcnt_dscnt 0x901
	v_mul_f64_e32 v[161:162], v[2:3], v[12:13]
	v_mul_f64_e32 v[12:13], v[4:5], v[12:13]
	v_add_f64_e32 v[151:152], v[155:156], v[151:152]
	v_add_f64_e32 v[153:154], v[159:160], v[153:154]
	s_wait_loadcnt_dscnt 0x800
	v_mul_f64_e32 v[155:156], v[147:148], v[16:17]
	v_mul_f64_e32 v[16:17], v[149:150], v[16:17]
	v_fma_f64 v[157:158], v[4:5], v[10:11], v[161:162]
	v_fma_f64 v[159:160], v[2:3], v[10:11], -v[12:13]
	ds_load_b128 v[2:5], v1 offset:1344
	ds_load_b128 v[10:13], v1 offset:1360
	v_add_f64_e32 v[42:43], v[151:152], v[42:43]
	v_add_f64_e32 v[44:45], v[153:154], v[44:45]
	s_wait_loadcnt_dscnt 0x701
	v_mul_f64_e32 v[151:152], v[2:3], v[20:21]
	v_mul_f64_e32 v[20:21], v[4:5], v[20:21]
	v_fma_f64 v[149:150], v[149:150], v[14:15], v[155:156]
	v_fma_f64 v[14:15], v[147:148], v[14:15], -v[16:17]
	v_add_f64_e32 v[16:17], v[42:43], v[159:160]
	v_add_f64_e32 v[42:43], v[44:45], v[157:158]
	s_wait_loadcnt_dscnt 0x600
	v_mul_f64_e32 v[44:45], v[10:11], v[24:25]
	v_mul_f64_e32 v[24:25], v[12:13], v[24:25]
	v_fma_f64 v[147:148], v[4:5], v[18:19], v[151:152]
	v_fma_f64 v[18:19], v[2:3], v[18:19], -v[20:21]
	v_add_f64_e32 v[20:21], v[16:17], v[14:15]
	v_add_f64_e32 v[42:43], v[42:43], v[149:150]
	ds_load_b128 v[2:5], v1 offset:1376
	ds_load_b128 v[14:17], v1 offset:1392
	v_fma_f64 v[12:13], v[12:13], v[22:23], v[44:45]
	v_fma_f64 v[10:11], v[10:11], v[22:23], -v[24:25]
	s_wait_loadcnt_dscnt 0x501
	v_mul_f64_e32 v[149:150], v[2:3], v[28:29]
	v_mul_f64_e32 v[28:29], v[4:5], v[28:29]
	s_wait_loadcnt_dscnt 0x400
	v_mul_f64_e32 v[22:23], v[14:15], v[32:33]
	v_mul_f64_e32 v[24:25], v[16:17], v[32:33]
	v_add_f64_e32 v[18:19], v[20:21], v[18:19]
	v_add_f64_e32 v[20:21], v[42:43], v[147:148]
	v_fma_f64 v[32:33], v[4:5], v[26:27], v[149:150]
	v_fma_f64 v[26:27], v[2:3], v[26:27], -v[28:29]
	v_fma_f64 v[16:17], v[16:17], v[30:31], v[22:23]
	v_fma_f64 v[14:15], v[14:15], v[30:31], -v[24:25]
	v_add_f64_e32 v[18:19], v[18:19], v[10:11]
	v_add_f64_e32 v[20:21], v[20:21], v[12:13]
	ds_load_b128 v[2:5], v1 offset:1408
	ds_load_b128 v[10:13], v1 offset:1424
	s_wait_loadcnt_dscnt 0x301
	v_mul_f64_e32 v[28:29], v[2:3], v[36:37]
	v_mul_f64_e32 v[36:37], v[4:5], v[36:37]
	v_add_f64_e32 v[18:19], v[18:19], v[26:27]
	v_add_f64_e32 v[20:21], v[20:21], v[32:33]
	s_wait_loadcnt_dscnt 0x200
	v_mul_f64_e32 v[22:23], v[10:11], v[40:41]
	v_mul_f64_e32 v[24:25], v[12:13], v[40:41]
	v_fma_f64 v[26:27], v[4:5], v[34:35], v[28:29]
	v_fma_f64 v[28:29], v[2:3], v[34:35], -v[36:37]
	v_add_f64_e32 v[18:19], v[18:19], v[14:15]
	v_add_f64_e32 v[20:21], v[20:21], v[16:17]
	ds_load_b128 v[2:5], v1 offset:1440
	ds_load_b128 v[14:17], v1 offset:1456
	v_fma_f64 v[12:13], v[12:13], v[38:39], v[22:23]
	v_fma_f64 v[10:11], v[10:11], v[38:39], -v[24:25]
	s_wait_loadcnt_dscnt 0x1
	v_mul_f64_e32 v[30:31], v[2:3], v[145:146]
	v_mul_f64_e32 v[32:33], v[4:5], v[145:146]
	s_wait_dscnt 0x0
	v_mul_f64_e32 v[22:23], v[14:15], v[8:9]
	v_mul_f64_e32 v[8:9], v[16:17], v[8:9]
	v_add_f64_e32 v[18:19], v[18:19], v[28:29]
	v_add_f64_e32 v[20:21], v[20:21], v[26:27]
	v_fma_f64 v[4:5], v[4:5], v[143:144], v[30:31]
	v_fma_f64 v[1:2], v[2:3], v[143:144], -v[32:33]
	v_fma_f64 v[16:17], v[16:17], v[6:7], v[22:23]
	v_fma_f64 v[6:7], v[14:15], v[6:7], -v[8:9]
	v_add_f64_e32 v[10:11], v[18:19], v[10:11]
	v_add_f64_e32 v[12:13], v[20:21], v[12:13]
	s_delay_alu instid0(VALU_DEP_2) | instskip(NEXT) | instid1(VALU_DEP_2)
	v_add_f64_e32 v[1:2], v[10:11], v[1:2]
	v_add_f64_e32 v[3:4], v[12:13], v[4:5]
	s_delay_alu instid0(VALU_DEP_2) | instskip(NEXT) | instid1(VALU_DEP_2)
	;; [unrolled: 3-line block ×3, first 2 shown]
	v_add_f64_e64 v[1:2], v[139:140], -v[1:2]
	v_add_f64_e64 v[3:4], v[141:142], -v[3:4]
	scratch_store_b128 off, v[1:4], off offset:224
	v_cmpx_lt_u32_e32 12, v0
	s_cbranch_execz .LBB45_265
; %bb.264:
	scratch_load_b128 v[1:4], off, s47
	v_mov_b32_e32 v5, 0
	s_delay_alu instid0(VALU_DEP_1)
	v_dual_mov_b32 v6, v5 :: v_dual_mov_b32 v7, v5
	v_mov_b32_e32 v8, v5
	scratch_store_b128 off, v[5:8], off offset:208
	s_wait_loadcnt 0x0
	ds_store_b128 v138, v[1:4]
.LBB45_265:
	s_wait_alu 0xfffe
	s_or_b32 exec_lo, exec_lo, s0
	s_wait_storecnt_dscnt 0x0
	s_barrier_signal -1
	s_barrier_wait -1
	global_inv scope:SCOPE_SE
	s_clause 0x7
	scratch_load_b128 v[2:5], off, off offset:224
	scratch_load_b128 v[6:9], off, off offset:240
	;; [unrolled: 1-line block ×8, first 2 shown]
	v_mov_b32_e32 v1, 0
	s_mov_b32 s0, exec_lo
	ds_load_b128 v[34:37], v1 offset:944
	s_clause 0x1
	scratch_load_b128 v[38:41], off, off offset:352
	scratch_load_b128 v[42:45], off, off offset:208
	ds_load_b128 v[139:142], v1 offset:960
	scratch_load_b128 v[143:146], off, off offset:368
	s_wait_loadcnt_dscnt 0xa01
	v_mul_f64_e32 v[147:148], v[36:37], v[4:5]
	v_mul_f64_e32 v[4:5], v[34:35], v[4:5]
	s_delay_alu instid0(VALU_DEP_2) | instskip(NEXT) | instid1(VALU_DEP_2)
	v_fma_f64 v[153:154], v[34:35], v[2:3], -v[147:148]
	v_fma_f64 v[155:156], v[36:37], v[2:3], v[4:5]
	ds_load_b128 v[2:5], v1 offset:976
	s_wait_loadcnt_dscnt 0x901
	v_mul_f64_e32 v[151:152], v[139:140], v[8:9]
	v_mul_f64_e32 v[8:9], v[141:142], v[8:9]
	scratch_load_b128 v[34:37], off, off offset:384
	ds_load_b128 v[147:150], v1 offset:992
	s_wait_loadcnt_dscnt 0x901
	v_mul_f64_e32 v[157:158], v[2:3], v[12:13]
	v_mul_f64_e32 v[12:13], v[4:5], v[12:13]
	v_fma_f64 v[141:142], v[141:142], v[6:7], v[151:152]
	v_fma_f64 v[139:140], v[139:140], v[6:7], -v[8:9]
	v_add_f64_e32 v[151:152], 0, v[153:154]
	v_add_f64_e32 v[153:154], 0, v[155:156]
	scratch_load_b128 v[6:9], off, off offset:400
	v_fma_f64 v[157:158], v[4:5], v[10:11], v[157:158]
	v_fma_f64 v[159:160], v[2:3], v[10:11], -v[12:13]
	ds_load_b128 v[2:5], v1 offset:1008
	s_wait_loadcnt_dscnt 0x901
	v_mul_f64_e32 v[155:156], v[147:148], v[16:17]
	v_mul_f64_e32 v[16:17], v[149:150], v[16:17]
	scratch_load_b128 v[10:13], off, off offset:416
	v_add_f64_e32 v[151:152], v[151:152], v[139:140]
	v_add_f64_e32 v[153:154], v[153:154], v[141:142]
	s_wait_loadcnt_dscnt 0x900
	v_mul_f64_e32 v[161:162], v[2:3], v[20:21]
	v_mul_f64_e32 v[20:21], v[4:5], v[20:21]
	ds_load_b128 v[139:142], v1 offset:1024
	v_fma_f64 v[149:150], v[149:150], v[14:15], v[155:156]
	v_fma_f64 v[147:148], v[147:148], v[14:15], -v[16:17]
	scratch_load_b128 v[14:17], off, off offset:432
	v_add_f64_e32 v[151:152], v[151:152], v[159:160]
	v_add_f64_e32 v[153:154], v[153:154], v[157:158]
	v_fma_f64 v[157:158], v[4:5], v[18:19], v[161:162]
	v_fma_f64 v[159:160], v[2:3], v[18:19], -v[20:21]
	ds_load_b128 v[2:5], v1 offset:1040
	s_wait_loadcnt_dscnt 0x901
	v_mul_f64_e32 v[155:156], v[139:140], v[24:25]
	v_mul_f64_e32 v[24:25], v[141:142], v[24:25]
	scratch_load_b128 v[18:21], off, off offset:448
	s_wait_loadcnt_dscnt 0x900
	v_mul_f64_e32 v[161:162], v[2:3], v[28:29]
	v_mul_f64_e32 v[28:29], v[4:5], v[28:29]
	v_add_f64_e32 v[151:152], v[151:152], v[147:148]
	v_add_f64_e32 v[153:154], v[153:154], v[149:150]
	ds_load_b128 v[147:150], v1 offset:1056
	v_fma_f64 v[141:142], v[141:142], v[22:23], v[155:156]
	v_fma_f64 v[139:140], v[139:140], v[22:23], -v[24:25]
	scratch_load_b128 v[22:25], off, off offset:464
	v_add_f64_e32 v[151:152], v[151:152], v[159:160]
	v_add_f64_e32 v[153:154], v[153:154], v[157:158]
	v_fma_f64 v[157:158], v[4:5], v[26:27], v[161:162]
	v_fma_f64 v[159:160], v[2:3], v[26:27], -v[28:29]
	ds_load_b128 v[2:5], v1 offset:1072
	s_wait_loadcnt_dscnt 0x901
	v_mul_f64_e32 v[155:156], v[147:148], v[32:33]
	v_mul_f64_e32 v[32:33], v[149:150], v[32:33]
	scratch_load_b128 v[26:29], off, off offset:480
	s_wait_loadcnt_dscnt 0x900
	v_mul_f64_e32 v[161:162], v[2:3], v[40:41]
	v_mul_f64_e32 v[40:41], v[4:5], v[40:41]
	v_add_f64_e32 v[151:152], v[151:152], v[139:140]
	v_add_f64_e32 v[153:154], v[153:154], v[141:142]
	ds_load_b128 v[139:142], v1 offset:1088
	v_fma_f64 v[149:150], v[149:150], v[30:31], v[155:156]
	v_fma_f64 v[147:148], v[147:148], v[30:31], -v[32:33]
	scratch_load_b128 v[30:33], off, off offset:496
	v_add_f64_e32 v[151:152], v[151:152], v[159:160]
	v_add_f64_e32 v[153:154], v[153:154], v[157:158]
	v_fma_f64 v[159:160], v[4:5], v[38:39], v[161:162]
	v_fma_f64 v[161:162], v[2:3], v[38:39], -v[40:41]
	ds_load_b128 v[2:5], v1 offset:1104
	s_wait_loadcnt_dscnt 0x801
	v_mul_f64_e32 v[155:156], v[139:140], v[145:146]
	v_mul_f64_e32 v[157:158], v[141:142], v[145:146]
	scratch_load_b128 v[38:41], off, off offset:512
	v_add_f64_e32 v[151:152], v[151:152], v[147:148]
	v_add_f64_e32 v[149:150], v[153:154], v[149:150]
	ds_load_b128 v[145:148], v1 offset:1120
	v_fma_f64 v[155:156], v[141:142], v[143:144], v[155:156]
	v_fma_f64 v[143:144], v[139:140], v[143:144], -v[157:158]
	scratch_load_b128 v[139:142], off, off offset:528
	s_wait_loadcnt_dscnt 0x901
	v_mul_f64_e32 v[153:154], v[2:3], v[36:37]
	v_mul_f64_e32 v[36:37], v[4:5], v[36:37]
	v_add_f64_e32 v[151:152], v[151:152], v[161:162]
	v_add_f64_e32 v[149:150], v[149:150], v[159:160]
	s_delay_alu instid0(VALU_DEP_4) | instskip(NEXT) | instid1(VALU_DEP_4)
	v_fma_f64 v[153:154], v[4:5], v[34:35], v[153:154]
	v_fma_f64 v[159:160], v[2:3], v[34:35], -v[36:37]
	ds_load_b128 v[2:5], v1 offset:1136
	s_wait_loadcnt_dscnt 0x801
	v_mul_f64_e32 v[157:158], v[145:146], v[8:9]
	v_mul_f64_e32 v[8:9], v[147:148], v[8:9]
	scratch_load_b128 v[34:37], off, off offset:544
	s_wait_loadcnt_dscnt 0x800
	v_mul_f64_e32 v[161:162], v[2:3], v[12:13]
	v_add_f64_e32 v[143:144], v[151:152], v[143:144]
	v_add_f64_e32 v[155:156], v[149:150], v[155:156]
	v_mul_f64_e32 v[12:13], v[4:5], v[12:13]
	ds_load_b128 v[149:152], v1 offset:1152
	v_fma_f64 v[147:148], v[147:148], v[6:7], v[157:158]
	v_fma_f64 v[145:146], v[145:146], v[6:7], -v[8:9]
	scratch_load_b128 v[6:9], off, off offset:560
	v_fma_f64 v[157:158], v[4:5], v[10:11], v[161:162]
	v_add_f64_e32 v[143:144], v[143:144], v[159:160]
	v_add_f64_e32 v[153:154], v[155:156], v[153:154]
	v_fma_f64 v[159:160], v[2:3], v[10:11], -v[12:13]
	ds_load_b128 v[2:5], v1 offset:1168
	s_wait_loadcnt_dscnt 0x801
	v_mul_f64_e32 v[155:156], v[149:150], v[16:17]
	v_mul_f64_e32 v[16:17], v[151:152], v[16:17]
	scratch_load_b128 v[10:13], off, off offset:576
	v_add_f64_e32 v[161:162], v[143:144], v[145:146]
	v_add_f64_e32 v[147:148], v[153:154], v[147:148]
	s_wait_loadcnt_dscnt 0x800
	v_mul_f64_e32 v[153:154], v[2:3], v[20:21]
	v_mul_f64_e32 v[20:21], v[4:5], v[20:21]
	v_fma_f64 v[151:152], v[151:152], v[14:15], v[155:156]
	v_fma_f64 v[149:150], v[149:150], v[14:15], -v[16:17]
	ds_load_b128 v[143:146], v1 offset:1184
	scratch_load_b128 v[14:17], off, off offset:592
	v_add_f64_e32 v[155:156], v[161:162], v[159:160]
	v_add_f64_e32 v[147:148], v[147:148], v[157:158]
	v_fma_f64 v[153:154], v[4:5], v[18:19], v[153:154]
	v_fma_f64 v[159:160], v[2:3], v[18:19], -v[20:21]
	ds_load_b128 v[2:5], v1 offset:1200
	s_wait_loadcnt_dscnt 0x801
	v_mul_f64_e32 v[157:158], v[143:144], v[24:25]
	v_mul_f64_e32 v[24:25], v[145:146], v[24:25]
	scratch_load_b128 v[18:21], off, off offset:608
	s_wait_loadcnt_dscnt 0x800
	v_mul_f64_e32 v[161:162], v[2:3], v[28:29]
	v_mul_f64_e32 v[28:29], v[4:5], v[28:29]
	v_add_f64_e32 v[155:156], v[155:156], v[149:150]
	v_add_f64_e32 v[151:152], v[147:148], v[151:152]
	ds_load_b128 v[147:150], v1 offset:1216
	v_fma_f64 v[145:146], v[145:146], v[22:23], v[157:158]
	v_fma_f64 v[143:144], v[143:144], v[22:23], -v[24:25]
	scratch_load_b128 v[22:25], off, off offset:624
	v_fma_f64 v[157:158], v[4:5], v[26:27], v[161:162]
	v_add_f64_e32 v[155:156], v[155:156], v[159:160]
	v_add_f64_e32 v[151:152], v[151:152], v[153:154]
	v_fma_f64 v[159:160], v[2:3], v[26:27], -v[28:29]
	ds_load_b128 v[2:5], v1 offset:1232
	s_wait_loadcnt_dscnt 0x801
	v_mul_f64_e32 v[153:154], v[147:148], v[32:33]
	v_mul_f64_e32 v[32:33], v[149:150], v[32:33]
	scratch_load_b128 v[26:29], off, off offset:640
	s_wait_loadcnt_dscnt 0x800
	v_mul_f64_e32 v[161:162], v[2:3], v[40:41]
	v_mul_f64_e32 v[40:41], v[4:5], v[40:41]
	v_add_f64_e32 v[155:156], v[155:156], v[143:144]
	v_add_f64_e32 v[151:152], v[151:152], v[145:146]
	ds_load_b128 v[143:146], v1 offset:1248
	v_fma_f64 v[149:150], v[149:150], v[30:31], v[153:154]
	v_fma_f64 v[147:148], v[147:148], v[30:31], -v[32:33]
	scratch_load_b128 v[30:33], off, off offset:656
	v_add_f64_e32 v[153:154], v[155:156], v[159:160]
	v_add_f64_e32 v[151:152], v[151:152], v[157:158]
	v_fma_f64 v[157:158], v[4:5], v[38:39], v[161:162]
	v_fma_f64 v[159:160], v[2:3], v[38:39], -v[40:41]
	ds_load_b128 v[2:5], v1 offset:1264
	s_wait_loadcnt_dscnt 0x801
	v_mul_f64_e32 v[155:156], v[143:144], v[141:142]
	v_mul_f64_e32 v[141:142], v[145:146], v[141:142]
	scratch_load_b128 v[38:41], off, off offset:672
	s_wait_loadcnt_dscnt 0x800
	v_mul_f64_e32 v[161:162], v[2:3], v[36:37]
	v_mul_f64_e32 v[36:37], v[4:5], v[36:37]
	v_add_f64_e32 v[153:154], v[153:154], v[147:148]
	v_add_f64_e32 v[151:152], v[151:152], v[149:150]
	ds_load_b128 v[147:150], v1 offset:1280
	v_fma_f64 v[145:146], v[145:146], v[139:140], v[155:156]
	v_fma_f64 v[143:144], v[143:144], v[139:140], -v[141:142]
	scratch_load_b128 v[139:142], off, off offset:688
	v_add_f64_e32 v[153:154], v[153:154], v[159:160]
	v_add_f64_e32 v[151:152], v[151:152], v[157:158]
	v_fma_f64 v[157:158], v[4:5], v[34:35], v[161:162]
	;; [unrolled: 18-line block ×3, first 2 shown]
	v_fma_f64 v[159:160], v[2:3], v[10:11], -v[12:13]
	ds_load_b128 v[2:5], v1 offset:1328
	s_wait_loadcnt_dscnt 0x801
	v_mul_f64_e32 v[155:156], v[143:144], v[16:17]
	v_mul_f64_e32 v[16:17], v[145:146], v[16:17]
	scratch_load_b128 v[10:13], off, off offset:736
	s_wait_loadcnt_dscnt 0x800
	v_mul_f64_e32 v[161:162], v[2:3], v[20:21]
	v_mul_f64_e32 v[20:21], v[4:5], v[20:21]
	v_add_f64_e32 v[153:154], v[153:154], v[147:148]
	v_add_f64_e32 v[151:152], v[151:152], v[149:150]
	ds_load_b128 v[147:150], v1 offset:1344
	v_fma_f64 v[145:146], v[145:146], v[14:15], v[155:156]
	v_fma_f64 v[14:15], v[143:144], v[14:15], -v[16:17]
	v_add_f64_e32 v[16:17], v[153:154], v[159:160]
	v_add_f64_e32 v[143:144], v[151:152], v[157:158]
	s_wait_loadcnt_dscnt 0x700
	v_mul_f64_e32 v[151:152], v[147:148], v[24:25]
	v_mul_f64_e32 v[24:25], v[149:150], v[24:25]
	v_fma_f64 v[153:154], v[4:5], v[18:19], v[161:162]
	v_fma_f64 v[18:19], v[2:3], v[18:19], -v[20:21]
	v_add_f64_e32 v[20:21], v[16:17], v[14:15]
	v_add_f64_e32 v[143:144], v[143:144], v[145:146]
	ds_load_b128 v[2:5], v1 offset:1360
	ds_load_b128 v[14:17], v1 offset:1376
	v_fma_f64 v[149:150], v[149:150], v[22:23], v[151:152]
	v_fma_f64 v[22:23], v[147:148], v[22:23], -v[24:25]
	s_wait_loadcnt_dscnt 0x601
	v_mul_f64_e32 v[145:146], v[2:3], v[28:29]
	v_mul_f64_e32 v[28:29], v[4:5], v[28:29]
	s_wait_loadcnt_dscnt 0x500
	v_mul_f64_e32 v[24:25], v[14:15], v[32:33]
	v_mul_f64_e32 v[32:33], v[16:17], v[32:33]
	v_add_f64_e32 v[18:19], v[20:21], v[18:19]
	v_add_f64_e32 v[20:21], v[143:144], v[153:154]
	v_fma_f64 v[143:144], v[4:5], v[26:27], v[145:146]
	v_fma_f64 v[26:27], v[2:3], v[26:27], -v[28:29]
	v_fma_f64 v[16:17], v[16:17], v[30:31], v[24:25]
	v_fma_f64 v[14:15], v[14:15], v[30:31], -v[32:33]
	v_add_f64_e32 v[22:23], v[18:19], v[22:23]
	v_add_f64_e32 v[28:29], v[20:21], v[149:150]
	ds_load_b128 v[2:5], v1 offset:1392
	ds_load_b128 v[18:21], v1 offset:1408
	s_wait_loadcnt_dscnt 0x401
	v_mul_f64_e32 v[145:146], v[2:3], v[40:41]
	v_mul_f64_e32 v[40:41], v[4:5], v[40:41]
	v_add_f64_e32 v[22:23], v[22:23], v[26:27]
	v_add_f64_e32 v[24:25], v[28:29], v[143:144]
	s_wait_loadcnt_dscnt 0x300
	v_mul_f64_e32 v[26:27], v[18:19], v[141:142]
	v_mul_f64_e32 v[28:29], v[20:21], v[141:142]
	v_fma_f64 v[30:31], v[4:5], v[38:39], v[145:146]
	v_fma_f64 v[32:33], v[2:3], v[38:39], -v[40:41]
	v_add_f64_e32 v[22:23], v[22:23], v[14:15]
	v_add_f64_e32 v[24:25], v[24:25], v[16:17]
	ds_load_b128 v[2:5], v1 offset:1424
	ds_load_b128 v[14:17], v1 offset:1440
	v_fma_f64 v[20:21], v[20:21], v[139:140], v[26:27]
	v_fma_f64 v[18:19], v[18:19], v[139:140], -v[28:29]
	s_wait_loadcnt_dscnt 0x201
	v_mul_f64_e32 v[38:39], v[2:3], v[36:37]
	v_mul_f64_e32 v[36:37], v[4:5], v[36:37]
	s_wait_loadcnt_dscnt 0x100
	v_mul_f64_e32 v[26:27], v[14:15], v[8:9]
	v_mul_f64_e32 v[8:9], v[16:17], v[8:9]
	v_add_f64_e32 v[22:23], v[22:23], v[32:33]
	v_add_f64_e32 v[24:25], v[24:25], v[30:31]
	v_fma_f64 v[28:29], v[4:5], v[34:35], v[38:39]
	v_fma_f64 v[30:31], v[2:3], v[34:35], -v[36:37]
	ds_load_b128 v[2:5], v1 offset:1456
	v_fma_f64 v[16:17], v[16:17], v[6:7], v[26:27]
	v_fma_f64 v[6:7], v[14:15], v[6:7], -v[8:9]
	v_add_f64_e32 v[18:19], v[22:23], v[18:19]
	v_add_f64_e32 v[20:21], v[24:25], v[20:21]
	s_wait_loadcnt_dscnt 0x0
	v_mul_f64_e32 v[22:23], v[2:3], v[12:13]
	v_mul_f64_e32 v[12:13], v[4:5], v[12:13]
	s_delay_alu instid0(VALU_DEP_4) | instskip(NEXT) | instid1(VALU_DEP_4)
	v_add_f64_e32 v[8:9], v[18:19], v[30:31]
	v_add_f64_e32 v[14:15], v[20:21], v[28:29]
	s_delay_alu instid0(VALU_DEP_4) | instskip(NEXT) | instid1(VALU_DEP_4)
	v_fma_f64 v[4:5], v[4:5], v[10:11], v[22:23]
	v_fma_f64 v[2:3], v[2:3], v[10:11], -v[12:13]
	s_delay_alu instid0(VALU_DEP_4) | instskip(NEXT) | instid1(VALU_DEP_4)
	v_add_f64_e32 v[6:7], v[8:9], v[6:7]
	v_add_f64_e32 v[8:9], v[14:15], v[16:17]
	s_delay_alu instid0(VALU_DEP_2) | instskip(NEXT) | instid1(VALU_DEP_2)
	v_add_f64_e32 v[2:3], v[6:7], v[2:3]
	v_add_f64_e32 v[4:5], v[8:9], v[4:5]
	s_delay_alu instid0(VALU_DEP_2) | instskip(NEXT) | instid1(VALU_DEP_2)
	v_add_f64_e64 v[2:3], v[42:43], -v[2:3]
	v_add_f64_e64 v[4:5], v[44:45], -v[4:5]
	scratch_store_b128 off, v[2:5], off offset:208
	v_cmpx_lt_u32_e32 11, v0
	s_cbranch_execz .LBB45_267
; %bb.266:
	scratch_load_b128 v[5:8], off, s48
	v_dual_mov_b32 v2, v1 :: v_dual_mov_b32 v3, v1
	v_mov_b32_e32 v4, v1
	scratch_store_b128 off, v[1:4], off offset:192
	s_wait_loadcnt 0x0
	ds_store_b128 v138, v[5:8]
.LBB45_267:
	s_wait_alu 0xfffe
	s_or_b32 exec_lo, exec_lo, s0
	s_wait_storecnt_dscnt 0x0
	s_barrier_signal -1
	s_barrier_wait -1
	global_inv scope:SCOPE_SE
	s_clause 0x8
	scratch_load_b128 v[2:5], off, off offset:208
	scratch_load_b128 v[6:9], off, off offset:224
	;; [unrolled: 1-line block ×9, first 2 shown]
	ds_load_b128 v[38:41], v1 offset:928
	ds_load_b128 v[42:45], v1 offset:944
	s_clause 0x1
	scratch_load_b128 v[139:142], off, off offset:192
	scratch_load_b128 v[143:146], off, off offset:352
	s_mov_b32 s0, exec_lo
	s_wait_loadcnt_dscnt 0xa01
	v_mul_f64_e32 v[147:148], v[40:41], v[4:5]
	v_mul_f64_e32 v[4:5], v[38:39], v[4:5]
	s_wait_loadcnt_dscnt 0x900
	v_mul_f64_e32 v[151:152], v[42:43], v[8:9]
	v_mul_f64_e32 v[8:9], v[44:45], v[8:9]
	s_delay_alu instid0(VALU_DEP_4) | instskip(NEXT) | instid1(VALU_DEP_4)
	v_fma_f64 v[153:154], v[38:39], v[2:3], -v[147:148]
	v_fma_f64 v[155:156], v[40:41], v[2:3], v[4:5]
	ds_load_b128 v[2:5], v1 offset:960
	ds_load_b128 v[147:150], v1 offset:976
	scratch_load_b128 v[38:41], off, off offset:368
	v_fma_f64 v[44:45], v[44:45], v[6:7], v[151:152]
	v_fma_f64 v[42:43], v[42:43], v[6:7], -v[8:9]
	scratch_load_b128 v[6:9], off, off offset:384
	s_wait_loadcnt_dscnt 0xa01
	v_mul_f64_e32 v[157:158], v[2:3], v[12:13]
	v_mul_f64_e32 v[12:13], v[4:5], v[12:13]
	v_add_f64_e32 v[151:152], 0, v[153:154]
	v_add_f64_e32 v[153:154], 0, v[155:156]
	s_wait_loadcnt_dscnt 0x900
	v_mul_f64_e32 v[155:156], v[147:148], v[16:17]
	v_mul_f64_e32 v[16:17], v[149:150], v[16:17]
	v_fma_f64 v[157:158], v[4:5], v[10:11], v[157:158]
	v_fma_f64 v[159:160], v[2:3], v[10:11], -v[12:13]
	ds_load_b128 v[2:5], v1 offset:992
	scratch_load_b128 v[10:13], off, off offset:400
	v_add_f64_e32 v[151:152], v[151:152], v[42:43]
	v_add_f64_e32 v[153:154], v[153:154], v[44:45]
	ds_load_b128 v[42:45], v1 offset:1008
	v_fma_f64 v[149:150], v[149:150], v[14:15], v[155:156]
	v_fma_f64 v[147:148], v[147:148], v[14:15], -v[16:17]
	scratch_load_b128 v[14:17], off, off offset:416
	s_wait_loadcnt_dscnt 0xa01
	v_mul_f64_e32 v[161:162], v[2:3], v[20:21]
	v_mul_f64_e32 v[20:21], v[4:5], v[20:21]
	s_wait_loadcnt_dscnt 0x900
	v_mul_f64_e32 v[155:156], v[42:43], v[24:25]
	v_mul_f64_e32 v[24:25], v[44:45], v[24:25]
	v_add_f64_e32 v[151:152], v[151:152], v[159:160]
	v_add_f64_e32 v[153:154], v[153:154], v[157:158]
	v_fma_f64 v[157:158], v[4:5], v[18:19], v[161:162]
	v_fma_f64 v[159:160], v[2:3], v[18:19], -v[20:21]
	ds_load_b128 v[2:5], v1 offset:1024
	scratch_load_b128 v[18:21], off, off offset:432
	v_fma_f64 v[44:45], v[44:45], v[22:23], v[155:156]
	v_fma_f64 v[42:43], v[42:43], v[22:23], -v[24:25]
	scratch_load_b128 v[22:25], off, off offset:448
	v_add_f64_e32 v[151:152], v[151:152], v[147:148]
	v_add_f64_e32 v[153:154], v[153:154], v[149:150]
	ds_load_b128 v[147:150], v1 offset:1040
	s_wait_loadcnt_dscnt 0xa01
	v_mul_f64_e32 v[161:162], v[2:3], v[28:29]
	v_mul_f64_e32 v[28:29], v[4:5], v[28:29]
	s_wait_loadcnt_dscnt 0x900
	v_mul_f64_e32 v[155:156], v[147:148], v[32:33]
	v_mul_f64_e32 v[32:33], v[149:150], v[32:33]
	v_add_f64_e32 v[151:152], v[151:152], v[159:160]
	v_add_f64_e32 v[153:154], v[153:154], v[157:158]
	v_fma_f64 v[157:158], v[4:5], v[26:27], v[161:162]
	v_fma_f64 v[159:160], v[2:3], v[26:27], -v[28:29]
	ds_load_b128 v[2:5], v1 offset:1056
	scratch_load_b128 v[26:29], off, off offset:464
	v_fma_f64 v[149:150], v[149:150], v[30:31], v[155:156]
	v_fma_f64 v[147:148], v[147:148], v[30:31], -v[32:33]
	scratch_load_b128 v[30:33], off, off offset:480
	v_add_f64_e32 v[151:152], v[151:152], v[42:43]
	v_add_f64_e32 v[153:154], v[153:154], v[44:45]
	ds_load_b128 v[42:45], v1 offset:1072
	s_wait_loadcnt_dscnt 0xa01
	v_mul_f64_e32 v[161:162], v[2:3], v[36:37]
	v_mul_f64_e32 v[36:37], v[4:5], v[36:37]
	s_wait_loadcnt_dscnt 0x800
	v_mul_f64_e32 v[155:156], v[42:43], v[145:146]
	v_add_f64_e32 v[151:152], v[151:152], v[159:160]
	v_add_f64_e32 v[153:154], v[153:154], v[157:158]
	v_mul_f64_e32 v[157:158], v[44:45], v[145:146]
	v_fma_f64 v[159:160], v[4:5], v[34:35], v[161:162]
	v_fma_f64 v[161:162], v[2:3], v[34:35], -v[36:37]
	ds_load_b128 v[2:5], v1 offset:1088
	scratch_load_b128 v[34:37], off, off offset:496
	v_fma_f64 v[44:45], v[44:45], v[143:144], v[155:156]
	v_add_f64_e32 v[151:152], v[151:152], v[147:148]
	v_add_f64_e32 v[149:150], v[153:154], v[149:150]
	ds_load_b128 v[145:148], v1 offset:1104
	v_fma_f64 v[143:144], v[42:43], v[143:144], -v[157:158]
	s_wait_loadcnt_dscnt 0x801
	v_mul_f64_e32 v[153:154], v[2:3], v[40:41]
	v_mul_f64_e32 v[163:164], v[4:5], v[40:41]
	scratch_load_b128 v[40:43], off, off offset:512
	s_wait_loadcnt_dscnt 0x800
	v_mul_f64_e32 v[157:158], v[145:146], v[8:9]
	v_mul_f64_e32 v[8:9], v[147:148], v[8:9]
	v_add_f64_e32 v[151:152], v[151:152], v[161:162]
	v_add_f64_e32 v[149:150], v[149:150], v[159:160]
	v_fma_f64 v[159:160], v[4:5], v[38:39], v[153:154]
	v_fma_f64 v[38:39], v[2:3], v[38:39], -v[163:164]
	ds_load_b128 v[2:5], v1 offset:1120
	ds_load_b128 v[153:156], v1 offset:1136
	v_fma_f64 v[147:148], v[147:148], v[6:7], v[157:158]
	v_fma_f64 v[145:146], v[145:146], v[6:7], -v[8:9]
	scratch_load_b128 v[6:9], off, off offset:544
	v_add_f64_e32 v[143:144], v[151:152], v[143:144]
	v_add_f64_e32 v[44:45], v[149:150], v[44:45]
	scratch_load_b128 v[149:152], off, off offset:528
	s_wait_loadcnt_dscnt 0x901
	v_mul_f64_e32 v[161:162], v[2:3], v[12:13]
	v_mul_f64_e32 v[12:13], v[4:5], v[12:13]
	s_wait_loadcnt_dscnt 0x800
	v_mul_f64_e32 v[157:158], v[153:154], v[16:17]
	v_mul_f64_e32 v[16:17], v[155:156], v[16:17]
	v_add_f64_e32 v[38:39], v[143:144], v[38:39]
	v_add_f64_e32 v[44:45], v[44:45], v[159:160]
	v_fma_f64 v[159:160], v[4:5], v[10:11], v[161:162]
	v_fma_f64 v[161:162], v[2:3], v[10:11], -v[12:13]
	ds_load_b128 v[2:5], v1 offset:1152
	scratch_load_b128 v[10:13], off, off offset:560
	v_fma_f64 v[155:156], v[155:156], v[14:15], v[157:158]
	v_fma_f64 v[153:154], v[153:154], v[14:15], -v[16:17]
	scratch_load_b128 v[14:17], off, off offset:576
	v_add_f64_e32 v[38:39], v[38:39], v[145:146]
	v_add_f64_e32 v[44:45], v[44:45], v[147:148]
	ds_load_b128 v[143:146], v1 offset:1168
	s_wait_loadcnt_dscnt 0x901
	v_mul_f64_e32 v[147:148], v[2:3], v[20:21]
	v_mul_f64_e32 v[20:21], v[4:5], v[20:21]
	s_wait_loadcnt_dscnt 0x800
	v_mul_f64_e32 v[157:158], v[143:144], v[24:25]
	v_mul_f64_e32 v[24:25], v[145:146], v[24:25]
	v_add_f64_e32 v[38:39], v[38:39], v[161:162]
	v_add_f64_e32 v[44:45], v[44:45], v[159:160]
	v_fma_f64 v[147:148], v[4:5], v[18:19], v[147:148]
	v_fma_f64 v[159:160], v[2:3], v[18:19], -v[20:21]
	ds_load_b128 v[2:5], v1 offset:1184
	scratch_load_b128 v[18:21], off, off offset:592
	v_fma_f64 v[145:146], v[145:146], v[22:23], v[157:158]
	v_fma_f64 v[143:144], v[143:144], v[22:23], -v[24:25]
	scratch_load_b128 v[22:25], off, off offset:608
	v_add_f64_e32 v[38:39], v[38:39], v[153:154]
	v_add_f64_e32 v[44:45], v[44:45], v[155:156]
	ds_load_b128 v[153:156], v1 offset:1200
	s_wait_loadcnt_dscnt 0x901
	v_mul_f64_e32 v[161:162], v[2:3], v[28:29]
	v_mul_f64_e32 v[28:29], v[4:5], v[28:29]
	v_add_f64_e32 v[38:39], v[38:39], v[159:160]
	v_add_f64_e32 v[44:45], v[44:45], v[147:148]
	s_wait_loadcnt_dscnt 0x800
	v_mul_f64_e32 v[147:148], v[153:154], v[32:33]
	v_mul_f64_e32 v[32:33], v[155:156], v[32:33]
	v_fma_f64 v[157:158], v[4:5], v[26:27], v[161:162]
	v_fma_f64 v[159:160], v[2:3], v[26:27], -v[28:29]
	ds_load_b128 v[2:5], v1 offset:1216
	scratch_load_b128 v[26:29], off, off offset:624
	v_add_f64_e32 v[38:39], v[38:39], v[143:144]
	v_add_f64_e32 v[44:45], v[44:45], v[145:146]
	ds_load_b128 v[143:146], v1 offset:1232
	s_wait_loadcnt_dscnt 0x801
	v_mul_f64_e32 v[161:162], v[2:3], v[36:37]
	v_mul_f64_e32 v[36:37], v[4:5], v[36:37]
	v_fma_f64 v[147:148], v[155:156], v[30:31], v[147:148]
	v_fma_f64 v[153:154], v[153:154], v[30:31], -v[32:33]
	scratch_load_b128 v[30:33], off, off offset:640
	s_wait_loadcnt_dscnt 0x800
	v_mul_f64_e32 v[155:156], v[143:144], v[42:43]
	v_add_f64_e32 v[38:39], v[38:39], v[159:160]
	v_add_f64_e32 v[44:45], v[44:45], v[157:158]
	v_mul_f64_e32 v[157:158], v[145:146], v[42:43]
	v_fma_f64 v[159:160], v[4:5], v[34:35], v[161:162]
	v_fma_f64 v[161:162], v[2:3], v[34:35], -v[36:37]
	ds_load_b128 v[2:5], v1 offset:1248
	scratch_load_b128 v[34:37], off, off offset:656
	v_fma_f64 v[145:146], v[145:146], v[40:41], v[155:156]
	v_add_f64_e32 v[38:39], v[38:39], v[153:154]
	v_add_f64_e32 v[147:148], v[44:45], v[147:148]
	ds_load_b128 v[42:45], v1 offset:1264
	v_fma_f64 v[143:144], v[143:144], v[40:41], -v[157:158]
	s_wait_loadcnt_dscnt 0x701
	v_mul_f64_e32 v[153:154], v[2:3], v[151:152]
	v_mul_f64_e32 v[151:152], v[4:5], v[151:152]
	s_wait_dscnt 0x0
	v_mul_f64_e32 v[157:158], v[42:43], v[8:9]
	v_mul_f64_e32 v[8:9], v[44:45], v[8:9]
	v_add_f64_e32 v[155:156], v[38:39], v[161:162]
	v_add_f64_e32 v[147:148], v[147:148], v[159:160]
	scratch_load_b128 v[38:41], off, off offset:672
	v_fma_f64 v[153:154], v[4:5], v[149:150], v[153:154]
	v_fma_f64 v[151:152], v[2:3], v[149:150], -v[151:152]
	ds_load_b128 v[2:5], v1 offset:1280
	v_fma_f64 v[44:45], v[44:45], v[6:7], v[157:158]
	v_fma_f64 v[42:43], v[42:43], v[6:7], -v[8:9]
	scratch_load_b128 v[6:9], off, off offset:704
	v_add_f64_e32 v[155:156], v[155:156], v[143:144]
	v_add_f64_e32 v[159:160], v[147:148], v[145:146]
	scratch_load_b128 v[143:146], off, off offset:688
	ds_load_b128 v[147:150], v1 offset:1296
	s_wait_loadcnt_dscnt 0x901
	v_mul_f64_e32 v[161:162], v[2:3], v[12:13]
	v_mul_f64_e32 v[12:13], v[4:5], v[12:13]
	v_add_f64_e32 v[151:152], v[155:156], v[151:152]
	v_add_f64_e32 v[153:154], v[159:160], v[153:154]
	s_wait_loadcnt_dscnt 0x800
	v_mul_f64_e32 v[155:156], v[147:148], v[16:17]
	v_mul_f64_e32 v[16:17], v[149:150], v[16:17]
	v_fma_f64 v[157:158], v[4:5], v[10:11], v[161:162]
	v_fma_f64 v[159:160], v[2:3], v[10:11], -v[12:13]
	ds_load_b128 v[2:5], v1 offset:1312
	scratch_load_b128 v[10:13], off, off offset:720
	v_add_f64_e32 v[151:152], v[151:152], v[42:43]
	v_add_f64_e32 v[153:154], v[153:154], v[44:45]
	ds_load_b128 v[42:45], v1 offset:1328
	s_wait_loadcnt_dscnt 0x801
	v_mul_f64_e32 v[161:162], v[2:3], v[20:21]
	v_mul_f64_e32 v[20:21], v[4:5], v[20:21]
	v_fma_f64 v[149:150], v[149:150], v[14:15], v[155:156]
	v_fma_f64 v[147:148], v[147:148], v[14:15], -v[16:17]
	scratch_load_b128 v[14:17], off, off offset:736
	s_wait_loadcnt_dscnt 0x800
	v_mul_f64_e32 v[155:156], v[42:43], v[24:25]
	v_mul_f64_e32 v[24:25], v[44:45], v[24:25]
	v_add_f64_e32 v[151:152], v[151:152], v[159:160]
	v_add_f64_e32 v[153:154], v[153:154], v[157:158]
	v_fma_f64 v[157:158], v[4:5], v[18:19], v[161:162]
	v_fma_f64 v[159:160], v[2:3], v[18:19], -v[20:21]
	ds_load_b128 v[2:5], v1 offset:1344
	ds_load_b128 v[18:21], v1 offset:1360
	v_fma_f64 v[44:45], v[44:45], v[22:23], v[155:156]
	v_fma_f64 v[22:23], v[42:43], v[22:23], -v[24:25]
	v_add_f64_e32 v[147:148], v[151:152], v[147:148]
	v_add_f64_e32 v[149:150], v[153:154], v[149:150]
	s_wait_loadcnt_dscnt 0x701
	v_mul_f64_e32 v[151:152], v[2:3], v[28:29]
	v_mul_f64_e32 v[28:29], v[4:5], v[28:29]
	s_delay_alu instid0(VALU_DEP_4) | instskip(NEXT) | instid1(VALU_DEP_4)
	v_add_f64_e32 v[24:25], v[147:148], v[159:160]
	v_add_f64_e32 v[42:43], v[149:150], v[157:158]
	s_wait_loadcnt_dscnt 0x600
	v_mul_f64_e32 v[147:148], v[18:19], v[32:33]
	v_mul_f64_e32 v[32:33], v[20:21], v[32:33]
	v_fma_f64 v[149:150], v[4:5], v[26:27], v[151:152]
	v_fma_f64 v[26:27], v[2:3], v[26:27], -v[28:29]
	v_add_f64_e32 v[28:29], v[24:25], v[22:23]
	v_add_f64_e32 v[42:43], v[42:43], v[44:45]
	ds_load_b128 v[2:5], v1 offset:1376
	ds_load_b128 v[22:25], v1 offset:1392
	v_fma_f64 v[20:21], v[20:21], v[30:31], v[147:148]
	v_fma_f64 v[18:19], v[18:19], v[30:31], -v[32:33]
	s_wait_loadcnt_dscnt 0x501
	v_mul_f64_e32 v[44:45], v[2:3], v[36:37]
	v_mul_f64_e32 v[36:37], v[4:5], v[36:37]
	v_add_f64_e32 v[26:27], v[28:29], v[26:27]
	v_add_f64_e32 v[28:29], v[42:43], v[149:150]
	s_wait_loadcnt_dscnt 0x400
	v_mul_f64_e32 v[30:31], v[22:23], v[40:41]
	v_mul_f64_e32 v[32:33], v[24:25], v[40:41]
	v_fma_f64 v[40:41], v[4:5], v[34:35], v[44:45]
	v_fma_f64 v[34:35], v[2:3], v[34:35], -v[36:37]
	v_add_f64_e32 v[26:27], v[26:27], v[18:19]
	v_add_f64_e32 v[28:29], v[28:29], v[20:21]
	ds_load_b128 v[2:5], v1 offset:1408
	ds_load_b128 v[18:21], v1 offset:1424
	v_fma_f64 v[24:25], v[24:25], v[38:39], v[30:31]
	v_fma_f64 v[22:23], v[22:23], v[38:39], -v[32:33]
	s_wait_loadcnt_dscnt 0x201
	v_mul_f64_e32 v[36:37], v[2:3], v[145:146]
	v_mul_f64_e32 v[42:43], v[4:5], v[145:146]
	s_wait_dscnt 0x0
	v_mul_f64_e32 v[30:31], v[18:19], v[8:9]
	v_mul_f64_e32 v[8:9], v[20:21], v[8:9]
	v_add_f64_e32 v[26:27], v[26:27], v[34:35]
	v_add_f64_e32 v[28:29], v[28:29], v[40:41]
	v_fma_f64 v[32:33], v[4:5], v[143:144], v[36:37]
	v_fma_f64 v[34:35], v[2:3], v[143:144], -v[42:43]
	v_fma_f64 v[20:21], v[20:21], v[6:7], v[30:31]
	v_fma_f64 v[6:7], v[18:19], v[6:7], -v[8:9]
	v_add_f64_e32 v[26:27], v[26:27], v[22:23]
	v_add_f64_e32 v[28:29], v[28:29], v[24:25]
	ds_load_b128 v[2:5], v1 offset:1440
	ds_load_b128 v[22:25], v1 offset:1456
	s_wait_loadcnt_dscnt 0x101
	v_mul_f64_e32 v[36:37], v[2:3], v[12:13]
	v_mul_f64_e32 v[12:13], v[4:5], v[12:13]
	v_add_f64_e32 v[8:9], v[26:27], v[34:35]
	v_add_f64_e32 v[18:19], v[28:29], v[32:33]
	s_wait_loadcnt_dscnt 0x0
	v_mul_f64_e32 v[26:27], v[22:23], v[16:17]
	v_mul_f64_e32 v[16:17], v[24:25], v[16:17]
	v_fma_f64 v[4:5], v[4:5], v[10:11], v[36:37]
	v_fma_f64 v[1:2], v[2:3], v[10:11], -v[12:13]
	v_add_f64_e32 v[6:7], v[8:9], v[6:7]
	v_add_f64_e32 v[8:9], v[18:19], v[20:21]
	v_fma_f64 v[10:11], v[24:25], v[14:15], v[26:27]
	v_fma_f64 v[12:13], v[22:23], v[14:15], -v[16:17]
	s_delay_alu instid0(VALU_DEP_4) | instskip(NEXT) | instid1(VALU_DEP_4)
	v_add_f64_e32 v[1:2], v[6:7], v[1:2]
	v_add_f64_e32 v[3:4], v[8:9], v[4:5]
	s_delay_alu instid0(VALU_DEP_2) | instskip(NEXT) | instid1(VALU_DEP_2)
	v_add_f64_e32 v[1:2], v[1:2], v[12:13]
	v_add_f64_e32 v[3:4], v[3:4], v[10:11]
	s_delay_alu instid0(VALU_DEP_2) | instskip(NEXT) | instid1(VALU_DEP_2)
	v_add_f64_e64 v[1:2], v[139:140], -v[1:2]
	v_add_f64_e64 v[3:4], v[141:142], -v[3:4]
	scratch_store_b128 off, v[1:4], off offset:192
	v_cmpx_lt_u32_e32 10, v0
	s_cbranch_execz .LBB45_269
; %bb.268:
	scratch_load_b128 v[1:4], off, s49
	v_mov_b32_e32 v5, 0
	s_delay_alu instid0(VALU_DEP_1)
	v_dual_mov_b32 v6, v5 :: v_dual_mov_b32 v7, v5
	v_mov_b32_e32 v8, v5
	scratch_store_b128 off, v[5:8], off offset:176
	s_wait_loadcnt 0x0
	ds_store_b128 v138, v[1:4]
.LBB45_269:
	s_wait_alu 0xfffe
	s_or_b32 exec_lo, exec_lo, s0
	s_wait_storecnt_dscnt 0x0
	s_barrier_signal -1
	s_barrier_wait -1
	global_inv scope:SCOPE_SE
	s_clause 0x7
	scratch_load_b128 v[2:5], off, off offset:192
	scratch_load_b128 v[6:9], off, off offset:208
	;; [unrolled: 1-line block ×8, first 2 shown]
	v_mov_b32_e32 v1, 0
	s_mov_b32 s0, exec_lo
	ds_load_b128 v[38:41], v1 offset:912
	s_clause 0x1
	scratch_load_b128 v[34:37], off, off offset:320
	scratch_load_b128 v[42:45], off, off offset:176
	ds_load_b128 v[139:142], v1 offset:928
	scratch_load_b128 v[143:146], off, off offset:336
	s_wait_loadcnt_dscnt 0xa01
	v_mul_f64_e32 v[147:148], v[40:41], v[4:5]
	v_mul_f64_e32 v[4:5], v[38:39], v[4:5]
	s_delay_alu instid0(VALU_DEP_2) | instskip(NEXT) | instid1(VALU_DEP_2)
	v_fma_f64 v[153:154], v[38:39], v[2:3], -v[147:148]
	v_fma_f64 v[155:156], v[40:41], v[2:3], v[4:5]
	ds_load_b128 v[2:5], v1 offset:944
	s_wait_loadcnt_dscnt 0x901
	v_mul_f64_e32 v[151:152], v[139:140], v[8:9]
	v_mul_f64_e32 v[8:9], v[141:142], v[8:9]
	scratch_load_b128 v[38:41], off, off offset:352
	ds_load_b128 v[147:150], v1 offset:960
	s_wait_loadcnt_dscnt 0x901
	v_mul_f64_e32 v[157:158], v[2:3], v[12:13]
	v_mul_f64_e32 v[12:13], v[4:5], v[12:13]
	v_fma_f64 v[141:142], v[141:142], v[6:7], v[151:152]
	v_fma_f64 v[139:140], v[139:140], v[6:7], -v[8:9]
	v_add_f64_e32 v[151:152], 0, v[153:154]
	v_add_f64_e32 v[153:154], 0, v[155:156]
	scratch_load_b128 v[6:9], off, off offset:368
	v_fma_f64 v[157:158], v[4:5], v[10:11], v[157:158]
	v_fma_f64 v[159:160], v[2:3], v[10:11], -v[12:13]
	ds_load_b128 v[2:5], v1 offset:976
	s_wait_loadcnt_dscnt 0x901
	v_mul_f64_e32 v[155:156], v[147:148], v[16:17]
	v_mul_f64_e32 v[16:17], v[149:150], v[16:17]
	scratch_load_b128 v[10:13], off, off offset:384
	v_add_f64_e32 v[151:152], v[151:152], v[139:140]
	v_add_f64_e32 v[153:154], v[153:154], v[141:142]
	s_wait_loadcnt_dscnt 0x900
	v_mul_f64_e32 v[161:162], v[2:3], v[20:21]
	v_mul_f64_e32 v[20:21], v[4:5], v[20:21]
	ds_load_b128 v[139:142], v1 offset:992
	v_fma_f64 v[149:150], v[149:150], v[14:15], v[155:156]
	v_fma_f64 v[147:148], v[147:148], v[14:15], -v[16:17]
	scratch_load_b128 v[14:17], off, off offset:400
	v_add_f64_e32 v[151:152], v[151:152], v[159:160]
	v_add_f64_e32 v[153:154], v[153:154], v[157:158]
	v_fma_f64 v[157:158], v[4:5], v[18:19], v[161:162]
	v_fma_f64 v[159:160], v[2:3], v[18:19], -v[20:21]
	ds_load_b128 v[2:5], v1 offset:1008
	s_wait_loadcnt_dscnt 0x901
	v_mul_f64_e32 v[155:156], v[139:140], v[24:25]
	v_mul_f64_e32 v[24:25], v[141:142], v[24:25]
	scratch_load_b128 v[18:21], off, off offset:416
	s_wait_loadcnt_dscnt 0x900
	v_mul_f64_e32 v[161:162], v[2:3], v[28:29]
	v_mul_f64_e32 v[28:29], v[4:5], v[28:29]
	v_add_f64_e32 v[151:152], v[151:152], v[147:148]
	v_add_f64_e32 v[153:154], v[153:154], v[149:150]
	ds_load_b128 v[147:150], v1 offset:1024
	v_fma_f64 v[141:142], v[141:142], v[22:23], v[155:156]
	v_fma_f64 v[139:140], v[139:140], v[22:23], -v[24:25]
	scratch_load_b128 v[22:25], off, off offset:432
	v_add_f64_e32 v[151:152], v[151:152], v[159:160]
	v_add_f64_e32 v[153:154], v[153:154], v[157:158]
	v_fma_f64 v[157:158], v[4:5], v[26:27], v[161:162]
	v_fma_f64 v[159:160], v[2:3], v[26:27], -v[28:29]
	ds_load_b128 v[2:5], v1 offset:1040
	s_wait_loadcnt_dscnt 0x901
	v_mul_f64_e32 v[155:156], v[147:148], v[32:33]
	v_mul_f64_e32 v[32:33], v[149:150], v[32:33]
	scratch_load_b128 v[26:29], off, off offset:448
	s_wait_loadcnt_dscnt 0x900
	v_mul_f64_e32 v[161:162], v[2:3], v[36:37]
	v_mul_f64_e32 v[36:37], v[4:5], v[36:37]
	v_add_f64_e32 v[151:152], v[151:152], v[139:140]
	v_add_f64_e32 v[153:154], v[153:154], v[141:142]
	ds_load_b128 v[139:142], v1 offset:1056
	v_fma_f64 v[149:150], v[149:150], v[30:31], v[155:156]
	v_fma_f64 v[147:148], v[147:148], v[30:31], -v[32:33]
	scratch_load_b128 v[30:33], off, off offset:464
	v_add_f64_e32 v[151:152], v[151:152], v[159:160]
	v_add_f64_e32 v[153:154], v[153:154], v[157:158]
	v_fma_f64 v[159:160], v[4:5], v[34:35], v[161:162]
	v_fma_f64 v[161:162], v[2:3], v[34:35], -v[36:37]
	ds_load_b128 v[2:5], v1 offset:1072
	s_wait_loadcnt_dscnt 0x801
	v_mul_f64_e32 v[155:156], v[139:140], v[145:146]
	v_mul_f64_e32 v[157:158], v[141:142], v[145:146]
	scratch_load_b128 v[34:37], off, off offset:480
	v_add_f64_e32 v[151:152], v[151:152], v[147:148]
	v_add_f64_e32 v[149:150], v[153:154], v[149:150]
	ds_load_b128 v[145:148], v1 offset:1088
	v_fma_f64 v[155:156], v[141:142], v[143:144], v[155:156]
	v_fma_f64 v[143:144], v[139:140], v[143:144], -v[157:158]
	scratch_load_b128 v[139:142], off, off offset:496
	s_wait_loadcnt_dscnt 0x901
	v_mul_f64_e32 v[153:154], v[2:3], v[40:41]
	v_mul_f64_e32 v[40:41], v[4:5], v[40:41]
	v_add_f64_e32 v[151:152], v[151:152], v[161:162]
	v_add_f64_e32 v[149:150], v[149:150], v[159:160]
	s_delay_alu instid0(VALU_DEP_4) | instskip(NEXT) | instid1(VALU_DEP_4)
	v_fma_f64 v[153:154], v[4:5], v[38:39], v[153:154]
	v_fma_f64 v[159:160], v[2:3], v[38:39], -v[40:41]
	ds_load_b128 v[2:5], v1 offset:1104
	s_wait_loadcnt_dscnt 0x801
	v_mul_f64_e32 v[157:158], v[145:146], v[8:9]
	v_mul_f64_e32 v[8:9], v[147:148], v[8:9]
	scratch_load_b128 v[38:41], off, off offset:512
	s_wait_loadcnt_dscnt 0x800
	v_mul_f64_e32 v[161:162], v[2:3], v[12:13]
	v_add_f64_e32 v[143:144], v[151:152], v[143:144]
	v_add_f64_e32 v[155:156], v[149:150], v[155:156]
	v_mul_f64_e32 v[12:13], v[4:5], v[12:13]
	ds_load_b128 v[149:152], v1 offset:1120
	v_fma_f64 v[147:148], v[147:148], v[6:7], v[157:158]
	v_fma_f64 v[145:146], v[145:146], v[6:7], -v[8:9]
	scratch_load_b128 v[6:9], off, off offset:528
	v_fma_f64 v[157:158], v[4:5], v[10:11], v[161:162]
	v_add_f64_e32 v[143:144], v[143:144], v[159:160]
	v_add_f64_e32 v[153:154], v[155:156], v[153:154]
	v_fma_f64 v[159:160], v[2:3], v[10:11], -v[12:13]
	ds_load_b128 v[2:5], v1 offset:1136
	s_wait_loadcnt_dscnt 0x801
	v_mul_f64_e32 v[155:156], v[149:150], v[16:17]
	v_mul_f64_e32 v[16:17], v[151:152], v[16:17]
	scratch_load_b128 v[10:13], off, off offset:544
	v_add_f64_e32 v[161:162], v[143:144], v[145:146]
	v_add_f64_e32 v[147:148], v[153:154], v[147:148]
	s_wait_loadcnt_dscnt 0x800
	v_mul_f64_e32 v[153:154], v[2:3], v[20:21]
	v_mul_f64_e32 v[20:21], v[4:5], v[20:21]
	v_fma_f64 v[151:152], v[151:152], v[14:15], v[155:156]
	v_fma_f64 v[149:150], v[149:150], v[14:15], -v[16:17]
	ds_load_b128 v[143:146], v1 offset:1152
	scratch_load_b128 v[14:17], off, off offset:560
	v_add_f64_e32 v[155:156], v[161:162], v[159:160]
	v_add_f64_e32 v[147:148], v[147:148], v[157:158]
	v_fma_f64 v[153:154], v[4:5], v[18:19], v[153:154]
	v_fma_f64 v[159:160], v[2:3], v[18:19], -v[20:21]
	ds_load_b128 v[2:5], v1 offset:1168
	s_wait_loadcnt_dscnt 0x801
	v_mul_f64_e32 v[157:158], v[143:144], v[24:25]
	v_mul_f64_e32 v[24:25], v[145:146], v[24:25]
	scratch_load_b128 v[18:21], off, off offset:576
	s_wait_loadcnt_dscnt 0x800
	v_mul_f64_e32 v[161:162], v[2:3], v[28:29]
	v_mul_f64_e32 v[28:29], v[4:5], v[28:29]
	v_add_f64_e32 v[155:156], v[155:156], v[149:150]
	v_add_f64_e32 v[151:152], v[147:148], v[151:152]
	ds_load_b128 v[147:150], v1 offset:1184
	v_fma_f64 v[145:146], v[145:146], v[22:23], v[157:158]
	v_fma_f64 v[143:144], v[143:144], v[22:23], -v[24:25]
	scratch_load_b128 v[22:25], off, off offset:592
	v_fma_f64 v[157:158], v[4:5], v[26:27], v[161:162]
	v_add_f64_e32 v[155:156], v[155:156], v[159:160]
	v_add_f64_e32 v[151:152], v[151:152], v[153:154]
	v_fma_f64 v[159:160], v[2:3], v[26:27], -v[28:29]
	ds_load_b128 v[2:5], v1 offset:1200
	s_wait_loadcnt_dscnt 0x801
	v_mul_f64_e32 v[153:154], v[147:148], v[32:33]
	v_mul_f64_e32 v[32:33], v[149:150], v[32:33]
	scratch_load_b128 v[26:29], off, off offset:608
	s_wait_loadcnt_dscnt 0x800
	v_mul_f64_e32 v[161:162], v[2:3], v[36:37]
	v_mul_f64_e32 v[36:37], v[4:5], v[36:37]
	v_add_f64_e32 v[155:156], v[155:156], v[143:144]
	v_add_f64_e32 v[151:152], v[151:152], v[145:146]
	ds_load_b128 v[143:146], v1 offset:1216
	v_fma_f64 v[149:150], v[149:150], v[30:31], v[153:154]
	v_fma_f64 v[147:148], v[147:148], v[30:31], -v[32:33]
	scratch_load_b128 v[30:33], off, off offset:624
	v_add_f64_e32 v[153:154], v[155:156], v[159:160]
	v_add_f64_e32 v[151:152], v[151:152], v[157:158]
	v_fma_f64 v[157:158], v[4:5], v[34:35], v[161:162]
	v_fma_f64 v[159:160], v[2:3], v[34:35], -v[36:37]
	ds_load_b128 v[2:5], v1 offset:1232
	s_wait_loadcnt_dscnt 0x801
	v_mul_f64_e32 v[155:156], v[143:144], v[141:142]
	v_mul_f64_e32 v[141:142], v[145:146], v[141:142]
	scratch_load_b128 v[34:37], off, off offset:640
	s_wait_loadcnt_dscnt 0x800
	v_mul_f64_e32 v[161:162], v[2:3], v[40:41]
	v_mul_f64_e32 v[40:41], v[4:5], v[40:41]
	v_add_f64_e32 v[153:154], v[153:154], v[147:148]
	v_add_f64_e32 v[151:152], v[151:152], v[149:150]
	ds_load_b128 v[147:150], v1 offset:1248
	v_fma_f64 v[145:146], v[145:146], v[139:140], v[155:156]
	v_fma_f64 v[143:144], v[143:144], v[139:140], -v[141:142]
	scratch_load_b128 v[139:142], off, off offset:656
	v_add_f64_e32 v[153:154], v[153:154], v[159:160]
	v_add_f64_e32 v[151:152], v[151:152], v[157:158]
	v_fma_f64 v[157:158], v[4:5], v[38:39], v[161:162]
	;; [unrolled: 18-line block ×4, first 2 shown]
	v_fma_f64 v[159:160], v[2:3], v[18:19], -v[20:21]
	ds_load_b128 v[2:5], v1 offset:1328
	s_wait_loadcnt_dscnt 0x801
	v_mul_f64_e32 v[155:156], v[147:148], v[24:25]
	v_mul_f64_e32 v[24:25], v[149:150], v[24:25]
	scratch_load_b128 v[18:21], off, off offset:736
	s_wait_loadcnt_dscnt 0x800
	v_mul_f64_e32 v[161:162], v[2:3], v[28:29]
	v_mul_f64_e32 v[28:29], v[4:5], v[28:29]
	v_add_f64_e32 v[153:154], v[153:154], v[143:144]
	v_add_f64_e32 v[151:152], v[151:152], v[145:146]
	ds_load_b128 v[143:146], v1 offset:1344
	v_fma_f64 v[149:150], v[149:150], v[22:23], v[155:156]
	v_fma_f64 v[22:23], v[147:148], v[22:23], -v[24:25]
	v_add_f64_e32 v[24:25], v[153:154], v[159:160]
	v_add_f64_e32 v[147:148], v[151:152], v[157:158]
	s_wait_loadcnt_dscnt 0x700
	v_mul_f64_e32 v[151:152], v[143:144], v[32:33]
	v_mul_f64_e32 v[32:33], v[145:146], v[32:33]
	v_fma_f64 v[153:154], v[4:5], v[26:27], v[161:162]
	v_fma_f64 v[26:27], v[2:3], v[26:27], -v[28:29]
	v_add_f64_e32 v[28:29], v[24:25], v[22:23]
	v_add_f64_e32 v[147:148], v[147:148], v[149:150]
	ds_load_b128 v[2:5], v1 offset:1360
	ds_load_b128 v[22:25], v1 offset:1376
	v_fma_f64 v[145:146], v[145:146], v[30:31], v[151:152]
	v_fma_f64 v[30:31], v[143:144], v[30:31], -v[32:33]
	s_wait_loadcnt_dscnt 0x601
	v_mul_f64_e32 v[149:150], v[2:3], v[36:37]
	v_mul_f64_e32 v[36:37], v[4:5], v[36:37]
	s_wait_loadcnt_dscnt 0x500
	v_mul_f64_e32 v[32:33], v[22:23], v[141:142]
	v_mul_f64_e32 v[141:142], v[24:25], v[141:142]
	v_add_f64_e32 v[26:27], v[28:29], v[26:27]
	v_add_f64_e32 v[28:29], v[147:148], v[153:154]
	v_fma_f64 v[143:144], v[4:5], v[34:35], v[149:150]
	v_fma_f64 v[34:35], v[2:3], v[34:35], -v[36:37]
	v_fma_f64 v[24:25], v[24:25], v[139:140], v[32:33]
	v_fma_f64 v[22:23], v[22:23], v[139:140], -v[141:142]
	v_add_f64_e32 v[30:31], v[26:27], v[30:31]
	v_add_f64_e32 v[36:37], v[28:29], v[145:146]
	ds_load_b128 v[2:5], v1 offset:1392
	ds_load_b128 v[26:29], v1 offset:1408
	s_wait_loadcnt_dscnt 0x401
	v_mul_f64_e32 v[145:146], v[2:3], v[40:41]
	v_mul_f64_e32 v[40:41], v[4:5], v[40:41]
	v_add_f64_e32 v[30:31], v[30:31], v[34:35]
	v_add_f64_e32 v[32:33], v[36:37], v[143:144]
	s_wait_loadcnt_dscnt 0x300
	v_mul_f64_e32 v[34:35], v[26:27], v[8:9]
	v_mul_f64_e32 v[8:9], v[28:29], v[8:9]
	v_fma_f64 v[36:37], v[4:5], v[38:39], v[145:146]
	v_fma_f64 v[38:39], v[2:3], v[38:39], -v[40:41]
	v_add_f64_e32 v[30:31], v[30:31], v[22:23]
	v_add_f64_e32 v[32:33], v[32:33], v[24:25]
	ds_load_b128 v[2:5], v1 offset:1424
	ds_load_b128 v[22:25], v1 offset:1440
	v_fma_f64 v[28:29], v[28:29], v[6:7], v[34:35]
	v_fma_f64 v[6:7], v[26:27], v[6:7], -v[8:9]
	s_wait_loadcnt_dscnt 0x201
	v_mul_f64_e32 v[40:41], v[2:3], v[12:13]
	v_mul_f64_e32 v[12:13], v[4:5], v[12:13]
	v_add_f64_e32 v[8:9], v[30:31], v[38:39]
	v_add_f64_e32 v[26:27], v[32:33], v[36:37]
	s_wait_loadcnt_dscnt 0x100
	v_mul_f64_e32 v[30:31], v[22:23], v[16:17]
	v_mul_f64_e32 v[16:17], v[24:25], v[16:17]
	v_fma_f64 v[32:33], v[4:5], v[10:11], v[40:41]
	v_fma_f64 v[10:11], v[2:3], v[10:11], -v[12:13]
	ds_load_b128 v[2:5], v1 offset:1456
	v_add_f64_e32 v[6:7], v[8:9], v[6:7]
	v_add_f64_e32 v[8:9], v[26:27], v[28:29]
	v_fma_f64 v[24:25], v[24:25], v[14:15], v[30:31]
	v_fma_f64 v[14:15], v[22:23], v[14:15], -v[16:17]
	s_wait_loadcnt_dscnt 0x0
	v_mul_f64_e32 v[12:13], v[2:3], v[20:21]
	v_mul_f64_e32 v[20:21], v[4:5], v[20:21]
	v_add_f64_e32 v[6:7], v[6:7], v[10:11]
	v_add_f64_e32 v[8:9], v[8:9], v[32:33]
	s_delay_alu instid0(VALU_DEP_4) | instskip(NEXT) | instid1(VALU_DEP_4)
	v_fma_f64 v[4:5], v[4:5], v[18:19], v[12:13]
	v_fma_f64 v[2:3], v[2:3], v[18:19], -v[20:21]
	s_delay_alu instid0(VALU_DEP_4) | instskip(NEXT) | instid1(VALU_DEP_4)
	v_add_f64_e32 v[6:7], v[6:7], v[14:15]
	v_add_f64_e32 v[8:9], v[8:9], v[24:25]
	s_delay_alu instid0(VALU_DEP_2) | instskip(NEXT) | instid1(VALU_DEP_2)
	v_add_f64_e32 v[2:3], v[6:7], v[2:3]
	v_add_f64_e32 v[4:5], v[8:9], v[4:5]
	s_delay_alu instid0(VALU_DEP_2) | instskip(NEXT) | instid1(VALU_DEP_2)
	v_add_f64_e64 v[2:3], v[42:43], -v[2:3]
	v_add_f64_e64 v[4:5], v[44:45], -v[4:5]
	scratch_store_b128 off, v[2:5], off offset:176
	v_cmpx_lt_u32_e32 9, v0
	s_cbranch_execz .LBB45_271
; %bb.270:
	scratch_load_b128 v[5:8], off, s50
	v_dual_mov_b32 v2, v1 :: v_dual_mov_b32 v3, v1
	v_mov_b32_e32 v4, v1
	scratch_store_b128 off, v[1:4], off offset:160
	s_wait_loadcnt 0x0
	ds_store_b128 v138, v[5:8]
.LBB45_271:
	s_wait_alu 0xfffe
	s_or_b32 exec_lo, exec_lo, s0
	s_wait_storecnt_dscnt 0x0
	s_barrier_signal -1
	s_barrier_wait -1
	global_inv scope:SCOPE_SE
	s_clause 0x8
	scratch_load_b128 v[2:5], off, off offset:176
	scratch_load_b128 v[6:9], off, off offset:192
	;; [unrolled: 1-line block ×9, first 2 shown]
	ds_load_b128 v[38:41], v1 offset:896
	ds_load_b128 v[42:45], v1 offset:912
	s_clause 0x1
	scratch_load_b128 v[139:142], off, off offset:160
	scratch_load_b128 v[143:146], off, off offset:320
	s_mov_b32 s0, exec_lo
	s_wait_loadcnt_dscnt 0xa01
	v_mul_f64_e32 v[147:148], v[40:41], v[4:5]
	v_mul_f64_e32 v[4:5], v[38:39], v[4:5]
	s_wait_loadcnt_dscnt 0x900
	v_mul_f64_e32 v[151:152], v[42:43], v[8:9]
	v_mul_f64_e32 v[8:9], v[44:45], v[8:9]
	s_delay_alu instid0(VALU_DEP_4) | instskip(NEXT) | instid1(VALU_DEP_4)
	v_fma_f64 v[153:154], v[38:39], v[2:3], -v[147:148]
	v_fma_f64 v[155:156], v[40:41], v[2:3], v[4:5]
	ds_load_b128 v[2:5], v1 offset:928
	ds_load_b128 v[147:150], v1 offset:944
	scratch_load_b128 v[38:41], off, off offset:336
	v_fma_f64 v[44:45], v[44:45], v[6:7], v[151:152]
	v_fma_f64 v[42:43], v[42:43], v[6:7], -v[8:9]
	scratch_load_b128 v[6:9], off, off offset:352
	s_wait_loadcnt_dscnt 0xa01
	v_mul_f64_e32 v[157:158], v[2:3], v[12:13]
	v_mul_f64_e32 v[12:13], v[4:5], v[12:13]
	v_add_f64_e32 v[151:152], 0, v[153:154]
	v_add_f64_e32 v[153:154], 0, v[155:156]
	s_wait_loadcnt_dscnt 0x900
	v_mul_f64_e32 v[155:156], v[147:148], v[16:17]
	v_mul_f64_e32 v[16:17], v[149:150], v[16:17]
	v_fma_f64 v[157:158], v[4:5], v[10:11], v[157:158]
	v_fma_f64 v[159:160], v[2:3], v[10:11], -v[12:13]
	ds_load_b128 v[2:5], v1 offset:960
	scratch_load_b128 v[10:13], off, off offset:368
	v_add_f64_e32 v[151:152], v[151:152], v[42:43]
	v_add_f64_e32 v[153:154], v[153:154], v[44:45]
	ds_load_b128 v[42:45], v1 offset:976
	v_fma_f64 v[149:150], v[149:150], v[14:15], v[155:156]
	v_fma_f64 v[147:148], v[147:148], v[14:15], -v[16:17]
	scratch_load_b128 v[14:17], off, off offset:384
	s_wait_loadcnt_dscnt 0xa01
	v_mul_f64_e32 v[161:162], v[2:3], v[20:21]
	v_mul_f64_e32 v[20:21], v[4:5], v[20:21]
	s_wait_loadcnt_dscnt 0x900
	v_mul_f64_e32 v[155:156], v[42:43], v[24:25]
	v_mul_f64_e32 v[24:25], v[44:45], v[24:25]
	v_add_f64_e32 v[151:152], v[151:152], v[159:160]
	v_add_f64_e32 v[153:154], v[153:154], v[157:158]
	v_fma_f64 v[157:158], v[4:5], v[18:19], v[161:162]
	v_fma_f64 v[159:160], v[2:3], v[18:19], -v[20:21]
	ds_load_b128 v[2:5], v1 offset:992
	scratch_load_b128 v[18:21], off, off offset:400
	v_fma_f64 v[44:45], v[44:45], v[22:23], v[155:156]
	v_fma_f64 v[42:43], v[42:43], v[22:23], -v[24:25]
	scratch_load_b128 v[22:25], off, off offset:416
	v_add_f64_e32 v[151:152], v[151:152], v[147:148]
	v_add_f64_e32 v[153:154], v[153:154], v[149:150]
	ds_load_b128 v[147:150], v1 offset:1008
	s_wait_loadcnt_dscnt 0xa01
	v_mul_f64_e32 v[161:162], v[2:3], v[28:29]
	v_mul_f64_e32 v[28:29], v[4:5], v[28:29]
	s_wait_loadcnt_dscnt 0x900
	v_mul_f64_e32 v[155:156], v[147:148], v[32:33]
	v_mul_f64_e32 v[32:33], v[149:150], v[32:33]
	v_add_f64_e32 v[151:152], v[151:152], v[159:160]
	v_add_f64_e32 v[153:154], v[153:154], v[157:158]
	v_fma_f64 v[157:158], v[4:5], v[26:27], v[161:162]
	v_fma_f64 v[159:160], v[2:3], v[26:27], -v[28:29]
	ds_load_b128 v[2:5], v1 offset:1024
	scratch_load_b128 v[26:29], off, off offset:432
	v_fma_f64 v[149:150], v[149:150], v[30:31], v[155:156]
	v_fma_f64 v[147:148], v[147:148], v[30:31], -v[32:33]
	scratch_load_b128 v[30:33], off, off offset:448
	v_add_f64_e32 v[151:152], v[151:152], v[42:43]
	v_add_f64_e32 v[153:154], v[153:154], v[44:45]
	ds_load_b128 v[42:45], v1 offset:1040
	s_wait_loadcnt_dscnt 0xa01
	v_mul_f64_e32 v[161:162], v[2:3], v[36:37]
	v_mul_f64_e32 v[36:37], v[4:5], v[36:37]
	s_wait_loadcnt_dscnt 0x800
	v_mul_f64_e32 v[155:156], v[42:43], v[145:146]
	v_add_f64_e32 v[151:152], v[151:152], v[159:160]
	v_add_f64_e32 v[153:154], v[153:154], v[157:158]
	v_mul_f64_e32 v[157:158], v[44:45], v[145:146]
	v_fma_f64 v[159:160], v[4:5], v[34:35], v[161:162]
	v_fma_f64 v[161:162], v[2:3], v[34:35], -v[36:37]
	ds_load_b128 v[2:5], v1 offset:1056
	scratch_load_b128 v[34:37], off, off offset:464
	v_fma_f64 v[44:45], v[44:45], v[143:144], v[155:156]
	v_add_f64_e32 v[151:152], v[151:152], v[147:148]
	v_add_f64_e32 v[149:150], v[153:154], v[149:150]
	ds_load_b128 v[145:148], v1 offset:1072
	v_fma_f64 v[143:144], v[42:43], v[143:144], -v[157:158]
	s_wait_loadcnt_dscnt 0x801
	v_mul_f64_e32 v[153:154], v[2:3], v[40:41]
	v_mul_f64_e32 v[163:164], v[4:5], v[40:41]
	scratch_load_b128 v[40:43], off, off offset:480
	s_wait_loadcnt_dscnt 0x800
	v_mul_f64_e32 v[157:158], v[145:146], v[8:9]
	v_mul_f64_e32 v[8:9], v[147:148], v[8:9]
	v_add_f64_e32 v[151:152], v[151:152], v[161:162]
	v_add_f64_e32 v[149:150], v[149:150], v[159:160]
	v_fma_f64 v[159:160], v[4:5], v[38:39], v[153:154]
	v_fma_f64 v[38:39], v[2:3], v[38:39], -v[163:164]
	ds_load_b128 v[2:5], v1 offset:1088
	ds_load_b128 v[153:156], v1 offset:1104
	v_fma_f64 v[147:148], v[147:148], v[6:7], v[157:158]
	v_fma_f64 v[145:146], v[145:146], v[6:7], -v[8:9]
	scratch_load_b128 v[6:9], off, off offset:512
	v_add_f64_e32 v[143:144], v[151:152], v[143:144]
	v_add_f64_e32 v[44:45], v[149:150], v[44:45]
	scratch_load_b128 v[149:152], off, off offset:496
	s_wait_loadcnt_dscnt 0x901
	v_mul_f64_e32 v[161:162], v[2:3], v[12:13]
	v_mul_f64_e32 v[12:13], v[4:5], v[12:13]
	s_wait_loadcnt_dscnt 0x800
	v_mul_f64_e32 v[157:158], v[153:154], v[16:17]
	v_mul_f64_e32 v[16:17], v[155:156], v[16:17]
	v_add_f64_e32 v[38:39], v[143:144], v[38:39]
	v_add_f64_e32 v[44:45], v[44:45], v[159:160]
	v_fma_f64 v[159:160], v[4:5], v[10:11], v[161:162]
	v_fma_f64 v[161:162], v[2:3], v[10:11], -v[12:13]
	ds_load_b128 v[2:5], v1 offset:1120
	scratch_load_b128 v[10:13], off, off offset:528
	v_fma_f64 v[155:156], v[155:156], v[14:15], v[157:158]
	v_fma_f64 v[153:154], v[153:154], v[14:15], -v[16:17]
	scratch_load_b128 v[14:17], off, off offset:544
	v_add_f64_e32 v[38:39], v[38:39], v[145:146]
	v_add_f64_e32 v[44:45], v[44:45], v[147:148]
	ds_load_b128 v[143:146], v1 offset:1136
	s_wait_loadcnt_dscnt 0x901
	v_mul_f64_e32 v[147:148], v[2:3], v[20:21]
	v_mul_f64_e32 v[20:21], v[4:5], v[20:21]
	s_wait_loadcnt_dscnt 0x800
	v_mul_f64_e32 v[157:158], v[143:144], v[24:25]
	v_mul_f64_e32 v[24:25], v[145:146], v[24:25]
	v_add_f64_e32 v[38:39], v[38:39], v[161:162]
	v_add_f64_e32 v[44:45], v[44:45], v[159:160]
	v_fma_f64 v[147:148], v[4:5], v[18:19], v[147:148]
	v_fma_f64 v[159:160], v[2:3], v[18:19], -v[20:21]
	ds_load_b128 v[2:5], v1 offset:1152
	scratch_load_b128 v[18:21], off, off offset:560
	v_fma_f64 v[145:146], v[145:146], v[22:23], v[157:158]
	v_fma_f64 v[143:144], v[143:144], v[22:23], -v[24:25]
	scratch_load_b128 v[22:25], off, off offset:576
	v_add_f64_e32 v[38:39], v[38:39], v[153:154]
	v_add_f64_e32 v[44:45], v[44:45], v[155:156]
	ds_load_b128 v[153:156], v1 offset:1168
	s_wait_loadcnt_dscnt 0x901
	v_mul_f64_e32 v[161:162], v[2:3], v[28:29]
	v_mul_f64_e32 v[28:29], v[4:5], v[28:29]
	v_add_f64_e32 v[38:39], v[38:39], v[159:160]
	v_add_f64_e32 v[44:45], v[44:45], v[147:148]
	s_wait_loadcnt_dscnt 0x800
	v_mul_f64_e32 v[147:148], v[153:154], v[32:33]
	v_mul_f64_e32 v[32:33], v[155:156], v[32:33]
	v_fma_f64 v[157:158], v[4:5], v[26:27], v[161:162]
	v_fma_f64 v[159:160], v[2:3], v[26:27], -v[28:29]
	ds_load_b128 v[2:5], v1 offset:1184
	scratch_load_b128 v[26:29], off, off offset:592
	v_add_f64_e32 v[38:39], v[38:39], v[143:144]
	v_add_f64_e32 v[44:45], v[44:45], v[145:146]
	ds_load_b128 v[143:146], v1 offset:1200
	s_wait_loadcnt_dscnt 0x801
	v_mul_f64_e32 v[161:162], v[2:3], v[36:37]
	v_mul_f64_e32 v[36:37], v[4:5], v[36:37]
	v_fma_f64 v[147:148], v[155:156], v[30:31], v[147:148]
	v_fma_f64 v[153:154], v[153:154], v[30:31], -v[32:33]
	scratch_load_b128 v[30:33], off, off offset:608
	s_wait_loadcnt_dscnt 0x800
	v_mul_f64_e32 v[155:156], v[143:144], v[42:43]
	v_add_f64_e32 v[38:39], v[38:39], v[159:160]
	v_add_f64_e32 v[44:45], v[44:45], v[157:158]
	v_mul_f64_e32 v[157:158], v[145:146], v[42:43]
	v_fma_f64 v[159:160], v[4:5], v[34:35], v[161:162]
	v_fma_f64 v[161:162], v[2:3], v[34:35], -v[36:37]
	ds_load_b128 v[2:5], v1 offset:1216
	scratch_load_b128 v[34:37], off, off offset:624
	v_fma_f64 v[145:146], v[145:146], v[40:41], v[155:156]
	v_add_f64_e32 v[38:39], v[38:39], v[153:154]
	v_add_f64_e32 v[147:148], v[44:45], v[147:148]
	ds_load_b128 v[42:45], v1 offset:1232
	v_fma_f64 v[143:144], v[143:144], v[40:41], -v[157:158]
	s_wait_loadcnt_dscnt 0x701
	v_mul_f64_e32 v[153:154], v[2:3], v[151:152]
	v_mul_f64_e32 v[151:152], v[4:5], v[151:152]
	s_wait_dscnt 0x0
	v_mul_f64_e32 v[157:158], v[42:43], v[8:9]
	v_mul_f64_e32 v[8:9], v[44:45], v[8:9]
	v_add_f64_e32 v[155:156], v[38:39], v[161:162]
	v_add_f64_e32 v[147:148], v[147:148], v[159:160]
	scratch_load_b128 v[38:41], off, off offset:640
	v_fma_f64 v[153:154], v[4:5], v[149:150], v[153:154]
	v_fma_f64 v[151:152], v[2:3], v[149:150], -v[151:152]
	ds_load_b128 v[2:5], v1 offset:1248
	v_fma_f64 v[44:45], v[44:45], v[6:7], v[157:158]
	v_fma_f64 v[42:43], v[42:43], v[6:7], -v[8:9]
	scratch_load_b128 v[6:9], off, off offset:672
	v_add_f64_e32 v[155:156], v[155:156], v[143:144]
	v_add_f64_e32 v[159:160], v[147:148], v[145:146]
	scratch_load_b128 v[143:146], off, off offset:656
	ds_load_b128 v[147:150], v1 offset:1264
	s_wait_loadcnt_dscnt 0x901
	v_mul_f64_e32 v[161:162], v[2:3], v[12:13]
	v_mul_f64_e32 v[12:13], v[4:5], v[12:13]
	v_add_f64_e32 v[151:152], v[155:156], v[151:152]
	v_add_f64_e32 v[153:154], v[159:160], v[153:154]
	s_wait_loadcnt_dscnt 0x800
	v_mul_f64_e32 v[155:156], v[147:148], v[16:17]
	v_mul_f64_e32 v[16:17], v[149:150], v[16:17]
	v_fma_f64 v[157:158], v[4:5], v[10:11], v[161:162]
	v_fma_f64 v[159:160], v[2:3], v[10:11], -v[12:13]
	ds_load_b128 v[2:5], v1 offset:1280
	scratch_load_b128 v[10:13], off, off offset:688
	v_add_f64_e32 v[151:152], v[151:152], v[42:43]
	v_add_f64_e32 v[153:154], v[153:154], v[44:45]
	ds_load_b128 v[42:45], v1 offset:1296
	s_wait_loadcnt_dscnt 0x801
	v_mul_f64_e32 v[161:162], v[2:3], v[20:21]
	v_mul_f64_e32 v[20:21], v[4:5], v[20:21]
	v_fma_f64 v[149:150], v[149:150], v[14:15], v[155:156]
	v_fma_f64 v[147:148], v[147:148], v[14:15], -v[16:17]
	scratch_load_b128 v[14:17], off, off offset:704
	s_wait_loadcnt_dscnt 0x800
	v_mul_f64_e32 v[155:156], v[42:43], v[24:25]
	v_mul_f64_e32 v[24:25], v[44:45], v[24:25]
	v_add_f64_e32 v[151:152], v[151:152], v[159:160]
	v_add_f64_e32 v[153:154], v[153:154], v[157:158]
	v_fma_f64 v[157:158], v[4:5], v[18:19], v[161:162]
	v_fma_f64 v[159:160], v[2:3], v[18:19], -v[20:21]
	ds_load_b128 v[2:5], v1 offset:1312
	scratch_load_b128 v[18:21], off, off offset:720
	v_fma_f64 v[44:45], v[44:45], v[22:23], v[155:156]
	v_fma_f64 v[42:43], v[42:43], v[22:23], -v[24:25]
	scratch_load_b128 v[22:25], off, off offset:736
	v_add_f64_e32 v[151:152], v[151:152], v[147:148]
	v_add_f64_e32 v[153:154], v[153:154], v[149:150]
	ds_load_b128 v[147:150], v1 offset:1328
	s_wait_loadcnt_dscnt 0x901
	v_mul_f64_e32 v[161:162], v[2:3], v[28:29]
	v_mul_f64_e32 v[28:29], v[4:5], v[28:29]
	s_wait_loadcnt_dscnt 0x800
	v_mul_f64_e32 v[155:156], v[147:148], v[32:33]
	v_mul_f64_e32 v[32:33], v[149:150], v[32:33]
	v_add_f64_e32 v[151:152], v[151:152], v[159:160]
	v_add_f64_e32 v[153:154], v[153:154], v[157:158]
	v_fma_f64 v[157:158], v[4:5], v[26:27], v[161:162]
	v_fma_f64 v[159:160], v[2:3], v[26:27], -v[28:29]
	ds_load_b128 v[2:5], v1 offset:1344
	ds_load_b128 v[26:29], v1 offset:1360
	v_fma_f64 v[149:150], v[149:150], v[30:31], v[155:156]
	v_fma_f64 v[30:31], v[147:148], v[30:31], -v[32:33]
	v_add_f64_e32 v[42:43], v[151:152], v[42:43]
	v_add_f64_e32 v[44:45], v[153:154], v[44:45]
	s_wait_loadcnt_dscnt 0x701
	v_mul_f64_e32 v[151:152], v[2:3], v[36:37]
	v_mul_f64_e32 v[36:37], v[4:5], v[36:37]
	s_delay_alu instid0(VALU_DEP_4) | instskip(NEXT) | instid1(VALU_DEP_4)
	v_add_f64_e32 v[32:33], v[42:43], v[159:160]
	v_add_f64_e32 v[42:43], v[44:45], v[157:158]
	s_delay_alu instid0(VALU_DEP_4) | instskip(NEXT) | instid1(VALU_DEP_4)
	v_fma_f64 v[147:148], v[4:5], v[34:35], v[151:152]
	v_fma_f64 v[34:35], v[2:3], v[34:35], -v[36:37]
	s_wait_loadcnt_dscnt 0x600
	v_mul_f64_e32 v[44:45], v[26:27], v[40:41]
	v_mul_f64_e32 v[40:41], v[28:29], v[40:41]
	v_add_f64_e32 v[36:37], v[32:33], v[30:31]
	v_add_f64_e32 v[42:43], v[42:43], v[149:150]
	ds_load_b128 v[2:5], v1 offset:1376
	ds_load_b128 v[30:33], v1 offset:1392
	v_fma_f64 v[28:29], v[28:29], v[38:39], v[44:45]
	v_fma_f64 v[26:27], v[26:27], v[38:39], -v[40:41]
	s_wait_loadcnt_dscnt 0x401
	v_mul_f64_e32 v[149:150], v[2:3], v[145:146]
	v_mul_f64_e32 v[145:146], v[4:5], v[145:146]
	s_wait_dscnt 0x0
	v_mul_f64_e32 v[38:39], v[30:31], v[8:9]
	v_mul_f64_e32 v[8:9], v[32:33], v[8:9]
	v_add_f64_e32 v[34:35], v[36:37], v[34:35]
	v_add_f64_e32 v[36:37], v[42:43], v[147:148]
	v_fma_f64 v[40:41], v[4:5], v[143:144], v[149:150]
	v_fma_f64 v[42:43], v[2:3], v[143:144], -v[145:146]
	v_fma_f64 v[32:33], v[32:33], v[6:7], v[38:39]
	v_fma_f64 v[6:7], v[30:31], v[6:7], -v[8:9]
	v_add_f64_e32 v[34:35], v[34:35], v[26:27]
	v_add_f64_e32 v[36:37], v[36:37], v[28:29]
	ds_load_b128 v[2:5], v1 offset:1408
	ds_load_b128 v[26:29], v1 offset:1424
	s_wait_loadcnt_dscnt 0x301
	v_mul_f64_e32 v[44:45], v[2:3], v[12:13]
	v_mul_f64_e32 v[12:13], v[4:5], v[12:13]
	v_add_f64_e32 v[8:9], v[34:35], v[42:43]
	v_add_f64_e32 v[30:31], v[36:37], v[40:41]
	s_wait_loadcnt_dscnt 0x200
	v_mul_f64_e32 v[34:35], v[26:27], v[16:17]
	v_mul_f64_e32 v[16:17], v[28:29], v[16:17]
	v_fma_f64 v[36:37], v[4:5], v[10:11], v[44:45]
	v_fma_f64 v[10:11], v[2:3], v[10:11], -v[12:13]
	v_add_f64_e32 v[12:13], v[8:9], v[6:7]
	v_add_f64_e32 v[30:31], v[30:31], v[32:33]
	ds_load_b128 v[2:5], v1 offset:1440
	ds_load_b128 v[6:9], v1 offset:1456
	v_fma_f64 v[28:29], v[28:29], v[14:15], v[34:35]
	v_fma_f64 v[14:15], v[26:27], v[14:15], -v[16:17]
	s_wait_loadcnt_dscnt 0x101
	v_mul_f64_e32 v[32:33], v[2:3], v[20:21]
	v_mul_f64_e32 v[20:21], v[4:5], v[20:21]
	s_wait_loadcnt_dscnt 0x0
	v_mul_f64_e32 v[16:17], v[6:7], v[24:25]
	v_mul_f64_e32 v[24:25], v[8:9], v[24:25]
	v_add_f64_e32 v[10:11], v[12:13], v[10:11]
	v_add_f64_e32 v[12:13], v[30:31], v[36:37]
	v_fma_f64 v[4:5], v[4:5], v[18:19], v[32:33]
	v_fma_f64 v[1:2], v[2:3], v[18:19], -v[20:21]
	v_fma_f64 v[8:9], v[8:9], v[22:23], v[16:17]
	v_fma_f64 v[6:7], v[6:7], v[22:23], -v[24:25]
	v_add_f64_e32 v[10:11], v[10:11], v[14:15]
	v_add_f64_e32 v[12:13], v[12:13], v[28:29]
	s_delay_alu instid0(VALU_DEP_2) | instskip(NEXT) | instid1(VALU_DEP_2)
	v_add_f64_e32 v[1:2], v[10:11], v[1:2]
	v_add_f64_e32 v[3:4], v[12:13], v[4:5]
	s_delay_alu instid0(VALU_DEP_2) | instskip(NEXT) | instid1(VALU_DEP_2)
	;; [unrolled: 3-line block ×3, first 2 shown]
	v_add_f64_e64 v[1:2], v[139:140], -v[1:2]
	v_add_f64_e64 v[3:4], v[141:142], -v[3:4]
	scratch_store_b128 off, v[1:4], off offset:160
	v_cmpx_lt_u32_e32 8, v0
	s_cbranch_execz .LBB45_273
; %bb.272:
	scratch_load_b128 v[1:4], off, s51
	v_mov_b32_e32 v5, 0
	s_delay_alu instid0(VALU_DEP_1)
	v_dual_mov_b32 v6, v5 :: v_dual_mov_b32 v7, v5
	v_mov_b32_e32 v8, v5
	scratch_store_b128 off, v[5:8], off offset:144
	s_wait_loadcnt 0x0
	ds_store_b128 v138, v[1:4]
.LBB45_273:
	s_wait_alu 0xfffe
	s_or_b32 exec_lo, exec_lo, s0
	s_wait_storecnt_dscnt 0x0
	s_barrier_signal -1
	s_barrier_wait -1
	global_inv scope:SCOPE_SE
	s_clause 0x7
	scratch_load_b128 v[2:5], off, off offset:160
	scratch_load_b128 v[6:9], off, off offset:176
	;; [unrolled: 1-line block ×8, first 2 shown]
	v_mov_b32_e32 v1, 0
	s_mov_b32 s0, exec_lo
	ds_load_b128 v[38:41], v1 offset:880
	s_clause 0x1
	scratch_load_b128 v[34:37], off, off offset:288
	scratch_load_b128 v[42:45], off, off offset:144
	ds_load_b128 v[139:142], v1 offset:896
	scratch_load_b128 v[143:146], off, off offset:304
	s_wait_loadcnt_dscnt 0xa01
	v_mul_f64_e32 v[147:148], v[40:41], v[4:5]
	v_mul_f64_e32 v[4:5], v[38:39], v[4:5]
	s_delay_alu instid0(VALU_DEP_2) | instskip(NEXT) | instid1(VALU_DEP_2)
	v_fma_f64 v[153:154], v[38:39], v[2:3], -v[147:148]
	v_fma_f64 v[155:156], v[40:41], v[2:3], v[4:5]
	ds_load_b128 v[2:5], v1 offset:912
	s_wait_loadcnt_dscnt 0x901
	v_mul_f64_e32 v[151:152], v[139:140], v[8:9]
	v_mul_f64_e32 v[8:9], v[141:142], v[8:9]
	scratch_load_b128 v[38:41], off, off offset:320
	ds_load_b128 v[147:150], v1 offset:928
	s_wait_loadcnt_dscnt 0x901
	v_mul_f64_e32 v[157:158], v[2:3], v[12:13]
	v_mul_f64_e32 v[12:13], v[4:5], v[12:13]
	v_fma_f64 v[141:142], v[141:142], v[6:7], v[151:152]
	v_fma_f64 v[139:140], v[139:140], v[6:7], -v[8:9]
	v_add_f64_e32 v[151:152], 0, v[153:154]
	v_add_f64_e32 v[153:154], 0, v[155:156]
	scratch_load_b128 v[6:9], off, off offset:336
	v_fma_f64 v[157:158], v[4:5], v[10:11], v[157:158]
	v_fma_f64 v[159:160], v[2:3], v[10:11], -v[12:13]
	ds_load_b128 v[2:5], v1 offset:944
	s_wait_loadcnt_dscnt 0x901
	v_mul_f64_e32 v[155:156], v[147:148], v[16:17]
	v_mul_f64_e32 v[16:17], v[149:150], v[16:17]
	scratch_load_b128 v[10:13], off, off offset:352
	v_add_f64_e32 v[151:152], v[151:152], v[139:140]
	v_add_f64_e32 v[153:154], v[153:154], v[141:142]
	s_wait_loadcnt_dscnt 0x900
	v_mul_f64_e32 v[161:162], v[2:3], v[20:21]
	v_mul_f64_e32 v[20:21], v[4:5], v[20:21]
	ds_load_b128 v[139:142], v1 offset:960
	v_fma_f64 v[149:150], v[149:150], v[14:15], v[155:156]
	v_fma_f64 v[147:148], v[147:148], v[14:15], -v[16:17]
	scratch_load_b128 v[14:17], off, off offset:368
	v_add_f64_e32 v[151:152], v[151:152], v[159:160]
	v_add_f64_e32 v[153:154], v[153:154], v[157:158]
	v_fma_f64 v[157:158], v[4:5], v[18:19], v[161:162]
	v_fma_f64 v[159:160], v[2:3], v[18:19], -v[20:21]
	ds_load_b128 v[2:5], v1 offset:976
	s_wait_loadcnt_dscnt 0x901
	v_mul_f64_e32 v[155:156], v[139:140], v[24:25]
	v_mul_f64_e32 v[24:25], v[141:142], v[24:25]
	scratch_load_b128 v[18:21], off, off offset:384
	s_wait_loadcnt_dscnt 0x900
	v_mul_f64_e32 v[161:162], v[2:3], v[28:29]
	v_mul_f64_e32 v[28:29], v[4:5], v[28:29]
	v_add_f64_e32 v[151:152], v[151:152], v[147:148]
	v_add_f64_e32 v[153:154], v[153:154], v[149:150]
	ds_load_b128 v[147:150], v1 offset:992
	v_fma_f64 v[141:142], v[141:142], v[22:23], v[155:156]
	v_fma_f64 v[139:140], v[139:140], v[22:23], -v[24:25]
	scratch_load_b128 v[22:25], off, off offset:400
	v_add_f64_e32 v[151:152], v[151:152], v[159:160]
	v_add_f64_e32 v[153:154], v[153:154], v[157:158]
	v_fma_f64 v[157:158], v[4:5], v[26:27], v[161:162]
	v_fma_f64 v[159:160], v[2:3], v[26:27], -v[28:29]
	ds_load_b128 v[2:5], v1 offset:1008
	s_wait_loadcnt_dscnt 0x901
	v_mul_f64_e32 v[155:156], v[147:148], v[32:33]
	v_mul_f64_e32 v[32:33], v[149:150], v[32:33]
	scratch_load_b128 v[26:29], off, off offset:416
	s_wait_loadcnt_dscnt 0x900
	v_mul_f64_e32 v[161:162], v[2:3], v[36:37]
	v_mul_f64_e32 v[36:37], v[4:5], v[36:37]
	v_add_f64_e32 v[151:152], v[151:152], v[139:140]
	v_add_f64_e32 v[153:154], v[153:154], v[141:142]
	ds_load_b128 v[139:142], v1 offset:1024
	v_fma_f64 v[149:150], v[149:150], v[30:31], v[155:156]
	v_fma_f64 v[147:148], v[147:148], v[30:31], -v[32:33]
	scratch_load_b128 v[30:33], off, off offset:432
	v_add_f64_e32 v[151:152], v[151:152], v[159:160]
	v_add_f64_e32 v[153:154], v[153:154], v[157:158]
	v_fma_f64 v[159:160], v[4:5], v[34:35], v[161:162]
	v_fma_f64 v[161:162], v[2:3], v[34:35], -v[36:37]
	ds_load_b128 v[2:5], v1 offset:1040
	s_wait_loadcnt_dscnt 0x801
	v_mul_f64_e32 v[155:156], v[139:140], v[145:146]
	v_mul_f64_e32 v[157:158], v[141:142], v[145:146]
	scratch_load_b128 v[34:37], off, off offset:448
	v_add_f64_e32 v[151:152], v[151:152], v[147:148]
	v_add_f64_e32 v[149:150], v[153:154], v[149:150]
	ds_load_b128 v[145:148], v1 offset:1056
	v_fma_f64 v[155:156], v[141:142], v[143:144], v[155:156]
	v_fma_f64 v[143:144], v[139:140], v[143:144], -v[157:158]
	scratch_load_b128 v[139:142], off, off offset:464
	s_wait_loadcnt_dscnt 0x901
	v_mul_f64_e32 v[153:154], v[2:3], v[40:41]
	v_mul_f64_e32 v[40:41], v[4:5], v[40:41]
	v_add_f64_e32 v[151:152], v[151:152], v[161:162]
	v_add_f64_e32 v[149:150], v[149:150], v[159:160]
	s_delay_alu instid0(VALU_DEP_4) | instskip(NEXT) | instid1(VALU_DEP_4)
	v_fma_f64 v[153:154], v[4:5], v[38:39], v[153:154]
	v_fma_f64 v[159:160], v[2:3], v[38:39], -v[40:41]
	ds_load_b128 v[2:5], v1 offset:1072
	s_wait_loadcnt_dscnt 0x801
	v_mul_f64_e32 v[157:158], v[145:146], v[8:9]
	v_mul_f64_e32 v[8:9], v[147:148], v[8:9]
	scratch_load_b128 v[38:41], off, off offset:480
	s_wait_loadcnt_dscnt 0x800
	v_mul_f64_e32 v[161:162], v[2:3], v[12:13]
	v_add_f64_e32 v[143:144], v[151:152], v[143:144]
	v_add_f64_e32 v[155:156], v[149:150], v[155:156]
	v_mul_f64_e32 v[12:13], v[4:5], v[12:13]
	ds_load_b128 v[149:152], v1 offset:1088
	v_fma_f64 v[147:148], v[147:148], v[6:7], v[157:158]
	v_fma_f64 v[145:146], v[145:146], v[6:7], -v[8:9]
	scratch_load_b128 v[6:9], off, off offset:496
	v_fma_f64 v[157:158], v[4:5], v[10:11], v[161:162]
	v_add_f64_e32 v[143:144], v[143:144], v[159:160]
	v_add_f64_e32 v[153:154], v[155:156], v[153:154]
	v_fma_f64 v[159:160], v[2:3], v[10:11], -v[12:13]
	ds_load_b128 v[2:5], v1 offset:1104
	s_wait_loadcnt_dscnt 0x801
	v_mul_f64_e32 v[155:156], v[149:150], v[16:17]
	v_mul_f64_e32 v[16:17], v[151:152], v[16:17]
	scratch_load_b128 v[10:13], off, off offset:512
	v_add_f64_e32 v[161:162], v[143:144], v[145:146]
	v_add_f64_e32 v[147:148], v[153:154], v[147:148]
	s_wait_loadcnt_dscnt 0x800
	v_mul_f64_e32 v[153:154], v[2:3], v[20:21]
	v_mul_f64_e32 v[20:21], v[4:5], v[20:21]
	v_fma_f64 v[151:152], v[151:152], v[14:15], v[155:156]
	v_fma_f64 v[149:150], v[149:150], v[14:15], -v[16:17]
	ds_load_b128 v[143:146], v1 offset:1120
	scratch_load_b128 v[14:17], off, off offset:528
	v_add_f64_e32 v[155:156], v[161:162], v[159:160]
	v_add_f64_e32 v[147:148], v[147:148], v[157:158]
	v_fma_f64 v[153:154], v[4:5], v[18:19], v[153:154]
	v_fma_f64 v[159:160], v[2:3], v[18:19], -v[20:21]
	ds_load_b128 v[2:5], v1 offset:1136
	s_wait_loadcnt_dscnt 0x801
	v_mul_f64_e32 v[157:158], v[143:144], v[24:25]
	v_mul_f64_e32 v[24:25], v[145:146], v[24:25]
	scratch_load_b128 v[18:21], off, off offset:544
	s_wait_loadcnt_dscnt 0x800
	v_mul_f64_e32 v[161:162], v[2:3], v[28:29]
	v_mul_f64_e32 v[28:29], v[4:5], v[28:29]
	v_add_f64_e32 v[155:156], v[155:156], v[149:150]
	v_add_f64_e32 v[151:152], v[147:148], v[151:152]
	ds_load_b128 v[147:150], v1 offset:1152
	v_fma_f64 v[145:146], v[145:146], v[22:23], v[157:158]
	v_fma_f64 v[143:144], v[143:144], v[22:23], -v[24:25]
	scratch_load_b128 v[22:25], off, off offset:560
	v_fma_f64 v[157:158], v[4:5], v[26:27], v[161:162]
	v_add_f64_e32 v[155:156], v[155:156], v[159:160]
	v_add_f64_e32 v[151:152], v[151:152], v[153:154]
	v_fma_f64 v[159:160], v[2:3], v[26:27], -v[28:29]
	ds_load_b128 v[2:5], v1 offset:1168
	s_wait_loadcnt_dscnt 0x801
	v_mul_f64_e32 v[153:154], v[147:148], v[32:33]
	v_mul_f64_e32 v[32:33], v[149:150], v[32:33]
	scratch_load_b128 v[26:29], off, off offset:576
	s_wait_loadcnt_dscnt 0x800
	v_mul_f64_e32 v[161:162], v[2:3], v[36:37]
	v_mul_f64_e32 v[36:37], v[4:5], v[36:37]
	v_add_f64_e32 v[155:156], v[155:156], v[143:144]
	v_add_f64_e32 v[151:152], v[151:152], v[145:146]
	ds_load_b128 v[143:146], v1 offset:1184
	v_fma_f64 v[149:150], v[149:150], v[30:31], v[153:154]
	v_fma_f64 v[147:148], v[147:148], v[30:31], -v[32:33]
	scratch_load_b128 v[30:33], off, off offset:592
	v_add_f64_e32 v[153:154], v[155:156], v[159:160]
	v_add_f64_e32 v[151:152], v[151:152], v[157:158]
	v_fma_f64 v[157:158], v[4:5], v[34:35], v[161:162]
	v_fma_f64 v[159:160], v[2:3], v[34:35], -v[36:37]
	ds_load_b128 v[2:5], v1 offset:1200
	s_wait_loadcnt_dscnt 0x801
	v_mul_f64_e32 v[155:156], v[143:144], v[141:142]
	v_mul_f64_e32 v[141:142], v[145:146], v[141:142]
	scratch_load_b128 v[34:37], off, off offset:608
	s_wait_loadcnt_dscnt 0x800
	v_mul_f64_e32 v[161:162], v[2:3], v[40:41]
	v_mul_f64_e32 v[40:41], v[4:5], v[40:41]
	v_add_f64_e32 v[153:154], v[153:154], v[147:148]
	v_add_f64_e32 v[151:152], v[151:152], v[149:150]
	ds_load_b128 v[147:150], v1 offset:1216
	v_fma_f64 v[145:146], v[145:146], v[139:140], v[155:156]
	v_fma_f64 v[143:144], v[143:144], v[139:140], -v[141:142]
	scratch_load_b128 v[139:142], off, off offset:624
	v_add_f64_e32 v[153:154], v[153:154], v[159:160]
	v_add_f64_e32 v[151:152], v[151:152], v[157:158]
	v_fma_f64 v[157:158], v[4:5], v[38:39], v[161:162]
	;; [unrolled: 18-line block ×5, first 2 shown]
	v_fma_f64 v[159:160], v[2:3], v[26:27], -v[28:29]
	ds_load_b128 v[2:5], v1 offset:1328
	s_wait_loadcnt_dscnt 0x801
	v_mul_f64_e32 v[155:156], v[143:144], v[32:33]
	v_mul_f64_e32 v[32:33], v[145:146], v[32:33]
	scratch_load_b128 v[26:29], off, off offset:736
	s_wait_loadcnt_dscnt 0x800
	v_mul_f64_e32 v[161:162], v[2:3], v[36:37]
	v_mul_f64_e32 v[36:37], v[4:5], v[36:37]
	v_add_f64_e32 v[153:154], v[153:154], v[147:148]
	v_add_f64_e32 v[151:152], v[151:152], v[149:150]
	ds_load_b128 v[147:150], v1 offset:1344
	v_fma_f64 v[145:146], v[145:146], v[30:31], v[155:156]
	v_fma_f64 v[30:31], v[143:144], v[30:31], -v[32:33]
	v_add_f64_e32 v[32:33], v[153:154], v[159:160]
	v_add_f64_e32 v[143:144], v[151:152], v[157:158]
	s_wait_loadcnt_dscnt 0x700
	v_mul_f64_e32 v[151:152], v[147:148], v[141:142]
	v_mul_f64_e32 v[141:142], v[149:150], v[141:142]
	v_fma_f64 v[153:154], v[4:5], v[34:35], v[161:162]
	v_fma_f64 v[34:35], v[2:3], v[34:35], -v[36:37]
	v_add_f64_e32 v[36:37], v[32:33], v[30:31]
	v_add_f64_e32 v[143:144], v[143:144], v[145:146]
	ds_load_b128 v[2:5], v1 offset:1360
	ds_load_b128 v[30:33], v1 offset:1376
	v_fma_f64 v[149:150], v[149:150], v[139:140], v[151:152]
	v_fma_f64 v[139:140], v[147:148], v[139:140], -v[141:142]
	s_wait_loadcnt_dscnt 0x601
	v_mul_f64_e32 v[145:146], v[2:3], v[40:41]
	v_mul_f64_e32 v[40:41], v[4:5], v[40:41]
	s_wait_loadcnt_dscnt 0x500
	v_mul_f64_e32 v[141:142], v[30:31], v[8:9]
	v_mul_f64_e32 v[8:9], v[32:33], v[8:9]
	v_add_f64_e32 v[34:35], v[36:37], v[34:35]
	v_add_f64_e32 v[36:37], v[143:144], v[153:154]
	v_fma_f64 v[143:144], v[4:5], v[38:39], v[145:146]
	v_fma_f64 v[38:39], v[2:3], v[38:39], -v[40:41]
	v_fma_f64 v[32:33], v[32:33], v[6:7], v[141:142]
	v_fma_f64 v[6:7], v[30:31], v[6:7], -v[8:9]
	v_add_f64_e32 v[40:41], v[34:35], v[139:140]
	v_add_f64_e32 v[139:140], v[36:37], v[149:150]
	ds_load_b128 v[2:5], v1 offset:1392
	ds_load_b128 v[34:37], v1 offset:1408
	s_wait_loadcnt_dscnt 0x401
	v_mul_f64_e32 v[145:146], v[2:3], v[12:13]
	v_mul_f64_e32 v[12:13], v[4:5], v[12:13]
	v_add_f64_e32 v[8:9], v[40:41], v[38:39]
	v_add_f64_e32 v[30:31], v[139:140], v[143:144]
	s_wait_loadcnt_dscnt 0x300
	v_mul_f64_e32 v[38:39], v[34:35], v[16:17]
	v_mul_f64_e32 v[16:17], v[36:37], v[16:17]
	v_fma_f64 v[40:41], v[4:5], v[10:11], v[145:146]
	v_fma_f64 v[10:11], v[2:3], v[10:11], -v[12:13]
	v_add_f64_e32 v[12:13], v[8:9], v[6:7]
	v_add_f64_e32 v[30:31], v[30:31], v[32:33]
	ds_load_b128 v[2:5], v1 offset:1424
	ds_load_b128 v[6:9], v1 offset:1440
	v_fma_f64 v[36:37], v[36:37], v[14:15], v[38:39]
	v_fma_f64 v[14:15], v[34:35], v[14:15], -v[16:17]
	s_wait_loadcnt_dscnt 0x201
	v_mul_f64_e32 v[32:33], v[2:3], v[20:21]
	v_mul_f64_e32 v[20:21], v[4:5], v[20:21]
	s_wait_loadcnt_dscnt 0x100
	v_mul_f64_e32 v[16:17], v[6:7], v[24:25]
	v_mul_f64_e32 v[24:25], v[8:9], v[24:25]
	v_add_f64_e32 v[10:11], v[12:13], v[10:11]
	v_add_f64_e32 v[12:13], v[30:31], v[40:41]
	v_fma_f64 v[30:31], v[4:5], v[18:19], v[32:33]
	v_fma_f64 v[18:19], v[2:3], v[18:19], -v[20:21]
	ds_load_b128 v[2:5], v1 offset:1456
	v_fma_f64 v[8:9], v[8:9], v[22:23], v[16:17]
	v_fma_f64 v[6:7], v[6:7], v[22:23], -v[24:25]
	v_add_f64_e32 v[10:11], v[10:11], v[14:15]
	v_add_f64_e32 v[12:13], v[12:13], v[36:37]
	s_wait_loadcnt_dscnt 0x0
	v_mul_f64_e32 v[14:15], v[2:3], v[28:29]
	v_mul_f64_e32 v[20:21], v[4:5], v[28:29]
	s_delay_alu instid0(VALU_DEP_4) | instskip(NEXT) | instid1(VALU_DEP_4)
	v_add_f64_e32 v[10:11], v[10:11], v[18:19]
	v_add_f64_e32 v[12:13], v[12:13], v[30:31]
	s_delay_alu instid0(VALU_DEP_4) | instskip(NEXT) | instid1(VALU_DEP_4)
	v_fma_f64 v[4:5], v[4:5], v[26:27], v[14:15]
	v_fma_f64 v[2:3], v[2:3], v[26:27], -v[20:21]
	s_delay_alu instid0(VALU_DEP_4) | instskip(NEXT) | instid1(VALU_DEP_4)
	v_add_f64_e32 v[6:7], v[10:11], v[6:7]
	v_add_f64_e32 v[8:9], v[12:13], v[8:9]
	s_delay_alu instid0(VALU_DEP_2) | instskip(NEXT) | instid1(VALU_DEP_2)
	v_add_f64_e32 v[2:3], v[6:7], v[2:3]
	v_add_f64_e32 v[4:5], v[8:9], v[4:5]
	s_delay_alu instid0(VALU_DEP_2) | instskip(NEXT) | instid1(VALU_DEP_2)
	v_add_f64_e64 v[2:3], v[42:43], -v[2:3]
	v_add_f64_e64 v[4:5], v[44:45], -v[4:5]
	scratch_store_b128 off, v[2:5], off offset:144
	v_cmpx_lt_u32_e32 7, v0
	s_cbranch_execz .LBB45_275
; %bb.274:
	scratch_load_b128 v[5:8], off, s52
	v_dual_mov_b32 v2, v1 :: v_dual_mov_b32 v3, v1
	v_mov_b32_e32 v4, v1
	scratch_store_b128 off, v[1:4], off offset:128
	s_wait_loadcnt 0x0
	ds_store_b128 v138, v[5:8]
.LBB45_275:
	s_wait_alu 0xfffe
	s_or_b32 exec_lo, exec_lo, s0
	s_wait_storecnt_dscnt 0x0
	s_barrier_signal -1
	s_barrier_wait -1
	global_inv scope:SCOPE_SE
	s_clause 0x8
	scratch_load_b128 v[2:5], off, off offset:144
	scratch_load_b128 v[6:9], off, off offset:160
	;; [unrolled: 1-line block ×9, first 2 shown]
	ds_load_b128 v[42:45], v1 offset:864
	ds_load_b128 v[38:41], v1 offset:880
	s_clause 0x1
	scratch_load_b128 v[139:142], off, off offset:128
	scratch_load_b128 v[143:146], off, off offset:288
	s_mov_b32 s0, exec_lo
	s_wait_loadcnt_dscnt 0xa01
	v_mul_f64_e32 v[147:148], v[44:45], v[4:5]
	v_mul_f64_e32 v[4:5], v[42:43], v[4:5]
	s_wait_loadcnt_dscnt 0x900
	v_mul_f64_e32 v[151:152], v[38:39], v[8:9]
	v_mul_f64_e32 v[8:9], v[40:41], v[8:9]
	s_delay_alu instid0(VALU_DEP_4) | instskip(NEXT) | instid1(VALU_DEP_4)
	v_fma_f64 v[153:154], v[42:43], v[2:3], -v[147:148]
	v_fma_f64 v[155:156], v[44:45], v[2:3], v[4:5]
	ds_load_b128 v[2:5], v1 offset:896
	ds_load_b128 v[147:150], v1 offset:912
	scratch_load_b128 v[42:45], off, off offset:304
	v_fma_f64 v[40:41], v[40:41], v[6:7], v[151:152]
	v_fma_f64 v[38:39], v[38:39], v[6:7], -v[8:9]
	scratch_load_b128 v[6:9], off, off offset:320
	s_wait_loadcnt_dscnt 0xa01
	v_mul_f64_e32 v[157:158], v[2:3], v[12:13]
	v_mul_f64_e32 v[12:13], v[4:5], v[12:13]
	v_add_f64_e32 v[151:152], 0, v[153:154]
	v_add_f64_e32 v[153:154], 0, v[155:156]
	s_wait_loadcnt_dscnt 0x900
	v_mul_f64_e32 v[155:156], v[147:148], v[16:17]
	v_mul_f64_e32 v[16:17], v[149:150], v[16:17]
	v_fma_f64 v[157:158], v[4:5], v[10:11], v[157:158]
	v_fma_f64 v[159:160], v[2:3], v[10:11], -v[12:13]
	ds_load_b128 v[2:5], v1 offset:928
	scratch_load_b128 v[10:13], off, off offset:336
	v_add_f64_e32 v[151:152], v[151:152], v[38:39]
	v_add_f64_e32 v[153:154], v[153:154], v[40:41]
	ds_load_b128 v[38:41], v1 offset:944
	v_fma_f64 v[149:150], v[149:150], v[14:15], v[155:156]
	v_fma_f64 v[147:148], v[147:148], v[14:15], -v[16:17]
	scratch_load_b128 v[14:17], off, off offset:352
	s_wait_loadcnt_dscnt 0xa01
	v_mul_f64_e32 v[161:162], v[2:3], v[20:21]
	v_mul_f64_e32 v[20:21], v[4:5], v[20:21]
	s_wait_loadcnt_dscnt 0x900
	v_mul_f64_e32 v[155:156], v[38:39], v[24:25]
	v_mul_f64_e32 v[24:25], v[40:41], v[24:25]
	v_add_f64_e32 v[151:152], v[151:152], v[159:160]
	v_add_f64_e32 v[153:154], v[153:154], v[157:158]
	v_fma_f64 v[157:158], v[4:5], v[18:19], v[161:162]
	v_fma_f64 v[159:160], v[2:3], v[18:19], -v[20:21]
	ds_load_b128 v[2:5], v1 offset:960
	scratch_load_b128 v[18:21], off, off offset:368
	v_fma_f64 v[40:41], v[40:41], v[22:23], v[155:156]
	v_fma_f64 v[38:39], v[38:39], v[22:23], -v[24:25]
	scratch_load_b128 v[22:25], off, off offset:384
	v_add_f64_e32 v[151:152], v[151:152], v[147:148]
	v_add_f64_e32 v[153:154], v[153:154], v[149:150]
	ds_load_b128 v[147:150], v1 offset:976
	s_wait_loadcnt_dscnt 0xa01
	v_mul_f64_e32 v[161:162], v[2:3], v[28:29]
	v_mul_f64_e32 v[28:29], v[4:5], v[28:29]
	s_wait_loadcnt_dscnt 0x900
	v_mul_f64_e32 v[155:156], v[147:148], v[32:33]
	v_mul_f64_e32 v[32:33], v[149:150], v[32:33]
	v_add_f64_e32 v[151:152], v[151:152], v[159:160]
	v_add_f64_e32 v[153:154], v[153:154], v[157:158]
	v_fma_f64 v[157:158], v[4:5], v[26:27], v[161:162]
	v_fma_f64 v[159:160], v[2:3], v[26:27], -v[28:29]
	ds_load_b128 v[2:5], v1 offset:992
	scratch_load_b128 v[26:29], off, off offset:400
	v_fma_f64 v[149:150], v[149:150], v[30:31], v[155:156]
	v_fma_f64 v[147:148], v[147:148], v[30:31], -v[32:33]
	scratch_load_b128 v[30:33], off, off offset:416
	v_add_f64_e32 v[151:152], v[151:152], v[38:39]
	v_add_f64_e32 v[153:154], v[153:154], v[40:41]
	ds_load_b128 v[38:41], v1 offset:1008
	s_wait_loadcnt_dscnt 0xa01
	v_mul_f64_e32 v[161:162], v[2:3], v[36:37]
	v_mul_f64_e32 v[36:37], v[4:5], v[36:37]
	s_wait_loadcnt_dscnt 0x800
	v_mul_f64_e32 v[155:156], v[38:39], v[145:146]
	v_add_f64_e32 v[151:152], v[151:152], v[159:160]
	v_add_f64_e32 v[153:154], v[153:154], v[157:158]
	v_mul_f64_e32 v[157:158], v[40:41], v[145:146]
	v_fma_f64 v[159:160], v[4:5], v[34:35], v[161:162]
	v_fma_f64 v[161:162], v[2:3], v[34:35], -v[36:37]
	ds_load_b128 v[2:5], v1 offset:1024
	scratch_load_b128 v[34:37], off, off offset:432
	v_fma_f64 v[155:156], v[40:41], v[143:144], v[155:156]
	v_add_f64_e32 v[151:152], v[151:152], v[147:148]
	v_add_f64_e32 v[149:150], v[153:154], v[149:150]
	ds_load_b128 v[145:148], v1 offset:1040
	v_fma_f64 v[143:144], v[38:39], v[143:144], -v[157:158]
	scratch_load_b128 v[38:41], off, off offset:448
	s_wait_loadcnt_dscnt 0x901
	v_mul_f64_e32 v[153:154], v[2:3], v[44:45]
	v_mul_f64_e32 v[44:45], v[4:5], v[44:45]
	s_wait_loadcnt_dscnt 0x800
	v_mul_f64_e32 v[157:158], v[145:146], v[8:9]
	v_mul_f64_e32 v[8:9], v[147:148], v[8:9]
	v_add_f64_e32 v[151:152], v[151:152], v[161:162]
	v_add_f64_e32 v[149:150], v[149:150], v[159:160]
	v_fma_f64 v[153:154], v[4:5], v[42:43], v[153:154]
	v_fma_f64 v[159:160], v[2:3], v[42:43], -v[44:45]
	ds_load_b128 v[2:5], v1 offset:1056
	scratch_load_b128 v[42:45], off, off offset:464
	v_fma_f64 v[147:148], v[147:148], v[6:7], v[157:158]
	v_fma_f64 v[145:146], v[145:146], v[6:7], -v[8:9]
	scratch_load_b128 v[6:9], off, off offset:480
	v_add_f64_e32 v[143:144], v[151:152], v[143:144]
	v_add_f64_e32 v[155:156], v[149:150], v[155:156]
	ds_load_b128 v[149:152], v1 offset:1072
	s_wait_loadcnt_dscnt 0x901
	v_mul_f64_e32 v[161:162], v[2:3], v[12:13]
	v_mul_f64_e32 v[12:13], v[4:5], v[12:13]
	v_add_f64_e32 v[143:144], v[143:144], v[159:160]
	v_add_f64_e32 v[153:154], v[155:156], v[153:154]
	s_wait_loadcnt_dscnt 0x800
	v_mul_f64_e32 v[155:156], v[149:150], v[16:17]
	v_mul_f64_e32 v[16:17], v[151:152], v[16:17]
	v_fma_f64 v[157:158], v[4:5], v[10:11], v[161:162]
	v_fma_f64 v[159:160], v[2:3], v[10:11], -v[12:13]
	ds_load_b128 v[2:5], v1 offset:1088
	scratch_load_b128 v[10:13], off, off offset:496
	v_add_f64_e32 v[161:162], v[143:144], v[145:146]
	v_add_f64_e32 v[147:148], v[153:154], v[147:148]
	ds_load_b128 v[143:146], v1 offset:1104
	s_wait_loadcnt_dscnt 0x801
	v_mul_f64_e32 v[153:154], v[2:3], v[20:21]
	v_mul_f64_e32 v[20:21], v[4:5], v[20:21]
	v_fma_f64 v[151:152], v[151:152], v[14:15], v[155:156]
	v_fma_f64 v[149:150], v[149:150], v[14:15], -v[16:17]
	scratch_load_b128 v[14:17], off, off offset:512
	v_add_f64_e32 v[155:156], v[161:162], v[159:160]
	v_add_f64_e32 v[147:148], v[147:148], v[157:158]
	s_wait_loadcnt_dscnt 0x800
	v_mul_f64_e32 v[157:158], v[143:144], v[24:25]
	v_mul_f64_e32 v[24:25], v[145:146], v[24:25]
	v_fma_f64 v[153:154], v[4:5], v[18:19], v[153:154]
	v_fma_f64 v[159:160], v[2:3], v[18:19], -v[20:21]
	ds_load_b128 v[2:5], v1 offset:1120
	scratch_load_b128 v[18:21], off, off offset:528
	v_add_f64_e32 v[155:156], v[155:156], v[149:150]
	v_add_f64_e32 v[151:152], v[147:148], v[151:152]
	ds_load_b128 v[147:150], v1 offset:1136
	s_wait_loadcnt_dscnt 0x801
	v_mul_f64_e32 v[161:162], v[2:3], v[28:29]
	v_mul_f64_e32 v[28:29], v[4:5], v[28:29]
	v_fma_f64 v[145:146], v[145:146], v[22:23], v[157:158]
	v_fma_f64 v[143:144], v[143:144], v[22:23], -v[24:25]
	scratch_load_b128 v[22:25], off, off offset:544
	v_add_f64_e32 v[155:156], v[155:156], v[159:160]
	v_add_f64_e32 v[151:152], v[151:152], v[153:154]
	s_wait_loadcnt_dscnt 0x800
	v_mul_f64_e32 v[153:154], v[147:148], v[32:33]
	v_mul_f64_e32 v[32:33], v[149:150], v[32:33]
	v_fma_f64 v[157:158], v[4:5], v[26:27], v[161:162]
	v_fma_f64 v[159:160], v[2:3], v[26:27], -v[28:29]
	ds_load_b128 v[2:5], v1 offset:1152
	scratch_load_b128 v[26:29], off, off offset:560
	v_add_f64_e32 v[155:156], v[155:156], v[143:144]
	v_add_f64_e32 v[151:152], v[151:152], v[145:146]
	ds_load_b128 v[143:146], v1 offset:1168
	s_wait_loadcnt_dscnt 0x801
	v_mul_f64_e32 v[161:162], v[2:3], v[36:37]
	v_mul_f64_e32 v[36:37], v[4:5], v[36:37]
	v_fma_f64 v[149:150], v[149:150], v[30:31], v[153:154]
	v_fma_f64 v[147:148], v[147:148], v[30:31], -v[32:33]
	scratch_load_b128 v[30:33], off, off offset:576
	v_add_f64_e32 v[153:154], v[155:156], v[159:160]
	v_add_f64_e32 v[151:152], v[151:152], v[157:158]
	s_wait_loadcnt_dscnt 0x800
	v_mul_f64_e32 v[155:156], v[143:144], v[40:41]
	v_mul_f64_e32 v[40:41], v[145:146], v[40:41]
	v_fma_f64 v[157:158], v[4:5], v[34:35], v[161:162]
	v_fma_f64 v[159:160], v[2:3], v[34:35], -v[36:37]
	ds_load_b128 v[2:5], v1 offset:1184
	scratch_load_b128 v[34:37], off, off offset:592
	v_add_f64_e32 v[153:154], v[153:154], v[147:148]
	v_add_f64_e32 v[151:152], v[151:152], v[149:150]
	ds_load_b128 v[147:150], v1 offset:1200
	s_wait_loadcnt_dscnt 0x801
	v_mul_f64_e32 v[161:162], v[2:3], v[44:45]
	v_mul_f64_e32 v[44:45], v[4:5], v[44:45]
	v_fma_f64 v[145:146], v[145:146], v[38:39], v[155:156]
	v_fma_f64 v[143:144], v[143:144], v[38:39], -v[40:41]
	scratch_load_b128 v[38:41], off, off offset:608
	s_wait_loadcnt_dscnt 0x800
	v_mul_f64_e32 v[155:156], v[147:148], v[8:9]
	v_mul_f64_e32 v[8:9], v[149:150], v[8:9]
	v_add_f64_e32 v[153:154], v[153:154], v[159:160]
	v_add_f64_e32 v[151:152], v[151:152], v[157:158]
	v_fma_f64 v[157:158], v[4:5], v[42:43], v[161:162]
	v_fma_f64 v[159:160], v[2:3], v[42:43], -v[44:45]
	ds_load_b128 v[2:5], v1 offset:1216
	scratch_load_b128 v[42:45], off, off offset:624
	v_fma_f64 v[149:150], v[149:150], v[6:7], v[155:156]
	v_fma_f64 v[147:148], v[147:148], v[6:7], -v[8:9]
	scratch_load_b128 v[6:9], off, off offset:640
	v_add_f64_e32 v[153:154], v[153:154], v[143:144]
	v_add_f64_e32 v[151:152], v[151:152], v[145:146]
	ds_load_b128 v[143:146], v1 offset:1232
	s_wait_loadcnt_dscnt 0x901
	v_mul_f64_e32 v[161:162], v[2:3], v[12:13]
	v_mul_f64_e32 v[12:13], v[4:5], v[12:13]
	s_wait_loadcnt_dscnt 0x800
	v_mul_f64_e32 v[155:156], v[143:144], v[16:17]
	v_mul_f64_e32 v[16:17], v[145:146], v[16:17]
	v_add_f64_e32 v[153:154], v[153:154], v[159:160]
	v_add_f64_e32 v[151:152], v[151:152], v[157:158]
	v_fma_f64 v[157:158], v[4:5], v[10:11], v[161:162]
	v_fma_f64 v[159:160], v[2:3], v[10:11], -v[12:13]
	ds_load_b128 v[2:5], v1 offset:1248
	scratch_load_b128 v[10:13], off, off offset:656
	v_fma_f64 v[145:146], v[145:146], v[14:15], v[155:156]
	v_fma_f64 v[143:144], v[143:144], v[14:15], -v[16:17]
	scratch_load_b128 v[14:17], off, off offset:672
	v_add_f64_e32 v[153:154], v[153:154], v[147:148]
	v_add_f64_e32 v[151:152], v[151:152], v[149:150]
	ds_load_b128 v[147:150], v1 offset:1264
	s_wait_loadcnt_dscnt 0x901
	v_mul_f64_e32 v[161:162], v[2:3], v[20:21]
	v_mul_f64_e32 v[20:21], v[4:5], v[20:21]
	;; [unrolled: 18-line block ×4, first 2 shown]
	s_wait_loadcnt_dscnt 0x800
	v_mul_f64_e32 v[155:156], v[147:148], v[40:41]
	v_mul_f64_e32 v[40:41], v[149:150], v[40:41]
	v_add_f64_e32 v[153:154], v[153:154], v[159:160]
	v_add_f64_e32 v[151:152], v[151:152], v[157:158]
	v_fma_f64 v[157:158], v[4:5], v[34:35], v[161:162]
	v_fma_f64 v[159:160], v[2:3], v[34:35], -v[36:37]
	ds_load_b128 v[2:5], v1 offset:1344
	ds_load_b128 v[34:37], v1 offset:1360
	v_fma_f64 v[149:150], v[149:150], v[38:39], v[155:156]
	v_fma_f64 v[38:39], v[147:148], v[38:39], -v[40:41]
	v_add_f64_e32 v[143:144], v[153:154], v[143:144]
	v_add_f64_e32 v[145:146], v[151:152], v[145:146]
	s_wait_loadcnt_dscnt 0x701
	v_mul_f64_e32 v[151:152], v[2:3], v[44:45]
	v_mul_f64_e32 v[44:45], v[4:5], v[44:45]
	s_delay_alu instid0(VALU_DEP_4) | instskip(NEXT) | instid1(VALU_DEP_4)
	v_add_f64_e32 v[40:41], v[143:144], v[159:160]
	v_add_f64_e32 v[143:144], v[145:146], v[157:158]
	s_wait_loadcnt_dscnt 0x600
	v_mul_f64_e32 v[145:146], v[34:35], v[8:9]
	v_mul_f64_e32 v[8:9], v[36:37], v[8:9]
	v_fma_f64 v[147:148], v[4:5], v[42:43], v[151:152]
	v_fma_f64 v[42:43], v[2:3], v[42:43], -v[44:45]
	v_add_f64_e32 v[44:45], v[40:41], v[38:39]
	v_add_f64_e32 v[143:144], v[143:144], v[149:150]
	ds_load_b128 v[2:5], v1 offset:1376
	ds_load_b128 v[38:41], v1 offset:1392
	v_fma_f64 v[36:37], v[36:37], v[6:7], v[145:146]
	v_fma_f64 v[6:7], v[34:35], v[6:7], -v[8:9]
	s_wait_loadcnt_dscnt 0x501
	v_mul_f64_e32 v[149:150], v[2:3], v[12:13]
	v_mul_f64_e32 v[12:13], v[4:5], v[12:13]
	v_add_f64_e32 v[8:9], v[44:45], v[42:43]
	v_add_f64_e32 v[34:35], v[143:144], v[147:148]
	s_wait_loadcnt_dscnt 0x400
	v_mul_f64_e32 v[42:43], v[38:39], v[16:17]
	v_mul_f64_e32 v[16:17], v[40:41], v[16:17]
	v_fma_f64 v[44:45], v[4:5], v[10:11], v[149:150]
	v_fma_f64 v[10:11], v[2:3], v[10:11], -v[12:13]
	v_add_f64_e32 v[12:13], v[8:9], v[6:7]
	v_add_f64_e32 v[34:35], v[34:35], v[36:37]
	ds_load_b128 v[2:5], v1 offset:1408
	ds_load_b128 v[6:9], v1 offset:1424
	v_fma_f64 v[40:41], v[40:41], v[14:15], v[42:43]
	v_fma_f64 v[14:15], v[38:39], v[14:15], -v[16:17]
	s_wait_loadcnt_dscnt 0x301
	v_mul_f64_e32 v[36:37], v[2:3], v[20:21]
	v_mul_f64_e32 v[20:21], v[4:5], v[20:21]
	s_wait_loadcnt_dscnt 0x200
	v_mul_f64_e32 v[16:17], v[6:7], v[24:25]
	v_mul_f64_e32 v[24:25], v[8:9], v[24:25]
	v_add_f64_e32 v[10:11], v[12:13], v[10:11]
	v_add_f64_e32 v[12:13], v[34:35], v[44:45]
	v_fma_f64 v[34:35], v[4:5], v[18:19], v[36:37]
	v_fma_f64 v[18:19], v[2:3], v[18:19], -v[20:21]
	v_fma_f64 v[8:9], v[8:9], v[22:23], v[16:17]
	v_fma_f64 v[6:7], v[6:7], v[22:23], -v[24:25]
	v_add_f64_e32 v[14:15], v[10:11], v[14:15]
	v_add_f64_e32 v[20:21], v[12:13], v[40:41]
	ds_load_b128 v[2:5], v1 offset:1440
	ds_load_b128 v[10:13], v1 offset:1456
	s_wait_loadcnt_dscnt 0x101
	v_mul_f64_e32 v[36:37], v[2:3], v[28:29]
	v_mul_f64_e32 v[28:29], v[4:5], v[28:29]
	v_add_f64_e32 v[14:15], v[14:15], v[18:19]
	v_add_f64_e32 v[16:17], v[20:21], v[34:35]
	s_wait_loadcnt_dscnt 0x0
	v_mul_f64_e32 v[18:19], v[10:11], v[32:33]
	v_mul_f64_e32 v[20:21], v[12:13], v[32:33]
	v_fma_f64 v[4:5], v[4:5], v[26:27], v[36:37]
	v_fma_f64 v[1:2], v[2:3], v[26:27], -v[28:29]
	v_add_f64_e32 v[6:7], v[14:15], v[6:7]
	v_add_f64_e32 v[8:9], v[16:17], v[8:9]
	v_fma_f64 v[12:13], v[12:13], v[30:31], v[18:19]
	v_fma_f64 v[10:11], v[10:11], v[30:31], -v[20:21]
	s_delay_alu instid0(VALU_DEP_4) | instskip(NEXT) | instid1(VALU_DEP_4)
	v_add_f64_e32 v[1:2], v[6:7], v[1:2]
	v_add_f64_e32 v[3:4], v[8:9], v[4:5]
	s_delay_alu instid0(VALU_DEP_2) | instskip(NEXT) | instid1(VALU_DEP_2)
	v_add_f64_e32 v[1:2], v[1:2], v[10:11]
	v_add_f64_e32 v[3:4], v[3:4], v[12:13]
	s_delay_alu instid0(VALU_DEP_2) | instskip(NEXT) | instid1(VALU_DEP_2)
	v_add_f64_e64 v[1:2], v[139:140], -v[1:2]
	v_add_f64_e64 v[3:4], v[141:142], -v[3:4]
	scratch_store_b128 off, v[1:4], off offset:128
	v_cmpx_lt_u32_e32 6, v0
	s_cbranch_execz .LBB45_277
; %bb.276:
	scratch_load_b128 v[1:4], off, s53
	v_mov_b32_e32 v5, 0
	s_delay_alu instid0(VALU_DEP_1)
	v_dual_mov_b32 v6, v5 :: v_dual_mov_b32 v7, v5
	v_mov_b32_e32 v8, v5
	scratch_store_b128 off, v[5:8], off offset:112
	s_wait_loadcnt 0x0
	ds_store_b128 v138, v[1:4]
.LBB45_277:
	s_wait_alu 0xfffe
	s_or_b32 exec_lo, exec_lo, s0
	s_wait_storecnt_dscnt 0x0
	s_barrier_signal -1
	s_barrier_wait -1
	global_inv scope:SCOPE_SE
	s_clause 0x7
	scratch_load_b128 v[2:5], off, off offset:128
	scratch_load_b128 v[6:9], off, off offset:144
	;; [unrolled: 1-line block ×8, first 2 shown]
	v_mov_b32_e32 v1, 0
	s_mov_b32 s0, exec_lo
	ds_load_b128 v[38:41], v1 offset:848
	s_clause 0x1
	scratch_load_b128 v[34:37], off, off offset:256
	scratch_load_b128 v[42:45], off, off offset:112
	ds_load_b128 v[139:142], v1 offset:864
	scratch_load_b128 v[143:146], off, off offset:272
	s_wait_loadcnt_dscnt 0xa01
	v_mul_f64_e32 v[147:148], v[40:41], v[4:5]
	v_mul_f64_e32 v[4:5], v[38:39], v[4:5]
	s_delay_alu instid0(VALU_DEP_2) | instskip(NEXT) | instid1(VALU_DEP_2)
	v_fma_f64 v[153:154], v[38:39], v[2:3], -v[147:148]
	v_fma_f64 v[155:156], v[40:41], v[2:3], v[4:5]
	ds_load_b128 v[2:5], v1 offset:880
	s_wait_loadcnt_dscnt 0x901
	v_mul_f64_e32 v[151:152], v[139:140], v[8:9]
	v_mul_f64_e32 v[8:9], v[141:142], v[8:9]
	scratch_load_b128 v[38:41], off, off offset:288
	ds_load_b128 v[147:150], v1 offset:896
	s_wait_loadcnt_dscnt 0x901
	v_mul_f64_e32 v[157:158], v[2:3], v[12:13]
	v_mul_f64_e32 v[12:13], v[4:5], v[12:13]
	v_fma_f64 v[141:142], v[141:142], v[6:7], v[151:152]
	v_fma_f64 v[139:140], v[139:140], v[6:7], -v[8:9]
	v_add_f64_e32 v[151:152], 0, v[153:154]
	v_add_f64_e32 v[153:154], 0, v[155:156]
	scratch_load_b128 v[6:9], off, off offset:304
	v_fma_f64 v[157:158], v[4:5], v[10:11], v[157:158]
	v_fma_f64 v[159:160], v[2:3], v[10:11], -v[12:13]
	ds_load_b128 v[2:5], v1 offset:912
	s_wait_loadcnt_dscnt 0x901
	v_mul_f64_e32 v[155:156], v[147:148], v[16:17]
	v_mul_f64_e32 v[16:17], v[149:150], v[16:17]
	scratch_load_b128 v[10:13], off, off offset:320
	v_add_f64_e32 v[151:152], v[151:152], v[139:140]
	v_add_f64_e32 v[153:154], v[153:154], v[141:142]
	s_wait_loadcnt_dscnt 0x900
	v_mul_f64_e32 v[161:162], v[2:3], v[20:21]
	v_mul_f64_e32 v[20:21], v[4:5], v[20:21]
	ds_load_b128 v[139:142], v1 offset:928
	v_fma_f64 v[149:150], v[149:150], v[14:15], v[155:156]
	v_fma_f64 v[147:148], v[147:148], v[14:15], -v[16:17]
	scratch_load_b128 v[14:17], off, off offset:336
	v_add_f64_e32 v[151:152], v[151:152], v[159:160]
	v_add_f64_e32 v[153:154], v[153:154], v[157:158]
	v_fma_f64 v[157:158], v[4:5], v[18:19], v[161:162]
	v_fma_f64 v[159:160], v[2:3], v[18:19], -v[20:21]
	ds_load_b128 v[2:5], v1 offset:944
	s_wait_loadcnt_dscnt 0x901
	v_mul_f64_e32 v[155:156], v[139:140], v[24:25]
	v_mul_f64_e32 v[24:25], v[141:142], v[24:25]
	scratch_load_b128 v[18:21], off, off offset:352
	s_wait_loadcnt_dscnt 0x900
	v_mul_f64_e32 v[161:162], v[2:3], v[28:29]
	v_mul_f64_e32 v[28:29], v[4:5], v[28:29]
	v_add_f64_e32 v[151:152], v[151:152], v[147:148]
	v_add_f64_e32 v[153:154], v[153:154], v[149:150]
	ds_load_b128 v[147:150], v1 offset:960
	v_fma_f64 v[141:142], v[141:142], v[22:23], v[155:156]
	v_fma_f64 v[139:140], v[139:140], v[22:23], -v[24:25]
	scratch_load_b128 v[22:25], off, off offset:368
	v_add_f64_e32 v[151:152], v[151:152], v[159:160]
	v_add_f64_e32 v[153:154], v[153:154], v[157:158]
	v_fma_f64 v[157:158], v[4:5], v[26:27], v[161:162]
	v_fma_f64 v[159:160], v[2:3], v[26:27], -v[28:29]
	ds_load_b128 v[2:5], v1 offset:976
	s_wait_loadcnt_dscnt 0x901
	v_mul_f64_e32 v[155:156], v[147:148], v[32:33]
	v_mul_f64_e32 v[32:33], v[149:150], v[32:33]
	scratch_load_b128 v[26:29], off, off offset:384
	s_wait_loadcnt_dscnt 0x900
	v_mul_f64_e32 v[161:162], v[2:3], v[36:37]
	v_mul_f64_e32 v[36:37], v[4:5], v[36:37]
	v_add_f64_e32 v[151:152], v[151:152], v[139:140]
	v_add_f64_e32 v[153:154], v[153:154], v[141:142]
	ds_load_b128 v[139:142], v1 offset:992
	v_fma_f64 v[149:150], v[149:150], v[30:31], v[155:156]
	v_fma_f64 v[147:148], v[147:148], v[30:31], -v[32:33]
	scratch_load_b128 v[30:33], off, off offset:400
	v_add_f64_e32 v[151:152], v[151:152], v[159:160]
	v_add_f64_e32 v[153:154], v[153:154], v[157:158]
	v_fma_f64 v[159:160], v[4:5], v[34:35], v[161:162]
	v_fma_f64 v[161:162], v[2:3], v[34:35], -v[36:37]
	ds_load_b128 v[2:5], v1 offset:1008
	s_wait_loadcnt_dscnt 0x801
	v_mul_f64_e32 v[155:156], v[139:140], v[145:146]
	v_mul_f64_e32 v[157:158], v[141:142], v[145:146]
	scratch_load_b128 v[34:37], off, off offset:416
	v_add_f64_e32 v[151:152], v[151:152], v[147:148]
	v_add_f64_e32 v[149:150], v[153:154], v[149:150]
	ds_load_b128 v[145:148], v1 offset:1024
	v_fma_f64 v[155:156], v[141:142], v[143:144], v[155:156]
	v_fma_f64 v[143:144], v[139:140], v[143:144], -v[157:158]
	scratch_load_b128 v[139:142], off, off offset:432
	s_wait_loadcnt_dscnt 0x901
	v_mul_f64_e32 v[153:154], v[2:3], v[40:41]
	v_mul_f64_e32 v[40:41], v[4:5], v[40:41]
	v_add_f64_e32 v[151:152], v[151:152], v[161:162]
	v_add_f64_e32 v[149:150], v[149:150], v[159:160]
	s_delay_alu instid0(VALU_DEP_4) | instskip(NEXT) | instid1(VALU_DEP_4)
	v_fma_f64 v[153:154], v[4:5], v[38:39], v[153:154]
	v_fma_f64 v[159:160], v[2:3], v[38:39], -v[40:41]
	ds_load_b128 v[2:5], v1 offset:1040
	s_wait_loadcnt_dscnt 0x801
	v_mul_f64_e32 v[157:158], v[145:146], v[8:9]
	v_mul_f64_e32 v[8:9], v[147:148], v[8:9]
	scratch_load_b128 v[38:41], off, off offset:448
	s_wait_loadcnt_dscnt 0x800
	v_mul_f64_e32 v[161:162], v[2:3], v[12:13]
	v_add_f64_e32 v[143:144], v[151:152], v[143:144]
	v_add_f64_e32 v[155:156], v[149:150], v[155:156]
	v_mul_f64_e32 v[12:13], v[4:5], v[12:13]
	ds_load_b128 v[149:152], v1 offset:1056
	v_fma_f64 v[147:148], v[147:148], v[6:7], v[157:158]
	v_fma_f64 v[145:146], v[145:146], v[6:7], -v[8:9]
	scratch_load_b128 v[6:9], off, off offset:464
	v_fma_f64 v[157:158], v[4:5], v[10:11], v[161:162]
	v_add_f64_e32 v[143:144], v[143:144], v[159:160]
	v_add_f64_e32 v[153:154], v[155:156], v[153:154]
	v_fma_f64 v[159:160], v[2:3], v[10:11], -v[12:13]
	ds_load_b128 v[2:5], v1 offset:1072
	s_wait_loadcnt_dscnt 0x801
	v_mul_f64_e32 v[155:156], v[149:150], v[16:17]
	v_mul_f64_e32 v[16:17], v[151:152], v[16:17]
	scratch_load_b128 v[10:13], off, off offset:480
	v_add_f64_e32 v[161:162], v[143:144], v[145:146]
	v_add_f64_e32 v[147:148], v[153:154], v[147:148]
	s_wait_loadcnt_dscnt 0x800
	v_mul_f64_e32 v[153:154], v[2:3], v[20:21]
	v_mul_f64_e32 v[20:21], v[4:5], v[20:21]
	v_fma_f64 v[151:152], v[151:152], v[14:15], v[155:156]
	v_fma_f64 v[149:150], v[149:150], v[14:15], -v[16:17]
	ds_load_b128 v[143:146], v1 offset:1088
	scratch_load_b128 v[14:17], off, off offset:496
	v_add_f64_e32 v[155:156], v[161:162], v[159:160]
	v_add_f64_e32 v[147:148], v[147:148], v[157:158]
	v_fma_f64 v[153:154], v[4:5], v[18:19], v[153:154]
	v_fma_f64 v[159:160], v[2:3], v[18:19], -v[20:21]
	ds_load_b128 v[2:5], v1 offset:1104
	s_wait_loadcnt_dscnt 0x801
	v_mul_f64_e32 v[157:158], v[143:144], v[24:25]
	v_mul_f64_e32 v[24:25], v[145:146], v[24:25]
	scratch_load_b128 v[18:21], off, off offset:512
	s_wait_loadcnt_dscnt 0x800
	v_mul_f64_e32 v[161:162], v[2:3], v[28:29]
	v_mul_f64_e32 v[28:29], v[4:5], v[28:29]
	v_add_f64_e32 v[155:156], v[155:156], v[149:150]
	v_add_f64_e32 v[151:152], v[147:148], v[151:152]
	ds_load_b128 v[147:150], v1 offset:1120
	v_fma_f64 v[145:146], v[145:146], v[22:23], v[157:158]
	v_fma_f64 v[143:144], v[143:144], v[22:23], -v[24:25]
	scratch_load_b128 v[22:25], off, off offset:528
	v_fma_f64 v[157:158], v[4:5], v[26:27], v[161:162]
	v_add_f64_e32 v[155:156], v[155:156], v[159:160]
	v_add_f64_e32 v[151:152], v[151:152], v[153:154]
	v_fma_f64 v[159:160], v[2:3], v[26:27], -v[28:29]
	ds_load_b128 v[2:5], v1 offset:1136
	s_wait_loadcnt_dscnt 0x801
	v_mul_f64_e32 v[153:154], v[147:148], v[32:33]
	v_mul_f64_e32 v[32:33], v[149:150], v[32:33]
	scratch_load_b128 v[26:29], off, off offset:544
	s_wait_loadcnt_dscnt 0x800
	v_mul_f64_e32 v[161:162], v[2:3], v[36:37]
	v_mul_f64_e32 v[36:37], v[4:5], v[36:37]
	v_add_f64_e32 v[155:156], v[155:156], v[143:144]
	v_add_f64_e32 v[151:152], v[151:152], v[145:146]
	ds_load_b128 v[143:146], v1 offset:1152
	v_fma_f64 v[149:150], v[149:150], v[30:31], v[153:154]
	v_fma_f64 v[147:148], v[147:148], v[30:31], -v[32:33]
	scratch_load_b128 v[30:33], off, off offset:560
	v_add_f64_e32 v[153:154], v[155:156], v[159:160]
	v_add_f64_e32 v[151:152], v[151:152], v[157:158]
	v_fma_f64 v[157:158], v[4:5], v[34:35], v[161:162]
	v_fma_f64 v[159:160], v[2:3], v[34:35], -v[36:37]
	ds_load_b128 v[2:5], v1 offset:1168
	s_wait_loadcnt_dscnt 0x801
	v_mul_f64_e32 v[155:156], v[143:144], v[141:142]
	v_mul_f64_e32 v[141:142], v[145:146], v[141:142]
	scratch_load_b128 v[34:37], off, off offset:576
	s_wait_loadcnt_dscnt 0x800
	v_mul_f64_e32 v[161:162], v[2:3], v[40:41]
	v_mul_f64_e32 v[40:41], v[4:5], v[40:41]
	v_add_f64_e32 v[153:154], v[153:154], v[147:148]
	v_add_f64_e32 v[151:152], v[151:152], v[149:150]
	ds_load_b128 v[147:150], v1 offset:1184
	v_fma_f64 v[145:146], v[145:146], v[139:140], v[155:156]
	v_fma_f64 v[143:144], v[143:144], v[139:140], -v[141:142]
	scratch_load_b128 v[139:142], off, off offset:592
	v_add_f64_e32 v[153:154], v[153:154], v[159:160]
	v_add_f64_e32 v[151:152], v[151:152], v[157:158]
	v_fma_f64 v[157:158], v[4:5], v[38:39], v[161:162]
	;; [unrolled: 18-line block ×6, first 2 shown]
	v_fma_f64 v[161:162], v[2:3], v[34:35], -v[36:37]
	ds_load_b128 v[2:5], v1 offset:1328
	s_wait_loadcnt_dscnt 0x801
	v_mul_f64_e32 v[155:156], v[147:148], v[141:142]
	v_mul_f64_e32 v[157:158], v[149:150], v[141:142]
	scratch_load_b128 v[34:37], off, off offset:736
	v_add_f64_e32 v[153:154], v[153:154], v[143:144]
	v_add_f64_e32 v[145:146], v[151:152], v[145:146]
	s_wait_loadcnt_dscnt 0x800
	v_mul_f64_e32 v[151:152], v[2:3], v[40:41]
	v_mul_f64_e32 v[40:41], v[4:5], v[40:41]
	ds_load_b128 v[141:144], v1 offset:1344
	v_fma_f64 v[149:150], v[149:150], v[139:140], v[155:156]
	v_fma_f64 v[139:140], v[147:148], v[139:140], -v[157:158]
	v_add_f64_e32 v[147:148], v[153:154], v[161:162]
	v_add_f64_e32 v[145:146], v[145:146], v[159:160]
	s_wait_loadcnt_dscnt 0x700
	v_mul_f64_e32 v[153:154], v[141:142], v[8:9]
	v_mul_f64_e32 v[8:9], v[143:144], v[8:9]
	v_fma_f64 v[151:152], v[4:5], v[38:39], v[151:152]
	v_fma_f64 v[155:156], v[2:3], v[38:39], -v[40:41]
	ds_load_b128 v[2:5], v1 offset:1360
	ds_load_b128 v[38:41], v1 offset:1376
	v_add_f64_e32 v[139:140], v[147:148], v[139:140]
	v_add_f64_e32 v[145:146], v[145:146], v[149:150]
	s_wait_loadcnt_dscnt 0x601
	v_mul_f64_e32 v[147:148], v[2:3], v[12:13]
	v_mul_f64_e32 v[12:13], v[4:5], v[12:13]
	v_fma_f64 v[143:144], v[143:144], v[6:7], v[153:154]
	v_fma_f64 v[6:7], v[141:142], v[6:7], -v[8:9]
	s_wait_loadcnt_dscnt 0x500
	v_mul_f64_e32 v[141:142], v[38:39], v[16:17]
	v_mul_f64_e32 v[16:17], v[40:41], v[16:17]
	v_add_f64_e32 v[8:9], v[139:140], v[155:156]
	v_add_f64_e32 v[139:140], v[145:146], v[151:152]
	v_fma_f64 v[145:146], v[4:5], v[10:11], v[147:148]
	v_fma_f64 v[10:11], v[2:3], v[10:11], -v[12:13]
	v_fma_f64 v[40:41], v[40:41], v[14:15], v[141:142]
	v_fma_f64 v[14:15], v[38:39], v[14:15], -v[16:17]
	v_add_f64_e32 v[12:13], v[8:9], v[6:7]
	v_add_f64_e32 v[139:140], v[139:140], v[143:144]
	ds_load_b128 v[2:5], v1 offset:1392
	ds_load_b128 v[6:9], v1 offset:1408
	s_wait_loadcnt_dscnt 0x401
	v_mul_f64_e32 v[143:144], v[2:3], v[20:21]
	v_mul_f64_e32 v[20:21], v[4:5], v[20:21]
	s_wait_loadcnt_dscnt 0x300
	v_mul_f64_e32 v[16:17], v[6:7], v[24:25]
	v_mul_f64_e32 v[24:25], v[8:9], v[24:25]
	v_add_f64_e32 v[10:11], v[12:13], v[10:11]
	v_add_f64_e32 v[12:13], v[139:140], v[145:146]
	v_fma_f64 v[38:39], v[4:5], v[18:19], v[143:144]
	v_fma_f64 v[18:19], v[2:3], v[18:19], -v[20:21]
	v_fma_f64 v[8:9], v[8:9], v[22:23], v[16:17]
	v_fma_f64 v[6:7], v[6:7], v[22:23], -v[24:25]
	v_add_f64_e32 v[14:15], v[10:11], v[14:15]
	v_add_f64_e32 v[20:21], v[12:13], v[40:41]
	ds_load_b128 v[2:5], v1 offset:1424
	ds_load_b128 v[10:13], v1 offset:1440
	s_wait_loadcnt_dscnt 0x201
	v_mul_f64_e32 v[40:41], v[2:3], v[28:29]
	v_mul_f64_e32 v[28:29], v[4:5], v[28:29]
	v_add_f64_e32 v[14:15], v[14:15], v[18:19]
	v_add_f64_e32 v[16:17], v[20:21], v[38:39]
	s_wait_loadcnt_dscnt 0x100
	v_mul_f64_e32 v[18:19], v[10:11], v[32:33]
	v_mul_f64_e32 v[20:21], v[12:13], v[32:33]
	v_fma_f64 v[22:23], v[4:5], v[26:27], v[40:41]
	v_fma_f64 v[24:25], v[2:3], v[26:27], -v[28:29]
	ds_load_b128 v[2:5], v1 offset:1456
	v_add_f64_e32 v[6:7], v[14:15], v[6:7]
	v_add_f64_e32 v[8:9], v[16:17], v[8:9]
	v_fma_f64 v[12:13], v[12:13], v[30:31], v[18:19]
	v_fma_f64 v[10:11], v[10:11], v[30:31], -v[20:21]
	s_wait_loadcnt_dscnt 0x0
	v_mul_f64_e32 v[14:15], v[2:3], v[36:37]
	v_mul_f64_e32 v[16:17], v[4:5], v[36:37]
	v_add_f64_e32 v[6:7], v[6:7], v[24:25]
	v_add_f64_e32 v[8:9], v[8:9], v[22:23]
	s_delay_alu instid0(VALU_DEP_4) | instskip(NEXT) | instid1(VALU_DEP_4)
	v_fma_f64 v[4:5], v[4:5], v[34:35], v[14:15]
	v_fma_f64 v[2:3], v[2:3], v[34:35], -v[16:17]
	s_delay_alu instid0(VALU_DEP_4) | instskip(NEXT) | instid1(VALU_DEP_4)
	v_add_f64_e32 v[6:7], v[6:7], v[10:11]
	v_add_f64_e32 v[8:9], v[8:9], v[12:13]
	s_delay_alu instid0(VALU_DEP_2) | instskip(NEXT) | instid1(VALU_DEP_2)
	v_add_f64_e32 v[2:3], v[6:7], v[2:3]
	v_add_f64_e32 v[4:5], v[8:9], v[4:5]
	s_delay_alu instid0(VALU_DEP_2) | instskip(NEXT) | instid1(VALU_DEP_2)
	v_add_f64_e64 v[2:3], v[42:43], -v[2:3]
	v_add_f64_e64 v[4:5], v[44:45], -v[4:5]
	scratch_store_b128 off, v[2:5], off offset:112
	v_cmpx_lt_u32_e32 5, v0
	s_cbranch_execz .LBB45_279
; %bb.278:
	scratch_load_b128 v[5:8], off, s54
	v_dual_mov_b32 v2, v1 :: v_dual_mov_b32 v3, v1
	v_mov_b32_e32 v4, v1
	scratch_store_b128 off, v[1:4], off offset:96
	s_wait_loadcnt 0x0
	ds_store_b128 v138, v[5:8]
.LBB45_279:
	s_wait_alu 0xfffe
	s_or_b32 exec_lo, exec_lo, s0
	s_wait_storecnt_dscnt 0x0
	s_barrier_signal -1
	s_barrier_wait -1
	global_inv scope:SCOPE_SE
	s_clause 0x8
	scratch_load_b128 v[2:5], off, off offset:112
	scratch_load_b128 v[6:9], off, off offset:128
	;; [unrolled: 1-line block ×9, first 2 shown]
	ds_load_b128 v[42:45], v1 offset:832
	ds_load_b128 v[38:41], v1 offset:848
	s_clause 0x1
	scratch_load_b128 v[139:142], off, off offset:96
	scratch_load_b128 v[143:146], off, off offset:256
	s_mov_b32 s0, exec_lo
	s_wait_loadcnt_dscnt 0xa01
	v_mul_f64_e32 v[147:148], v[44:45], v[4:5]
	v_mul_f64_e32 v[4:5], v[42:43], v[4:5]
	s_wait_loadcnt_dscnt 0x900
	v_mul_f64_e32 v[151:152], v[38:39], v[8:9]
	v_mul_f64_e32 v[8:9], v[40:41], v[8:9]
	s_delay_alu instid0(VALU_DEP_4) | instskip(NEXT) | instid1(VALU_DEP_4)
	v_fma_f64 v[153:154], v[42:43], v[2:3], -v[147:148]
	v_fma_f64 v[155:156], v[44:45], v[2:3], v[4:5]
	ds_load_b128 v[2:5], v1 offset:864
	ds_load_b128 v[147:150], v1 offset:880
	scratch_load_b128 v[42:45], off, off offset:272
	v_fma_f64 v[40:41], v[40:41], v[6:7], v[151:152]
	v_fma_f64 v[38:39], v[38:39], v[6:7], -v[8:9]
	scratch_load_b128 v[6:9], off, off offset:288
	s_wait_loadcnt_dscnt 0xa01
	v_mul_f64_e32 v[157:158], v[2:3], v[12:13]
	v_mul_f64_e32 v[12:13], v[4:5], v[12:13]
	v_add_f64_e32 v[151:152], 0, v[153:154]
	v_add_f64_e32 v[153:154], 0, v[155:156]
	s_wait_loadcnt_dscnt 0x900
	v_mul_f64_e32 v[155:156], v[147:148], v[16:17]
	v_mul_f64_e32 v[16:17], v[149:150], v[16:17]
	v_fma_f64 v[157:158], v[4:5], v[10:11], v[157:158]
	v_fma_f64 v[159:160], v[2:3], v[10:11], -v[12:13]
	ds_load_b128 v[2:5], v1 offset:896
	scratch_load_b128 v[10:13], off, off offset:304
	v_add_f64_e32 v[151:152], v[151:152], v[38:39]
	v_add_f64_e32 v[153:154], v[153:154], v[40:41]
	ds_load_b128 v[38:41], v1 offset:912
	v_fma_f64 v[149:150], v[149:150], v[14:15], v[155:156]
	v_fma_f64 v[147:148], v[147:148], v[14:15], -v[16:17]
	scratch_load_b128 v[14:17], off, off offset:320
	s_wait_loadcnt_dscnt 0xa01
	v_mul_f64_e32 v[161:162], v[2:3], v[20:21]
	v_mul_f64_e32 v[20:21], v[4:5], v[20:21]
	s_wait_loadcnt_dscnt 0x900
	v_mul_f64_e32 v[155:156], v[38:39], v[24:25]
	v_mul_f64_e32 v[24:25], v[40:41], v[24:25]
	v_add_f64_e32 v[151:152], v[151:152], v[159:160]
	v_add_f64_e32 v[153:154], v[153:154], v[157:158]
	v_fma_f64 v[157:158], v[4:5], v[18:19], v[161:162]
	v_fma_f64 v[159:160], v[2:3], v[18:19], -v[20:21]
	ds_load_b128 v[2:5], v1 offset:928
	scratch_load_b128 v[18:21], off, off offset:336
	v_fma_f64 v[40:41], v[40:41], v[22:23], v[155:156]
	v_fma_f64 v[38:39], v[38:39], v[22:23], -v[24:25]
	scratch_load_b128 v[22:25], off, off offset:352
	v_add_f64_e32 v[151:152], v[151:152], v[147:148]
	v_add_f64_e32 v[153:154], v[153:154], v[149:150]
	ds_load_b128 v[147:150], v1 offset:944
	s_wait_loadcnt_dscnt 0xa01
	v_mul_f64_e32 v[161:162], v[2:3], v[28:29]
	v_mul_f64_e32 v[28:29], v[4:5], v[28:29]
	s_wait_loadcnt_dscnt 0x900
	v_mul_f64_e32 v[155:156], v[147:148], v[32:33]
	v_mul_f64_e32 v[32:33], v[149:150], v[32:33]
	v_add_f64_e32 v[151:152], v[151:152], v[159:160]
	v_add_f64_e32 v[153:154], v[153:154], v[157:158]
	v_fma_f64 v[157:158], v[4:5], v[26:27], v[161:162]
	v_fma_f64 v[159:160], v[2:3], v[26:27], -v[28:29]
	ds_load_b128 v[2:5], v1 offset:960
	scratch_load_b128 v[26:29], off, off offset:368
	v_fma_f64 v[149:150], v[149:150], v[30:31], v[155:156]
	v_fma_f64 v[147:148], v[147:148], v[30:31], -v[32:33]
	scratch_load_b128 v[30:33], off, off offset:384
	v_add_f64_e32 v[151:152], v[151:152], v[38:39]
	v_add_f64_e32 v[153:154], v[153:154], v[40:41]
	ds_load_b128 v[38:41], v1 offset:976
	s_wait_loadcnt_dscnt 0xa01
	v_mul_f64_e32 v[161:162], v[2:3], v[36:37]
	v_mul_f64_e32 v[36:37], v[4:5], v[36:37]
	s_wait_loadcnt_dscnt 0x800
	v_mul_f64_e32 v[155:156], v[38:39], v[145:146]
	v_add_f64_e32 v[151:152], v[151:152], v[159:160]
	v_add_f64_e32 v[153:154], v[153:154], v[157:158]
	v_mul_f64_e32 v[157:158], v[40:41], v[145:146]
	v_fma_f64 v[159:160], v[4:5], v[34:35], v[161:162]
	v_fma_f64 v[161:162], v[2:3], v[34:35], -v[36:37]
	ds_load_b128 v[2:5], v1 offset:992
	scratch_load_b128 v[34:37], off, off offset:400
	v_fma_f64 v[155:156], v[40:41], v[143:144], v[155:156]
	v_add_f64_e32 v[151:152], v[151:152], v[147:148]
	v_add_f64_e32 v[149:150], v[153:154], v[149:150]
	ds_load_b128 v[145:148], v1 offset:1008
	v_fma_f64 v[143:144], v[38:39], v[143:144], -v[157:158]
	scratch_load_b128 v[38:41], off, off offset:416
	s_wait_loadcnt_dscnt 0x901
	v_mul_f64_e32 v[153:154], v[2:3], v[44:45]
	v_mul_f64_e32 v[44:45], v[4:5], v[44:45]
	s_wait_loadcnt_dscnt 0x800
	v_mul_f64_e32 v[157:158], v[145:146], v[8:9]
	v_mul_f64_e32 v[8:9], v[147:148], v[8:9]
	v_add_f64_e32 v[151:152], v[151:152], v[161:162]
	v_add_f64_e32 v[149:150], v[149:150], v[159:160]
	v_fma_f64 v[153:154], v[4:5], v[42:43], v[153:154]
	v_fma_f64 v[159:160], v[2:3], v[42:43], -v[44:45]
	ds_load_b128 v[2:5], v1 offset:1024
	scratch_load_b128 v[42:45], off, off offset:432
	v_fma_f64 v[147:148], v[147:148], v[6:7], v[157:158]
	v_fma_f64 v[145:146], v[145:146], v[6:7], -v[8:9]
	scratch_load_b128 v[6:9], off, off offset:448
	v_add_f64_e32 v[143:144], v[151:152], v[143:144]
	v_add_f64_e32 v[155:156], v[149:150], v[155:156]
	ds_load_b128 v[149:152], v1 offset:1040
	s_wait_loadcnt_dscnt 0x901
	v_mul_f64_e32 v[161:162], v[2:3], v[12:13]
	v_mul_f64_e32 v[12:13], v[4:5], v[12:13]
	v_add_f64_e32 v[143:144], v[143:144], v[159:160]
	v_add_f64_e32 v[153:154], v[155:156], v[153:154]
	s_wait_loadcnt_dscnt 0x800
	v_mul_f64_e32 v[155:156], v[149:150], v[16:17]
	v_mul_f64_e32 v[16:17], v[151:152], v[16:17]
	v_fma_f64 v[157:158], v[4:5], v[10:11], v[161:162]
	v_fma_f64 v[159:160], v[2:3], v[10:11], -v[12:13]
	ds_load_b128 v[2:5], v1 offset:1056
	scratch_load_b128 v[10:13], off, off offset:464
	v_add_f64_e32 v[161:162], v[143:144], v[145:146]
	v_add_f64_e32 v[147:148], v[153:154], v[147:148]
	ds_load_b128 v[143:146], v1 offset:1072
	s_wait_loadcnt_dscnt 0x801
	v_mul_f64_e32 v[153:154], v[2:3], v[20:21]
	v_mul_f64_e32 v[20:21], v[4:5], v[20:21]
	v_fma_f64 v[151:152], v[151:152], v[14:15], v[155:156]
	v_fma_f64 v[149:150], v[149:150], v[14:15], -v[16:17]
	scratch_load_b128 v[14:17], off, off offset:480
	v_add_f64_e32 v[155:156], v[161:162], v[159:160]
	v_add_f64_e32 v[147:148], v[147:148], v[157:158]
	s_wait_loadcnt_dscnt 0x800
	v_mul_f64_e32 v[157:158], v[143:144], v[24:25]
	v_mul_f64_e32 v[24:25], v[145:146], v[24:25]
	v_fma_f64 v[153:154], v[4:5], v[18:19], v[153:154]
	v_fma_f64 v[159:160], v[2:3], v[18:19], -v[20:21]
	ds_load_b128 v[2:5], v1 offset:1088
	scratch_load_b128 v[18:21], off, off offset:496
	v_add_f64_e32 v[155:156], v[155:156], v[149:150]
	v_add_f64_e32 v[151:152], v[147:148], v[151:152]
	ds_load_b128 v[147:150], v1 offset:1104
	s_wait_loadcnt_dscnt 0x801
	v_mul_f64_e32 v[161:162], v[2:3], v[28:29]
	v_mul_f64_e32 v[28:29], v[4:5], v[28:29]
	v_fma_f64 v[145:146], v[145:146], v[22:23], v[157:158]
	v_fma_f64 v[143:144], v[143:144], v[22:23], -v[24:25]
	scratch_load_b128 v[22:25], off, off offset:512
	;; [unrolled: 18-line block ×4, first 2 shown]
	s_wait_loadcnt_dscnt 0x800
	v_mul_f64_e32 v[155:156], v[147:148], v[8:9]
	v_mul_f64_e32 v[8:9], v[149:150], v[8:9]
	v_add_f64_e32 v[153:154], v[153:154], v[159:160]
	v_add_f64_e32 v[151:152], v[151:152], v[157:158]
	v_fma_f64 v[157:158], v[4:5], v[42:43], v[161:162]
	v_fma_f64 v[159:160], v[2:3], v[42:43], -v[44:45]
	ds_load_b128 v[2:5], v1 offset:1184
	scratch_load_b128 v[42:45], off, off offset:592
	v_fma_f64 v[149:150], v[149:150], v[6:7], v[155:156]
	v_fma_f64 v[147:148], v[147:148], v[6:7], -v[8:9]
	scratch_load_b128 v[6:9], off, off offset:608
	v_add_f64_e32 v[153:154], v[153:154], v[143:144]
	v_add_f64_e32 v[151:152], v[151:152], v[145:146]
	ds_load_b128 v[143:146], v1 offset:1200
	s_wait_loadcnt_dscnt 0x901
	v_mul_f64_e32 v[161:162], v[2:3], v[12:13]
	v_mul_f64_e32 v[12:13], v[4:5], v[12:13]
	s_wait_loadcnt_dscnt 0x800
	v_mul_f64_e32 v[155:156], v[143:144], v[16:17]
	v_mul_f64_e32 v[16:17], v[145:146], v[16:17]
	v_add_f64_e32 v[153:154], v[153:154], v[159:160]
	v_add_f64_e32 v[151:152], v[151:152], v[157:158]
	v_fma_f64 v[157:158], v[4:5], v[10:11], v[161:162]
	v_fma_f64 v[159:160], v[2:3], v[10:11], -v[12:13]
	ds_load_b128 v[2:5], v1 offset:1216
	scratch_load_b128 v[10:13], off, off offset:624
	v_fma_f64 v[145:146], v[145:146], v[14:15], v[155:156]
	v_fma_f64 v[143:144], v[143:144], v[14:15], -v[16:17]
	scratch_load_b128 v[14:17], off, off offset:640
	v_add_f64_e32 v[153:154], v[153:154], v[147:148]
	v_add_f64_e32 v[151:152], v[151:152], v[149:150]
	ds_load_b128 v[147:150], v1 offset:1232
	s_wait_loadcnt_dscnt 0x901
	v_mul_f64_e32 v[161:162], v[2:3], v[20:21]
	v_mul_f64_e32 v[20:21], v[4:5], v[20:21]
	;; [unrolled: 18-line block ×5, first 2 shown]
	s_wait_loadcnt_dscnt 0x800
	v_mul_f64_e32 v[155:156], v[143:144], v[8:9]
	v_mul_f64_e32 v[8:9], v[145:146], v[8:9]
	v_add_f64_e32 v[153:154], v[153:154], v[159:160]
	v_add_f64_e32 v[151:152], v[151:152], v[157:158]
	v_fma_f64 v[157:158], v[4:5], v[42:43], v[161:162]
	v_fma_f64 v[159:160], v[2:3], v[42:43], -v[44:45]
	ds_load_b128 v[2:5], v1 offset:1344
	ds_load_b128 v[42:45], v1 offset:1360
	v_fma_f64 v[145:146], v[145:146], v[6:7], v[155:156]
	v_fma_f64 v[6:7], v[143:144], v[6:7], -v[8:9]
	v_add_f64_e32 v[147:148], v[153:154], v[147:148]
	v_add_f64_e32 v[149:150], v[151:152], v[149:150]
	s_wait_loadcnt_dscnt 0x701
	v_mul_f64_e32 v[151:152], v[2:3], v[12:13]
	v_mul_f64_e32 v[12:13], v[4:5], v[12:13]
	s_delay_alu instid0(VALU_DEP_4) | instskip(NEXT) | instid1(VALU_DEP_4)
	v_add_f64_e32 v[8:9], v[147:148], v[159:160]
	v_add_f64_e32 v[143:144], v[149:150], v[157:158]
	s_wait_loadcnt_dscnt 0x600
	v_mul_f64_e32 v[147:148], v[42:43], v[16:17]
	v_mul_f64_e32 v[16:17], v[44:45], v[16:17]
	v_fma_f64 v[149:150], v[4:5], v[10:11], v[151:152]
	v_fma_f64 v[10:11], v[2:3], v[10:11], -v[12:13]
	v_add_f64_e32 v[12:13], v[8:9], v[6:7]
	v_add_f64_e32 v[143:144], v[143:144], v[145:146]
	ds_load_b128 v[2:5], v1 offset:1376
	ds_load_b128 v[6:9], v1 offset:1392
	v_fma_f64 v[44:45], v[44:45], v[14:15], v[147:148]
	v_fma_f64 v[14:15], v[42:43], v[14:15], -v[16:17]
	s_wait_loadcnt_dscnt 0x501
	v_mul_f64_e32 v[145:146], v[2:3], v[20:21]
	v_mul_f64_e32 v[20:21], v[4:5], v[20:21]
	s_wait_loadcnt_dscnt 0x400
	v_mul_f64_e32 v[16:17], v[6:7], v[24:25]
	v_mul_f64_e32 v[24:25], v[8:9], v[24:25]
	v_add_f64_e32 v[10:11], v[12:13], v[10:11]
	v_add_f64_e32 v[12:13], v[143:144], v[149:150]
	v_fma_f64 v[42:43], v[4:5], v[18:19], v[145:146]
	v_fma_f64 v[18:19], v[2:3], v[18:19], -v[20:21]
	v_fma_f64 v[8:9], v[8:9], v[22:23], v[16:17]
	v_fma_f64 v[6:7], v[6:7], v[22:23], -v[24:25]
	v_add_f64_e32 v[14:15], v[10:11], v[14:15]
	v_add_f64_e32 v[20:21], v[12:13], v[44:45]
	ds_load_b128 v[2:5], v1 offset:1408
	ds_load_b128 v[10:13], v1 offset:1424
	s_wait_loadcnt_dscnt 0x301
	v_mul_f64_e32 v[44:45], v[2:3], v[28:29]
	v_mul_f64_e32 v[28:29], v[4:5], v[28:29]
	v_add_f64_e32 v[14:15], v[14:15], v[18:19]
	v_add_f64_e32 v[16:17], v[20:21], v[42:43]
	s_wait_loadcnt_dscnt 0x200
	v_mul_f64_e32 v[18:19], v[10:11], v[32:33]
	v_mul_f64_e32 v[20:21], v[12:13], v[32:33]
	v_fma_f64 v[22:23], v[4:5], v[26:27], v[44:45]
	v_fma_f64 v[24:25], v[2:3], v[26:27], -v[28:29]
	v_add_f64_e32 v[14:15], v[14:15], v[6:7]
	v_add_f64_e32 v[16:17], v[16:17], v[8:9]
	ds_load_b128 v[2:5], v1 offset:1440
	ds_load_b128 v[6:9], v1 offset:1456
	v_fma_f64 v[12:13], v[12:13], v[30:31], v[18:19]
	v_fma_f64 v[10:11], v[10:11], v[30:31], -v[20:21]
	s_wait_loadcnt_dscnt 0x101
	v_mul_f64_e32 v[26:27], v[2:3], v[36:37]
	v_mul_f64_e32 v[28:29], v[4:5], v[36:37]
	s_wait_loadcnt_dscnt 0x0
	v_mul_f64_e32 v[18:19], v[6:7], v[40:41]
	v_mul_f64_e32 v[20:21], v[8:9], v[40:41]
	v_add_f64_e32 v[14:15], v[14:15], v[24:25]
	v_add_f64_e32 v[16:17], v[16:17], v[22:23]
	v_fma_f64 v[4:5], v[4:5], v[34:35], v[26:27]
	v_fma_f64 v[1:2], v[2:3], v[34:35], -v[28:29]
	v_fma_f64 v[8:9], v[8:9], v[38:39], v[18:19]
	v_fma_f64 v[6:7], v[6:7], v[38:39], -v[20:21]
	v_add_f64_e32 v[10:11], v[14:15], v[10:11]
	v_add_f64_e32 v[12:13], v[16:17], v[12:13]
	s_delay_alu instid0(VALU_DEP_2) | instskip(NEXT) | instid1(VALU_DEP_2)
	v_add_f64_e32 v[1:2], v[10:11], v[1:2]
	v_add_f64_e32 v[3:4], v[12:13], v[4:5]
	s_delay_alu instid0(VALU_DEP_2) | instskip(NEXT) | instid1(VALU_DEP_2)
	;; [unrolled: 3-line block ×3, first 2 shown]
	v_add_f64_e64 v[1:2], v[139:140], -v[1:2]
	v_add_f64_e64 v[3:4], v[141:142], -v[3:4]
	scratch_store_b128 off, v[1:4], off offset:96
	v_cmpx_lt_u32_e32 4, v0
	s_cbranch_execz .LBB45_281
; %bb.280:
	scratch_load_b128 v[1:4], off, s38
	v_mov_b32_e32 v5, 0
	s_delay_alu instid0(VALU_DEP_1)
	v_dual_mov_b32 v6, v5 :: v_dual_mov_b32 v7, v5
	v_mov_b32_e32 v8, v5
	scratch_store_b128 off, v[5:8], off offset:80
	s_wait_loadcnt 0x0
	ds_store_b128 v138, v[1:4]
.LBB45_281:
	s_wait_alu 0xfffe
	s_or_b32 exec_lo, exec_lo, s0
	s_wait_storecnt_dscnt 0x0
	s_barrier_signal -1
	s_barrier_wait -1
	global_inv scope:SCOPE_SE
	s_clause 0x7
	scratch_load_b128 v[2:5], off, off offset:96
	scratch_load_b128 v[6:9], off, off offset:112
	scratch_load_b128 v[10:13], off, off offset:128
	scratch_load_b128 v[14:17], off, off offset:144
	scratch_load_b128 v[18:21], off, off offset:160
	scratch_load_b128 v[22:25], off, off offset:176
	scratch_load_b128 v[26:29], off, off offset:192
	scratch_load_b128 v[30:33], off, off offset:208
	v_mov_b32_e32 v1, 0
	s_mov_b32 s0, exec_lo
	ds_load_b128 v[38:41], v1 offset:816
	s_clause 0x1
	scratch_load_b128 v[34:37], off, off offset:224
	scratch_load_b128 v[42:45], off, off offset:80
	ds_load_b128 v[139:142], v1 offset:832
	scratch_load_b128 v[143:146], off, off offset:240
	s_wait_loadcnt_dscnt 0xa01
	v_mul_f64_e32 v[147:148], v[40:41], v[4:5]
	v_mul_f64_e32 v[4:5], v[38:39], v[4:5]
	s_delay_alu instid0(VALU_DEP_2) | instskip(NEXT) | instid1(VALU_DEP_2)
	v_fma_f64 v[153:154], v[38:39], v[2:3], -v[147:148]
	v_fma_f64 v[155:156], v[40:41], v[2:3], v[4:5]
	ds_load_b128 v[2:5], v1 offset:848
	s_wait_loadcnt_dscnt 0x901
	v_mul_f64_e32 v[151:152], v[139:140], v[8:9]
	v_mul_f64_e32 v[8:9], v[141:142], v[8:9]
	scratch_load_b128 v[38:41], off, off offset:256
	ds_load_b128 v[147:150], v1 offset:864
	s_wait_loadcnt_dscnt 0x901
	v_mul_f64_e32 v[157:158], v[2:3], v[12:13]
	v_mul_f64_e32 v[12:13], v[4:5], v[12:13]
	v_fma_f64 v[141:142], v[141:142], v[6:7], v[151:152]
	v_fma_f64 v[139:140], v[139:140], v[6:7], -v[8:9]
	v_add_f64_e32 v[151:152], 0, v[153:154]
	v_add_f64_e32 v[153:154], 0, v[155:156]
	scratch_load_b128 v[6:9], off, off offset:272
	v_fma_f64 v[157:158], v[4:5], v[10:11], v[157:158]
	v_fma_f64 v[159:160], v[2:3], v[10:11], -v[12:13]
	ds_load_b128 v[2:5], v1 offset:880
	s_wait_loadcnt_dscnt 0x901
	v_mul_f64_e32 v[155:156], v[147:148], v[16:17]
	v_mul_f64_e32 v[16:17], v[149:150], v[16:17]
	scratch_load_b128 v[10:13], off, off offset:288
	v_add_f64_e32 v[151:152], v[151:152], v[139:140]
	v_add_f64_e32 v[153:154], v[153:154], v[141:142]
	s_wait_loadcnt_dscnt 0x900
	v_mul_f64_e32 v[161:162], v[2:3], v[20:21]
	v_mul_f64_e32 v[20:21], v[4:5], v[20:21]
	ds_load_b128 v[139:142], v1 offset:896
	v_fma_f64 v[149:150], v[149:150], v[14:15], v[155:156]
	v_fma_f64 v[147:148], v[147:148], v[14:15], -v[16:17]
	scratch_load_b128 v[14:17], off, off offset:304
	v_add_f64_e32 v[151:152], v[151:152], v[159:160]
	v_add_f64_e32 v[153:154], v[153:154], v[157:158]
	v_fma_f64 v[157:158], v[4:5], v[18:19], v[161:162]
	v_fma_f64 v[159:160], v[2:3], v[18:19], -v[20:21]
	ds_load_b128 v[2:5], v1 offset:912
	s_wait_loadcnt_dscnt 0x901
	v_mul_f64_e32 v[155:156], v[139:140], v[24:25]
	v_mul_f64_e32 v[24:25], v[141:142], v[24:25]
	scratch_load_b128 v[18:21], off, off offset:320
	s_wait_loadcnt_dscnt 0x900
	v_mul_f64_e32 v[161:162], v[2:3], v[28:29]
	v_mul_f64_e32 v[28:29], v[4:5], v[28:29]
	v_add_f64_e32 v[151:152], v[151:152], v[147:148]
	v_add_f64_e32 v[153:154], v[153:154], v[149:150]
	ds_load_b128 v[147:150], v1 offset:928
	v_fma_f64 v[141:142], v[141:142], v[22:23], v[155:156]
	v_fma_f64 v[139:140], v[139:140], v[22:23], -v[24:25]
	scratch_load_b128 v[22:25], off, off offset:336
	v_add_f64_e32 v[151:152], v[151:152], v[159:160]
	v_add_f64_e32 v[153:154], v[153:154], v[157:158]
	v_fma_f64 v[157:158], v[4:5], v[26:27], v[161:162]
	v_fma_f64 v[159:160], v[2:3], v[26:27], -v[28:29]
	ds_load_b128 v[2:5], v1 offset:944
	s_wait_loadcnt_dscnt 0x901
	v_mul_f64_e32 v[155:156], v[147:148], v[32:33]
	v_mul_f64_e32 v[32:33], v[149:150], v[32:33]
	scratch_load_b128 v[26:29], off, off offset:352
	s_wait_loadcnt_dscnt 0x900
	v_mul_f64_e32 v[161:162], v[2:3], v[36:37]
	v_mul_f64_e32 v[36:37], v[4:5], v[36:37]
	v_add_f64_e32 v[151:152], v[151:152], v[139:140]
	v_add_f64_e32 v[153:154], v[153:154], v[141:142]
	ds_load_b128 v[139:142], v1 offset:960
	v_fma_f64 v[149:150], v[149:150], v[30:31], v[155:156]
	v_fma_f64 v[147:148], v[147:148], v[30:31], -v[32:33]
	scratch_load_b128 v[30:33], off, off offset:368
	v_add_f64_e32 v[151:152], v[151:152], v[159:160]
	v_add_f64_e32 v[153:154], v[153:154], v[157:158]
	v_fma_f64 v[159:160], v[4:5], v[34:35], v[161:162]
	v_fma_f64 v[161:162], v[2:3], v[34:35], -v[36:37]
	ds_load_b128 v[2:5], v1 offset:976
	s_wait_loadcnt_dscnt 0x801
	v_mul_f64_e32 v[155:156], v[139:140], v[145:146]
	v_mul_f64_e32 v[157:158], v[141:142], v[145:146]
	scratch_load_b128 v[34:37], off, off offset:384
	v_add_f64_e32 v[151:152], v[151:152], v[147:148]
	v_add_f64_e32 v[149:150], v[153:154], v[149:150]
	ds_load_b128 v[145:148], v1 offset:992
	v_fma_f64 v[155:156], v[141:142], v[143:144], v[155:156]
	v_fma_f64 v[143:144], v[139:140], v[143:144], -v[157:158]
	scratch_load_b128 v[139:142], off, off offset:400
	s_wait_loadcnt_dscnt 0x901
	v_mul_f64_e32 v[153:154], v[2:3], v[40:41]
	v_mul_f64_e32 v[40:41], v[4:5], v[40:41]
	v_add_f64_e32 v[151:152], v[151:152], v[161:162]
	v_add_f64_e32 v[149:150], v[149:150], v[159:160]
	s_delay_alu instid0(VALU_DEP_4) | instskip(NEXT) | instid1(VALU_DEP_4)
	v_fma_f64 v[153:154], v[4:5], v[38:39], v[153:154]
	v_fma_f64 v[159:160], v[2:3], v[38:39], -v[40:41]
	ds_load_b128 v[2:5], v1 offset:1008
	s_wait_loadcnt_dscnt 0x801
	v_mul_f64_e32 v[157:158], v[145:146], v[8:9]
	v_mul_f64_e32 v[8:9], v[147:148], v[8:9]
	scratch_load_b128 v[38:41], off, off offset:416
	s_wait_loadcnt_dscnt 0x800
	v_mul_f64_e32 v[161:162], v[2:3], v[12:13]
	v_add_f64_e32 v[143:144], v[151:152], v[143:144]
	v_add_f64_e32 v[155:156], v[149:150], v[155:156]
	v_mul_f64_e32 v[12:13], v[4:5], v[12:13]
	ds_load_b128 v[149:152], v1 offset:1024
	v_fma_f64 v[147:148], v[147:148], v[6:7], v[157:158]
	v_fma_f64 v[145:146], v[145:146], v[6:7], -v[8:9]
	scratch_load_b128 v[6:9], off, off offset:432
	v_fma_f64 v[157:158], v[4:5], v[10:11], v[161:162]
	v_add_f64_e32 v[143:144], v[143:144], v[159:160]
	v_add_f64_e32 v[153:154], v[155:156], v[153:154]
	v_fma_f64 v[159:160], v[2:3], v[10:11], -v[12:13]
	ds_load_b128 v[2:5], v1 offset:1040
	s_wait_loadcnt_dscnt 0x801
	v_mul_f64_e32 v[155:156], v[149:150], v[16:17]
	v_mul_f64_e32 v[16:17], v[151:152], v[16:17]
	scratch_load_b128 v[10:13], off, off offset:448
	v_add_f64_e32 v[161:162], v[143:144], v[145:146]
	v_add_f64_e32 v[147:148], v[153:154], v[147:148]
	s_wait_loadcnt_dscnt 0x800
	v_mul_f64_e32 v[153:154], v[2:3], v[20:21]
	v_mul_f64_e32 v[20:21], v[4:5], v[20:21]
	v_fma_f64 v[151:152], v[151:152], v[14:15], v[155:156]
	v_fma_f64 v[149:150], v[149:150], v[14:15], -v[16:17]
	ds_load_b128 v[143:146], v1 offset:1056
	scratch_load_b128 v[14:17], off, off offset:464
	v_add_f64_e32 v[155:156], v[161:162], v[159:160]
	v_add_f64_e32 v[147:148], v[147:148], v[157:158]
	v_fma_f64 v[153:154], v[4:5], v[18:19], v[153:154]
	v_fma_f64 v[159:160], v[2:3], v[18:19], -v[20:21]
	ds_load_b128 v[2:5], v1 offset:1072
	s_wait_loadcnt_dscnt 0x801
	v_mul_f64_e32 v[157:158], v[143:144], v[24:25]
	v_mul_f64_e32 v[24:25], v[145:146], v[24:25]
	scratch_load_b128 v[18:21], off, off offset:480
	s_wait_loadcnt_dscnt 0x800
	v_mul_f64_e32 v[161:162], v[2:3], v[28:29]
	v_mul_f64_e32 v[28:29], v[4:5], v[28:29]
	v_add_f64_e32 v[155:156], v[155:156], v[149:150]
	v_add_f64_e32 v[151:152], v[147:148], v[151:152]
	ds_load_b128 v[147:150], v1 offset:1088
	v_fma_f64 v[145:146], v[145:146], v[22:23], v[157:158]
	v_fma_f64 v[143:144], v[143:144], v[22:23], -v[24:25]
	scratch_load_b128 v[22:25], off, off offset:496
	v_fma_f64 v[157:158], v[4:5], v[26:27], v[161:162]
	v_add_f64_e32 v[155:156], v[155:156], v[159:160]
	v_add_f64_e32 v[151:152], v[151:152], v[153:154]
	v_fma_f64 v[159:160], v[2:3], v[26:27], -v[28:29]
	ds_load_b128 v[2:5], v1 offset:1104
	s_wait_loadcnt_dscnt 0x801
	v_mul_f64_e32 v[153:154], v[147:148], v[32:33]
	v_mul_f64_e32 v[32:33], v[149:150], v[32:33]
	scratch_load_b128 v[26:29], off, off offset:512
	s_wait_loadcnt_dscnt 0x800
	v_mul_f64_e32 v[161:162], v[2:3], v[36:37]
	v_mul_f64_e32 v[36:37], v[4:5], v[36:37]
	v_add_f64_e32 v[155:156], v[155:156], v[143:144]
	v_add_f64_e32 v[151:152], v[151:152], v[145:146]
	ds_load_b128 v[143:146], v1 offset:1120
	v_fma_f64 v[149:150], v[149:150], v[30:31], v[153:154]
	v_fma_f64 v[147:148], v[147:148], v[30:31], -v[32:33]
	scratch_load_b128 v[30:33], off, off offset:528
	v_add_f64_e32 v[153:154], v[155:156], v[159:160]
	v_add_f64_e32 v[151:152], v[151:152], v[157:158]
	v_fma_f64 v[157:158], v[4:5], v[34:35], v[161:162]
	v_fma_f64 v[159:160], v[2:3], v[34:35], -v[36:37]
	ds_load_b128 v[2:5], v1 offset:1136
	s_wait_loadcnt_dscnt 0x801
	v_mul_f64_e32 v[155:156], v[143:144], v[141:142]
	v_mul_f64_e32 v[141:142], v[145:146], v[141:142]
	scratch_load_b128 v[34:37], off, off offset:544
	s_wait_loadcnt_dscnt 0x800
	v_mul_f64_e32 v[161:162], v[2:3], v[40:41]
	v_mul_f64_e32 v[40:41], v[4:5], v[40:41]
	v_add_f64_e32 v[153:154], v[153:154], v[147:148]
	v_add_f64_e32 v[151:152], v[151:152], v[149:150]
	ds_load_b128 v[147:150], v1 offset:1152
	v_fma_f64 v[145:146], v[145:146], v[139:140], v[155:156]
	v_fma_f64 v[143:144], v[143:144], v[139:140], -v[141:142]
	scratch_load_b128 v[139:142], off, off offset:560
	v_add_f64_e32 v[153:154], v[153:154], v[159:160]
	v_add_f64_e32 v[151:152], v[151:152], v[157:158]
	v_fma_f64 v[157:158], v[4:5], v[38:39], v[161:162]
	;; [unrolled: 18-line block ×6, first 2 shown]
	v_fma_f64 v[161:162], v[2:3], v[34:35], -v[36:37]
	ds_load_b128 v[2:5], v1 offset:1296
	s_wait_loadcnt_dscnt 0x801
	v_mul_f64_e32 v[155:156], v[147:148], v[141:142]
	v_mul_f64_e32 v[157:158], v[149:150], v[141:142]
	scratch_load_b128 v[34:37], off, off offset:704
	v_add_f64_e32 v[153:154], v[153:154], v[143:144]
	v_add_f64_e32 v[145:146], v[151:152], v[145:146]
	s_wait_loadcnt_dscnt 0x800
	v_mul_f64_e32 v[151:152], v[2:3], v[40:41]
	v_mul_f64_e32 v[40:41], v[4:5], v[40:41]
	ds_load_b128 v[141:144], v1 offset:1312
	v_fma_f64 v[149:150], v[149:150], v[139:140], v[155:156]
	v_fma_f64 v[139:140], v[147:148], v[139:140], -v[157:158]
	v_add_f64_e32 v[153:154], v[153:154], v[161:162]
	v_add_f64_e32 v[155:156], v[145:146], v[159:160]
	scratch_load_b128 v[145:148], off, off offset:720
	v_fma_f64 v[159:160], v[4:5], v[38:39], v[151:152]
	v_fma_f64 v[161:162], v[2:3], v[38:39], -v[40:41]
	ds_load_b128 v[2:5], v1 offset:1328
	s_wait_loadcnt_dscnt 0x801
	v_mul_f64_e32 v[157:158], v[141:142], v[8:9]
	v_mul_f64_e32 v[8:9], v[143:144], v[8:9]
	scratch_load_b128 v[38:41], off, off offset:736
	v_add_f64_e32 v[139:140], v[153:154], v[139:140]
	v_add_f64_e32 v[153:154], v[155:156], v[149:150]
	s_wait_loadcnt_dscnt 0x800
	v_mul_f64_e32 v[155:156], v[2:3], v[12:13]
	v_mul_f64_e32 v[12:13], v[4:5], v[12:13]
	ds_load_b128 v[149:152], v1 offset:1344
	v_fma_f64 v[143:144], v[143:144], v[6:7], v[157:158]
	v_fma_f64 v[6:7], v[141:142], v[6:7], -v[8:9]
	s_wait_loadcnt_dscnt 0x700
	v_mul_f64_e32 v[141:142], v[149:150], v[16:17]
	v_mul_f64_e32 v[16:17], v[151:152], v[16:17]
	v_add_f64_e32 v[8:9], v[139:140], v[161:162]
	v_add_f64_e32 v[139:140], v[153:154], v[159:160]
	v_fma_f64 v[153:154], v[4:5], v[10:11], v[155:156]
	v_fma_f64 v[10:11], v[2:3], v[10:11], -v[12:13]
	v_fma_f64 v[141:142], v[151:152], v[14:15], v[141:142]
	v_fma_f64 v[14:15], v[149:150], v[14:15], -v[16:17]
	v_add_f64_e32 v[12:13], v[8:9], v[6:7]
	v_add_f64_e32 v[139:140], v[139:140], v[143:144]
	ds_load_b128 v[2:5], v1 offset:1360
	ds_load_b128 v[6:9], v1 offset:1376
	s_wait_loadcnt_dscnt 0x601
	v_mul_f64_e32 v[143:144], v[2:3], v[20:21]
	v_mul_f64_e32 v[20:21], v[4:5], v[20:21]
	s_wait_loadcnt_dscnt 0x500
	v_mul_f64_e32 v[16:17], v[6:7], v[24:25]
	v_mul_f64_e32 v[24:25], v[8:9], v[24:25]
	v_add_f64_e32 v[10:11], v[12:13], v[10:11]
	v_add_f64_e32 v[12:13], v[139:140], v[153:154]
	v_fma_f64 v[139:140], v[4:5], v[18:19], v[143:144]
	v_fma_f64 v[18:19], v[2:3], v[18:19], -v[20:21]
	v_fma_f64 v[8:9], v[8:9], v[22:23], v[16:17]
	v_fma_f64 v[6:7], v[6:7], v[22:23], -v[24:25]
	v_add_f64_e32 v[14:15], v[10:11], v[14:15]
	v_add_f64_e32 v[20:21], v[12:13], v[141:142]
	ds_load_b128 v[2:5], v1 offset:1392
	ds_load_b128 v[10:13], v1 offset:1408
	s_wait_loadcnt_dscnt 0x401
	v_mul_f64_e32 v[141:142], v[2:3], v[28:29]
	v_mul_f64_e32 v[28:29], v[4:5], v[28:29]
	v_add_f64_e32 v[14:15], v[14:15], v[18:19]
	v_add_f64_e32 v[16:17], v[20:21], v[139:140]
	s_wait_loadcnt_dscnt 0x300
	v_mul_f64_e32 v[18:19], v[10:11], v[32:33]
	v_mul_f64_e32 v[20:21], v[12:13], v[32:33]
	v_fma_f64 v[22:23], v[4:5], v[26:27], v[141:142]
	v_fma_f64 v[24:25], v[2:3], v[26:27], -v[28:29]
	v_add_f64_e32 v[14:15], v[14:15], v[6:7]
	v_add_f64_e32 v[16:17], v[16:17], v[8:9]
	ds_load_b128 v[2:5], v1 offset:1424
	ds_load_b128 v[6:9], v1 offset:1440
	v_fma_f64 v[12:13], v[12:13], v[30:31], v[18:19]
	v_fma_f64 v[10:11], v[10:11], v[30:31], -v[20:21]
	s_wait_loadcnt_dscnt 0x201
	v_mul_f64_e32 v[26:27], v[2:3], v[36:37]
	v_mul_f64_e32 v[28:29], v[4:5], v[36:37]
	v_add_f64_e32 v[14:15], v[14:15], v[24:25]
	v_add_f64_e32 v[16:17], v[16:17], v[22:23]
	s_wait_loadcnt_dscnt 0x100
	v_mul_f64_e32 v[18:19], v[6:7], v[147:148]
	v_mul_f64_e32 v[20:21], v[8:9], v[147:148]
	v_fma_f64 v[22:23], v[4:5], v[34:35], v[26:27]
	v_fma_f64 v[24:25], v[2:3], v[34:35], -v[28:29]
	ds_load_b128 v[2:5], v1 offset:1456
	v_add_f64_e32 v[10:11], v[14:15], v[10:11]
	v_add_f64_e32 v[12:13], v[16:17], v[12:13]
	s_wait_loadcnt_dscnt 0x0
	v_mul_f64_e32 v[14:15], v[2:3], v[40:41]
	v_mul_f64_e32 v[16:17], v[4:5], v[40:41]
	v_fma_f64 v[8:9], v[8:9], v[145:146], v[18:19]
	v_fma_f64 v[6:7], v[6:7], v[145:146], -v[20:21]
	v_add_f64_e32 v[10:11], v[10:11], v[24:25]
	v_add_f64_e32 v[12:13], v[12:13], v[22:23]
	v_fma_f64 v[4:5], v[4:5], v[38:39], v[14:15]
	v_fma_f64 v[2:3], v[2:3], v[38:39], -v[16:17]
	s_delay_alu instid0(VALU_DEP_4) | instskip(NEXT) | instid1(VALU_DEP_4)
	v_add_f64_e32 v[6:7], v[10:11], v[6:7]
	v_add_f64_e32 v[8:9], v[12:13], v[8:9]
	s_delay_alu instid0(VALU_DEP_2) | instskip(NEXT) | instid1(VALU_DEP_2)
	v_add_f64_e32 v[2:3], v[6:7], v[2:3]
	v_add_f64_e32 v[4:5], v[8:9], v[4:5]
	s_delay_alu instid0(VALU_DEP_2) | instskip(NEXT) | instid1(VALU_DEP_2)
	v_add_f64_e64 v[2:3], v[42:43], -v[2:3]
	v_add_f64_e64 v[4:5], v[44:45], -v[4:5]
	scratch_store_b128 off, v[2:5], off offset:80
	v_cmpx_lt_u32_e32 3, v0
	s_cbranch_execz .LBB45_283
; %bb.282:
	scratch_load_b128 v[5:8], off, s39
	v_dual_mov_b32 v2, v1 :: v_dual_mov_b32 v3, v1
	v_mov_b32_e32 v4, v1
	scratch_store_b128 off, v[1:4], off offset:64
	s_wait_loadcnt 0x0
	ds_store_b128 v138, v[5:8]
.LBB45_283:
	s_wait_alu 0xfffe
	s_or_b32 exec_lo, exec_lo, s0
	s_wait_storecnt_dscnt 0x0
	s_barrier_signal -1
	s_barrier_wait -1
	global_inv scope:SCOPE_SE
	s_clause 0x8
	scratch_load_b128 v[2:5], off, off offset:80
	scratch_load_b128 v[6:9], off, off offset:96
	;; [unrolled: 1-line block ×9, first 2 shown]
	ds_load_b128 v[42:45], v1 offset:800
	ds_load_b128 v[38:41], v1 offset:816
	s_clause 0x1
	scratch_load_b128 v[139:142], off, off offset:64
	scratch_load_b128 v[143:146], off, off offset:224
	s_mov_b32 s0, exec_lo
	s_wait_loadcnt_dscnt 0xa01
	v_mul_f64_e32 v[147:148], v[44:45], v[4:5]
	v_mul_f64_e32 v[4:5], v[42:43], v[4:5]
	s_wait_loadcnt_dscnt 0x900
	v_mul_f64_e32 v[151:152], v[38:39], v[8:9]
	v_mul_f64_e32 v[8:9], v[40:41], v[8:9]
	s_delay_alu instid0(VALU_DEP_4) | instskip(NEXT) | instid1(VALU_DEP_4)
	v_fma_f64 v[153:154], v[42:43], v[2:3], -v[147:148]
	v_fma_f64 v[155:156], v[44:45], v[2:3], v[4:5]
	ds_load_b128 v[2:5], v1 offset:832
	ds_load_b128 v[147:150], v1 offset:848
	scratch_load_b128 v[42:45], off, off offset:240
	v_fma_f64 v[40:41], v[40:41], v[6:7], v[151:152]
	v_fma_f64 v[38:39], v[38:39], v[6:7], -v[8:9]
	scratch_load_b128 v[6:9], off, off offset:256
	s_wait_loadcnt_dscnt 0xa01
	v_mul_f64_e32 v[157:158], v[2:3], v[12:13]
	v_mul_f64_e32 v[12:13], v[4:5], v[12:13]
	v_add_f64_e32 v[151:152], 0, v[153:154]
	v_add_f64_e32 v[153:154], 0, v[155:156]
	s_wait_loadcnt_dscnt 0x900
	v_mul_f64_e32 v[155:156], v[147:148], v[16:17]
	v_mul_f64_e32 v[16:17], v[149:150], v[16:17]
	v_fma_f64 v[157:158], v[4:5], v[10:11], v[157:158]
	v_fma_f64 v[159:160], v[2:3], v[10:11], -v[12:13]
	ds_load_b128 v[2:5], v1 offset:864
	scratch_load_b128 v[10:13], off, off offset:272
	v_add_f64_e32 v[151:152], v[151:152], v[38:39]
	v_add_f64_e32 v[153:154], v[153:154], v[40:41]
	ds_load_b128 v[38:41], v1 offset:880
	v_fma_f64 v[149:150], v[149:150], v[14:15], v[155:156]
	v_fma_f64 v[147:148], v[147:148], v[14:15], -v[16:17]
	scratch_load_b128 v[14:17], off, off offset:288
	s_wait_loadcnt_dscnt 0xa01
	v_mul_f64_e32 v[161:162], v[2:3], v[20:21]
	v_mul_f64_e32 v[20:21], v[4:5], v[20:21]
	s_wait_loadcnt_dscnt 0x900
	v_mul_f64_e32 v[155:156], v[38:39], v[24:25]
	v_mul_f64_e32 v[24:25], v[40:41], v[24:25]
	v_add_f64_e32 v[151:152], v[151:152], v[159:160]
	v_add_f64_e32 v[153:154], v[153:154], v[157:158]
	v_fma_f64 v[157:158], v[4:5], v[18:19], v[161:162]
	v_fma_f64 v[159:160], v[2:3], v[18:19], -v[20:21]
	ds_load_b128 v[2:5], v1 offset:896
	scratch_load_b128 v[18:21], off, off offset:304
	v_fma_f64 v[40:41], v[40:41], v[22:23], v[155:156]
	v_fma_f64 v[38:39], v[38:39], v[22:23], -v[24:25]
	scratch_load_b128 v[22:25], off, off offset:320
	v_add_f64_e32 v[151:152], v[151:152], v[147:148]
	v_add_f64_e32 v[153:154], v[153:154], v[149:150]
	ds_load_b128 v[147:150], v1 offset:912
	s_wait_loadcnt_dscnt 0xa01
	v_mul_f64_e32 v[161:162], v[2:3], v[28:29]
	v_mul_f64_e32 v[28:29], v[4:5], v[28:29]
	s_wait_loadcnt_dscnt 0x900
	v_mul_f64_e32 v[155:156], v[147:148], v[32:33]
	v_mul_f64_e32 v[32:33], v[149:150], v[32:33]
	v_add_f64_e32 v[151:152], v[151:152], v[159:160]
	v_add_f64_e32 v[153:154], v[153:154], v[157:158]
	v_fma_f64 v[157:158], v[4:5], v[26:27], v[161:162]
	v_fma_f64 v[159:160], v[2:3], v[26:27], -v[28:29]
	ds_load_b128 v[2:5], v1 offset:928
	scratch_load_b128 v[26:29], off, off offset:336
	v_fma_f64 v[149:150], v[149:150], v[30:31], v[155:156]
	v_fma_f64 v[147:148], v[147:148], v[30:31], -v[32:33]
	scratch_load_b128 v[30:33], off, off offset:352
	v_add_f64_e32 v[151:152], v[151:152], v[38:39]
	v_add_f64_e32 v[153:154], v[153:154], v[40:41]
	ds_load_b128 v[38:41], v1 offset:944
	s_wait_loadcnt_dscnt 0xa01
	v_mul_f64_e32 v[161:162], v[2:3], v[36:37]
	v_mul_f64_e32 v[36:37], v[4:5], v[36:37]
	s_wait_loadcnt_dscnt 0x800
	v_mul_f64_e32 v[155:156], v[38:39], v[145:146]
	v_add_f64_e32 v[151:152], v[151:152], v[159:160]
	v_add_f64_e32 v[153:154], v[153:154], v[157:158]
	v_mul_f64_e32 v[157:158], v[40:41], v[145:146]
	v_fma_f64 v[159:160], v[4:5], v[34:35], v[161:162]
	v_fma_f64 v[161:162], v[2:3], v[34:35], -v[36:37]
	ds_load_b128 v[2:5], v1 offset:960
	scratch_load_b128 v[34:37], off, off offset:368
	v_fma_f64 v[155:156], v[40:41], v[143:144], v[155:156]
	v_add_f64_e32 v[151:152], v[151:152], v[147:148]
	v_add_f64_e32 v[149:150], v[153:154], v[149:150]
	ds_load_b128 v[145:148], v1 offset:976
	v_fma_f64 v[143:144], v[38:39], v[143:144], -v[157:158]
	scratch_load_b128 v[38:41], off, off offset:384
	s_wait_loadcnt_dscnt 0x901
	v_mul_f64_e32 v[153:154], v[2:3], v[44:45]
	v_mul_f64_e32 v[44:45], v[4:5], v[44:45]
	s_wait_loadcnt_dscnt 0x800
	v_mul_f64_e32 v[157:158], v[145:146], v[8:9]
	v_mul_f64_e32 v[8:9], v[147:148], v[8:9]
	v_add_f64_e32 v[151:152], v[151:152], v[161:162]
	v_add_f64_e32 v[149:150], v[149:150], v[159:160]
	v_fma_f64 v[153:154], v[4:5], v[42:43], v[153:154]
	v_fma_f64 v[159:160], v[2:3], v[42:43], -v[44:45]
	ds_load_b128 v[2:5], v1 offset:992
	scratch_load_b128 v[42:45], off, off offset:400
	v_fma_f64 v[147:148], v[147:148], v[6:7], v[157:158]
	v_fma_f64 v[145:146], v[145:146], v[6:7], -v[8:9]
	scratch_load_b128 v[6:9], off, off offset:416
	v_add_f64_e32 v[143:144], v[151:152], v[143:144]
	v_add_f64_e32 v[155:156], v[149:150], v[155:156]
	ds_load_b128 v[149:152], v1 offset:1008
	s_wait_loadcnt_dscnt 0x901
	v_mul_f64_e32 v[161:162], v[2:3], v[12:13]
	v_mul_f64_e32 v[12:13], v[4:5], v[12:13]
	v_add_f64_e32 v[143:144], v[143:144], v[159:160]
	v_add_f64_e32 v[153:154], v[155:156], v[153:154]
	s_wait_loadcnt_dscnt 0x800
	v_mul_f64_e32 v[155:156], v[149:150], v[16:17]
	v_mul_f64_e32 v[16:17], v[151:152], v[16:17]
	v_fma_f64 v[157:158], v[4:5], v[10:11], v[161:162]
	v_fma_f64 v[159:160], v[2:3], v[10:11], -v[12:13]
	ds_load_b128 v[2:5], v1 offset:1024
	scratch_load_b128 v[10:13], off, off offset:432
	v_add_f64_e32 v[161:162], v[143:144], v[145:146]
	v_add_f64_e32 v[147:148], v[153:154], v[147:148]
	ds_load_b128 v[143:146], v1 offset:1040
	s_wait_loadcnt_dscnt 0x801
	v_mul_f64_e32 v[153:154], v[2:3], v[20:21]
	v_mul_f64_e32 v[20:21], v[4:5], v[20:21]
	v_fma_f64 v[151:152], v[151:152], v[14:15], v[155:156]
	v_fma_f64 v[149:150], v[149:150], v[14:15], -v[16:17]
	scratch_load_b128 v[14:17], off, off offset:448
	v_add_f64_e32 v[155:156], v[161:162], v[159:160]
	v_add_f64_e32 v[147:148], v[147:148], v[157:158]
	s_wait_loadcnt_dscnt 0x800
	v_mul_f64_e32 v[157:158], v[143:144], v[24:25]
	v_mul_f64_e32 v[24:25], v[145:146], v[24:25]
	v_fma_f64 v[153:154], v[4:5], v[18:19], v[153:154]
	v_fma_f64 v[159:160], v[2:3], v[18:19], -v[20:21]
	ds_load_b128 v[2:5], v1 offset:1056
	scratch_load_b128 v[18:21], off, off offset:464
	v_add_f64_e32 v[155:156], v[155:156], v[149:150]
	v_add_f64_e32 v[151:152], v[147:148], v[151:152]
	ds_load_b128 v[147:150], v1 offset:1072
	s_wait_loadcnt_dscnt 0x801
	v_mul_f64_e32 v[161:162], v[2:3], v[28:29]
	v_mul_f64_e32 v[28:29], v[4:5], v[28:29]
	v_fma_f64 v[145:146], v[145:146], v[22:23], v[157:158]
	v_fma_f64 v[143:144], v[143:144], v[22:23], -v[24:25]
	scratch_load_b128 v[22:25], off, off offset:480
	;; [unrolled: 18-line block ×4, first 2 shown]
	s_wait_loadcnt_dscnt 0x800
	v_mul_f64_e32 v[155:156], v[147:148], v[8:9]
	v_mul_f64_e32 v[8:9], v[149:150], v[8:9]
	v_add_f64_e32 v[153:154], v[153:154], v[159:160]
	v_add_f64_e32 v[151:152], v[151:152], v[157:158]
	v_fma_f64 v[157:158], v[4:5], v[42:43], v[161:162]
	v_fma_f64 v[159:160], v[2:3], v[42:43], -v[44:45]
	ds_load_b128 v[2:5], v1 offset:1152
	scratch_load_b128 v[42:45], off, off offset:560
	v_fma_f64 v[149:150], v[149:150], v[6:7], v[155:156]
	v_fma_f64 v[147:148], v[147:148], v[6:7], -v[8:9]
	scratch_load_b128 v[6:9], off, off offset:576
	v_add_f64_e32 v[153:154], v[153:154], v[143:144]
	v_add_f64_e32 v[151:152], v[151:152], v[145:146]
	ds_load_b128 v[143:146], v1 offset:1168
	s_wait_loadcnt_dscnt 0x901
	v_mul_f64_e32 v[161:162], v[2:3], v[12:13]
	v_mul_f64_e32 v[12:13], v[4:5], v[12:13]
	s_wait_loadcnt_dscnt 0x800
	v_mul_f64_e32 v[155:156], v[143:144], v[16:17]
	v_mul_f64_e32 v[16:17], v[145:146], v[16:17]
	v_add_f64_e32 v[153:154], v[153:154], v[159:160]
	v_add_f64_e32 v[151:152], v[151:152], v[157:158]
	v_fma_f64 v[157:158], v[4:5], v[10:11], v[161:162]
	v_fma_f64 v[159:160], v[2:3], v[10:11], -v[12:13]
	ds_load_b128 v[2:5], v1 offset:1184
	scratch_load_b128 v[10:13], off, off offset:592
	v_fma_f64 v[145:146], v[145:146], v[14:15], v[155:156]
	v_fma_f64 v[143:144], v[143:144], v[14:15], -v[16:17]
	scratch_load_b128 v[14:17], off, off offset:608
	v_add_f64_e32 v[153:154], v[153:154], v[147:148]
	v_add_f64_e32 v[151:152], v[151:152], v[149:150]
	ds_load_b128 v[147:150], v1 offset:1200
	s_wait_loadcnt_dscnt 0x901
	v_mul_f64_e32 v[161:162], v[2:3], v[20:21]
	v_mul_f64_e32 v[20:21], v[4:5], v[20:21]
	;; [unrolled: 18-line block ×6, first 2 shown]
	s_wait_loadcnt_dscnt 0x800
	v_mul_f64_e32 v[155:156], v[147:148], v[16:17]
	v_mul_f64_e32 v[16:17], v[149:150], v[16:17]
	v_add_f64_e32 v[153:154], v[153:154], v[159:160]
	v_add_f64_e32 v[151:152], v[151:152], v[157:158]
	v_fma_f64 v[157:158], v[4:5], v[10:11], v[161:162]
	v_fma_f64 v[159:160], v[2:3], v[10:11], -v[12:13]
	ds_load_b128 v[2:5], v1 offset:1344
	ds_load_b128 v[10:13], v1 offset:1360
	v_fma_f64 v[149:150], v[149:150], v[14:15], v[155:156]
	v_fma_f64 v[14:15], v[147:148], v[14:15], -v[16:17]
	v_add_f64_e32 v[143:144], v[153:154], v[143:144]
	v_add_f64_e32 v[145:146], v[151:152], v[145:146]
	s_wait_loadcnt_dscnt 0x701
	v_mul_f64_e32 v[151:152], v[2:3], v[20:21]
	v_mul_f64_e32 v[20:21], v[4:5], v[20:21]
	s_delay_alu instid0(VALU_DEP_4) | instskip(NEXT) | instid1(VALU_DEP_4)
	v_add_f64_e32 v[16:17], v[143:144], v[159:160]
	v_add_f64_e32 v[143:144], v[145:146], v[157:158]
	s_wait_loadcnt_dscnt 0x600
	v_mul_f64_e32 v[145:146], v[10:11], v[24:25]
	v_mul_f64_e32 v[24:25], v[12:13], v[24:25]
	v_fma_f64 v[147:148], v[4:5], v[18:19], v[151:152]
	v_fma_f64 v[18:19], v[2:3], v[18:19], -v[20:21]
	v_add_f64_e32 v[20:21], v[16:17], v[14:15]
	v_add_f64_e32 v[143:144], v[143:144], v[149:150]
	ds_load_b128 v[2:5], v1 offset:1376
	ds_load_b128 v[14:17], v1 offset:1392
	v_fma_f64 v[12:13], v[12:13], v[22:23], v[145:146]
	v_fma_f64 v[10:11], v[10:11], v[22:23], -v[24:25]
	s_wait_loadcnt_dscnt 0x501
	v_mul_f64_e32 v[149:150], v[2:3], v[28:29]
	v_mul_f64_e32 v[28:29], v[4:5], v[28:29]
	s_wait_loadcnt_dscnt 0x400
	v_mul_f64_e32 v[22:23], v[14:15], v[32:33]
	v_mul_f64_e32 v[24:25], v[16:17], v[32:33]
	v_add_f64_e32 v[18:19], v[20:21], v[18:19]
	v_add_f64_e32 v[20:21], v[143:144], v[147:148]
	v_fma_f64 v[32:33], v[4:5], v[26:27], v[149:150]
	v_fma_f64 v[26:27], v[2:3], v[26:27], -v[28:29]
	v_fma_f64 v[16:17], v[16:17], v[30:31], v[22:23]
	v_fma_f64 v[14:15], v[14:15], v[30:31], -v[24:25]
	v_add_f64_e32 v[18:19], v[18:19], v[10:11]
	v_add_f64_e32 v[20:21], v[20:21], v[12:13]
	ds_load_b128 v[2:5], v1 offset:1408
	ds_load_b128 v[10:13], v1 offset:1424
	s_wait_loadcnt_dscnt 0x301
	v_mul_f64_e32 v[28:29], v[2:3], v[36:37]
	v_mul_f64_e32 v[36:37], v[4:5], v[36:37]
	s_wait_loadcnt_dscnt 0x200
	v_mul_f64_e32 v[22:23], v[10:11], v[40:41]
	v_mul_f64_e32 v[24:25], v[12:13], v[40:41]
	v_add_f64_e32 v[18:19], v[18:19], v[26:27]
	v_add_f64_e32 v[20:21], v[20:21], v[32:33]
	v_fma_f64 v[26:27], v[4:5], v[34:35], v[28:29]
	v_fma_f64 v[28:29], v[2:3], v[34:35], -v[36:37]
	v_fma_f64 v[12:13], v[12:13], v[38:39], v[22:23]
	v_fma_f64 v[10:11], v[10:11], v[38:39], -v[24:25]
	v_add_f64_e32 v[18:19], v[18:19], v[14:15]
	v_add_f64_e32 v[20:21], v[20:21], v[16:17]
	ds_load_b128 v[2:5], v1 offset:1440
	ds_load_b128 v[14:17], v1 offset:1456
	s_wait_loadcnt_dscnt 0x101
	v_mul_f64_e32 v[30:31], v[2:3], v[44:45]
	v_mul_f64_e32 v[32:33], v[4:5], v[44:45]
	s_wait_loadcnt_dscnt 0x0
	v_mul_f64_e32 v[22:23], v[14:15], v[8:9]
	v_mul_f64_e32 v[8:9], v[16:17], v[8:9]
	v_add_f64_e32 v[18:19], v[18:19], v[28:29]
	v_add_f64_e32 v[20:21], v[20:21], v[26:27]
	v_fma_f64 v[4:5], v[4:5], v[42:43], v[30:31]
	v_fma_f64 v[1:2], v[2:3], v[42:43], -v[32:33]
	v_fma_f64 v[16:17], v[16:17], v[6:7], v[22:23]
	v_fma_f64 v[6:7], v[14:15], v[6:7], -v[8:9]
	v_add_f64_e32 v[10:11], v[18:19], v[10:11]
	v_add_f64_e32 v[12:13], v[20:21], v[12:13]
	s_delay_alu instid0(VALU_DEP_2) | instskip(NEXT) | instid1(VALU_DEP_2)
	v_add_f64_e32 v[1:2], v[10:11], v[1:2]
	v_add_f64_e32 v[3:4], v[12:13], v[4:5]
	s_delay_alu instid0(VALU_DEP_2) | instskip(NEXT) | instid1(VALU_DEP_2)
	;; [unrolled: 3-line block ×3, first 2 shown]
	v_add_f64_e64 v[1:2], v[139:140], -v[1:2]
	v_add_f64_e64 v[3:4], v[141:142], -v[3:4]
	scratch_store_b128 off, v[1:4], off offset:64
	v_cmpx_lt_u32_e32 2, v0
	s_cbranch_execz .LBB45_285
; %bb.284:
	scratch_load_b128 v[1:4], off, s40
	v_mov_b32_e32 v5, 0
	s_delay_alu instid0(VALU_DEP_1)
	v_dual_mov_b32 v6, v5 :: v_dual_mov_b32 v7, v5
	v_mov_b32_e32 v8, v5
	scratch_store_b128 off, v[5:8], off offset:48
	s_wait_loadcnt 0x0
	ds_store_b128 v138, v[1:4]
.LBB45_285:
	s_wait_alu 0xfffe
	s_or_b32 exec_lo, exec_lo, s0
	s_wait_storecnt_dscnt 0x0
	s_barrier_signal -1
	s_barrier_wait -1
	global_inv scope:SCOPE_SE
	s_clause 0x7
	scratch_load_b128 v[2:5], off, off offset:64
	scratch_load_b128 v[6:9], off, off offset:80
	;; [unrolled: 1-line block ×8, first 2 shown]
	v_mov_b32_e32 v1, 0
	s_mov_b32 s0, exec_lo
	ds_load_b128 v[38:41], v1 offset:784
	s_clause 0x1
	scratch_load_b128 v[34:37], off, off offset:192
	scratch_load_b128 v[42:45], off, off offset:48
	ds_load_b128 v[139:142], v1 offset:800
	scratch_load_b128 v[143:146], off, off offset:208
	s_wait_loadcnt_dscnt 0xa01
	v_mul_f64_e32 v[147:148], v[40:41], v[4:5]
	v_mul_f64_e32 v[4:5], v[38:39], v[4:5]
	s_delay_alu instid0(VALU_DEP_2) | instskip(NEXT) | instid1(VALU_DEP_2)
	v_fma_f64 v[153:154], v[38:39], v[2:3], -v[147:148]
	v_fma_f64 v[155:156], v[40:41], v[2:3], v[4:5]
	ds_load_b128 v[2:5], v1 offset:816
	s_wait_loadcnt_dscnt 0x901
	v_mul_f64_e32 v[151:152], v[139:140], v[8:9]
	v_mul_f64_e32 v[8:9], v[141:142], v[8:9]
	scratch_load_b128 v[38:41], off, off offset:224
	ds_load_b128 v[147:150], v1 offset:832
	s_wait_loadcnt_dscnt 0x901
	v_mul_f64_e32 v[157:158], v[2:3], v[12:13]
	v_mul_f64_e32 v[12:13], v[4:5], v[12:13]
	v_fma_f64 v[141:142], v[141:142], v[6:7], v[151:152]
	v_fma_f64 v[139:140], v[139:140], v[6:7], -v[8:9]
	v_add_f64_e32 v[151:152], 0, v[153:154]
	v_add_f64_e32 v[153:154], 0, v[155:156]
	scratch_load_b128 v[6:9], off, off offset:240
	v_fma_f64 v[157:158], v[4:5], v[10:11], v[157:158]
	v_fma_f64 v[159:160], v[2:3], v[10:11], -v[12:13]
	ds_load_b128 v[2:5], v1 offset:848
	s_wait_loadcnt_dscnt 0x901
	v_mul_f64_e32 v[155:156], v[147:148], v[16:17]
	v_mul_f64_e32 v[16:17], v[149:150], v[16:17]
	scratch_load_b128 v[10:13], off, off offset:256
	v_add_f64_e32 v[151:152], v[151:152], v[139:140]
	v_add_f64_e32 v[153:154], v[153:154], v[141:142]
	s_wait_loadcnt_dscnt 0x900
	v_mul_f64_e32 v[161:162], v[2:3], v[20:21]
	v_mul_f64_e32 v[20:21], v[4:5], v[20:21]
	ds_load_b128 v[139:142], v1 offset:864
	v_fma_f64 v[149:150], v[149:150], v[14:15], v[155:156]
	v_fma_f64 v[147:148], v[147:148], v[14:15], -v[16:17]
	scratch_load_b128 v[14:17], off, off offset:272
	v_add_f64_e32 v[151:152], v[151:152], v[159:160]
	v_add_f64_e32 v[153:154], v[153:154], v[157:158]
	v_fma_f64 v[157:158], v[4:5], v[18:19], v[161:162]
	v_fma_f64 v[159:160], v[2:3], v[18:19], -v[20:21]
	ds_load_b128 v[2:5], v1 offset:880
	s_wait_loadcnt_dscnt 0x901
	v_mul_f64_e32 v[155:156], v[139:140], v[24:25]
	v_mul_f64_e32 v[24:25], v[141:142], v[24:25]
	scratch_load_b128 v[18:21], off, off offset:288
	s_wait_loadcnt_dscnt 0x900
	v_mul_f64_e32 v[161:162], v[2:3], v[28:29]
	v_mul_f64_e32 v[28:29], v[4:5], v[28:29]
	v_add_f64_e32 v[151:152], v[151:152], v[147:148]
	v_add_f64_e32 v[153:154], v[153:154], v[149:150]
	ds_load_b128 v[147:150], v1 offset:896
	v_fma_f64 v[141:142], v[141:142], v[22:23], v[155:156]
	v_fma_f64 v[139:140], v[139:140], v[22:23], -v[24:25]
	scratch_load_b128 v[22:25], off, off offset:304
	v_add_f64_e32 v[151:152], v[151:152], v[159:160]
	v_add_f64_e32 v[153:154], v[153:154], v[157:158]
	v_fma_f64 v[157:158], v[4:5], v[26:27], v[161:162]
	v_fma_f64 v[159:160], v[2:3], v[26:27], -v[28:29]
	ds_load_b128 v[2:5], v1 offset:912
	s_wait_loadcnt_dscnt 0x901
	v_mul_f64_e32 v[155:156], v[147:148], v[32:33]
	v_mul_f64_e32 v[32:33], v[149:150], v[32:33]
	scratch_load_b128 v[26:29], off, off offset:320
	s_wait_loadcnt_dscnt 0x900
	v_mul_f64_e32 v[161:162], v[2:3], v[36:37]
	v_mul_f64_e32 v[36:37], v[4:5], v[36:37]
	v_add_f64_e32 v[151:152], v[151:152], v[139:140]
	v_add_f64_e32 v[153:154], v[153:154], v[141:142]
	ds_load_b128 v[139:142], v1 offset:928
	v_fma_f64 v[149:150], v[149:150], v[30:31], v[155:156]
	v_fma_f64 v[147:148], v[147:148], v[30:31], -v[32:33]
	scratch_load_b128 v[30:33], off, off offset:336
	v_add_f64_e32 v[151:152], v[151:152], v[159:160]
	v_add_f64_e32 v[153:154], v[153:154], v[157:158]
	v_fma_f64 v[159:160], v[4:5], v[34:35], v[161:162]
	v_fma_f64 v[161:162], v[2:3], v[34:35], -v[36:37]
	ds_load_b128 v[2:5], v1 offset:944
	s_wait_loadcnt_dscnt 0x801
	v_mul_f64_e32 v[155:156], v[139:140], v[145:146]
	v_mul_f64_e32 v[157:158], v[141:142], v[145:146]
	scratch_load_b128 v[34:37], off, off offset:352
	v_add_f64_e32 v[151:152], v[151:152], v[147:148]
	v_add_f64_e32 v[149:150], v[153:154], v[149:150]
	ds_load_b128 v[145:148], v1 offset:960
	v_fma_f64 v[155:156], v[141:142], v[143:144], v[155:156]
	v_fma_f64 v[143:144], v[139:140], v[143:144], -v[157:158]
	scratch_load_b128 v[139:142], off, off offset:368
	s_wait_loadcnt_dscnt 0x901
	v_mul_f64_e32 v[153:154], v[2:3], v[40:41]
	v_mul_f64_e32 v[40:41], v[4:5], v[40:41]
	v_add_f64_e32 v[151:152], v[151:152], v[161:162]
	v_add_f64_e32 v[149:150], v[149:150], v[159:160]
	s_delay_alu instid0(VALU_DEP_4) | instskip(NEXT) | instid1(VALU_DEP_4)
	v_fma_f64 v[153:154], v[4:5], v[38:39], v[153:154]
	v_fma_f64 v[159:160], v[2:3], v[38:39], -v[40:41]
	ds_load_b128 v[2:5], v1 offset:976
	s_wait_loadcnt_dscnt 0x801
	v_mul_f64_e32 v[157:158], v[145:146], v[8:9]
	v_mul_f64_e32 v[8:9], v[147:148], v[8:9]
	scratch_load_b128 v[38:41], off, off offset:384
	s_wait_loadcnt_dscnt 0x800
	v_mul_f64_e32 v[161:162], v[2:3], v[12:13]
	v_add_f64_e32 v[143:144], v[151:152], v[143:144]
	v_add_f64_e32 v[155:156], v[149:150], v[155:156]
	v_mul_f64_e32 v[12:13], v[4:5], v[12:13]
	ds_load_b128 v[149:152], v1 offset:992
	v_fma_f64 v[147:148], v[147:148], v[6:7], v[157:158]
	v_fma_f64 v[145:146], v[145:146], v[6:7], -v[8:9]
	scratch_load_b128 v[6:9], off, off offset:400
	v_fma_f64 v[157:158], v[4:5], v[10:11], v[161:162]
	v_add_f64_e32 v[143:144], v[143:144], v[159:160]
	v_add_f64_e32 v[153:154], v[155:156], v[153:154]
	v_fma_f64 v[159:160], v[2:3], v[10:11], -v[12:13]
	ds_load_b128 v[2:5], v1 offset:1008
	s_wait_loadcnt_dscnt 0x801
	v_mul_f64_e32 v[155:156], v[149:150], v[16:17]
	v_mul_f64_e32 v[16:17], v[151:152], v[16:17]
	scratch_load_b128 v[10:13], off, off offset:416
	v_add_f64_e32 v[161:162], v[143:144], v[145:146]
	v_add_f64_e32 v[147:148], v[153:154], v[147:148]
	s_wait_loadcnt_dscnt 0x800
	v_mul_f64_e32 v[153:154], v[2:3], v[20:21]
	v_mul_f64_e32 v[20:21], v[4:5], v[20:21]
	v_fma_f64 v[151:152], v[151:152], v[14:15], v[155:156]
	v_fma_f64 v[149:150], v[149:150], v[14:15], -v[16:17]
	ds_load_b128 v[143:146], v1 offset:1024
	scratch_load_b128 v[14:17], off, off offset:432
	v_add_f64_e32 v[155:156], v[161:162], v[159:160]
	v_add_f64_e32 v[147:148], v[147:148], v[157:158]
	v_fma_f64 v[153:154], v[4:5], v[18:19], v[153:154]
	v_fma_f64 v[159:160], v[2:3], v[18:19], -v[20:21]
	ds_load_b128 v[2:5], v1 offset:1040
	s_wait_loadcnt_dscnt 0x801
	v_mul_f64_e32 v[157:158], v[143:144], v[24:25]
	v_mul_f64_e32 v[24:25], v[145:146], v[24:25]
	scratch_load_b128 v[18:21], off, off offset:448
	s_wait_loadcnt_dscnt 0x800
	v_mul_f64_e32 v[161:162], v[2:3], v[28:29]
	v_mul_f64_e32 v[28:29], v[4:5], v[28:29]
	v_add_f64_e32 v[155:156], v[155:156], v[149:150]
	v_add_f64_e32 v[151:152], v[147:148], v[151:152]
	ds_load_b128 v[147:150], v1 offset:1056
	v_fma_f64 v[145:146], v[145:146], v[22:23], v[157:158]
	v_fma_f64 v[143:144], v[143:144], v[22:23], -v[24:25]
	scratch_load_b128 v[22:25], off, off offset:464
	v_fma_f64 v[157:158], v[4:5], v[26:27], v[161:162]
	v_add_f64_e32 v[155:156], v[155:156], v[159:160]
	v_add_f64_e32 v[151:152], v[151:152], v[153:154]
	v_fma_f64 v[159:160], v[2:3], v[26:27], -v[28:29]
	ds_load_b128 v[2:5], v1 offset:1072
	s_wait_loadcnt_dscnt 0x801
	v_mul_f64_e32 v[153:154], v[147:148], v[32:33]
	v_mul_f64_e32 v[32:33], v[149:150], v[32:33]
	scratch_load_b128 v[26:29], off, off offset:480
	s_wait_loadcnt_dscnt 0x800
	v_mul_f64_e32 v[161:162], v[2:3], v[36:37]
	v_mul_f64_e32 v[36:37], v[4:5], v[36:37]
	v_add_f64_e32 v[155:156], v[155:156], v[143:144]
	v_add_f64_e32 v[151:152], v[151:152], v[145:146]
	ds_load_b128 v[143:146], v1 offset:1088
	v_fma_f64 v[149:150], v[149:150], v[30:31], v[153:154]
	v_fma_f64 v[147:148], v[147:148], v[30:31], -v[32:33]
	scratch_load_b128 v[30:33], off, off offset:496
	v_add_f64_e32 v[153:154], v[155:156], v[159:160]
	v_add_f64_e32 v[151:152], v[151:152], v[157:158]
	v_fma_f64 v[157:158], v[4:5], v[34:35], v[161:162]
	v_fma_f64 v[159:160], v[2:3], v[34:35], -v[36:37]
	ds_load_b128 v[2:5], v1 offset:1104
	s_wait_loadcnt_dscnt 0x801
	v_mul_f64_e32 v[155:156], v[143:144], v[141:142]
	v_mul_f64_e32 v[141:142], v[145:146], v[141:142]
	scratch_load_b128 v[34:37], off, off offset:512
	s_wait_loadcnt_dscnt 0x800
	v_mul_f64_e32 v[161:162], v[2:3], v[40:41]
	v_mul_f64_e32 v[40:41], v[4:5], v[40:41]
	v_add_f64_e32 v[153:154], v[153:154], v[147:148]
	v_add_f64_e32 v[151:152], v[151:152], v[149:150]
	ds_load_b128 v[147:150], v1 offset:1120
	v_fma_f64 v[145:146], v[145:146], v[139:140], v[155:156]
	v_fma_f64 v[143:144], v[143:144], v[139:140], -v[141:142]
	scratch_load_b128 v[139:142], off, off offset:528
	v_add_f64_e32 v[153:154], v[153:154], v[159:160]
	v_add_f64_e32 v[151:152], v[151:152], v[157:158]
	v_fma_f64 v[157:158], v[4:5], v[38:39], v[161:162]
	;; [unrolled: 18-line block ×6, first 2 shown]
	v_fma_f64 v[161:162], v[2:3], v[34:35], -v[36:37]
	ds_load_b128 v[2:5], v1 offset:1264
	s_wait_loadcnt_dscnt 0x801
	v_mul_f64_e32 v[155:156], v[147:148], v[141:142]
	v_mul_f64_e32 v[157:158], v[149:150], v[141:142]
	scratch_load_b128 v[34:37], off, off offset:672
	v_add_f64_e32 v[153:154], v[153:154], v[143:144]
	v_add_f64_e32 v[145:146], v[151:152], v[145:146]
	s_wait_loadcnt_dscnt 0x800
	v_mul_f64_e32 v[151:152], v[2:3], v[40:41]
	v_mul_f64_e32 v[40:41], v[4:5], v[40:41]
	ds_load_b128 v[141:144], v1 offset:1280
	v_fma_f64 v[149:150], v[149:150], v[139:140], v[155:156]
	v_fma_f64 v[139:140], v[147:148], v[139:140], -v[157:158]
	v_add_f64_e32 v[153:154], v[153:154], v[161:162]
	v_add_f64_e32 v[155:156], v[145:146], v[159:160]
	scratch_load_b128 v[145:148], off, off offset:688
	v_fma_f64 v[159:160], v[4:5], v[38:39], v[151:152]
	v_fma_f64 v[161:162], v[2:3], v[38:39], -v[40:41]
	ds_load_b128 v[2:5], v1 offset:1296
	s_wait_loadcnt_dscnt 0x801
	v_mul_f64_e32 v[157:158], v[141:142], v[8:9]
	v_mul_f64_e32 v[8:9], v[143:144], v[8:9]
	scratch_load_b128 v[38:41], off, off offset:704
	v_add_f64_e32 v[139:140], v[153:154], v[139:140]
	v_add_f64_e32 v[153:154], v[155:156], v[149:150]
	s_wait_loadcnt_dscnt 0x800
	v_mul_f64_e32 v[155:156], v[2:3], v[12:13]
	v_mul_f64_e32 v[12:13], v[4:5], v[12:13]
	ds_load_b128 v[149:152], v1 offset:1312
	v_fma_f64 v[143:144], v[143:144], v[6:7], v[157:158]
	v_fma_f64 v[141:142], v[141:142], v[6:7], -v[8:9]
	scratch_load_b128 v[6:9], off, off offset:720
	v_add_f64_e32 v[139:140], v[139:140], v[161:162]
	v_add_f64_e32 v[153:154], v[153:154], v[159:160]
	v_fma_f64 v[155:156], v[4:5], v[10:11], v[155:156]
	v_fma_f64 v[159:160], v[2:3], v[10:11], -v[12:13]
	ds_load_b128 v[2:5], v1 offset:1328
	s_wait_loadcnt_dscnt 0x801
	v_mul_f64_e32 v[157:158], v[149:150], v[16:17]
	v_mul_f64_e32 v[16:17], v[151:152], v[16:17]
	scratch_load_b128 v[10:13], off, off offset:736
	v_add_f64_e32 v[161:162], v[139:140], v[141:142]
	v_add_f64_e32 v[143:144], v[153:154], v[143:144]
	s_wait_loadcnt_dscnt 0x800
	v_mul_f64_e32 v[153:154], v[2:3], v[20:21]
	v_mul_f64_e32 v[20:21], v[4:5], v[20:21]
	ds_load_b128 v[139:142], v1 offset:1344
	v_fma_f64 v[151:152], v[151:152], v[14:15], v[157:158]
	v_fma_f64 v[14:15], v[149:150], v[14:15], -v[16:17]
	s_wait_loadcnt_dscnt 0x700
	v_mul_f64_e32 v[149:150], v[139:140], v[24:25]
	v_mul_f64_e32 v[24:25], v[141:142], v[24:25]
	v_add_f64_e32 v[16:17], v[161:162], v[159:160]
	v_add_f64_e32 v[143:144], v[143:144], v[155:156]
	v_fma_f64 v[153:154], v[4:5], v[18:19], v[153:154]
	v_fma_f64 v[18:19], v[2:3], v[18:19], -v[20:21]
	v_fma_f64 v[141:142], v[141:142], v[22:23], v[149:150]
	v_fma_f64 v[22:23], v[139:140], v[22:23], -v[24:25]
	v_add_f64_e32 v[20:21], v[16:17], v[14:15]
	v_add_f64_e32 v[143:144], v[143:144], v[151:152]
	ds_load_b128 v[2:5], v1 offset:1360
	ds_load_b128 v[14:17], v1 offset:1376
	s_wait_loadcnt_dscnt 0x601
	v_mul_f64_e32 v[151:152], v[2:3], v[28:29]
	v_mul_f64_e32 v[28:29], v[4:5], v[28:29]
	s_wait_loadcnt_dscnt 0x500
	v_mul_f64_e32 v[24:25], v[14:15], v[32:33]
	v_mul_f64_e32 v[32:33], v[16:17], v[32:33]
	v_add_f64_e32 v[18:19], v[20:21], v[18:19]
	v_add_f64_e32 v[20:21], v[143:144], v[153:154]
	v_fma_f64 v[139:140], v[4:5], v[26:27], v[151:152]
	v_fma_f64 v[26:27], v[2:3], v[26:27], -v[28:29]
	v_fma_f64 v[16:17], v[16:17], v[30:31], v[24:25]
	v_fma_f64 v[14:15], v[14:15], v[30:31], -v[32:33]
	v_add_f64_e32 v[22:23], v[18:19], v[22:23]
	v_add_f64_e32 v[28:29], v[20:21], v[141:142]
	ds_load_b128 v[2:5], v1 offset:1392
	ds_load_b128 v[18:21], v1 offset:1408
	s_wait_loadcnt_dscnt 0x401
	v_mul_f64_e32 v[141:142], v[2:3], v[36:37]
	v_mul_f64_e32 v[36:37], v[4:5], v[36:37]
	v_add_f64_e32 v[22:23], v[22:23], v[26:27]
	v_add_f64_e32 v[24:25], v[28:29], v[139:140]
	s_wait_loadcnt_dscnt 0x300
	v_mul_f64_e32 v[26:27], v[18:19], v[147:148]
	v_mul_f64_e32 v[28:29], v[20:21], v[147:148]
	v_fma_f64 v[30:31], v[4:5], v[34:35], v[141:142]
	v_fma_f64 v[32:33], v[2:3], v[34:35], -v[36:37]
	v_add_f64_e32 v[22:23], v[22:23], v[14:15]
	v_add_f64_e32 v[24:25], v[24:25], v[16:17]
	ds_load_b128 v[2:5], v1 offset:1424
	ds_load_b128 v[14:17], v1 offset:1440
	v_fma_f64 v[20:21], v[20:21], v[145:146], v[26:27]
	v_fma_f64 v[18:19], v[18:19], v[145:146], -v[28:29]
	s_wait_loadcnt_dscnt 0x201
	v_mul_f64_e32 v[34:35], v[2:3], v[40:41]
	v_mul_f64_e32 v[36:37], v[4:5], v[40:41]
	s_wait_loadcnt_dscnt 0x100
	v_mul_f64_e32 v[26:27], v[14:15], v[8:9]
	v_mul_f64_e32 v[8:9], v[16:17], v[8:9]
	v_add_f64_e32 v[22:23], v[22:23], v[32:33]
	v_add_f64_e32 v[24:25], v[24:25], v[30:31]
	v_fma_f64 v[28:29], v[4:5], v[38:39], v[34:35]
	v_fma_f64 v[30:31], v[2:3], v[38:39], -v[36:37]
	ds_load_b128 v[2:5], v1 offset:1456
	v_fma_f64 v[16:17], v[16:17], v[6:7], v[26:27]
	v_fma_f64 v[6:7], v[14:15], v[6:7], -v[8:9]
	v_add_f64_e32 v[18:19], v[22:23], v[18:19]
	v_add_f64_e32 v[20:21], v[24:25], v[20:21]
	s_wait_loadcnt_dscnt 0x0
	v_mul_f64_e32 v[22:23], v[2:3], v[12:13]
	v_mul_f64_e32 v[12:13], v[4:5], v[12:13]
	s_delay_alu instid0(VALU_DEP_4) | instskip(NEXT) | instid1(VALU_DEP_4)
	v_add_f64_e32 v[8:9], v[18:19], v[30:31]
	v_add_f64_e32 v[14:15], v[20:21], v[28:29]
	s_delay_alu instid0(VALU_DEP_4) | instskip(NEXT) | instid1(VALU_DEP_4)
	v_fma_f64 v[4:5], v[4:5], v[10:11], v[22:23]
	v_fma_f64 v[2:3], v[2:3], v[10:11], -v[12:13]
	s_delay_alu instid0(VALU_DEP_4) | instskip(NEXT) | instid1(VALU_DEP_4)
	v_add_f64_e32 v[6:7], v[8:9], v[6:7]
	v_add_f64_e32 v[8:9], v[14:15], v[16:17]
	s_delay_alu instid0(VALU_DEP_2) | instskip(NEXT) | instid1(VALU_DEP_2)
	v_add_f64_e32 v[2:3], v[6:7], v[2:3]
	v_add_f64_e32 v[4:5], v[8:9], v[4:5]
	s_delay_alu instid0(VALU_DEP_2) | instskip(NEXT) | instid1(VALU_DEP_2)
	v_add_f64_e64 v[2:3], v[42:43], -v[2:3]
	v_add_f64_e64 v[4:5], v[44:45], -v[4:5]
	scratch_store_b128 off, v[2:5], off offset:48
	v_cmpx_lt_u32_e32 1, v0
	s_cbranch_execz .LBB45_287
; %bb.286:
	scratch_load_b128 v[5:8], off, s41
	v_dual_mov_b32 v2, v1 :: v_dual_mov_b32 v3, v1
	v_mov_b32_e32 v4, v1
	scratch_store_b128 off, v[1:4], off offset:32
	s_wait_loadcnt 0x0
	ds_store_b128 v138, v[5:8]
.LBB45_287:
	s_wait_alu 0xfffe
	s_or_b32 exec_lo, exec_lo, s0
	s_wait_storecnt_dscnt 0x0
	s_barrier_signal -1
	s_barrier_wait -1
	global_inv scope:SCOPE_SE
	s_clause 0x8
	scratch_load_b128 v[2:5], off, off offset:48
	scratch_load_b128 v[6:9], off, off offset:64
	;; [unrolled: 1-line block ×9, first 2 shown]
	ds_load_b128 v[42:45], v1 offset:768
	ds_load_b128 v[38:41], v1 offset:784
	s_clause 0x1
	scratch_load_b128 v[139:142], off, off offset:32
	scratch_load_b128 v[143:146], off, off offset:192
	s_mov_b32 s0, exec_lo
	s_wait_loadcnt_dscnt 0xa01
	v_mul_f64_e32 v[147:148], v[44:45], v[4:5]
	v_mul_f64_e32 v[4:5], v[42:43], v[4:5]
	s_wait_loadcnt_dscnt 0x900
	v_mul_f64_e32 v[151:152], v[38:39], v[8:9]
	v_mul_f64_e32 v[8:9], v[40:41], v[8:9]
	s_delay_alu instid0(VALU_DEP_4) | instskip(NEXT) | instid1(VALU_DEP_4)
	v_fma_f64 v[153:154], v[42:43], v[2:3], -v[147:148]
	v_fma_f64 v[155:156], v[44:45], v[2:3], v[4:5]
	ds_load_b128 v[2:5], v1 offset:800
	ds_load_b128 v[147:150], v1 offset:816
	scratch_load_b128 v[42:45], off, off offset:208
	v_fma_f64 v[40:41], v[40:41], v[6:7], v[151:152]
	v_fma_f64 v[38:39], v[38:39], v[6:7], -v[8:9]
	scratch_load_b128 v[6:9], off, off offset:224
	s_wait_loadcnt_dscnt 0xa01
	v_mul_f64_e32 v[157:158], v[2:3], v[12:13]
	v_mul_f64_e32 v[12:13], v[4:5], v[12:13]
	v_add_f64_e32 v[151:152], 0, v[153:154]
	v_add_f64_e32 v[153:154], 0, v[155:156]
	s_wait_loadcnt_dscnt 0x900
	v_mul_f64_e32 v[155:156], v[147:148], v[16:17]
	v_mul_f64_e32 v[16:17], v[149:150], v[16:17]
	v_fma_f64 v[157:158], v[4:5], v[10:11], v[157:158]
	v_fma_f64 v[159:160], v[2:3], v[10:11], -v[12:13]
	ds_load_b128 v[2:5], v1 offset:832
	scratch_load_b128 v[10:13], off, off offset:240
	v_add_f64_e32 v[151:152], v[151:152], v[38:39]
	v_add_f64_e32 v[153:154], v[153:154], v[40:41]
	ds_load_b128 v[38:41], v1 offset:848
	v_fma_f64 v[149:150], v[149:150], v[14:15], v[155:156]
	v_fma_f64 v[147:148], v[147:148], v[14:15], -v[16:17]
	scratch_load_b128 v[14:17], off, off offset:256
	s_wait_loadcnt_dscnt 0xa01
	v_mul_f64_e32 v[161:162], v[2:3], v[20:21]
	v_mul_f64_e32 v[20:21], v[4:5], v[20:21]
	s_wait_loadcnt_dscnt 0x900
	v_mul_f64_e32 v[155:156], v[38:39], v[24:25]
	v_mul_f64_e32 v[24:25], v[40:41], v[24:25]
	v_add_f64_e32 v[151:152], v[151:152], v[159:160]
	v_add_f64_e32 v[153:154], v[153:154], v[157:158]
	v_fma_f64 v[157:158], v[4:5], v[18:19], v[161:162]
	v_fma_f64 v[159:160], v[2:3], v[18:19], -v[20:21]
	ds_load_b128 v[2:5], v1 offset:864
	scratch_load_b128 v[18:21], off, off offset:272
	v_fma_f64 v[40:41], v[40:41], v[22:23], v[155:156]
	v_fma_f64 v[38:39], v[38:39], v[22:23], -v[24:25]
	scratch_load_b128 v[22:25], off, off offset:288
	v_add_f64_e32 v[151:152], v[151:152], v[147:148]
	v_add_f64_e32 v[153:154], v[153:154], v[149:150]
	ds_load_b128 v[147:150], v1 offset:880
	s_wait_loadcnt_dscnt 0xa01
	v_mul_f64_e32 v[161:162], v[2:3], v[28:29]
	v_mul_f64_e32 v[28:29], v[4:5], v[28:29]
	s_wait_loadcnt_dscnt 0x900
	v_mul_f64_e32 v[155:156], v[147:148], v[32:33]
	v_mul_f64_e32 v[32:33], v[149:150], v[32:33]
	v_add_f64_e32 v[151:152], v[151:152], v[159:160]
	v_add_f64_e32 v[153:154], v[153:154], v[157:158]
	v_fma_f64 v[157:158], v[4:5], v[26:27], v[161:162]
	v_fma_f64 v[159:160], v[2:3], v[26:27], -v[28:29]
	ds_load_b128 v[2:5], v1 offset:896
	scratch_load_b128 v[26:29], off, off offset:304
	v_fma_f64 v[149:150], v[149:150], v[30:31], v[155:156]
	v_fma_f64 v[147:148], v[147:148], v[30:31], -v[32:33]
	scratch_load_b128 v[30:33], off, off offset:320
	v_add_f64_e32 v[151:152], v[151:152], v[38:39]
	v_add_f64_e32 v[153:154], v[153:154], v[40:41]
	ds_load_b128 v[38:41], v1 offset:912
	s_wait_loadcnt_dscnt 0xa01
	v_mul_f64_e32 v[161:162], v[2:3], v[36:37]
	v_mul_f64_e32 v[36:37], v[4:5], v[36:37]
	s_wait_loadcnt_dscnt 0x800
	v_mul_f64_e32 v[155:156], v[38:39], v[145:146]
	v_add_f64_e32 v[151:152], v[151:152], v[159:160]
	v_add_f64_e32 v[153:154], v[153:154], v[157:158]
	v_mul_f64_e32 v[157:158], v[40:41], v[145:146]
	v_fma_f64 v[159:160], v[4:5], v[34:35], v[161:162]
	v_fma_f64 v[161:162], v[2:3], v[34:35], -v[36:37]
	ds_load_b128 v[2:5], v1 offset:928
	scratch_load_b128 v[34:37], off, off offset:336
	v_fma_f64 v[155:156], v[40:41], v[143:144], v[155:156]
	v_add_f64_e32 v[151:152], v[151:152], v[147:148]
	v_add_f64_e32 v[149:150], v[153:154], v[149:150]
	ds_load_b128 v[145:148], v1 offset:944
	v_fma_f64 v[143:144], v[38:39], v[143:144], -v[157:158]
	scratch_load_b128 v[38:41], off, off offset:352
	s_wait_loadcnt_dscnt 0x901
	v_mul_f64_e32 v[153:154], v[2:3], v[44:45]
	v_mul_f64_e32 v[44:45], v[4:5], v[44:45]
	s_wait_loadcnt_dscnt 0x800
	v_mul_f64_e32 v[157:158], v[145:146], v[8:9]
	v_mul_f64_e32 v[8:9], v[147:148], v[8:9]
	v_add_f64_e32 v[151:152], v[151:152], v[161:162]
	v_add_f64_e32 v[149:150], v[149:150], v[159:160]
	v_fma_f64 v[153:154], v[4:5], v[42:43], v[153:154]
	v_fma_f64 v[159:160], v[2:3], v[42:43], -v[44:45]
	ds_load_b128 v[2:5], v1 offset:960
	scratch_load_b128 v[42:45], off, off offset:368
	v_fma_f64 v[147:148], v[147:148], v[6:7], v[157:158]
	v_fma_f64 v[145:146], v[145:146], v[6:7], -v[8:9]
	scratch_load_b128 v[6:9], off, off offset:384
	v_add_f64_e32 v[143:144], v[151:152], v[143:144]
	v_add_f64_e32 v[155:156], v[149:150], v[155:156]
	ds_load_b128 v[149:152], v1 offset:976
	s_wait_loadcnt_dscnt 0x901
	v_mul_f64_e32 v[161:162], v[2:3], v[12:13]
	v_mul_f64_e32 v[12:13], v[4:5], v[12:13]
	v_add_f64_e32 v[143:144], v[143:144], v[159:160]
	v_add_f64_e32 v[153:154], v[155:156], v[153:154]
	s_wait_loadcnt_dscnt 0x800
	v_mul_f64_e32 v[155:156], v[149:150], v[16:17]
	v_mul_f64_e32 v[16:17], v[151:152], v[16:17]
	v_fma_f64 v[157:158], v[4:5], v[10:11], v[161:162]
	v_fma_f64 v[159:160], v[2:3], v[10:11], -v[12:13]
	ds_load_b128 v[2:5], v1 offset:992
	scratch_load_b128 v[10:13], off, off offset:400
	v_add_f64_e32 v[161:162], v[143:144], v[145:146]
	v_add_f64_e32 v[147:148], v[153:154], v[147:148]
	ds_load_b128 v[143:146], v1 offset:1008
	s_wait_loadcnt_dscnt 0x801
	v_mul_f64_e32 v[153:154], v[2:3], v[20:21]
	v_mul_f64_e32 v[20:21], v[4:5], v[20:21]
	v_fma_f64 v[151:152], v[151:152], v[14:15], v[155:156]
	v_fma_f64 v[149:150], v[149:150], v[14:15], -v[16:17]
	scratch_load_b128 v[14:17], off, off offset:416
	v_add_f64_e32 v[155:156], v[161:162], v[159:160]
	v_add_f64_e32 v[147:148], v[147:148], v[157:158]
	s_wait_loadcnt_dscnt 0x800
	v_mul_f64_e32 v[157:158], v[143:144], v[24:25]
	v_mul_f64_e32 v[24:25], v[145:146], v[24:25]
	v_fma_f64 v[153:154], v[4:5], v[18:19], v[153:154]
	v_fma_f64 v[159:160], v[2:3], v[18:19], -v[20:21]
	ds_load_b128 v[2:5], v1 offset:1024
	scratch_load_b128 v[18:21], off, off offset:432
	v_add_f64_e32 v[155:156], v[155:156], v[149:150]
	v_add_f64_e32 v[151:152], v[147:148], v[151:152]
	ds_load_b128 v[147:150], v1 offset:1040
	s_wait_loadcnt_dscnt 0x801
	v_mul_f64_e32 v[161:162], v[2:3], v[28:29]
	v_mul_f64_e32 v[28:29], v[4:5], v[28:29]
	v_fma_f64 v[145:146], v[145:146], v[22:23], v[157:158]
	v_fma_f64 v[143:144], v[143:144], v[22:23], -v[24:25]
	scratch_load_b128 v[22:25], off, off offset:448
	;; [unrolled: 18-line block ×4, first 2 shown]
	s_wait_loadcnt_dscnt 0x800
	v_mul_f64_e32 v[155:156], v[147:148], v[8:9]
	v_mul_f64_e32 v[8:9], v[149:150], v[8:9]
	v_add_f64_e32 v[153:154], v[153:154], v[159:160]
	v_add_f64_e32 v[151:152], v[151:152], v[157:158]
	v_fma_f64 v[157:158], v[4:5], v[42:43], v[161:162]
	v_fma_f64 v[159:160], v[2:3], v[42:43], -v[44:45]
	ds_load_b128 v[2:5], v1 offset:1120
	scratch_load_b128 v[42:45], off, off offset:528
	v_fma_f64 v[149:150], v[149:150], v[6:7], v[155:156]
	v_fma_f64 v[147:148], v[147:148], v[6:7], -v[8:9]
	scratch_load_b128 v[6:9], off, off offset:544
	v_add_f64_e32 v[153:154], v[153:154], v[143:144]
	v_add_f64_e32 v[151:152], v[151:152], v[145:146]
	ds_load_b128 v[143:146], v1 offset:1136
	s_wait_loadcnt_dscnt 0x901
	v_mul_f64_e32 v[161:162], v[2:3], v[12:13]
	v_mul_f64_e32 v[12:13], v[4:5], v[12:13]
	s_wait_loadcnt_dscnt 0x800
	v_mul_f64_e32 v[155:156], v[143:144], v[16:17]
	v_mul_f64_e32 v[16:17], v[145:146], v[16:17]
	v_add_f64_e32 v[153:154], v[153:154], v[159:160]
	v_add_f64_e32 v[151:152], v[151:152], v[157:158]
	v_fma_f64 v[157:158], v[4:5], v[10:11], v[161:162]
	v_fma_f64 v[159:160], v[2:3], v[10:11], -v[12:13]
	ds_load_b128 v[2:5], v1 offset:1152
	scratch_load_b128 v[10:13], off, off offset:560
	v_fma_f64 v[145:146], v[145:146], v[14:15], v[155:156]
	v_fma_f64 v[143:144], v[143:144], v[14:15], -v[16:17]
	scratch_load_b128 v[14:17], off, off offset:576
	v_add_f64_e32 v[153:154], v[153:154], v[147:148]
	v_add_f64_e32 v[151:152], v[151:152], v[149:150]
	ds_load_b128 v[147:150], v1 offset:1168
	s_wait_loadcnt_dscnt 0x901
	v_mul_f64_e32 v[161:162], v[2:3], v[20:21]
	v_mul_f64_e32 v[20:21], v[4:5], v[20:21]
	s_wait_loadcnt_dscnt 0x800
	v_mul_f64_e32 v[155:156], v[147:148], v[24:25]
	v_mul_f64_e32 v[24:25], v[149:150], v[24:25]
	v_add_f64_e32 v[153:154], v[153:154], v[159:160]
	v_add_f64_e32 v[151:152], v[151:152], v[157:158]
	v_fma_f64 v[157:158], v[4:5], v[18:19], v[161:162]
	v_fma_f64 v[159:160], v[2:3], v[18:19], -v[20:21]
	ds_load_b128 v[2:5], v1 offset:1184
	scratch_load_b128 v[18:21], off, off offset:592
	v_fma_f64 v[149:150], v[149:150], v[22:23], v[155:156]
	v_fma_f64 v[147:148], v[147:148], v[22:23], -v[24:25]
	scratch_load_b128 v[22:25], off, off offset:608
	v_add_f64_e32 v[153:154], v[153:154], v[143:144]
	v_add_f64_e32 v[151:152], v[151:152], v[145:146]
	ds_load_b128 v[143:146], v1 offset:1200
	s_wait_loadcnt_dscnt 0x901
	v_mul_f64_e32 v[161:162], v[2:3], v[28:29]
	v_mul_f64_e32 v[28:29], v[4:5], v[28:29]
	s_wait_loadcnt_dscnt 0x800
	v_mul_f64_e32 v[155:156], v[143:144], v[32:33]
	v_mul_f64_e32 v[32:33], v[145:146], v[32:33]
	v_add_f64_e32 v[153:154], v[153:154], v[159:160]
	v_add_f64_e32 v[151:152], v[151:152], v[157:158]
	v_fma_f64 v[157:158], v[4:5], v[26:27], v[161:162]
	v_fma_f64 v[159:160], v[2:3], v[26:27], -v[28:29]
	ds_load_b128 v[2:5], v1 offset:1216
	scratch_load_b128 v[26:29], off, off offset:624
	v_fma_f64 v[145:146], v[145:146], v[30:31], v[155:156]
	v_fma_f64 v[143:144], v[143:144], v[30:31], -v[32:33]
	scratch_load_b128 v[30:33], off, off offset:640
	v_add_f64_e32 v[153:154], v[153:154], v[147:148]
	v_add_f64_e32 v[151:152], v[151:152], v[149:150]
	ds_load_b128 v[147:150], v1 offset:1232
	s_wait_loadcnt_dscnt 0x901
	v_mul_f64_e32 v[161:162], v[2:3], v[36:37]
	v_mul_f64_e32 v[36:37], v[4:5], v[36:37]
	s_wait_loadcnt_dscnt 0x800
	v_mul_f64_e32 v[155:156], v[147:148], v[40:41]
	v_mul_f64_e32 v[40:41], v[149:150], v[40:41]
	v_add_f64_e32 v[153:154], v[153:154], v[159:160]
	v_add_f64_e32 v[151:152], v[151:152], v[157:158]
	v_fma_f64 v[157:158], v[4:5], v[34:35], v[161:162]
	v_fma_f64 v[159:160], v[2:3], v[34:35], -v[36:37]
	ds_load_b128 v[2:5], v1 offset:1248
	scratch_load_b128 v[34:37], off, off offset:656
	v_fma_f64 v[149:150], v[149:150], v[38:39], v[155:156]
	v_fma_f64 v[147:148], v[147:148], v[38:39], -v[40:41]
	scratch_load_b128 v[38:41], off, off offset:672
	v_add_f64_e32 v[153:154], v[153:154], v[143:144]
	v_add_f64_e32 v[151:152], v[151:152], v[145:146]
	ds_load_b128 v[143:146], v1 offset:1264
	s_wait_loadcnt_dscnt 0x901
	v_mul_f64_e32 v[161:162], v[2:3], v[44:45]
	v_mul_f64_e32 v[44:45], v[4:5], v[44:45]
	s_wait_loadcnt_dscnt 0x800
	v_mul_f64_e32 v[155:156], v[143:144], v[8:9]
	v_mul_f64_e32 v[8:9], v[145:146], v[8:9]
	v_add_f64_e32 v[153:154], v[153:154], v[159:160]
	v_add_f64_e32 v[151:152], v[151:152], v[157:158]
	v_fma_f64 v[157:158], v[4:5], v[42:43], v[161:162]
	v_fma_f64 v[159:160], v[2:3], v[42:43], -v[44:45]
	ds_load_b128 v[2:5], v1 offset:1280
	scratch_load_b128 v[42:45], off, off offset:688
	v_fma_f64 v[145:146], v[145:146], v[6:7], v[155:156]
	v_fma_f64 v[143:144], v[143:144], v[6:7], -v[8:9]
	scratch_load_b128 v[6:9], off, off offset:704
	v_add_f64_e32 v[153:154], v[153:154], v[147:148]
	v_add_f64_e32 v[151:152], v[151:152], v[149:150]
	ds_load_b128 v[147:150], v1 offset:1296
	s_wait_loadcnt_dscnt 0x901
	v_mul_f64_e32 v[161:162], v[2:3], v[12:13]
	v_mul_f64_e32 v[12:13], v[4:5], v[12:13]
	s_wait_loadcnt_dscnt 0x800
	v_mul_f64_e32 v[155:156], v[147:148], v[16:17]
	v_mul_f64_e32 v[16:17], v[149:150], v[16:17]
	v_add_f64_e32 v[153:154], v[153:154], v[159:160]
	v_add_f64_e32 v[151:152], v[151:152], v[157:158]
	v_fma_f64 v[157:158], v[4:5], v[10:11], v[161:162]
	v_fma_f64 v[159:160], v[2:3], v[10:11], -v[12:13]
	ds_load_b128 v[2:5], v1 offset:1312
	scratch_load_b128 v[10:13], off, off offset:720
	v_fma_f64 v[149:150], v[149:150], v[14:15], v[155:156]
	v_fma_f64 v[147:148], v[147:148], v[14:15], -v[16:17]
	scratch_load_b128 v[14:17], off, off offset:736
	v_add_f64_e32 v[153:154], v[153:154], v[143:144]
	v_add_f64_e32 v[151:152], v[151:152], v[145:146]
	ds_load_b128 v[143:146], v1 offset:1328
	s_wait_loadcnt_dscnt 0x901
	v_mul_f64_e32 v[161:162], v[2:3], v[20:21]
	v_mul_f64_e32 v[20:21], v[4:5], v[20:21]
	s_wait_loadcnt_dscnt 0x800
	v_mul_f64_e32 v[155:156], v[143:144], v[24:25]
	v_mul_f64_e32 v[24:25], v[145:146], v[24:25]
	v_add_f64_e32 v[153:154], v[153:154], v[159:160]
	v_add_f64_e32 v[151:152], v[151:152], v[157:158]
	v_fma_f64 v[157:158], v[4:5], v[18:19], v[161:162]
	v_fma_f64 v[159:160], v[2:3], v[18:19], -v[20:21]
	ds_load_b128 v[2:5], v1 offset:1344
	ds_load_b128 v[18:21], v1 offset:1360
	v_fma_f64 v[145:146], v[145:146], v[22:23], v[155:156]
	v_fma_f64 v[22:23], v[143:144], v[22:23], -v[24:25]
	v_add_f64_e32 v[147:148], v[153:154], v[147:148]
	v_add_f64_e32 v[149:150], v[151:152], v[149:150]
	s_wait_loadcnt_dscnt 0x701
	v_mul_f64_e32 v[151:152], v[2:3], v[28:29]
	v_mul_f64_e32 v[28:29], v[4:5], v[28:29]
	s_delay_alu instid0(VALU_DEP_4) | instskip(NEXT) | instid1(VALU_DEP_4)
	v_add_f64_e32 v[24:25], v[147:148], v[159:160]
	v_add_f64_e32 v[143:144], v[149:150], v[157:158]
	s_wait_loadcnt_dscnt 0x600
	v_mul_f64_e32 v[147:148], v[18:19], v[32:33]
	v_mul_f64_e32 v[32:33], v[20:21], v[32:33]
	v_fma_f64 v[149:150], v[4:5], v[26:27], v[151:152]
	v_fma_f64 v[26:27], v[2:3], v[26:27], -v[28:29]
	v_add_f64_e32 v[28:29], v[24:25], v[22:23]
	v_add_f64_e32 v[143:144], v[143:144], v[145:146]
	ds_load_b128 v[2:5], v1 offset:1376
	ds_load_b128 v[22:25], v1 offset:1392
	v_fma_f64 v[20:21], v[20:21], v[30:31], v[147:148]
	v_fma_f64 v[18:19], v[18:19], v[30:31], -v[32:33]
	s_wait_loadcnt_dscnt 0x501
	v_mul_f64_e32 v[145:146], v[2:3], v[36:37]
	v_mul_f64_e32 v[36:37], v[4:5], v[36:37]
	s_wait_loadcnt_dscnt 0x400
	v_mul_f64_e32 v[30:31], v[22:23], v[40:41]
	v_mul_f64_e32 v[32:33], v[24:25], v[40:41]
	v_add_f64_e32 v[26:27], v[28:29], v[26:27]
	v_add_f64_e32 v[28:29], v[143:144], v[149:150]
	v_fma_f64 v[40:41], v[4:5], v[34:35], v[145:146]
	v_fma_f64 v[34:35], v[2:3], v[34:35], -v[36:37]
	v_fma_f64 v[24:25], v[24:25], v[38:39], v[30:31]
	v_fma_f64 v[22:23], v[22:23], v[38:39], -v[32:33]
	v_add_f64_e32 v[26:27], v[26:27], v[18:19]
	v_add_f64_e32 v[28:29], v[28:29], v[20:21]
	ds_load_b128 v[2:5], v1 offset:1408
	ds_load_b128 v[18:21], v1 offset:1424
	s_wait_loadcnt_dscnt 0x301
	v_mul_f64_e32 v[36:37], v[2:3], v[44:45]
	v_mul_f64_e32 v[44:45], v[4:5], v[44:45]
	s_wait_loadcnt_dscnt 0x200
	v_mul_f64_e32 v[30:31], v[18:19], v[8:9]
	v_mul_f64_e32 v[8:9], v[20:21], v[8:9]
	v_add_f64_e32 v[26:27], v[26:27], v[34:35]
	v_add_f64_e32 v[28:29], v[28:29], v[40:41]
	v_fma_f64 v[32:33], v[4:5], v[42:43], v[36:37]
	v_fma_f64 v[34:35], v[2:3], v[42:43], -v[44:45]
	v_fma_f64 v[20:21], v[20:21], v[6:7], v[30:31]
	v_fma_f64 v[6:7], v[18:19], v[6:7], -v[8:9]
	v_add_f64_e32 v[26:27], v[26:27], v[22:23]
	v_add_f64_e32 v[28:29], v[28:29], v[24:25]
	ds_load_b128 v[2:5], v1 offset:1440
	ds_load_b128 v[22:25], v1 offset:1456
	s_wait_loadcnt_dscnt 0x101
	v_mul_f64_e32 v[36:37], v[2:3], v[12:13]
	v_mul_f64_e32 v[12:13], v[4:5], v[12:13]
	v_add_f64_e32 v[8:9], v[26:27], v[34:35]
	v_add_f64_e32 v[18:19], v[28:29], v[32:33]
	s_wait_loadcnt_dscnt 0x0
	v_mul_f64_e32 v[26:27], v[22:23], v[16:17]
	v_mul_f64_e32 v[16:17], v[24:25], v[16:17]
	v_fma_f64 v[4:5], v[4:5], v[10:11], v[36:37]
	v_fma_f64 v[1:2], v[2:3], v[10:11], -v[12:13]
	v_add_f64_e32 v[6:7], v[8:9], v[6:7]
	v_add_f64_e32 v[8:9], v[18:19], v[20:21]
	v_fma_f64 v[10:11], v[24:25], v[14:15], v[26:27]
	v_fma_f64 v[12:13], v[22:23], v[14:15], -v[16:17]
	s_delay_alu instid0(VALU_DEP_4) | instskip(NEXT) | instid1(VALU_DEP_4)
	v_add_f64_e32 v[1:2], v[6:7], v[1:2]
	v_add_f64_e32 v[3:4], v[8:9], v[4:5]
	s_delay_alu instid0(VALU_DEP_2) | instskip(NEXT) | instid1(VALU_DEP_2)
	v_add_f64_e32 v[1:2], v[1:2], v[12:13]
	v_add_f64_e32 v[3:4], v[3:4], v[10:11]
	s_delay_alu instid0(VALU_DEP_2) | instskip(NEXT) | instid1(VALU_DEP_2)
	v_add_f64_e64 v[1:2], v[139:140], -v[1:2]
	v_add_f64_e64 v[3:4], v[141:142], -v[3:4]
	scratch_store_b128 off, v[1:4], off offset:32
	v_cmpx_ne_u32_e32 0, v0
	s_cbranch_execz .LBB45_289
; %bb.288:
	scratch_load_b128 v[0:3], off, off offset:16
	v_mov_b32_e32 v4, 0
	s_delay_alu instid0(VALU_DEP_1)
	v_dual_mov_b32 v5, v4 :: v_dual_mov_b32 v6, v4
	v_mov_b32_e32 v7, v4
	scratch_store_b128 off, v[4:7], off offset:16
	s_wait_loadcnt 0x0
	ds_store_b128 v138, v[0:3]
.LBB45_289:
	s_wait_alu 0xfffe
	s_or_b32 exec_lo, exec_lo, s0
	s_wait_storecnt_dscnt 0x0
	s_barrier_signal -1
	s_barrier_wait -1
	global_inv scope:SCOPE_SE
	s_clause 0x7
	scratch_load_b128 v[0:3], off, off offset:32
	scratch_load_b128 v[4:7], off, off offset:48
	;; [unrolled: 1-line block ×8, first 2 shown]
	v_mov_b32_e32 v40, 0
	s_and_b32 vcc_lo, exec_lo, s18
	ds_load_b128 v[36:39], v40 offset:752
	s_clause 0x1
	scratch_load_b128 v[32:35], off, off offset:160
	scratch_load_b128 v[41:44], off, off offset:16
	ds_load_b128 v[138:141], v40 offset:768
	scratch_load_b128 v[142:145], off, off offset:176
	s_wait_loadcnt_dscnt 0xa01
	v_mul_f64_e32 v[146:147], v[38:39], v[2:3]
	v_mul_f64_e32 v[2:3], v[36:37], v[2:3]
	s_delay_alu instid0(VALU_DEP_2) | instskip(NEXT) | instid1(VALU_DEP_2)
	v_fma_f64 v[152:153], v[36:37], v[0:1], -v[146:147]
	v_fma_f64 v[154:155], v[38:39], v[0:1], v[2:3]
	ds_load_b128 v[0:3], v40 offset:784
	s_wait_loadcnt_dscnt 0x901
	v_mul_f64_e32 v[150:151], v[138:139], v[6:7]
	v_mul_f64_e32 v[6:7], v[140:141], v[6:7]
	scratch_load_b128 v[36:39], off, off offset:192
	ds_load_b128 v[146:149], v40 offset:800
	s_wait_loadcnt_dscnt 0x901
	v_mul_f64_e32 v[156:157], v[0:1], v[10:11]
	v_mul_f64_e32 v[10:11], v[2:3], v[10:11]
	v_fma_f64 v[140:141], v[140:141], v[4:5], v[150:151]
	v_fma_f64 v[138:139], v[138:139], v[4:5], -v[6:7]
	v_add_f64_e32 v[150:151], 0, v[152:153]
	v_add_f64_e32 v[152:153], 0, v[154:155]
	scratch_load_b128 v[4:7], off, off offset:208
	v_fma_f64 v[156:157], v[2:3], v[8:9], v[156:157]
	v_fma_f64 v[158:159], v[0:1], v[8:9], -v[10:11]
	ds_load_b128 v[0:3], v40 offset:816
	s_wait_loadcnt_dscnt 0x901
	v_mul_f64_e32 v[154:155], v[146:147], v[14:15]
	v_mul_f64_e32 v[14:15], v[148:149], v[14:15]
	scratch_load_b128 v[8:11], off, off offset:224
	v_add_f64_e32 v[150:151], v[150:151], v[138:139]
	v_add_f64_e32 v[152:153], v[152:153], v[140:141]
	s_wait_loadcnt_dscnt 0x900
	v_mul_f64_e32 v[160:161], v[0:1], v[18:19]
	v_mul_f64_e32 v[18:19], v[2:3], v[18:19]
	ds_load_b128 v[138:141], v40 offset:832
	v_fma_f64 v[148:149], v[148:149], v[12:13], v[154:155]
	v_fma_f64 v[146:147], v[146:147], v[12:13], -v[14:15]
	scratch_load_b128 v[12:15], off, off offset:240
	v_add_f64_e32 v[150:151], v[150:151], v[158:159]
	v_add_f64_e32 v[152:153], v[152:153], v[156:157]
	v_fma_f64 v[156:157], v[2:3], v[16:17], v[160:161]
	v_fma_f64 v[158:159], v[0:1], v[16:17], -v[18:19]
	ds_load_b128 v[0:3], v40 offset:848
	s_wait_loadcnt_dscnt 0x901
	v_mul_f64_e32 v[154:155], v[138:139], v[22:23]
	v_mul_f64_e32 v[22:23], v[140:141], v[22:23]
	scratch_load_b128 v[16:19], off, off offset:256
	s_wait_loadcnt_dscnt 0x900
	v_mul_f64_e32 v[160:161], v[0:1], v[26:27]
	v_mul_f64_e32 v[26:27], v[2:3], v[26:27]
	v_add_f64_e32 v[150:151], v[150:151], v[146:147]
	v_add_f64_e32 v[152:153], v[152:153], v[148:149]
	ds_load_b128 v[146:149], v40 offset:864
	v_fma_f64 v[140:141], v[140:141], v[20:21], v[154:155]
	v_fma_f64 v[138:139], v[138:139], v[20:21], -v[22:23]
	scratch_load_b128 v[20:23], off, off offset:272
	v_add_f64_e32 v[150:151], v[150:151], v[158:159]
	v_add_f64_e32 v[152:153], v[152:153], v[156:157]
	v_fma_f64 v[156:157], v[2:3], v[24:25], v[160:161]
	v_fma_f64 v[158:159], v[0:1], v[24:25], -v[26:27]
	ds_load_b128 v[0:3], v40 offset:880
	s_wait_loadcnt_dscnt 0x901
	v_mul_f64_e32 v[154:155], v[146:147], v[30:31]
	v_mul_f64_e32 v[30:31], v[148:149], v[30:31]
	scratch_load_b128 v[24:27], off, off offset:288
	s_wait_loadcnt_dscnt 0x900
	v_mul_f64_e32 v[160:161], v[0:1], v[34:35]
	v_mul_f64_e32 v[34:35], v[2:3], v[34:35]
	v_add_f64_e32 v[150:151], v[150:151], v[138:139]
	v_add_f64_e32 v[152:153], v[152:153], v[140:141]
	ds_load_b128 v[138:141], v40 offset:896
	v_fma_f64 v[148:149], v[148:149], v[28:29], v[154:155]
	v_fma_f64 v[146:147], v[146:147], v[28:29], -v[30:31]
	scratch_load_b128 v[28:31], off, off offset:304
	v_add_f64_e32 v[150:151], v[150:151], v[158:159]
	v_add_f64_e32 v[152:153], v[152:153], v[156:157]
	v_fma_f64 v[158:159], v[2:3], v[32:33], v[160:161]
	v_fma_f64 v[160:161], v[0:1], v[32:33], -v[34:35]
	ds_load_b128 v[0:3], v40 offset:912
	s_wait_loadcnt_dscnt 0x801
	v_mul_f64_e32 v[154:155], v[138:139], v[144:145]
	v_mul_f64_e32 v[156:157], v[140:141], v[144:145]
	scratch_load_b128 v[32:35], off, off offset:320
	v_add_f64_e32 v[150:151], v[150:151], v[146:147]
	v_add_f64_e32 v[148:149], v[152:153], v[148:149]
	ds_load_b128 v[144:147], v40 offset:928
	v_fma_f64 v[154:155], v[140:141], v[142:143], v[154:155]
	v_fma_f64 v[142:143], v[138:139], v[142:143], -v[156:157]
	scratch_load_b128 v[138:141], off, off offset:336
	s_wait_loadcnt_dscnt 0x901
	v_mul_f64_e32 v[152:153], v[0:1], v[38:39]
	v_mul_f64_e32 v[38:39], v[2:3], v[38:39]
	v_add_f64_e32 v[150:151], v[150:151], v[160:161]
	v_add_f64_e32 v[148:149], v[148:149], v[158:159]
	s_delay_alu instid0(VALU_DEP_4) | instskip(NEXT) | instid1(VALU_DEP_4)
	v_fma_f64 v[152:153], v[2:3], v[36:37], v[152:153]
	v_fma_f64 v[158:159], v[0:1], v[36:37], -v[38:39]
	ds_load_b128 v[0:3], v40 offset:944
	s_wait_loadcnt_dscnt 0x801
	v_mul_f64_e32 v[156:157], v[144:145], v[6:7]
	v_mul_f64_e32 v[6:7], v[146:147], v[6:7]
	scratch_load_b128 v[36:39], off, off offset:352
	s_wait_loadcnt_dscnt 0x800
	v_mul_f64_e32 v[160:161], v[0:1], v[10:11]
	v_add_f64_e32 v[142:143], v[150:151], v[142:143]
	v_add_f64_e32 v[154:155], v[148:149], v[154:155]
	v_mul_f64_e32 v[10:11], v[2:3], v[10:11]
	ds_load_b128 v[148:151], v40 offset:960
	v_fma_f64 v[146:147], v[146:147], v[4:5], v[156:157]
	v_fma_f64 v[144:145], v[144:145], v[4:5], -v[6:7]
	scratch_load_b128 v[4:7], off, off offset:368
	v_fma_f64 v[156:157], v[2:3], v[8:9], v[160:161]
	v_add_f64_e32 v[142:143], v[142:143], v[158:159]
	v_add_f64_e32 v[152:153], v[154:155], v[152:153]
	v_fma_f64 v[158:159], v[0:1], v[8:9], -v[10:11]
	ds_load_b128 v[0:3], v40 offset:976
	s_wait_loadcnt_dscnt 0x801
	v_mul_f64_e32 v[154:155], v[148:149], v[14:15]
	v_mul_f64_e32 v[14:15], v[150:151], v[14:15]
	scratch_load_b128 v[8:11], off, off offset:384
	v_add_f64_e32 v[160:161], v[142:143], v[144:145]
	v_add_f64_e32 v[146:147], v[152:153], v[146:147]
	s_wait_loadcnt_dscnt 0x800
	v_mul_f64_e32 v[152:153], v[0:1], v[18:19]
	v_mul_f64_e32 v[18:19], v[2:3], v[18:19]
	v_fma_f64 v[150:151], v[150:151], v[12:13], v[154:155]
	v_fma_f64 v[148:149], v[148:149], v[12:13], -v[14:15]
	ds_load_b128 v[142:145], v40 offset:992
	scratch_load_b128 v[12:15], off, off offset:400
	v_add_f64_e32 v[154:155], v[160:161], v[158:159]
	v_add_f64_e32 v[146:147], v[146:147], v[156:157]
	v_fma_f64 v[152:153], v[2:3], v[16:17], v[152:153]
	v_fma_f64 v[158:159], v[0:1], v[16:17], -v[18:19]
	ds_load_b128 v[0:3], v40 offset:1008
	s_wait_loadcnt_dscnt 0x801
	v_mul_f64_e32 v[156:157], v[142:143], v[22:23]
	v_mul_f64_e32 v[22:23], v[144:145], v[22:23]
	scratch_load_b128 v[16:19], off, off offset:416
	s_wait_loadcnt_dscnt 0x800
	v_mul_f64_e32 v[160:161], v[0:1], v[26:27]
	v_mul_f64_e32 v[26:27], v[2:3], v[26:27]
	v_add_f64_e32 v[154:155], v[154:155], v[148:149]
	v_add_f64_e32 v[150:151], v[146:147], v[150:151]
	ds_load_b128 v[146:149], v40 offset:1024
	v_fma_f64 v[144:145], v[144:145], v[20:21], v[156:157]
	v_fma_f64 v[142:143], v[142:143], v[20:21], -v[22:23]
	scratch_load_b128 v[20:23], off, off offset:432
	v_fma_f64 v[156:157], v[2:3], v[24:25], v[160:161]
	v_add_f64_e32 v[154:155], v[154:155], v[158:159]
	v_add_f64_e32 v[150:151], v[150:151], v[152:153]
	v_fma_f64 v[158:159], v[0:1], v[24:25], -v[26:27]
	ds_load_b128 v[0:3], v40 offset:1040
	s_wait_loadcnt_dscnt 0x801
	v_mul_f64_e32 v[152:153], v[146:147], v[30:31]
	v_mul_f64_e32 v[30:31], v[148:149], v[30:31]
	scratch_load_b128 v[24:27], off, off offset:448
	s_wait_loadcnt_dscnt 0x800
	v_mul_f64_e32 v[160:161], v[0:1], v[34:35]
	v_mul_f64_e32 v[34:35], v[2:3], v[34:35]
	v_add_f64_e32 v[154:155], v[154:155], v[142:143]
	v_add_f64_e32 v[150:151], v[150:151], v[144:145]
	ds_load_b128 v[142:145], v40 offset:1056
	v_fma_f64 v[148:149], v[148:149], v[28:29], v[152:153]
	v_fma_f64 v[146:147], v[146:147], v[28:29], -v[30:31]
	scratch_load_b128 v[28:31], off, off offset:464
	v_add_f64_e32 v[152:153], v[154:155], v[158:159]
	v_add_f64_e32 v[150:151], v[150:151], v[156:157]
	v_fma_f64 v[156:157], v[2:3], v[32:33], v[160:161]
	v_fma_f64 v[158:159], v[0:1], v[32:33], -v[34:35]
	ds_load_b128 v[0:3], v40 offset:1072
	s_wait_loadcnt_dscnt 0x801
	v_mul_f64_e32 v[154:155], v[142:143], v[140:141]
	v_mul_f64_e32 v[140:141], v[144:145], v[140:141]
	scratch_load_b128 v[32:35], off, off offset:480
	s_wait_loadcnt_dscnt 0x800
	v_mul_f64_e32 v[160:161], v[0:1], v[38:39]
	v_mul_f64_e32 v[38:39], v[2:3], v[38:39]
	v_add_f64_e32 v[152:153], v[152:153], v[146:147]
	v_add_f64_e32 v[150:151], v[150:151], v[148:149]
	ds_load_b128 v[146:149], v40 offset:1088
	v_fma_f64 v[144:145], v[144:145], v[138:139], v[154:155]
	v_fma_f64 v[142:143], v[142:143], v[138:139], -v[140:141]
	scratch_load_b128 v[138:141], off, off offset:496
	v_add_f64_e32 v[152:153], v[152:153], v[158:159]
	v_add_f64_e32 v[150:151], v[150:151], v[156:157]
	v_fma_f64 v[156:157], v[2:3], v[36:37], v[160:161]
	;; [unrolled: 18-line block ×6, first 2 shown]
	v_fma_f64 v[160:161], v[0:1], v[32:33], -v[34:35]
	ds_load_b128 v[0:3], v40 offset:1232
	s_wait_loadcnt_dscnt 0x801
	v_mul_f64_e32 v[154:155], v[146:147], v[140:141]
	v_mul_f64_e32 v[156:157], v[148:149], v[140:141]
	scratch_load_b128 v[32:35], off, off offset:640
	v_add_f64_e32 v[152:153], v[152:153], v[142:143]
	v_add_f64_e32 v[144:145], v[150:151], v[144:145]
	s_wait_loadcnt_dscnt 0x800
	v_mul_f64_e32 v[150:151], v[0:1], v[38:39]
	v_mul_f64_e32 v[38:39], v[2:3], v[38:39]
	ds_load_b128 v[140:143], v40 offset:1248
	v_fma_f64 v[148:149], v[148:149], v[138:139], v[154:155]
	v_fma_f64 v[138:139], v[146:147], v[138:139], -v[156:157]
	v_add_f64_e32 v[152:153], v[152:153], v[160:161]
	v_add_f64_e32 v[154:155], v[144:145], v[158:159]
	scratch_load_b128 v[144:147], off, off offset:656
	v_fma_f64 v[158:159], v[2:3], v[36:37], v[150:151]
	v_fma_f64 v[160:161], v[0:1], v[36:37], -v[38:39]
	ds_load_b128 v[0:3], v40 offset:1264
	s_wait_loadcnt_dscnt 0x801
	v_mul_f64_e32 v[156:157], v[140:141], v[6:7]
	v_mul_f64_e32 v[6:7], v[142:143], v[6:7]
	scratch_load_b128 v[36:39], off, off offset:672
	v_add_f64_e32 v[138:139], v[152:153], v[138:139]
	v_add_f64_e32 v[152:153], v[154:155], v[148:149]
	s_wait_loadcnt_dscnt 0x800
	v_mul_f64_e32 v[154:155], v[0:1], v[10:11]
	v_mul_f64_e32 v[10:11], v[2:3], v[10:11]
	ds_load_b128 v[148:151], v40 offset:1280
	v_fma_f64 v[142:143], v[142:143], v[4:5], v[156:157]
	v_fma_f64 v[140:141], v[140:141], v[4:5], -v[6:7]
	scratch_load_b128 v[4:7], off, off offset:688
	v_add_f64_e32 v[138:139], v[138:139], v[160:161]
	v_add_f64_e32 v[152:153], v[152:153], v[158:159]
	v_fma_f64 v[154:155], v[2:3], v[8:9], v[154:155]
	v_fma_f64 v[158:159], v[0:1], v[8:9], -v[10:11]
	ds_load_b128 v[0:3], v40 offset:1296
	s_wait_loadcnt_dscnt 0x801
	v_mul_f64_e32 v[156:157], v[148:149], v[14:15]
	v_mul_f64_e32 v[14:15], v[150:151], v[14:15]
	scratch_load_b128 v[8:11], off, off offset:704
	v_add_f64_e32 v[160:161], v[138:139], v[140:141]
	v_add_f64_e32 v[142:143], v[152:153], v[142:143]
	s_wait_loadcnt_dscnt 0x800
	v_mul_f64_e32 v[152:153], v[0:1], v[18:19]
	v_mul_f64_e32 v[18:19], v[2:3], v[18:19]
	ds_load_b128 v[138:141], v40 offset:1312
	v_fma_f64 v[150:151], v[150:151], v[12:13], v[156:157]
	v_fma_f64 v[148:149], v[148:149], v[12:13], -v[14:15]
	scratch_load_b128 v[12:15], off, off offset:720
	v_add_f64_e32 v[156:157], v[160:161], v[158:159]
	v_add_f64_e32 v[142:143], v[142:143], v[154:155]
	v_fma_f64 v[152:153], v[2:3], v[16:17], v[152:153]
	v_fma_f64 v[158:159], v[0:1], v[16:17], -v[18:19]
	ds_load_b128 v[0:3], v40 offset:1328
	s_wait_loadcnt_dscnt 0x801
	v_mul_f64_e32 v[154:155], v[138:139], v[22:23]
	v_mul_f64_e32 v[22:23], v[140:141], v[22:23]
	scratch_load_b128 v[16:19], off, off offset:736
	s_wait_loadcnt_dscnt 0x800
	v_mul_f64_e32 v[160:161], v[0:1], v[26:27]
	v_mul_f64_e32 v[26:27], v[2:3], v[26:27]
	v_add_f64_e32 v[156:157], v[156:157], v[148:149]
	v_add_f64_e32 v[142:143], v[142:143], v[150:151]
	ds_load_b128 v[148:151], v40 offset:1344
	v_fma_f64 v[140:141], v[140:141], v[20:21], v[154:155]
	v_fma_f64 v[20:21], v[138:139], v[20:21], -v[22:23]
	v_add_f64_e32 v[22:23], v[156:157], v[158:159]
	v_add_f64_e32 v[138:139], v[142:143], v[152:153]
	s_wait_loadcnt_dscnt 0x700
	v_mul_f64_e32 v[142:143], v[148:149], v[30:31]
	v_mul_f64_e32 v[30:31], v[150:151], v[30:31]
	v_fma_f64 v[152:153], v[2:3], v[24:25], v[160:161]
	v_fma_f64 v[24:25], v[0:1], v[24:25], -v[26:27]
	v_add_f64_e32 v[26:27], v[22:23], v[20:21]
	v_add_f64_e32 v[138:139], v[138:139], v[140:141]
	ds_load_b128 v[0:3], v40 offset:1360
	ds_load_b128 v[20:23], v40 offset:1376
	v_fma_f64 v[142:143], v[150:151], v[28:29], v[142:143]
	v_fma_f64 v[28:29], v[148:149], v[28:29], -v[30:31]
	s_wait_loadcnt_dscnt 0x601
	v_mul_f64_e32 v[140:141], v[0:1], v[34:35]
	v_mul_f64_e32 v[34:35], v[2:3], v[34:35]
	v_add_f64_e32 v[24:25], v[26:27], v[24:25]
	v_add_f64_e32 v[26:27], v[138:139], v[152:153]
	s_wait_loadcnt_dscnt 0x500
	v_mul_f64_e32 v[30:31], v[20:21], v[146:147]
	v_mul_f64_e32 v[138:139], v[22:23], v[146:147]
	v_fma_f64 v[140:141], v[2:3], v[32:33], v[140:141]
	v_fma_f64 v[32:33], v[0:1], v[32:33], -v[34:35]
	v_add_f64_e32 v[28:29], v[24:25], v[28:29]
	v_add_f64_e32 v[34:35], v[26:27], v[142:143]
	ds_load_b128 v[0:3], v40 offset:1392
	ds_load_b128 v[24:27], v40 offset:1408
	v_fma_f64 v[22:23], v[22:23], v[144:145], v[30:31]
	v_fma_f64 v[20:21], v[20:21], v[144:145], -v[138:139]
	s_wait_loadcnt_dscnt 0x401
	v_mul_f64_e32 v[142:143], v[0:1], v[38:39]
	v_mul_f64_e32 v[38:39], v[2:3], v[38:39]
	;; [unrolled: 16-line block ×3, first 2 shown]
	v_add_f64_e32 v[6:7], v[28:29], v[36:37]
	v_add_f64_e32 v[24:25], v[30:31], v[34:35]
	s_wait_loadcnt_dscnt 0x100
	v_mul_f64_e32 v[28:29], v[20:21], v[14:15]
	v_mul_f64_e32 v[14:15], v[22:23], v[14:15]
	v_fma_f64 v[30:31], v[2:3], v[8:9], v[38:39]
	v_fma_f64 v[8:9], v[0:1], v[8:9], -v[10:11]
	ds_load_b128 v[0:3], v40 offset:1456
	v_add_f64_e32 v[4:5], v[6:7], v[4:5]
	v_add_f64_e32 v[6:7], v[24:25], v[26:27]
	v_fma_f64 v[22:23], v[22:23], v[12:13], v[28:29]
	v_fma_f64 v[12:13], v[20:21], v[12:13], -v[14:15]
	s_wait_loadcnt_dscnt 0x0
	v_mul_f64_e32 v[10:11], v[0:1], v[18:19]
	v_mul_f64_e32 v[18:19], v[2:3], v[18:19]
	v_add_f64_e32 v[4:5], v[4:5], v[8:9]
	v_add_f64_e32 v[6:7], v[6:7], v[30:31]
	s_delay_alu instid0(VALU_DEP_4) | instskip(NEXT) | instid1(VALU_DEP_4)
	v_fma_f64 v[2:3], v[2:3], v[16:17], v[10:11]
	v_fma_f64 v[0:1], v[0:1], v[16:17], -v[18:19]
	s_delay_alu instid0(VALU_DEP_4) | instskip(NEXT) | instid1(VALU_DEP_4)
	v_add_f64_e32 v[4:5], v[4:5], v[12:13]
	v_add_f64_e32 v[6:7], v[6:7], v[22:23]
	s_delay_alu instid0(VALU_DEP_2) | instskip(NEXT) | instid1(VALU_DEP_2)
	v_add_f64_e32 v[0:1], v[4:5], v[0:1]
	v_add_f64_e32 v[2:3], v[6:7], v[2:3]
	s_delay_alu instid0(VALU_DEP_2) | instskip(NEXT) | instid1(VALU_DEP_2)
	v_add_f64_e64 v[0:1], v[41:42], -v[0:1]
	v_add_f64_e64 v[2:3], v[43:44], -v[2:3]
	scratch_store_b128 off, v[0:3], off offset:16
	s_wait_alu 0xfffe
	s_cbranch_vccz .LBB45_380
; %bb.290:
	global_load_b32 v0, v40, s[2:3] offset:176
	s_wait_loadcnt 0x0
	v_cmp_ne_u32_e32 vcc_lo, 45, v0
	s_cbranch_vccz .LBB45_292
; %bb.291:
	v_lshlrev_b32_e32 v0, 4, v0
	s_delay_alu instid0(VALU_DEP_1)
	v_add_nc_u32_e32 v8, 16, v0
	s_clause 0x1
	scratch_load_b128 v[0:3], v8, off offset:-16
	scratch_load_b128 v[4:7], off, s28
	s_wait_loadcnt 0x1
	scratch_store_b128 off, v[0:3], s28
	s_wait_loadcnt 0x0
	scratch_store_b128 v8, v[4:7], off offset:-16
.LBB45_292:
	v_mov_b32_e32 v0, 0
	global_load_b32 v1, v0, s[2:3] offset:172
	s_wait_loadcnt 0x0
	v_cmp_eq_u32_e32 vcc_lo, 44, v1
	s_cbranch_vccnz .LBB45_294
; %bb.293:
	v_lshlrev_b32_e32 v1, 4, v1
	s_delay_alu instid0(VALU_DEP_1)
	v_add_nc_u32_e32 v9, 16, v1
	s_clause 0x1
	scratch_load_b128 v[1:4], v9, off offset:-16
	scratch_load_b128 v[5:8], off, s27
	s_wait_loadcnt 0x1
	scratch_store_b128 off, v[1:4], s27
	s_wait_loadcnt 0x0
	scratch_store_b128 v9, v[5:8], off offset:-16
.LBB45_294:
	global_load_b32 v0, v0, s[2:3] offset:168
	s_wait_loadcnt 0x0
	v_cmp_eq_u32_e32 vcc_lo, 43, v0
	s_cbranch_vccnz .LBB45_296
; %bb.295:
	v_lshlrev_b32_e32 v0, 4, v0
	s_delay_alu instid0(VALU_DEP_1)
	v_add_nc_u32_e32 v8, 16, v0
	s_clause 0x1
	scratch_load_b128 v[0:3], v8, off offset:-16
	scratch_load_b128 v[4:7], off, s33
	s_wait_loadcnt 0x1
	scratch_store_b128 off, v[0:3], s33
	s_wait_loadcnt 0x0
	scratch_store_b128 v8, v[4:7], off offset:-16
.LBB45_296:
	v_mov_b32_e32 v0, 0
	global_load_b32 v1, v0, s[2:3] offset:164
	s_wait_loadcnt 0x0
	v_cmp_eq_u32_e32 vcc_lo, 42, v1
	s_cbranch_vccnz .LBB45_298
; %bb.297:
	v_lshlrev_b32_e32 v1, 4, v1
	s_delay_alu instid0(VALU_DEP_1)
	v_add_nc_u32_e32 v9, 16, v1
	s_clause 0x1
	scratch_load_b128 v[1:4], v9, off offset:-16
	scratch_load_b128 v[5:8], off, s31
	s_wait_loadcnt 0x1
	scratch_store_b128 off, v[1:4], s31
	s_wait_loadcnt 0x0
	scratch_store_b128 v9, v[5:8], off offset:-16
.LBB45_298:
	global_load_b32 v0, v0, s[2:3] offset:160
	s_wait_loadcnt 0x0
	v_cmp_eq_u32_e32 vcc_lo, 41, v0
	s_cbranch_vccnz .LBB45_300
; %bb.299:
	v_lshlrev_b32_e32 v0, 4, v0
	s_delay_alu instid0(VALU_DEP_1)
	v_add_nc_u32_e32 v8, 16, v0
	s_clause 0x1
	scratch_load_b128 v[0:3], v8, off offset:-16
	scratch_load_b128 v[4:7], off, s37
	s_wait_loadcnt 0x1
	scratch_store_b128 off, v[0:3], s37
	s_wait_loadcnt 0x0
	scratch_store_b128 v8, v[4:7], off offset:-16
.LBB45_300:
	;; [unrolled: 33-line block ×21, first 2 shown]
	v_mov_b32_e32 v0, 0
	global_load_b32 v1, v0, s[2:3] offset:4
	s_wait_loadcnt 0x0
	v_cmp_eq_u32_e32 vcc_lo, 2, v1
	s_cbranch_vccnz .LBB45_378
; %bb.377:
	v_lshlrev_b32_e32 v1, 4, v1
	s_delay_alu instid0(VALU_DEP_1)
	v_add_nc_u32_e32 v9, 16, v1
	s_clause 0x1
	scratch_load_b128 v[1:4], v9, off offset:-16
	scratch_load_b128 v[5:8], off, s41
	s_wait_loadcnt 0x1
	scratch_store_b128 off, v[1:4], s41
	s_wait_loadcnt 0x0
	scratch_store_b128 v9, v[5:8], off offset:-16
.LBB45_378:
	global_load_b32 v0, v0, s[2:3]
	s_wait_loadcnt 0x0
	v_cmp_eq_u32_e32 vcc_lo, 1, v0
	s_cbranch_vccnz .LBB45_380
; %bb.379:
	v_lshlrev_b32_e32 v0, 4, v0
	s_delay_alu instid0(VALU_DEP_1)
	v_add_nc_u32_e32 v8, 16, v0
	scratch_load_b128 v[0:3], v8, off offset:-16
	scratch_load_b128 v[4:7], off, off offset:16
	s_wait_loadcnt 0x1
	scratch_store_b128 off, v[0:3], off offset:16
	s_wait_loadcnt 0x0
	scratch_store_b128 v8, v[4:7], off offset:-16
.LBB45_380:
	scratch_load_b128 v[0:3], off, off offset:16
	s_clause 0x10
	scratch_load_b128 v[4:7], off, s41
	scratch_load_b128 v[8:11], off, s40
	;; [unrolled: 1-line block ×17, first 2 shown]
	s_wait_loadcnt 0x11
	global_store_b128 v[46:47], v[0:3], off
	scratch_load_b128 v[0:3], off, s35
	s_wait_loadcnt 0x11
	global_store_b128 v[48:49], v[4:7], off
	scratch_load_b128 v[4:7], off, s34
	s_wait_loadcnt 0x11
	global_store_b128 v[50:51], v[8:11], off
	s_clause 0x1
	scratch_load_b128 v[8:11], off, s29
	scratch_load_b128 v[44:47], off, s30
	s_wait_loadcnt 0x12
	global_store_b128 v[52:53], v[12:15], off
	s_clause 0x1
	scratch_load_b128 v[12:15], off, s25
	scratch_load_b128 v[48:51], off, s26
	s_wait_loadcnt 0x13
	global_store_b128 v[54:55], v[16:19], off
	s_wait_loadcnt 0x12
	global_store_b128 v[56:57], v[20:23], off
	s_clause 0x1
	scratch_load_b128 v[16:19], off, s23
	scratch_load_b128 v[20:23], off, s24
	s_wait_loadcnt 0x13
	global_store_b128 v[58:59], v[24:27], off
	s_clause 0x1
	scratch_load_b128 v[24:27], off, s21
	scratch_load_b128 v[52:55], off, s22
	s_wait_loadcnt 0x14
	global_store_b128 v[60:61], v[28:31], off
	s_clause 0x1
	scratch_load_b128 v[28:31], off, s19
	scratch_load_b128 v[56:59], off, s20
	s_wait_loadcnt 0x15
	global_store_b128 v[62:63], v[32:35], off
	s_wait_loadcnt 0x14
	global_store_b128 v[64:65], v[36:39], off
	s_clause 0x1
	scratch_load_b128 v[32:35], off, s14
	;; [unrolled: 17-line block ×4, first 2 shown]
	scratch_load_b128 v[76:79], off, s33
	s_wait_loadcnt 0x18
	global_store_b128 v[82:83], v[4:7], off
	s_clause 0x1
	scratch_load_b128 v[4:7], off, s27
	scratch_load_b128 v[80:83], off, s28
	s_wait_loadcnt 0x19
	global_store_b128 v[84:85], v[8:11], off
	s_wait_loadcnt 0x18
	global_store_b128 v[86:87], v[44:47], off
	;; [unrolled: 2-line block ×25, first 2 shown]
	s_wait_loadcnt 0x0
	s_clause 0x1
	global_store_b128 v[134:135], v[80:83], off
	global_store_b128 v[136:137], v[162:165], off
	s_nop 0
	s_sendmsg sendmsg(MSG_DEALLOC_VGPRS)
	s_endpgm
	.section	.rodata,"a",@progbits
	.p2align	6, 0x0
	.amdhsa_kernel _ZN9rocsolver6v33100L18getri_kernel_smallILi46E19rocblas_complex_numIdEPS3_EEvT1_iilPiilS6_bb
		.amdhsa_group_segment_fixed_size 1480
		.amdhsa_private_segment_fixed_size 768
		.amdhsa_kernarg_size 60
		.amdhsa_user_sgpr_count 2
		.amdhsa_user_sgpr_dispatch_ptr 0
		.amdhsa_user_sgpr_queue_ptr 0
		.amdhsa_user_sgpr_kernarg_segment_ptr 1
		.amdhsa_user_sgpr_dispatch_id 0
		.amdhsa_user_sgpr_private_segment_size 0
		.amdhsa_wavefront_size32 1
		.amdhsa_uses_dynamic_stack 0
		.amdhsa_enable_private_segment 1
		.amdhsa_system_sgpr_workgroup_id_x 1
		.amdhsa_system_sgpr_workgroup_id_y 0
		.amdhsa_system_sgpr_workgroup_id_z 0
		.amdhsa_system_sgpr_workgroup_info 0
		.amdhsa_system_vgpr_workitem_id 0
		.amdhsa_next_free_vgpr 174
		.amdhsa_next_free_sgpr 72
		.amdhsa_reserve_vcc 1
		.amdhsa_float_round_mode_32 0
		.amdhsa_float_round_mode_16_64 0
		.amdhsa_float_denorm_mode_32 3
		.amdhsa_float_denorm_mode_16_64 3
		.amdhsa_fp16_overflow 0
		.amdhsa_workgroup_processor_mode 1
		.amdhsa_memory_ordered 1
		.amdhsa_forward_progress 1
		.amdhsa_inst_pref_size 255
		.amdhsa_round_robin_scheduling 0
		.amdhsa_exception_fp_ieee_invalid_op 0
		.amdhsa_exception_fp_denorm_src 0
		.amdhsa_exception_fp_ieee_div_zero 0
		.amdhsa_exception_fp_ieee_overflow 0
		.amdhsa_exception_fp_ieee_underflow 0
		.amdhsa_exception_fp_ieee_inexact 0
		.amdhsa_exception_int_div_zero 0
	.end_amdhsa_kernel
	.section	.text._ZN9rocsolver6v33100L18getri_kernel_smallILi46E19rocblas_complex_numIdEPS3_EEvT1_iilPiilS6_bb,"axG",@progbits,_ZN9rocsolver6v33100L18getri_kernel_smallILi46E19rocblas_complex_numIdEPS3_EEvT1_iilPiilS6_bb,comdat
.Lfunc_end45:
	.size	_ZN9rocsolver6v33100L18getri_kernel_smallILi46E19rocblas_complex_numIdEPS3_EEvT1_iilPiilS6_bb, .Lfunc_end45-_ZN9rocsolver6v33100L18getri_kernel_smallILi46E19rocblas_complex_numIdEPS3_EEvT1_iilPiilS6_bb
                                        ; -- End function
	.set _ZN9rocsolver6v33100L18getri_kernel_smallILi46E19rocblas_complex_numIdEPS3_EEvT1_iilPiilS6_bb.num_vgpr, 174
	.set _ZN9rocsolver6v33100L18getri_kernel_smallILi46E19rocblas_complex_numIdEPS3_EEvT1_iilPiilS6_bb.num_agpr, 0
	.set _ZN9rocsolver6v33100L18getri_kernel_smallILi46E19rocblas_complex_numIdEPS3_EEvT1_iilPiilS6_bb.numbered_sgpr, 72
	.set _ZN9rocsolver6v33100L18getri_kernel_smallILi46E19rocblas_complex_numIdEPS3_EEvT1_iilPiilS6_bb.num_named_barrier, 0
	.set _ZN9rocsolver6v33100L18getri_kernel_smallILi46E19rocblas_complex_numIdEPS3_EEvT1_iilPiilS6_bb.private_seg_size, 768
	.set _ZN9rocsolver6v33100L18getri_kernel_smallILi46E19rocblas_complex_numIdEPS3_EEvT1_iilPiilS6_bb.uses_vcc, 1
	.set _ZN9rocsolver6v33100L18getri_kernel_smallILi46E19rocblas_complex_numIdEPS3_EEvT1_iilPiilS6_bb.uses_flat_scratch, 1
	.set _ZN9rocsolver6v33100L18getri_kernel_smallILi46E19rocblas_complex_numIdEPS3_EEvT1_iilPiilS6_bb.has_dyn_sized_stack, 0
	.set _ZN9rocsolver6v33100L18getri_kernel_smallILi46E19rocblas_complex_numIdEPS3_EEvT1_iilPiilS6_bb.has_recursion, 0
	.set _ZN9rocsolver6v33100L18getri_kernel_smallILi46E19rocblas_complex_numIdEPS3_EEvT1_iilPiilS6_bb.has_indirect_call, 0
	.section	.AMDGPU.csdata,"",@progbits
; Kernel info:
; codeLenInByte = 88896
; TotalNumSgprs: 74
; NumVgprs: 174
; ScratchSize: 768
; MemoryBound: 0
; FloatMode: 240
; IeeeMode: 1
; LDSByteSize: 1480 bytes/workgroup (compile time only)
; SGPRBlocks: 0
; VGPRBlocks: 21
; NumSGPRsForWavesPerEU: 74
; NumVGPRsForWavesPerEU: 174
; Occupancy: 8
; WaveLimiterHint : 1
; COMPUTE_PGM_RSRC2:SCRATCH_EN: 1
; COMPUTE_PGM_RSRC2:USER_SGPR: 2
; COMPUTE_PGM_RSRC2:TRAP_HANDLER: 0
; COMPUTE_PGM_RSRC2:TGID_X_EN: 1
; COMPUTE_PGM_RSRC2:TGID_Y_EN: 0
; COMPUTE_PGM_RSRC2:TGID_Z_EN: 0
; COMPUTE_PGM_RSRC2:TIDIG_COMP_CNT: 0
	.section	.text._ZN9rocsolver6v33100L18getri_kernel_smallILi47E19rocblas_complex_numIdEPS3_EEvT1_iilPiilS6_bb,"axG",@progbits,_ZN9rocsolver6v33100L18getri_kernel_smallILi47E19rocblas_complex_numIdEPS3_EEvT1_iilPiilS6_bb,comdat
	.globl	_ZN9rocsolver6v33100L18getri_kernel_smallILi47E19rocblas_complex_numIdEPS3_EEvT1_iilPiilS6_bb ; -- Begin function _ZN9rocsolver6v33100L18getri_kernel_smallILi47E19rocblas_complex_numIdEPS3_EEvT1_iilPiilS6_bb
	.p2align	8
	.type	_ZN9rocsolver6v33100L18getri_kernel_smallILi47E19rocblas_complex_numIdEPS3_EEvT1_iilPiilS6_bb,@function
_ZN9rocsolver6v33100L18getri_kernel_smallILi47E19rocblas_complex_numIdEPS3_EEvT1_iilPiilS6_bb: ; @_ZN9rocsolver6v33100L18getri_kernel_smallILi47E19rocblas_complex_numIdEPS3_EEvT1_iilPiilS6_bb
; %bb.0:
	s_mov_b32 s2, exec_lo
	v_cmpx_gt_u32_e32 47, v0
	s_cbranch_execz .LBB46_202
; %bb.1:
	s_clause 0x2
	s_load_b32 s2, s[0:1], 0x38
	s_load_b128 s[12:15], s[0:1], 0x10
	s_load_b128 s[4:7], s[0:1], 0x28
	s_mov_b32 s16, ttmp9
	s_wait_kmcnt 0x0
	s_bitcmp1_b32 s2, 8
	s_cselect_b32 s18, -1, 0
	s_bfe_u32 s2, s2, 0x10008
	s_ashr_i32 s17, ttmp9, 31
	s_cmp_eq_u32 s2, 0
                                        ; implicit-def: $sgpr2_sgpr3
	s_cbranch_scc1 .LBB46_3
; %bb.2:
	s_load_b32 s2, s[0:1], 0x20
	s_mul_u64 s[4:5], s[4:5], s[16:17]
	s_delay_alu instid0(SALU_CYCLE_1) | instskip(NEXT) | instid1(SALU_CYCLE_1)
	s_lshl_b64 s[4:5], s[4:5], 2
	s_add_nc_u64 s[4:5], s[14:15], s[4:5]
	s_wait_kmcnt 0x0
	s_ashr_i32 s3, s2, 31
	s_delay_alu instid0(SALU_CYCLE_1) | instskip(NEXT) | instid1(SALU_CYCLE_1)
	s_lshl_b64 s[2:3], s[2:3], 2
	s_add_nc_u64 s[2:3], s[4:5], s[2:3]
.LBB46_3:
	s_clause 0x1
	s_load_b128 s[8:11], s[0:1], 0x0
	s_load_b32 s56, s[0:1], 0x38
	s_mul_u64 s[0:1], s[12:13], s[16:17]
	v_lshlrev_b32_e32 v13, 4, v0
	s_lshl_b64 s[0:1], s[0:1], 4
	s_movk_i32 s12, 0xd0
	s_movk_i32 s13, 0xe0
	;; [unrolled: 1-line block ×15, first 2 shown]
	s_wait_kmcnt 0x0
	v_add3_u32 v5, s11, s11, v0
	s_ashr_i32 s5, s10, 31
	s_mov_b32 s4, s10
	s_add_nc_u64 s[0:1], s[8:9], s[0:1]
	s_lshl_b64 s[4:5], s[4:5], 4
	v_add_nc_u32_e32 v7, s11, v5
	v_ashrrev_i32_e32 v6, 31, v5
	s_add_nc_u64 s[0:1], s[0:1], s[4:5]
	s_ashr_i32 s9, s11, 31
	v_add_co_u32 v46, s4, s0, v13
	v_add_nc_u32_e32 v9, s11, v7
	s_mov_b32 s8, s11
	v_ashrrev_i32_e32 v8, 31, v7
	v_lshlrev_b64_e32 v[5:6], 4, v[5:6]
	v_add_co_ci_u32_e64 v47, null, s1, 0, s4
	s_lshl_b64 s[8:9], s[8:9], 4
	v_ashrrev_i32_e32 v10, 31, v9
	v_add_nc_u32_e32 v11, s11, v9
	v_add_co_u32 v48, vcc_lo, v46, s8
	v_lshlrev_b64_e32 v[7:8], 4, v[7:8]
	v_add_co_ci_u32_e64 v49, null, s9, v47, vcc_lo
	v_add_co_u32 v50, vcc_lo, s0, v5
	s_wait_alu 0xfffd
	v_add_co_ci_u32_e64 v51, null, s1, v6, vcc_lo
	v_lshlrev_b64_e32 v[5:6], 4, v[9:10]
	v_ashrrev_i32_e32 v12, 31, v11
	v_add_nc_u32_e32 v9, s11, v11
	v_add_co_u32 v52, vcc_lo, s0, v7
	s_wait_alu 0xfffd
	v_add_co_ci_u32_e64 v53, null, s1, v8, vcc_lo
	v_lshlrev_b64_e32 v[7:8], 4, v[11:12]
	v_ashrrev_i32_e32 v10, 31, v9
	v_add_nc_u32_e32 v11, s11, v9
	v_add_co_u32 v54, vcc_lo, s0, v5
	s_wait_alu 0xfffd
	v_add_co_ci_u32_e64 v55, null, s1, v6, vcc_lo
	v_lshlrev_b64_e32 v[5:6], 4, v[9:10]
	v_ashrrev_i32_e32 v12, 31, v11
	v_add_nc_u32_e32 v9, s11, v11
	v_add_co_u32 v56, vcc_lo, s0, v7
	s_wait_alu 0xfffd
	v_add_co_ci_u32_e64 v57, null, s1, v8, vcc_lo
	v_lshlrev_b64_e32 v[7:8], 4, v[11:12]
	v_ashrrev_i32_e32 v10, 31, v9
	v_add_nc_u32_e32 v11, s11, v9
	v_add_co_u32 v58, vcc_lo, s0, v5
	s_wait_alu 0xfffd
	v_add_co_ci_u32_e64 v59, null, s1, v6, vcc_lo
	v_lshlrev_b64_e32 v[5:6], 4, v[9:10]
	v_ashrrev_i32_e32 v12, 31, v11
	v_add_nc_u32_e32 v9, s11, v11
	v_add_co_u32 v60, vcc_lo, s0, v7
	s_wait_alu 0xfffd
	v_add_co_ci_u32_e64 v61, null, s1, v8, vcc_lo
	v_lshlrev_b64_e32 v[7:8], 4, v[11:12]
	v_add_nc_u32_e32 v11, s11, v9
	v_ashrrev_i32_e32 v10, 31, v9
	v_add_co_u32 v62, vcc_lo, s0, v5
	s_wait_alu 0xfffd
	v_add_co_ci_u32_e64 v63, null, s1, v6, vcc_lo
	v_add_nc_u32_e32 v72, s11, v11
	v_ashrrev_i32_e32 v12, 31, v11
	v_lshlrev_b64_e32 v[14:15], 4, v[9:10]
	v_add_co_u32 v64, vcc_lo, s0, v7
	s_delay_alu instid0(VALU_DEP_4) | instskip(NEXT) | instid1(VALU_DEP_4)
	v_ashrrev_i32_e32 v73, 31, v72
	v_lshlrev_b64_e32 v[34:35], 4, v[11:12]
	s_wait_alu 0xfffd
	v_add_co_ci_u32_e64 v65, null, s1, v8, vcc_lo
	v_add_co_u32 v66, vcc_lo, s0, v14
	v_lshlrev_b64_e32 v[70:71], 4, v[72:73]
	s_wait_alu 0xfffd
	v_add_co_ci_u32_e64 v67, null, s1, v15, vcc_lo
	v_add_co_u32 v68, vcc_lo, s0, v34
	s_wait_alu 0xfffd
	v_add_co_ci_u32_e64 v69, null, s1, v35, vcc_lo
	v_add_co_u32 v70, vcc_lo, s0, v70
	global_load_b128 v[1:4], v13, s[0:1]
	s_wait_alu 0xfffd
	v_add_co_ci_u32_e64 v71, null, s1, v71, vcc_lo
	s_clause 0xb
	global_load_b128 v[5:8], v[48:49], off
	global_load_b128 v[9:12], v[50:51], off
	;; [unrolled: 1-line block ×12, first 2 shown]
	v_add_nc_u32_e32 v72, s11, v72
	s_movk_i32 s4, 0x70
	s_movk_i32 s5, 0x80
	;; [unrolled: 1-line block ×4, first 2 shown]
	v_add_nc_u32_e32 v74, s11, v72
	v_ashrrev_i32_e32 v73, 31, v72
	s_movk_i32 s10, 0xb0
	s_movk_i32 s58, 0x1c0
	;; [unrolled: 1-line block ×3, first 2 shown]
	v_add_nc_u32_e32 v76, s11, v74
	v_ashrrev_i32_e32 v75, 31, v74
	v_lshlrev_b64_e32 v[72:73], 4, v[72:73]
	s_movk_i32 s60, 0x1e0
	s_movk_i32 s61, 0x1f0
	v_add_nc_u32_e32 v78, s11, v76
	v_ashrrev_i32_e32 v77, 31, v76
	v_lshlrev_b64_e32 v[74:75], 4, v[74:75]
	v_add_co_u32 v72, vcc_lo, s0, v72
	s_delay_alu instid0(VALU_DEP_4)
	v_add_nc_u32_e32 v80, s11, v78
	v_ashrrev_i32_e32 v79, 31, v78
	v_lshlrev_b64_e32 v[76:77], 4, v[76:77]
	s_wait_alu 0xfffd
	v_add_co_ci_u32_e64 v73, null, s1, v73, vcc_lo
	v_add_nc_u32_e32 v82, s11, v80
	v_ashrrev_i32_e32 v81, 31, v80
	v_lshlrev_b64_e32 v[78:79], 4, v[78:79]
	v_add_co_u32 v74, vcc_lo, s0, v74
	s_delay_alu instid0(VALU_DEP_4)
	v_add_nc_u32_e32 v84, s11, v82
	v_ashrrev_i32_e32 v83, 31, v82
	v_lshlrev_b64_e32 v[80:81], 4, v[80:81]
	s_wait_alu 0xfffd
	v_add_co_ci_u32_e64 v75, null, s1, v75, vcc_lo
	v_add_nc_u32_e32 v86, s11, v84
	v_ashrrev_i32_e32 v85, 31, v84
	v_add_co_u32 v76, vcc_lo, s0, v76
	v_lshlrev_b64_e32 v[82:83], 4, v[82:83]
	s_delay_alu instid0(VALU_DEP_4)
	v_add_nc_u32_e32 v88, s11, v86
	v_ashrrev_i32_e32 v87, 31, v86
	s_wait_alu 0xfffd
	v_add_co_ci_u32_e64 v77, null, s1, v77, vcc_lo
	v_add_co_u32 v78, vcc_lo, s0, v78
	v_add_nc_u32_e32 v90, s11, v88
	v_ashrrev_i32_e32 v89, 31, v88
	v_lshlrev_b64_e32 v[84:85], 4, v[84:85]
	s_wait_alu 0xfffd
	v_add_co_ci_u32_e64 v79, null, s1, v79, vcc_lo
	v_add_nc_u32_e32 v92, s11, v90
	v_ashrrev_i32_e32 v91, 31, v90
	v_add_co_u32 v80, vcc_lo, s0, v80
	v_lshlrev_b64_e32 v[86:87], 4, v[86:87]
	s_delay_alu instid0(VALU_DEP_4)
	v_add_nc_u32_e32 v94, s11, v92
	v_ashrrev_i32_e32 v93, 31, v92
	s_wait_alu 0xfffd
	v_add_co_ci_u32_e64 v81, null, s1, v81, vcc_lo
	v_add_co_u32 v82, vcc_lo, s0, v82
	v_add_nc_u32_e32 v96, s11, v94
	v_lshlrev_b64_e32 v[88:89], 4, v[88:89]
	v_ashrrev_i32_e32 v95, 31, v94
	s_wait_alu 0xfffd
	v_add_co_ci_u32_e64 v83, null, s1, v83, vcc_lo
	v_add_nc_u32_e32 v98, s11, v96
	v_add_co_u32 v84, vcc_lo, s0, v84
	v_lshlrev_b64_e32 v[90:91], 4, v[90:91]
	v_ashrrev_i32_e32 v97, 31, v96
	s_delay_alu instid0(VALU_DEP_4) | instskip(SKIP_3) | instid1(VALU_DEP_3)
	v_add_nc_u32_e32 v100, s11, v98
	s_wait_alu 0xfffd
	v_add_co_ci_u32_e64 v85, null, s1, v85, vcc_lo
	v_add_co_u32 v86, vcc_lo, s0, v86
	v_add_nc_u32_e32 v102, s11, v100
	v_lshlrev_b64_e32 v[92:93], 4, v[92:93]
	v_ashrrev_i32_e32 v99, 31, v98
	s_wait_alu 0xfffd
	v_add_co_ci_u32_e64 v87, null, s1, v87, vcc_lo
	v_add_co_u32 v88, vcc_lo, s0, v88
	v_lshlrev_b64_e32 v[94:95], 4, v[94:95]
	v_add_nc_u32_e32 v104, s11, v102
	v_ashrrev_i32_e32 v101, 31, v100
	s_wait_alu 0xfffd
	v_add_co_ci_u32_e64 v89, null, s1, v89, vcc_lo
	v_add_co_u32 v90, vcc_lo, s0, v90
	v_lshlrev_b64_e32 v[96:97], 4, v[96:97]
	v_ashrrev_i32_e32 v103, 31, v102
	s_wait_alu 0xfffd
	v_add_co_ci_u32_e64 v91, null, s1, v91, vcc_lo
	v_add_co_u32 v92, vcc_lo, s0, v92
	v_lshlrev_b64_e32 v[98:99], 4, v[98:99]
	;; [unrolled: 5-line block ×3, first 2 shown]
	s_wait_alu 0xfffd
	v_add_co_ci_u32_e64 v95, null, s1, v95, vcc_lo
	v_add_co_u32 v96, vcc_lo, s0, v96
	v_lshlrev_b64_e32 v[102:103], 4, v[102:103]
	s_wait_alu 0xfffd
	v_add_co_ci_u32_e64 v97, null, s1, v97, vcc_lo
	v_add_co_u32 v98, vcc_lo, s0, v98
	v_add_nc_u32_e32 v106, s11, v104
	v_lshlrev_b64_e32 v[104:105], 4, v[104:105]
	s_wait_alu 0xfffd
	v_add_co_ci_u32_e64 v99, null, s1, v99, vcc_lo
	v_add_co_u32 v100, vcc_lo, s0, v100
	s_wait_alu 0xfffd
	v_add_co_ci_u32_e64 v101, null, s1, v101, vcc_lo
	v_add_co_u32 v102, vcc_lo, s0, v102
	s_clause 0x1
	global_load_b128 v[148:151], v[72:73], off
	global_load_b128 v[152:155], v[74:75], off
	s_wait_alu 0xfffd
	v_add_co_ci_u32_e64 v103, null, s1, v103, vcc_lo
	v_add_co_u32 v104, vcc_lo, s0, v104
	s_clause 0x1
	global_load_b128 v[156:159], v[76:77], off
	global_load_b128 v[160:163], v[78:79], off
	s_wait_alu 0xfffd
	v_add_co_ci_u32_e64 v105, null, s1, v105, vcc_lo
	v_add_nc_u32_e32 v108, s11, v106
	v_ashrrev_i32_e32 v107, 31, v106
	s_movk_i32 s62, 0x200
	s_movk_i32 s63, 0x210
	;; [unrolled: 1-line block ×3, first 2 shown]
	v_add_nc_u32_e32 v110, s11, v108
	v_ashrrev_i32_e32 v109, 31, v108
	v_lshlrev_b64_e32 v[106:107], 4, v[106:107]
	s_movk_i32 s65, 0x230
	s_movk_i32 s66, 0x240
	v_add_nc_u32_e32 v112, s11, v110
	v_ashrrev_i32_e32 v111, 31, v110
	v_lshlrev_b64_e32 v[108:109], 4, v[108:109]
	v_add_co_u32 v106, vcc_lo, s0, v106
	s_delay_alu instid0(VALU_DEP_4)
	v_add_nc_u32_e32 v114, s11, v112
	v_ashrrev_i32_e32 v113, 31, v112
	v_lshlrev_b64_e32 v[110:111], 4, v[110:111]
	s_wait_alu 0xfffd
	v_add_co_ci_u32_e64 v107, null, s1, v107, vcc_lo
	v_add_nc_u32_e32 v116, s11, v114
	v_ashrrev_i32_e32 v115, 31, v114
	v_lshlrev_b64_e32 v[112:113], 4, v[112:113]
	v_add_co_u32 v108, vcc_lo, s0, v108
	s_delay_alu instid0(VALU_DEP_4)
	v_add_nc_u32_e32 v118, s11, v116
	v_ashrrev_i32_e32 v117, 31, v116
	v_lshlrev_b64_e32 v[114:115], 4, v[114:115]
	s_wait_alu 0xfffd
	v_add_co_ci_u32_e64 v109, null, s1, v109, vcc_lo
	v_add_nc_u32_e32 v120, s11, v118
	v_ashrrev_i32_e32 v119, 31, v118
	v_add_co_u32 v110, vcc_lo, s0, v110
	v_lshlrev_b64_e32 v[116:117], 4, v[116:117]
	s_delay_alu instid0(VALU_DEP_4)
	v_add_nc_u32_e32 v122, s11, v120
	v_ashrrev_i32_e32 v121, 31, v120
	s_wait_alu 0xfffd
	v_add_co_ci_u32_e64 v111, null, s1, v111, vcc_lo
	v_add_co_u32 v112, vcc_lo, s0, v112
	v_add_nc_u32_e32 v124, s11, v122
	v_ashrrev_i32_e32 v123, 31, v122
	v_lshlrev_b64_e32 v[118:119], 4, v[118:119]
	s_wait_alu 0xfffd
	v_add_co_ci_u32_e64 v113, null, s1, v113, vcc_lo
	v_add_nc_u32_e32 v126, s11, v124
	v_ashrrev_i32_e32 v125, 31, v124
	v_add_co_u32 v114, vcc_lo, s0, v114
	v_lshlrev_b64_e32 v[120:121], 4, v[120:121]
	s_delay_alu instid0(VALU_DEP_4)
	v_add_nc_u32_e32 v128, s11, v126
	v_ashrrev_i32_e32 v127, 31, v126
	s_wait_alu 0xfffd
	v_add_co_ci_u32_e64 v115, null, s1, v115, vcc_lo
	v_add_co_u32 v116, vcc_lo, s0, v116
	v_add_nc_u32_e32 v130, s11, v128
	v_lshlrev_b64_e32 v[122:123], 4, v[122:123]
	v_ashrrev_i32_e32 v129, 31, v128
	s_wait_alu 0xfffd
	v_add_co_ci_u32_e64 v117, null, s1, v117, vcc_lo
	v_add_nc_u32_e32 v132, s11, v130
	v_add_co_u32 v118, vcc_lo, s0, v118
	v_lshlrev_b64_e32 v[124:125], 4, v[124:125]
	v_ashrrev_i32_e32 v131, 31, v130
	s_delay_alu instid0(VALU_DEP_4) | instskip(SKIP_3) | instid1(VALU_DEP_3)
	v_add_nc_u32_e32 v134, s11, v132
	s_wait_alu 0xfffd
	v_add_co_ci_u32_e64 v119, null, s1, v119, vcc_lo
	v_add_co_u32 v120, vcc_lo, s0, v120
	v_add_nc_u32_e32 v136, s11, v134
	v_lshlrev_b64_e32 v[126:127], 4, v[126:127]
	v_ashrrev_i32_e32 v133, 31, v132
	s_wait_alu 0xfffd
	v_add_co_ci_u32_e64 v121, null, s1, v121, vcc_lo
	v_add_co_u32 v122, vcc_lo, s0, v122
	v_lshlrev_b64_e32 v[128:129], 4, v[128:129]
	v_add_nc_u32_e32 v138, s11, v136
	v_ashrrev_i32_e32 v135, 31, v134
	s_wait_alu 0xfffd
	v_add_co_ci_u32_e64 v123, null, s1, v123, vcc_lo
	v_add_co_u32 v124, vcc_lo, s0, v124
	v_lshlrev_b64_e32 v[130:131], 4, v[130:131]
	v_ashrrev_i32_e32 v137, 31, v136
	s_wait_alu 0xfffd
	v_add_co_ci_u32_e64 v125, null, s1, v125, vcc_lo
	v_add_co_u32 v126, vcc_lo, s0, v126
	v_lshlrev_b64_e32 v[132:133], 4, v[132:133]
	;; [unrolled: 5-line block ×3, first 2 shown]
	s_wait_alu 0xfffd
	v_add_co_ci_u32_e64 v129, null, s1, v129, vcc_lo
	v_add_co_u32 v130, vcc_lo, s0, v130
	v_lshlrev_b64_e32 v[136:137], 4, v[136:137]
	s_wait_alu 0xfffd
	v_add_co_ci_u32_e64 v131, null, s1, v131, vcc_lo
	v_add_co_u32 v132, vcc_lo, s0, v132
	v_lshlrev_b64_e32 v[138:139], 4, v[138:139]
	s_wait_alu 0xfffd
	v_add_co_ci_u32_e64 v133, null, s1, v133, vcc_lo
	v_add_co_u32 v134, vcc_lo, s0, v134
	s_wait_alu 0xfffd
	v_add_co_ci_u32_e64 v135, null, s1, v135, vcc_lo
	v_add_co_u32 v136, vcc_lo, s0, v136
	;; [unrolled: 3-line block ×3, first 2 shown]
	s_wait_alu 0xfffd
	v_add_co_ci_u32_e64 v139, null, s1, v139, vcc_lo
	s_movk_i32 s0, 0x50
	s_movk_i32 s1, 0x60
	;; [unrolled: 1-line block ×13, first 2 shown]
	s_wait_alu 0xfffe
	s_add_co_i32 s55, s0, 16
	s_add_co_i32 s54, s1, 16
	;; [unrolled: 1-line block ×42, first 2 shown]
	s_mov_b32 s26, 32
	s_mov_b32 s25, 48
	s_wait_loadcnt 0x10
	scratch_store_b128 off, v[1:4], off offset:16
	global_load_b128 v[1:4], v[80:81], off
	s_wait_loadcnt 0x10
	scratch_store_b128 off, v[5:8], off offset:32
	global_load_b128 v[5:8], v[82:83], off
	s_wait_loadcnt 0x10
	scratch_store_b128 off, v[9:12], off offset:48
	s_wait_loadcnt 0xf
	scratch_store_b128 off, v[14:17], off offset:64
	s_clause 0x1
	global_load_b128 v[9:12], v[84:85], off
	global_load_b128 v[14:17], v[86:87], off
	s_wait_loadcnt 0x10
	scratch_store_b128 off, v[18:21], off offset:80
	s_wait_loadcnt 0xf
	scratch_store_b128 off, v[22:25], off offset:96
	s_clause 0x1
	global_load_b128 v[18:21], v[88:89], off
	;; [unrolled: 7-line block ×5, first 2 shown]
	global_load_b128 v[140:143], v[102:103], off
	s_wait_loadcnt 0x10
	scratch_store_b128 off, v[144:147], off offset:208
	global_load_b128 v[144:147], v[104:105], off
	s_mov_b32 s23, 64
	s_movk_i32 s21, 0x50
	s_bitcmp0_b32 s56, 0
	s_mov_b32 s1, -1
	s_wait_loadcnt 0x10
	scratch_store_b128 off, v[148:151], off offset:224
	global_load_b128 v[148:151], v[106:107], off
	s_wait_loadcnt 0x10
	scratch_store_b128 off, v[152:155], off offset:240
	s_wait_loadcnt 0xf
	scratch_store_b128 off, v[156:159], off offset:256
	s_clause 0x1
	global_load_b128 v[152:155], v[108:109], off
	global_load_b128 v[156:159], v[110:111], off
	s_wait_loadcnt 0x10
	scratch_store_b128 off, v[160:163], off offset:272
	s_wait_loadcnt 0xf
	scratch_store_b128 off, v[1:4], off offset:288
	s_clause 0x1
	global_load_b128 v[1:4], v[112:113], off
	;; [unrolled: 7-line block ×7, first 2 shown]
	global_load_b128 v[42:45], v[134:135], off
	s_wait_loadcnt 0x10
	scratch_store_b128 off, v[140:143], off offset:464
	global_load_b128 v[140:143], v[136:137], off
	s_wait_loadcnt 0x10
	scratch_store_b128 off, v[144:147], off offset:480
	;; [unrolled: 3-line block ×3, first 2 shown]
	s_wait_loadcnt 0xf
	scratch_store_b128 off, v[152:155], off offset:512
	s_wait_loadcnt 0xe
	scratch_store_b128 off, v[156:159], off offset:528
	;; [unrolled: 2-line block ×16, first 2 shown]
	s_cbranch_scc1 .LBB46_200
; %bb.4:
	v_cmp_eq_u32_e64 s0, 0, v0
	s_and_saveexec_b32 s1, s0
; %bb.5:
	v_mov_b32_e32 v1, 0
	ds_store_b32 v1, v1 offset:1504
; %bb.6:
	s_wait_alu 0xfffe
	s_or_b32 exec_lo, exec_lo, s1
	s_wait_storecnt_dscnt 0x0
	s_barrier_signal -1
	s_barrier_wait -1
	global_inv scope:SCOPE_SE
	scratch_load_b128 v[1:4], v13, off offset:16
	s_wait_loadcnt 0x0
	v_cmp_eq_f64_e32 vcc_lo, 0, v[1:2]
	v_cmp_eq_f64_e64 s1, 0, v[3:4]
	s_and_b32 s1, vcc_lo, s1
	s_wait_alu 0xfffe
	s_and_saveexec_b32 s56, s1
	s_cbranch_execz .LBB46_10
; %bb.7:
	v_mov_b32_e32 v1, 0
	s_mov_b32 s57, 0
	ds_load_b32 v2, v1 offset:1504
	s_wait_dscnt 0x0
	v_readfirstlane_b32 s1, v2
	v_add_nc_u32_e32 v2, 1, v0
	s_cmp_eq_u32 s1, 0
	s_delay_alu instid0(VALU_DEP_1) | instskip(SKIP_1) | instid1(SALU_CYCLE_1)
	v_cmp_gt_i32_e32 vcc_lo, s1, v2
	s_cselect_b32 s58, -1, 0
	s_or_b32 s58, s58, vcc_lo
	s_delay_alu instid0(SALU_CYCLE_1)
	s_and_b32 exec_lo, exec_lo, s58
	s_cbranch_execz .LBB46_10
; %bb.8:
	v_mov_b32_e32 v3, s1
.LBB46_9:                               ; =>This Inner Loop Header: Depth=1
	ds_cmpstore_rtn_b32 v3, v1, v2, v3 offset:1504
	s_wait_dscnt 0x0
	v_cmp_ne_u32_e32 vcc_lo, 0, v3
	v_cmp_le_i32_e64 s1, v3, v2
	s_and_b32 s1, vcc_lo, s1
	s_wait_alu 0xfffe
	s_and_b32 s1, exec_lo, s1
	s_wait_alu 0xfffe
	s_or_b32 s57, s1, s57
	s_delay_alu instid0(SALU_CYCLE_1)
	s_and_not1_b32 exec_lo, exec_lo, s57
	s_cbranch_execnz .LBB46_9
.LBB46_10:
	s_or_b32 exec_lo, exec_lo, s56
	v_mov_b32_e32 v1, 0
	s_barrier_signal -1
	s_barrier_wait -1
	global_inv scope:SCOPE_SE
	ds_load_b32 v2, v1 offset:1504
	s_and_saveexec_b32 s1, s0
	s_cbranch_execz .LBB46_12
; %bb.11:
	s_lshl_b64 s[56:57], s[16:17], 2
	s_delay_alu instid0(SALU_CYCLE_1)
	s_add_nc_u64 s[56:57], s[6:7], s[56:57]
	s_wait_dscnt 0x0
	global_store_b32 v1, v2, s[56:57]
.LBB46_12:
	s_wait_alu 0xfffe
	s_or_b32 exec_lo, exec_lo, s1
	s_wait_dscnt 0x0
	v_cmp_ne_u32_e32 vcc_lo, 0, v2
	s_mov_b32 s1, 0
	s_cbranch_vccnz .LBB46_200
; %bb.13:
	v_add_nc_u32_e32 v14, 16, v13
                                        ; implicit-def: $vgpr1_vgpr2
                                        ; implicit-def: $vgpr9_vgpr10
	scratch_load_b128 v[5:8], v14, off
	s_wait_loadcnt 0x0
	v_cmp_ngt_f64_e64 s1, |v[5:6]|, |v[7:8]|
	s_wait_alu 0xfffe
	s_and_saveexec_b32 s56, s1
	s_delay_alu instid0(SALU_CYCLE_1)
	s_xor_b32 s1, exec_lo, s56
	s_cbranch_execz .LBB46_15
; %bb.14:
	v_div_scale_f64 v[1:2], null, v[7:8], v[7:8], v[5:6]
	v_div_scale_f64 v[11:12], vcc_lo, v[5:6], v[7:8], v[5:6]
	s_delay_alu instid0(VALU_DEP_2) | instskip(NEXT) | instid1(TRANS32_DEP_1)
	v_rcp_f64_e32 v[3:4], v[1:2]
	v_fma_f64 v[9:10], -v[1:2], v[3:4], 1.0
	s_delay_alu instid0(VALU_DEP_1) | instskip(NEXT) | instid1(VALU_DEP_1)
	v_fma_f64 v[3:4], v[3:4], v[9:10], v[3:4]
	v_fma_f64 v[9:10], -v[1:2], v[3:4], 1.0
	s_delay_alu instid0(VALU_DEP_1) | instskip(NEXT) | instid1(VALU_DEP_1)
	v_fma_f64 v[3:4], v[3:4], v[9:10], v[3:4]
	v_mul_f64_e32 v[9:10], v[11:12], v[3:4]
	s_delay_alu instid0(VALU_DEP_1) | instskip(SKIP_1) | instid1(VALU_DEP_1)
	v_fma_f64 v[1:2], -v[1:2], v[9:10], v[11:12]
	s_wait_alu 0xfffd
	v_div_fmas_f64 v[1:2], v[1:2], v[3:4], v[9:10]
	s_delay_alu instid0(VALU_DEP_1) | instskip(NEXT) | instid1(VALU_DEP_1)
	v_div_fixup_f64 v[1:2], v[1:2], v[7:8], v[5:6]
	v_fma_f64 v[3:4], v[5:6], v[1:2], v[7:8]
	s_delay_alu instid0(VALU_DEP_1) | instskip(SKIP_1) | instid1(VALU_DEP_2)
	v_div_scale_f64 v[5:6], null, v[3:4], v[3:4], 1.0
	v_div_scale_f64 v[11:12], vcc_lo, 1.0, v[3:4], 1.0
	v_rcp_f64_e32 v[7:8], v[5:6]
	s_delay_alu instid0(TRANS32_DEP_1) | instskip(NEXT) | instid1(VALU_DEP_1)
	v_fma_f64 v[9:10], -v[5:6], v[7:8], 1.0
	v_fma_f64 v[7:8], v[7:8], v[9:10], v[7:8]
	s_delay_alu instid0(VALU_DEP_1) | instskip(NEXT) | instid1(VALU_DEP_1)
	v_fma_f64 v[9:10], -v[5:6], v[7:8], 1.0
	v_fma_f64 v[7:8], v[7:8], v[9:10], v[7:8]
	s_delay_alu instid0(VALU_DEP_1) | instskip(NEXT) | instid1(VALU_DEP_1)
	v_mul_f64_e32 v[9:10], v[11:12], v[7:8]
	v_fma_f64 v[5:6], -v[5:6], v[9:10], v[11:12]
	s_wait_alu 0xfffd
	s_delay_alu instid0(VALU_DEP_1) | instskip(NEXT) | instid1(VALU_DEP_1)
	v_div_fmas_f64 v[5:6], v[5:6], v[7:8], v[9:10]
	v_div_fixup_f64 v[3:4], v[5:6], v[3:4], 1.0
                                        ; implicit-def: $vgpr5_vgpr6
	s_delay_alu instid0(VALU_DEP_1) | instskip(SKIP_1) | instid1(VALU_DEP_2)
	v_mul_f64_e32 v[1:2], v[1:2], v[3:4]
	v_xor_b32_e32 v4, 0x80000000, v4
	v_xor_b32_e32 v10, 0x80000000, v2
	s_delay_alu instid0(VALU_DEP_3)
	v_mov_b32_e32 v9, v1
.LBB46_15:
	s_wait_alu 0xfffe
	s_and_not1_saveexec_b32 s1, s1
	s_cbranch_execz .LBB46_17
; %bb.16:
	v_div_scale_f64 v[1:2], null, v[5:6], v[5:6], v[7:8]
	v_div_scale_f64 v[11:12], vcc_lo, v[7:8], v[5:6], v[7:8]
	s_delay_alu instid0(VALU_DEP_2) | instskip(NEXT) | instid1(TRANS32_DEP_1)
	v_rcp_f64_e32 v[3:4], v[1:2]
	v_fma_f64 v[9:10], -v[1:2], v[3:4], 1.0
	s_delay_alu instid0(VALU_DEP_1) | instskip(NEXT) | instid1(VALU_DEP_1)
	v_fma_f64 v[3:4], v[3:4], v[9:10], v[3:4]
	v_fma_f64 v[9:10], -v[1:2], v[3:4], 1.0
	s_delay_alu instid0(VALU_DEP_1) | instskip(NEXT) | instid1(VALU_DEP_1)
	v_fma_f64 v[3:4], v[3:4], v[9:10], v[3:4]
	v_mul_f64_e32 v[9:10], v[11:12], v[3:4]
	s_delay_alu instid0(VALU_DEP_1) | instskip(SKIP_1) | instid1(VALU_DEP_1)
	v_fma_f64 v[1:2], -v[1:2], v[9:10], v[11:12]
	s_wait_alu 0xfffd
	v_div_fmas_f64 v[1:2], v[1:2], v[3:4], v[9:10]
	s_delay_alu instid0(VALU_DEP_1) | instskip(NEXT) | instid1(VALU_DEP_1)
	v_div_fixup_f64 v[3:4], v[1:2], v[5:6], v[7:8]
	v_fma_f64 v[1:2], v[7:8], v[3:4], v[5:6]
	s_delay_alu instid0(VALU_DEP_1) | instskip(NEXT) | instid1(VALU_DEP_1)
	v_div_scale_f64 v[5:6], null, v[1:2], v[1:2], 1.0
	v_rcp_f64_e32 v[7:8], v[5:6]
	s_delay_alu instid0(TRANS32_DEP_1) | instskip(NEXT) | instid1(VALU_DEP_1)
	v_fma_f64 v[9:10], -v[5:6], v[7:8], 1.0
	v_fma_f64 v[7:8], v[7:8], v[9:10], v[7:8]
	s_delay_alu instid0(VALU_DEP_1) | instskip(NEXT) | instid1(VALU_DEP_1)
	v_fma_f64 v[9:10], -v[5:6], v[7:8], 1.0
	v_fma_f64 v[7:8], v[7:8], v[9:10], v[7:8]
	v_div_scale_f64 v[9:10], vcc_lo, 1.0, v[1:2], 1.0
	s_delay_alu instid0(VALU_DEP_1) | instskip(NEXT) | instid1(VALU_DEP_1)
	v_mul_f64_e32 v[11:12], v[9:10], v[7:8]
	v_fma_f64 v[5:6], -v[5:6], v[11:12], v[9:10]
	s_wait_alu 0xfffd
	s_delay_alu instid0(VALU_DEP_1) | instskip(NEXT) | instid1(VALU_DEP_1)
	v_div_fmas_f64 v[5:6], v[5:6], v[7:8], v[11:12]
	v_div_fixup_f64 v[1:2], v[5:6], v[1:2], 1.0
	s_delay_alu instid0(VALU_DEP_1)
	v_mul_f64_e64 v[3:4], v[3:4], -v[1:2]
	v_xor_b32_e32 v10, 0x80000000, v2
	v_mov_b32_e32 v9, v1
.LBB46_17:
	s_wait_alu 0xfffe
	s_or_b32 exec_lo, exec_lo, s1
	scratch_store_b128 v14, v[1:4], off
	scratch_load_b128 v[15:18], off, s26
	v_xor_b32_e32 v12, 0x80000000, v4
	v_mov_b32_e32 v11, v3
	v_add_nc_u32_e32 v5, 0x2f0, v13
	ds_store_b128 v13, v[9:12]
	s_wait_loadcnt 0x0
	ds_store_b128 v13, v[15:18] offset:752
	s_wait_storecnt_dscnt 0x0
	s_barrier_signal -1
	s_barrier_wait -1
	global_inv scope:SCOPE_SE
	s_and_saveexec_b32 s1, s0
	s_cbranch_execz .LBB46_19
; %bb.18:
	scratch_load_b128 v[1:4], v14, off
	ds_load_b128 v[6:9], v5
	v_mov_b32_e32 v10, 0
	ds_load_b128 v[15:18], v10 offset:16
	s_wait_loadcnt_dscnt 0x1
	v_mul_f64_e32 v[10:11], v[6:7], v[3:4]
	v_mul_f64_e32 v[3:4], v[8:9], v[3:4]
	s_delay_alu instid0(VALU_DEP_2) | instskip(NEXT) | instid1(VALU_DEP_2)
	v_fma_f64 v[8:9], v[8:9], v[1:2], v[10:11]
	v_fma_f64 v[1:2], v[6:7], v[1:2], -v[3:4]
	s_delay_alu instid0(VALU_DEP_2) | instskip(NEXT) | instid1(VALU_DEP_2)
	v_add_f64_e32 v[3:4], 0, v[8:9]
	v_add_f64_e32 v[1:2], 0, v[1:2]
	s_wait_dscnt 0x0
	s_delay_alu instid0(VALU_DEP_2) | instskip(NEXT) | instid1(VALU_DEP_2)
	v_mul_f64_e32 v[6:7], v[3:4], v[17:18]
	v_mul_f64_e32 v[8:9], v[1:2], v[17:18]
	s_delay_alu instid0(VALU_DEP_2) | instskip(NEXT) | instid1(VALU_DEP_2)
	v_fma_f64 v[1:2], v[1:2], v[15:16], -v[6:7]
	v_fma_f64 v[3:4], v[3:4], v[15:16], v[8:9]
	scratch_store_b128 off, v[1:4], off offset:32
.LBB46_19:
	s_wait_alu 0xfffe
	s_or_b32 exec_lo, exec_lo, s1
	s_wait_loadcnt 0x0
	s_wait_storecnt 0x0
	s_barrier_signal -1
	s_barrier_wait -1
	global_inv scope:SCOPE_SE
	scratch_load_b128 v[1:4], off, s25
	s_mov_b32 s1, exec_lo
	s_wait_loadcnt 0x0
	ds_store_b128 v5, v[1:4]
	s_wait_dscnt 0x0
	s_barrier_signal -1
	s_barrier_wait -1
	global_inv scope:SCOPE_SE
	v_cmpx_gt_u32_e32 2, v0
	s_cbranch_execz .LBB46_23
; %bb.20:
	scratch_load_b128 v[1:4], v14, off
	ds_load_b128 v[6:9], v5
	s_wait_loadcnt_dscnt 0x0
	v_mul_f64_e32 v[10:11], v[8:9], v[3:4]
	v_mul_f64_e32 v[3:4], v[6:7], v[3:4]
	s_delay_alu instid0(VALU_DEP_2) | instskip(NEXT) | instid1(VALU_DEP_2)
	v_fma_f64 v[6:7], v[6:7], v[1:2], -v[10:11]
	v_fma_f64 v[3:4], v[8:9], v[1:2], v[3:4]
	s_delay_alu instid0(VALU_DEP_2) | instskip(NEXT) | instid1(VALU_DEP_2)
	v_add_f64_e32 v[1:2], 0, v[6:7]
	v_add_f64_e32 v[3:4], 0, v[3:4]
	s_and_saveexec_b32 s56, s0
	s_cbranch_execz .LBB46_22
; %bb.21:
	scratch_load_b128 v[6:9], off, off offset:32
	v_mov_b32_e32 v10, 0
	ds_load_b128 v[15:18], v10 offset:768
	s_wait_loadcnt_dscnt 0x0
	v_mul_f64_e32 v[10:11], v[15:16], v[8:9]
	v_mul_f64_e32 v[8:9], v[17:18], v[8:9]
	s_delay_alu instid0(VALU_DEP_2) | instskip(NEXT) | instid1(VALU_DEP_2)
	v_fma_f64 v[10:11], v[17:18], v[6:7], v[10:11]
	v_fma_f64 v[6:7], v[15:16], v[6:7], -v[8:9]
	s_delay_alu instid0(VALU_DEP_2) | instskip(NEXT) | instid1(VALU_DEP_2)
	v_add_f64_e32 v[3:4], v[3:4], v[10:11]
	v_add_f64_e32 v[1:2], v[1:2], v[6:7]
.LBB46_22:
	s_or_b32 exec_lo, exec_lo, s56
	v_mov_b32_e32 v6, 0
	ds_load_b128 v[6:9], v6 offset:32
	s_wait_dscnt 0x0
	v_mul_f64_e32 v[10:11], v[3:4], v[8:9]
	v_mul_f64_e32 v[8:9], v[1:2], v[8:9]
	s_delay_alu instid0(VALU_DEP_2) | instskip(NEXT) | instid1(VALU_DEP_2)
	v_fma_f64 v[1:2], v[1:2], v[6:7], -v[10:11]
	v_fma_f64 v[3:4], v[3:4], v[6:7], v[8:9]
	scratch_store_b128 off, v[1:4], off offset:48
.LBB46_23:
	s_wait_alu 0xfffe
	s_or_b32 exec_lo, exec_lo, s1
	s_wait_loadcnt 0x0
	s_wait_storecnt 0x0
	s_barrier_signal -1
	s_barrier_wait -1
	global_inv scope:SCOPE_SE
	scratch_load_b128 v[1:4], off, s23
	v_add_nc_u32_e32 v6, -1, v0
	s_mov_b32 s0, exec_lo
	s_wait_loadcnt 0x0
	ds_store_b128 v5, v[1:4]
	s_wait_dscnt 0x0
	s_barrier_signal -1
	s_barrier_wait -1
	global_inv scope:SCOPE_SE
	v_cmpx_gt_u32_e32 3, v0
	s_cbranch_execz .LBB46_27
; %bb.24:
	v_dual_mov_b32 v1, 0 :: v_dual_add_nc_u32 v8, 0x2f0, v13
	v_mov_b32_e32 v3, 0
	v_dual_mov_b32 v2, 0 :: v_dual_add_nc_u32 v7, -1, v0
	v_mov_b32_e32 v4, 0
	v_or_b32_e32 v9, 8, v14
	s_mov_b32 s1, 0
.LBB46_25:                              ; =>This Inner Loop Header: Depth=1
	scratch_load_b128 v[15:18], v9, off offset:-8
	ds_load_b128 v[19:22], v8
	v_add_nc_u32_e32 v7, 1, v7
	v_add_nc_u32_e32 v8, 16, v8
	v_add_nc_u32_e32 v9, 16, v9
	s_delay_alu instid0(VALU_DEP_3)
	v_cmp_lt_u32_e32 vcc_lo, 1, v7
	s_wait_alu 0xfffe
	s_or_b32 s1, vcc_lo, s1
	s_wait_loadcnt_dscnt 0x0
	v_mul_f64_e32 v[10:11], v[21:22], v[17:18]
	v_mul_f64_e32 v[17:18], v[19:20], v[17:18]
	s_delay_alu instid0(VALU_DEP_2) | instskip(NEXT) | instid1(VALU_DEP_2)
	v_fma_f64 v[10:11], v[19:20], v[15:16], -v[10:11]
	v_fma_f64 v[15:16], v[21:22], v[15:16], v[17:18]
	s_delay_alu instid0(VALU_DEP_2) | instskip(NEXT) | instid1(VALU_DEP_2)
	v_add_f64_e32 v[3:4], v[3:4], v[10:11]
	v_add_f64_e32 v[1:2], v[1:2], v[15:16]
	s_wait_alu 0xfffe
	s_and_not1_b32 exec_lo, exec_lo, s1
	s_cbranch_execnz .LBB46_25
; %bb.26:
	s_or_b32 exec_lo, exec_lo, s1
	v_mov_b32_e32 v7, 0
	ds_load_b128 v[7:10], v7 offset:48
	s_wait_dscnt 0x0
	v_mul_f64_e32 v[11:12], v[1:2], v[9:10]
	v_mul_f64_e32 v[15:16], v[3:4], v[9:10]
	s_delay_alu instid0(VALU_DEP_2) | instskip(NEXT) | instid1(VALU_DEP_2)
	v_fma_f64 v[9:10], v[3:4], v[7:8], -v[11:12]
	v_fma_f64 v[11:12], v[1:2], v[7:8], v[15:16]
	scratch_store_b128 off, v[9:12], off offset:64
.LBB46_27:
	s_wait_alu 0xfffe
	s_or_b32 exec_lo, exec_lo, s0
	s_wait_loadcnt 0x0
	s_wait_storecnt 0x0
	s_barrier_signal -1
	s_barrier_wait -1
	global_inv scope:SCOPE_SE
	scratch_load_b128 v[1:4], off, s21
	s_mov_b32 s0, exec_lo
	s_wait_loadcnt 0x0
	ds_store_b128 v5, v[1:4]
	s_wait_dscnt 0x0
	s_barrier_signal -1
	s_barrier_wait -1
	global_inv scope:SCOPE_SE
	v_cmpx_gt_u32_e32 4, v0
	s_cbranch_execz .LBB46_31
; %bb.28:
	v_dual_mov_b32 v1, 0 :: v_dual_add_nc_u32 v8, 0x2f0, v13
	v_mov_b32_e32 v3, 0
	v_dual_mov_b32 v2, 0 :: v_dual_add_nc_u32 v7, -1, v0
	v_mov_b32_e32 v4, 0
	v_or_b32_e32 v9, 8, v14
	s_mov_b32 s1, 0
.LBB46_29:                              ; =>This Inner Loop Header: Depth=1
	scratch_load_b128 v[15:18], v9, off offset:-8
	ds_load_b128 v[19:22], v8
	v_add_nc_u32_e32 v7, 1, v7
	v_add_nc_u32_e32 v8, 16, v8
	v_add_nc_u32_e32 v9, 16, v9
	s_delay_alu instid0(VALU_DEP_3)
	v_cmp_lt_u32_e32 vcc_lo, 2, v7
	s_wait_alu 0xfffe
	s_or_b32 s1, vcc_lo, s1
	s_wait_loadcnt_dscnt 0x0
	v_mul_f64_e32 v[10:11], v[21:22], v[17:18]
	v_mul_f64_e32 v[17:18], v[19:20], v[17:18]
	s_delay_alu instid0(VALU_DEP_2) | instskip(NEXT) | instid1(VALU_DEP_2)
	v_fma_f64 v[10:11], v[19:20], v[15:16], -v[10:11]
	v_fma_f64 v[15:16], v[21:22], v[15:16], v[17:18]
	s_delay_alu instid0(VALU_DEP_2) | instskip(NEXT) | instid1(VALU_DEP_2)
	v_add_f64_e32 v[3:4], v[3:4], v[10:11]
	v_add_f64_e32 v[1:2], v[1:2], v[15:16]
	s_wait_alu 0xfffe
	s_and_not1_b32 exec_lo, exec_lo, s1
	s_cbranch_execnz .LBB46_29
; %bb.30:
	s_or_b32 exec_lo, exec_lo, s1
	v_mov_b32_e32 v7, 0
	ds_load_b128 v[7:10], v7 offset:64
	s_wait_dscnt 0x0
	v_mul_f64_e32 v[11:12], v[1:2], v[9:10]
	v_mul_f64_e32 v[15:16], v[3:4], v[9:10]
	s_delay_alu instid0(VALU_DEP_2) | instskip(NEXT) | instid1(VALU_DEP_2)
	v_fma_f64 v[9:10], v[3:4], v[7:8], -v[11:12]
	v_fma_f64 v[11:12], v[1:2], v[7:8], v[15:16]
	scratch_store_b128 off, v[9:12], off offset:80
.LBB46_31:
	s_wait_alu 0xfffe
	s_or_b32 exec_lo, exec_lo, s0
	s_wait_loadcnt 0x0
	s_wait_storecnt 0x0
	s_barrier_signal -1
	s_barrier_wait -1
	global_inv scope:SCOPE_SE
	scratch_load_b128 v[1:4], off, s55
	;; [unrolled: 58-line block ×19, first 2 shown]
	s_mov_b32 s0, exec_lo
	s_wait_loadcnt 0x0
	ds_store_b128 v5, v[1:4]
	s_wait_dscnt 0x0
	s_barrier_signal -1
	s_barrier_wait -1
	global_inv scope:SCOPE_SE
	v_cmpx_gt_u32_e32 22, v0
	s_cbranch_execz .LBB46_103
; %bb.100:
	v_dual_mov_b32 v1, 0 :: v_dual_add_nc_u32 v8, 0x2f0, v13
	v_mov_b32_e32 v3, 0
	v_dual_mov_b32 v2, 0 :: v_dual_add_nc_u32 v7, -1, v0
	v_mov_b32_e32 v4, 0
	v_or_b32_e32 v9, 8, v14
	s_mov_b32 s1, 0
.LBB46_101:                             ; =>This Inner Loop Header: Depth=1
	scratch_load_b128 v[15:18], v9, off offset:-8
	ds_load_b128 v[19:22], v8
	v_add_nc_u32_e32 v7, 1, v7
	v_add_nc_u32_e32 v8, 16, v8
	v_add_nc_u32_e32 v9, 16, v9
	s_delay_alu instid0(VALU_DEP_3)
	v_cmp_lt_u32_e32 vcc_lo, 20, v7
	s_wait_alu 0xfffe
	s_or_b32 s1, vcc_lo, s1
	s_wait_loadcnt_dscnt 0x0
	v_mul_f64_e32 v[10:11], v[21:22], v[17:18]
	v_mul_f64_e32 v[17:18], v[19:20], v[17:18]
	s_delay_alu instid0(VALU_DEP_2) | instskip(NEXT) | instid1(VALU_DEP_2)
	v_fma_f64 v[10:11], v[19:20], v[15:16], -v[10:11]
	v_fma_f64 v[15:16], v[21:22], v[15:16], v[17:18]
	s_delay_alu instid0(VALU_DEP_2) | instskip(NEXT) | instid1(VALU_DEP_2)
	v_add_f64_e32 v[3:4], v[3:4], v[10:11]
	v_add_f64_e32 v[1:2], v[1:2], v[15:16]
	s_wait_alu 0xfffe
	s_and_not1_b32 exec_lo, exec_lo, s1
	s_cbranch_execnz .LBB46_101
; %bb.102:
	s_or_b32 exec_lo, exec_lo, s1
	v_mov_b32_e32 v7, 0
	ds_load_b128 v[7:10], v7 offset:352
	s_wait_dscnt 0x0
	v_mul_f64_e32 v[11:12], v[1:2], v[9:10]
	v_mul_f64_e32 v[15:16], v[3:4], v[9:10]
	s_delay_alu instid0(VALU_DEP_2) | instskip(NEXT) | instid1(VALU_DEP_2)
	v_fma_f64 v[9:10], v[3:4], v[7:8], -v[11:12]
	v_fma_f64 v[11:12], v[1:2], v[7:8], v[15:16]
	scratch_store_b128 off, v[9:12], off offset:368
.LBB46_103:
	s_wait_alu 0xfffe
	s_or_b32 exec_lo, exec_lo, s0
	s_wait_loadcnt 0x0
	s_wait_storecnt 0x0
	s_barrier_signal -1
	s_barrier_wait -1
	global_inv scope:SCOPE_SE
	scratch_load_b128 v[1:4], off, s37
	s_mov_b32 s0, exec_lo
	s_wait_loadcnt 0x0
	ds_store_b128 v5, v[1:4]
	s_wait_dscnt 0x0
	s_barrier_signal -1
	s_barrier_wait -1
	global_inv scope:SCOPE_SE
	v_cmpx_gt_u32_e32 23, v0
	s_cbranch_execz .LBB46_107
; %bb.104:
	v_dual_mov_b32 v1, 0 :: v_dual_add_nc_u32 v8, 0x2f0, v13
	v_mov_b32_e32 v3, 0
	v_dual_mov_b32 v2, 0 :: v_dual_add_nc_u32 v7, -1, v0
	v_mov_b32_e32 v4, 0
	v_or_b32_e32 v9, 8, v14
	s_mov_b32 s1, 0
.LBB46_105:                             ; =>This Inner Loop Header: Depth=1
	scratch_load_b128 v[15:18], v9, off offset:-8
	ds_load_b128 v[19:22], v8
	v_add_nc_u32_e32 v7, 1, v7
	v_add_nc_u32_e32 v8, 16, v8
	v_add_nc_u32_e32 v9, 16, v9
	s_delay_alu instid0(VALU_DEP_3)
	v_cmp_lt_u32_e32 vcc_lo, 21, v7
	s_wait_alu 0xfffe
	s_or_b32 s1, vcc_lo, s1
	s_wait_loadcnt_dscnt 0x0
	v_mul_f64_e32 v[10:11], v[21:22], v[17:18]
	v_mul_f64_e32 v[17:18], v[19:20], v[17:18]
	s_delay_alu instid0(VALU_DEP_2) | instskip(NEXT) | instid1(VALU_DEP_2)
	v_fma_f64 v[10:11], v[19:20], v[15:16], -v[10:11]
	v_fma_f64 v[15:16], v[21:22], v[15:16], v[17:18]
	s_delay_alu instid0(VALU_DEP_2) | instskip(NEXT) | instid1(VALU_DEP_2)
	v_add_f64_e32 v[3:4], v[3:4], v[10:11]
	v_add_f64_e32 v[1:2], v[1:2], v[15:16]
	s_wait_alu 0xfffe
	s_and_not1_b32 exec_lo, exec_lo, s1
	s_cbranch_execnz .LBB46_105
; %bb.106:
	s_or_b32 exec_lo, exec_lo, s1
	v_mov_b32_e32 v7, 0
	ds_load_b128 v[7:10], v7 offset:368
	s_wait_dscnt 0x0
	v_mul_f64_e32 v[11:12], v[1:2], v[9:10]
	v_mul_f64_e32 v[15:16], v[3:4], v[9:10]
	s_delay_alu instid0(VALU_DEP_2) | instskip(NEXT) | instid1(VALU_DEP_2)
	v_fma_f64 v[9:10], v[3:4], v[7:8], -v[11:12]
	v_fma_f64 v[11:12], v[1:2], v[7:8], v[15:16]
	scratch_store_b128 off, v[9:12], off offset:384
.LBB46_107:
	s_wait_alu 0xfffe
	s_or_b32 exec_lo, exec_lo, s0
	s_wait_loadcnt 0x0
	s_wait_storecnt 0x0
	s_barrier_signal -1
	s_barrier_wait -1
	global_inv scope:SCOPE_SE
	scratch_load_b128 v[1:4], off, s36
	;; [unrolled: 58-line block ×24, first 2 shown]
	s_mov_b32 s0, exec_lo
	s_wait_loadcnt 0x0
	ds_store_b128 v5, v[1:4]
	s_wait_dscnt 0x0
	s_barrier_signal -1
	s_barrier_wait -1
	global_inv scope:SCOPE_SE
	v_cmpx_ne_u32_e32 46, v0
	s_cbranch_execz .LBB46_199
; %bb.196:
	v_mov_b32_e32 v1, 0
	v_dual_mov_b32 v2, 0 :: v_dual_mov_b32 v3, 0
	v_mov_b32_e32 v4, 0
	v_or_b32_e32 v7, 8, v14
	s_mov_b32 s1, 0
.LBB46_197:                             ; =>This Inner Loop Header: Depth=1
	scratch_load_b128 v[8:11], v7, off offset:-8
	ds_load_b128 v[12:15], v5
	v_add_nc_u32_e32 v6, 1, v6
	v_add_nc_u32_e32 v5, 16, v5
	;; [unrolled: 1-line block ×3, first 2 shown]
	s_delay_alu instid0(VALU_DEP_3)
	v_cmp_lt_u32_e32 vcc_lo, 44, v6
	s_wait_alu 0xfffe
	s_or_b32 s1, vcc_lo, s1
	s_wait_loadcnt_dscnt 0x0
	v_mul_f64_e32 v[16:17], v[14:15], v[10:11]
	v_mul_f64_e32 v[10:11], v[12:13], v[10:11]
	s_delay_alu instid0(VALU_DEP_2) | instskip(NEXT) | instid1(VALU_DEP_2)
	v_fma_f64 v[12:13], v[12:13], v[8:9], -v[16:17]
	v_fma_f64 v[8:9], v[14:15], v[8:9], v[10:11]
	s_delay_alu instid0(VALU_DEP_2) | instskip(NEXT) | instid1(VALU_DEP_2)
	v_add_f64_e32 v[3:4], v[3:4], v[12:13]
	v_add_f64_e32 v[1:2], v[1:2], v[8:9]
	s_wait_alu 0xfffe
	s_and_not1_b32 exec_lo, exec_lo, s1
	s_cbranch_execnz .LBB46_197
; %bb.198:
	s_or_b32 exec_lo, exec_lo, s1
	v_mov_b32_e32 v5, 0
	ds_load_b128 v[5:8], v5 offset:736
	s_wait_dscnt 0x0
	v_mul_f64_e32 v[9:10], v[1:2], v[7:8]
	v_mul_f64_e32 v[7:8], v[3:4], v[7:8]
	s_delay_alu instid0(VALU_DEP_2) | instskip(NEXT) | instid1(VALU_DEP_2)
	v_fma_f64 v[3:4], v[3:4], v[5:6], -v[9:10]
	v_fma_f64 v[5:6], v[1:2], v[5:6], v[7:8]
	scratch_store_b128 off, v[3:6], off offset:752
.LBB46_199:
	s_wait_alu 0xfffe
	s_or_b32 exec_lo, exec_lo, s0
	s_mov_b32 s1, -1
	s_wait_loadcnt 0x0
	s_wait_storecnt 0x0
	s_barrier_signal -1
	s_barrier_wait -1
	global_inv scope:SCOPE_SE
.LBB46_200:
	s_wait_alu 0xfffe
	s_and_b32 vcc_lo, exec_lo, s1
	s_wait_alu 0xfffe
	s_cbranch_vccz .LBB46_202
; %bb.201:
	v_mov_b32_e32 v1, 0
	s_lshl_b64 s[0:1], s[16:17], 2
	s_wait_alu 0xfffe
	s_add_nc_u64 s[0:1], s[6:7], s[0:1]
	global_load_b32 v1, v1, s[0:1]
	s_wait_loadcnt 0x0
	v_cmp_ne_u32_e32 vcc_lo, 0, v1
	s_cbranch_vccz .LBB46_203
.LBB46_202:
	s_nop 0
	s_sendmsg sendmsg(MSG_DEALLOC_VGPRS)
	s_endpgm
.LBB46_203:
	v_lshl_add_u32 v140, v0, 4, 0x2f0
	s_mov_b32 s0, exec_lo
	v_cmpx_eq_u32_e32 46, v0
	s_cbranch_execz .LBB46_205
; %bb.204:
	scratch_load_b128 v[1:4], off, s15
	v_mov_b32_e32 v5, 0
	s_delay_alu instid0(VALU_DEP_1)
	v_dual_mov_b32 v6, v5 :: v_dual_mov_b32 v7, v5
	v_mov_b32_e32 v8, v5
	scratch_store_b128 off, v[5:8], off offset:736
	s_wait_loadcnt 0x0
	ds_store_b128 v140, v[1:4]
.LBB46_205:
	s_wait_alu 0xfffe
	s_or_b32 exec_lo, exec_lo, s0
	s_wait_storecnt_dscnt 0x0
	s_barrier_signal -1
	s_barrier_wait -1
	global_inv scope:SCOPE_SE
	s_clause 0x1
	scratch_load_b128 v[2:5], off, off offset:752
	scratch_load_b128 v[6:9], off, off offset:736
	v_mov_b32_e32 v1, 0
	s_mov_b32 s0, exec_lo
	ds_load_b128 v[10:13], v1 offset:1488
	s_wait_loadcnt_dscnt 0x100
	v_mul_f64_e32 v[14:15], v[12:13], v[4:5]
	v_mul_f64_e32 v[4:5], v[10:11], v[4:5]
	s_delay_alu instid0(VALU_DEP_2) | instskip(NEXT) | instid1(VALU_DEP_2)
	v_fma_f64 v[10:11], v[10:11], v[2:3], -v[14:15]
	v_fma_f64 v[2:3], v[12:13], v[2:3], v[4:5]
	s_delay_alu instid0(VALU_DEP_2) | instskip(NEXT) | instid1(VALU_DEP_2)
	v_add_f64_e32 v[4:5], 0, v[10:11]
	v_add_f64_e32 v[10:11], 0, v[2:3]
	s_wait_loadcnt 0x0
	s_delay_alu instid0(VALU_DEP_2) | instskip(NEXT) | instid1(VALU_DEP_2)
	v_add_f64_e64 v[2:3], v[6:7], -v[4:5]
	v_add_f64_e64 v[4:5], v[8:9], -v[10:11]
	scratch_store_b128 off, v[2:5], off offset:736
	v_cmpx_lt_u32_e32 44, v0
	s_cbranch_execz .LBB46_207
; %bb.206:
	scratch_load_b128 v[5:8], off, s20
	v_dual_mov_b32 v2, v1 :: v_dual_mov_b32 v3, v1
	v_mov_b32_e32 v4, v1
	scratch_store_b128 off, v[1:4], off offset:720
	s_wait_loadcnt 0x0
	ds_store_b128 v140, v[5:8]
.LBB46_207:
	s_wait_alu 0xfffe
	s_or_b32 exec_lo, exec_lo, s0
	s_wait_storecnt_dscnt 0x0
	s_barrier_signal -1
	s_barrier_wait -1
	global_inv scope:SCOPE_SE
	s_clause 0x2
	scratch_load_b128 v[2:5], off, off offset:736
	scratch_load_b128 v[6:9], off, off offset:752
	;; [unrolled: 1-line block ×3, first 2 shown]
	ds_load_b128 v[14:17], v1 offset:1472
	ds_load_b128 v[18:21], v1 offset:1488
	s_mov_b32 s0, exec_lo
	s_wait_loadcnt_dscnt 0x201
	v_mul_f64_e32 v[22:23], v[16:17], v[4:5]
	v_mul_f64_e32 v[4:5], v[14:15], v[4:5]
	s_wait_loadcnt_dscnt 0x100
	v_mul_f64_e32 v[24:25], v[18:19], v[8:9]
	v_mul_f64_e32 v[8:9], v[20:21], v[8:9]
	s_delay_alu instid0(VALU_DEP_4) | instskip(NEXT) | instid1(VALU_DEP_4)
	v_fma_f64 v[14:15], v[14:15], v[2:3], -v[22:23]
	v_fma_f64 v[1:2], v[16:17], v[2:3], v[4:5]
	s_delay_alu instid0(VALU_DEP_4) | instskip(NEXT) | instid1(VALU_DEP_4)
	v_fma_f64 v[3:4], v[20:21], v[6:7], v[24:25]
	v_fma_f64 v[5:6], v[18:19], v[6:7], -v[8:9]
	s_delay_alu instid0(VALU_DEP_4) | instskip(NEXT) | instid1(VALU_DEP_4)
	v_add_f64_e32 v[7:8], 0, v[14:15]
	v_add_f64_e32 v[1:2], 0, v[1:2]
	s_delay_alu instid0(VALU_DEP_2) | instskip(NEXT) | instid1(VALU_DEP_2)
	v_add_f64_e32 v[5:6], v[7:8], v[5:6]
	v_add_f64_e32 v[3:4], v[1:2], v[3:4]
	s_wait_loadcnt 0x0
	s_delay_alu instid0(VALU_DEP_2) | instskip(NEXT) | instid1(VALU_DEP_2)
	v_add_f64_e64 v[1:2], v[10:11], -v[5:6]
	v_add_f64_e64 v[3:4], v[12:13], -v[3:4]
	scratch_store_b128 off, v[1:4], off offset:720
	v_cmpx_lt_u32_e32 43, v0
	s_cbranch_execz .LBB46_209
; %bb.208:
	scratch_load_b128 v[1:4], off, s4
	v_mov_b32_e32 v5, 0
	s_delay_alu instid0(VALU_DEP_1)
	v_dual_mov_b32 v6, v5 :: v_dual_mov_b32 v7, v5
	v_mov_b32_e32 v8, v5
	scratch_store_b128 off, v[5:8], off offset:704
	s_wait_loadcnt 0x0
	ds_store_b128 v140, v[1:4]
.LBB46_209:
	s_wait_alu 0xfffe
	s_or_b32 exec_lo, exec_lo, s0
	s_wait_storecnt_dscnt 0x0
	s_barrier_signal -1
	s_barrier_wait -1
	global_inv scope:SCOPE_SE
	s_clause 0x3
	scratch_load_b128 v[2:5], off, off offset:720
	scratch_load_b128 v[6:9], off, off offset:736
	;; [unrolled: 1-line block ×4, first 2 shown]
	v_mov_b32_e32 v1, 0
	ds_load_b128 v[18:21], v1 offset:1456
	ds_load_b128 v[22:25], v1 offset:1472
	s_mov_b32 s0, exec_lo
	s_wait_loadcnt_dscnt 0x301
	v_mul_f64_e32 v[26:27], v[20:21], v[4:5]
	v_mul_f64_e32 v[4:5], v[18:19], v[4:5]
	s_wait_loadcnt_dscnt 0x200
	v_mul_f64_e32 v[28:29], v[22:23], v[8:9]
	v_mul_f64_e32 v[8:9], v[24:25], v[8:9]
	s_delay_alu instid0(VALU_DEP_4) | instskip(NEXT) | instid1(VALU_DEP_4)
	v_fma_f64 v[18:19], v[18:19], v[2:3], -v[26:27]
	v_fma_f64 v[20:21], v[20:21], v[2:3], v[4:5]
	ds_load_b128 v[2:5], v1 offset:1488
	v_fma_f64 v[24:25], v[24:25], v[6:7], v[28:29]
	v_fma_f64 v[6:7], v[22:23], v[6:7], -v[8:9]
	s_wait_loadcnt_dscnt 0x100
	v_mul_f64_e32 v[26:27], v[2:3], v[12:13]
	v_mul_f64_e32 v[12:13], v[4:5], v[12:13]
	v_add_f64_e32 v[8:9], 0, v[18:19]
	v_add_f64_e32 v[18:19], 0, v[20:21]
	s_delay_alu instid0(VALU_DEP_4) | instskip(NEXT) | instid1(VALU_DEP_4)
	v_fma_f64 v[4:5], v[4:5], v[10:11], v[26:27]
	v_fma_f64 v[2:3], v[2:3], v[10:11], -v[12:13]
	s_delay_alu instid0(VALU_DEP_4) | instskip(NEXT) | instid1(VALU_DEP_4)
	v_add_f64_e32 v[6:7], v[8:9], v[6:7]
	v_add_f64_e32 v[8:9], v[18:19], v[24:25]
	s_delay_alu instid0(VALU_DEP_2) | instskip(NEXT) | instid1(VALU_DEP_2)
	v_add_f64_e32 v[2:3], v[6:7], v[2:3]
	v_add_f64_e32 v[4:5], v[8:9], v[4:5]
	s_wait_loadcnt 0x0
	s_delay_alu instid0(VALU_DEP_2) | instskip(NEXT) | instid1(VALU_DEP_2)
	v_add_f64_e64 v[2:3], v[14:15], -v[2:3]
	v_add_f64_e64 v[4:5], v[16:17], -v[4:5]
	scratch_store_b128 off, v[2:5], off offset:704
	v_cmpx_lt_u32_e32 42, v0
	s_cbranch_execz .LBB46_211
; %bb.210:
	scratch_load_b128 v[5:8], off, s5
	v_dual_mov_b32 v2, v1 :: v_dual_mov_b32 v3, v1
	v_mov_b32_e32 v4, v1
	scratch_store_b128 off, v[1:4], off offset:688
	s_wait_loadcnt 0x0
	ds_store_b128 v140, v[5:8]
.LBB46_211:
	s_wait_alu 0xfffe
	s_or_b32 exec_lo, exec_lo, s0
	s_wait_storecnt_dscnt 0x0
	s_barrier_signal -1
	s_barrier_wait -1
	global_inv scope:SCOPE_SE
	s_clause 0x4
	scratch_load_b128 v[2:5], off, off offset:704
	scratch_load_b128 v[6:9], off, off offset:720
	;; [unrolled: 1-line block ×5, first 2 shown]
	ds_load_b128 v[22:25], v1 offset:1440
	ds_load_b128 v[26:29], v1 offset:1456
	s_mov_b32 s0, exec_lo
	s_wait_loadcnt_dscnt 0x401
	v_mul_f64_e32 v[30:31], v[24:25], v[4:5]
	v_mul_f64_e32 v[4:5], v[22:23], v[4:5]
	s_wait_loadcnt_dscnt 0x300
	v_mul_f64_e32 v[32:33], v[26:27], v[8:9]
	v_mul_f64_e32 v[8:9], v[28:29], v[8:9]
	s_delay_alu instid0(VALU_DEP_4) | instskip(NEXT) | instid1(VALU_DEP_4)
	v_fma_f64 v[30:31], v[22:23], v[2:3], -v[30:31]
	v_fma_f64 v[34:35], v[24:25], v[2:3], v[4:5]
	ds_load_b128 v[2:5], v1 offset:1472
	ds_load_b128 v[22:25], v1 offset:1488
	v_fma_f64 v[28:29], v[28:29], v[6:7], v[32:33]
	v_fma_f64 v[6:7], v[26:27], v[6:7], -v[8:9]
	s_wait_loadcnt_dscnt 0x201
	v_mul_f64_e32 v[36:37], v[2:3], v[12:13]
	v_mul_f64_e32 v[12:13], v[4:5], v[12:13]
	v_add_f64_e32 v[8:9], 0, v[30:31]
	v_add_f64_e32 v[26:27], 0, v[34:35]
	s_wait_loadcnt_dscnt 0x100
	v_mul_f64_e32 v[30:31], v[22:23], v[16:17]
	v_mul_f64_e32 v[16:17], v[24:25], v[16:17]
	v_fma_f64 v[4:5], v[4:5], v[10:11], v[36:37]
	v_fma_f64 v[1:2], v[2:3], v[10:11], -v[12:13]
	v_add_f64_e32 v[6:7], v[8:9], v[6:7]
	v_add_f64_e32 v[8:9], v[26:27], v[28:29]
	v_fma_f64 v[10:11], v[24:25], v[14:15], v[30:31]
	v_fma_f64 v[12:13], v[22:23], v[14:15], -v[16:17]
	s_delay_alu instid0(VALU_DEP_4) | instskip(NEXT) | instid1(VALU_DEP_4)
	v_add_f64_e32 v[1:2], v[6:7], v[1:2]
	v_add_f64_e32 v[3:4], v[8:9], v[4:5]
	s_delay_alu instid0(VALU_DEP_2) | instskip(NEXT) | instid1(VALU_DEP_2)
	v_add_f64_e32 v[1:2], v[1:2], v[12:13]
	v_add_f64_e32 v[3:4], v[3:4], v[10:11]
	s_wait_loadcnt 0x0
	s_delay_alu instid0(VALU_DEP_2) | instskip(NEXT) | instid1(VALU_DEP_2)
	v_add_f64_e64 v[1:2], v[18:19], -v[1:2]
	v_add_f64_e64 v[3:4], v[20:21], -v[3:4]
	scratch_store_b128 off, v[1:4], off offset:688
	v_cmpx_lt_u32_e32 41, v0
	s_cbranch_execz .LBB46_213
; %bb.212:
	scratch_load_b128 v[1:4], off, s8
	v_mov_b32_e32 v5, 0
	s_delay_alu instid0(VALU_DEP_1)
	v_dual_mov_b32 v6, v5 :: v_dual_mov_b32 v7, v5
	v_mov_b32_e32 v8, v5
	scratch_store_b128 off, v[5:8], off offset:672
	s_wait_loadcnt 0x0
	ds_store_b128 v140, v[1:4]
.LBB46_213:
	s_wait_alu 0xfffe
	s_or_b32 exec_lo, exec_lo, s0
	s_wait_storecnt_dscnt 0x0
	s_barrier_signal -1
	s_barrier_wait -1
	global_inv scope:SCOPE_SE
	s_clause 0x5
	scratch_load_b128 v[2:5], off, off offset:688
	scratch_load_b128 v[6:9], off, off offset:704
	;; [unrolled: 1-line block ×6, first 2 shown]
	v_mov_b32_e32 v1, 0
	ds_load_b128 v[26:29], v1 offset:1424
	ds_load_b128 v[30:33], v1 offset:1440
	s_mov_b32 s0, exec_lo
	s_wait_loadcnt_dscnt 0x501
	v_mul_f64_e32 v[34:35], v[28:29], v[4:5]
	v_mul_f64_e32 v[4:5], v[26:27], v[4:5]
	s_wait_loadcnt_dscnt 0x400
	v_mul_f64_e32 v[36:37], v[30:31], v[8:9]
	v_mul_f64_e32 v[8:9], v[32:33], v[8:9]
	s_delay_alu instid0(VALU_DEP_4) | instskip(NEXT) | instid1(VALU_DEP_4)
	v_fma_f64 v[34:35], v[26:27], v[2:3], -v[34:35]
	v_fma_f64 v[38:39], v[28:29], v[2:3], v[4:5]
	ds_load_b128 v[2:5], v1 offset:1456
	ds_load_b128 v[26:29], v1 offset:1472
	v_fma_f64 v[32:33], v[32:33], v[6:7], v[36:37]
	v_fma_f64 v[6:7], v[30:31], v[6:7], -v[8:9]
	s_wait_loadcnt_dscnt 0x301
	v_mul_f64_e32 v[40:41], v[2:3], v[12:13]
	v_mul_f64_e32 v[12:13], v[4:5], v[12:13]
	v_add_f64_e32 v[8:9], 0, v[34:35]
	v_add_f64_e32 v[30:31], 0, v[38:39]
	s_wait_loadcnt_dscnt 0x200
	v_mul_f64_e32 v[34:35], v[26:27], v[16:17]
	v_mul_f64_e32 v[16:17], v[28:29], v[16:17]
	v_fma_f64 v[36:37], v[4:5], v[10:11], v[40:41]
	v_fma_f64 v[10:11], v[2:3], v[10:11], -v[12:13]
	ds_load_b128 v[2:5], v1 offset:1488
	v_add_f64_e32 v[6:7], v[8:9], v[6:7]
	v_add_f64_e32 v[8:9], v[30:31], v[32:33]
	v_fma_f64 v[28:29], v[28:29], v[14:15], v[34:35]
	v_fma_f64 v[14:15], v[26:27], v[14:15], -v[16:17]
	s_wait_loadcnt_dscnt 0x100
	v_mul_f64_e32 v[12:13], v[2:3], v[20:21]
	v_mul_f64_e32 v[20:21], v[4:5], v[20:21]
	v_add_f64_e32 v[6:7], v[6:7], v[10:11]
	v_add_f64_e32 v[8:9], v[8:9], v[36:37]
	s_delay_alu instid0(VALU_DEP_4) | instskip(NEXT) | instid1(VALU_DEP_4)
	v_fma_f64 v[4:5], v[4:5], v[18:19], v[12:13]
	v_fma_f64 v[2:3], v[2:3], v[18:19], -v[20:21]
	s_delay_alu instid0(VALU_DEP_4) | instskip(NEXT) | instid1(VALU_DEP_4)
	v_add_f64_e32 v[6:7], v[6:7], v[14:15]
	v_add_f64_e32 v[8:9], v[8:9], v[28:29]
	s_delay_alu instid0(VALU_DEP_2) | instskip(NEXT) | instid1(VALU_DEP_2)
	v_add_f64_e32 v[2:3], v[6:7], v[2:3]
	v_add_f64_e32 v[4:5], v[8:9], v[4:5]
	s_wait_loadcnt 0x0
	s_delay_alu instid0(VALU_DEP_2) | instskip(NEXT) | instid1(VALU_DEP_2)
	v_add_f64_e64 v[2:3], v[22:23], -v[2:3]
	v_add_f64_e64 v[4:5], v[24:25], -v[4:5]
	scratch_store_b128 off, v[2:5], off offset:672
	v_cmpx_lt_u32_e32 40, v0
	s_cbranch_execz .LBB46_215
; %bb.214:
	scratch_load_b128 v[5:8], off, s9
	v_dual_mov_b32 v2, v1 :: v_dual_mov_b32 v3, v1
	v_mov_b32_e32 v4, v1
	scratch_store_b128 off, v[1:4], off offset:656
	s_wait_loadcnt 0x0
	ds_store_b128 v140, v[5:8]
.LBB46_215:
	s_wait_alu 0xfffe
	s_or_b32 exec_lo, exec_lo, s0
	s_wait_storecnt_dscnt 0x0
	s_barrier_signal -1
	s_barrier_wait -1
	global_inv scope:SCOPE_SE
	s_clause 0x5
	scratch_load_b128 v[2:5], off, off offset:672
	scratch_load_b128 v[6:9], off, off offset:688
	;; [unrolled: 1-line block ×6, first 2 shown]
	ds_load_b128 v[26:29], v1 offset:1408
	ds_load_b128 v[34:37], v1 offset:1424
	scratch_load_b128 v[30:33], off, off offset:656
	s_mov_b32 s0, exec_lo
	s_wait_loadcnt_dscnt 0x601
	v_mul_f64_e32 v[38:39], v[28:29], v[4:5]
	v_mul_f64_e32 v[4:5], v[26:27], v[4:5]
	s_wait_loadcnt_dscnt 0x500
	v_mul_f64_e32 v[40:41], v[34:35], v[8:9]
	v_mul_f64_e32 v[8:9], v[36:37], v[8:9]
	s_delay_alu instid0(VALU_DEP_4) | instskip(NEXT) | instid1(VALU_DEP_4)
	v_fma_f64 v[38:39], v[26:27], v[2:3], -v[38:39]
	v_fma_f64 v[42:43], v[28:29], v[2:3], v[4:5]
	ds_load_b128 v[2:5], v1 offset:1440
	ds_load_b128 v[26:29], v1 offset:1456
	v_fma_f64 v[36:37], v[36:37], v[6:7], v[40:41]
	v_fma_f64 v[6:7], v[34:35], v[6:7], -v[8:9]
	s_wait_loadcnt_dscnt 0x401
	v_mul_f64_e32 v[44:45], v[2:3], v[12:13]
	v_mul_f64_e32 v[12:13], v[4:5], v[12:13]
	v_add_f64_e32 v[8:9], 0, v[38:39]
	v_add_f64_e32 v[34:35], 0, v[42:43]
	s_wait_loadcnt_dscnt 0x300
	v_mul_f64_e32 v[38:39], v[26:27], v[16:17]
	v_mul_f64_e32 v[16:17], v[28:29], v[16:17]
	v_fma_f64 v[40:41], v[4:5], v[10:11], v[44:45]
	v_fma_f64 v[10:11], v[2:3], v[10:11], -v[12:13]
	v_add_f64_e32 v[12:13], v[8:9], v[6:7]
	v_add_f64_e32 v[34:35], v[34:35], v[36:37]
	ds_load_b128 v[2:5], v1 offset:1472
	ds_load_b128 v[6:9], v1 offset:1488
	v_fma_f64 v[28:29], v[28:29], v[14:15], v[38:39]
	v_fma_f64 v[14:15], v[26:27], v[14:15], -v[16:17]
	s_wait_loadcnt_dscnt 0x201
	v_mul_f64_e32 v[36:37], v[2:3], v[20:21]
	v_mul_f64_e32 v[20:21], v[4:5], v[20:21]
	s_wait_loadcnt_dscnt 0x100
	v_mul_f64_e32 v[16:17], v[6:7], v[24:25]
	v_mul_f64_e32 v[24:25], v[8:9], v[24:25]
	v_add_f64_e32 v[10:11], v[12:13], v[10:11]
	v_add_f64_e32 v[12:13], v[34:35], v[40:41]
	v_fma_f64 v[4:5], v[4:5], v[18:19], v[36:37]
	v_fma_f64 v[1:2], v[2:3], v[18:19], -v[20:21]
	v_fma_f64 v[8:9], v[8:9], v[22:23], v[16:17]
	v_fma_f64 v[6:7], v[6:7], v[22:23], -v[24:25]
	v_add_f64_e32 v[10:11], v[10:11], v[14:15]
	v_add_f64_e32 v[12:13], v[12:13], v[28:29]
	s_delay_alu instid0(VALU_DEP_2) | instskip(NEXT) | instid1(VALU_DEP_2)
	v_add_f64_e32 v[1:2], v[10:11], v[1:2]
	v_add_f64_e32 v[3:4], v[12:13], v[4:5]
	s_delay_alu instid0(VALU_DEP_2) | instskip(NEXT) | instid1(VALU_DEP_2)
	v_add_f64_e32 v[1:2], v[1:2], v[6:7]
	v_add_f64_e32 v[3:4], v[3:4], v[8:9]
	s_wait_loadcnt 0x0
	s_delay_alu instid0(VALU_DEP_2) | instskip(NEXT) | instid1(VALU_DEP_2)
	v_add_f64_e64 v[1:2], v[30:31], -v[1:2]
	v_add_f64_e64 v[3:4], v[32:33], -v[3:4]
	scratch_store_b128 off, v[1:4], off offset:656
	v_cmpx_lt_u32_e32 39, v0
	s_cbranch_execz .LBB46_217
; %bb.216:
	scratch_load_b128 v[1:4], off, s10
	v_mov_b32_e32 v5, 0
	s_delay_alu instid0(VALU_DEP_1)
	v_dual_mov_b32 v6, v5 :: v_dual_mov_b32 v7, v5
	v_mov_b32_e32 v8, v5
	scratch_store_b128 off, v[5:8], off offset:640
	s_wait_loadcnt 0x0
	ds_store_b128 v140, v[1:4]
.LBB46_217:
	s_wait_alu 0xfffe
	s_or_b32 exec_lo, exec_lo, s0
	s_wait_storecnt_dscnt 0x0
	s_barrier_signal -1
	s_barrier_wait -1
	global_inv scope:SCOPE_SE
	s_clause 0x6
	scratch_load_b128 v[2:5], off, off offset:656
	scratch_load_b128 v[6:9], off, off offset:672
	scratch_load_b128 v[10:13], off, off offset:688
	scratch_load_b128 v[14:17], off, off offset:704
	scratch_load_b128 v[18:21], off, off offset:720
	scratch_load_b128 v[22:25], off, off offset:736
	scratch_load_b128 v[26:29], off, off offset:752
	v_mov_b32_e32 v1, 0
	scratch_load_b128 v[38:41], off, off offset:640
	s_mov_b32 s0, exec_lo
	ds_load_b128 v[30:33], v1 offset:1392
	ds_load_b128 v[34:37], v1 offset:1408
	s_wait_loadcnt_dscnt 0x701
	v_mul_f64_e32 v[42:43], v[32:33], v[4:5]
	v_mul_f64_e32 v[4:5], v[30:31], v[4:5]
	s_wait_loadcnt_dscnt 0x600
	v_mul_f64_e32 v[44:45], v[34:35], v[8:9]
	v_mul_f64_e32 v[8:9], v[36:37], v[8:9]
	s_delay_alu instid0(VALU_DEP_4) | instskip(NEXT) | instid1(VALU_DEP_4)
	v_fma_f64 v[30:31], v[30:31], v[2:3], -v[42:43]
	v_fma_f64 v[32:33], v[32:33], v[2:3], v[4:5]
	ds_load_b128 v[2:5], v1 offset:1424
	v_fma_f64 v[36:37], v[36:37], v[6:7], v[44:45]
	v_fma_f64 v[34:35], v[34:35], v[6:7], -v[8:9]
	ds_load_b128 v[6:9], v1 offset:1440
	s_wait_loadcnt_dscnt 0x501
	v_mul_f64_e32 v[42:43], v[2:3], v[12:13]
	v_mul_f64_e32 v[12:13], v[4:5], v[12:13]
	s_wait_loadcnt_dscnt 0x400
	v_mul_f64_e32 v[44:45], v[6:7], v[16:17]
	v_mul_f64_e32 v[16:17], v[8:9], v[16:17]
	v_add_f64_e32 v[30:31], 0, v[30:31]
	v_add_f64_e32 v[32:33], 0, v[32:33]
	v_fma_f64 v[42:43], v[4:5], v[10:11], v[42:43]
	v_fma_f64 v[10:11], v[2:3], v[10:11], -v[12:13]
	ds_load_b128 v[2:5], v1 offset:1456
	v_add_f64_e32 v[12:13], v[30:31], v[34:35]
	v_add_f64_e32 v[30:31], v[32:33], v[36:37]
	v_fma_f64 v[34:35], v[8:9], v[14:15], v[44:45]
	v_fma_f64 v[14:15], v[6:7], v[14:15], -v[16:17]
	ds_load_b128 v[6:9], v1 offset:1472
	s_wait_loadcnt_dscnt 0x301
	v_mul_f64_e32 v[32:33], v[2:3], v[20:21]
	v_mul_f64_e32 v[20:21], v[4:5], v[20:21]
	s_wait_loadcnt_dscnt 0x200
	v_mul_f64_e32 v[16:17], v[6:7], v[24:25]
	v_mul_f64_e32 v[24:25], v[8:9], v[24:25]
	v_add_f64_e32 v[10:11], v[12:13], v[10:11]
	v_add_f64_e32 v[12:13], v[30:31], v[42:43]
	v_fma_f64 v[30:31], v[4:5], v[18:19], v[32:33]
	v_fma_f64 v[18:19], v[2:3], v[18:19], -v[20:21]
	ds_load_b128 v[2:5], v1 offset:1488
	v_fma_f64 v[8:9], v[8:9], v[22:23], v[16:17]
	v_fma_f64 v[6:7], v[6:7], v[22:23], -v[24:25]
	s_wait_loadcnt_dscnt 0x100
	v_mul_f64_e32 v[20:21], v[4:5], v[28:29]
	v_add_f64_e32 v[10:11], v[10:11], v[14:15]
	v_add_f64_e32 v[12:13], v[12:13], v[34:35]
	v_mul_f64_e32 v[14:15], v[2:3], v[28:29]
	s_delay_alu instid0(VALU_DEP_4) | instskip(NEXT) | instid1(VALU_DEP_4)
	v_fma_f64 v[2:3], v[2:3], v[26:27], -v[20:21]
	v_add_f64_e32 v[10:11], v[10:11], v[18:19]
	s_delay_alu instid0(VALU_DEP_4) | instskip(NEXT) | instid1(VALU_DEP_4)
	v_add_f64_e32 v[12:13], v[12:13], v[30:31]
	v_fma_f64 v[4:5], v[4:5], v[26:27], v[14:15]
	s_delay_alu instid0(VALU_DEP_3) | instskip(NEXT) | instid1(VALU_DEP_3)
	v_add_f64_e32 v[6:7], v[10:11], v[6:7]
	v_add_f64_e32 v[8:9], v[12:13], v[8:9]
	s_delay_alu instid0(VALU_DEP_2) | instskip(NEXT) | instid1(VALU_DEP_2)
	v_add_f64_e32 v[2:3], v[6:7], v[2:3]
	v_add_f64_e32 v[4:5], v[8:9], v[4:5]
	s_wait_loadcnt 0x0
	s_delay_alu instid0(VALU_DEP_2) | instskip(NEXT) | instid1(VALU_DEP_2)
	v_add_f64_e64 v[2:3], v[38:39], -v[2:3]
	v_add_f64_e64 v[4:5], v[40:41], -v[4:5]
	scratch_store_b128 off, v[2:5], off offset:640
	v_cmpx_lt_u32_e32 38, v0
	s_cbranch_execz .LBB46_219
; %bb.218:
	scratch_load_b128 v[5:8], off, s11
	v_dual_mov_b32 v2, v1 :: v_dual_mov_b32 v3, v1
	v_mov_b32_e32 v4, v1
	scratch_store_b128 off, v[1:4], off offset:624
	s_wait_loadcnt 0x0
	ds_store_b128 v140, v[5:8]
.LBB46_219:
	s_wait_alu 0xfffe
	s_or_b32 exec_lo, exec_lo, s0
	s_wait_storecnt_dscnt 0x0
	s_barrier_signal -1
	s_barrier_wait -1
	global_inv scope:SCOPE_SE
	s_clause 0x7
	scratch_load_b128 v[2:5], off, off offset:640
	scratch_load_b128 v[6:9], off, off offset:656
	;; [unrolled: 1-line block ×8, first 2 shown]
	ds_load_b128 v[34:37], v1 offset:1376
	ds_load_b128 v[38:41], v1 offset:1392
	s_mov_b32 s0, exec_lo
	s_wait_loadcnt_dscnt 0x701
	v_mul_f64_e32 v[42:43], v[36:37], v[4:5]
	v_mul_f64_e32 v[4:5], v[34:35], v[4:5]
	s_wait_loadcnt_dscnt 0x600
	v_mul_f64_e32 v[44:45], v[38:39], v[8:9]
	v_mul_f64_e32 v[8:9], v[40:41], v[8:9]
	s_delay_alu instid0(VALU_DEP_4) | instskip(NEXT) | instid1(VALU_DEP_4)
	v_fma_f64 v[42:43], v[34:35], v[2:3], -v[42:43]
	v_fma_f64 v[141:142], v[36:37], v[2:3], v[4:5]
	ds_load_b128 v[2:5], v1 offset:1408
	scratch_load_b128 v[34:37], off, off offset:624
	v_fma_f64 v[40:41], v[40:41], v[6:7], v[44:45]
	v_fma_f64 v[38:39], v[38:39], v[6:7], -v[8:9]
	ds_load_b128 v[6:9], v1 offset:1424
	s_wait_loadcnt_dscnt 0x601
	v_mul_f64_e32 v[143:144], v[2:3], v[12:13]
	v_mul_f64_e32 v[12:13], v[4:5], v[12:13]
	v_add_f64_e32 v[42:43], 0, v[42:43]
	v_add_f64_e32 v[44:45], 0, v[141:142]
	s_wait_loadcnt_dscnt 0x500
	v_mul_f64_e32 v[141:142], v[6:7], v[16:17]
	v_mul_f64_e32 v[16:17], v[8:9], v[16:17]
	v_fma_f64 v[143:144], v[4:5], v[10:11], v[143:144]
	v_fma_f64 v[10:11], v[2:3], v[10:11], -v[12:13]
	ds_load_b128 v[2:5], v1 offset:1440
	v_add_f64_e32 v[12:13], v[42:43], v[38:39]
	v_add_f64_e32 v[38:39], v[44:45], v[40:41]
	v_fma_f64 v[42:43], v[8:9], v[14:15], v[141:142]
	v_fma_f64 v[14:15], v[6:7], v[14:15], -v[16:17]
	ds_load_b128 v[6:9], v1 offset:1456
	s_wait_loadcnt_dscnt 0x401
	v_mul_f64_e32 v[40:41], v[2:3], v[20:21]
	v_mul_f64_e32 v[20:21], v[4:5], v[20:21]
	s_wait_loadcnt_dscnt 0x300
	v_mul_f64_e32 v[16:17], v[6:7], v[24:25]
	v_mul_f64_e32 v[24:25], v[8:9], v[24:25]
	v_add_f64_e32 v[10:11], v[12:13], v[10:11]
	v_add_f64_e32 v[12:13], v[38:39], v[143:144]
	v_fma_f64 v[38:39], v[4:5], v[18:19], v[40:41]
	v_fma_f64 v[18:19], v[2:3], v[18:19], -v[20:21]
	ds_load_b128 v[2:5], v1 offset:1472
	v_fma_f64 v[16:17], v[8:9], v[22:23], v[16:17]
	v_fma_f64 v[22:23], v[6:7], v[22:23], -v[24:25]
	ds_load_b128 v[6:9], v1 offset:1488
	s_wait_loadcnt_dscnt 0x201
	v_mul_f64_e32 v[20:21], v[4:5], v[28:29]
	v_add_f64_e32 v[10:11], v[10:11], v[14:15]
	v_add_f64_e32 v[12:13], v[12:13], v[42:43]
	v_mul_f64_e32 v[14:15], v[2:3], v[28:29]
	s_wait_loadcnt_dscnt 0x100
	v_mul_f64_e32 v[24:25], v[8:9], v[32:33]
	v_fma_f64 v[1:2], v[2:3], v[26:27], -v[20:21]
	v_add_f64_e32 v[10:11], v[10:11], v[18:19]
	v_add_f64_e32 v[12:13], v[12:13], v[38:39]
	v_mul_f64_e32 v[18:19], v[6:7], v[32:33]
	v_fma_f64 v[4:5], v[4:5], v[26:27], v[14:15]
	v_fma_f64 v[6:7], v[6:7], v[30:31], -v[24:25]
	v_add_f64_e32 v[10:11], v[10:11], v[22:23]
	v_add_f64_e32 v[12:13], v[12:13], v[16:17]
	v_fma_f64 v[8:9], v[8:9], v[30:31], v[18:19]
	s_delay_alu instid0(VALU_DEP_3) | instskip(NEXT) | instid1(VALU_DEP_3)
	v_add_f64_e32 v[1:2], v[10:11], v[1:2]
	v_add_f64_e32 v[3:4], v[12:13], v[4:5]
	s_delay_alu instid0(VALU_DEP_2) | instskip(NEXT) | instid1(VALU_DEP_2)
	v_add_f64_e32 v[1:2], v[1:2], v[6:7]
	v_add_f64_e32 v[3:4], v[3:4], v[8:9]
	s_wait_loadcnt 0x0
	s_delay_alu instid0(VALU_DEP_2) | instskip(NEXT) | instid1(VALU_DEP_2)
	v_add_f64_e64 v[1:2], v[34:35], -v[1:2]
	v_add_f64_e64 v[3:4], v[36:37], -v[3:4]
	scratch_store_b128 off, v[1:4], off offset:624
	v_cmpx_lt_u32_e32 37, v0
	s_cbranch_execz .LBB46_221
; %bb.220:
	scratch_load_b128 v[1:4], off, s12
	v_mov_b32_e32 v5, 0
	s_delay_alu instid0(VALU_DEP_1)
	v_dual_mov_b32 v6, v5 :: v_dual_mov_b32 v7, v5
	v_mov_b32_e32 v8, v5
	scratch_store_b128 off, v[5:8], off offset:608
	s_wait_loadcnt 0x0
	ds_store_b128 v140, v[1:4]
.LBB46_221:
	s_wait_alu 0xfffe
	s_or_b32 exec_lo, exec_lo, s0
	s_wait_storecnt_dscnt 0x0
	s_barrier_signal -1
	s_barrier_wait -1
	global_inv scope:SCOPE_SE
	s_clause 0x7
	scratch_load_b128 v[2:5], off, off offset:624
	scratch_load_b128 v[6:9], off, off offset:640
	;; [unrolled: 1-line block ×8, first 2 shown]
	v_mov_b32_e32 v1, 0
	s_mov_b32 s0, exec_lo
	ds_load_b128 v[34:37], v1 offset:1360
	s_clause 0x1
	scratch_load_b128 v[38:41], off, off offset:752
	scratch_load_b128 v[42:45], off, off offset:608
	ds_load_b128 v[141:144], v1 offset:1376
	s_wait_loadcnt_dscnt 0x901
	v_mul_f64_e32 v[145:146], v[36:37], v[4:5]
	v_mul_f64_e32 v[4:5], v[34:35], v[4:5]
	s_wait_loadcnt_dscnt 0x800
	v_mul_f64_e32 v[147:148], v[141:142], v[8:9]
	v_mul_f64_e32 v[8:9], v[143:144], v[8:9]
	s_delay_alu instid0(VALU_DEP_4) | instskip(NEXT) | instid1(VALU_DEP_4)
	v_fma_f64 v[145:146], v[34:35], v[2:3], -v[145:146]
	v_fma_f64 v[149:150], v[36:37], v[2:3], v[4:5]
	ds_load_b128 v[2:5], v1 offset:1392
	ds_load_b128 v[34:37], v1 offset:1408
	v_fma_f64 v[143:144], v[143:144], v[6:7], v[147:148]
	v_fma_f64 v[6:7], v[141:142], v[6:7], -v[8:9]
	s_wait_loadcnt_dscnt 0x701
	v_mul_f64_e32 v[151:152], v[2:3], v[12:13]
	v_mul_f64_e32 v[12:13], v[4:5], v[12:13]
	v_add_f64_e32 v[8:9], 0, v[145:146]
	v_add_f64_e32 v[141:142], 0, v[149:150]
	s_wait_loadcnt_dscnt 0x600
	v_mul_f64_e32 v[145:146], v[34:35], v[16:17]
	v_mul_f64_e32 v[16:17], v[36:37], v[16:17]
	v_fma_f64 v[147:148], v[4:5], v[10:11], v[151:152]
	v_fma_f64 v[10:11], v[2:3], v[10:11], -v[12:13]
	v_add_f64_e32 v[12:13], v[8:9], v[6:7]
	v_add_f64_e32 v[141:142], v[141:142], v[143:144]
	ds_load_b128 v[2:5], v1 offset:1424
	ds_load_b128 v[6:9], v1 offset:1440
	v_fma_f64 v[36:37], v[36:37], v[14:15], v[145:146]
	v_fma_f64 v[14:15], v[34:35], v[14:15], -v[16:17]
	s_wait_loadcnt_dscnt 0x501
	v_mul_f64_e32 v[143:144], v[2:3], v[20:21]
	v_mul_f64_e32 v[20:21], v[4:5], v[20:21]
	s_wait_loadcnt_dscnt 0x400
	v_mul_f64_e32 v[16:17], v[6:7], v[24:25]
	v_mul_f64_e32 v[24:25], v[8:9], v[24:25]
	v_add_f64_e32 v[10:11], v[12:13], v[10:11]
	v_add_f64_e32 v[12:13], v[141:142], v[147:148]
	v_fma_f64 v[34:35], v[4:5], v[18:19], v[143:144]
	v_fma_f64 v[18:19], v[2:3], v[18:19], -v[20:21]
	v_fma_f64 v[8:9], v[8:9], v[22:23], v[16:17]
	v_fma_f64 v[6:7], v[6:7], v[22:23], -v[24:25]
	v_add_f64_e32 v[14:15], v[10:11], v[14:15]
	v_add_f64_e32 v[20:21], v[12:13], v[36:37]
	ds_load_b128 v[2:5], v1 offset:1456
	ds_load_b128 v[10:13], v1 offset:1472
	s_wait_loadcnt_dscnt 0x301
	v_mul_f64_e32 v[36:37], v[2:3], v[28:29]
	v_mul_f64_e32 v[28:29], v[4:5], v[28:29]
	v_add_f64_e32 v[14:15], v[14:15], v[18:19]
	v_add_f64_e32 v[16:17], v[20:21], v[34:35]
	s_wait_loadcnt_dscnt 0x200
	v_mul_f64_e32 v[18:19], v[10:11], v[32:33]
	v_mul_f64_e32 v[20:21], v[12:13], v[32:33]
	v_fma_f64 v[22:23], v[4:5], v[26:27], v[36:37]
	v_fma_f64 v[24:25], v[2:3], v[26:27], -v[28:29]
	ds_load_b128 v[2:5], v1 offset:1488
	v_add_f64_e32 v[6:7], v[14:15], v[6:7]
	v_add_f64_e32 v[8:9], v[16:17], v[8:9]
	v_fma_f64 v[12:13], v[12:13], v[30:31], v[18:19]
	v_fma_f64 v[10:11], v[10:11], v[30:31], -v[20:21]
	s_wait_loadcnt_dscnt 0x100
	v_mul_f64_e32 v[14:15], v[2:3], v[40:41]
	v_mul_f64_e32 v[16:17], v[4:5], v[40:41]
	v_add_f64_e32 v[6:7], v[6:7], v[24:25]
	v_add_f64_e32 v[8:9], v[8:9], v[22:23]
	s_delay_alu instid0(VALU_DEP_4) | instskip(NEXT) | instid1(VALU_DEP_4)
	v_fma_f64 v[4:5], v[4:5], v[38:39], v[14:15]
	v_fma_f64 v[2:3], v[2:3], v[38:39], -v[16:17]
	s_delay_alu instid0(VALU_DEP_4) | instskip(NEXT) | instid1(VALU_DEP_4)
	v_add_f64_e32 v[6:7], v[6:7], v[10:11]
	v_add_f64_e32 v[8:9], v[8:9], v[12:13]
	s_delay_alu instid0(VALU_DEP_2) | instskip(NEXT) | instid1(VALU_DEP_2)
	v_add_f64_e32 v[2:3], v[6:7], v[2:3]
	v_add_f64_e32 v[4:5], v[8:9], v[4:5]
	s_wait_loadcnt 0x0
	s_delay_alu instid0(VALU_DEP_2) | instskip(NEXT) | instid1(VALU_DEP_2)
	v_add_f64_e64 v[2:3], v[42:43], -v[2:3]
	v_add_f64_e64 v[4:5], v[44:45], -v[4:5]
	scratch_store_b128 off, v[2:5], off offset:608
	v_cmpx_lt_u32_e32 36, v0
	s_cbranch_execz .LBB46_223
; %bb.222:
	scratch_load_b128 v[5:8], off, s14
	v_dual_mov_b32 v2, v1 :: v_dual_mov_b32 v3, v1
	v_mov_b32_e32 v4, v1
	scratch_store_b128 off, v[1:4], off offset:592
	s_wait_loadcnt 0x0
	ds_store_b128 v140, v[5:8]
.LBB46_223:
	s_wait_alu 0xfffe
	s_or_b32 exec_lo, exec_lo, s0
	s_wait_storecnt_dscnt 0x0
	s_barrier_signal -1
	s_barrier_wait -1
	global_inv scope:SCOPE_SE
	s_clause 0x8
	scratch_load_b128 v[2:5], off, off offset:608
	scratch_load_b128 v[6:9], off, off offset:624
	;; [unrolled: 1-line block ×9, first 2 shown]
	ds_load_b128 v[38:41], v1 offset:1344
	ds_load_b128 v[42:45], v1 offset:1360
	s_clause 0x1
	scratch_load_b128 v[141:144], off, off offset:592
	scratch_load_b128 v[145:148], off, off offset:752
	s_mov_b32 s0, exec_lo
	s_wait_loadcnt_dscnt 0xa01
	v_mul_f64_e32 v[149:150], v[40:41], v[4:5]
	v_mul_f64_e32 v[4:5], v[38:39], v[4:5]
	s_wait_loadcnt_dscnt 0x900
	v_mul_f64_e32 v[151:152], v[42:43], v[8:9]
	v_mul_f64_e32 v[8:9], v[44:45], v[8:9]
	s_delay_alu instid0(VALU_DEP_4) | instskip(NEXT) | instid1(VALU_DEP_4)
	v_fma_f64 v[149:150], v[38:39], v[2:3], -v[149:150]
	v_fma_f64 v[153:154], v[40:41], v[2:3], v[4:5]
	ds_load_b128 v[2:5], v1 offset:1376
	ds_load_b128 v[38:41], v1 offset:1392
	v_fma_f64 v[44:45], v[44:45], v[6:7], v[151:152]
	v_fma_f64 v[6:7], v[42:43], v[6:7], -v[8:9]
	s_wait_loadcnt_dscnt 0x801
	v_mul_f64_e32 v[155:156], v[2:3], v[12:13]
	v_mul_f64_e32 v[12:13], v[4:5], v[12:13]
	v_add_f64_e32 v[8:9], 0, v[149:150]
	v_add_f64_e32 v[42:43], 0, v[153:154]
	s_wait_loadcnt_dscnt 0x700
	v_mul_f64_e32 v[149:150], v[38:39], v[16:17]
	v_mul_f64_e32 v[16:17], v[40:41], v[16:17]
	v_fma_f64 v[151:152], v[4:5], v[10:11], v[155:156]
	v_fma_f64 v[10:11], v[2:3], v[10:11], -v[12:13]
	v_add_f64_e32 v[12:13], v[8:9], v[6:7]
	v_add_f64_e32 v[42:43], v[42:43], v[44:45]
	ds_load_b128 v[2:5], v1 offset:1408
	ds_load_b128 v[6:9], v1 offset:1424
	v_fma_f64 v[40:41], v[40:41], v[14:15], v[149:150]
	v_fma_f64 v[14:15], v[38:39], v[14:15], -v[16:17]
	s_wait_loadcnt_dscnt 0x601
	v_mul_f64_e32 v[44:45], v[2:3], v[20:21]
	v_mul_f64_e32 v[20:21], v[4:5], v[20:21]
	s_wait_loadcnt_dscnt 0x500
	v_mul_f64_e32 v[16:17], v[6:7], v[24:25]
	v_mul_f64_e32 v[24:25], v[8:9], v[24:25]
	v_add_f64_e32 v[10:11], v[12:13], v[10:11]
	v_add_f64_e32 v[12:13], v[42:43], v[151:152]
	v_fma_f64 v[38:39], v[4:5], v[18:19], v[44:45]
	v_fma_f64 v[18:19], v[2:3], v[18:19], -v[20:21]
	v_fma_f64 v[8:9], v[8:9], v[22:23], v[16:17]
	v_fma_f64 v[6:7], v[6:7], v[22:23], -v[24:25]
	v_add_f64_e32 v[14:15], v[10:11], v[14:15]
	v_add_f64_e32 v[20:21], v[12:13], v[40:41]
	ds_load_b128 v[2:5], v1 offset:1440
	ds_load_b128 v[10:13], v1 offset:1456
	s_wait_loadcnt_dscnt 0x401
	v_mul_f64_e32 v[40:41], v[2:3], v[28:29]
	v_mul_f64_e32 v[28:29], v[4:5], v[28:29]
	v_add_f64_e32 v[14:15], v[14:15], v[18:19]
	v_add_f64_e32 v[16:17], v[20:21], v[38:39]
	s_wait_loadcnt_dscnt 0x300
	v_mul_f64_e32 v[18:19], v[10:11], v[32:33]
	v_mul_f64_e32 v[20:21], v[12:13], v[32:33]
	v_fma_f64 v[22:23], v[4:5], v[26:27], v[40:41]
	v_fma_f64 v[24:25], v[2:3], v[26:27], -v[28:29]
	v_add_f64_e32 v[14:15], v[14:15], v[6:7]
	v_add_f64_e32 v[16:17], v[16:17], v[8:9]
	ds_load_b128 v[2:5], v1 offset:1472
	ds_load_b128 v[6:9], v1 offset:1488
	v_fma_f64 v[12:13], v[12:13], v[30:31], v[18:19]
	v_fma_f64 v[10:11], v[10:11], v[30:31], -v[20:21]
	s_wait_loadcnt_dscnt 0x201
	v_mul_f64_e32 v[26:27], v[2:3], v[36:37]
	v_mul_f64_e32 v[28:29], v[4:5], v[36:37]
	s_wait_loadcnt_dscnt 0x0
	v_mul_f64_e32 v[18:19], v[6:7], v[147:148]
	v_mul_f64_e32 v[20:21], v[8:9], v[147:148]
	v_add_f64_e32 v[14:15], v[14:15], v[24:25]
	v_add_f64_e32 v[16:17], v[16:17], v[22:23]
	v_fma_f64 v[4:5], v[4:5], v[34:35], v[26:27]
	v_fma_f64 v[1:2], v[2:3], v[34:35], -v[28:29]
	v_fma_f64 v[8:9], v[8:9], v[145:146], v[18:19]
	v_fma_f64 v[6:7], v[6:7], v[145:146], -v[20:21]
	v_add_f64_e32 v[10:11], v[14:15], v[10:11]
	v_add_f64_e32 v[12:13], v[16:17], v[12:13]
	s_delay_alu instid0(VALU_DEP_2) | instskip(NEXT) | instid1(VALU_DEP_2)
	v_add_f64_e32 v[1:2], v[10:11], v[1:2]
	v_add_f64_e32 v[3:4], v[12:13], v[4:5]
	s_delay_alu instid0(VALU_DEP_2) | instskip(NEXT) | instid1(VALU_DEP_2)
	;; [unrolled: 3-line block ×3, first 2 shown]
	v_add_f64_e64 v[1:2], v[141:142], -v[1:2]
	v_add_f64_e64 v[3:4], v[143:144], -v[3:4]
	scratch_store_b128 off, v[1:4], off offset:592
	v_cmpx_lt_u32_e32 35, v0
	s_cbranch_execz .LBB46_225
; %bb.224:
	scratch_load_b128 v[1:4], off, s19
	v_mov_b32_e32 v5, 0
	s_delay_alu instid0(VALU_DEP_1)
	v_dual_mov_b32 v6, v5 :: v_dual_mov_b32 v7, v5
	v_mov_b32_e32 v8, v5
	scratch_store_b128 off, v[5:8], off offset:576
	s_wait_loadcnt 0x0
	ds_store_b128 v140, v[1:4]
.LBB46_225:
	s_wait_alu 0xfffe
	s_or_b32 exec_lo, exec_lo, s0
	s_wait_storecnt_dscnt 0x0
	s_barrier_signal -1
	s_barrier_wait -1
	global_inv scope:SCOPE_SE
	s_clause 0x7
	scratch_load_b128 v[2:5], off, off offset:592
	scratch_load_b128 v[6:9], off, off offset:608
	;; [unrolled: 1-line block ×8, first 2 shown]
	v_mov_b32_e32 v1, 0
	s_mov_b32 s0, exec_lo
	ds_load_b128 v[34:37], v1 offset:1328
	s_clause 0x1
	scratch_load_b128 v[38:41], off, off offset:720
	scratch_load_b128 v[42:45], off, off offset:576
	ds_load_b128 v[141:144], v1 offset:1344
	scratch_load_b128 v[145:148], off, off offset:736
	s_wait_loadcnt_dscnt 0xa01
	v_mul_f64_e32 v[149:150], v[36:37], v[4:5]
	v_mul_f64_e32 v[4:5], v[34:35], v[4:5]
	s_delay_alu instid0(VALU_DEP_2) | instskip(NEXT) | instid1(VALU_DEP_2)
	v_fma_f64 v[155:156], v[34:35], v[2:3], -v[149:150]
	v_fma_f64 v[157:158], v[36:37], v[2:3], v[4:5]
	ds_load_b128 v[2:5], v1 offset:1360
	s_wait_loadcnt_dscnt 0x901
	v_mul_f64_e32 v[153:154], v[141:142], v[8:9]
	v_mul_f64_e32 v[8:9], v[143:144], v[8:9]
	scratch_load_b128 v[34:37], off, off offset:752
	ds_load_b128 v[149:152], v1 offset:1376
	s_wait_loadcnt_dscnt 0x901
	v_mul_f64_e32 v[159:160], v[2:3], v[12:13]
	v_mul_f64_e32 v[12:13], v[4:5], v[12:13]
	v_fma_f64 v[143:144], v[143:144], v[6:7], v[153:154]
	v_fma_f64 v[6:7], v[141:142], v[6:7], -v[8:9]
	v_add_f64_e32 v[8:9], 0, v[155:156]
	v_add_f64_e32 v[141:142], 0, v[157:158]
	s_wait_loadcnt_dscnt 0x800
	v_mul_f64_e32 v[153:154], v[149:150], v[16:17]
	v_mul_f64_e32 v[16:17], v[151:152], v[16:17]
	v_fma_f64 v[155:156], v[4:5], v[10:11], v[159:160]
	v_fma_f64 v[10:11], v[2:3], v[10:11], -v[12:13]
	v_add_f64_e32 v[12:13], v[8:9], v[6:7]
	v_add_f64_e32 v[141:142], v[141:142], v[143:144]
	ds_load_b128 v[2:5], v1 offset:1392
	ds_load_b128 v[6:9], v1 offset:1408
	v_fma_f64 v[151:152], v[151:152], v[14:15], v[153:154]
	v_fma_f64 v[14:15], v[149:150], v[14:15], -v[16:17]
	s_wait_loadcnt_dscnt 0x701
	v_mul_f64_e32 v[143:144], v[2:3], v[20:21]
	v_mul_f64_e32 v[20:21], v[4:5], v[20:21]
	s_wait_loadcnt_dscnt 0x600
	v_mul_f64_e32 v[16:17], v[6:7], v[24:25]
	v_mul_f64_e32 v[24:25], v[8:9], v[24:25]
	v_add_f64_e32 v[10:11], v[12:13], v[10:11]
	v_add_f64_e32 v[12:13], v[141:142], v[155:156]
	v_fma_f64 v[141:142], v[4:5], v[18:19], v[143:144]
	v_fma_f64 v[18:19], v[2:3], v[18:19], -v[20:21]
	v_fma_f64 v[8:9], v[8:9], v[22:23], v[16:17]
	v_fma_f64 v[6:7], v[6:7], v[22:23], -v[24:25]
	v_add_f64_e32 v[14:15], v[10:11], v[14:15]
	v_add_f64_e32 v[20:21], v[12:13], v[151:152]
	ds_load_b128 v[2:5], v1 offset:1424
	ds_load_b128 v[10:13], v1 offset:1440
	s_wait_loadcnt_dscnt 0x501
	v_mul_f64_e32 v[143:144], v[2:3], v[28:29]
	v_mul_f64_e32 v[28:29], v[4:5], v[28:29]
	v_add_f64_e32 v[14:15], v[14:15], v[18:19]
	v_add_f64_e32 v[16:17], v[20:21], v[141:142]
	s_wait_loadcnt_dscnt 0x400
	v_mul_f64_e32 v[18:19], v[10:11], v[32:33]
	v_mul_f64_e32 v[20:21], v[12:13], v[32:33]
	v_fma_f64 v[22:23], v[4:5], v[26:27], v[143:144]
	v_fma_f64 v[24:25], v[2:3], v[26:27], -v[28:29]
	v_add_f64_e32 v[14:15], v[14:15], v[6:7]
	v_add_f64_e32 v[16:17], v[16:17], v[8:9]
	ds_load_b128 v[2:5], v1 offset:1456
	ds_load_b128 v[6:9], v1 offset:1472
	v_fma_f64 v[12:13], v[12:13], v[30:31], v[18:19]
	v_fma_f64 v[10:11], v[10:11], v[30:31], -v[20:21]
	s_wait_loadcnt_dscnt 0x301
	v_mul_f64_e32 v[26:27], v[2:3], v[40:41]
	v_mul_f64_e32 v[28:29], v[4:5], v[40:41]
	s_wait_loadcnt_dscnt 0x100
	v_mul_f64_e32 v[18:19], v[6:7], v[147:148]
	v_mul_f64_e32 v[20:21], v[8:9], v[147:148]
	v_add_f64_e32 v[14:15], v[14:15], v[24:25]
	v_add_f64_e32 v[16:17], v[16:17], v[22:23]
	v_fma_f64 v[22:23], v[4:5], v[38:39], v[26:27]
	v_fma_f64 v[24:25], v[2:3], v[38:39], -v[28:29]
	ds_load_b128 v[2:5], v1 offset:1488
	v_fma_f64 v[8:9], v[8:9], v[145:146], v[18:19]
	v_fma_f64 v[6:7], v[6:7], v[145:146], -v[20:21]
	v_add_f64_e32 v[10:11], v[14:15], v[10:11]
	v_add_f64_e32 v[12:13], v[16:17], v[12:13]
	s_wait_loadcnt_dscnt 0x0
	v_mul_f64_e32 v[14:15], v[2:3], v[36:37]
	v_mul_f64_e32 v[16:17], v[4:5], v[36:37]
	s_delay_alu instid0(VALU_DEP_4) | instskip(NEXT) | instid1(VALU_DEP_4)
	v_add_f64_e32 v[10:11], v[10:11], v[24:25]
	v_add_f64_e32 v[12:13], v[12:13], v[22:23]
	s_delay_alu instid0(VALU_DEP_4) | instskip(NEXT) | instid1(VALU_DEP_4)
	v_fma_f64 v[4:5], v[4:5], v[34:35], v[14:15]
	v_fma_f64 v[2:3], v[2:3], v[34:35], -v[16:17]
	s_delay_alu instid0(VALU_DEP_4) | instskip(NEXT) | instid1(VALU_DEP_4)
	v_add_f64_e32 v[6:7], v[10:11], v[6:7]
	v_add_f64_e32 v[8:9], v[12:13], v[8:9]
	s_delay_alu instid0(VALU_DEP_2) | instskip(NEXT) | instid1(VALU_DEP_2)
	v_add_f64_e32 v[2:3], v[6:7], v[2:3]
	v_add_f64_e32 v[4:5], v[8:9], v[4:5]
	s_delay_alu instid0(VALU_DEP_2) | instskip(NEXT) | instid1(VALU_DEP_2)
	v_add_f64_e64 v[2:3], v[42:43], -v[2:3]
	v_add_f64_e64 v[4:5], v[44:45], -v[4:5]
	scratch_store_b128 off, v[2:5], off offset:576
	v_cmpx_lt_u32_e32 34, v0
	s_cbranch_execz .LBB46_227
; %bb.226:
	scratch_load_b128 v[5:8], off, s22
	v_dual_mov_b32 v2, v1 :: v_dual_mov_b32 v3, v1
	v_mov_b32_e32 v4, v1
	scratch_store_b128 off, v[1:4], off offset:560
	s_wait_loadcnt 0x0
	ds_store_b128 v140, v[5:8]
.LBB46_227:
	s_wait_alu 0xfffe
	s_or_b32 exec_lo, exec_lo, s0
	s_wait_storecnt_dscnt 0x0
	s_barrier_signal -1
	s_barrier_wait -1
	global_inv scope:SCOPE_SE
	s_clause 0x8
	scratch_load_b128 v[2:5], off, off offset:576
	scratch_load_b128 v[6:9], off, off offset:592
	;; [unrolled: 1-line block ×9, first 2 shown]
	ds_load_b128 v[38:41], v1 offset:1312
	ds_load_b128 v[42:45], v1 offset:1328
	s_clause 0x1
	scratch_load_b128 v[141:144], off, off offset:560
	scratch_load_b128 v[145:148], off, off offset:720
	s_mov_b32 s0, exec_lo
	s_wait_loadcnt_dscnt 0xa01
	v_mul_f64_e32 v[149:150], v[40:41], v[4:5]
	v_mul_f64_e32 v[4:5], v[38:39], v[4:5]
	s_wait_loadcnt_dscnt 0x900
	v_mul_f64_e32 v[153:154], v[42:43], v[8:9]
	v_mul_f64_e32 v[8:9], v[44:45], v[8:9]
	s_delay_alu instid0(VALU_DEP_4) | instskip(NEXT) | instid1(VALU_DEP_4)
	v_fma_f64 v[155:156], v[38:39], v[2:3], -v[149:150]
	v_fma_f64 v[157:158], v[40:41], v[2:3], v[4:5]
	ds_load_b128 v[2:5], v1 offset:1344
	ds_load_b128 v[149:152], v1 offset:1360
	scratch_load_b128 v[38:41], off, off offset:736
	v_fma_f64 v[44:45], v[44:45], v[6:7], v[153:154]
	v_fma_f64 v[42:43], v[42:43], v[6:7], -v[8:9]
	scratch_load_b128 v[6:9], off, off offset:752
	s_wait_loadcnt_dscnt 0xa01
	v_mul_f64_e32 v[159:160], v[2:3], v[12:13]
	v_mul_f64_e32 v[12:13], v[4:5], v[12:13]
	v_add_f64_e32 v[153:154], 0, v[155:156]
	v_add_f64_e32 v[155:156], 0, v[157:158]
	s_wait_loadcnt_dscnt 0x900
	v_mul_f64_e32 v[157:158], v[149:150], v[16:17]
	v_mul_f64_e32 v[16:17], v[151:152], v[16:17]
	v_fma_f64 v[159:160], v[4:5], v[10:11], v[159:160]
	v_fma_f64 v[161:162], v[2:3], v[10:11], -v[12:13]
	ds_load_b128 v[2:5], v1 offset:1376
	ds_load_b128 v[10:13], v1 offset:1392
	v_add_f64_e32 v[42:43], v[153:154], v[42:43]
	v_add_f64_e32 v[44:45], v[155:156], v[44:45]
	v_fma_f64 v[151:152], v[151:152], v[14:15], v[157:158]
	v_fma_f64 v[14:15], v[149:150], v[14:15], -v[16:17]
	s_wait_loadcnt_dscnt 0x801
	v_mul_f64_e32 v[153:154], v[2:3], v[20:21]
	v_mul_f64_e32 v[20:21], v[4:5], v[20:21]
	v_add_f64_e32 v[16:17], v[42:43], v[161:162]
	v_add_f64_e32 v[42:43], v[44:45], v[159:160]
	s_wait_loadcnt_dscnt 0x700
	v_mul_f64_e32 v[44:45], v[10:11], v[24:25]
	v_mul_f64_e32 v[24:25], v[12:13], v[24:25]
	v_fma_f64 v[149:150], v[4:5], v[18:19], v[153:154]
	v_fma_f64 v[18:19], v[2:3], v[18:19], -v[20:21]
	v_add_f64_e32 v[20:21], v[16:17], v[14:15]
	v_add_f64_e32 v[42:43], v[42:43], v[151:152]
	ds_load_b128 v[2:5], v1 offset:1408
	ds_load_b128 v[14:17], v1 offset:1424
	v_fma_f64 v[12:13], v[12:13], v[22:23], v[44:45]
	v_fma_f64 v[10:11], v[10:11], v[22:23], -v[24:25]
	s_wait_loadcnt_dscnt 0x601
	v_mul_f64_e32 v[151:152], v[2:3], v[28:29]
	v_mul_f64_e32 v[28:29], v[4:5], v[28:29]
	s_wait_loadcnt_dscnt 0x500
	v_mul_f64_e32 v[22:23], v[14:15], v[32:33]
	v_mul_f64_e32 v[24:25], v[16:17], v[32:33]
	v_add_f64_e32 v[18:19], v[20:21], v[18:19]
	v_add_f64_e32 v[20:21], v[42:43], v[149:150]
	v_fma_f64 v[32:33], v[4:5], v[26:27], v[151:152]
	v_fma_f64 v[26:27], v[2:3], v[26:27], -v[28:29]
	v_fma_f64 v[16:17], v[16:17], v[30:31], v[22:23]
	v_fma_f64 v[14:15], v[14:15], v[30:31], -v[24:25]
	v_add_f64_e32 v[18:19], v[18:19], v[10:11]
	v_add_f64_e32 v[20:21], v[20:21], v[12:13]
	ds_load_b128 v[2:5], v1 offset:1440
	ds_load_b128 v[10:13], v1 offset:1456
	s_wait_loadcnt_dscnt 0x401
	v_mul_f64_e32 v[28:29], v[2:3], v[36:37]
	v_mul_f64_e32 v[36:37], v[4:5], v[36:37]
	s_wait_loadcnt_dscnt 0x200
	v_mul_f64_e32 v[22:23], v[10:11], v[147:148]
	v_mul_f64_e32 v[24:25], v[12:13], v[147:148]
	v_add_f64_e32 v[18:19], v[18:19], v[26:27]
	v_add_f64_e32 v[20:21], v[20:21], v[32:33]
	v_fma_f64 v[26:27], v[4:5], v[34:35], v[28:29]
	v_fma_f64 v[28:29], v[2:3], v[34:35], -v[36:37]
	v_fma_f64 v[12:13], v[12:13], v[145:146], v[22:23]
	v_fma_f64 v[10:11], v[10:11], v[145:146], -v[24:25]
	v_add_f64_e32 v[18:19], v[18:19], v[14:15]
	v_add_f64_e32 v[20:21], v[20:21], v[16:17]
	ds_load_b128 v[2:5], v1 offset:1472
	ds_load_b128 v[14:17], v1 offset:1488
	s_wait_loadcnt_dscnt 0x101
	v_mul_f64_e32 v[30:31], v[2:3], v[40:41]
	v_mul_f64_e32 v[32:33], v[4:5], v[40:41]
	s_wait_loadcnt_dscnt 0x0
	v_mul_f64_e32 v[22:23], v[14:15], v[8:9]
	v_mul_f64_e32 v[8:9], v[16:17], v[8:9]
	v_add_f64_e32 v[18:19], v[18:19], v[28:29]
	v_add_f64_e32 v[20:21], v[20:21], v[26:27]
	v_fma_f64 v[4:5], v[4:5], v[38:39], v[30:31]
	v_fma_f64 v[1:2], v[2:3], v[38:39], -v[32:33]
	v_fma_f64 v[16:17], v[16:17], v[6:7], v[22:23]
	v_fma_f64 v[6:7], v[14:15], v[6:7], -v[8:9]
	v_add_f64_e32 v[10:11], v[18:19], v[10:11]
	v_add_f64_e32 v[12:13], v[20:21], v[12:13]
	s_delay_alu instid0(VALU_DEP_2) | instskip(NEXT) | instid1(VALU_DEP_2)
	v_add_f64_e32 v[1:2], v[10:11], v[1:2]
	v_add_f64_e32 v[3:4], v[12:13], v[4:5]
	s_delay_alu instid0(VALU_DEP_2) | instskip(NEXT) | instid1(VALU_DEP_2)
	;; [unrolled: 3-line block ×3, first 2 shown]
	v_add_f64_e64 v[1:2], v[141:142], -v[1:2]
	v_add_f64_e64 v[3:4], v[143:144], -v[3:4]
	scratch_store_b128 off, v[1:4], off offset:560
	v_cmpx_lt_u32_e32 33, v0
	s_cbranch_execz .LBB46_229
; %bb.228:
	scratch_load_b128 v[1:4], off, s24
	v_mov_b32_e32 v5, 0
	s_delay_alu instid0(VALU_DEP_1)
	v_dual_mov_b32 v6, v5 :: v_dual_mov_b32 v7, v5
	v_mov_b32_e32 v8, v5
	scratch_store_b128 off, v[5:8], off offset:544
	s_wait_loadcnt 0x0
	ds_store_b128 v140, v[1:4]
.LBB46_229:
	s_wait_alu 0xfffe
	s_or_b32 exec_lo, exec_lo, s0
	s_wait_storecnt_dscnt 0x0
	s_barrier_signal -1
	s_barrier_wait -1
	global_inv scope:SCOPE_SE
	s_clause 0x7
	scratch_load_b128 v[2:5], off, off offset:560
	scratch_load_b128 v[6:9], off, off offset:576
	;; [unrolled: 1-line block ×8, first 2 shown]
	v_mov_b32_e32 v1, 0
	s_mov_b32 s0, exec_lo
	ds_load_b128 v[34:37], v1 offset:1296
	s_clause 0x1
	scratch_load_b128 v[38:41], off, off offset:688
	scratch_load_b128 v[42:45], off, off offset:544
	ds_load_b128 v[141:144], v1 offset:1312
	scratch_load_b128 v[145:148], off, off offset:704
	s_wait_loadcnt_dscnt 0xa01
	v_mul_f64_e32 v[149:150], v[36:37], v[4:5]
	v_mul_f64_e32 v[4:5], v[34:35], v[4:5]
	s_delay_alu instid0(VALU_DEP_2) | instskip(NEXT) | instid1(VALU_DEP_2)
	v_fma_f64 v[155:156], v[34:35], v[2:3], -v[149:150]
	v_fma_f64 v[157:158], v[36:37], v[2:3], v[4:5]
	ds_load_b128 v[2:5], v1 offset:1328
	s_wait_loadcnt_dscnt 0x901
	v_mul_f64_e32 v[153:154], v[141:142], v[8:9]
	v_mul_f64_e32 v[8:9], v[143:144], v[8:9]
	scratch_load_b128 v[34:37], off, off offset:720
	ds_load_b128 v[149:152], v1 offset:1344
	s_wait_loadcnt_dscnt 0x901
	v_mul_f64_e32 v[159:160], v[2:3], v[12:13]
	v_mul_f64_e32 v[12:13], v[4:5], v[12:13]
	v_fma_f64 v[143:144], v[143:144], v[6:7], v[153:154]
	v_fma_f64 v[141:142], v[141:142], v[6:7], -v[8:9]
	v_add_f64_e32 v[153:154], 0, v[155:156]
	v_add_f64_e32 v[155:156], 0, v[157:158]
	scratch_load_b128 v[6:9], off, off offset:736
	v_fma_f64 v[159:160], v[4:5], v[10:11], v[159:160]
	v_fma_f64 v[161:162], v[2:3], v[10:11], -v[12:13]
	ds_load_b128 v[2:5], v1 offset:1360
	s_wait_loadcnt_dscnt 0x901
	v_mul_f64_e32 v[157:158], v[149:150], v[16:17]
	v_mul_f64_e32 v[16:17], v[151:152], v[16:17]
	scratch_load_b128 v[10:13], off, off offset:752
	v_add_f64_e32 v[153:154], v[153:154], v[141:142]
	v_add_f64_e32 v[155:156], v[155:156], v[143:144]
	s_wait_loadcnt_dscnt 0x900
	v_mul_f64_e32 v[163:164], v[2:3], v[20:21]
	v_mul_f64_e32 v[20:21], v[4:5], v[20:21]
	ds_load_b128 v[141:144], v1 offset:1376
	v_fma_f64 v[151:152], v[151:152], v[14:15], v[157:158]
	v_fma_f64 v[14:15], v[149:150], v[14:15], -v[16:17]
	v_add_f64_e32 v[16:17], v[153:154], v[161:162]
	v_add_f64_e32 v[149:150], v[155:156], v[159:160]
	s_wait_loadcnt_dscnt 0x800
	v_mul_f64_e32 v[153:154], v[141:142], v[24:25]
	v_mul_f64_e32 v[24:25], v[143:144], v[24:25]
	v_fma_f64 v[155:156], v[4:5], v[18:19], v[163:164]
	v_fma_f64 v[18:19], v[2:3], v[18:19], -v[20:21]
	v_add_f64_e32 v[20:21], v[16:17], v[14:15]
	v_add_f64_e32 v[149:150], v[149:150], v[151:152]
	ds_load_b128 v[2:5], v1 offset:1392
	ds_load_b128 v[14:17], v1 offset:1408
	v_fma_f64 v[143:144], v[143:144], v[22:23], v[153:154]
	v_fma_f64 v[22:23], v[141:142], v[22:23], -v[24:25]
	s_wait_loadcnt_dscnt 0x701
	v_mul_f64_e32 v[151:152], v[2:3], v[28:29]
	v_mul_f64_e32 v[28:29], v[4:5], v[28:29]
	s_wait_loadcnt_dscnt 0x600
	v_mul_f64_e32 v[24:25], v[14:15], v[32:33]
	v_mul_f64_e32 v[32:33], v[16:17], v[32:33]
	v_add_f64_e32 v[18:19], v[20:21], v[18:19]
	v_add_f64_e32 v[20:21], v[149:150], v[155:156]
	v_fma_f64 v[141:142], v[4:5], v[26:27], v[151:152]
	v_fma_f64 v[26:27], v[2:3], v[26:27], -v[28:29]
	v_fma_f64 v[16:17], v[16:17], v[30:31], v[24:25]
	v_fma_f64 v[14:15], v[14:15], v[30:31], -v[32:33]
	v_add_f64_e32 v[22:23], v[18:19], v[22:23]
	v_add_f64_e32 v[28:29], v[20:21], v[143:144]
	ds_load_b128 v[2:5], v1 offset:1424
	ds_load_b128 v[18:21], v1 offset:1440
	s_wait_loadcnt_dscnt 0x501
	v_mul_f64_e32 v[143:144], v[2:3], v[40:41]
	v_mul_f64_e32 v[40:41], v[4:5], v[40:41]
	v_add_f64_e32 v[22:23], v[22:23], v[26:27]
	v_add_f64_e32 v[24:25], v[28:29], v[141:142]
	s_wait_loadcnt_dscnt 0x300
	v_mul_f64_e32 v[26:27], v[18:19], v[147:148]
	v_mul_f64_e32 v[28:29], v[20:21], v[147:148]
	v_fma_f64 v[30:31], v[4:5], v[38:39], v[143:144]
	v_fma_f64 v[32:33], v[2:3], v[38:39], -v[40:41]
	v_add_f64_e32 v[22:23], v[22:23], v[14:15]
	v_add_f64_e32 v[24:25], v[24:25], v[16:17]
	ds_load_b128 v[2:5], v1 offset:1456
	ds_load_b128 v[14:17], v1 offset:1472
	v_fma_f64 v[20:21], v[20:21], v[145:146], v[26:27]
	v_fma_f64 v[18:19], v[18:19], v[145:146], -v[28:29]
	s_wait_loadcnt_dscnt 0x201
	v_mul_f64_e32 v[38:39], v[2:3], v[36:37]
	v_mul_f64_e32 v[36:37], v[4:5], v[36:37]
	v_add_f64_e32 v[22:23], v[22:23], v[32:33]
	v_add_f64_e32 v[24:25], v[24:25], v[30:31]
	s_wait_loadcnt_dscnt 0x100
	v_mul_f64_e32 v[26:27], v[14:15], v[8:9]
	v_mul_f64_e32 v[8:9], v[16:17], v[8:9]
	v_fma_f64 v[28:29], v[4:5], v[34:35], v[38:39]
	v_fma_f64 v[30:31], v[2:3], v[34:35], -v[36:37]
	ds_load_b128 v[2:5], v1 offset:1488
	v_add_f64_e32 v[18:19], v[22:23], v[18:19]
	v_add_f64_e32 v[20:21], v[24:25], v[20:21]
	s_wait_loadcnt_dscnt 0x0
	v_mul_f64_e32 v[22:23], v[2:3], v[12:13]
	v_mul_f64_e32 v[12:13], v[4:5], v[12:13]
	v_fma_f64 v[16:17], v[16:17], v[6:7], v[26:27]
	v_fma_f64 v[6:7], v[14:15], v[6:7], -v[8:9]
	v_add_f64_e32 v[8:9], v[18:19], v[30:31]
	v_add_f64_e32 v[14:15], v[20:21], v[28:29]
	v_fma_f64 v[4:5], v[4:5], v[10:11], v[22:23]
	v_fma_f64 v[2:3], v[2:3], v[10:11], -v[12:13]
	s_delay_alu instid0(VALU_DEP_4) | instskip(NEXT) | instid1(VALU_DEP_4)
	v_add_f64_e32 v[6:7], v[8:9], v[6:7]
	v_add_f64_e32 v[8:9], v[14:15], v[16:17]
	s_delay_alu instid0(VALU_DEP_2) | instskip(NEXT) | instid1(VALU_DEP_2)
	v_add_f64_e32 v[2:3], v[6:7], v[2:3]
	v_add_f64_e32 v[4:5], v[8:9], v[4:5]
	s_delay_alu instid0(VALU_DEP_2) | instskip(NEXT) | instid1(VALU_DEP_2)
	v_add_f64_e64 v[2:3], v[42:43], -v[2:3]
	v_add_f64_e64 v[4:5], v[44:45], -v[4:5]
	scratch_store_b128 off, v[2:5], off offset:544
	v_cmpx_lt_u32_e32 32, v0
	s_cbranch_execz .LBB46_231
; %bb.230:
	scratch_load_b128 v[5:8], off, s27
	v_dual_mov_b32 v2, v1 :: v_dual_mov_b32 v3, v1
	v_mov_b32_e32 v4, v1
	scratch_store_b128 off, v[1:4], off offset:528
	s_wait_loadcnt 0x0
	ds_store_b128 v140, v[5:8]
.LBB46_231:
	s_wait_alu 0xfffe
	s_or_b32 exec_lo, exec_lo, s0
	s_wait_storecnt_dscnt 0x0
	s_barrier_signal -1
	s_barrier_wait -1
	global_inv scope:SCOPE_SE
	s_clause 0x8
	scratch_load_b128 v[2:5], off, off offset:544
	scratch_load_b128 v[6:9], off, off offset:560
	;; [unrolled: 1-line block ×9, first 2 shown]
	ds_load_b128 v[38:41], v1 offset:1280
	ds_load_b128 v[42:45], v1 offset:1296
	s_clause 0x1
	scratch_load_b128 v[141:144], off, off offset:528
	scratch_load_b128 v[145:148], off, off offset:688
	s_mov_b32 s0, exec_lo
	s_wait_loadcnt_dscnt 0xa01
	v_mul_f64_e32 v[149:150], v[40:41], v[4:5]
	v_mul_f64_e32 v[4:5], v[38:39], v[4:5]
	s_wait_loadcnt_dscnt 0x900
	v_mul_f64_e32 v[153:154], v[42:43], v[8:9]
	v_mul_f64_e32 v[8:9], v[44:45], v[8:9]
	s_delay_alu instid0(VALU_DEP_4) | instskip(NEXT) | instid1(VALU_DEP_4)
	v_fma_f64 v[155:156], v[38:39], v[2:3], -v[149:150]
	v_fma_f64 v[157:158], v[40:41], v[2:3], v[4:5]
	ds_load_b128 v[2:5], v1 offset:1312
	ds_load_b128 v[149:152], v1 offset:1328
	scratch_load_b128 v[38:41], off, off offset:704
	v_fma_f64 v[44:45], v[44:45], v[6:7], v[153:154]
	v_fma_f64 v[42:43], v[42:43], v[6:7], -v[8:9]
	scratch_load_b128 v[6:9], off, off offset:720
	s_wait_loadcnt_dscnt 0xa01
	v_mul_f64_e32 v[159:160], v[2:3], v[12:13]
	v_mul_f64_e32 v[12:13], v[4:5], v[12:13]
	v_add_f64_e32 v[153:154], 0, v[155:156]
	v_add_f64_e32 v[155:156], 0, v[157:158]
	s_wait_loadcnt_dscnt 0x900
	v_mul_f64_e32 v[157:158], v[149:150], v[16:17]
	v_mul_f64_e32 v[16:17], v[151:152], v[16:17]
	v_fma_f64 v[159:160], v[4:5], v[10:11], v[159:160]
	v_fma_f64 v[161:162], v[2:3], v[10:11], -v[12:13]
	ds_load_b128 v[2:5], v1 offset:1344
	scratch_load_b128 v[10:13], off, off offset:736
	v_add_f64_e32 v[153:154], v[153:154], v[42:43]
	v_add_f64_e32 v[155:156], v[155:156], v[44:45]
	ds_load_b128 v[42:45], v1 offset:1360
	v_fma_f64 v[151:152], v[151:152], v[14:15], v[157:158]
	v_fma_f64 v[149:150], v[149:150], v[14:15], -v[16:17]
	scratch_load_b128 v[14:17], off, off offset:752
	s_wait_loadcnt_dscnt 0xa01
	v_mul_f64_e32 v[163:164], v[2:3], v[20:21]
	v_mul_f64_e32 v[20:21], v[4:5], v[20:21]
	s_wait_loadcnt_dscnt 0x900
	v_mul_f64_e32 v[157:158], v[42:43], v[24:25]
	v_mul_f64_e32 v[24:25], v[44:45], v[24:25]
	v_add_f64_e32 v[153:154], v[153:154], v[161:162]
	v_add_f64_e32 v[155:156], v[155:156], v[159:160]
	v_fma_f64 v[159:160], v[4:5], v[18:19], v[163:164]
	v_fma_f64 v[161:162], v[2:3], v[18:19], -v[20:21]
	ds_load_b128 v[2:5], v1 offset:1376
	ds_load_b128 v[18:21], v1 offset:1392
	v_fma_f64 v[44:45], v[44:45], v[22:23], v[157:158]
	v_fma_f64 v[22:23], v[42:43], v[22:23], -v[24:25]
	v_add_f64_e32 v[149:150], v[153:154], v[149:150]
	v_add_f64_e32 v[151:152], v[155:156], v[151:152]
	s_wait_loadcnt_dscnt 0x801
	v_mul_f64_e32 v[153:154], v[2:3], v[28:29]
	v_mul_f64_e32 v[28:29], v[4:5], v[28:29]
	s_delay_alu instid0(VALU_DEP_4) | instskip(NEXT) | instid1(VALU_DEP_4)
	v_add_f64_e32 v[24:25], v[149:150], v[161:162]
	v_add_f64_e32 v[42:43], v[151:152], v[159:160]
	s_wait_loadcnt_dscnt 0x700
	v_mul_f64_e32 v[149:150], v[18:19], v[32:33]
	v_mul_f64_e32 v[32:33], v[20:21], v[32:33]
	v_fma_f64 v[151:152], v[4:5], v[26:27], v[153:154]
	v_fma_f64 v[26:27], v[2:3], v[26:27], -v[28:29]
	v_add_f64_e32 v[28:29], v[24:25], v[22:23]
	v_add_f64_e32 v[42:43], v[42:43], v[44:45]
	ds_load_b128 v[2:5], v1 offset:1408
	ds_load_b128 v[22:25], v1 offset:1424
	v_fma_f64 v[20:21], v[20:21], v[30:31], v[149:150]
	v_fma_f64 v[18:19], v[18:19], v[30:31], -v[32:33]
	s_wait_loadcnt_dscnt 0x601
	v_mul_f64_e32 v[44:45], v[2:3], v[36:37]
	v_mul_f64_e32 v[36:37], v[4:5], v[36:37]
	s_wait_loadcnt_dscnt 0x400
	v_mul_f64_e32 v[30:31], v[22:23], v[147:148]
	v_mul_f64_e32 v[32:33], v[24:25], v[147:148]
	v_add_f64_e32 v[26:27], v[28:29], v[26:27]
	v_add_f64_e32 v[28:29], v[42:43], v[151:152]
	v_fma_f64 v[42:43], v[4:5], v[34:35], v[44:45]
	v_fma_f64 v[34:35], v[2:3], v[34:35], -v[36:37]
	v_fma_f64 v[24:25], v[24:25], v[145:146], v[30:31]
	v_fma_f64 v[22:23], v[22:23], v[145:146], -v[32:33]
	v_add_f64_e32 v[26:27], v[26:27], v[18:19]
	v_add_f64_e32 v[28:29], v[28:29], v[20:21]
	ds_load_b128 v[2:5], v1 offset:1440
	ds_load_b128 v[18:21], v1 offset:1456
	s_wait_loadcnt_dscnt 0x301
	v_mul_f64_e32 v[36:37], v[2:3], v[40:41]
	v_mul_f64_e32 v[40:41], v[4:5], v[40:41]
	s_wait_loadcnt_dscnt 0x200
	v_mul_f64_e32 v[30:31], v[18:19], v[8:9]
	v_mul_f64_e32 v[8:9], v[20:21], v[8:9]
	v_add_f64_e32 v[26:27], v[26:27], v[34:35]
	v_add_f64_e32 v[28:29], v[28:29], v[42:43]
	v_fma_f64 v[32:33], v[4:5], v[38:39], v[36:37]
	v_fma_f64 v[34:35], v[2:3], v[38:39], -v[40:41]
	v_fma_f64 v[20:21], v[20:21], v[6:7], v[30:31]
	v_fma_f64 v[6:7], v[18:19], v[6:7], -v[8:9]
	v_add_f64_e32 v[26:27], v[26:27], v[22:23]
	v_add_f64_e32 v[28:29], v[28:29], v[24:25]
	ds_load_b128 v[2:5], v1 offset:1472
	ds_load_b128 v[22:25], v1 offset:1488
	s_wait_loadcnt_dscnt 0x101
	v_mul_f64_e32 v[36:37], v[2:3], v[12:13]
	v_mul_f64_e32 v[12:13], v[4:5], v[12:13]
	v_add_f64_e32 v[8:9], v[26:27], v[34:35]
	v_add_f64_e32 v[18:19], v[28:29], v[32:33]
	s_wait_loadcnt_dscnt 0x0
	v_mul_f64_e32 v[26:27], v[22:23], v[16:17]
	v_mul_f64_e32 v[16:17], v[24:25], v[16:17]
	v_fma_f64 v[4:5], v[4:5], v[10:11], v[36:37]
	v_fma_f64 v[1:2], v[2:3], v[10:11], -v[12:13]
	v_add_f64_e32 v[6:7], v[8:9], v[6:7]
	v_add_f64_e32 v[8:9], v[18:19], v[20:21]
	v_fma_f64 v[10:11], v[24:25], v[14:15], v[26:27]
	v_fma_f64 v[12:13], v[22:23], v[14:15], -v[16:17]
	s_delay_alu instid0(VALU_DEP_4) | instskip(NEXT) | instid1(VALU_DEP_4)
	v_add_f64_e32 v[1:2], v[6:7], v[1:2]
	v_add_f64_e32 v[3:4], v[8:9], v[4:5]
	s_delay_alu instid0(VALU_DEP_2) | instskip(NEXT) | instid1(VALU_DEP_2)
	v_add_f64_e32 v[1:2], v[1:2], v[12:13]
	v_add_f64_e32 v[3:4], v[3:4], v[10:11]
	s_delay_alu instid0(VALU_DEP_2) | instskip(NEXT) | instid1(VALU_DEP_2)
	v_add_f64_e64 v[1:2], v[141:142], -v[1:2]
	v_add_f64_e64 v[3:4], v[143:144], -v[3:4]
	scratch_store_b128 off, v[1:4], off offset:528
	v_cmpx_lt_u32_e32 31, v0
	s_cbranch_execz .LBB46_233
; %bb.232:
	scratch_load_b128 v[1:4], off, s28
	v_mov_b32_e32 v5, 0
	s_delay_alu instid0(VALU_DEP_1)
	v_dual_mov_b32 v6, v5 :: v_dual_mov_b32 v7, v5
	v_mov_b32_e32 v8, v5
	scratch_store_b128 off, v[5:8], off offset:512
	s_wait_loadcnt 0x0
	ds_store_b128 v140, v[1:4]
.LBB46_233:
	s_wait_alu 0xfffe
	s_or_b32 exec_lo, exec_lo, s0
	s_wait_storecnt_dscnt 0x0
	s_barrier_signal -1
	s_barrier_wait -1
	global_inv scope:SCOPE_SE
	s_clause 0x7
	scratch_load_b128 v[2:5], off, off offset:528
	scratch_load_b128 v[6:9], off, off offset:544
	;; [unrolled: 1-line block ×8, first 2 shown]
	v_mov_b32_e32 v1, 0
	s_mov_b32 s0, exec_lo
	ds_load_b128 v[34:37], v1 offset:1264
	s_clause 0x1
	scratch_load_b128 v[38:41], off, off offset:656
	scratch_load_b128 v[42:45], off, off offset:512
	ds_load_b128 v[141:144], v1 offset:1280
	scratch_load_b128 v[145:148], off, off offset:672
	s_wait_loadcnt_dscnt 0xa01
	v_mul_f64_e32 v[149:150], v[36:37], v[4:5]
	v_mul_f64_e32 v[4:5], v[34:35], v[4:5]
	s_delay_alu instid0(VALU_DEP_2) | instskip(NEXT) | instid1(VALU_DEP_2)
	v_fma_f64 v[155:156], v[34:35], v[2:3], -v[149:150]
	v_fma_f64 v[157:158], v[36:37], v[2:3], v[4:5]
	ds_load_b128 v[2:5], v1 offset:1296
	s_wait_loadcnt_dscnt 0x901
	v_mul_f64_e32 v[153:154], v[141:142], v[8:9]
	v_mul_f64_e32 v[8:9], v[143:144], v[8:9]
	scratch_load_b128 v[34:37], off, off offset:688
	ds_load_b128 v[149:152], v1 offset:1312
	s_wait_loadcnt_dscnt 0x901
	v_mul_f64_e32 v[159:160], v[2:3], v[12:13]
	v_mul_f64_e32 v[12:13], v[4:5], v[12:13]
	v_fma_f64 v[143:144], v[143:144], v[6:7], v[153:154]
	v_fma_f64 v[141:142], v[141:142], v[6:7], -v[8:9]
	v_add_f64_e32 v[153:154], 0, v[155:156]
	v_add_f64_e32 v[155:156], 0, v[157:158]
	scratch_load_b128 v[6:9], off, off offset:704
	v_fma_f64 v[159:160], v[4:5], v[10:11], v[159:160]
	v_fma_f64 v[161:162], v[2:3], v[10:11], -v[12:13]
	ds_load_b128 v[2:5], v1 offset:1328
	s_wait_loadcnt_dscnt 0x901
	v_mul_f64_e32 v[157:158], v[149:150], v[16:17]
	v_mul_f64_e32 v[16:17], v[151:152], v[16:17]
	scratch_load_b128 v[10:13], off, off offset:720
	v_add_f64_e32 v[153:154], v[153:154], v[141:142]
	v_add_f64_e32 v[155:156], v[155:156], v[143:144]
	s_wait_loadcnt_dscnt 0x900
	v_mul_f64_e32 v[163:164], v[2:3], v[20:21]
	v_mul_f64_e32 v[20:21], v[4:5], v[20:21]
	ds_load_b128 v[141:144], v1 offset:1344
	v_fma_f64 v[151:152], v[151:152], v[14:15], v[157:158]
	v_fma_f64 v[149:150], v[149:150], v[14:15], -v[16:17]
	scratch_load_b128 v[14:17], off, off offset:736
	v_add_f64_e32 v[153:154], v[153:154], v[161:162]
	v_add_f64_e32 v[155:156], v[155:156], v[159:160]
	v_fma_f64 v[159:160], v[4:5], v[18:19], v[163:164]
	v_fma_f64 v[161:162], v[2:3], v[18:19], -v[20:21]
	ds_load_b128 v[2:5], v1 offset:1360
	s_wait_loadcnt_dscnt 0x901
	v_mul_f64_e32 v[157:158], v[141:142], v[24:25]
	v_mul_f64_e32 v[24:25], v[143:144], v[24:25]
	scratch_load_b128 v[18:21], off, off offset:752
	s_wait_loadcnt_dscnt 0x900
	v_mul_f64_e32 v[163:164], v[2:3], v[28:29]
	v_mul_f64_e32 v[28:29], v[4:5], v[28:29]
	v_add_f64_e32 v[153:154], v[153:154], v[149:150]
	v_add_f64_e32 v[155:156], v[155:156], v[151:152]
	ds_load_b128 v[149:152], v1 offset:1376
	v_fma_f64 v[143:144], v[143:144], v[22:23], v[157:158]
	v_fma_f64 v[22:23], v[141:142], v[22:23], -v[24:25]
	v_add_f64_e32 v[24:25], v[153:154], v[161:162]
	v_add_f64_e32 v[141:142], v[155:156], v[159:160]
	s_wait_loadcnt_dscnt 0x800
	v_mul_f64_e32 v[153:154], v[149:150], v[32:33]
	v_mul_f64_e32 v[32:33], v[151:152], v[32:33]
	v_fma_f64 v[155:156], v[4:5], v[26:27], v[163:164]
	v_fma_f64 v[26:27], v[2:3], v[26:27], -v[28:29]
	v_add_f64_e32 v[28:29], v[24:25], v[22:23]
	v_add_f64_e32 v[141:142], v[141:142], v[143:144]
	ds_load_b128 v[2:5], v1 offset:1392
	ds_load_b128 v[22:25], v1 offset:1408
	v_fma_f64 v[151:152], v[151:152], v[30:31], v[153:154]
	v_fma_f64 v[30:31], v[149:150], v[30:31], -v[32:33]
	s_wait_loadcnt_dscnt 0x701
	v_mul_f64_e32 v[143:144], v[2:3], v[40:41]
	v_mul_f64_e32 v[40:41], v[4:5], v[40:41]
	s_wait_loadcnt_dscnt 0x500
	v_mul_f64_e32 v[32:33], v[22:23], v[147:148]
	v_add_f64_e32 v[26:27], v[28:29], v[26:27]
	v_add_f64_e32 v[28:29], v[141:142], v[155:156]
	v_mul_f64_e32 v[141:142], v[24:25], v[147:148]
	v_fma_f64 v[143:144], v[4:5], v[38:39], v[143:144]
	v_fma_f64 v[38:39], v[2:3], v[38:39], -v[40:41]
	v_fma_f64 v[24:25], v[24:25], v[145:146], v[32:33]
	v_add_f64_e32 v[30:31], v[26:27], v[30:31]
	v_add_f64_e32 v[40:41], v[28:29], v[151:152]
	ds_load_b128 v[2:5], v1 offset:1424
	ds_load_b128 v[26:29], v1 offset:1440
	v_fma_f64 v[22:23], v[22:23], v[145:146], -v[141:142]
	s_wait_loadcnt_dscnt 0x401
	v_mul_f64_e32 v[147:148], v[2:3], v[36:37]
	v_mul_f64_e32 v[36:37], v[4:5], v[36:37]
	v_add_f64_e32 v[30:31], v[30:31], v[38:39]
	v_add_f64_e32 v[32:33], v[40:41], v[143:144]
	s_wait_loadcnt_dscnt 0x300
	v_mul_f64_e32 v[38:39], v[26:27], v[8:9]
	v_mul_f64_e32 v[8:9], v[28:29], v[8:9]
	v_fma_f64 v[40:41], v[4:5], v[34:35], v[147:148]
	v_fma_f64 v[34:35], v[2:3], v[34:35], -v[36:37]
	v_add_f64_e32 v[30:31], v[30:31], v[22:23]
	v_add_f64_e32 v[32:33], v[32:33], v[24:25]
	ds_load_b128 v[2:5], v1 offset:1456
	ds_load_b128 v[22:25], v1 offset:1472
	v_fma_f64 v[28:29], v[28:29], v[6:7], v[38:39]
	v_fma_f64 v[6:7], v[26:27], v[6:7], -v[8:9]
	s_wait_loadcnt_dscnt 0x201
	v_mul_f64_e32 v[36:37], v[2:3], v[12:13]
	v_mul_f64_e32 v[12:13], v[4:5], v[12:13]
	v_add_f64_e32 v[8:9], v[30:31], v[34:35]
	v_add_f64_e32 v[26:27], v[32:33], v[40:41]
	s_wait_loadcnt_dscnt 0x100
	v_mul_f64_e32 v[30:31], v[22:23], v[16:17]
	v_mul_f64_e32 v[16:17], v[24:25], v[16:17]
	v_fma_f64 v[32:33], v[4:5], v[10:11], v[36:37]
	v_fma_f64 v[10:11], v[2:3], v[10:11], -v[12:13]
	ds_load_b128 v[2:5], v1 offset:1488
	v_add_f64_e32 v[6:7], v[8:9], v[6:7]
	v_add_f64_e32 v[8:9], v[26:27], v[28:29]
	v_fma_f64 v[24:25], v[24:25], v[14:15], v[30:31]
	v_fma_f64 v[14:15], v[22:23], v[14:15], -v[16:17]
	s_wait_loadcnt_dscnt 0x0
	v_mul_f64_e32 v[12:13], v[2:3], v[20:21]
	v_mul_f64_e32 v[20:21], v[4:5], v[20:21]
	v_add_f64_e32 v[6:7], v[6:7], v[10:11]
	v_add_f64_e32 v[8:9], v[8:9], v[32:33]
	s_delay_alu instid0(VALU_DEP_4) | instskip(NEXT) | instid1(VALU_DEP_4)
	v_fma_f64 v[4:5], v[4:5], v[18:19], v[12:13]
	v_fma_f64 v[2:3], v[2:3], v[18:19], -v[20:21]
	s_delay_alu instid0(VALU_DEP_4) | instskip(NEXT) | instid1(VALU_DEP_4)
	v_add_f64_e32 v[6:7], v[6:7], v[14:15]
	v_add_f64_e32 v[8:9], v[8:9], v[24:25]
	s_delay_alu instid0(VALU_DEP_2) | instskip(NEXT) | instid1(VALU_DEP_2)
	v_add_f64_e32 v[2:3], v[6:7], v[2:3]
	v_add_f64_e32 v[4:5], v[8:9], v[4:5]
	s_delay_alu instid0(VALU_DEP_2) | instskip(NEXT) | instid1(VALU_DEP_2)
	v_add_f64_e64 v[2:3], v[42:43], -v[2:3]
	v_add_f64_e64 v[4:5], v[44:45], -v[4:5]
	scratch_store_b128 off, v[2:5], off offset:512
	v_cmpx_lt_u32_e32 30, v0
	s_cbranch_execz .LBB46_235
; %bb.234:
	scratch_load_b128 v[5:8], off, s29
	v_dual_mov_b32 v2, v1 :: v_dual_mov_b32 v3, v1
	v_mov_b32_e32 v4, v1
	scratch_store_b128 off, v[1:4], off offset:496
	s_wait_loadcnt 0x0
	ds_store_b128 v140, v[5:8]
.LBB46_235:
	s_wait_alu 0xfffe
	s_or_b32 exec_lo, exec_lo, s0
	s_wait_storecnt_dscnt 0x0
	s_barrier_signal -1
	s_barrier_wait -1
	global_inv scope:SCOPE_SE
	s_clause 0x8
	scratch_load_b128 v[2:5], off, off offset:512
	scratch_load_b128 v[6:9], off, off offset:528
	;; [unrolled: 1-line block ×9, first 2 shown]
	ds_load_b128 v[38:41], v1 offset:1248
	ds_load_b128 v[42:45], v1 offset:1264
	s_clause 0x1
	scratch_load_b128 v[141:144], off, off offset:496
	scratch_load_b128 v[145:148], off, off offset:656
	s_mov_b32 s0, exec_lo
	s_wait_loadcnt_dscnt 0xa01
	v_mul_f64_e32 v[149:150], v[40:41], v[4:5]
	v_mul_f64_e32 v[4:5], v[38:39], v[4:5]
	s_wait_loadcnt_dscnt 0x900
	v_mul_f64_e32 v[153:154], v[42:43], v[8:9]
	v_mul_f64_e32 v[8:9], v[44:45], v[8:9]
	s_delay_alu instid0(VALU_DEP_4) | instskip(NEXT) | instid1(VALU_DEP_4)
	v_fma_f64 v[155:156], v[38:39], v[2:3], -v[149:150]
	v_fma_f64 v[157:158], v[40:41], v[2:3], v[4:5]
	ds_load_b128 v[2:5], v1 offset:1280
	ds_load_b128 v[149:152], v1 offset:1296
	scratch_load_b128 v[38:41], off, off offset:672
	v_fma_f64 v[44:45], v[44:45], v[6:7], v[153:154]
	v_fma_f64 v[42:43], v[42:43], v[6:7], -v[8:9]
	scratch_load_b128 v[6:9], off, off offset:688
	s_wait_loadcnt_dscnt 0xa01
	v_mul_f64_e32 v[159:160], v[2:3], v[12:13]
	v_mul_f64_e32 v[12:13], v[4:5], v[12:13]
	v_add_f64_e32 v[153:154], 0, v[155:156]
	v_add_f64_e32 v[155:156], 0, v[157:158]
	s_wait_loadcnt_dscnt 0x900
	v_mul_f64_e32 v[157:158], v[149:150], v[16:17]
	v_mul_f64_e32 v[16:17], v[151:152], v[16:17]
	v_fma_f64 v[159:160], v[4:5], v[10:11], v[159:160]
	v_fma_f64 v[161:162], v[2:3], v[10:11], -v[12:13]
	ds_load_b128 v[2:5], v1 offset:1312
	scratch_load_b128 v[10:13], off, off offset:704
	v_add_f64_e32 v[153:154], v[153:154], v[42:43]
	v_add_f64_e32 v[155:156], v[155:156], v[44:45]
	ds_load_b128 v[42:45], v1 offset:1328
	v_fma_f64 v[151:152], v[151:152], v[14:15], v[157:158]
	v_fma_f64 v[149:150], v[149:150], v[14:15], -v[16:17]
	scratch_load_b128 v[14:17], off, off offset:720
	s_wait_loadcnt_dscnt 0xa01
	v_mul_f64_e32 v[163:164], v[2:3], v[20:21]
	v_mul_f64_e32 v[20:21], v[4:5], v[20:21]
	s_wait_loadcnt_dscnt 0x900
	v_mul_f64_e32 v[157:158], v[42:43], v[24:25]
	v_mul_f64_e32 v[24:25], v[44:45], v[24:25]
	v_add_f64_e32 v[153:154], v[153:154], v[161:162]
	v_add_f64_e32 v[155:156], v[155:156], v[159:160]
	v_fma_f64 v[159:160], v[4:5], v[18:19], v[163:164]
	v_fma_f64 v[161:162], v[2:3], v[18:19], -v[20:21]
	ds_load_b128 v[2:5], v1 offset:1344
	scratch_load_b128 v[18:21], off, off offset:736
	v_fma_f64 v[44:45], v[44:45], v[22:23], v[157:158]
	v_fma_f64 v[42:43], v[42:43], v[22:23], -v[24:25]
	scratch_load_b128 v[22:25], off, off offset:752
	v_add_f64_e32 v[153:154], v[153:154], v[149:150]
	v_add_f64_e32 v[155:156], v[155:156], v[151:152]
	ds_load_b128 v[149:152], v1 offset:1360
	s_wait_loadcnt_dscnt 0xa01
	v_mul_f64_e32 v[163:164], v[2:3], v[28:29]
	v_mul_f64_e32 v[28:29], v[4:5], v[28:29]
	s_wait_loadcnt_dscnt 0x900
	v_mul_f64_e32 v[157:158], v[149:150], v[32:33]
	v_mul_f64_e32 v[32:33], v[151:152], v[32:33]
	v_add_f64_e32 v[153:154], v[153:154], v[161:162]
	v_add_f64_e32 v[155:156], v[155:156], v[159:160]
	v_fma_f64 v[159:160], v[4:5], v[26:27], v[163:164]
	v_fma_f64 v[161:162], v[2:3], v[26:27], -v[28:29]
	ds_load_b128 v[2:5], v1 offset:1376
	ds_load_b128 v[26:29], v1 offset:1392
	v_fma_f64 v[151:152], v[151:152], v[30:31], v[157:158]
	v_fma_f64 v[30:31], v[149:150], v[30:31], -v[32:33]
	v_add_f64_e32 v[42:43], v[153:154], v[42:43]
	v_add_f64_e32 v[44:45], v[155:156], v[44:45]
	s_wait_loadcnt_dscnt 0x801
	v_mul_f64_e32 v[153:154], v[2:3], v[36:37]
	v_mul_f64_e32 v[36:37], v[4:5], v[36:37]
	s_delay_alu instid0(VALU_DEP_4) | instskip(NEXT) | instid1(VALU_DEP_4)
	v_add_f64_e32 v[32:33], v[42:43], v[161:162]
	v_add_f64_e32 v[42:43], v[44:45], v[159:160]
	s_wait_loadcnt_dscnt 0x600
	v_mul_f64_e32 v[44:45], v[26:27], v[147:148]
	v_mul_f64_e32 v[147:148], v[28:29], v[147:148]
	v_fma_f64 v[149:150], v[4:5], v[34:35], v[153:154]
	v_fma_f64 v[34:35], v[2:3], v[34:35], -v[36:37]
	v_add_f64_e32 v[36:37], v[32:33], v[30:31]
	v_add_f64_e32 v[42:43], v[42:43], v[151:152]
	ds_load_b128 v[2:5], v1 offset:1408
	ds_load_b128 v[30:33], v1 offset:1424
	v_fma_f64 v[28:29], v[28:29], v[145:146], v[44:45]
	v_fma_f64 v[26:27], v[26:27], v[145:146], -v[147:148]
	s_wait_loadcnt_dscnt 0x501
	v_mul_f64_e32 v[151:152], v[2:3], v[40:41]
	v_mul_f64_e32 v[40:41], v[4:5], v[40:41]
	v_add_f64_e32 v[34:35], v[36:37], v[34:35]
	v_add_f64_e32 v[36:37], v[42:43], v[149:150]
	s_wait_loadcnt_dscnt 0x400
	v_mul_f64_e32 v[42:43], v[30:31], v[8:9]
	v_mul_f64_e32 v[8:9], v[32:33], v[8:9]
	v_fma_f64 v[44:45], v[4:5], v[38:39], v[151:152]
	v_fma_f64 v[38:39], v[2:3], v[38:39], -v[40:41]
	v_add_f64_e32 v[34:35], v[34:35], v[26:27]
	v_add_f64_e32 v[36:37], v[36:37], v[28:29]
	ds_load_b128 v[2:5], v1 offset:1440
	ds_load_b128 v[26:29], v1 offset:1456
	v_fma_f64 v[32:33], v[32:33], v[6:7], v[42:43]
	v_fma_f64 v[6:7], v[30:31], v[6:7], -v[8:9]
	s_wait_loadcnt_dscnt 0x301
	v_mul_f64_e32 v[40:41], v[2:3], v[12:13]
	v_mul_f64_e32 v[12:13], v[4:5], v[12:13]
	;; [unrolled: 16-line block ×3, first 2 shown]
	s_wait_loadcnt_dscnt 0x0
	v_mul_f64_e32 v[16:17], v[6:7], v[24:25]
	v_mul_f64_e32 v[24:25], v[8:9], v[24:25]
	v_add_f64_e32 v[10:11], v[12:13], v[10:11]
	v_add_f64_e32 v[12:13], v[30:31], v[36:37]
	v_fma_f64 v[4:5], v[4:5], v[18:19], v[32:33]
	v_fma_f64 v[1:2], v[2:3], v[18:19], -v[20:21]
	v_fma_f64 v[8:9], v[8:9], v[22:23], v[16:17]
	v_fma_f64 v[6:7], v[6:7], v[22:23], -v[24:25]
	v_add_f64_e32 v[10:11], v[10:11], v[14:15]
	v_add_f64_e32 v[12:13], v[12:13], v[28:29]
	s_delay_alu instid0(VALU_DEP_2) | instskip(NEXT) | instid1(VALU_DEP_2)
	v_add_f64_e32 v[1:2], v[10:11], v[1:2]
	v_add_f64_e32 v[3:4], v[12:13], v[4:5]
	s_delay_alu instid0(VALU_DEP_2) | instskip(NEXT) | instid1(VALU_DEP_2)
	;; [unrolled: 3-line block ×3, first 2 shown]
	v_add_f64_e64 v[1:2], v[141:142], -v[1:2]
	v_add_f64_e64 v[3:4], v[143:144], -v[3:4]
	scratch_store_b128 off, v[1:4], off offset:496
	v_cmpx_lt_u32_e32 29, v0
	s_cbranch_execz .LBB46_237
; %bb.236:
	scratch_load_b128 v[1:4], off, s30
	v_mov_b32_e32 v5, 0
	s_delay_alu instid0(VALU_DEP_1)
	v_dual_mov_b32 v6, v5 :: v_dual_mov_b32 v7, v5
	v_mov_b32_e32 v8, v5
	scratch_store_b128 off, v[5:8], off offset:480
	s_wait_loadcnt 0x0
	ds_store_b128 v140, v[1:4]
.LBB46_237:
	s_wait_alu 0xfffe
	s_or_b32 exec_lo, exec_lo, s0
	s_wait_storecnt_dscnt 0x0
	s_barrier_signal -1
	s_barrier_wait -1
	global_inv scope:SCOPE_SE
	s_clause 0x7
	scratch_load_b128 v[2:5], off, off offset:496
	scratch_load_b128 v[6:9], off, off offset:512
	;; [unrolled: 1-line block ×8, first 2 shown]
	v_mov_b32_e32 v1, 0
	s_mov_b32 s0, exec_lo
	ds_load_b128 v[34:37], v1 offset:1232
	s_clause 0x1
	scratch_load_b128 v[38:41], off, off offset:624
	scratch_load_b128 v[42:45], off, off offset:480
	ds_load_b128 v[141:144], v1 offset:1248
	scratch_load_b128 v[145:148], off, off offset:640
	s_wait_loadcnt_dscnt 0xa01
	v_mul_f64_e32 v[149:150], v[36:37], v[4:5]
	v_mul_f64_e32 v[4:5], v[34:35], v[4:5]
	s_delay_alu instid0(VALU_DEP_2) | instskip(NEXT) | instid1(VALU_DEP_2)
	v_fma_f64 v[155:156], v[34:35], v[2:3], -v[149:150]
	v_fma_f64 v[157:158], v[36:37], v[2:3], v[4:5]
	ds_load_b128 v[2:5], v1 offset:1264
	s_wait_loadcnt_dscnt 0x901
	v_mul_f64_e32 v[153:154], v[141:142], v[8:9]
	v_mul_f64_e32 v[8:9], v[143:144], v[8:9]
	scratch_load_b128 v[34:37], off, off offset:656
	ds_load_b128 v[149:152], v1 offset:1280
	s_wait_loadcnt_dscnt 0x901
	v_mul_f64_e32 v[159:160], v[2:3], v[12:13]
	v_mul_f64_e32 v[12:13], v[4:5], v[12:13]
	v_fma_f64 v[143:144], v[143:144], v[6:7], v[153:154]
	v_fma_f64 v[141:142], v[141:142], v[6:7], -v[8:9]
	v_add_f64_e32 v[153:154], 0, v[155:156]
	v_add_f64_e32 v[155:156], 0, v[157:158]
	scratch_load_b128 v[6:9], off, off offset:672
	v_fma_f64 v[159:160], v[4:5], v[10:11], v[159:160]
	v_fma_f64 v[161:162], v[2:3], v[10:11], -v[12:13]
	ds_load_b128 v[2:5], v1 offset:1296
	s_wait_loadcnt_dscnt 0x901
	v_mul_f64_e32 v[157:158], v[149:150], v[16:17]
	v_mul_f64_e32 v[16:17], v[151:152], v[16:17]
	scratch_load_b128 v[10:13], off, off offset:688
	v_add_f64_e32 v[153:154], v[153:154], v[141:142]
	v_add_f64_e32 v[155:156], v[155:156], v[143:144]
	s_wait_loadcnt_dscnt 0x900
	v_mul_f64_e32 v[163:164], v[2:3], v[20:21]
	v_mul_f64_e32 v[20:21], v[4:5], v[20:21]
	ds_load_b128 v[141:144], v1 offset:1312
	v_fma_f64 v[151:152], v[151:152], v[14:15], v[157:158]
	v_fma_f64 v[149:150], v[149:150], v[14:15], -v[16:17]
	scratch_load_b128 v[14:17], off, off offset:704
	v_add_f64_e32 v[153:154], v[153:154], v[161:162]
	v_add_f64_e32 v[155:156], v[155:156], v[159:160]
	v_fma_f64 v[159:160], v[4:5], v[18:19], v[163:164]
	v_fma_f64 v[161:162], v[2:3], v[18:19], -v[20:21]
	ds_load_b128 v[2:5], v1 offset:1328
	s_wait_loadcnt_dscnt 0x901
	v_mul_f64_e32 v[157:158], v[141:142], v[24:25]
	v_mul_f64_e32 v[24:25], v[143:144], v[24:25]
	scratch_load_b128 v[18:21], off, off offset:720
	s_wait_loadcnt_dscnt 0x900
	v_mul_f64_e32 v[163:164], v[2:3], v[28:29]
	v_mul_f64_e32 v[28:29], v[4:5], v[28:29]
	v_add_f64_e32 v[153:154], v[153:154], v[149:150]
	v_add_f64_e32 v[155:156], v[155:156], v[151:152]
	ds_load_b128 v[149:152], v1 offset:1344
	v_fma_f64 v[143:144], v[143:144], v[22:23], v[157:158]
	v_fma_f64 v[141:142], v[141:142], v[22:23], -v[24:25]
	scratch_load_b128 v[22:25], off, off offset:736
	v_add_f64_e32 v[153:154], v[153:154], v[161:162]
	v_add_f64_e32 v[155:156], v[155:156], v[159:160]
	v_fma_f64 v[159:160], v[4:5], v[26:27], v[163:164]
	v_fma_f64 v[161:162], v[2:3], v[26:27], -v[28:29]
	ds_load_b128 v[2:5], v1 offset:1360
	s_wait_loadcnt_dscnt 0x901
	v_mul_f64_e32 v[157:158], v[149:150], v[32:33]
	v_mul_f64_e32 v[32:33], v[151:152], v[32:33]
	scratch_load_b128 v[26:29], off, off offset:752
	s_wait_loadcnt_dscnt 0x900
	v_mul_f64_e32 v[163:164], v[2:3], v[40:41]
	v_mul_f64_e32 v[40:41], v[4:5], v[40:41]
	v_add_f64_e32 v[153:154], v[153:154], v[141:142]
	v_add_f64_e32 v[155:156], v[155:156], v[143:144]
	ds_load_b128 v[141:144], v1 offset:1376
	v_fma_f64 v[151:152], v[151:152], v[30:31], v[157:158]
	v_fma_f64 v[30:31], v[149:150], v[30:31], -v[32:33]
	v_add_f64_e32 v[32:33], v[153:154], v[161:162]
	v_add_f64_e32 v[149:150], v[155:156], v[159:160]
	s_wait_loadcnt_dscnt 0x700
	v_mul_f64_e32 v[153:154], v[141:142], v[147:148]
	v_mul_f64_e32 v[147:148], v[143:144], v[147:148]
	v_fma_f64 v[155:156], v[4:5], v[38:39], v[163:164]
	v_fma_f64 v[38:39], v[2:3], v[38:39], -v[40:41]
	v_add_f64_e32 v[40:41], v[32:33], v[30:31]
	v_add_f64_e32 v[149:150], v[149:150], v[151:152]
	ds_load_b128 v[2:5], v1 offset:1392
	ds_load_b128 v[30:33], v1 offset:1408
	v_fma_f64 v[143:144], v[143:144], v[145:146], v[153:154]
	v_fma_f64 v[141:142], v[141:142], v[145:146], -v[147:148]
	s_wait_loadcnt_dscnt 0x601
	v_mul_f64_e32 v[151:152], v[2:3], v[36:37]
	v_mul_f64_e32 v[36:37], v[4:5], v[36:37]
	v_add_f64_e32 v[38:39], v[40:41], v[38:39]
	v_add_f64_e32 v[40:41], v[149:150], v[155:156]
	s_wait_loadcnt_dscnt 0x500
	v_mul_f64_e32 v[145:146], v[30:31], v[8:9]
	v_mul_f64_e32 v[8:9], v[32:33], v[8:9]
	v_fma_f64 v[147:148], v[4:5], v[34:35], v[151:152]
	v_fma_f64 v[149:150], v[2:3], v[34:35], -v[36:37]
	ds_load_b128 v[2:5], v1 offset:1424
	ds_load_b128 v[34:37], v1 offset:1440
	v_add_f64_e32 v[38:39], v[38:39], v[141:142]
	v_add_f64_e32 v[40:41], v[40:41], v[143:144]
	s_wait_loadcnt_dscnt 0x401
	v_mul_f64_e32 v[141:142], v[2:3], v[12:13]
	v_mul_f64_e32 v[12:13], v[4:5], v[12:13]
	v_fma_f64 v[32:33], v[32:33], v[6:7], v[145:146]
	v_fma_f64 v[6:7], v[30:31], v[6:7], -v[8:9]
	v_add_f64_e32 v[8:9], v[38:39], v[149:150]
	v_add_f64_e32 v[30:31], v[40:41], v[147:148]
	s_wait_loadcnt_dscnt 0x300
	v_mul_f64_e32 v[38:39], v[34:35], v[16:17]
	v_mul_f64_e32 v[16:17], v[36:37], v[16:17]
	v_fma_f64 v[40:41], v[4:5], v[10:11], v[141:142]
	v_fma_f64 v[10:11], v[2:3], v[10:11], -v[12:13]
	v_add_f64_e32 v[12:13], v[8:9], v[6:7]
	v_add_f64_e32 v[30:31], v[30:31], v[32:33]
	ds_load_b128 v[2:5], v1 offset:1456
	ds_load_b128 v[6:9], v1 offset:1472
	v_fma_f64 v[36:37], v[36:37], v[14:15], v[38:39]
	v_fma_f64 v[14:15], v[34:35], v[14:15], -v[16:17]
	s_wait_loadcnt_dscnt 0x201
	v_mul_f64_e32 v[32:33], v[2:3], v[20:21]
	v_mul_f64_e32 v[20:21], v[4:5], v[20:21]
	s_wait_loadcnt_dscnt 0x100
	v_mul_f64_e32 v[16:17], v[6:7], v[24:25]
	v_mul_f64_e32 v[24:25], v[8:9], v[24:25]
	v_add_f64_e32 v[10:11], v[12:13], v[10:11]
	v_add_f64_e32 v[12:13], v[30:31], v[40:41]
	v_fma_f64 v[30:31], v[4:5], v[18:19], v[32:33]
	v_fma_f64 v[18:19], v[2:3], v[18:19], -v[20:21]
	ds_load_b128 v[2:5], v1 offset:1488
	v_fma_f64 v[8:9], v[8:9], v[22:23], v[16:17]
	v_fma_f64 v[6:7], v[6:7], v[22:23], -v[24:25]
	v_add_f64_e32 v[10:11], v[10:11], v[14:15]
	v_add_f64_e32 v[12:13], v[12:13], v[36:37]
	s_wait_loadcnt_dscnt 0x0
	v_mul_f64_e32 v[14:15], v[2:3], v[28:29]
	v_mul_f64_e32 v[20:21], v[4:5], v[28:29]
	s_delay_alu instid0(VALU_DEP_4) | instskip(NEXT) | instid1(VALU_DEP_4)
	v_add_f64_e32 v[10:11], v[10:11], v[18:19]
	v_add_f64_e32 v[12:13], v[12:13], v[30:31]
	s_delay_alu instid0(VALU_DEP_4) | instskip(NEXT) | instid1(VALU_DEP_4)
	v_fma_f64 v[4:5], v[4:5], v[26:27], v[14:15]
	v_fma_f64 v[2:3], v[2:3], v[26:27], -v[20:21]
	s_delay_alu instid0(VALU_DEP_4) | instskip(NEXT) | instid1(VALU_DEP_4)
	v_add_f64_e32 v[6:7], v[10:11], v[6:7]
	v_add_f64_e32 v[8:9], v[12:13], v[8:9]
	s_delay_alu instid0(VALU_DEP_2) | instskip(NEXT) | instid1(VALU_DEP_2)
	v_add_f64_e32 v[2:3], v[6:7], v[2:3]
	v_add_f64_e32 v[4:5], v[8:9], v[4:5]
	s_delay_alu instid0(VALU_DEP_2) | instskip(NEXT) | instid1(VALU_DEP_2)
	v_add_f64_e64 v[2:3], v[42:43], -v[2:3]
	v_add_f64_e64 v[4:5], v[44:45], -v[4:5]
	scratch_store_b128 off, v[2:5], off offset:480
	v_cmpx_lt_u32_e32 28, v0
	s_cbranch_execz .LBB46_239
; %bb.238:
	scratch_load_b128 v[5:8], off, s31
	v_dual_mov_b32 v2, v1 :: v_dual_mov_b32 v3, v1
	v_mov_b32_e32 v4, v1
	scratch_store_b128 off, v[1:4], off offset:464
	s_wait_loadcnt 0x0
	ds_store_b128 v140, v[5:8]
.LBB46_239:
	s_wait_alu 0xfffe
	s_or_b32 exec_lo, exec_lo, s0
	s_wait_storecnt_dscnt 0x0
	s_barrier_signal -1
	s_barrier_wait -1
	global_inv scope:SCOPE_SE
	s_clause 0x8
	scratch_load_b128 v[2:5], off, off offset:480
	scratch_load_b128 v[6:9], off, off offset:496
	;; [unrolled: 1-line block ×9, first 2 shown]
	ds_load_b128 v[38:41], v1 offset:1216
	ds_load_b128 v[42:45], v1 offset:1232
	s_clause 0x1
	scratch_load_b128 v[141:144], off, off offset:464
	scratch_load_b128 v[145:148], off, off offset:624
	s_mov_b32 s0, exec_lo
	s_wait_loadcnt_dscnt 0xa01
	v_mul_f64_e32 v[149:150], v[40:41], v[4:5]
	v_mul_f64_e32 v[4:5], v[38:39], v[4:5]
	s_wait_loadcnt_dscnt 0x900
	v_mul_f64_e32 v[153:154], v[42:43], v[8:9]
	v_mul_f64_e32 v[8:9], v[44:45], v[8:9]
	s_delay_alu instid0(VALU_DEP_4) | instskip(NEXT) | instid1(VALU_DEP_4)
	v_fma_f64 v[155:156], v[38:39], v[2:3], -v[149:150]
	v_fma_f64 v[157:158], v[40:41], v[2:3], v[4:5]
	ds_load_b128 v[2:5], v1 offset:1248
	ds_load_b128 v[149:152], v1 offset:1264
	scratch_load_b128 v[38:41], off, off offset:640
	v_fma_f64 v[44:45], v[44:45], v[6:7], v[153:154]
	v_fma_f64 v[42:43], v[42:43], v[6:7], -v[8:9]
	scratch_load_b128 v[6:9], off, off offset:656
	s_wait_loadcnt_dscnt 0xa01
	v_mul_f64_e32 v[159:160], v[2:3], v[12:13]
	v_mul_f64_e32 v[12:13], v[4:5], v[12:13]
	v_add_f64_e32 v[153:154], 0, v[155:156]
	v_add_f64_e32 v[155:156], 0, v[157:158]
	s_wait_loadcnt_dscnt 0x900
	v_mul_f64_e32 v[157:158], v[149:150], v[16:17]
	v_mul_f64_e32 v[16:17], v[151:152], v[16:17]
	v_fma_f64 v[159:160], v[4:5], v[10:11], v[159:160]
	v_fma_f64 v[161:162], v[2:3], v[10:11], -v[12:13]
	ds_load_b128 v[2:5], v1 offset:1280
	scratch_load_b128 v[10:13], off, off offset:672
	v_add_f64_e32 v[153:154], v[153:154], v[42:43]
	v_add_f64_e32 v[155:156], v[155:156], v[44:45]
	ds_load_b128 v[42:45], v1 offset:1296
	v_fma_f64 v[151:152], v[151:152], v[14:15], v[157:158]
	v_fma_f64 v[149:150], v[149:150], v[14:15], -v[16:17]
	scratch_load_b128 v[14:17], off, off offset:688
	s_wait_loadcnt_dscnt 0xa01
	v_mul_f64_e32 v[163:164], v[2:3], v[20:21]
	v_mul_f64_e32 v[20:21], v[4:5], v[20:21]
	s_wait_loadcnt_dscnt 0x900
	v_mul_f64_e32 v[157:158], v[42:43], v[24:25]
	v_mul_f64_e32 v[24:25], v[44:45], v[24:25]
	v_add_f64_e32 v[153:154], v[153:154], v[161:162]
	v_add_f64_e32 v[155:156], v[155:156], v[159:160]
	v_fma_f64 v[159:160], v[4:5], v[18:19], v[163:164]
	v_fma_f64 v[161:162], v[2:3], v[18:19], -v[20:21]
	ds_load_b128 v[2:5], v1 offset:1312
	scratch_load_b128 v[18:21], off, off offset:704
	v_fma_f64 v[44:45], v[44:45], v[22:23], v[157:158]
	v_fma_f64 v[42:43], v[42:43], v[22:23], -v[24:25]
	scratch_load_b128 v[22:25], off, off offset:720
	v_add_f64_e32 v[153:154], v[153:154], v[149:150]
	v_add_f64_e32 v[155:156], v[155:156], v[151:152]
	ds_load_b128 v[149:152], v1 offset:1328
	s_wait_loadcnt_dscnt 0xa01
	v_mul_f64_e32 v[163:164], v[2:3], v[28:29]
	v_mul_f64_e32 v[28:29], v[4:5], v[28:29]
	s_wait_loadcnt_dscnt 0x900
	v_mul_f64_e32 v[157:158], v[149:150], v[32:33]
	v_mul_f64_e32 v[32:33], v[151:152], v[32:33]
	v_add_f64_e32 v[153:154], v[153:154], v[161:162]
	v_add_f64_e32 v[155:156], v[155:156], v[159:160]
	v_fma_f64 v[159:160], v[4:5], v[26:27], v[163:164]
	v_fma_f64 v[161:162], v[2:3], v[26:27], -v[28:29]
	ds_load_b128 v[2:5], v1 offset:1344
	scratch_load_b128 v[26:29], off, off offset:736
	v_fma_f64 v[151:152], v[151:152], v[30:31], v[157:158]
	v_fma_f64 v[149:150], v[149:150], v[30:31], -v[32:33]
	scratch_load_b128 v[30:33], off, off offset:752
	v_add_f64_e32 v[153:154], v[153:154], v[42:43]
	v_add_f64_e32 v[155:156], v[155:156], v[44:45]
	ds_load_b128 v[42:45], v1 offset:1360
	s_wait_loadcnt_dscnt 0xa01
	v_mul_f64_e32 v[163:164], v[2:3], v[36:37]
	v_mul_f64_e32 v[36:37], v[4:5], v[36:37]
	s_wait_loadcnt_dscnt 0x800
	v_mul_f64_e32 v[157:158], v[42:43], v[147:148]
	v_mul_f64_e32 v[147:148], v[44:45], v[147:148]
	v_add_f64_e32 v[153:154], v[153:154], v[161:162]
	v_add_f64_e32 v[155:156], v[155:156], v[159:160]
	v_fma_f64 v[159:160], v[4:5], v[34:35], v[163:164]
	v_fma_f64 v[161:162], v[2:3], v[34:35], -v[36:37]
	ds_load_b128 v[2:5], v1 offset:1376
	ds_load_b128 v[34:37], v1 offset:1392
	v_fma_f64 v[44:45], v[44:45], v[145:146], v[157:158]
	v_fma_f64 v[42:43], v[42:43], v[145:146], -v[147:148]
	v_add_f64_e32 v[149:150], v[153:154], v[149:150]
	v_add_f64_e32 v[151:152], v[155:156], v[151:152]
	s_wait_loadcnt_dscnt 0x701
	v_mul_f64_e32 v[153:154], v[2:3], v[40:41]
	v_mul_f64_e32 v[40:41], v[4:5], v[40:41]
	s_delay_alu instid0(VALU_DEP_4) | instskip(NEXT) | instid1(VALU_DEP_4)
	v_add_f64_e32 v[145:146], v[149:150], v[161:162]
	v_add_f64_e32 v[147:148], v[151:152], v[159:160]
	s_wait_loadcnt_dscnt 0x600
	v_mul_f64_e32 v[149:150], v[34:35], v[8:9]
	v_mul_f64_e32 v[8:9], v[36:37], v[8:9]
	v_fma_f64 v[151:152], v[4:5], v[38:39], v[153:154]
	v_fma_f64 v[153:154], v[2:3], v[38:39], -v[40:41]
	ds_load_b128 v[2:5], v1 offset:1408
	ds_load_b128 v[38:41], v1 offset:1424
	v_add_f64_e32 v[42:43], v[145:146], v[42:43]
	v_add_f64_e32 v[44:45], v[147:148], v[44:45]
	v_fma_f64 v[36:37], v[36:37], v[6:7], v[149:150]
	s_wait_loadcnt_dscnt 0x501
	v_mul_f64_e32 v[145:146], v[2:3], v[12:13]
	v_mul_f64_e32 v[12:13], v[4:5], v[12:13]
	v_fma_f64 v[6:7], v[34:35], v[6:7], -v[8:9]
	v_add_f64_e32 v[8:9], v[42:43], v[153:154]
	v_add_f64_e32 v[34:35], v[44:45], v[151:152]
	s_wait_loadcnt_dscnt 0x400
	v_mul_f64_e32 v[42:43], v[38:39], v[16:17]
	v_mul_f64_e32 v[16:17], v[40:41], v[16:17]
	v_fma_f64 v[44:45], v[4:5], v[10:11], v[145:146]
	v_fma_f64 v[10:11], v[2:3], v[10:11], -v[12:13]
	v_add_f64_e32 v[12:13], v[8:9], v[6:7]
	v_add_f64_e32 v[34:35], v[34:35], v[36:37]
	ds_load_b128 v[2:5], v1 offset:1440
	ds_load_b128 v[6:9], v1 offset:1456
	v_fma_f64 v[40:41], v[40:41], v[14:15], v[42:43]
	v_fma_f64 v[14:15], v[38:39], v[14:15], -v[16:17]
	s_wait_loadcnt_dscnt 0x301
	v_mul_f64_e32 v[36:37], v[2:3], v[20:21]
	v_mul_f64_e32 v[20:21], v[4:5], v[20:21]
	s_wait_loadcnt_dscnt 0x200
	v_mul_f64_e32 v[16:17], v[6:7], v[24:25]
	v_mul_f64_e32 v[24:25], v[8:9], v[24:25]
	v_add_f64_e32 v[10:11], v[12:13], v[10:11]
	v_add_f64_e32 v[12:13], v[34:35], v[44:45]
	v_fma_f64 v[34:35], v[4:5], v[18:19], v[36:37]
	v_fma_f64 v[18:19], v[2:3], v[18:19], -v[20:21]
	v_fma_f64 v[8:9], v[8:9], v[22:23], v[16:17]
	v_fma_f64 v[6:7], v[6:7], v[22:23], -v[24:25]
	v_add_f64_e32 v[14:15], v[10:11], v[14:15]
	v_add_f64_e32 v[20:21], v[12:13], v[40:41]
	ds_load_b128 v[2:5], v1 offset:1472
	ds_load_b128 v[10:13], v1 offset:1488
	s_wait_loadcnt_dscnt 0x101
	v_mul_f64_e32 v[36:37], v[2:3], v[28:29]
	v_mul_f64_e32 v[28:29], v[4:5], v[28:29]
	v_add_f64_e32 v[14:15], v[14:15], v[18:19]
	v_add_f64_e32 v[16:17], v[20:21], v[34:35]
	s_wait_loadcnt_dscnt 0x0
	v_mul_f64_e32 v[18:19], v[10:11], v[32:33]
	v_mul_f64_e32 v[20:21], v[12:13], v[32:33]
	v_fma_f64 v[4:5], v[4:5], v[26:27], v[36:37]
	v_fma_f64 v[1:2], v[2:3], v[26:27], -v[28:29]
	v_add_f64_e32 v[6:7], v[14:15], v[6:7]
	v_add_f64_e32 v[8:9], v[16:17], v[8:9]
	v_fma_f64 v[12:13], v[12:13], v[30:31], v[18:19]
	v_fma_f64 v[10:11], v[10:11], v[30:31], -v[20:21]
	s_delay_alu instid0(VALU_DEP_4) | instskip(NEXT) | instid1(VALU_DEP_4)
	v_add_f64_e32 v[1:2], v[6:7], v[1:2]
	v_add_f64_e32 v[3:4], v[8:9], v[4:5]
	s_delay_alu instid0(VALU_DEP_2) | instskip(NEXT) | instid1(VALU_DEP_2)
	v_add_f64_e32 v[1:2], v[1:2], v[10:11]
	v_add_f64_e32 v[3:4], v[3:4], v[12:13]
	s_delay_alu instid0(VALU_DEP_2) | instskip(NEXT) | instid1(VALU_DEP_2)
	v_add_f64_e64 v[1:2], v[141:142], -v[1:2]
	v_add_f64_e64 v[3:4], v[143:144], -v[3:4]
	scratch_store_b128 off, v[1:4], off offset:464
	v_cmpx_lt_u32_e32 27, v0
	s_cbranch_execz .LBB46_241
; %bb.240:
	scratch_load_b128 v[1:4], off, s33
	v_mov_b32_e32 v5, 0
	s_delay_alu instid0(VALU_DEP_1)
	v_dual_mov_b32 v6, v5 :: v_dual_mov_b32 v7, v5
	v_mov_b32_e32 v8, v5
	scratch_store_b128 off, v[5:8], off offset:448
	s_wait_loadcnt 0x0
	ds_store_b128 v140, v[1:4]
.LBB46_241:
	s_wait_alu 0xfffe
	s_or_b32 exec_lo, exec_lo, s0
	s_wait_storecnt_dscnt 0x0
	s_barrier_signal -1
	s_barrier_wait -1
	global_inv scope:SCOPE_SE
	s_clause 0x7
	scratch_load_b128 v[2:5], off, off offset:464
	scratch_load_b128 v[6:9], off, off offset:480
	;; [unrolled: 1-line block ×8, first 2 shown]
	v_mov_b32_e32 v1, 0
	s_mov_b32 s0, exec_lo
	ds_load_b128 v[34:37], v1 offset:1200
	s_clause 0x1
	scratch_load_b128 v[38:41], off, off offset:592
	scratch_load_b128 v[42:45], off, off offset:448
	ds_load_b128 v[141:144], v1 offset:1216
	scratch_load_b128 v[145:148], off, off offset:608
	s_wait_loadcnt_dscnt 0xa01
	v_mul_f64_e32 v[149:150], v[36:37], v[4:5]
	v_mul_f64_e32 v[4:5], v[34:35], v[4:5]
	s_delay_alu instid0(VALU_DEP_2) | instskip(NEXT) | instid1(VALU_DEP_2)
	v_fma_f64 v[155:156], v[34:35], v[2:3], -v[149:150]
	v_fma_f64 v[157:158], v[36:37], v[2:3], v[4:5]
	ds_load_b128 v[2:5], v1 offset:1232
	s_wait_loadcnt_dscnt 0x901
	v_mul_f64_e32 v[153:154], v[141:142], v[8:9]
	v_mul_f64_e32 v[8:9], v[143:144], v[8:9]
	scratch_load_b128 v[34:37], off, off offset:624
	ds_load_b128 v[149:152], v1 offset:1248
	s_wait_loadcnt_dscnt 0x901
	v_mul_f64_e32 v[159:160], v[2:3], v[12:13]
	v_mul_f64_e32 v[12:13], v[4:5], v[12:13]
	v_fma_f64 v[143:144], v[143:144], v[6:7], v[153:154]
	v_fma_f64 v[141:142], v[141:142], v[6:7], -v[8:9]
	v_add_f64_e32 v[153:154], 0, v[155:156]
	v_add_f64_e32 v[155:156], 0, v[157:158]
	scratch_load_b128 v[6:9], off, off offset:640
	v_fma_f64 v[159:160], v[4:5], v[10:11], v[159:160]
	v_fma_f64 v[161:162], v[2:3], v[10:11], -v[12:13]
	ds_load_b128 v[2:5], v1 offset:1264
	s_wait_loadcnt_dscnt 0x901
	v_mul_f64_e32 v[157:158], v[149:150], v[16:17]
	v_mul_f64_e32 v[16:17], v[151:152], v[16:17]
	scratch_load_b128 v[10:13], off, off offset:656
	v_add_f64_e32 v[153:154], v[153:154], v[141:142]
	v_add_f64_e32 v[155:156], v[155:156], v[143:144]
	s_wait_loadcnt_dscnt 0x900
	v_mul_f64_e32 v[163:164], v[2:3], v[20:21]
	v_mul_f64_e32 v[20:21], v[4:5], v[20:21]
	ds_load_b128 v[141:144], v1 offset:1280
	v_fma_f64 v[151:152], v[151:152], v[14:15], v[157:158]
	v_fma_f64 v[149:150], v[149:150], v[14:15], -v[16:17]
	scratch_load_b128 v[14:17], off, off offset:672
	v_add_f64_e32 v[153:154], v[153:154], v[161:162]
	v_add_f64_e32 v[155:156], v[155:156], v[159:160]
	v_fma_f64 v[159:160], v[4:5], v[18:19], v[163:164]
	v_fma_f64 v[161:162], v[2:3], v[18:19], -v[20:21]
	ds_load_b128 v[2:5], v1 offset:1296
	s_wait_loadcnt_dscnt 0x901
	v_mul_f64_e32 v[157:158], v[141:142], v[24:25]
	v_mul_f64_e32 v[24:25], v[143:144], v[24:25]
	scratch_load_b128 v[18:21], off, off offset:688
	s_wait_loadcnt_dscnt 0x900
	v_mul_f64_e32 v[163:164], v[2:3], v[28:29]
	v_mul_f64_e32 v[28:29], v[4:5], v[28:29]
	v_add_f64_e32 v[153:154], v[153:154], v[149:150]
	v_add_f64_e32 v[155:156], v[155:156], v[151:152]
	ds_load_b128 v[149:152], v1 offset:1312
	v_fma_f64 v[143:144], v[143:144], v[22:23], v[157:158]
	v_fma_f64 v[141:142], v[141:142], v[22:23], -v[24:25]
	scratch_load_b128 v[22:25], off, off offset:704
	v_add_f64_e32 v[153:154], v[153:154], v[161:162]
	v_add_f64_e32 v[155:156], v[155:156], v[159:160]
	v_fma_f64 v[159:160], v[4:5], v[26:27], v[163:164]
	v_fma_f64 v[161:162], v[2:3], v[26:27], -v[28:29]
	ds_load_b128 v[2:5], v1 offset:1328
	s_wait_loadcnt_dscnt 0x901
	v_mul_f64_e32 v[157:158], v[149:150], v[32:33]
	v_mul_f64_e32 v[32:33], v[151:152], v[32:33]
	scratch_load_b128 v[26:29], off, off offset:720
	s_wait_loadcnt_dscnt 0x900
	v_mul_f64_e32 v[163:164], v[2:3], v[40:41]
	v_mul_f64_e32 v[40:41], v[4:5], v[40:41]
	v_add_f64_e32 v[153:154], v[153:154], v[141:142]
	v_add_f64_e32 v[155:156], v[155:156], v[143:144]
	ds_load_b128 v[141:144], v1 offset:1344
	v_fma_f64 v[151:152], v[151:152], v[30:31], v[157:158]
	v_fma_f64 v[149:150], v[149:150], v[30:31], -v[32:33]
	scratch_load_b128 v[30:33], off, off offset:736
	v_add_f64_e32 v[153:154], v[153:154], v[161:162]
	v_add_f64_e32 v[155:156], v[155:156], v[159:160]
	v_fma_f64 v[161:162], v[4:5], v[38:39], v[163:164]
	v_fma_f64 v[163:164], v[2:3], v[38:39], -v[40:41]
	ds_load_b128 v[2:5], v1 offset:1360
	s_wait_loadcnt_dscnt 0x801
	v_mul_f64_e32 v[157:158], v[141:142], v[147:148]
	v_mul_f64_e32 v[159:160], v[143:144], v[147:148]
	scratch_load_b128 v[38:41], off, off offset:752
	v_add_f64_e32 v[153:154], v[153:154], v[149:150]
	v_add_f64_e32 v[151:152], v[155:156], v[151:152]
	ds_load_b128 v[147:150], v1 offset:1376
	v_fma_f64 v[143:144], v[143:144], v[145:146], v[157:158]
	v_fma_f64 v[141:142], v[141:142], v[145:146], -v[159:160]
	s_wait_loadcnt_dscnt 0x801
	v_mul_f64_e32 v[155:156], v[2:3], v[36:37]
	v_mul_f64_e32 v[36:37], v[4:5], v[36:37]
	v_add_f64_e32 v[145:146], v[153:154], v[163:164]
	v_add_f64_e32 v[151:152], v[151:152], v[161:162]
	s_delay_alu instid0(VALU_DEP_4) | instskip(NEXT) | instid1(VALU_DEP_4)
	v_fma_f64 v[155:156], v[4:5], v[34:35], v[155:156]
	v_fma_f64 v[157:158], v[2:3], v[34:35], -v[36:37]
	s_wait_loadcnt_dscnt 0x700
	v_mul_f64_e32 v[153:154], v[147:148], v[8:9]
	v_mul_f64_e32 v[8:9], v[149:150], v[8:9]
	ds_load_b128 v[2:5], v1 offset:1392
	ds_load_b128 v[34:37], v1 offset:1408
	v_add_f64_e32 v[141:142], v[145:146], v[141:142]
	v_add_f64_e32 v[143:144], v[151:152], v[143:144]
	s_wait_loadcnt_dscnt 0x601
	v_mul_f64_e32 v[145:146], v[2:3], v[12:13]
	v_mul_f64_e32 v[12:13], v[4:5], v[12:13]
	v_fma_f64 v[149:150], v[149:150], v[6:7], v[153:154]
	v_fma_f64 v[6:7], v[147:148], v[6:7], -v[8:9]
	v_add_f64_e32 v[8:9], v[141:142], v[157:158]
	v_add_f64_e32 v[141:142], v[143:144], v[155:156]
	s_wait_loadcnt_dscnt 0x500
	v_mul_f64_e32 v[143:144], v[34:35], v[16:17]
	v_mul_f64_e32 v[16:17], v[36:37], v[16:17]
	v_fma_f64 v[145:146], v[4:5], v[10:11], v[145:146]
	v_fma_f64 v[10:11], v[2:3], v[10:11], -v[12:13]
	v_add_f64_e32 v[12:13], v[8:9], v[6:7]
	v_add_f64_e32 v[141:142], v[141:142], v[149:150]
	ds_load_b128 v[2:5], v1 offset:1424
	ds_load_b128 v[6:9], v1 offset:1440
	v_fma_f64 v[36:37], v[36:37], v[14:15], v[143:144]
	v_fma_f64 v[14:15], v[34:35], v[14:15], -v[16:17]
	s_wait_loadcnt_dscnt 0x401
	v_mul_f64_e32 v[147:148], v[2:3], v[20:21]
	v_mul_f64_e32 v[20:21], v[4:5], v[20:21]
	s_wait_loadcnt_dscnt 0x300
	v_mul_f64_e32 v[16:17], v[6:7], v[24:25]
	v_mul_f64_e32 v[24:25], v[8:9], v[24:25]
	v_add_f64_e32 v[10:11], v[12:13], v[10:11]
	v_add_f64_e32 v[12:13], v[141:142], v[145:146]
	v_fma_f64 v[34:35], v[4:5], v[18:19], v[147:148]
	v_fma_f64 v[18:19], v[2:3], v[18:19], -v[20:21]
	v_fma_f64 v[8:9], v[8:9], v[22:23], v[16:17]
	v_fma_f64 v[6:7], v[6:7], v[22:23], -v[24:25]
	v_add_f64_e32 v[14:15], v[10:11], v[14:15]
	v_add_f64_e32 v[20:21], v[12:13], v[36:37]
	ds_load_b128 v[2:5], v1 offset:1456
	ds_load_b128 v[10:13], v1 offset:1472
	s_wait_loadcnt_dscnt 0x201
	v_mul_f64_e32 v[36:37], v[2:3], v[28:29]
	v_mul_f64_e32 v[28:29], v[4:5], v[28:29]
	v_add_f64_e32 v[14:15], v[14:15], v[18:19]
	v_add_f64_e32 v[16:17], v[20:21], v[34:35]
	s_wait_loadcnt_dscnt 0x100
	v_mul_f64_e32 v[18:19], v[10:11], v[32:33]
	v_mul_f64_e32 v[20:21], v[12:13], v[32:33]
	v_fma_f64 v[22:23], v[4:5], v[26:27], v[36:37]
	v_fma_f64 v[24:25], v[2:3], v[26:27], -v[28:29]
	ds_load_b128 v[2:5], v1 offset:1488
	v_add_f64_e32 v[6:7], v[14:15], v[6:7]
	v_add_f64_e32 v[8:9], v[16:17], v[8:9]
	v_fma_f64 v[12:13], v[12:13], v[30:31], v[18:19]
	v_fma_f64 v[10:11], v[10:11], v[30:31], -v[20:21]
	s_wait_loadcnt_dscnt 0x0
	v_mul_f64_e32 v[14:15], v[2:3], v[40:41]
	v_mul_f64_e32 v[16:17], v[4:5], v[40:41]
	v_add_f64_e32 v[6:7], v[6:7], v[24:25]
	v_add_f64_e32 v[8:9], v[8:9], v[22:23]
	s_delay_alu instid0(VALU_DEP_4) | instskip(NEXT) | instid1(VALU_DEP_4)
	v_fma_f64 v[4:5], v[4:5], v[38:39], v[14:15]
	v_fma_f64 v[2:3], v[2:3], v[38:39], -v[16:17]
	s_delay_alu instid0(VALU_DEP_4) | instskip(NEXT) | instid1(VALU_DEP_4)
	v_add_f64_e32 v[6:7], v[6:7], v[10:11]
	v_add_f64_e32 v[8:9], v[8:9], v[12:13]
	s_delay_alu instid0(VALU_DEP_2) | instskip(NEXT) | instid1(VALU_DEP_2)
	v_add_f64_e32 v[2:3], v[6:7], v[2:3]
	v_add_f64_e32 v[4:5], v[8:9], v[4:5]
	s_delay_alu instid0(VALU_DEP_2) | instskip(NEXT) | instid1(VALU_DEP_2)
	v_add_f64_e64 v[2:3], v[42:43], -v[2:3]
	v_add_f64_e64 v[4:5], v[44:45], -v[4:5]
	scratch_store_b128 off, v[2:5], off offset:448
	v_cmpx_lt_u32_e32 26, v0
	s_cbranch_execz .LBB46_243
; %bb.242:
	scratch_load_b128 v[5:8], off, s34
	v_dual_mov_b32 v2, v1 :: v_dual_mov_b32 v3, v1
	v_mov_b32_e32 v4, v1
	scratch_store_b128 off, v[1:4], off offset:432
	s_wait_loadcnt 0x0
	ds_store_b128 v140, v[5:8]
.LBB46_243:
	s_wait_alu 0xfffe
	s_or_b32 exec_lo, exec_lo, s0
	s_wait_storecnt_dscnt 0x0
	s_barrier_signal -1
	s_barrier_wait -1
	global_inv scope:SCOPE_SE
	s_clause 0x8
	scratch_load_b128 v[2:5], off, off offset:448
	scratch_load_b128 v[6:9], off, off offset:464
	;; [unrolled: 1-line block ×9, first 2 shown]
	ds_load_b128 v[38:41], v1 offset:1184
	ds_load_b128 v[42:45], v1 offset:1200
	s_clause 0x1
	scratch_load_b128 v[141:144], off, off offset:432
	scratch_load_b128 v[145:148], off, off offset:592
	s_mov_b32 s0, exec_lo
	s_wait_loadcnt_dscnt 0xa01
	v_mul_f64_e32 v[149:150], v[40:41], v[4:5]
	v_mul_f64_e32 v[4:5], v[38:39], v[4:5]
	s_wait_loadcnt_dscnt 0x900
	v_mul_f64_e32 v[153:154], v[42:43], v[8:9]
	v_mul_f64_e32 v[8:9], v[44:45], v[8:9]
	s_delay_alu instid0(VALU_DEP_4) | instskip(NEXT) | instid1(VALU_DEP_4)
	v_fma_f64 v[155:156], v[38:39], v[2:3], -v[149:150]
	v_fma_f64 v[157:158], v[40:41], v[2:3], v[4:5]
	ds_load_b128 v[2:5], v1 offset:1216
	ds_load_b128 v[149:152], v1 offset:1232
	scratch_load_b128 v[38:41], off, off offset:608
	v_fma_f64 v[44:45], v[44:45], v[6:7], v[153:154]
	v_fma_f64 v[42:43], v[42:43], v[6:7], -v[8:9]
	scratch_load_b128 v[6:9], off, off offset:624
	s_wait_loadcnt_dscnt 0xa01
	v_mul_f64_e32 v[159:160], v[2:3], v[12:13]
	v_mul_f64_e32 v[12:13], v[4:5], v[12:13]
	v_add_f64_e32 v[153:154], 0, v[155:156]
	v_add_f64_e32 v[155:156], 0, v[157:158]
	s_wait_loadcnt_dscnt 0x900
	v_mul_f64_e32 v[157:158], v[149:150], v[16:17]
	v_mul_f64_e32 v[16:17], v[151:152], v[16:17]
	v_fma_f64 v[159:160], v[4:5], v[10:11], v[159:160]
	v_fma_f64 v[161:162], v[2:3], v[10:11], -v[12:13]
	ds_load_b128 v[2:5], v1 offset:1248
	scratch_load_b128 v[10:13], off, off offset:640
	v_add_f64_e32 v[153:154], v[153:154], v[42:43]
	v_add_f64_e32 v[155:156], v[155:156], v[44:45]
	ds_load_b128 v[42:45], v1 offset:1264
	v_fma_f64 v[151:152], v[151:152], v[14:15], v[157:158]
	v_fma_f64 v[149:150], v[149:150], v[14:15], -v[16:17]
	scratch_load_b128 v[14:17], off, off offset:656
	s_wait_loadcnt_dscnt 0xa01
	v_mul_f64_e32 v[163:164], v[2:3], v[20:21]
	v_mul_f64_e32 v[20:21], v[4:5], v[20:21]
	s_wait_loadcnt_dscnt 0x900
	v_mul_f64_e32 v[157:158], v[42:43], v[24:25]
	v_mul_f64_e32 v[24:25], v[44:45], v[24:25]
	v_add_f64_e32 v[153:154], v[153:154], v[161:162]
	v_add_f64_e32 v[155:156], v[155:156], v[159:160]
	v_fma_f64 v[159:160], v[4:5], v[18:19], v[163:164]
	v_fma_f64 v[161:162], v[2:3], v[18:19], -v[20:21]
	ds_load_b128 v[2:5], v1 offset:1280
	scratch_load_b128 v[18:21], off, off offset:672
	v_fma_f64 v[44:45], v[44:45], v[22:23], v[157:158]
	v_fma_f64 v[42:43], v[42:43], v[22:23], -v[24:25]
	scratch_load_b128 v[22:25], off, off offset:688
	v_add_f64_e32 v[153:154], v[153:154], v[149:150]
	v_add_f64_e32 v[155:156], v[155:156], v[151:152]
	ds_load_b128 v[149:152], v1 offset:1296
	s_wait_loadcnt_dscnt 0xa01
	v_mul_f64_e32 v[163:164], v[2:3], v[28:29]
	v_mul_f64_e32 v[28:29], v[4:5], v[28:29]
	s_wait_loadcnt_dscnt 0x900
	v_mul_f64_e32 v[157:158], v[149:150], v[32:33]
	v_mul_f64_e32 v[32:33], v[151:152], v[32:33]
	v_add_f64_e32 v[153:154], v[153:154], v[161:162]
	v_add_f64_e32 v[155:156], v[155:156], v[159:160]
	v_fma_f64 v[159:160], v[4:5], v[26:27], v[163:164]
	v_fma_f64 v[161:162], v[2:3], v[26:27], -v[28:29]
	ds_load_b128 v[2:5], v1 offset:1312
	scratch_load_b128 v[26:29], off, off offset:704
	v_fma_f64 v[151:152], v[151:152], v[30:31], v[157:158]
	v_fma_f64 v[149:150], v[149:150], v[30:31], -v[32:33]
	scratch_load_b128 v[30:33], off, off offset:720
	v_add_f64_e32 v[153:154], v[153:154], v[42:43]
	v_add_f64_e32 v[155:156], v[155:156], v[44:45]
	ds_load_b128 v[42:45], v1 offset:1328
	s_wait_loadcnt_dscnt 0xa01
	v_mul_f64_e32 v[163:164], v[2:3], v[36:37]
	v_mul_f64_e32 v[36:37], v[4:5], v[36:37]
	s_wait_loadcnt_dscnt 0x800
	v_mul_f64_e32 v[157:158], v[42:43], v[147:148]
	v_add_f64_e32 v[153:154], v[153:154], v[161:162]
	v_add_f64_e32 v[155:156], v[155:156], v[159:160]
	v_mul_f64_e32 v[159:160], v[44:45], v[147:148]
	v_fma_f64 v[161:162], v[4:5], v[34:35], v[163:164]
	v_fma_f64 v[163:164], v[2:3], v[34:35], -v[36:37]
	ds_load_b128 v[2:5], v1 offset:1344
	scratch_load_b128 v[34:37], off, off offset:736
	v_fma_f64 v[44:45], v[44:45], v[145:146], v[157:158]
	v_add_f64_e32 v[153:154], v[153:154], v[149:150]
	v_add_f64_e32 v[151:152], v[155:156], v[151:152]
	ds_load_b128 v[147:150], v1 offset:1360
	v_fma_f64 v[145:146], v[42:43], v[145:146], -v[159:160]
	s_wait_loadcnt_dscnt 0x801
	v_mul_f64_e32 v[155:156], v[2:3], v[40:41]
	v_mul_f64_e32 v[165:166], v[4:5], v[40:41]
	scratch_load_b128 v[40:43], off, off offset:752
	s_wait_loadcnt_dscnt 0x800
	v_mul_f64_e32 v[157:158], v[147:148], v[8:9]
	v_mul_f64_e32 v[8:9], v[149:150], v[8:9]
	v_add_f64_e32 v[153:154], v[153:154], v[163:164]
	v_add_f64_e32 v[151:152], v[151:152], v[161:162]
	v_fma_f64 v[155:156], v[4:5], v[38:39], v[155:156]
	v_fma_f64 v[38:39], v[2:3], v[38:39], -v[165:166]
	v_fma_f64 v[149:150], v[149:150], v[6:7], v[157:158]
	v_fma_f64 v[6:7], v[147:148], v[6:7], -v[8:9]
	v_add_f64_e32 v[145:146], v[153:154], v[145:146]
	v_add_f64_e32 v[44:45], v[151:152], v[44:45]
	ds_load_b128 v[2:5], v1 offset:1376
	ds_load_b128 v[151:154], v1 offset:1392
	s_wait_loadcnt_dscnt 0x701
	v_mul_f64_e32 v[159:160], v[2:3], v[12:13]
	v_mul_f64_e32 v[12:13], v[4:5], v[12:13]
	v_add_f64_e32 v[8:9], v[145:146], v[38:39]
	v_add_f64_e32 v[38:39], v[44:45], v[155:156]
	s_wait_loadcnt_dscnt 0x600
	v_mul_f64_e32 v[44:45], v[151:152], v[16:17]
	v_mul_f64_e32 v[16:17], v[153:154], v[16:17]
	v_fma_f64 v[145:146], v[4:5], v[10:11], v[159:160]
	v_fma_f64 v[10:11], v[2:3], v[10:11], -v[12:13]
	v_add_f64_e32 v[12:13], v[8:9], v[6:7]
	v_add_f64_e32 v[38:39], v[38:39], v[149:150]
	ds_load_b128 v[2:5], v1 offset:1408
	ds_load_b128 v[6:9], v1 offset:1424
	v_fma_f64 v[44:45], v[153:154], v[14:15], v[44:45]
	v_fma_f64 v[14:15], v[151:152], v[14:15], -v[16:17]
	s_wait_loadcnt_dscnt 0x501
	v_mul_f64_e32 v[147:148], v[2:3], v[20:21]
	v_mul_f64_e32 v[20:21], v[4:5], v[20:21]
	s_wait_loadcnt_dscnt 0x400
	v_mul_f64_e32 v[16:17], v[6:7], v[24:25]
	v_mul_f64_e32 v[24:25], v[8:9], v[24:25]
	v_add_f64_e32 v[10:11], v[12:13], v[10:11]
	v_add_f64_e32 v[12:13], v[38:39], v[145:146]
	v_fma_f64 v[38:39], v[4:5], v[18:19], v[147:148]
	v_fma_f64 v[18:19], v[2:3], v[18:19], -v[20:21]
	v_fma_f64 v[8:9], v[8:9], v[22:23], v[16:17]
	v_fma_f64 v[6:7], v[6:7], v[22:23], -v[24:25]
	v_add_f64_e32 v[14:15], v[10:11], v[14:15]
	v_add_f64_e32 v[20:21], v[12:13], v[44:45]
	ds_load_b128 v[2:5], v1 offset:1440
	ds_load_b128 v[10:13], v1 offset:1456
	s_wait_loadcnt_dscnt 0x301
	v_mul_f64_e32 v[44:45], v[2:3], v[28:29]
	v_mul_f64_e32 v[28:29], v[4:5], v[28:29]
	v_add_f64_e32 v[14:15], v[14:15], v[18:19]
	v_add_f64_e32 v[16:17], v[20:21], v[38:39]
	s_wait_loadcnt_dscnt 0x200
	v_mul_f64_e32 v[18:19], v[10:11], v[32:33]
	v_mul_f64_e32 v[20:21], v[12:13], v[32:33]
	v_fma_f64 v[22:23], v[4:5], v[26:27], v[44:45]
	v_fma_f64 v[24:25], v[2:3], v[26:27], -v[28:29]
	v_add_f64_e32 v[14:15], v[14:15], v[6:7]
	v_add_f64_e32 v[16:17], v[16:17], v[8:9]
	ds_load_b128 v[2:5], v1 offset:1472
	ds_load_b128 v[6:9], v1 offset:1488
	v_fma_f64 v[12:13], v[12:13], v[30:31], v[18:19]
	v_fma_f64 v[10:11], v[10:11], v[30:31], -v[20:21]
	s_wait_loadcnt_dscnt 0x101
	v_mul_f64_e32 v[26:27], v[2:3], v[36:37]
	v_mul_f64_e32 v[28:29], v[4:5], v[36:37]
	s_wait_loadcnt_dscnt 0x0
	v_mul_f64_e32 v[18:19], v[6:7], v[42:43]
	v_add_f64_e32 v[14:15], v[14:15], v[24:25]
	v_add_f64_e32 v[16:17], v[16:17], v[22:23]
	v_mul_f64_e32 v[20:21], v[8:9], v[42:43]
	v_fma_f64 v[4:5], v[4:5], v[34:35], v[26:27]
	v_fma_f64 v[1:2], v[2:3], v[34:35], -v[28:29]
	v_fma_f64 v[8:9], v[8:9], v[40:41], v[18:19]
	v_add_f64_e32 v[10:11], v[14:15], v[10:11]
	v_add_f64_e32 v[12:13], v[16:17], v[12:13]
	v_fma_f64 v[6:7], v[6:7], v[40:41], -v[20:21]
	s_delay_alu instid0(VALU_DEP_3) | instskip(NEXT) | instid1(VALU_DEP_3)
	v_add_f64_e32 v[1:2], v[10:11], v[1:2]
	v_add_f64_e32 v[3:4], v[12:13], v[4:5]
	s_delay_alu instid0(VALU_DEP_2) | instskip(NEXT) | instid1(VALU_DEP_2)
	v_add_f64_e32 v[1:2], v[1:2], v[6:7]
	v_add_f64_e32 v[3:4], v[3:4], v[8:9]
	s_delay_alu instid0(VALU_DEP_2) | instskip(NEXT) | instid1(VALU_DEP_2)
	v_add_f64_e64 v[1:2], v[141:142], -v[1:2]
	v_add_f64_e64 v[3:4], v[143:144], -v[3:4]
	scratch_store_b128 off, v[1:4], off offset:432
	v_cmpx_lt_u32_e32 25, v0
	s_cbranch_execz .LBB46_245
; %bb.244:
	scratch_load_b128 v[1:4], off, s35
	v_mov_b32_e32 v5, 0
	s_delay_alu instid0(VALU_DEP_1)
	v_dual_mov_b32 v6, v5 :: v_dual_mov_b32 v7, v5
	v_mov_b32_e32 v8, v5
	scratch_store_b128 off, v[5:8], off offset:416
	s_wait_loadcnt 0x0
	ds_store_b128 v140, v[1:4]
.LBB46_245:
	s_wait_alu 0xfffe
	s_or_b32 exec_lo, exec_lo, s0
	s_wait_storecnt_dscnt 0x0
	s_barrier_signal -1
	s_barrier_wait -1
	global_inv scope:SCOPE_SE
	s_clause 0x7
	scratch_load_b128 v[2:5], off, off offset:432
	scratch_load_b128 v[6:9], off, off offset:448
	;; [unrolled: 1-line block ×8, first 2 shown]
	v_mov_b32_e32 v1, 0
	s_mov_b32 s0, exec_lo
	ds_load_b128 v[34:37], v1 offset:1168
	s_clause 0x1
	scratch_load_b128 v[38:41], off, off offset:560
	scratch_load_b128 v[42:45], off, off offset:416
	ds_load_b128 v[141:144], v1 offset:1184
	scratch_load_b128 v[145:148], off, off offset:576
	s_wait_loadcnt_dscnt 0xa01
	v_mul_f64_e32 v[149:150], v[36:37], v[4:5]
	v_mul_f64_e32 v[4:5], v[34:35], v[4:5]
	s_delay_alu instid0(VALU_DEP_2) | instskip(NEXT) | instid1(VALU_DEP_2)
	v_fma_f64 v[155:156], v[34:35], v[2:3], -v[149:150]
	v_fma_f64 v[157:158], v[36:37], v[2:3], v[4:5]
	ds_load_b128 v[2:5], v1 offset:1200
	s_wait_loadcnt_dscnt 0x901
	v_mul_f64_e32 v[153:154], v[141:142], v[8:9]
	v_mul_f64_e32 v[8:9], v[143:144], v[8:9]
	scratch_load_b128 v[34:37], off, off offset:592
	ds_load_b128 v[149:152], v1 offset:1216
	s_wait_loadcnt_dscnt 0x901
	v_mul_f64_e32 v[159:160], v[2:3], v[12:13]
	v_mul_f64_e32 v[12:13], v[4:5], v[12:13]
	v_fma_f64 v[143:144], v[143:144], v[6:7], v[153:154]
	v_fma_f64 v[141:142], v[141:142], v[6:7], -v[8:9]
	v_add_f64_e32 v[153:154], 0, v[155:156]
	v_add_f64_e32 v[155:156], 0, v[157:158]
	scratch_load_b128 v[6:9], off, off offset:608
	v_fma_f64 v[159:160], v[4:5], v[10:11], v[159:160]
	v_fma_f64 v[161:162], v[2:3], v[10:11], -v[12:13]
	ds_load_b128 v[2:5], v1 offset:1232
	s_wait_loadcnt_dscnt 0x901
	v_mul_f64_e32 v[157:158], v[149:150], v[16:17]
	v_mul_f64_e32 v[16:17], v[151:152], v[16:17]
	scratch_load_b128 v[10:13], off, off offset:624
	v_add_f64_e32 v[153:154], v[153:154], v[141:142]
	v_add_f64_e32 v[155:156], v[155:156], v[143:144]
	s_wait_loadcnt_dscnt 0x900
	v_mul_f64_e32 v[163:164], v[2:3], v[20:21]
	v_mul_f64_e32 v[20:21], v[4:5], v[20:21]
	ds_load_b128 v[141:144], v1 offset:1248
	v_fma_f64 v[151:152], v[151:152], v[14:15], v[157:158]
	v_fma_f64 v[149:150], v[149:150], v[14:15], -v[16:17]
	scratch_load_b128 v[14:17], off, off offset:640
	v_add_f64_e32 v[153:154], v[153:154], v[161:162]
	v_add_f64_e32 v[155:156], v[155:156], v[159:160]
	v_fma_f64 v[159:160], v[4:5], v[18:19], v[163:164]
	v_fma_f64 v[161:162], v[2:3], v[18:19], -v[20:21]
	ds_load_b128 v[2:5], v1 offset:1264
	s_wait_loadcnt_dscnt 0x901
	v_mul_f64_e32 v[157:158], v[141:142], v[24:25]
	v_mul_f64_e32 v[24:25], v[143:144], v[24:25]
	scratch_load_b128 v[18:21], off, off offset:656
	s_wait_loadcnt_dscnt 0x900
	v_mul_f64_e32 v[163:164], v[2:3], v[28:29]
	v_mul_f64_e32 v[28:29], v[4:5], v[28:29]
	v_add_f64_e32 v[153:154], v[153:154], v[149:150]
	v_add_f64_e32 v[155:156], v[155:156], v[151:152]
	ds_load_b128 v[149:152], v1 offset:1280
	v_fma_f64 v[143:144], v[143:144], v[22:23], v[157:158]
	v_fma_f64 v[141:142], v[141:142], v[22:23], -v[24:25]
	scratch_load_b128 v[22:25], off, off offset:672
	v_add_f64_e32 v[153:154], v[153:154], v[161:162]
	v_add_f64_e32 v[155:156], v[155:156], v[159:160]
	v_fma_f64 v[159:160], v[4:5], v[26:27], v[163:164]
	v_fma_f64 v[161:162], v[2:3], v[26:27], -v[28:29]
	ds_load_b128 v[2:5], v1 offset:1296
	s_wait_loadcnt_dscnt 0x901
	v_mul_f64_e32 v[157:158], v[149:150], v[32:33]
	v_mul_f64_e32 v[32:33], v[151:152], v[32:33]
	scratch_load_b128 v[26:29], off, off offset:688
	s_wait_loadcnt_dscnt 0x900
	v_mul_f64_e32 v[163:164], v[2:3], v[40:41]
	v_mul_f64_e32 v[40:41], v[4:5], v[40:41]
	v_add_f64_e32 v[153:154], v[153:154], v[141:142]
	v_add_f64_e32 v[155:156], v[155:156], v[143:144]
	ds_load_b128 v[141:144], v1 offset:1312
	v_fma_f64 v[151:152], v[151:152], v[30:31], v[157:158]
	v_fma_f64 v[149:150], v[149:150], v[30:31], -v[32:33]
	scratch_load_b128 v[30:33], off, off offset:704
	v_add_f64_e32 v[153:154], v[153:154], v[161:162]
	v_add_f64_e32 v[155:156], v[155:156], v[159:160]
	v_fma_f64 v[161:162], v[4:5], v[38:39], v[163:164]
	v_fma_f64 v[163:164], v[2:3], v[38:39], -v[40:41]
	ds_load_b128 v[2:5], v1 offset:1328
	s_wait_loadcnt_dscnt 0x801
	v_mul_f64_e32 v[157:158], v[141:142], v[147:148]
	v_mul_f64_e32 v[159:160], v[143:144], v[147:148]
	scratch_load_b128 v[38:41], off, off offset:720
	v_add_f64_e32 v[153:154], v[153:154], v[149:150]
	v_add_f64_e32 v[151:152], v[155:156], v[151:152]
	ds_load_b128 v[147:150], v1 offset:1344
	v_fma_f64 v[157:158], v[143:144], v[145:146], v[157:158]
	v_fma_f64 v[145:146], v[141:142], v[145:146], -v[159:160]
	scratch_load_b128 v[141:144], off, off offset:736
	s_wait_loadcnt_dscnt 0x901
	v_mul_f64_e32 v[155:156], v[2:3], v[36:37]
	v_mul_f64_e32 v[36:37], v[4:5], v[36:37]
	v_add_f64_e32 v[153:154], v[153:154], v[163:164]
	v_add_f64_e32 v[151:152], v[151:152], v[161:162]
	s_delay_alu instid0(VALU_DEP_4) | instskip(NEXT) | instid1(VALU_DEP_4)
	v_fma_f64 v[155:156], v[4:5], v[34:35], v[155:156]
	v_fma_f64 v[161:162], v[2:3], v[34:35], -v[36:37]
	ds_load_b128 v[2:5], v1 offset:1360
	s_wait_loadcnt_dscnt 0x801
	v_mul_f64_e32 v[159:160], v[147:148], v[8:9]
	v_mul_f64_e32 v[8:9], v[149:150], v[8:9]
	scratch_load_b128 v[34:37], off, off offset:752
	s_wait_loadcnt_dscnt 0x800
	v_mul_f64_e32 v[163:164], v[2:3], v[12:13]
	v_add_f64_e32 v[145:146], v[153:154], v[145:146]
	v_add_f64_e32 v[157:158], v[151:152], v[157:158]
	v_mul_f64_e32 v[12:13], v[4:5], v[12:13]
	ds_load_b128 v[151:154], v1 offset:1376
	v_fma_f64 v[149:150], v[149:150], v[6:7], v[159:160]
	v_fma_f64 v[6:7], v[147:148], v[6:7], -v[8:9]
	s_wait_loadcnt_dscnt 0x700
	v_mul_f64_e32 v[147:148], v[151:152], v[16:17]
	v_add_f64_e32 v[8:9], v[145:146], v[161:162]
	v_add_f64_e32 v[145:146], v[157:158], v[155:156]
	v_mul_f64_e32 v[16:17], v[153:154], v[16:17]
	v_fma_f64 v[155:156], v[4:5], v[10:11], v[163:164]
	v_fma_f64 v[10:11], v[2:3], v[10:11], -v[12:13]
	v_fma_f64 v[147:148], v[153:154], v[14:15], v[147:148]
	v_add_f64_e32 v[12:13], v[8:9], v[6:7]
	v_add_f64_e32 v[145:146], v[145:146], v[149:150]
	ds_load_b128 v[2:5], v1 offset:1392
	ds_load_b128 v[6:9], v1 offset:1408
	v_fma_f64 v[14:15], v[151:152], v[14:15], -v[16:17]
	s_wait_loadcnt_dscnt 0x601
	v_mul_f64_e32 v[149:150], v[2:3], v[20:21]
	v_mul_f64_e32 v[20:21], v[4:5], v[20:21]
	s_wait_loadcnt_dscnt 0x500
	v_mul_f64_e32 v[16:17], v[6:7], v[24:25]
	v_mul_f64_e32 v[24:25], v[8:9], v[24:25]
	v_add_f64_e32 v[10:11], v[12:13], v[10:11]
	v_add_f64_e32 v[12:13], v[145:146], v[155:156]
	v_fma_f64 v[145:146], v[4:5], v[18:19], v[149:150]
	v_fma_f64 v[18:19], v[2:3], v[18:19], -v[20:21]
	v_fma_f64 v[8:9], v[8:9], v[22:23], v[16:17]
	v_fma_f64 v[6:7], v[6:7], v[22:23], -v[24:25]
	v_add_f64_e32 v[14:15], v[10:11], v[14:15]
	v_add_f64_e32 v[20:21], v[12:13], v[147:148]
	ds_load_b128 v[2:5], v1 offset:1424
	ds_load_b128 v[10:13], v1 offset:1440
	s_wait_loadcnt_dscnt 0x401
	v_mul_f64_e32 v[147:148], v[2:3], v[28:29]
	v_mul_f64_e32 v[28:29], v[4:5], v[28:29]
	v_add_f64_e32 v[14:15], v[14:15], v[18:19]
	v_add_f64_e32 v[16:17], v[20:21], v[145:146]
	s_wait_loadcnt_dscnt 0x300
	v_mul_f64_e32 v[18:19], v[10:11], v[32:33]
	v_mul_f64_e32 v[20:21], v[12:13], v[32:33]
	v_fma_f64 v[22:23], v[4:5], v[26:27], v[147:148]
	v_fma_f64 v[24:25], v[2:3], v[26:27], -v[28:29]
	v_add_f64_e32 v[14:15], v[14:15], v[6:7]
	v_add_f64_e32 v[16:17], v[16:17], v[8:9]
	ds_load_b128 v[2:5], v1 offset:1456
	ds_load_b128 v[6:9], v1 offset:1472
	v_fma_f64 v[12:13], v[12:13], v[30:31], v[18:19]
	v_fma_f64 v[10:11], v[10:11], v[30:31], -v[20:21]
	s_wait_loadcnt_dscnt 0x201
	v_mul_f64_e32 v[26:27], v[2:3], v[40:41]
	v_mul_f64_e32 v[28:29], v[4:5], v[40:41]
	s_wait_loadcnt_dscnt 0x100
	v_mul_f64_e32 v[18:19], v[6:7], v[143:144]
	v_mul_f64_e32 v[20:21], v[8:9], v[143:144]
	v_add_f64_e32 v[14:15], v[14:15], v[24:25]
	v_add_f64_e32 v[16:17], v[16:17], v[22:23]
	v_fma_f64 v[22:23], v[4:5], v[38:39], v[26:27]
	v_fma_f64 v[24:25], v[2:3], v[38:39], -v[28:29]
	ds_load_b128 v[2:5], v1 offset:1488
	v_fma_f64 v[8:9], v[8:9], v[141:142], v[18:19]
	v_fma_f64 v[6:7], v[6:7], v[141:142], -v[20:21]
	v_add_f64_e32 v[10:11], v[14:15], v[10:11]
	v_add_f64_e32 v[12:13], v[16:17], v[12:13]
	s_wait_loadcnt_dscnt 0x0
	v_mul_f64_e32 v[14:15], v[2:3], v[36:37]
	v_mul_f64_e32 v[16:17], v[4:5], v[36:37]
	s_delay_alu instid0(VALU_DEP_4) | instskip(NEXT) | instid1(VALU_DEP_4)
	v_add_f64_e32 v[10:11], v[10:11], v[24:25]
	v_add_f64_e32 v[12:13], v[12:13], v[22:23]
	s_delay_alu instid0(VALU_DEP_4) | instskip(NEXT) | instid1(VALU_DEP_4)
	v_fma_f64 v[4:5], v[4:5], v[34:35], v[14:15]
	v_fma_f64 v[2:3], v[2:3], v[34:35], -v[16:17]
	s_delay_alu instid0(VALU_DEP_4) | instskip(NEXT) | instid1(VALU_DEP_4)
	v_add_f64_e32 v[6:7], v[10:11], v[6:7]
	v_add_f64_e32 v[8:9], v[12:13], v[8:9]
	s_delay_alu instid0(VALU_DEP_2) | instskip(NEXT) | instid1(VALU_DEP_2)
	v_add_f64_e32 v[2:3], v[6:7], v[2:3]
	v_add_f64_e32 v[4:5], v[8:9], v[4:5]
	s_delay_alu instid0(VALU_DEP_2) | instskip(NEXT) | instid1(VALU_DEP_2)
	v_add_f64_e64 v[2:3], v[42:43], -v[2:3]
	v_add_f64_e64 v[4:5], v[44:45], -v[4:5]
	scratch_store_b128 off, v[2:5], off offset:416
	v_cmpx_lt_u32_e32 24, v0
	s_cbranch_execz .LBB46_247
; %bb.246:
	scratch_load_b128 v[5:8], off, s36
	v_dual_mov_b32 v2, v1 :: v_dual_mov_b32 v3, v1
	v_mov_b32_e32 v4, v1
	scratch_store_b128 off, v[1:4], off offset:400
	s_wait_loadcnt 0x0
	ds_store_b128 v140, v[5:8]
.LBB46_247:
	s_wait_alu 0xfffe
	s_or_b32 exec_lo, exec_lo, s0
	s_wait_storecnt_dscnt 0x0
	s_barrier_signal -1
	s_barrier_wait -1
	global_inv scope:SCOPE_SE
	s_clause 0x8
	scratch_load_b128 v[2:5], off, off offset:416
	scratch_load_b128 v[6:9], off, off offset:432
	;; [unrolled: 1-line block ×9, first 2 shown]
	ds_load_b128 v[38:41], v1 offset:1152
	ds_load_b128 v[42:45], v1 offset:1168
	s_clause 0x1
	scratch_load_b128 v[141:144], off, off offset:400
	scratch_load_b128 v[145:148], off, off offset:560
	s_mov_b32 s0, exec_lo
	s_wait_loadcnt_dscnt 0xa01
	v_mul_f64_e32 v[149:150], v[40:41], v[4:5]
	v_mul_f64_e32 v[4:5], v[38:39], v[4:5]
	s_wait_loadcnt_dscnt 0x900
	v_mul_f64_e32 v[153:154], v[42:43], v[8:9]
	v_mul_f64_e32 v[8:9], v[44:45], v[8:9]
	s_delay_alu instid0(VALU_DEP_4) | instskip(NEXT) | instid1(VALU_DEP_4)
	v_fma_f64 v[155:156], v[38:39], v[2:3], -v[149:150]
	v_fma_f64 v[157:158], v[40:41], v[2:3], v[4:5]
	ds_load_b128 v[2:5], v1 offset:1184
	ds_load_b128 v[149:152], v1 offset:1200
	scratch_load_b128 v[38:41], off, off offset:576
	v_fma_f64 v[44:45], v[44:45], v[6:7], v[153:154]
	v_fma_f64 v[42:43], v[42:43], v[6:7], -v[8:9]
	scratch_load_b128 v[6:9], off, off offset:592
	s_wait_loadcnt_dscnt 0xa01
	v_mul_f64_e32 v[159:160], v[2:3], v[12:13]
	v_mul_f64_e32 v[12:13], v[4:5], v[12:13]
	v_add_f64_e32 v[153:154], 0, v[155:156]
	v_add_f64_e32 v[155:156], 0, v[157:158]
	s_wait_loadcnt_dscnt 0x900
	v_mul_f64_e32 v[157:158], v[149:150], v[16:17]
	v_mul_f64_e32 v[16:17], v[151:152], v[16:17]
	v_fma_f64 v[159:160], v[4:5], v[10:11], v[159:160]
	v_fma_f64 v[161:162], v[2:3], v[10:11], -v[12:13]
	ds_load_b128 v[2:5], v1 offset:1216
	scratch_load_b128 v[10:13], off, off offset:608
	v_add_f64_e32 v[153:154], v[153:154], v[42:43]
	v_add_f64_e32 v[155:156], v[155:156], v[44:45]
	ds_load_b128 v[42:45], v1 offset:1232
	v_fma_f64 v[151:152], v[151:152], v[14:15], v[157:158]
	v_fma_f64 v[149:150], v[149:150], v[14:15], -v[16:17]
	scratch_load_b128 v[14:17], off, off offset:624
	s_wait_loadcnt_dscnt 0xa01
	v_mul_f64_e32 v[163:164], v[2:3], v[20:21]
	v_mul_f64_e32 v[20:21], v[4:5], v[20:21]
	s_wait_loadcnt_dscnt 0x900
	v_mul_f64_e32 v[157:158], v[42:43], v[24:25]
	v_mul_f64_e32 v[24:25], v[44:45], v[24:25]
	v_add_f64_e32 v[153:154], v[153:154], v[161:162]
	v_add_f64_e32 v[155:156], v[155:156], v[159:160]
	v_fma_f64 v[159:160], v[4:5], v[18:19], v[163:164]
	v_fma_f64 v[161:162], v[2:3], v[18:19], -v[20:21]
	ds_load_b128 v[2:5], v1 offset:1248
	scratch_load_b128 v[18:21], off, off offset:640
	v_fma_f64 v[44:45], v[44:45], v[22:23], v[157:158]
	v_fma_f64 v[42:43], v[42:43], v[22:23], -v[24:25]
	scratch_load_b128 v[22:25], off, off offset:656
	v_add_f64_e32 v[153:154], v[153:154], v[149:150]
	v_add_f64_e32 v[155:156], v[155:156], v[151:152]
	ds_load_b128 v[149:152], v1 offset:1264
	s_wait_loadcnt_dscnt 0xa01
	v_mul_f64_e32 v[163:164], v[2:3], v[28:29]
	v_mul_f64_e32 v[28:29], v[4:5], v[28:29]
	s_wait_loadcnt_dscnt 0x900
	v_mul_f64_e32 v[157:158], v[149:150], v[32:33]
	v_mul_f64_e32 v[32:33], v[151:152], v[32:33]
	v_add_f64_e32 v[153:154], v[153:154], v[161:162]
	v_add_f64_e32 v[155:156], v[155:156], v[159:160]
	v_fma_f64 v[159:160], v[4:5], v[26:27], v[163:164]
	v_fma_f64 v[161:162], v[2:3], v[26:27], -v[28:29]
	ds_load_b128 v[2:5], v1 offset:1280
	scratch_load_b128 v[26:29], off, off offset:672
	v_fma_f64 v[151:152], v[151:152], v[30:31], v[157:158]
	v_fma_f64 v[149:150], v[149:150], v[30:31], -v[32:33]
	scratch_load_b128 v[30:33], off, off offset:688
	v_add_f64_e32 v[153:154], v[153:154], v[42:43]
	v_add_f64_e32 v[155:156], v[155:156], v[44:45]
	ds_load_b128 v[42:45], v1 offset:1296
	s_wait_loadcnt_dscnt 0xa01
	v_mul_f64_e32 v[163:164], v[2:3], v[36:37]
	v_mul_f64_e32 v[36:37], v[4:5], v[36:37]
	s_wait_loadcnt_dscnt 0x800
	v_mul_f64_e32 v[157:158], v[42:43], v[147:148]
	v_add_f64_e32 v[153:154], v[153:154], v[161:162]
	v_add_f64_e32 v[155:156], v[155:156], v[159:160]
	v_mul_f64_e32 v[159:160], v[44:45], v[147:148]
	v_fma_f64 v[161:162], v[4:5], v[34:35], v[163:164]
	v_fma_f64 v[163:164], v[2:3], v[34:35], -v[36:37]
	ds_load_b128 v[2:5], v1 offset:1312
	scratch_load_b128 v[34:37], off, off offset:704
	v_fma_f64 v[44:45], v[44:45], v[145:146], v[157:158]
	v_add_f64_e32 v[153:154], v[153:154], v[149:150]
	v_add_f64_e32 v[151:152], v[155:156], v[151:152]
	ds_load_b128 v[147:150], v1 offset:1328
	v_fma_f64 v[145:146], v[42:43], v[145:146], -v[159:160]
	s_wait_loadcnt_dscnt 0x801
	v_mul_f64_e32 v[155:156], v[2:3], v[40:41]
	v_mul_f64_e32 v[165:166], v[4:5], v[40:41]
	scratch_load_b128 v[40:43], off, off offset:720
	s_wait_loadcnt_dscnt 0x800
	v_mul_f64_e32 v[159:160], v[147:148], v[8:9]
	v_mul_f64_e32 v[8:9], v[149:150], v[8:9]
	v_add_f64_e32 v[153:154], v[153:154], v[163:164]
	v_add_f64_e32 v[151:152], v[151:152], v[161:162]
	v_fma_f64 v[161:162], v[4:5], v[38:39], v[155:156]
	v_fma_f64 v[38:39], v[2:3], v[38:39], -v[165:166]
	ds_load_b128 v[2:5], v1 offset:1344
	ds_load_b128 v[155:158], v1 offset:1360
	v_fma_f64 v[149:150], v[149:150], v[6:7], v[159:160]
	v_fma_f64 v[147:148], v[147:148], v[6:7], -v[8:9]
	scratch_load_b128 v[6:9], off, off offset:752
	v_add_f64_e32 v[145:146], v[153:154], v[145:146]
	v_add_f64_e32 v[44:45], v[151:152], v[44:45]
	scratch_load_b128 v[151:154], off, off offset:736
	s_wait_loadcnt_dscnt 0x901
	v_mul_f64_e32 v[163:164], v[2:3], v[12:13]
	v_mul_f64_e32 v[12:13], v[4:5], v[12:13]
	v_add_f64_e32 v[38:39], v[145:146], v[38:39]
	v_add_f64_e32 v[44:45], v[44:45], v[161:162]
	s_wait_loadcnt_dscnt 0x800
	v_mul_f64_e32 v[145:146], v[155:156], v[16:17]
	v_mul_f64_e32 v[16:17], v[157:158], v[16:17]
	v_fma_f64 v[159:160], v[4:5], v[10:11], v[163:164]
	v_fma_f64 v[161:162], v[2:3], v[10:11], -v[12:13]
	ds_load_b128 v[2:5], v1 offset:1376
	ds_load_b128 v[10:13], v1 offset:1392
	v_add_f64_e32 v[38:39], v[38:39], v[147:148]
	v_add_f64_e32 v[44:45], v[44:45], v[149:150]
	s_wait_loadcnt_dscnt 0x701
	v_mul_f64_e32 v[147:148], v[2:3], v[20:21]
	v_mul_f64_e32 v[20:21], v[4:5], v[20:21]
	v_fma_f64 v[145:146], v[157:158], v[14:15], v[145:146]
	v_fma_f64 v[14:15], v[155:156], v[14:15], -v[16:17]
	v_add_f64_e32 v[16:17], v[38:39], v[161:162]
	v_add_f64_e32 v[38:39], v[44:45], v[159:160]
	s_wait_loadcnt_dscnt 0x600
	v_mul_f64_e32 v[44:45], v[10:11], v[24:25]
	v_mul_f64_e32 v[24:25], v[12:13], v[24:25]
	v_fma_f64 v[147:148], v[4:5], v[18:19], v[147:148]
	v_fma_f64 v[18:19], v[2:3], v[18:19], -v[20:21]
	v_add_f64_e32 v[20:21], v[16:17], v[14:15]
	v_add_f64_e32 v[38:39], v[38:39], v[145:146]
	ds_load_b128 v[2:5], v1 offset:1408
	ds_load_b128 v[14:17], v1 offset:1424
	v_fma_f64 v[12:13], v[12:13], v[22:23], v[44:45]
	v_fma_f64 v[10:11], v[10:11], v[22:23], -v[24:25]
	s_wait_loadcnt_dscnt 0x501
	v_mul_f64_e32 v[145:146], v[2:3], v[28:29]
	v_mul_f64_e32 v[28:29], v[4:5], v[28:29]
	s_wait_loadcnt_dscnt 0x400
	v_mul_f64_e32 v[22:23], v[14:15], v[32:33]
	v_mul_f64_e32 v[24:25], v[16:17], v[32:33]
	v_add_f64_e32 v[18:19], v[20:21], v[18:19]
	v_add_f64_e32 v[20:21], v[38:39], v[147:148]
	v_fma_f64 v[32:33], v[4:5], v[26:27], v[145:146]
	v_fma_f64 v[26:27], v[2:3], v[26:27], -v[28:29]
	v_fma_f64 v[16:17], v[16:17], v[30:31], v[22:23]
	v_fma_f64 v[14:15], v[14:15], v[30:31], -v[24:25]
	v_add_f64_e32 v[18:19], v[18:19], v[10:11]
	v_add_f64_e32 v[20:21], v[20:21], v[12:13]
	ds_load_b128 v[2:5], v1 offset:1440
	ds_load_b128 v[10:13], v1 offset:1456
	s_wait_loadcnt_dscnt 0x301
	v_mul_f64_e32 v[28:29], v[2:3], v[36:37]
	v_mul_f64_e32 v[36:37], v[4:5], v[36:37]
	s_wait_loadcnt_dscnt 0x200
	v_mul_f64_e32 v[22:23], v[10:11], v[42:43]
	v_add_f64_e32 v[18:19], v[18:19], v[26:27]
	v_add_f64_e32 v[20:21], v[20:21], v[32:33]
	v_mul_f64_e32 v[24:25], v[12:13], v[42:43]
	v_fma_f64 v[26:27], v[4:5], v[34:35], v[28:29]
	v_fma_f64 v[28:29], v[2:3], v[34:35], -v[36:37]
	v_fma_f64 v[12:13], v[12:13], v[40:41], v[22:23]
	v_add_f64_e32 v[18:19], v[18:19], v[14:15]
	v_add_f64_e32 v[20:21], v[20:21], v[16:17]
	ds_load_b128 v[2:5], v1 offset:1472
	ds_load_b128 v[14:17], v1 offset:1488
	v_fma_f64 v[10:11], v[10:11], v[40:41], -v[24:25]
	s_wait_loadcnt_dscnt 0x1
	v_mul_f64_e32 v[30:31], v[2:3], v[153:154]
	v_mul_f64_e32 v[32:33], v[4:5], v[153:154]
	s_wait_dscnt 0x0
	v_mul_f64_e32 v[22:23], v[14:15], v[8:9]
	v_mul_f64_e32 v[8:9], v[16:17], v[8:9]
	v_add_f64_e32 v[18:19], v[18:19], v[28:29]
	v_add_f64_e32 v[20:21], v[20:21], v[26:27]
	v_fma_f64 v[4:5], v[4:5], v[151:152], v[30:31]
	v_fma_f64 v[1:2], v[2:3], v[151:152], -v[32:33]
	v_fma_f64 v[16:17], v[16:17], v[6:7], v[22:23]
	v_fma_f64 v[6:7], v[14:15], v[6:7], -v[8:9]
	v_add_f64_e32 v[10:11], v[18:19], v[10:11]
	v_add_f64_e32 v[12:13], v[20:21], v[12:13]
	s_delay_alu instid0(VALU_DEP_2) | instskip(NEXT) | instid1(VALU_DEP_2)
	v_add_f64_e32 v[1:2], v[10:11], v[1:2]
	v_add_f64_e32 v[3:4], v[12:13], v[4:5]
	s_delay_alu instid0(VALU_DEP_2) | instskip(NEXT) | instid1(VALU_DEP_2)
	;; [unrolled: 3-line block ×3, first 2 shown]
	v_add_f64_e64 v[1:2], v[141:142], -v[1:2]
	v_add_f64_e64 v[3:4], v[143:144], -v[3:4]
	scratch_store_b128 off, v[1:4], off offset:400
	v_cmpx_lt_u32_e32 23, v0
	s_cbranch_execz .LBB46_249
; %bb.248:
	scratch_load_b128 v[1:4], off, s37
	v_mov_b32_e32 v5, 0
	s_delay_alu instid0(VALU_DEP_1)
	v_dual_mov_b32 v6, v5 :: v_dual_mov_b32 v7, v5
	v_mov_b32_e32 v8, v5
	scratch_store_b128 off, v[5:8], off offset:384
	s_wait_loadcnt 0x0
	ds_store_b128 v140, v[1:4]
.LBB46_249:
	s_wait_alu 0xfffe
	s_or_b32 exec_lo, exec_lo, s0
	s_wait_storecnt_dscnt 0x0
	s_barrier_signal -1
	s_barrier_wait -1
	global_inv scope:SCOPE_SE
	s_clause 0x7
	scratch_load_b128 v[2:5], off, off offset:400
	scratch_load_b128 v[6:9], off, off offset:416
	;; [unrolled: 1-line block ×8, first 2 shown]
	v_mov_b32_e32 v1, 0
	s_mov_b32 s0, exec_lo
	ds_load_b128 v[34:37], v1 offset:1136
	s_clause 0x1
	scratch_load_b128 v[38:41], off, off offset:528
	scratch_load_b128 v[42:45], off, off offset:384
	ds_load_b128 v[141:144], v1 offset:1152
	scratch_load_b128 v[145:148], off, off offset:544
	s_wait_loadcnt_dscnt 0xa01
	v_mul_f64_e32 v[149:150], v[36:37], v[4:5]
	v_mul_f64_e32 v[4:5], v[34:35], v[4:5]
	s_delay_alu instid0(VALU_DEP_2) | instskip(NEXT) | instid1(VALU_DEP_2)
	v_fma_f64 v[155:156], v[34:35], v[2:3], -v[149:150]
	v_fma_f64 v[157:158], v[36:37], v[2:3], v[4:5]
	ds_load_b128 v[2:5], v1 offset:1168
	s_wait_loadcnt_dscnt 0x901
	v_mul_f64_e32 v[153:154], v[141:142], v[8:9]
	v_mul_f64_e32 v[8:9], v[143:144], v[8:9]
	scratch_load_b128 v[34:37], off, off offset:560
	ds_load_b128 v[149:152], v1 offset:1184
	s_wait_loadcnt_dscnt 0x901
	v_mul_f64_e32 v[159:160], v[2:3], v[12:13]
	v_mul_f64_e32 v[12:13], v[4:5], v[12:13]
	v_fma_f64 v[143:144], v[143:144], v[6:7], v[153:154]
	v_fma_f64 v[141:142], v[141:142], v[6:7], -v[8:9]
	v_add_f64_e32 v[153:154], 0, v[155:156]
	v_add_f64_e32 v[155:156], 0, v[157:158]
	scratch_load_b128 v[6:9], off, off offset:576
	v_fma_f64 v[159:160], v[4:5], v[10:11], v[159:160]
	v_fma_f64 v[161:162], v[2:3], v[10:11], -v[12:13]
	ds_load_b128 v[2:5], v1 offset:1200
	s_wait_loadcnt_dscnt 0x901
	v_mul_f64_e32 v[157:158], v[149:150], v[16:17]
	v_mul_f64_e32 v[16:17], v[151:152], v[16:17]
	scratch_load_b128 v[10:13], off, off offset:592
	v_add_f64_e32 v[153:154], v[153:154], v[141:142]
	v_add_f64_e32 v[155:156], v[155:156], v[143:144]
	s_wait_loadcnt_dscnt 0x900
	v_mul_f64_e32 v[163:164], v[2:3], v[20:21]
	v_mul_f64_e32 v[20:21], v[4:5], v[20:21]
	ds_load_b128 v[141:144], v1 offset:1216
	v_fma_f64 v[151:152], v[151:152], v[14:15], v[157:158]
	v_fma_f64 v[149:150], v[149:150], v[14:15], -v[16:17]
	scratch_load_b128 v[14:17], off, off offset:608
	v_add_f64_e32 v[153:154], v[153:154], v[161:162]
	v_add_f64_e32 v[155:156], v[155:156], v[159:160]
	v_fma_f64 v[159:160], v[4:5], v[18:19], v[163:164]
	v_fma_f64 v[161:162], v[2:3], v[18:19], -v[20:21]
	ds_load_b128 v[2:5], v1 offset:1232
	s_wait_loadcnt_dscnt 0x901
	v_mul_f64_e32 v[157:158], v[141:142], v[24:25]
	v_mul_f64_e32 v[24:25], v[143:144], v[24:25]
	scratch_load_b128 v[18:21], off, off offset:624
	s_wait_loadcnt_dscnt 0x900
	v_mul_f64_e32 v[163:164], v[2:3], v[28:29]
	v_mul_f64_e32 v[28:29], v[4:5], v[28:29]
	v_add_f64_e32 v[153:154], v[153:154], v[149:150]
	v_add_f64_e32 v[155:156], v[155:156], v[151:152]
	ds_load_b128 v[149:152], v1 offset:1248
	v_fma_f64 v[143:144], v[143:144], v[22:23], v[157:158]
	v_fma_f64 v[141:142], v[141:142], v[22:23], -v[24:25]
	scratch_load_b128 v[22:25], off, off offset:640
	v_add_f64_e32 v[153:154], v[153:154], v[161:162]
	v_add_f64_e32 v[155:156], v[155:156], v[159:160]
	v_fma_f64 v[159:160], v[4:5], v[26:27], v[163:164]
	v_fma_f64 v[161:162], v[2:3], v[26:27], -v[28:29]
	ds_load_b128 v[2:5], v1 offset:1264
	s_wait_loadcnt_dscnt 0x901
	v_mul_f64_e32 v[157:158], v[149:150], v[32:33]
	v_mul_f64_e32 v[32:33], v[151:152], v[32:33]
	scratch_load_b128 v[26:29], off, off offset:656
	s_wait_loadcnt_dscnt 0x900
	v_mul_f64_e32 v[163:164], v[2:3], v[40:41]
	v_mul_f64_e32 v[40:41], v[4:5], v[40:41]
	v_add_f64_e32 v[153:154], v[153:154], v[141:142]
	v_add_f64_e32 v[155:156], v[155:156], v[143:144]
	ds_load_b128 v[141:144], v1 offset:1280
	v_fma_f64 v[151:152], v[151:152], v[30:31], v[157:158]
	v_fma_f64 v[149:150], v[149:150], v[30:31], -v[32:33]
	scratch_load_b128 v[30:33], off, off offset:672
	v_add_f64_e32 v[153:154], v[153:154], v[161:162]
	v_add_f64_e32 v[155:156], v[155:156], v[159:160]
	v_fma_f64 v[161:162], v[4:5], v[38:39], v[163:164]
	v_fma_f64 v[163:164], v[2:3], v[38:39], -v[40:41]
	ds_load_b128 v[2:5], v1 offset:1296
	s_wait_loadcnt_dscnt 0x801
	v_mul_f64_e32 v[157:158], v[141:142], v[147:148]
	v_mul_f64_e32 v[159:160], v[143:144], v[147:148]
	scratch_load_b128 v[38:41], off, off offset:688
	v_add_f64_e32 v[153:154], v[153:154], v[149:150]
	v_add_f64_e32 v[151:152], v[155:156], v[151:152]
	ds_load_b128 v[147:150], v1 offset:1312
	v_fma_f64 v[157:158], v[143:144], v[145:146], v[157:158]
	v_fma_f64 v[145:146], v[141:142], v[145:146], -v[159:160]
	scratch_load_b128 v[141:144], off, off offset:704
	s_wait_loadcnt_dscnt 0x901
	v_mul_f64_e32 v[155:156], v[2:3], v[36:37]
	v_mul_f64_e32 v[36:37], v[4:5], v[36:37]
	v_add_f64_e32 v[153:154], v[153:154], v[163:164]
	v_add_f64_e32 v[151:152], v[151:152], v[161:162]
	s_delay_alu instid0(VALU_DEP_4) | instskip(NEXT) | instid1(VALU_DEP_4)
	v_fma_f64 v[155:156], v[4:5], v[34:35], v[155:156]
	v_fma_f64 v[161:162], v[2:3], v[34:35], -v[36:37]
	ds_load_b128 v[2:5], v1 offset:1328
	s_wait_loadcnt_dscnt 0x801
	v_mul_f64_e32 v[159:160], v[147:148], v[8:9]
	v_mul_f64_e32 v[8:9], v[149:150], v[8:9]
	scratch_load_b128 v[34:37], off, off offset:720
	s_wait_loadcnt_dscnt 0x800
	v_mul_f64_e32 v[163:164], v[2:3], v[12:13]
	v_add_f64_e32 v[145:146], v[153:154], v[145:146]
	v_add_f64_e32 v[157:158], v[151:152], v[157:158]
	v_mul_f64_e32 v[12:13], v[4:5], v[12:13]
	ds_load_b128 v[151:154], v1 offset:1344
	v_fma_f64 v[149:150], v[149:150], v[6:7], v[159:160]
	v_fma_f64 v[147:148], v[147:148], v[6:7], -v[8:9]
	scratch_load_b128 v[6:9], off, off offset:736
	v_fma_f64 v[159:160], v[4:5], v[10:11], v[163:164]
	v_add_f64_e32 v[145:146], v[145:146], v[161:162]
	v_add_f64_e32 v[155:156], v[157:158], v[155:156]
	v_fma_f64 v[161:162], v[2:3], v[10:11], -v[12:13]
	ds_load_b128 v[2:5], v1 offset:1360
	s_wait_loadcnt_dscnt 0x801
	v_mul_f64_e32 v[157:158], v[151:152], v[16:17]
	v_mul_f64_e32 v[16:17], v[153:154], v[16:17]
	scratch_load_b128 v[10:13], off, off offset:752
	v_add_f64_e32 v[163:164], v[145:146], v[147:148]
	v_add_f64_e32 v[149:150], v[155:156], v[149:150]
	s_wait_loadcnt_dscnt 0x800
	v_mul_f64_e32 v[155:156], v[2:3], v[20:21]
	v_mul_f64_e32 v[20:21], v[4:5], v[20:21]
	v_fma_f64 v[153:154], v[153:154], v[14:15], v[157:158]
	v_fma_f64 v[14:15], v[151:152], v[14:15], -v[16:17]
	ds_load_b128 v[145:148], v1 offset:1376
	s_wait_loadcnt_dscnt 0x700
	v_mul_f64_e32 v[151:152], v[145:146], v[24:25]
	v_mul_f64_e32 v[24:25], v[147:148], v[24:25]
	v_add_f64_e32 v[16:17], v[163:164], v[161:162]
	v_add_f64_e32 v[149:150], v[149:150], v[159:160]
	v_fma_f64 v[155:156], v[4:5], v[18:19], v[155:156]
	v_fma_f64 v[18:19], v[2:3], v[18:19], -v[20:21]
	v_fma_f64 v[147:148], v[147:148], v[22:23], v[151:152]
	v_fma_f64 v[22:23], v[145:146], v[22:23], -v[24:25]
	v_add_f64_e32 v[20:21], v[16:17], v[14:15]
	v_add_f64_e32 v[149:150], v[149:150], v[153:154]
	ds_load_b128 v[2:5], v1 offset:1392
	ds_load_b128 v[14:17], v1 offset:1408
	s_wait_loadcnt_dscnt 0x601
	v_mul_f64_e32 v[153:154], v[2:3], v[28:29]
	v_mul_f64_e32 v[28:29], v[4:5], v[28:29]
	s_wait_loadcnt_dscnt 0x500
	v_mul_f64_e32 v[24:25], v[14:15], v[32:33]
	v_mul_f64_e32 v[32:33], v[16:17], v[32:33]
	v_add_f64_e32 v[18:19], v[20:21], v[18:19]
	v_add_f64_e32 v[20:21], v[149:150], v[155:156]
	v_fma_f64 v[145:146], v[4:5], v[26:27], v[153:154]
	v_fma_f64 v[26:27], v[2:3], v[26:27], -v[28:29]
	v_fma_f64 v[16:17], v[16:17], v[30:31], v[24:25]
	v_fma_f64 v[14:15], v[14:15], v[30:31], -v[32:33]
	v_add_f64_e32 v[22:23], v[18:19], v[22:23]
	v_add_f64_e32 v[28:29], v[20:21], v[147:148]
	ds_load_b128 v[2:5], v1 offset:1424
	ds_load_b128 v[18:21], v1 offset:1440
	s_wait_loadcnt_dscnt 0x401
	v_mul_f64_e32 v[147:148], v[2:3], v[40:41]
	v_mul_f64_e32 v[40:41], v[4:5], v[40:41]
	v_add_f64_e32 v[22:23], v[22:23], v[26:27]
	v_add_f64_e32 v[24:25], v[28:29], v[145:146]
	s_wait_loadcnt_dscnt 0x300
	v_mul_f64_e32 v[26:27], v[18:19], v[143:144]
	v_mul_f64_e32 v[28:29], v[20:21], v[143:144]
	v_fma_f64 v[30:31], v[4:5], v[38:39], v[147:148]
	v_fma_f64 v[32:33], v[2:3], v[38:39], -v[40:41]
	v_add_f64_e32 v[22:23], v[22:23], v[14:15]
	v_add_f64_e32 v[24:25], v[24:25], v[16:17]
	ds_load_b128 v[2:5], v1 offset:1456
	ds_load_b128 v[14:17], v1 offset:1472
	v_fma_f64 v[20:21], v[20:21], v[141:142], v[26:27]
	v_fma_f64 v[18:19], v[18:19], v[141:142], -v[28:29]
	s_wait_loadcnt_dscnt 0x201
	v_mul_f64_e32 v[38:39], v[2:3], v[36:37]
	v_mul_f64_e32 v[36:37], v[4:5], v[36:37]
	s_wait_loadcnt_dscnt 0x100
	v_mul_f64_e32 v[26:27], v[14:15], v[8:9]
	v_mul_f64_e32 v[8:9], v[16:17], v[8:9]
	v_add_f64_e32 v[22:23], v[22:23], v[32:33]
	v_add_f64_e32 v[24:25], v[24:25], v[30:31]
	v_fma_f64 v[28:29], v[4:5], v[34:35], v[38:39]
	v_fma_f64 v[30:31], v[2:3], v[34:35], -v[36:37]
	ds_load_b128 v[2:5], v1 offset:1488
	v_fma_f64 v[16:17], v[16:17], v[6:7], v[26:27]
	v_fma_f64 v[6:7], v[14:15], v[6:7], -v[8:9]
	v_add_f64_e32 v[18:19], v[22:23], v[18:19]
	v_add_f64_e32 v[20:21], v[24:25], v[20:21]
	s_wait_loadcnt_dscnt 0x0
	v_mul_f64_e32 v[22:23], v[2:3], v[12:13]
	v_mul_f64_e32 v[12:13], v[4:5], v[12:13]
	s_delay_alu instid0(VALU_DEP_4) | instskip(NEXT) | instid1(VALU_DEP_4)
	v_add_f64_e32 v[8:9], v[18:19], v[30:31]
	v_add_f64_e32 v[14:15], v[20:21], v[28:29]
	s_delay_alu instid0(VALU_DEP_4) | instskip(NEXT) | instid1(VALU_DEP_4)
	v_fma_f64 v[4:5], v[4:5], v[10:11], v[22:23]
	v_fma_f64 v[2:3], v[2:3], v[10:11], -v[12:13]
	s_delay_alu instid0(VALU_DEP_4) | instskip(NEXT) | instid1(VALU_DEP_4)
	v_add_f64_e32 v[6:7], v[8:9], v[6:7]
	v_add_f64_e32 v[8:9], v[14:15], v[16:17]
	s_delay_alu instid0(VALU_DEP_2) | instskip(NEXT) | instid1(VALU_DEP_2)
	v_add_f64_e32 v[2:3], v[6:7], v[2:3]
	v_add_f64_e32 v[4:5], v[8:9], v[4:5]
	s_delay_alu instid0(VALU_DEP_2) | instskip(NEXT) | instid1(VALU_DEP_2)
	v_add_f64_e64 v[2:3], v[42:43], -v[2:3]
	v_add_f64_e64 v[4:5], v[44:45], -v[4:5]
	scratch_store_b128 off, v[2:5], off offset:384
	v_cmpx_lt_u32_e32 22, v0
	s_cbranch_execz .LBB46_251
; %bb.250:
	scratch_load_b128 v[5:8], off, s38
	v_dual_mov_b32 v2, v1 :: v_dual_mov_b32 v3, v1
	v_mov_b32_e32 v4, v1
	scratch_store_b128 off, v[1:4], off offset:368
	s_wait_loadcnt 0x0
	ds_store_b128 v140, v[5:8]
.LBB46_251:
	s_wait_alu 0xfffe
	s_or_b32 exec_lo, exec_lo, s0
	s_wait_storecnt_dscnt 0x0
	s_barrier_signal -1
	s_barrier_wait -1
	global_inv scope:SCOPE_SE
	s_clause 0x8
	scratch_load_b128 v[2:5], off, off offset:384
	scratch_load_b128 v[6:9], off, off offset:400
	;; [unrolled: 1-line block ×9, first 2 shown]
	ds_load_b128 v[38:41], v1 offset:1120
	ds_load_b128 v[42:45], v1 offset:1136
	s_clause 0x1
	scratch_load_b128 v[141:144], off, off offset:368
	scratch_load_b128 v[145:148], off, off offset:528
	s_mov_b32 s0, exec_lo
	s_wait_loadcnt_dscnt 0xa01
	v_mul_f64_e32 v[149:150], v[40:41], v[4:5]
	v_mul_f64_e32 v[4:5], v[38:39], v[4:5]
	s_wait_loadcnt_dscnt 0x900
	v_mul_f64_e32 v[153:154], v[42:43], v[8:9]
	v_mul_f64_e32 v[8:9], v[44:45], v[8:9]
	s_delay_alu instid0(VALU_DEP_4) | instskip(NEXT) | instid1(VALU_DEP_4)
	v_fma_f64 v[155:156], v[38:39], v[2:3], -v[149:150]
	v_fma_f64 v[157:158], v[40:41], v[2:3], v[4:5]
	ds_load_b128 v[2:5], v1 offset:1152
	ds_load_b128 v[149:152], v1 offset:1168
	scratch_load_b128 v[38:41], off, off offset:544
	v_fma_f64 v[44:45], v[44:45], v[6:7], v[153:154]
	v_fma_f64 v[42:43], v[42:43], v[6:7], -v[8:9]
	scratch_load_b128 v[6:9], off, off offset:560
	s_wait_loadcnt_dscnt 0xa01
	v_mul_f64_e32 v[159:160], v[2:3], v[12:13]
	v_mul_f64_e32 v[12:13], v[4:5], v[12:13]
	v_add_f64_e32 v[153:154], 0, v[155:156]
	v_add_f64_e32 v[155:156], 0, v[157:158]
	s_wait_loadcnt_dscnt 0x900
	v_mul_f64_e32 v[157:158], v[149:150], v[16:17]
	v_mul_f64_e32 v[16:17], v[151:152], v[16:17]
	v_fma_f64 v[159:160], v[4:5], v[10:11], v[159:160]
	v_fma_f64 v[161:162], v[2:3], v[10:11], -v[12:13]
	ds_load_b128 v[2:5], v1 offset:1184
	scratch_load_b128 v[10:13], off, off offset:576
	v_add_f64_e32 v[153:154], v[153:154], v[42:43]
	v_add_f64_e32 v[155:156], v[155:156], v[44:45]
	ds_load_b128 v[42:45], v1 offset:1200
	v_fma_f64 v[151:152], v[151:152], v[14:15], v[157:158]
	v_fma_f64 v[149:150], v[149:150], v[14:15], -v[16:17]
	scratch_load_b128 v[14:17], off, off offset:592
	s_wait_loadcnt_dscnt 0xa01
	v_mul_f64_e32 v[163:164], v[2:3], v[20:21]
	v_mul_f64_e32 v[20:21], v[4:5], v[20:21]
	s_wait_loadcnt_dscnt 0x900
	v_mul_f64_e32 v[157:158], v[42:43], v[24:25]
	v_mul_f64_e32 v[24:25], v[44:45], v[24:25]
	v_add_f64_e32 v[153:154], v[153:154], v[161:162]
	v_add_f64_e32 v[155:156], v[155:156], v[159:160]
	v_fma_f64 v[159:160], v[4:5], v[18:19], v[163:164]
	v_fma_f64 v[161:162], v[2:3], v[18:19], -v[20:21]
	ds_load_b128 v[2:5], v1 offset:1216
	scratch_load_b128 v[18:21], off, off offset:608
	v_fma_f64 v[44:45], v[44:45], v[22:23], v[157:158]
	v_fma_f64 v[42:43], v[42:43], v[22:23], -v[24:25]
	scratch_load_b128 v[22:25], off, off offset:624
	v_add_f64_e32 v[153:154], v[153:154], v[149:150]
	v_add_f64_e32 v[155:156], v[155:156], v[151:152]
	ds_load_b128 v[149:152], v1 offset:1232
	s_wait_loadcnt_dscnt 0xa01
	v_mul_f64_e32 v[163:164], v[2:3], v[28:29]
	v_mul_f64_e32 v[28:29], v[4:5], v[28:29]
	s_wait_loadcnt_dscnt 0x900
	v_mul_f64_e32 v[157:158], v[149:150], v[32:33]
	v_mul_f64_e32 v[32:33], v[151:152], v[32:33]
	v_add_f64_e32 v[153:154], v[153:154], v[161:162]
	v_add_f64_e32 v[155:156], v[155:156], v[159:160]
	v_fma_f64 v[159:160], v[4:5], v[26:27], v[163:164]
	v_fma_f64 v[161:162], v[2:3], v[26:27], -v[28:29]
	ds_load_b128 v[2:5], v1 offset:1248
	scratch_load_b128 v[26:29], off, off offset:640
	v_fma_f64 v[151:152], v[151:152], v[30:31], v[157:158]
	v_fma_f64 v[149:150], v[149:150], v[30:31], -v[32:33]
	scratch_load_b128 v[30:33], off, off offset:656
	v_add_f64_e32 v[153:154], v[153:154], v[42:43]
	v_add_f64_e32 v[155:156], v[155:156], v[44:45]
	ds_load_b128 v[42:45], v1 offset:1264
	s_wait_loadcnt_dscnt 0xa01
	v_mul_f64_e32 v[163:164], v[2:3], v[36:37]
	v_mul_f64_e32 v[36:37], v[4:5], v[36:37]
	s_wait_loadcnt_dscnt 0x800
	v_mul_f64_e32 v[157:158], v[42:43], v[147:148]
	v_add_f64_e32 v[153:154], v[153:154], v[161:162]
	v_add_f64_e32 v[155:156], v[155:156], v[159:160]
	v_mul_f64_e32 v[159:160], v[44:45], v[147:148]
	v_fma_f64 v[161:162], v[4:5], v[34:35], v[163:164]
	v_fma_f64 v[163:164], v[2:3], v[34:35], -v[36:37]
	ds_load_b128 v[2:5], v1 offset:1280
	scratch_load_b128 v[34:37], off, off offset:672
	v_fma_f64 v[44:45], v[44:45], v[145:146], v[157:158]
	v_add_f64_e32 v[153:154], v[153:154], v[149:150]
	v_add_f64_e32 v[151:152], v[155:156], v[151:152]
	ds_load_b128 v[147:150], v1 offset:1296
	v_fma_f64 v[145:146], v[42:43], v[145:146], -v[159:160]
	s_wait_loadcnt_dscnt 0x801
	v_mul_f64_e32 v[155:156], v[2:3], v[40:41]
	v_mul_f64_e32 v[165:166], v[4:5], v[40:41]
	scratch_load_b128 v[40:43], off, off offset:688
	s_wait_loadcnt_dscnt 0x800
	v_mul_f64_e32 v[159:160], v[147:148], v[8:9]
	v_mul_f64_e32 v[8:9], v[149:150], v[8:9]
	v_add_f64_e32 v[153:154], v[153:154], v[163:164]
	v_add_f64_e32 v[151:152], v[151:152], v[161:162]
	v_fma_f64 v[161:162], v[4:5], v[38:39], v[155:156]
	v_fma_f64 v[38:39], v[2:3], v[38:39], -v[165:166]
	ds_load_b128 v[2:5], v1 offset:1312
	ds_load_b128 v[155:158], v1 offset:1328
	v_fma_f64 v[149:150], v[149:150], v[6:7], v[159:160]
	v_fma_f64 v[147:148], v[147:148], v[6:7], -v[8:9]
	scratch_load_b128 v[6:9], off, off offset:720
	v_add_f64_e32 v[145:146], v[153:154], v[145:146]
	v_add_f64_e32 v[44:45], v[151:152], v[44:45]
	scratch_load_b128 v[151:154], off, off offset:704
	s_wait_loadcnt_dscnt 0x901
	v_mul_f64_e32 v[163:164], v[2:3], v[12:13]
	v_mul_f64_e32 v[12:13], v[4:5], v[12:13]
	s_wait_loadcnt_dscnt 0x800
	v_mul_f64_e32 v[159:160], v[155:156], v[16:17]
	v_mul_f64_e32 v[16:17], v[157:158], v[16:17]
	v_add_f64_e32 v[38:39], v[145:146], v[38:39]
	v_add_f64_e32 v[44:45], v[44:45], v[161:162]
	v_fma_f64 v[161:162], v[4:5], v[10:11], v[163:164]
	v_fma_f64 v[163:164], v[2:3], v[10:11], -v[12:13]
	ds_load_b128 v[2:5], v1 offset:1344
	scratch_load_b128 v[10:13], off, off offset:736
	v_fma_f64 v[157:158], v[157:158], v[14:15], v[159:160]
	v_fma_f64 v[155:156], v[155:156], v[14:15], -v[16:17]
	scratch_load_b128 v[14:17], off, off offset:752
	v_add_f64_e32 v[38:39], v[38:39], v[147:148]
	v_add_f64_e32 v[44:45], v[44:45], v[149:150]
	ds_load_b128 v[145:148], v1 offset:1360
	s_wait_loadcnt_dscnt 0x901
	v_mul_f64_e32 v[149:150], v[2:3], v[20:21]
	v_mul_f64_e32 v[20:21], v[4:5], v[20:21]
	s_wait_loadcnt_dscnt 0x800
	v_mul_f64_e32 v[159:160], v[145:146], v[24:25]
	v_mul_f64_e32 v[24:25], v[147:148], v[24:25]
	v_add_f64_e32 v[38:39], v[38:39], v[163:164]
	v_add_f64_e32 v[44:45], v[44:45], v[161:162]
	v_fma_f64 v[149:150], v[4:5], v[18:19], v[149:150]
	v_fma_f64 v[161:162], v[2:3], v[18:19], -v[20:21]
	ds_load_b128 v[2:5], v1 offset:1376
	ds_load_b128 v[18:21], v1 offset:1392
	v_fma_f64 v[147:148], v[147:148], v[22:23], v[159:160]
	v_fma_f64 v[22:23], v[145:146], v[22:23], -v[24:25]
	v_add_f64_e32 v[38:39], v[38:39], v[155:156]
	v_add_f64_e32 v[44:45], v[44:45], v[157:158]
	s_wait_loadcnt_dscnt 0x701
	v_mul_f64_e32 v[155:156], v[2:3], v[28:29]
	v_mul_f64_e32 v[28:29], v[4:5], v[28:29]
	s_delay_alu instid0(VALU_DEP_4) | instskip(NEXT) | instid1(VALU_DEP_4)
	v_add_f64_e32 v[24:25], v[38:39], v[161:162]
	v_add_f64_e32 v[38:39], v[44:45], v[149:150]
	s_wait_loadcnt_dscnt 0x600
	v_mul_f64_e32 v[44:45], v[18:19], v[32:33]
	v_mul_f64_e32 v[32:33], v[20:21], v[32:33]
	v_fma_f64 v[145:146], v[4:5], v[26:27], v[155:156]
	v_fma_f64 v[26:27], v[2:3], v[26:27], -v[28:29]
	v_add_f64_e32 v[28:29], v[24:25], v[22:23]
	v_add_f64_e32 v[38:39], v[38:39], v[147:148]
	ds_load_b128 v[2:5], v1 offset:1408
	ds_load_b128 v[22:25], v1 offset:1424
	v_fma_f64 v[20:21], v[20:21], v[30:31], v[44:45]
	v_fma_f64 v[18:19], v[18:19], v[30:31], -v[32:33]
	s_wait_loadcnt_dscnt 0x501
	v_mul_f64_e32 v[147:148], v[2:3], v[36:37]
	v_mul_f64_e32 v[36:37], v[4:5], v[36:37]
	s_wait_loadcnt_dscnt 0x400
	v_mul_f64_e32 v[30:31], v[22:23], v[42:43]
	v_add_f64_e32 v[26:27], v[28:29], v[26:27]
	v_add_f64_e32 v[28:29], v[38:39], v[145:146]
	v_mul_f64_e32 v[32:33], v[24:25], v[42:43]
	v_fma_f64 v[38:39], v[4:5], v[34:35], v[147:148]
	v_fma_f64 v[34:35], v[2:3], v[34:35], -v[36:37]
	v_fma_f64 v[24:25], v[24:25], v[40:41], v[30:31]
	v_add_f64_e32 v[26:27], v[26:27], v[18:19]
	v_add_f64_e32 v[28:29], v[28:29], v[20:21]
	ds_load_b128 v[2:5], v1 offset:1440
	ds_load_b128 v[18:21], v1 offset:1456
	v_fma_f64 v[22:23], v[22:23], v[40:41], -v[32:33]
	s_wait_loadcnt_dscnt 0x201
	v_mul_f64_e32 v[36:37], v[2:3], v[153:154]
	v_mul_f64_e32 v[42:43], v[4:5], v[153:154]
	s_wait_dscnt 0x0
	v_mul_f64_e32 v[30:31], v[18:19], v[8:9]
	v_mul_f64_e32 v[8:9], v[20:21], v[8:9]
	v_add_f64_e32 v[26:27], v[26:27], v[34:35]
	v_add_f64_e32 v[28:29], v[28:29], v[38:39]
	v_fma_f64 v[32:33], v[4:5], v[151:152], v[36:37]
	v_fma_f64 v[34:35], v[2:3], v[151:152], -v[42:43]
	v_fma_f64 v[20:21], v[20:21], v[6:7], v[30:31]
	v_fma_f64 v[6:7], v[18:19], v[6:7], -v[8:9]
	v_add_f64_e32 v[26:27], v[26:27], v[22:23]
	v_add_f64_e32 v[28:29], v[28:29], v[24:25]
	ds_load_b128 v[2:5], v1 offset:1472
	ds_load_b128 v[22:25], v1 offset:1488
	s_wait_loadcnt_dscnt 0x101
	v_mul_f64_e32 v[36:37], v[2:3], v[12:13]
	v_mul_f64_e32 v[12:13], v[4:5], v[12:13]
	v_add_f64_e32 v[8:9], v[26:27], v[34:35]
	v_add_f64_e32 v[18:19], v[28:29], v[32:33]
	s_wait_loadcnt_dscnt 0x0
	v_mul_f64_e32 v[26:27], v[22:23], v[16:17]
	v_mul_f64_e32 v[16:17], v[24:25], v[16:17]
	v_fma_f64 v[4:5], v[4:5], v[10:11], v[36:37]
	v_fma_f64 v[1:2], v[2:3], v[10:11], -v[12:13]
	v_add_f64_e32 v[6:7], v[8:9], v[6:7]
	v_add_f64_e32 v[8:9], v[18:19], v[20:21]
	v_fma_f64 v[10:11], v[24:25], v[14:15], v[26:27]
	v_fma_f64 v[12:13], v[22:23], v[14:15], -v[16:17]
	s_delay_alu instid0(VALU_DEP_4) | instskip(NEXT) | instid1(VALU_DEP_4)
	v_add_f64_e32 v[1:2], v[6:7], v[1:2]
	v_add_f64_e32 v[3:4], v[8:9], v[4:5]
	s_delay_alu instid0(VALU_DEP_2) | instskip(NEXT) | instid1(VALU_DEP_2)
	v_add_f64_e32 v[1:2], v[1:2], v[12:13]
	v_add_f64_e32 v[3:4], v[3:4], v[10:11]
	s_delay_alu instid0(VALU_DEP_2) | instskip(NEXT) | instid1(VALU_DEP_2)
	v_add_f64_e64 v[1:2], v[141:142], -v[1:2]
	v_add_f64_e64 v[3:4], v[143:144], -v[3:4]
	scratch_store_b128 off, v[1:4], off offset:368
	v_cmpx_lt_u32_e32 21, v0
	s_cbranch_execz .LBB46_253
; %bb.252:
	scratch_load_b128 v[1:4], off, s39
	v_mov_b32_e32 v5, 0
	s_delay_alu instid0(VALU_DEP_1)
	v_dual_mov_b32 v6, v5 :: v_dual_mov_b32 v7, v5
	v_mov_b32_e32 v8, v5
	scratch_store_b128 off, v[5:8], off offset:352
	s_wait_loadcnt 0x0
	ds_store_b128 v140, v[1:4]
.LBB46_253:
	s_wait_alu 0xfffe
	s_or_b32 exec_lo, exec_lo, s0
	s_wait_storecnt_dscnt 0x0
	s_barrier_signal -1
	s_barrier_wait -1
	global_inv scope:SCOPE_SE
	s_clause 0x7
	scratch_load_b128 v[2:5], off, off offset:368
	scratch_load_b128 v[6:9], off, off offset:384
	;; [unrolled: 1-line block ×8, first 2 shown]
	v_mov_b32_e32 v1, 0
	s_mov_b32 s0, exec_lo
	ds_load_b128 v[34:37], v1 offset:1104
	s_clause 0x1
	scratch_load_b128 v[38:41], off, off offset:496
	scratch_load_b128 v[42:45], off, off offset:352
	ds_load_b128 v[141:144], v1 offset:1120
	scratch_load_b128 v[145:148], off, off offset:512
	s_wait_loadcnt_dscnt 0xa01
	v_mul_f64_e32 v[149:150], v[36:37], v[4:5]
	v_mul_f64_e32 v[4:5], v[34:35], v[4:5]
	s_delay_alu instid0(VALU_DEP_2) | instskip(NEXT) | instid1(VALU_DEP_2)
	v_fma_f64 v[155:156], v[34:35], v[2:3], -v[149:150]
	v_fma_f64 v[157:158], v[36:37], v[2:3], v[4:5]
	ds_load_b128 v[2:5], v1 offset:1136
	s_wait_loadcnt_dscnt 0x901
	v_mul_f64_e32 v[153:154], v[141:142], v[8:9]
	v_mul_f64_e32 v[8:9], v[143:144], v[8:9]
	scratch_load_b128 v[34:37], off, off offset:528
	ds_load_b128 v[149:152], v1 offset:1152
	s_wait_loadcnt_dscnt 0x901
	v_mul_f64_e32 v[159:160], v[2:3], v[12:13]
	v_mul_f64_e32 v[12:13], v[4:5], v[12:13]
	v_fma_f64 v[143:144], v[143:144], v[6:7], v[153:154]
	v_fma_f64 v[141:142], v[141:142], v[6:7], -v[8:9]
	v_add_f64_e32 v[153:154], 0, v[155:156]
	v_add_f64_e32 v[155:156], 0, v[157:158]
	scratch_load_b128 v[6:9], off, off offset:544
	v_fma_f64 v[159:160], v[4:5], v[10:11], v[159:160]
	v_fma_f64 v[161:162], v[2:3], v[10:11], -v[12:13]
	ds_load_b128 v[2:5], v1 offset:1168
	s_wait_loadcnt_dscnt 0x901
	v_mul_f64_e32 v[157:158], v[149:150], v[16:17]
	v_mul_f64_e32 v[16:17], v[151:152], v[16:17]
	scratch_load_b128 v[10:13], off, off offset:560
	v_add_f64_e32 v[153:154], v[153:154], v[141:142]
	v_add_f64_e32 v[155:156], v[155:156], v[143:144]
	s_wait_loadcnt_dscnt 0x900
	v_mul_f64_e32 v[163:164], v[2:3], v[20:21]
	v_mul_f64_e32 v[20:21], v[4:5], v[20:21]
	ds_load_b128 v[141:144], v1 offset:1184
	v_fma_f64 v[151:152], v[151:152], v[14:15], v[157:158]
	v_fma_f64 v[149:150], v[149:150], v[14:15], -v[16:17]
	scratch_load_b128 v[14:17], off, off offset:576
	v_add_f64_e32 v[153:154], v[153:154], v[161:162]
	v_add_f64_e32 v[155:156], v[155:156], v[159:160]
	v_fma_f64 v[159:160], v[4:5], v[18:19], v[163:164]
	v_fma_f64 v[161:162], v[2:3], v[18:19], -v[20:21]
	ds_load_b128 v[2:5], v1 offset:1200
	s_wait_loadcnt_dscnt 0x901
	v_mul_f64_e32 v[157:158], v[141:142], v[24:25]
	v_mul_f64_e32 v[24:25], v[143:144], v[24:25]
	scratch_load_b128 v[18:21], off, off offset:592
	s_wait_loadcnt_dscnt 0x900
	v_mul_f64_e32 v[163:164], v[2:3], v[28:29]
	v_mul_f64_e32 v[28:29], v[4:5], v[28:29]
	v_add_f64_e32 v[153:154], v[153:154], v[149:150]
	v_add_f64_e32 v[155:156], v[155:156], v[151:152]
	ds_load_b128 v[149:152], v1 offset:1216
	v_fma_f64 v[143:144], v[143:144], v[22:23], v[157:158]
	v_fma_f64 v[141:142], v[141:142], v[22:23], -v[24:25]
	scratch_load_b128 v[22:25], off, off offset:608
	v_add_f64_e32 v[153:154], v[153:154], v[161:162]
	v_add_f64_e32 v[155:156], v[155:156], v[159:160]
	v_fma_f64 v[159:160], v[4:5], v[26:27], v[163:164]
	v_fma_f64 v[161:162], v[2:3], v[26:27], -v[28:29]
	ds_load_b128 v[2:5], v1 offset:1232
	s_wait_loadcnt_dscnt 0x901
	v_mul_f64_e32 v[157:158], v[149:150], v[32:33]
	v_mul_f64_e32 v[32:33], v[151:152], v[32:33]
	scratch_load_b128 v[26:29], off, off offset:624
	s_wait_loadcnt_dscnt 0x900
	v_mul_f64_e32 v[163:164], v[2:3], v[40:41]
	v_mul_f64_e32 v[40:41], v[4:5], v[40:41]
	v_add_f64_e32 v[153:154], v[153:154], v[141:142]
	v_add_f64_e32 v[155:156], v[155:156], v[143:144]
	ds_load_b128 v[141:144], v1 offset:1248
	v_fma_f64 v[151:152], v[151:152], v[30:31], v[157:158]
	v_fma_f64 v[149:150], v[149:150], v[30:31], -v[32:33]
	scratch_load_b128 v[30:33], off, off offset:640
	v_add_f64_e32 v[153:154], v[153:154], v[161:162]
	v_add_f64_e32 v[155:156], v[155:156], v[159:160]
	v_fma_f64 v[161:162], v[4:5], v[38:39], v[163:164]
	v_fma_f64 v[163:164], v[2:3], v[38:39], -v[40:41]
	ds_load_b128 v[2:5], v1 offset:1264
	s_wait_loadcnt_dscnt 0x801
	v_mul_f64_e32 v[157:158], v[141:142], v[147:148]
	v_mul_f64_e32 v[159:160], v[143:144], v[147:148]
	scratch_load_b128 v[38:41], off, off offset:656
	v_add_f64_e32 v[153:154], v[153:154], v[149:150]
	v_add_f64_e32 v[151:152], v[155:156], v[151:152]
	ds_load_b128 v[147:150], v1 offset:1280
	v_fma_f64 v[157:158], v[143:144], v[145:146], v[157:158]
	v_fma_f64 v[145:146], v[141:142], v[145:146], -v[159:160]
	scratch_load_b128 v[141:144], off, off offset:672
	s_wait_loadcnt_dscnt 0x901
	v_mul_f64_e32 v[155:156], v[2:3], v[36:37]
	v_mul_f64_e32 v[36:37], v[4:5], v[36:37]
	v_add_f64_e32 v[153:154], v[153:154], v[163:164]
	v_add_f64_e32 v[151:152], v[151:152], v[161:162]
	s_delay_alu instid0(VALU_DEP_4) | instskip(NEXT) | instid1(VALU_DEP_4)
	v_fma_f64 v[155:156], v[4:5], v[34:35], v[155:156]
	v_fma_f64 v[161:162], v[2:3], v[34:35], -v[36:37]
	ds_load_b128 v[2:5], v1 offset:1296
	s_wait_loadcnt_dscnt 0x801
	v_mul_f64_e32 v[159:160], v[147:148], v[8:9]
	v_mul_f64_e32 v[8:9], v[149:150], v[8:9]
	scratch_load_b128 v[34:37], off, off offset:688
	s_wait_loadcnt_dscnt 0x800
	v_mul_f64_e32 v[163:164], v[2:3], v[12:13]
	v_add_f64_e32 v[145:146], v[153:154], v[145:146]
	v_add_f64_e32 v[157:158], v[151:152], v[157:158]
	v_mul_f64_e32 v[12:13], v[4:5], v[12:13]
	ds_load_b128 v[151:154], v1 offset:1312
	v_fma_f64 v[149:150], v[149:150], v[6:7], v[159:160]
	v_fma_f64 v[147:148], v[147:148], v[6:7], -v[8:9]
	scratch_load_b128 v[6:9], off, off offset:704
	v_fma_f64 v[159:160], v[4:5], v[10:11], v[163:164]
	v_add_f64_e32 v[145:146], v[145:146], v[161:162]
	v_add_f64_e32 v[155:156], v[157:158], v[155:156]
	v_fma_f64 v[161:162], v[2:3], v[10:11], -v[12:13]
	ds_load_b128 v[2:5], v1 offset:1328
	s_wait_loadcnt_dscnt 0x801
	v_mul_f64_e32 v[157:158], v[151:152], v[16:17]
	v_mul_f64_e32 v[16:17], v[153:154], v[16:17]
	scratch_load_b128 v[10:13], off, off offset:720
	v_add_f64_e32 v[163:164], v[145:146], v[147:148]
	v_add_f64_e32 v[149:150], v[155:156], v[149:150]
	s_wait_loadcnt_dscnt 0x800
	v_mul_f64_e32 v[155:156], v[2:3], v[20:21]
	v_mul_f64_e32 v[20:21], v[4:5], v[20:21]
	v_fma_f64 v[153:154], v[153:154], v[14:15], v[157:158]
	v_fma_f64 v[151:152], v[151:152], v[14:15], -v[16:17]
	ds_load_b128 v[145:148], v1 offset:1344
	scratch_load_b128 v[14:17], off, off offset:736
	v_add_f64_e32 v[157:158], v[163:164], v[161:162]
	v_add_f64_e32 v[149:150], v[149:150], v[159:160]
	v_fma_f64 v[155:156], v[4:5], v[18:19], v[155:156]
	v_fma_f64 v[161:162], v[2:3], v[18:19], -v[20:21]
	ds_load_b128 v[2:5], v1 offset:1360
	s_wait_loadcnt_dscnt 0x801
	v_mul_f64_e32 v[159:160], v[145:146], v[24:25]
	v_mul_f64_e32 v[24:25], v[147:148], v[24:25]
	scratch_load_b128 v[18:21], off, off offset:752
	s_wait_loadcnt_dscnt 0x800
	v_mul_f64_e32 v[163:164], v[2:3], v[28:29]
	v_mul_f64_e32 v[28:29], v[4:5], v[28:29]
	v_add_f64_e32 v[157:158], v[157:158], v[151:152]
	v_add_f64_e32 v[153:154], v[149:150], v[153:154]
	ds_load_b128 v[149:152], v1 offset:1376
	v_fma_f64 v[147:148], v[147:148], v[22:23], v[159:160]
	v_fma_f64 v[22:23], v[145:146], v[22:23], -v[24:25]
	v_add_f64_e32 v[24:25], v[157:158], v[161:162]
	v_add_f64_e32 v[145:146], v[153:154], v[155:156]
	s_wait_loadcnt_dscnt 0x700
	v_mul_f64_e32 v[153:154], v[149:150], v[32:33]
	v_mul_f64_e32 v[32:33], v[151:152], v[32:33]
	v_fma_f64 v[155:156], v[4:5], v[26:27], v[163:164]
	v_fma_f64 v[26:27], v[2:3], v[26:27], -v[28:29]
	v_add_f64_e32 v[28:29], v[24:25], v[22:23]
	v_add_f64_e32 v[145:146], v[145:146], v[147:148]
	ds_load_b128 v[2:5], v1 offset:1392
	ds_load_b128 v[22:25], v1 offset:1408
	v_fma_f64 v[151:152], v[151:152], v[30:31], v[153:154]
	v_fma_f64 v[30:31], v[149:150], v[30:31], -v[32:33]
	s_wait_loadcnt_dscnt 0x601
	v_mul_f64_e32 v[147:148], v[2:3], v[40:41]
	v_mul_f64_e32 v[40:41], v[4:5], v[40:41]
	s_wait_loadcnt_dscnt 0x500
	v_mul_f64_e32 v[32:33], v[22:23], v[143:144]
	v_mul_f64_e32 v[143:144], v[24:25], v[143:144]
	v_add_f64_e32 v[26:27], v[28:29], v[26:27]
	v_add_f64_e32 v[28:29], v[145:146], v[155:156]
	v_fma_f64 v[145:146], v[4:5], v[38:39], v[147:148]
	v_fma_f64 v[38:39], v[2:3], v[38:39], -v[40:41]
	v_fma_f64 v[24:25], v[24:25], v[141:142], v[32:33]
	v_fma_f64 v[22:23], v[22:23], v[141:142], -v[143:144]
	v_add_f64_e32 v[30:31], v[26:27], v[30:31]
	v_add_f64_e32 v[40:41], v[28:29], v[151:152]
	ds_load_b128 v[2:5], v1 offset:1424
	ds_load_b128 v[26:29], v1 offset:1440
	s_wait_loadcnt_dscnt 0x401
	v_mul_f64_e32 v[147:148], v[2:3], v[36:37]
	v_mul_f64_e32 v[36:37], v[4:5], v[36:37]
	v_add_f64_e32 v[30:31], v[30:31], v[38:39]
	v_add_f64_e32 v[32:33], v[40:41], v[145:146]
	s_wait_loadcnt_dscnt 0x300
	v_mul_f64_e32 v[38:39], v[26:27], v[8:9]
	v_mul_f64_e32 v[8:9], v[28:29], v[8:9]
	v_fma_f64 v[40:41], v[4:5], v[34:35], v[147:148]
	v_fma_f64 v[34:35], v[2:3], v[34:35], -v[36:37]
	v_add_f64_e32 v[30:31], v[30:31], v[22:23]
	v_add_f64_e32 v[32:33], v[32:33], v[24:25]
	ds_load_b128 v[2:5], v1 offset:1456
	ds_load_b128 v[22:25], v1 offset:1472
	v_fma_f64 v[28:29], v[28:29], v[6:7], v[38:39]
	v_fma_f64 v[6:7], v[26:27], v[6:7], -v[8:9]
	s_wait_loadcnt_dscnt 0x201
	v_mul_f64_e32 v[36:37], v[2:3], v[12:13]
	v_mul_f64_e32 v[12:13], v[4:5], v[12:13]
	v_add_f64_e32 v[8:9], v[30:31], v[34:35]
	v_add_f64_e32 v[26:27], v[32:33], v[40:41]
	s_wait_loadcnt_dscnt 0x100
	v_mul_f64_e32 v[30:31], v[22:23], v[16:17]
	v_mul_f64_e32 v[16:17], v[24:25], v[16:17]
	v_fma_f64 v[32:33], v[4:5], v[10:11], v[36:37]
	v_fma_f64 v[10:11], v[2:3], v[10:11], -v[12:13]
	ds_load_b128 v[2:5], v1 offset:1488
	v_add_f64_e32 v[6:7], v[8:9], v[6:7]
	v_add_f64_e32 v[8:9], v[26:27], v[28:29]
	v_fma_f64 v[24:25], v[24:25], v[14:15], v[30:31]
	v_fma_f64 v[14:15], v[22:23], v[14:15], -v[16:17]
	s_wait_loadcnt_dscnt 0x0
	v_mul_f64_e32 v[12:13], v[2:3], v[20:21]
	v_mul_f64_e32 v[20:21], v[4:5], v[20:21]
	v_add_f64_e32 v[6:7], v[6:7], v[10:11]
	v_add_f64_e32 v[8:9], v[8:9], v[32:33]
	s_delay_alu instid0(VALU_DEP_4) | instskip(NEXT) | instid1(VALU_DEP_4)
	v_fma_f64 v[4:5], v[4:5], v[18:19], v[12:13]
	v_fma_f64 v[2:3], v[2:3], v[18:19], -v[20:21]
	s_delay_alu instid0(VALU_DEP_4) | instskip(NEXT) | instid1(VALU_DEP_4)
	v_add_f64_e32 v[6:7], v[6:7], v[14:15]
	v_add_f64_e32 v[8:9], v[8:9], v[24:25]
	s_delay_alu instid0(VALU_DEP_2) | instskip(NEXT) | instid1(VALU_DEP_2)
	v_add_f64_e32 v[2:3], v[6:7], v[2:3]
	v_add_f64_e32 v[4:5], v[8:9], v[4:5]
	s_delay_alu instid0(VALU_DEP_2) | instskip(NEXT) | instid1(VALU_DEP_2)
	v_add_f64_e64 v[2:3], v[42:43], -v[2:3]
	v_add_f64_e64 v[4:5], v[44:45], -v[4:5]
	scratch_store_b128 off, v[2:5], off offset:352
	v_cmpx_lt_u32_e32 20, v0
	s_cbranch_execz .LBB46_255
; %bb.254:
	scratch_load_b128 v[5:8], off, s40
	v_dual_mov_b32 v2, v1 :: v_dual_mov_b32 v3, v1
	v_mov_b32_e32 v4, v1
	scratch_store_b128 off, v[1:4], off offset:336
	s_wait_loadcnt 0x0
	ds_store_b128 v140, v[5:8]
.LBB46_255:
	s_wait_alu 0xfffe
	s_or_b32 exec_lo, exec_lo, s0
	s_wait_storecnt_dscnt 0x0
	s_barrier_signal -1
	s_barrier_wait -1
	global_inv scope:SCOPE_SE
	s_clause 0x8
	scratch_load_b128 v[2:5], off, off offset:352
	scratch_load_b128 v[6:9], off, off offset:368
	scratch_load_b128 v[10:13], off, off offset:384
	scratch_load_b128 v[14:17], off, off offset:400
	scratch_load_b128 v[18:21], off, off offset:416
	scratch_load_b128 v[22:25], off, off offset:432
	scratch_load_b128 v[26:29], off, off offset:448
	scratch_load_b128 v[30:33], off, off offset:464
	scratch_load_b128 v[34:37], off, off offset:480
	ds_load_b128 v[38:41], v1 offset:1088
	ds_load_b128 v[42:45], v1 offset:1104
	s_clause 0x1
	scratch_load_b128 v[141:144], off, off offset:336
	scratch_load_b128 v[145:148], off, off offset:496
	s_mov_b32 s0, exec_lo
	s_wait_loadcnt_dscnt 0xa01
	v_mul_f64_e32 v[149:150], v[40:41], v[4:5]
	v_mul_f64_e32 v[4:5], v[38:39], v[4:5]
	s_wait_loadcnt_dscnt 0x900
	v_mul_f64_e32 v[153:154], v[42:43], v[8:9]
	v_mul_f64_e32 v[8:9], v[44:45], v[8:9]
	s_delay_alu instid0(VALU_DEP_4) | instskip(NEXT) | instid1(VALU_DEP_4)
	v_fma_f64 v[155:156], v[38:39], v[2:3], -v[149:150]
	v_fma_f64 v[157:158], v[40:41], v[2:3], v[4:5]
	ds_load_b128 v[2:5], v1 offset:1120
	ds_load_b128 v[149:152], v1 offset:1136
	scratch_load_b128 v[38:41], off, off offset:512
	v_fma_f64 v[44:45], v[44:45], v[6:7], v[153:154]
	v_fma_f64 v[42:43], v[42:43], v[6:7], -v[8:9]
	scratch_load_b128 v[6:9], off, off offset:528
	s_wait_loadcnt_dscnt 0xa01
	v_mul_f64_e32 v[159:160], v[2:3], v[12:13]
	v_mul_f64_e32 v[12:13], v[4:5], v[12:13]
	v_add_f64_e32 v[153:154], 0, v[155:156]
	v_add_f64_e32 v[155:156], 0, v[157:158]
	s_wait_loadcnt_dscnt 0x900
	v_mul_f64_e32 v[157:158], v[149:150], v[16:17]
	v_mul_f64_e32 v[16:17], v[151:152], v[16:17]
	v_fma_f64 v[159:160], v[4:5], v[10:11], v[159:160]
	v_fma_f64 v[161:162], v[2:3], v[10:11], -v[12:13]
	ds_load_b128 v[2:5], v1 offset:1152
	scratch_load_b128 v[10:13], off, off offset:544
	v_add_f64_e32 v[153:154], v[153:154], v[42:43]
	v_add_f64_e32 v[155:156], v[155:156], v[44:45]
	ds_load_b128 v[42:45], v1 offset:1168
	v_fma_f64 v[151:152], v[151:152], v[14:15], v[157:158]
	v_fma_f64 v[149:150], v[149:150], v[14:15], -v[16:17]
	scratch_load_b128 v[14:17], off, off offset:560
	s_wait_loadcnt_dscnt 0xa01
	v_mul_f64_e32 v[163:164], v[2:3], v[20:21]
	v_mul_f64_e32 v[20:21], v[4:5], v[20:21]
	s_wait_loadcnt_dscnt 0x900
	v_mul_f64_e32 v[157:158], v[42:43], v[24:25]
	v_mul_f64_e32 v[24:25], v[44:45], v[24:25]
	v_add_f64_e32 v[153:154], v[153:154], v[161:162]
	v_add_f64_e32 v[155:156], v[155:156], v[159:160]
	v_fma_f64 v[159:160], v[4:5], v[18:19], v[163:164]
	v_fma_f64 v[161:162], v[2:3], v[18:19], -v[20:21]
	ds_load_b128 v[2:5], v1 offset:1184
	scratch_load_b128 v[18:21], off, off offset:576
	v_fma_f64 v[44:45], v[44:45], v[22:23], v[157:158]
	v_fma_f64 v[42:43], v[42:43], v[22:23], -v[24:25]
	scratch_load_b128 v[22:25], off, off offset:592
	v_add_f64_e32 v[153:154], v[153:154], v[149:150]
	v_add_f64_e32 v[155:156], v[155:156], v[151:152]
	ds_load_b128 v[149:152], v1 offset:1200
	s_wait_loadcnt_dscnt 0xa01
	v_mul_f64_e32 v[163:164], v[2:3], v[28:29]
	v_mul_f64_e32 v[28:29], v[4:5], v[28:29]
	s_wait_loadcnt_dscnt 0x900
	v_mul_f64_e32 v[157:158], v[149:150], v[32:33]
	v_mul_f64_e32 v[32:33], v[151:152], v[32:33]
	v_add_f64_e32 v[153:154], v[153:154], v[161:162]
	v_add_f64_e32 v[155:156], v[155:156], v[159:160]
	v_fma_f64 v[159:160], v[4:5], v[26:27], v[163:164]
	v_fma_f64 v[161:162], v[2:3], v[26:27], -v[28:29]
	ds_load_b128 v[2:5], v1 offset:1216
	scratch_load_b128 v[26:29], off, off offset:608
	v_fma_f64 v[151:152], v[151:152], v[30:31], v[157:158]
	v_fma_f64 v[149:150], v[149:150], v[30:31], -v[32:33]
	scratch_load_b128 v[30:33], off, off offset:624
	v_add_f64_e32 v[153:154], v[153:154], v[42:43]
	v_add_f64_e32 v[155:156], v[155:156], v[44:45]
	ds_load_b128 v[42:45], v1 offset:1232
	s_wait_loadcnt_dscnt 0xa01
	v_mul_f64_e32 v[163:164], v[2:3], v[36:37]
	v_mul_f64_e32 v[36:37], v[4:5], v[36:37]
	s_wait_loadcnt_dscnt 0x800
	v_mul_f64_e32 v[157:158], v[42:43], v[147:148]
	v_add_f64_e32 v[153:154], v[153:154], v[161:162]
	v_add_f64_e32 v[155:156], v[155:156], v[159:160]
	v_mul_f64_e32 v[159:160], v[44:45], v[147:148]
	v_fma_f64 v[161:162], v[4:5], v[34:35], v[163:164]
	v_fma_f64 v[163:164], v[2:3], v[34:35], -v[36:37]
	ds_load_b128 v[2:5], v1 offset:1248
	scratch_load_b128 v[34:37], off, off offset:640
	v_fma_f64 v[44:45], v[44:45], v[145:146], v[157:158]
	v_add_f64_e32 v[153:154], v[153:154], v[149:150]
	v_add_f64_e32 v[151:152], v[155:156], v[151:152]
	ds_load_b128 v[147:150], v1 offset:1264
	v_fma_f64 v[145:146], v[42:43], v[145:146], -v[159:160]
	s_wait_loadcnt_dscnt 0x801
	v_mul_f64_e32 v[155:156], v[2:3], v[40:41]
	v_mul_f64_e32 v[165:166], v[4:5], v[40:41]
	scratch_load_b128 v[40:43], off, off offset:656
	s_wait_loadcnt_dscnt 0x800
	v_mul_f64_e32 v[159:160], v[147:148], v[8:9]
	v_mul_f64_e32 v[8:9], v[149:150], v[8:9]
	v_add_f64_e32 v[153:154], v[153:154], v[163:164]
	v_add_f64_e32 v[151:152], v[151:152], v[161:162]
	v_fma_f64 v[161:162], v[4:5], v[38:39], v[155:156]
	v_fma_f64 v[38:39], v[2:3], v[38:39], -v[165:166]
	ds_load_b128 v[2:5], v1 offset:1280
	ds_load_b128 v[155:158], v1 offset:1296
	v_fma_f64 v[149:150], v[149:150], v[6:7], v[159:160]
	v_fma_f64 v[147:148], v[147:148], v[6:7], -v[8:9]
	scratch_load_b128 v[6:9], off, off offset:688
	v_add_f64_e32 v[145:146], v[153:154], v[145:146]
	v_add_f64_e32 v[44:45], v[151:152], v[44:45]
	scratch_load_b128 v[151:154], off, off offset:672
	s_wait_loadcnt_dscnt 0x901
	v_mul_f64_e32 v[163:164], v[2:3], v[12:13]
	v_mul_f64_e32 v[12:13], v[4:5], v[12:13]
	s_wait_loadcnt_dscnt 0x800
	v_mul_f64_e32 v[159:160], v[155:156], v[16:17]
	v_mul_f64_e32 v[16:17], v[157:158], v[16:17]
	v_add_f64_e32 v[38:39], v[145:146], v[38:39]
	v_add_f64_e32 v[44:45], v[44:45], v[161:162]
	v_fma_f64 v[161:162], v[4:5], v[10:11], v[163:164]
	v_fma_f64 v[163:164], v[2:3], v[10:11], -v[12:13]
	ds_load_b128 v[2:5], v1 offset:1312
	scratch_load_b128 v[10:13], off, off offset:704
	v_fma_f64 v[157:158], v[157:158], v[14:15], v[159:160]
	v_fma_f64 v[155:156], v[155:156], v[14:15], -v[16:17]
	scratch_load_b128 v[14:17], off, off offset:720
	v_add_f64_e32 v[38:39], v[38:39], v[147:148]
	v_add_f64_e32 v[44:45], v[44:45], v[149:150]
	ds_load_b128 v[145:148], v1 offset:1328
	s_wait_loadcnt_dscnt 0x901
	v_mul_f64_e32 v[149:150], v[2:3], v[20:21]
	v_mul_f64_e32 v[20:21], v[4:5], v[20:21]
	s_wait_loadcnt_dscnt 0x800
	v_mul_f64_e32 v[159:160], v[145:146], v[24:25]
	v_mul_f64_e32 v[24:25], v[147:148], v[24:25]
	v_add_f64_e32 v[38:39], v[38:39], v[163:164]
	v_add_f64_e32 v[44:45], v[44:45], v[161:162]
	v_fma_f64 v[149:150], v[4:5], v[18:19], v[149:150]
	v_fma_f64 v[161:162], v[2:3], v[18:19], -v[20:21]
	ds_load_b128 v[2:5], v1 offset:1344
	scratch_load_b128 v[18:21], off, off offset:736
	v_fma_f64 v[147:148], v[147:148], v[22:23], v[159:160]
	v_fma_f64 v[145:146], v[145:146], v[22:23], -v[24:25]
	scratch_load_b128 v[22:25], off, off offset:752
	v_add_f64_e32 v[38:39], v[38:39], v[155:156]
	v_add_f64_e32 v[44:45], v[44:45], v[157:158]
	ds_load_b128 v[155:158], v1 offset:1360
	s_wait_loadcnt_dscnt 0x901
	v_mul_f64_e32 v[163:164], v[2:3], v[28:29]
	v_mul_f64_e32 v[28:29], v[4:5], v[28:29]
	v_add_f64_e32 v[38:39], v[38:39], v[161:162]
	v_add_f64_e32 v[44:45], v[44:45], v[149:150]
	s_wait_loadcnt_dscnt 0x800
	v_mul_f64_e32 v[149:150], v[155:156], v[32:33]
	v_mul_f64_e32 v[32:33], v[157:158], v[32:33]
	v_fma_f64 v[159:160], v[4:5], v[26:27], v[163:164]
	v_fma_f64 v[161:162], v[2:3], v[26:27], -v[28:29]
	ds_load_b128 v[2:5], v1 offset:1376
	ds_load_b128 v[26:29], v1 offset:1392
	v_add_f64_e32 v[38:39], v[38:39], v[145:146]
	v_add_f64_e32 v[44:45], v[44:45], v[147:148]
	s_wait_loadcnt_dscnt 0x701
	v_mul_f64_e32 v[145:146], v[2:3], v[36:37]
	v_mul_f64_e32 v[36:37], v[4:5], v[36:37]
	v_fma_f64 v[147:148], v[157:158], v[30:31], v[149:150]
	v_fma_f64 v[30:31], v[155:156], v[30:31], -v[32:33]
	v_add_f64_e32 v[32:33], v[38:39], v[161:162]
	v_add_f64_e32 v[38:39], v[44:45], v[159:160]
	s_wait_loadcnt_dscnt 0x600
	v_mul_f64_e32 v[44:45], v[26:27], v[42:43]
	v_mul_f64_e32 v[42:43], v[28:29], v[42:43]
	v_fma_f64 v[145:146], v[4:5], v[34:35], v[145:146]
	v_fma_f64 v[34:35], v[2:3], v[34:35], -v[36:37]
	v_add_f64_e32 v[36:37], v[32:33], v[30:31]
	v_add_f64_e32 v[38:39], v[38:39], v[147:148]
	ds_load_b128 v[2:5], v1 offset:1408
	ds_load_b128 v[30:33], v1 offset:1424
	v_fma_f64 v[28:29], v[28:29], v[40:41], v[44:45]
	v_fma_f64 v[26:27], v[26:27], v[40:41], -v[42:43]
	s_wait_loadcnt_dscnt 0x401
	v_mul_f64_e32 v[147:148], v[2:3], v[153:154]
	v_mul_f64_e32 v[149:150], v[4:5], v[153:154]
	v_add_f64_e32 v[34:35], v[36:37], v[34:35]
	v_add_f64_e32 v[36:37], v[38:39], v[145:146]
	s_wait_dscnt 0x0
	v_mul_f64_e32 v[38:39], v[30:31], v[8:9]
	v_mul_f64_e32 v[8:9], v[32:33], v[8:9]
	v_fma_f64 v[40:41], v[4:5], v[151:152], v[147:148]
	v_fma_f64 v[42:43], v[2:3], v[151:152], -v[149:150]
	v_add_f64_e32 v[34:35], v[34:35], v[26:27]
	v_add_f64_e32 v[36:37], v[36:37], v[28:29]
	ds_load_b128 v[2:5], v1 offset:1440
	ds_load_b128 v[26:29], v1 offset:1456
	v_fma_f64 v[32:33], v[32:33], v[6:7], v[38:39]
	v_fma_f64 v[6:7], v[30:31], v[6:7], -v[8:9]
	s_wait_loadcnt_dscnt 0x301
	v_mul_f64_e32 v[44:45], v[2:3], v[12:13]
	v_mul_f64_e32 v[12:13], v[4:5], v[12:13]
	v_add_f64_e32 v[8:9], v[34:35], v[42:43]
	v_add_f64_e32 v[30:31], v[36:37], v[40:41]
	s_wait_loadcnt_dscnt 0x200
	v_mul_f64_e32 v[34:35], v[26:27], v[16:17]
	v_mul_f64_e32 v[16:17], v[28:29], v[16:17]
	v_fma_f64 v[36:37], v[4:5], v[10:11], v[44:45]
	v_fma_f64 v[10:11], v[2:3], v[10:11], -v[12:13]
	v_add_f64_e32 v[12:13], v[8:9], v[6:7]
	v_add_f64_e32 v[30:31], v[30:31], v[32:33]
	ds_load_b128 v[2:5], v1 offset:1472
	ds_load_b128 v[6:9], v1 offset:1488
	v_fma_f64 v[28:29], v[28:29], v[14:15], v[34:35]
	v_fma_f64 v[14:15], v[26:27], v[14:15], -v[16:17]
	s_wait_loadcnt_dscnt 0x101
	v_mul_f64_e32 v[32:33], v[2:3], v[20:21]
	v_mul_f64_e32 v[20:21], v[4:5], v[20:21]
	s_wait_loadcnt_dscnt 0x0
	v_mul_f64_e32 v[16:17], v[6:7], v[24:25]
	v_mul_f64_e32 v[24:25], v[8:9], v[24:25]
	v_add_f64_e32 v[10:11], v[12:13], v[10:11]
	v_add_f64_e32 v[12:13], v[30:31], v[36:37]
	v_fma_f64 v[4:5], v[4:5], v[18:19], v[32:33]
	v_fma_f64 v[1:2], v[2:3], v[18:19], -v[20:21]
	v_fma_f64 v[8:9], v[8:9], v[22:23], v[16:17]
	v_fma_f64 v[6:7], v[6:7], v[22:23], -v[24:25]
	v_add_f64_e32 v[10:11], v[10:11], v[14:15]
	v_add_f64_e32 v[12:13], v[12:13], v[28:29]
	s_delay_alu instid0(VALU_DEP_2) | instskip(NEXT) | instid1(VALU_DEP_2)
	v_add_f64_e32 v[1:2], v[10:11], v[1:2]
	v_add_f64_e32 v[3:4], v[12:13], v[4:5]
	s_delay_alu instid0(VALU_DEP_2) | instskip(NEXT) | instid1(VALU_DEP_2)
	;; [unrolled: 3-line block ×3, first 2 shown]
	v_add_f64_e64 v[1:2], v[141:142], -v[1:2]
	v_add_f64_e64 v[3:4], v[143:144], -v[3:4]
	scratch_store_b128 off, v[1:4], off offset:336
	v_cmpx_lt_u32_e32 19, v0
	s_cbranch_execz .LBB46_257
; %bb.256:
	scratch_load_b128 v[1:4], off, s41
	v_mov_b32_e32 v5, 0
	s_delay_alu instid0(VALU_DEP_1)
	v_dual_mov_b32 v6, v5 :: v_dual_mov_b32 v7, v5
	v_mov_b32_e32 v8, v5
	scratch_store_b128 off, v[5:8], off offset:320
	s_wait_loadcnt 0x0
	ds_store_b128 v140, v[1:4]
.LBB46_257:
	s_wait_alu 0xfffe
	s_or_b32 exec_lo, exec_lo, s0
	s_wait_storecnt_dscnt 0x0
	s_barrier_signal -1
	s_barrier_wait -1
	global_inv scope:SCOPE_SE
	s_clause 0x7
	scratch_load_b128 v[2:5], off, off offset:336
	scratch_load_b128 v[6:9], off, off offset:352
	;; [unrolled: 1-line block ×8, first 2 shown]
	v_mov_b32_e32 v1, 0
	s_mov_b32 s0, exec_lo
	ds_load_b128 v[34:37], v1 offset:1072
	s_clause 0x1
	scratch_load_b128 v[38:41], off, off offset:464
	scratch_load_b128 v[42:45], off, off offset:320
	ds_load_b128 v[141:144], v1 offset:1088
	scratch_load_b128 v[145:148], off, off offset:480
	s_wait_loadcnt_dscnt 0xa01
	v_mul_f64_e32 v[149:150], v[36:37], v[4:5]
	v_mul_f64_e32 v[4:5], v[34:35], v[4:5]
	s_delay_alu instid0(VALU_DEP_2) | instskip(NEXT) | instid1(VALU_DEP_2)
	v_fma_f64 v[155:156], v[34:35], v[2:3], -v[149:150]
	v_fma_f64 v[157:158], v[36:37], v[2:3], v[4:5]
	ds_load_b128 v[2:5], v1 offset:1104
	s_wait_loadcnt_dscnt 0x901
	v_mul_f64_e32 v[153:154], v[141:142], v[8:9]
	v_mul_f64_e32 v[8:9], v[143:144], v[8:9]
	scratch_load_b128 v[34:37], off, off offset:496
	ds_load_b128 v[149:152], v1 offset:1120
	s_wait_loadcnt_dscnt 0x901
	v_mul_f64_e32 v[159:160], v[2:3], v[12:13]
	v_mul_f64_e32 v[12:13], v[4:5], v[12:13]
	v_fma_f64 v[143:144], v[143:144], v[6:7], v[153:154]
	v_fma_f64 v[141:142], v[141:142], v[6:7], -v[8:9]
	v_add_f64_e32 v[153:154], 0, v[155:156]
	v_add_f64_e32 v[155:156], 0, v[157:158]
	scratch_load_b128 v[6:9], off, off offset:512
	v_fma_f64 v[159:160], v[4:5], v[10:11], v[159:160]
	v_fma_f64 v[161:162], v[2:3], v[10:11], -v[12:13]
	ds_load_b128 v[2:5], v1 offset:1136
	s_wait_loadcnt_dscnt 0x901
	v_mul_f64_e32 v[157:158], v[149:150], v[16:17]
	v_mul_f64_e32 v[16:17], v[151:152], v[16:17]
	scratch_load_b128 v[10:13], off, off offset:528
	v_add_f64_e32 v[153:154], v[153:154], v[141:142]
	v_add_f64_e32 v[155:156], v[155:156], v[143:144]
	s_wait_loadcnt_dscnt 0x900
	v_mul_f64_e32 v[163:164], v[2:3], v[20:21]
	v_mul_f64_e32 v[20:21], v[4:5], v[20:21]
	ds_load_b128 v[141:144], v1 offset:1152
	v_fma_f64 v[151:152], v[151:152], v[14:15], v[157:158]
	v_fma_f64 v[149:150], v[149:150], v[14:15], -v[16:17]
	scratch_load_b128 v[14:17], off, off offset:544
	v_add_f64_e32 v[153:154], v[153:154], v[161:162]
	v_add_f64_e32 v[155:156], v[155:156], v[159:160]
	v_fma_f64 v[159:160], v[4:5], v[18:19], v[163:164]
	v_fma_f64 v[161:162], v[2:3], v[18:19], -v[20:21]
	ds_load_b128 v[2:5], v1 offset:1168
	s_wait_loadcnt_dscnt 0x901
	v_mul_f64_e32 v[157:158], v[141:142], v[24:25]
	v_mul_f64_e32 v[24:25], v[143:144], v[24:25]
	scratch_load_b128 v[18:21], off, off offset:560
	s_wait_loadcnt_dscnt 0x900
	v_mul_f64_e32 v[163:164], v[2:3], v[28:29]
	v_mul_f64_e32 v[28:29], v[4:5], v[28:29]
	v_add_f64_e32 v[153:154], v[153:154], v[149:150]
	v_add_f64_e32 v[155:156], v[155:156], v[151:152]
	ds_load_b128 v[149:152], v1 offset:1184
	v_fma_f64 v[143:144], v[143:144], v[22:23], v[157:158]
	v_fma_f64 v[141:142], v[141:142], v[22:23], -v[24:25]
	scratch_load_b128 v[22:25], off, off offset:576
	v_add_f64_e32 v[153:154], v[153:154], v[161:162]
	v_add_f64_e32 v[155:156], v[155:156], v[159:160]
	v_fma_f64 v[159:160], v[4:5], v[26:27], v[163:164]
	v_fma_f64 v[161:162], v[2:3], v[26:27], -v[28:29]
	ds_load_b128 v[2:5], v1 offset:1200
	s_wait_loadcnt_dscnt 0x901
	v_mul_f64_e32 v[157:158], v[149:150], v[32:33]
	v_mul_f64_e32 v[32:33], v[151:152], v[32:33]
	scratch_load_b128 v[26:29], off, off offset:592
	s_wait_loadcnt_dscnt 0x900
	v_mul_f64_e32 v[163:164], v[2:3], v[40:41]
	v_mul_f64_e32 v[40:41], v[4:5], v[40:41]
	v_add_f64_e32 v[153:154], v[153:154], v[141:142]
	v_add_f64_e32 v[155:156], v[155:156], v[143:144]
	ds_load_b128 v[141:144], v1 offset:1216
	v_fma_f64 v[151:152], v[151:152], v[30:31], v[157:158]
	v_fma_f64 v[149:150], v[149:150], v[30:31], -v[32:33]
	scratch_load_b128 v[30:33], off, off offset:608
	v_add_f64_e32 v[153:154], v[153:154], v[161:162]
	v_add_f64_e32 v[155:156], v[155:156], v[159:160]
	v_fma_f64 v[161:162], v[4:5], v[38:39], v[163:164]
	v_fma_f64 v[163:164], v[2:3], v[38:39], -v[40:41]
	ds_load_b128 v[2:5], v1 offset:1232
	s_wait_loadcnt_dscnt 0x801
	v_mul_f64_e32 v[157:158], v[141:142], v[147:148]
	v_mul_f64_e32 v[159:160], v[143:144], v[147:148]
	scratch_load_b128 v[38:41], off, off offset:624
	v_add_f64_e32 v[153:154], v[153:154], v[149:150]
	v_add_f64_e32 v[151:152], v[155:156], v[151:152]
	ds_load_b128 v[147:150], v1 offset:1248
	v_fma_f64 v[157:158], v[143:144], v[145:146], v[157:158]
	v_fma_f64 v[145:146], v[141:142], v[145:146], -v[159:160]
	scratch_load_b128 v[141:144], off, off offset:640
	s_wait_loadcnt_dscnt 0x901
	v_mul_f64_e32 v[155:156], v[2:3], v[36:37]
	v_mul_f64_e32 v[36:37], v[4:5], v[36:37]
	v_add_f64_e32 v[153:154], v[153:154], v[163:164]
	v_add_f64_e32 v[151:152], v[151:152], v[161:162]
	s_delay_alu instid0(VALU_DEP_4) | instskip(NEXT) | instid1(VALU_DEP_4)
	v_fma_f64 v[155:156], v[4:5], v[34:35], v[155:156]
	v_fma_f64 v[161:162], v[2:3], v[34:35], -v[36:37]
	ds_load_b128 v[2:5], v1 offset:1264
	s_wait_loadcnt_dscnt 0x801
	v_mul_f64_e32 v[159:160], v[147:148], v[8:9]
	v_mul_f64_e32 v[8:9], v[149:150], v[8:9]
	scratch_load_b128 v[34:37], off, off offset:656
	s_wait_loadcnt_dscnt 0x800
	v_mul_f64_e32 v[163:164], v[2:3], v[12:13]
	v_add_f64_e32 v[145:146], v[153:154], v[145:146]
	v_add_f64_e32 v[157:158], v[151:152], v[157:158]
	v_mul_f64_e32 v[12:13], v[4:5], v[12:13]
	ds_load_b128 v[151:154], v1 offset:1280
	v_fma_f64 v[149:150], v[149:150], v[6:7], v[159:160]
	v_fma_f64 v[147:148], v[147:148], v[6:7], -v[8:9]
	scratch_load_b128 v[6:9], off, off offset:672
	v_fma_f64 v[159:160], v[4:5], v[10:11], v[163:164]
	v_add_f64_e32 v[145:146], v[145:146], v[161:162]
	v_add_f64_e32 v[155:156], v[157:158], v[155:156]
	v_fma_f64 v[161:162], v[2:3], v[10:11], -v[12:13]
	ds_load_b128 v[2:5], v1 offset:1296
	s_wait_loadcnt_dscnt 0x801
	v_mul_f64_e32 v[157:158], v[151:152], v[16:17]
	v_mul_f64_e32 v[16:17], v[153:154], v[16:17]
	scratch_load_b128 v[10:13], off, off offset:688
	v_add_f64_e32 v[163:164], v[145:146], v[147:148]
	v_add_f64_e32 v[149:150], v[155:156], v[149:150]
	s_wait_loadcnt_dscnt 0x800
	v_mul_f64_e32 v[155:156], v[2:3], v[20:21]
	v_mul_f64_e32 v[20:21], v[4:5], v[20:21]
	v_fma_f64 v[153:154], v[153:154], v[14:15], v[157:158]
	v_fma_f64 v[151:152], v[151:152], v[14:15], -v[16:17]
	ds_load_b128 v[145:148], v1 offset:1312
	scratch_load_b128 v[14:17], off, off offset:704
	v_add_f64_e32 v[157:158], v[163:164], v[161:162]
	v_add_f64_e32 v[149:150], v[149:150], v[159:160]
	v_fma_f64 v[155:156], v[4:5], v[18:19], v[155:156]
	v_fma_f64 v[161:162], v[2:3], v[18:19], -v[20:21]
	ds_load_b128 v[2:5], v1 offset:1328
	s_wait_loadcnt_dscnt 0x801
	v_mul_f64_e32 v[159:160], v[145:146], v[24:25]
	v_mul_f64_e32 v[24:25], v[147:148], v[24:25]
	scratch_load_b128 v[18:21], off, off offset:720
	s_wait_loadcnt_dscnt 0x800
	v_mul_f64_e32 v[163:164], v[2:3], v[28:29]
	v_mul_f64_e32 v[28:29], v[4:5], v[28:29]
	v_add_f64_e32 v[157:158], v[157:158], v[151:152]
	v_add_f64_e32 v[153:154], v[149:150], v[153:154]
	ds_load_b128 v[149:152], v1 offset:1344
	v_fma_f64 v[147:148], v[147:148], v[22:23], v[159:160]
	v_fma_f64 v[145:146], v[145:146], v[22:23], -v[24:25]
	scratch_load_b128 v[22:25], off, off offset:736
	v_fma_f64 v[159:160], v[4:5], v[26:27], v[163:164]
	v_add_f64_e32 v[157:158], v[157:158], v[161:162]
	v_add_f64_e32 v[153:154], v[153:154], v[155:156]
	v_fma_f64 v[161:162], v[2:3], v[26:27], -v[28:29]
	ds_load_b128 v[2:5], v1 offset:1360
	s_wait_loadcnt_dscnt 0x801
	v_mul_f64_e32 v[155:156], v[149:150], v[32:33]
	v_mul_f64_e32 v[32:33], v[151:152], v[32:33]
	scratch_load_b128 v[26:29], off, off offset:752
	s_wait_loadcnt_dscnt 0x800
	v_mul_f64_e32 v[163:164], v[2:3], v[40:41]
	v_mul_f64_e32 v[40:41], v[4:5], v[40:41]
	v_add_f64_e32 v[157:158], v[157:158], v[145:146]
	v_add_f64_e32 v[153:154], v[153:154], v[147:148]
	ds_load_b128 v[145:148], v1 offset:1376
	v_fma_f64 v[151:152], v[151:152], v[30:31], v[155:156]
	v_fma_f64 v[30:31], v[149:150], v[30:31], -v[32:33]
	v_fma_f64 v[155:156], v[4:5], v[38:39], v[163:164]
	v_fma_f64 v[38:39], v[2:3], v[38:39], -v[40:41]
	v_add_f64_e32 v[32:33], v[157:158], v[161:162]
	v_add_f64_e32 v[149:150], v[153:154], v[159:160]
	s_wait_loadcnt_dscnt 0x700
	v_mul_f64_e32 v[153:154], v[145:146], v[143:144]
	v_mul_f64_e32 v[143:144], v[147:148], v[143:144]
	s_delay_alu instid0(VALU_DEP_4) | instskip(NEXT) | instid1(VALU_DEP_4)
	v_add_f64_e32 v[40:41], v[32:33], v[30:31]
	v_add_f64_e32 v[149:150], v[149:150], v[151:152]
	ds_load_b128 v[2:5], v1 offset:1392
	ds_load_b128 v[30:33], v1 offset:1408
	v_fma_f64 v[147:148], v[147:148], v[141:142], v[153:154]
	v_fma_f64 v[141:142], v[145:146], v[141:142], -v[143:144]
	s_wait_loadcnt_dscnt 0x601
	v_mul_f64_e32 v[151:152], v[2:3], v[36:37]
	v_mul_f64_e32 v[36:37], v[4:5], v[36:37]
	s_wait_loadcnt_dscnt 0x500
	v_mul_f64_e32 v[143:144], v[30:31], v[8:9]
	v_mul_f64_e32 v[8:9], v[32:33], v[8:9]
	v_add_f64_e32 v[38:39], v[40:41], v[38:39]
	v_add_f64_e32 v[40:41], v[149:150], v[155:156]
	v_fma_f64 v[145:146], v[4:5], v[34:35], v[151:152]
	v_fma_f64 v[149:150], v[2:3], v[34:35], -v[36:37]
	ds_load_b128 v[2:5], v1 offset:1424
	ds_load_b128 v[34:37], v1 offset:1440
	v_fma_f64 v[32:33], v[32:33], v[6:7], v[143:144]
	v_fma_f64 v[6:7], v[30:31], v[6:7], -v[8:9]
	v_add_f64_e32 v[38:39], v[38:39], v[141:142]
	v_add_f64_e32 v[40:41], v[40:41], v[147:148]
	s_wait_loadcnt_dscnt 0x401
	v_mul_f64_e32 v[141:142], v[2:3], v[12:13]
	v_mul_f64_e32 v[12:13], v[4:5], v[12:13]
	s_delay_alu instid0(VALU_DEP_4) | instskip(NEXT) | instid1(VALU_DEP_4)
	v_add_f64_e32 v[8:9], v[38:39], v[149:150]
	v_add_f64_e32 v[30:31], v[40:41], v[145:146]
	s_wait_loadcnt_dscnt 0x300
	v_mul_f64_e32 v[38:39], v[34:35], v[16:17]
	v_mul_f64_e32 v[16:17], v[36:37], v[16:17]
	v_fma_f64 v[40:41], v[4:5], v[10:11], v[141:142]
	v_fma_f64 v[10:11], v[2:3], v[10:11], -v[12:13]
	v_add_f64_e32 v[12:13], v[8:9], v[6:7]
	v_add_f64_e32 v[30:31], v[30:31], v[32:33]
	ds_load_b128 v[2:5], v1 offset:1456
	ds_load_b128 v[6:9], v1 offset:1472
	v_fma_f64 v[36:37], v[36:37], v[14:15], v[38:39]
	v_fma_f64 v[14:15], v[34:35], v[14:15], -v[16:17]
	s_wait_loadcnt_dscnt 0x201
	v_mul_f64_e32 v[32:33], v[2:3], v[20:21]
	v_mul_f64_e32 v[20:21], v[4:5], v[20:21]
	s_wait_loadcnt_dscnt 0x100
	v_mul_f64_e32 v[16:17], v[6:7], v[24:25]
	v_mul_f64_e32 v[24:25], v[8:9], v[24:25]
	v_add_f64_e32 v[10:11], v[12:13], v[10:11]
	v_add_f64_e32 v[12:13], v[30:31], v[40:41]
	v_fma_f64 v[30:31], v[4:5], v[18:19], v[32:33]
	v_fma_f64 v[18:19], v[2:3], v[18:19], -v[20:21]
	ds_load_b128 v[2:5], v1 offset:1488
	v_fma_f64 v[8:9], v[8:9], v[22:23], v[16:17]
	v_fma_f64 v[6:7], v[6:7], v[22:23], -v[24:25]
	v_add_f64_e32 v[10:11], v[10:11], v[14:15]
	v_add_f64_e32 v[12:13], v[12:13], v[36:37]
	s_wait_loadcnt_dscnt 0x0
	v_mul_f64_e32 v[14:15], v[2:3], v[28:29]
	v_mul_f64_e32 v[20:21], v[4:5], v[28:29]
	s_delay_alu instid0(VALU_DEP_4) | instskip(NEXT) | instid1(VALU_DEP_4)
	v_add_f64_e32 v[10:11], v[10:11], v[18:19]
	v_add_f64_e32 v[12:13], v[12:13], v[30:31]
	s_delay_alu instid0(VALU_DEP_4) | instskip(NEXT) | instid1(VALU_DEP_4)
	v_fma_f64 v[4:5], v[4:5], v[26:27], v[14:15]
	v_fma_f64 v[2:3], v[2:3], v[26:27], -v[20:21]
	s_delay_alu instid0(VALU_DEP_4) | instskip(NEXT) | instid1(VALU_DEP_4)
	v_add_f64_e32 v[6:7], v[10:11], v[6:7]
	v_add_f64_e32 v[8:9], v[12:13], v[8:9]
	s_delay_alu instid0(VALU_DEP_2) | instskip(NEXT) | instid1(VALU_DEP_2)
	v_add_f64_e32 v[2:3], v[6:7], v[2:3]
	v_add_f64_e32 v[4:5], v[8:9], v[4:5]
	s_delay_alu instid0(VALU_DEP_2) | instskip(NEXT) | instid1(VALU_DEP_2)
	v_add_f64_e64 v[2:3], v[42:43], -v[2:3]
	v_add_f64_e64 v[4:5], v[44:45], -v[4:5]
	scratch_store_b128 off, v[2:5], off offset:320
	v_cmpx_lt_u32_e32 18, v0
	s_cbranch_execz .LBB46_259
; %bb.258:
	scratch_load_b128 v[5:8], off, s42
	v_dual_mov_b32 v2, v1 :: v_dual_mov_b32 v3, v1
	v_mov_b32_e32 v4, v1
	scratch_store_b128 off, v[1:4], off offset:304
	s_wait_loadcnt 0x0
	ds_store_b128 v140, v[5:8]
.LBB46_259:
	s_wait_alu 0xfffe
	s_or_b32 exec_lo, exec_lo, s0
	s_wait_storecnt_dscnt 0x0
	s_barrier_signal -1
	s_barrier_wait -1
	global_inv scope:SCOPE_SE
	s_clause 0x8
	scratch_load_b128 v[2:5], off, off offset:320
	scratch_load_b128 v[6:9], off, off offset:336
	;; [unrolled: 1-line block ×9, first 2 shown]
	ds_load_b128 v[38:41], v1 offset:1056
	ds_load_b128 v[42:45], v1 offset:1072
	s_clause 0x1
	scratch_load_b128 v[141:144], off, off offset:304
	scratch_load_b128 v[145:148], off, off offset:464
	s_mov_b32 s0, exec_lo
	s_wait_loadcnt_dscnt 0xa01
	v_mul_f64_e32 v[149:150], v[40:41], v[4:5]
	v_mul_f64_e32 v[4:5], v[38:39], v[4:5]
	s_wait_loadcnt_dscnt 0x900
	v_mul_f64_e32 v[153:154], v[42:43], v[8:9]
	v_mul_f64_e32 v[8:9], v[44:45], v[8:9]
	s_delay_alu instid0(VALU_DEP_4) | instskip(NEXT) | instid1(VALU_DEP_4)
	v_fma_f64 v[155:156], v[38:39], v[2:3], -v[149:150]
	v_fma_f64 v[157:158], v[40:41], v[2:3], v[4:5]
	ds_load_b128 v[2:5], v1 offset:1088
	ds_load_b128 v[149:152], v1 offset:1104
	scratch_load_b128 v[38:41], off, off offset:480
	v_fma_f64 v[44:45], v[44:45], v[6:7], v[153:154]
	v_fma_f64 v[42:43], v[42:43], v[6:7], -v[8:9]
	scratch_load_b128 v[6:9], off, off offset:496
	s_wait_loadcnt_dscnt 0xa01
	v_mul_f64_e32 v[159:160], v[2:3], v[12:13]
	v_mul_f64_e32 v[12:13], v[4:5], v[12:13]
	v_add_f64_e32 v[153:154], 0, v[155:156]
	v_add_f64_e32 v[155:156], 0, v[157:158]
	s_wait_loadcnt_dscnt 0x900
	v_mul_f64_e32 v[157:158], v[149:150], v[16:17]
	v_mul_f64_e32 v[16:17], v[151:152], v[16:17]
	v_fma_f64 v[159:160], v[4:5], v[10:11], v[159:160]
	v_fma_f64 v[161:162], v[2:3], v[10:11], -v[12:13]
	ds_load_b128 v[2:5], v1 offset:1120
	scratch_load_b128 v[10:13], off, off offset:512
	v_add_f64_e32 v[153:154], v[153:154], v[42:43]
	v_add_f64_e32 v[155:156], v[155:156], v[44:45]
	ds_load_b128 v[42:45], v1 offset:1136
	v_fma_f64 v[151:152], v[151:152], v[14:15], v[157:158]
	v_fma_f64 v[149:150], v[149:150], v[14:15], -v[16:17]
	scratch_load_b128 v[14:17], off, off offset:528
	s_wait_loadcnt_dscnt 0xa01
	v_mul_f64_e32 v[163:164], v[2:3], v[20:21]
	v_mul_f64_e32 v[20:21], v[4:5], v[20:21]
	s_wait_loadcnt_dscnt 0x900
	v_mul_f64_e32 v[157:158], v[42:43], v[24:25]
	v_mul_f64_e32 v[24:25], v[44:45], v[24:25]
	v_add_f64_e32 v[153:154], v[153:154], v[161:162]
	v_add_f64_e32 v[155:156], v[155:156], v[159:160]
	v_fma_f64 v[159:160], v[4:5], v[18:19], v[163:164]
	v_fma_f64 v[161:162], v[2:3], v[18:19], -v[20:21]
	ds_load_b128 v[2:5], v1 offset:1152
	scratch_load_b128 v[18:21], off, off offset:544
	v_fma_f64 v[44:45], v[44:45], v[22:23], v[157:158]
	v_fma_f64 v[42:43], v[42:43], v[22:23], -v[24:25]
	scratch_load_b128 v[22:25], off, off offset:560
	v_add_f64_e32 v[153:154], v[153:154], v[149:150]
	v_add_f64_e32 v[155:156], v[155:156], v[151:152]
	ds_load_b128 v[149:152], v1 offset:1168
	s_wait_loadcnt_dscnt 0xa01
	v_mul_f64_e32 v[163:164], v[2:3], v[28:29]
	v_mul_f64_e32 v[28:29], v[4:5], v[28:29]
	s_wait_loadcnt_dscnt 0x900
	v_mul_f64_e32 v[157:158], v[149:150], v[32:33]
	v_mul_f64_e32 v[32:33], v[151:152], v[32:33]
	v_add_f64_e32 v[153:154], v[153:154], v[161:162]
	v_add_f64_e32 v[155:156], v[155:156], v[159:160]
	v_fma_f64 v[159:160], v[4:5], v[26:27], v[163:164]
	v_fma_f64 v[161:162], v[2:3], v[26:27], -v[28:29]
	ds_load_b128 v[2:5], v1 offset:1184
	scratch_load_b128 v[26:29], off, off offset:576
	v_fma_f64 v[151:152], v[151:152], v[30:31], v[157:158]
	v_fma_f64 v[149:150], v[149:150], v[30:31], -v[32:33]
	scratch_load_b128 v[30:33], off, off offset:592
	v_add_f64_e32 v[153:154], v[153:154], v[42:43]
	v_add_f64_e32 v[155:156], v[155:156], v[44:45]
	ds_load_b128 v[42:45], v1 offset:1200
	s_wait_loadcnt_dscnt 0xa01
	v_mul_f64_e32 v[163:164], v[2:3], v[36:37]
	v_mul_f64_e32 v[36:37], v[4:5], v[36:37]
	s_wait_loadcnt_dscnt 0x800
	v_mul_f64_e32 v[157:158], v[42:43], v[147:148]
	v_add_f64_e32 v[153:154], v[153:154], v[161:162]
	v_add_f64_e32 v[155:156], v[155:156], v[159:160]
	v_mul_f64_e32 v[159:160], v[44:45], v[147:148]
	v_fma_f64 v[161:162], v[4:5], v[34:35], v[163:164]
	v_fma_f64 v[163:164], v[2:3], v[34:35], -v[36:37]
	ds_load_b128 v[2:5], v1 offset:1216
	scratch_load_b128 v[34:37], off, off offset:608
	v_fma_f64 v[44:45], v[44:45], v[145:146], v[157:158]
	v_add_f64_e32 v[153:154], v[153:154], v[149:150]
	v_add_f64_e32 v[151:152], v[155:156], v[151:152]
	ds_load_b128 v[147:150], v1 offset:1232
	v_fma_f64 v[145:146], v[42:43], v[145:146], -v[159:160]
	s_wait_loadcnt_dscnt 0x801
	v_mul_f64_e32 v[155:156], v[2:3], v[40:41]
	v_mul_f64_e32 v[165:166], v[4:5], v[40:41]
	scratch_load_b128 v[40:43], off, off offset:624
	s_wait_loadcnt_dscnt 0x800
	v_mul_f64_e32 v[159:160], v[147:148], v[8:9]
	v_mul_f64_e32 v[8:9], v[149:150], v[8:9]
	v_add_f64_e32 v[153:154], v[153:154], v[163:164]
	v_add_f64_e32 v[151:152], v[151:152], v[161:162]
	v_fma_f64 v[161:162], v[4:5], v[38:39], v[155:156]
	v_fma_f64 v[38:39], v[2:3], v[38:39], -v[165:166]
	ds_load_b128 v[2:5], v1 offset:1248
	ds_load_b128 v[155:158], v1 offset:1264
	v_fma_f64 v[149:150], v[149:150], v[6:7], v[159:160]
	v_fma_f64 v[147:148], v[147:148], v[6:7], -v[8:9]
	scratch_load_b128 v[6:9], off, off offset:656
	v_add_f64_e32 v[145:146], v[153:154], v[145:146]
	v_add_f64_e32 v[44:45], v[151:152], v[44:45]
	scratch_load_b128 v[151:154], off, off offset:640
	s_wait_loadcnt_dscnt 0x901
	v_mul_f64_e32 v[163:164], v[2:3], v[12:13]
	v_mul_f64_e32 v[12:13], v[4:5], v[12:13]
	s_wait_loadcnt_dscnt 0x800
	v_mul_f64_e32 v[159:160], v[155:156], v[16:17]
	v_mul_f64_e32 v[16:17], v[157:158], v[16:17]
	v_add_f64_e32 v[38:39], v[145:146], v[38:39]
	v_add_f64_e32 v[44:45], v[44:45], v[161:162]
	v_fma_f64 v[161:162], v[4:5], v[10:11], v[163:164]
	v_fma_f64 v[163:164], v[2:3], v[10:11], -v[12:13]
	ds_load_b128 v[2:5], v1 offset:1280
	scratch_load_b128 v[10:13], off, off offset:672
	v_fma_f64 v[157:158], v[157:158], v[14:15], v[159:160]
	v_fma_f64 v[155:156], v[155:156], v[14:15], -v[16:17]
	scratch_load_b128 v[14:17], off, off offset:688
	v_add_f64_e32 v[38:39], v[38:39], v[147:148]
	v_add_f64_e32 v[44:45], v[44:45], v[149:150]
	ds_load_b128 v[145:148], v1 offset:1296
	s_wait_loadcnt_dscnt 0x901
	v_mul_f64_e32 v[149:150], v[2:3], v[20:21]
	v_mul_f64_e32 v[20:21], v[4:5], v[20:21]
	s_wait_loadcnt_dscnt 0x800
	v_mul_f64_e32 v[159:160], v[145:146], v[24:25]
	v_mul_f64_e32 v[24:25], v[147:148], v[24:25]
	v_add_f64_e32 v[38:39], v[38:39], v[163:164]
	v_add_f64_e32 v[44:45], v[44:45], v[161:162]
	v_fma_f64 v[149:150], v[4:5], v[18:19], v[149:150]
	v_fma_f64 v[161:162], v[2:3], v[18:19], -v[20:21]
	ds_load_b128 v[2:5], v1 offset:1312
	scratch_load_b128 v[18:21], off, off offset:704
	v_fma_f64 v[147:148], v[147:148], v[22:23], v[159:160]
	v_fma_f64 v[145:146], v[145:146], v[22:23], -v[24:25]
	scratch_load_b128 v[22:25], off, off offset:720
	v_add_f64_e32 v[38:39], v[38:39], v[155:156]
	v_add_f64_e32 v[44:45], v[44:45], v[157:158]
	ds_load_b128 v[155:158], v1 offset:1328
	s_wait_loadcnt_dscnt 0x901
	v_mul_f64_e32 v[163:164], v[2:3], v[28:29]
	v_mul_f64_e32 v[28:29], v[4:5], v[28:29]
	v_add_f64_e32 v[38:39], v[38:39], v[161:162]
	v_add_f64_e32 v[44:45], v[44:45], v[149:150]
	s_wait_loadcnt_dscnt 0x800
	v_mul_f64_e32 v[149:150], v[155:156], v[32:33]
	v_mul_f64_e32 v[32:33], v[157:158], v[32:33]
	v_fma_f64 v[159:160], v[4:5], v[26:27], v[163:164]
	v_fma_f64 v[161:162], v[2:3], v[26:27], -v[28:29]
	ds_load_b128 v[2:5], v1 offset:1344
	scratch_load_b128 v[26:29], off, off offset:736
	v_add_f64_e32 v[38:39], v[38:39], v[145:146]
	v_add_f64_e32 v[44:45], v[44:45], v[147:148]
	ds_load_b128 v[145:148], v1 offset:1360
	s_wait_loadcnt_dscnt 0x801
	v_mul_f64_e32 v[163:164], v[2:3], v[36:37]
	v_mul_f64_e32 v[36:37], v[4:5], v[36:37]
	v_fma_f64 v[149:150], v[157:158], v[30:31], v[149:150]
	v_fma_f64 v[155:156], v[155:156], v[30:31], -v[32:33]
	scratch_load_b128 v[30:33], off, off offset:752
	s_wait_loadcnt_dscnt 0x800
	v_mul_f64_e32 v[157:158], v[145:146], v[42:43]
	v_add_f64_e32 v[38:39], v[38:39], v[161:162]
	v_add_f64_e32 v[44:45], v[44:45], v[159:160]
	v_mul_f64_e32 v[42:43], v[147:148], v[42:43]
	v_fma_f64 v[159:160], v[4:5], v[34:35], v[163:164]
	v_fma_f64 v[161:162], v[2:3], v[34:35], -v[36:37]
	ds_load_b128 v[2:5], v1 offset:1376
	ds_load_b128 v[34:37], v1 offset:1392
	v_fma_f64 v[147:148], v[147:148], v[40:41], v[157:158]
	v_add_f64_e32 v[38:39], v[38:39], v[155:156]
	v_add_f64_e32 v[44:45], v[44:45], v[149:150]
	v_fma_f64 v[40:41], v[145:146], v[40:41], -v[42:43]
	s_wait_loadcnt_dscnt 0x601
	v_mul_f64_e32 v[149:150], v[2:3], v[153:154]
	v_mul_f64_e32 v[153:154], v[4:5], v[153:154]
	v_add_f64_e32 v[38:39], v[38:39], v[161:162]
	v_add_f64_e32 v[42:43], v[44:45], v[159:160]
	s_wait_dscnt 0x0
	v_mul_f64_e32 v[44:45], v[34:35], v[8:9]
	v_mul_f64_e32 v[8:9], v[36:37], v[8:9]
	v_fma_f64 v[145:146], v[4:5], v[151:152], v[149:150]
	v_fma_f64 v[149:150], v[2:3], v[151:152], -v[153:154]
	v_add_f64_e32 v[151:152], v[38:39], v[40:41]
	v_add_f64_e32 v[42:43], v[42:43], v[147:148]
	ds_load_b128 v[2:5], v1 offset:1408
	ds_load_b128 v[38:41], v1 offset:1424
	v_fma_f64 v[36:37], v[36:37], v[6:7], v[44:45]
	v_fma_f64 v[6:7], v[34:35], v[6:7], -v[8:9]
	s_wait_loadcnt_dscnt 0x501
	v_mul_f64_e32 v[147:148], v[2:3], v[12:13]
	v_mul_f64_e32 v[12:13], v[4:5], v[12:13]
	v_add_f64_e32 v[8:9], v[151:152], v[149:150]
	v_add_f64_e32 v[34:35], v[42:43], v[145:146]
	s_wait_loadcnt_dscnt 0x400
	v_mul_f64_e32 v[42:43], v[38:39], v[16:17]
	v_mul_f64_e32 v[16:17], v[40:41], v[16:17]
	v_fma_f64 v[44:45], v[4:5], v[10:11], v[147:148]
	v_fma_f64 v[10:11], v[2:3], v[10:11], -v[12:13]
	v_add_f64_e32 v[12:13], v[8:9], v[6:7]
	v_add_f64_e32 v[34:35], v[34:35], v[36:37]
	ds_load_b128 v[2:5], v1 offset:1440
	ds_load_b128 v[6:9], v1 offset:1456
	v_fma_f64 v[40:41], v[40:41], v[14:15], v[42:43]
	v_fma_f64 v[14:15], v[38:39], v[14:15], -v[16:17]
	s_wait_loadcnt_dscnt 0x301
	v_mul_f64_e32 v[36:37], v[2:3], v[20:21]
	v_mul_f64_e32 v[20:21], v[4:5], v[20:21]
	s_wait_loadcnt_dscnt 0x200
	v_mul_f64_e32 v[16:17], v[6:7], v[24:25]
	v_mul_f64_e32 v[24:25], v[8:9], v[24:25]
	v_add_f64_e32 v[10:11], v[12:13], v[10:11]
	v_add_f64_e32 v[12:13], v[34:35], v[44:45]
	v_fma_f64 v[34:35], v[4:5], v[18:19], v[36:37]
	v_fma_f64 v[18:19], v[2:3], v[18:19], -v[20:21]
	v_fma_f64 v[8:9], v[8:9], v[22:23], v[16:17]
	v_fma_f64 v[6:7], v[6:7], v[22:23], -v[24:25]
	v_add_f64_e32 v[14:15], v[10:11], v[14:15]
	v_add_f64_e32 v[20:21], v[12:13], v[40:41]
	ds_load_b128 v[2:5], v1 offset:1472
	ds_load_b128 v[10:13], v1 offset:1488
	s_wait_loadcnt_dscnt 0x101
	v_mul_f64_e32 v[36:37], v[2:3], v[28:29]
	v_mul_f64_e32 v[28:29], v[4:5], v[28:29]
	v_add_f64_e32 v[14:15], v[14:15], v[18:19]
	v_add_f64_e32 v[16:17], v[20:21], v[34:35]
	s_wait_loadcnt_dscnt 0x0
	v_mul_f64_e32 v[18:19], v[10:11], v[32:33]
	v_mul_f64_e32 v[20:21], v[12:13], v[32:33]
	v_fma_f64 v[4:5], v[4:5], v[26:27], v[36:37]
	v_fma_f64 v[1:2], v[2:3], v[26:27], -v[28:29]
	v_add_f64_e32 v[6:7], v[14:15], v[6:7]
	v_add_f64_e32 v[8:9], v[16:17], v[8:9]
	v_fma_f64 v[12:13], v[12:13], v[30:31], v[18:19]
	v_fma_f64 v[10:11], v[10:11], v[30:31], -v[20:21]
	s_delay_alu instid0(VALU_DEP_4) | instskip(NEXT) | instid1(VALU_DEP_4)
	v_add_f64_e32 v[1:2], v[6:7], v[1:2]
	v_add_f64_e32 v[3:4], v[8:9], v[4:5]
	s_delay_alu instid0(VALU_DEP_2) | instskip(NEXT) | instid1(VALU_DEP_2)
	v_add_f64_e32 v[1:2], v[1:2], v[10:11]
	v_add_f64_e32 v[3:4], v[3:4], v[12:13]
	s_delay_alu instid0(VALU_DEP_2) | instskip(NEXT) | instid1(VALU_DEP_2)
	v_add_f64_e64 v[1:2], v[141:142], -v[1:2]
	v_add_f64_e64 v[3:4], v[143:144], -v[3:4]
	scratch_store_b128 off, v[1:4], off offset:304
	v_cmpx_lt_u32_e32 17, v0
	s_cbranch_execz .LBB46_261
; %bb.260:
	scratch_load_b128 v[1:4], off, s43
	v_mov_b32_e32 v5, 0
	s_delay_alu instid0(VALU_DEP_1)
	v_dual_mov_b32 v6, v5 :: v_dual_mov_b32 v7, v5
	v_mov_b32_e32 v8, v5
	scratch_store_b128 off, v[5:8], off offset:288
	s_wait_loadcnt 0x0
	ds_store_b128 v140, v[1:4]
.LBB46_261:
	s_wait_alu 0xfffe
	s_or_b32 exec_lo, exec_lo, s0
	s_wait_storecnt_dscnt 0x0
	s_barrier_signal -1
	s_barrier_wait -1
	global_inv scope:SCOPE_SE
	s_clause 0x7
	scratch_load_b128 v[2:5], off, off offset:304
	scratch_load_b128 v[6:9], off, off offset:320
	;; [unrolled: 1-line block ×8, first 2 shown]
	v_mov_b32_e32 v1, 0
	s_mov_b32 s0, exec_lo
	ds_load_b128 v[34:37], v1 offset:1040
	s_clause 0x1
	scratch_load_b128 v[38:41], off, off offset:432
	scratch_load_b128 v[42:45], off, off offset:288
	ds_load_b128 v[141:144], v1 offset:1056
	scratch_load_b128 v[145:148], off, off offset:448
	s_wait_loadcnt_dscnt 0xa01
	v_mul_f64_e32 v[149:150], v[36:37], v[4:5]
	v_mul_f64_e32 v[4:5], v[34:35], v[4:5]
	s_delay_alu instid0(VALU_DEP_2) | instskip(NEXT) | instid1(VALU_DEP_2)
	v_fma_f64 v[155:156], v[34:35], v[2:3], -v[149:150]
	v_fma_f64 v[157:158], v[36:37], v[2:3], v[4:5]
	ds_load_b128 v[2:5], v1 offset:1072
	s_wait_loadcnt_dscnt 0x901
	v_mul_f64_e32 v[153:154], v[141:142], v[8:9]
	v_mul_f64_e32 v[8:9], v[143:144], v[8:9]
	scratch_load_b128 v[34:37], off, off offset:464
	ds_load_b128 v[149:152], v1 offset:1088
	s_wait_loadcnt_dscnt 0x901
	v_mul_f64_e32 v[159:160], v[2:3], v[12:13]
	v_mul_f64_e32 v[12:13], v[4:5], v[12:13]
	v_fma_f64 v[143:144], v[143:144], v[6:7], v[153:154]
	v_fma_f64 v[141:142], v[141:142], v[6:7], -v[8:9]
	v_add_f64_e32 v[153:154], 0, v[155:156]
	v_add_f64_e32 v[155:156], 0, v[157:158]
	scratch_load_b128 v[6:9], off, off offset:480
	v_fma_f64 v[159:160], v[4:5], v[10:11], v[159:160]
	v_fma_f64 v[161:162], v[2:3], v[10:11], -v[12:13]
	ds_load_b128 v[2:5], v1 offset:1104
	s_wait_loadcnt_dscnt 0x901
	v_mul_f64_e32 v[157:158], v[149:150], v[16:17]
	v_mul_f64_e32 v[16:17], v[151:152], v[16:17]
	scratch_load_b128 v[10:13], off, off offset:496
	v_add_f64_e32 v[153:154], v[153:154], v[141:142]
	v_add_f64_e32 v[155:156], v[155:156], v[143:144]
	s_wait_loadcnt_dscnt 0x900
	v_mul_f64_e32 v[163:164], v[2:3], v[20:21]
	v_mul_f64_e32 v[20:21], v[4:5], v[20:21]
	ds_load_b128 v[141:144], v1 offset:1120
	v_fma_f64 v[151:152], v[151:152], v[14:15], v[157:158]
	v_fma_f64 v[149:150], v[149:150], v[14:15], -v[16:17]
	scratch_load_b128 v[14:17], off, off offset:512
	v_add_f64_e32 v[153:154], v[153:154], v[161:162]
	v_add_f64_e32 v[155:156], v[155:156], v[159:160]
	v_fma_f64 v[159:160], v[4:5], v[18:19], v[163:164]
	v_fma_f64 v[161:162], v[2:3], v[18:19], -v[20:21]
	ds_load_b128 v[2:5], v1 offset:1136
	s_wait_loadcnt_dscnt 0x901
	v_mul_f64_e32 v[157:158], v[141:142], v[24:25]
	v_mul_f64_e32 v[24:25], v[143:144], v[24:25]
	scratch_load_b128 v[18:21], off, off offset:528
	s_wait_loadcnt_dscnt 0x900
	v_mul_f64_e32 v[163:164], v[2:3], v[28:29]
	v_mul_f64_e32 v[28:29], v[4:5], v[28:29]
	v_add_f64_e32 v[153:154], v[153:154], v[149:150]
	v_add_f64_e32 v[155:156], v[155:156], v[151:152]
	ds_load_b128 v[149:152], v1 offset:1152
	v_fma_f64 v[143:144], v[143:144], v[22:23], v[157:158]
	v_fma_f64 v[141:142], v[141:142], v[22:23], -v[24:25]
	scratch_load_b128 v[22:25], off, off offset:544
	v_add_f64_e32 v[153:154], v[153:154], v[161:162]
	v_add_f64_e32 v[155:156], v[155:156], v[159:160]
	v_fma_f64 v[159:160], v[4:5], v[26:27], v[163:164]
	v_fma_f64 v[161:162], v[2:3], v[26:27], -v[28:29]
	ds_load_b128 v[2:5], v1 offset:1168
	s_wait_loadcnt_dscnt 0x901
	v_mul_f64_e32 v[157:158], v[149:150], v[32:33]
	v_mul_f64_e32 v[32:33], v[151:152], v[32:33]
	scratch_load_b128 v[26:29], off, off offset:560
	s_wait_loadcnt_dscnt 0x900
	v_mul_f64_e32 v[163:164], v[2:3], v[40:41]
	v_mul_f64_e32 v[40:41], v[4:5], v[40:41]
	v_add_f64_e32 v[153:154], v[153:154], v[141:142]
	v_add_f64_e32 v[155:156], v[155:156], v[143:144]
	ds_load_b128 v[141:144], v1 offset:1184
	v_fma_f64 v[151:152], v[151:152], v[30:31], v[157:158]
	v_fma_f64 v[149:150], v[149:150], v[30:31], -v[32:33]
	scratch_load_b128 v[30:33], off, off offset:576
	v_add_f64_e32 v[153:154], v[153:154], v[161:162]
	v_add_f64_e32 v[155:156], v[155:156], v[159:160]
	v_fma_f64 v[161:162], v[4:5], v[38:39], v[163:164]
	v_fma_f64 v[163:164], v[2:3], v[38:39], -v[40:41]
	ds_load_b128 v[2:5], v1 offset:1200
	s_wait_loadcnt_dscnt 0x801
	v_mul_f64_e32 v[157:158], v[141:142], v[147:148]
	v_mul_f64_e32 v[159:160], v[143:144], v[147:148]
	scratch_load_b128 v[38:41], off, off offset:592
	v_add_f64_e32 v[153:154], v[153:154], v[149:150]
	v_add_f64_e32 v[151:152], v[155:156], v[151:152]
	ds_load_b128 v[147:150], v1 offset:1216
	v_fma_f64 v[157:158], v[143:144], v[145:146], v[157:158]
	v_fma_f64 v[145:146], v[141:142], v[145:146], -v[159:160]
	scratch_load_b128 v[141:144], off, off offset:608
	s_wait_loadcnt_dscnt 0x901
	v_mul_f64_e32 v[155:156], v[2:3], v[36:37]
	v_mul_f64_e32 v[36:37], v[4:5], v[36:37]
	v_add_f64_e32 v[153:154], v[153:154], v[163:164]
	v_add_f64_e32 v[151:152], v[151:152], v[161:162]
	s_delay_alu instid0(VALU_DEP_4) | instskip(NEXT) | instid1(VALU_DEP_4)
	v_fma_f64 v[155:156], v[4:5], v[34:35], v[155:156]
	v_fma_f64 v[161:162], v[2:3], v[34:35], -v[36:37]
	ds_load_b128 v[2:5], v1 offset:1232
	s_wait_loadcnt_dscnt 0x801
	v_mul_f64_e32 v[159:160], v[147:148], v[8:9]
	v_mul_f64_e32 v[8:9], v[149:150], v[8:9]
	scratch_load_b128 v[34:37], off, off offset:624
	s_wait_loadcnt_dscnt 0x800
	v_mul_f64_e32 v[163:164], v[2:3], v[12:13]
	v_add_f64_e32 v[145:146], v[153:154], v[145:146]
	v_add_f64_e32 v[157:158], v[151:152], v[157:158]
	v_mul_f64_e32 v[12:13], v[4:5], v[12:13]
	ds_load_b128 v[151:154], v1 offset:1248
	v_fma_f64 v[149:150], v[149:150], v[6:7], v[159:160]
	v_fma_f64 v[147:148], v[147:148], v[6:7], -v[8:9]
	scratch_load_b128 v[6:9], off, off offset:640
	v_fma_f64 v[159:160], v[4:5], v[10:11], v[163:164]
	v_add_f64_e32 v[145:146], v[145:146], v[161:162]
	v_add_f64_e32 v[155:156], v[157:158], v[155:156]
	v_fma_f64 v[161:162], v[2:3], v[10:11], -v[12:13]
	ds_load_b128 v[2:5], v1 offset:1264
	s_wait_loadcnt_dscnt 0x801
	v_mul_f64_e32 v[157:158], v[151:152], v[16:17]
	v_mul_f64_e32 v[16:17], v[153:154], v[16:17]
	scratch_load_b128 v[10:13], off, off offset:656
	v_add_f64_e32 v[163:164], v[145:146], v[147:148]
	v_add_f64_e32 v[149:150], v[155:156], v[149:150]
	s_wait_loadcnt_dscnt 0x800
	v_mul_f64_e32 v[155:156], v[2:3], v[20:21]
	v_mul_f64_e32 v[20:21], v[4:5], v[20:21]
	v_fma_f64 v[153:154], v[153:154], v[14:15], v[157:158]
	v_fma_f64 v[151:152], v[151:152], v[14:15], -v[16:17]
	ds_load_b128 v[145:148], v1 offset:1280
	scratch_load_b128 v[14:17], off, off offset:672
	v_add_f64_e32 v[157:158], v[163:164], v[161:162]
	v_add_f64_e32 v[149:150], v[149:150], v[159:160]
	v_fma_f64 v[155:156], v[4:5], v[18:19], v[155:156]
	v_fma_f64 v[161:162], v[2:3], v[18:19], -v[20:21]
	ds_load_b128 v[2:5], v1 offset:1296
	s_wait_loadcnt_dscnt 0x801
	v_mul_f64_e32 v[159:160], v[145:146], v[24:25]
	v_mul_f64_e32 v[24:25], v[147:148], v[24:25]
	scratch_load_b128 v[18:21], off, off offset:688
	s_wait_loadcnt_dscnt 0x800
	v_mul_f64_e32 v[163:164], v[2:3], v[28:29]
	v_mul_f64_e32 v[28:29], v[4:5], v[28:29]
	v_add_f64_e32 v[157:158], v[157:158], v[151:152]
	v_add_f64_e32 v[153:154], v[149:150], v[153:154]
	ds_load_b128 v[149:152], v1 offset:1312
	v_fma_f64 v[147:148], v[147:148], v[22:23], v[159:160]
	v_fma_f64 v[145:146], v[145:146], v[22:23], -v[24:25]
	scratch_load_b128 v[22:25], off, off offset:704
	v_fma_f64 v[159:160], v[4:5], v[26:27], v[163:164]
	v_add_f64_e32 v[157:158], v[157:158], v[161:162]
	v_add_f64_e32 v[153:154], v[153:154], v[155:156]
	v_fma_f64 v[161:162], v[2:3], v[26:27], -v[28:29]
	ds_load_b128 v[2:5], v1 offset:1328
	s_wait_loadcnt_dscnt 0x801
	v_mul_f64_e32 v[155:156], v[149:150], v[32:33]
	v_mul_f64_e32 v[32:33], v[151:152], v[32:33]
	scratch_load_b128 v[26:29], off, off offset:720
	s_wait_loadcnt_dscnt 0x800
	v_mul_f64_e32 v[163:164], v[2:3], v[40:41]
	v_mul_f64_e32 v[40:41], v[4:5], v[40:41]
	v_add_f64_e32 v[157:158], v[157:158], v[145:146]
	v_add_f64_e32 v[153:154], v[153:154], v[147:148]
	ds_load_b128 v[145:148], v1 offset:1344
	v_fma_f64 v[151:152], v[151:152], v[30:31], v[155:156]
	v_fma_f64 v[149:150], v[149:150], v[30:31], -v[32:33]
	scratch_load_b128 v[30:33], off, off offset:736
	v_add_f64_e32 v[155:156], v[157:158], v[161:162]
	v_add_f64_e32 v[153:154], v[153:154], v[159:160]
	v_fma_f64 v[159:160], v[4:5], v[38:39], v[163:164]
	v_fma_f64 v[161:162], v[2:3], v[38:39], -v[40:41]
	ds_load_b128 v[2:5], v1 offset:1360
	s_wait_loadcnt_dscnt 0x801
	v_mul_f64_e32 v[157:158], v[145:146], v[143:144]
	v_mul_f64_e32 v[143:144], v[147:148], v[143:144]
	scratch_load_b128 v[38:41], off, off offset:752
	s_wait_loadcnt_dscnt 0x800
	v_mul_f64_e32 v[163:164], v[2:3], v[36:37]
	v_mul_f64_e32 v[36:37], v[4:5], v[36:37]
	v_add_f64_e32 v[155:156], v[155:156], v[149:150]
	v_add_f64_e32 v[153:154], v[153:154], v[151:152]
	ds_load_b128 v[149:152], v1 offset:1376
	v_fma_f64 v[147:148], v[147:148], v[141:142], v[157:158]
	v_fma_f64 v[141:142], v[145:146], v[141:142], -v[143:144]
	v_fma_f64 v[157:158], v[2:3], v[34:35], -v[36:37]
	v_add_f64_e32 v[143:144], v[155:156], v[161:162]
	v_add_f64_e32 v[145:146], v[153:154], v[159:160]
	s_wait_loadcnt_dscnt 0x700
	v_mul_f64_e32 v[153:154], v[149:150], v[8:9]
	v_mul_f64_e32 v[8:9], v[151:152], v[8:9]
	v_fma_f64 v[155:156], v[4:5], v[34:35], v[163:164]
	ds_load_b128 v[2:5], v1 offset:1392
	ds_load_b128 v[34:37], v1 offset:1408
	v_add_f64_e32 v[141:142], v[143:144], v[141:142]
	v_add_f64_e32 v[143:144], v[145:146], v[147:148]
	s_wait_loadcnt_dscnt 0x601
	v_mul_f64_e32 v[145:146], v[2:3], v[12:13]
	v_mul_f64_e32 v[12:13], v[4:5], v[12:13]
	v_fma_f64 v[147:148], v[151:152], v[6:7], v[153:154]
	v_fma_f64 v[6:7], v[149:150], v[6:7], -v[8:9]
	v_add_f64_e32 v[8:9], v[141:142], v[157:158]
	v_add_f64_e32 v[141:142], v[143:144], v[155:156]
	s_wait_loadcnt_dscnt 0x500
	v_mul_f64_e32 v[143:144], v[34:35], v[16:17]
	v_mul_f64_e32 v[16:17], v[36:37], v[16:17]
	v_fma_f64 v[145:146], v[4:5], v[10:11], v[145:146]
	v_fma_f64 v[10:11], v[2:3], v[10:11], -v[12:13]
	v_add_f64_e32 v[12:13], v[8:9], v[6:7]
	v_add_f64_e32 v[141:142], v[141:142], v[147:148]
	ds_load_b128 v[2:5], v1 offset:1424
	ds_load_b128 v[6:9], v1 offset:1440
	v_fma_f64 v[36:37], v[36:37], v[14:15], v[143:144]
	v_fma_f64 v[14:15], v[34:35], v[14:15], -v[16:17]
	s_wait_loadcnt_dscnt 0x401
	v_mul_f64_e32 v[147:148], v[2:3], v[20:21]
	v_mul_f64_e32 v[20:21], v[4:5], v[20:21]
	s_wait_loadcnt_dscnt 0x300
	v_mul_f64_e32 v[16:17], v[6:7], v[24:25]
	v_mul_f64_e32 v[24:25], v[8:9], v[24:25]
	v_add_f64_e32 v[10:11], v[12:13], v[10:11]
	v_add_f64_e32 v[12:13], v[141:142], v[145:146]
	v_fma_f64 v[34:35], v[4:5], v[18:19], v[147:148]
	v_fma_f64 v[18:19], v[2:3], v[18:19], -v[20:21]
	v_fma_f64 v[8:9], v[8:9], v[22:23], v[16:17]
	v_fma_f64 v[6:7], v[6:7], v[22:23], -v[24:25]
	v_add_f64_e32 v[14:15], v[10:11], v[14:15]
	v_add_f64_e32 v[20:21], v[12:13], v[36:37]
	ds_load_b128 v[2:5], v1 offset:1456
	ds_load_b128 v[10:13], v1 offset:1472
	s_wait_loadcnt_dscnt 0x201
	v_mul_f64_e32 v[36:37], v[2:3], v[28:29]
	v_mul_f64_e32 v[28:29], v[4:5], v[28:29]
	v_add_f64_e32 v[14:15], v[14:15], v[18:19]
	v_add_f64_e32 v[16:17], v[20:21], v[34:35]
	s_wait_loadcnt_dscnt 0x100
	v_mul_f64_e32 v[18:19], v[10:11], v[32:33]
	v_mul_f64_e32 v[20:21], v[12:13], v[32:33]
	v_fma_f64 v[22:23], v[4:5], v[26:27], v[36:37]
	v_fma_f64 v[24:25], v[2:3], v[26:27], -v[28:29]
	ds_load_b128 v[2:5], v1 offset:1488
	v_add_f64_e32 v[6:7], v[14:15], v[6:7]
	v_add_f64_e32 v[8:9], v[16:17], v[8:9]
	v_fma_f64 v[12:13], v[12:13], v[30:31], v[18:19]
	v_fma_f64 v[10:11], v[10:11], v[30:31], -v[20:21]
	s_wait_loadcnt_dscnt 0x0
	v_mul_f64_e32 v[14:15], v[2:3], v[40:41]
	v_mul_f64_e32 v[16:17], v[4:5], v[40:41]
	v_add_f64_e32 v[6:7], v[6:7], v[24:25]
	v_add_f64_e32 v[8:9], v[8:9], v[22:23]
	s_delay_alu instid0(VALU_DEP_4) | instskip(NEXT) | instid1(VALU_DEP_4)
	v_fma_f64 v[4:5], v[4:5], v[38:39], v[14:15]
	v_fma_f64 v[2:3], v[2:3], v[38:39], -v[16:17]
	s_delay_alu instid0(VALU_DEP_4) | instskip(NEXT) | instid1(VALU_DEP_4)
	v_add_f64_e32 v[6:7], v[6:7], v[10:11]
	v_add_f64_e32 v[8:9], v[8:9], v[12:13]
	s_delay_alu instid0(VALU_DEP_2) | instskip(NEXT) | instid1(VALU_DEP_2)
	v_add_f64_e32 v[2:3], v[6:7], v[2:3]
	v_add_f64_e32 v[4:5], v[8:9], v[4:5]
	s_delay_alu instid0(VALU_DEP_2) | instskip(NEXT) | instid1(VALU_DEP_2)
	v_add_f64_e64 v[2:3], v[42:43], -v[2:3]
	v_add_f64_e64 v[4:5], v[44:45], -v[4:5]
	scratch_store_b128 off, v[2:5], off offset:288
	v_cmpx_lt_u32_e32 16, v0
	s_cbranch_execz .LBB46_263
; %bb.262:
	scratch_load_b128 v[5:8], off, s44
	v_dual_mov_b32 v2, v1 :: v_dual_mov_b32 v3, v1
	v_mov_b32_e32 v4, v1
	scratch_store_b128 off, v[1:4], off offset:272
	s_wait_loadcnt 0x0
	ds_store_b128 v140, v[5:8]
.LBB46_263:
	s_wait_alu 0xfffe
	s_or_b32 exec_lo, exec_lo, s0
	s_wait_storecnt_dscnt 0x0
	s_barrier_signal -1
	s_barrier_wait -1
	global_inv scope:SCOPE_SE
	s_clause 0x8
	scratch_load_b128 v[2:5], off, off offset:288
	scratch_load_b128 v[6:9], off, off offset:304
	;; [unrolled: 1-line block ×9, first 2 shown]
	ds_load_b128 v[38:41], v1 offset:1024
	ds_load_b128 v[42:45], v1 offset:1040
	s_clause 0x1
	scratch_load_b128 v[141:144], off, off offset:272
	scratch_load_b128 v[145:148], off, off offset:432
	s_mov_b32 s0, exec_lo
	s_wait_loadcnt_dscnt 0xa01
	v_mul_f64_e32 v[149:150], v[40:41], v[4:5]
	v_mul_f64_e32 v[4:5], v[38:39], v[4:5]
	s_wait_loadcnt_dscnt 0x900
	v_mul_f64_e32 v[153:154], v[42:43], v[8:9]
	v_mul_f64_e32 v[8:9], v[44:45], v[8:9]
	s_delay_alu instid0(VALU_DEP_4) | instskip(NEXT) | instid1(VALU_DEP_4)
	v_fma_f64 v[155:156], v[38:39], v[2:3], -v[149:150]
	v_fma_f64 v[157:158], v[40:41], v[2:3], v[4:5]
	ds_load_b128 v[2:5], v1 offset:1056
	ds_load_b128 v[149:152], v1 offset:1072
	scratch_load_b128 v[38:41], off, off offset:448
	v_fma_f64 v[44:45], v[44:45], v[6:7], v[153:154]
	v_fma_f64 v[42:43], v[42:43], v[6:7], -v[8:9]
	scratch_load_b128 v[6:9], off, off offset:464
	s_wait_loadcnt_dscnt 0xa01
	v_mul_f64_e32 v[159:160], v[2:3], v[12:13]
	v_mul_f64_e32 v[12:13], v[4:5], v[12:13]
	v_add_f64_e32 v[153:154], 0, v[155:156]
	v_add_f64_e32 v[155:156], 0, v[157:158]
	s_wait_loadcnt_dscnt 0x900
	v_mul_f64_e32 v[157:158], v[149:150], v[16:17]
	v_mul_f64_e32 v[16:17], v[151:152], v[16:17]
	v_fma_f64 v[159:160], v[4:5], v[10:11], v[159:160]
	v_fma_f64 v[161:162], v[2:3], v[10:11], -v[12:13]
	ds_load_b128 v[2:5], v1 offset:1088
	scratch_load_b128 v[10:13], off, off offset:480
	v_add_f64_e32 v[153:154], v[153:154], v[42:43]
	v_add_f64_e32 v[155:156], v[155:156], v[44:45]
	ds_load_b128 v[42:45], v1 offset:1104
	v_fma_f64 v[151:152], v[151:152], v[14:15], v[157:158]
	v_fma_f64 v[149:150], v[149:150], v[14:15], -v[16:17]
	scratch_load_b128 v[14:17], off, off offset:496
	s_wait_loadcnt_dscnt 0xa01
	v_mul_f64_e32 v[163:164], v[2:3], v[20:21]
	v_mul_f64_e32 v[20:21], v[4:5], v[20:21]
	s_wait_loadcnt_dscnt 0x900
	v_mul_f64_e32 v[157:158], v[42:43], v[24:25]
	v_mul_f64_e32 v[24:25], v[44:45], v[24:25]
	v_add_f64_e32 v[153:154], v[153:154], v[161:162]
	v_add_f64_e32 v[155:156], v[155:156], v[159:160]
	v_fma_f64 v[159:160], v[4:5], v[18:19], v[163:164]
	v_fma_f64 v[161:162], v[2:3], v[18:19], -v[20:21]
	ds_load_b128 v[2:5], v1 offset:1120
	scratch_load_b128 v[18:21], off, off offset:512
	v_fma_f64 v[44:45], v[44:45], v[22:23], v[157:158]
	v_fma_f64 v[42:43], v[42:43], v[22:23], -v[24:25]
	scratch_load_b128 v[22:25], off, off offset:528
	v_add_f64_e32 v[153:154], v[153:154], v[149:150]
	v_add_f64_e32 v[155:156], v[155:156], v[151:152]
	ds_load_b128 v[149:152], v1 offset:1136
	s_wait_loadcnt_dscnt 0xa01
	v_mul_f64_e32 v[163:164], v[2:3], v[28:29]
	v_mul_f64_e32 v[28:29], v[4:5], v[28:29]
	s_wait_loadcnt_dscnt 0x900
	v_mul_f64_e32 v[157:158], v[149:150], v[32:33]
	v_mul_f64_e32 v[32:33], v[151:152], v[32:33]
	v_add_f64_e32 v[153:154], v[153:154], v[161:162]
	v_add_f64_e32 v[155:156], v[155:156], v[159:160]
	v_fma_f64 v[159:160], v[4:5], v[26:27], v[163:164]
	v_fma_f64 v[161:162], v[2:3], v[26:27], -v[28:29]
	ds_load_b128 v[2:5], v1 offset:1152
	scratch_load_b128 v[26:29], off, off offset:544
	v_fma_f64 v[151:152], v[151:152], v[30:31], v[157:158]
	v_fma_f64 v[149:150], v[149:150], v[30:31], -v[32:33]
	scratch_load_b128 v[30:33], off, off offset:560
	v_add_f64_e32 v[153:154], v[153:154], v[42:43]
	v_add_f64_e32 v[155:156], v[155:156], v[44:45]
	ds_load_b128 v[42:45], v1 offset:1168
	s_wait_loadcnt_dscnt 0xa01
	v_mul_f64_e32 v[163:164], v[2:3], v[36:37]
	v_mul_f64_e32 v[36:37], v[4:5], v[36:37]
	s_wait_loadcnt_dscnt 0x800
	v_mul_f64_e32 v[157:158], v[42:43], v[147:148]
	v_add_f64_e32 v[153:154], v[153:154], v[161:162]
	v_add_f64_e32 v[155:156], v[155:156], v[159:160]
	v_mul_f64_e32 v[159:160], v[44:45], v[147:148]
	v_fma_f64 v[161:162], v[4:5], v[34:35], v[163:164]
	v_fma_f64 v[163:164], v[2:3], v[34:35], -v[36:37]
	ds_load_b128 v[2:5], v1 offset:1184
	scratch_load_b128 v[34:37], off, off offset:576
	v_fma_f64 v[44:45], v[44:45], v[145:146], v[157:158]
	v_add_f64_e32 v[153:154], v[153:154], v[149:150]
	v_add_f64_e32 v[151:152], v[155:156], v[151:152]
	ds_load_b128 v[147:150], v1 offset:1200
	v_fma_f64 v[145:146], v[42:43], v[145:146], -v[159:160]
	s_wait_loadcnt_dscnt 0x801
	v_mul_f64_e32 v[155:156], v[2:3], v[40:41]
	v_mul_f64_e32 v[165:166], v[4:5], v[40:41]
	scratch_load_b128 v[40:43], off, off offset:592
	s_wait_loadcnt_dscnt 0x800
	v_mul_f64_e32 v[159:160], v[147:148], v[8:9]
	v_mul_f64_e32 v[8:9], v[149:150], v[8:9]
	v_add_f64_e32 v[153:154], v[153:154], v[163:164]
	v_add_f64_e32 v[151:152], v[151:152], v[161:162]
	v_fma_f64 v[161:162], v[4:5], v[38:39], v[155:156]
	v_fma_f64 v[38:39], v[2:3], v[38:39], -v[165:166]
	ds_load_b128 v[2:5], v1 offset:1216
	ds_load_b128 v[155:158], v1 offset:1232
	v_fma_f64 v[149:150], v[149:150], v[6:7], v[159:160]
	v_fma_f64 v[147:148], v[147:148], v[6:7], -v[8:9]
	scratch_load_b128 v[6:9], off, off offset:624
	v_add_f64_e32 v[145:146], v[153:154], v[145:146]
	v_add_f64_e32 v[44:45], v[151:152], v[44:45]
	scratch_load_b128 v[151:154], off, off offset:608
	s_wait_loadcnt_dscnt 0x901
	v_mul_f64_e32 v[163:164], v[2:3], v[12:13]
	v_mul_f64_e32 v[12:13], v[4:5], v[12:13]
	s_wait_loadcnt_dscnt 0x800
	v_mul_f64_e32 v[159:160], v[155:156], v[16:17]
	v_mul_f64_e32 v[16:17], v[157:158], v[16:17]
	v_add_f64_e32 v[38:39], v[145:146], v[38:39]
	v_add_f64_e32 v[44:45], v[44:45], v[161:162]
	v_fma_f64 v[161:162], v[4:5], v[10:11], v[163:164]
	v_fma_f64 v[163:164], v[2:3], v[10:11], -v[12:13]
	ds_load_b128 v[2:5], v1 offset:1248
	scratch_load_b128 v[10:13], off, off offset:640
	v_fma_f64 v[157:158], v[157:158], v[14:15], v[159:160]
	v_fma_f64 v[155:156], v[155:156], v[14:15], -v[16:17]
	scratch_load_b128 v[14:17], off, off offset:656
	v_add_f64_e32 v[38:39], v[38:39], v[147:148]
	v_add_f64_e32 v[44:45], v[44:45], v[149:150]
	ds_load_b128 v[145:148], v1 offset:1264
	s_wait_loadcnt_dscnt 0x901
	v_mul_f64_e32 v[149:150], v[2:3], v[20:21]
	v_mul_f64_e32 v[20:21], v[4:5], v[20:21]
	s_wait_loadcnt_dscnt 0x800
	v_mul_f64_e32 v[159:160], v[145:146], v[24:25]
	v_mul_f64_e32 v[24:25], v[147:148], v[24:25]
	v_add_f64_e32 v[38:39], v[38:39], v[163:164]
	v_add_f64_e32 v[44:45], v[44:45], v[161:162]
	v_fma_f64 v[149:150], v[4:5], v[18:19], v[149:150]
	v_fma_f64 v[161:162], v[2:3], v[18:19], -v[20:21]
	ds_load_b128 v[2:5], v1 offset:1280
	scratch_load_b128 v[18:21], off, off offset:672
	v_fma_f64 v[147:148], v[147:148], v[22:23], v[159:160]
	v_fma_f64 v[145:146], v[145:146], v[22:23], -v[24:25]
	scratch_load_b128 v[22:25], off, off offset:688
	v_add_f64_e32 v[38:39], v[38:39], v[155:156]
	v_add_f64_e32 v[44:45], v[44:45], v[157:158]
	ds_load_b128 v[155:158], v1 offset:1296
	s_wait_loadcnt_dscnt 0x901
	v_mul_f64_e32 v[163:164], v[2:3], v[28:29]
	v_mul_f64_e32 v[28:29], v[4:5], v[28:29]
	v_add_f64_e32 v[38:39], v[38:39], v[161:162]
	v_add_f64_e32 v[44:45], v[44:45], v[149:150]
	s_wait_loadcnt_dscnt 0x800
	v_mul_f64_e32 v[149:150], v[155:156], v[32:33]
	v_mul_f64_e32 v[32:33], v[157:158], v[32:33]
	v_fma_f64 v[159:160], v[4:5], v[26:27], v[163:164]
	v_fma_f64 v[161:162], v[2:3], v[26:27], -v[28:29]
	ds_load_b128 v[2:5], v1 offset:1312
	scratch_load_b128 v[26:29], off, off offset:704
	v_add_f64_e32 v[38:39], v[38:39], v[145:146]
	v_add_f64_e32 v[44:45], v[44:45], v[147:148]
	ds_load_b128 v[145:148], v1 offset:1328
	s_wait_loadcnt_dscnt 0x801
	v_mul_f64_e32 v[163:164], v[2:3], v[36:37]
	v_mul_f64_e32 v[36:37], v[4:5], v[36:37]
	v_fma_f64 v[149:150], v[157:158], v[30:31], v[149:150]
	v_fma_f64 v[155:156], v[155:156], v[30:31], -v[32:33]
	scratch_load_b128 v[30:33], off, off offset:720
	s_wait_loadcnt_dscnt 0x800
	v_mul_f64_e32 v[157:158], v[145:146], v[42:43]
	v_add_f64_e32 v[38:39], v[38:39], v[161:162]
	v_add_f64_e32 v[44:45], v[44:45], v[159:160]
	v_mul_f64_e32 v[159:160], v[147:148], v[42:43]
	v_fma_f64 v[161:162], v[4:5], v[34:35], v[163:164]
	v_fma_f64 v[163:164], v[2:3], v[34:35], -v[36:37]
	ds_load_b128 v[2:5], v1 offset:1344
	scratch_load_b128 v[34:37], off, off offset:736
	v_fma_f64 v[147:148], v[147:148], v[40:41], v[157:158]
	v_add_f64_e32 v[38:39], v[38:39], v[155:156]
	v_add_f64_e32 v[149:150], v[44:45], v[149:150]
	ds_load_b128 v[42:45], v1 offset:1360
	v_fma_f64 v[145:146], v[145:146], v[40:41], -v[159:160]
	s_wait_loadcnt_dscnt 0x701
	v_mul_f64_e32 v[155:156], v[2:3], v[153:154]
	v_mul_f64_e32 v[153:154], v[4:5], v[153:154]
	s_wait_dscnt 0x0
	v_mul_f64_e32 v[159:160], v[42:43], v[8:9]
	v_mul_f64_e32 v[8:9], v[44:45], v[8:9]
	v_add_f64_e32 v[157:158], v[38:39], v[163:164]
	v_add_f64_e32 v[149:150], v[149:150], v[161:162]
	scratch_load_b128 v[38:41], off, off offset:752
	v_fma_f64 v[155:156], v[4:5], v[151:152], v[155:156]
	v_fma_f64 v[151:152], v[2:3], v[151:152], -v[153:154]
	v_fma_f64 v[44:45], v[44:45], v[6:7], v[159:160]
	v_fma_f64 v[6:7], v[42:43], v[6:7], -v[8:9]
	v_add_f64_e32 v[153:154], v[157:158], v[145:146]
	v_add_f64_e32 v[149:150], v[149:150], v[147:148]
	ds_load_b128 v[2:5], v1 offset:1376
	ds_load_b128 v[145:148], v1 offset:1392
	s_wait_loadcnt_dscnt 0x701
	v_mul_f64_e32 v[157:158], v[2:3], v[12:13]
	v_mul_f64_e32 v[12:13], v[4:5], v[12:13]
	v_add_f64_e32 v[8:9], v[153:154], v[151:152]
	v_add_f64_e32 v[42:43], v[149:150], v[155:156]
	s_wait_loadcnt_dscnt 0x600
	v_mul_f64_e32 v[149:150], v[145:146], v[16:17]
	v_mul_f64_e32 v[16:17], v[147:148], v[16:17]
	v_fma_f64 v[151:152], v[4:5], v[10:11], v[157:158]
	v_fma_f64 v[10:11], v[2:3], v[10:11], -v[12:13]
	v_add_f64_e32 v[12:13], v[8:9], v[6:7]
	v_add_f64_e32 v[42:43], v[42:43], v[44:45]
	ds_load_b128 v[2:5], v1 offset:1408
	ds_load_b128 v[6:9], v1 offset:1424
	v_fma_f64 v[147:148], v[147:148], v[14:15], v[149:150]
	v_fma_f64 v[14:15], v[145:146], v[14:15], -v[16:17]
	s_wait_loadcnt_dscnt 0x501
	v_mul_f64_e32 v[44:45], v[2:3], v[20:21]
	v_mul_f64_e32 v[20:21], v[4:5], v[20:21]
	s_wait_loadcnt_dscnt 0x400
	v_mul_f64_e32 v[16:17], v[6:7], v[24:25]
	v_mul_f64_e32 v[24:25], v[8:9], v[24:25]
	v_add_f64_e32 v[10:11], v[12:13], v[10:11]
	v_add_f64_e32 v[12:13], v[42:43], v[151:152]
	v_fma_f64 v[42:43], v[4:5], v[18:19], v[44:45]
	v_fma_f64 v[18:19], v[2:3], v[18:19], -v[20:21]
	v_fma_f64 v[8:9], v[8:9], v[22:23], v[16:17]
	v_fma_f64 v[6:7], v[6:7], v[22:23], -v[24:25]
	v_add_f64_e32 v[14:15], v[10:11], v[14:15]
	v_add_f64_e32 v[20:21], v[12:13], v[147:148]
	ds_load_b128 v[2:5], v1 offset:1440
	ds_load_b128 v[10:13], v1 offset:1456
	s_wait_loadcnt_dscnt 0x301
	v_mul_f64_e32 v[44:45], v[2:3], v[28:29]
	v_mul_f64_e32 v[28:29], v[4:5], v[28:29]
	v_add_f64_e32 v[14:15], v[14:15], v[18:19]
	v_add_f64_e32 v[16:17], v[20:21], v[42:43]
	s_wait_loadcnt_dscnt 0x200
	v_mul_f64_e32 v[18:19], v[10:11], v[32:33]
	v_mul_f64_e32 v[20:21], v[12:13], v[32:33]
	v_fma_f64 v[22:23], v[4:5], v[26:27], v[44:45]
	v_fma_f64 v[24:25], v[2:3], v[26:27], -v[28:29]
	v_add_f64_e32 v[14:15], v[14:15], v[6:7]
	v_add_f64_e32 v[16:17], v[16:17], v[8:9]
	ds_load_b128 v[2:5], v1 offset:1472
	ds_load_b128 v[6:9], v1 offset:1488
	v_fma_f64 v[12:13], v[12:13], v[30:31], v[18:19]
	v_fma_f64 v[10:11], v[10:11], v[30:31], -v[20:21]
	s_wait_loadcnt_dscnt 0x101
	v_mul_f64_e32 v[26:27], v[2:3], v[36:37]
	v_mul_f64_e32 v[28:29], v[4:5], v[36:37]
	v_add_f64_e32 v[14:15], v[14:15], v[24:25]
	v_add_f64_e32 v[16:17], v[16:17], v[22:23]
	s_wait_loadcnt_dscnt 0x0
	v_mul_f64_e32 v[18:19], v[6:7], v[40:41]
	v_mul_f64_e32 v[20:21], v[8:9], v[40:41]
	v_fma_f64 v[4:5], v[4:5], v[34:35], v[26:27]
	v_fma_f64 v[1:2], v[2:3], v[34:35], -v[28:29]
	v_add_f64_e32 v[10:11], v[14:15], v[10:11]
	v_add_f64_e32 v[12:13], v[16:17], v[12:13]
	v_fma_f64 v[8:9], v[8:9], v[38:39], v[18:19]
	v_fma_f64 v[6:7], v[6:7], v[38:39], -v[20:21]
	s_delay_alu instid0(VALU_DEP_4) | instskip(NEXT) | instid1(VALU_DEP_4)
	v_add_f64_e32 v[1:2], v[10:11], v[1:2]
	v_add_f64_e32 v[3:4], v[12:13], v[4:5]
	s_delay_alu instid0(VALU_DEP_2) | instskip(NEXT) | instid1(VALU_DEP_2)
	v_add_f64_e32 v[1:2], v[1:2], v[6:7]
	v_add_f64_e32 v[3:4], v[3:4], v[8:9]
	s_delay_alu instid0(VALU_DEP_2) | instskip(NEXT) | instid1(VALU_DEP_2)
	v_add_f64_e64 v[1:2], v[141:142], -v[1:2]
	v_add_f64_e64 v[3:4], v[143:144], -v[3:4]
	scratch_store_b128 off, v[1:4], off offset:272
	v_cmpx_lt_u32_e32 15, v0
	s_cbranch_execz .LBB46_265
; %bb.264:
	scratch_load_b128 v[1:4], off, s45
	v_mov_b32_e32 v5, 0
	s_delay_alu instid0(VALU_DEP_1)
	v_dual_mov_b32 v6, v5 :: v_dual_mov_b32 v7, v5
	v_mov_b32_e32 v8, v5
	scratch_store_b128 off, v[5:8], off offset:256
	s_wait_loadcnt 0x0
	ds_store_b128 v140, v[1:4]
.LBB46_265:
	s_wait_alu 0xfffe
	s_or_b32 exec_lo, exec_lo, s0
	s_wait_storecnt_dscnt 0x0
	s_barrier_signal -1
	s_barrier_wait -1
	global_inv scope:SCOPE_SE
	s_clause 0x7
	scratch_load_b128 v[2:5], off, off offset:272
	scratch_load_b128 v[6:9], off, off offset:288
	;; [unrolled: 1-line block ×8, first 2 shown]
	v_mov_b32_e32 v1, 0
	s_mov_b32 s0, exec_lo
	ds_load_b128 v[34:37], v1 offset:1008
	s_clause 0x1
	scratch_load_b128 v[38:41], off, off offset:400
	scratch_load_b128 v[42:45], off, off offset:256
	ds_load_b128 v[141:144], v1 offset:1024
	scratch_load_b128 v[145:148], off, off offset:416
	s_wait_loadcnt_dscnt 0xa01
	v_mul_f64_e32 v[149:150], v[36:37], v[4:5]
	v_mul_f64_e32 v[4:5], v[34:35], v[4:5]
	s_delay_alu instid0(VALU_DEP_2) | instskip(NEXT) | instid1(VALU_DEP_2)
	v_fma_f64 v[155:156], v[34:35], v[2:3], -v[149:150]
	v_fma_f64 v[157:158], v[36:37], v[2:3], v[4:5]
	ds_load_b128 v[2:5], v1 offset:1040
	s_wait_loadcnt_dscnt 0x901
	v_mul_f64_e32 v[153:154], v[141:142], v[8:9]
	v_mul_f64_e32 v[8:9], v[143:144], v[8:9]
	scratch_load_b128 v[34:37], off, off offset:432
	ds_load_b128 v[149:152], v1 offset:1056
	s_wait_loadcnt_dscnt 0x901
	v_mul_f64_e32 v[159:160], v[2:3], v[12:13]
	v_mul_f64_e32 v[12:13], v[4:5], v[12:13]
	v_fma_f64 v[143:144], v[143:144], v[6:7], v[153:154]
	v_fma_f64 v[141:142], v[141:142], v[6:7], -v[8:9]
	v_add_f64_e32 v[153:154], 0, v[155:156]
	v_add_f64_e32 v[155:156], 0, v[157:158]
	scratch_load_b128 v[6:9], off, off offset:448
	v_fma_f64 v[159:160], v[4:5], v[10:11], v[159:160]
	v_fma_f64 v[161:162], v[2:3], v[10:11], -v[12:13]
	ds_load_b128 v[2:5], v1 offset:1072
	s_wait_loadcnt_dscnt 0x901
	v_mul_f64_e32 v[157:158], v[149:150], v[16:17]
	v_mul_f64_e32 v[16:17], v[151:152], v[16:17]
	scratch_load_b128 v[10:13], off, off offset:464
	v_add_f64_e32 v[153:154], v[153:154], v[141:142]
	v_add_f64_e32 v[155:156], v[155:156], v[143:144]
	s_wait_loadcnt_dscnt 0x900
	v_mul_f64_e32 v[163:164], v[2:3], v[20:21]
	v_mul_f64_e32 v[20:21], v[4:5], v[20:21]
	ds_load_b128 v[141:144], v1 offset:1088
	v_fma_f64 v[151:152], v[151:152], v[14:15], v[157:158]
	v_fma_f64 v[149:150], v[149:150], v[14:15], -v[16:17]
	scratch_load_b128 v[14:17], off, off offset:480
	v_add_f64_e32 v[153:154], v[153:154], v[161:162]
	v_add_f64_e32 v[155:156], v[155:156], v[159:160]
	v_fma_f64 v[159:160], v[4:5], v[18:19], v[163:164]
	v_fma_f64 v[161:162], v[2:3], v[18:19], -v[20:21]
	ds_load_b128 v[2:5], v1 offset:1104
	s_wait_loadcnt_dscnt 0x901
	v_mul_f64_e32 v[157:158], v[141:142], v[24:25]
	v_mul_f64_e32 v[24:25], v[143:144], v[24:25]
	scratch_load_b128 v[18:21], off, off offset:496
	s_wait_loadcnt_dscnt 0x900
	v_mul_f64_e32 v[163:164], v[2:3], v[28:29]
	v_mul_f64_e32 v[28:29], v[4:5], v[28:29]
	v_add_f64_e32 v[153:154], v[153:154], v[149:150]
	v_add_f64_e32 v[155:156], v[155:156], v[151:152]
	ds_load_b128 v[149:152], v1 offset:1120
	v_fma_f64 v[143:144], v[143:144], v[22:23], v[157:158]
	v_fma_f64 v[141:142], v[141:142], v[22:23], -v[24:25]
	scratch_load_b128 v[22:25], off, off offset:512
	v_add_f64_e32 v[153:154], v[153:154], v[161:162]
	v_add_f64_e32 v[155:156], v[155:156], v[159:160]
	v_fma_f64 v[159:160], v[4:5], v[26:27], v[163:164]
	v_fma_f64 v[161:162], v[2:3], v[26:27], -v[28:29]
	ds_load_b128 v[2:5], v1 offset:1136
	s_wait_loadcnt_dscnt 0x901
	v_mul_f64_e32 v[157:158], v[149:150], v[32:33]
	v_mul_f64_e32 v[32:33], v[151:152], v[32:33]
	scratch_load_b128 v[26:29], off, off offset:528
	s_wait_loadcnt_dscnt 0x900
	v_mul_f64_e32 v[163:164], v[2:3], v[40:41]
	v_mul_f64_e32 v[40:41], v[4:5], v[40:41]
	v_add_f64_e32 v[153:154], v[153:154], v[141:142]
	v_add_f64_e32 v[155:156], v[155:156], v[143:144]
	ds_load_b128 v[141:144], v1 offset:1152
	v_fma_f64 v[151:152], v[151:152], v[30:31], v[157:158]
	v_fma_f64 v[149:150], v[149:150], v[30:31], -v[32:33]
	scratch_load_b128 v[30:33], off, off offset:544
	v_add_f64_e32 v[153:154], v[153:154], v[161:162]
	v_add_f64_e32 v[155:156], v[155:156], v[159:160]
	v_fma_f64 v[161:162], v[4:5], v[38:39], v[163:164]
	v_fma_f64 v[163:164], v[2:3], v[38:39], -v[40:41]
	ds_load_b128 v[2:5], v1 offset:1168
	s_wait_loadcnt_dscnt 0x801
	v_mul_f64_e32 v[157:158], v[141:142], v[147:148]
	v_mul_f64_e32 v[159:160], v[143:144], v[147:148]
	scratch_load_b128 v[38:41], off, off offset:560
	v_add_f64_e32 v[153:154], v[153:154], v[149:150]
	v_add_f64_e32 v[151:152], v[155:156], v[151:152]
	ds_load_b128 v[147:150], v1 offset:1184
	v_fma_f64 v[157:158], v[143:144], v[145:146], v[157:158]
	v_fma_f64 v[145:146], v[141:142], v[145:146], -v[159:160]
	scratch_load_b128 v[141:144], off, off offset:576
	s_wait_loadcnt_dscnt 0x901
	v_mul_f64_e32 v[155:156], v[2:3], v[36:37]
	v_mul_f64_e32 v[36:37], v[4:5], v[36:37]
	v_add_f64_e32 v[153:154], v[153:154], v[163:164]
	v_add_f64_e32 v[151:152], v[151:152], v[161:162]
	s_delay_alu instid0(VALU_DEP_4) | instskip(NEXT) | instid1(VALU_DEP_4)
	v_fma_f64 v[155:156], v[4:5], v[34:35], v[155:156]
	v_fma_f64 v[161:162], v[2:3], v[34:35], -v[36:37]
	ds_load_b128 v[2:5], v1 offset:1200
	s_wait_loadcnt_dscnt 0x801
	v_mul_f64_e32 v[159:160], v[147:148], v[8:9]
	v_mul_f64_e32 v[8:9], v[149:150], v[8:9]
	scratch_load_b128 v[34:37], off, off offset:592
	s_wait_loadcnt_dscnt 0x800
	v_mul_f64_e32 v[163:164], v[2:3], v[12:13]
	v_add_f64_e32 v[145:146], v[153:154], v[145:146]
	v_add_f64_e32 v[157:158], v[151:152], v[157:158]
	v_mul_f64_e32 v[12:13], v[4:5], v[12:13]
	ds_load_b128 v[151:154], v1 offset:1216
	v_fma_f64 v[149:150], v[149:150], v[6:7], v[159:160]
	v_fma_f64 v[147:148], v[147:148], v[6:7], -v[8:9]
	scratch_load_b128 v[6:9], off, off offset:608
	v_fma_f64 v[159:160], v[4:5], v[10:11], v[163:164]
	v_add_f64_e32 v[145:146], v[145:146], v[161:162]
	v_add_f64_e32 v[155:156], v[157:158], v[155:156]
	v_fma_f64 v[161:162], v[2:3], v[10:11], -v[12:13]
	ds_load_b128 v[2:5], v1 offset:1232
	s_wait_loadcnt_dscnt 0x801
	v_mul_f64_e32 v[157:158], v[151:152], v[16:17]
	v_mul_f64_e32 v[16:17], v[153:154], v[16:17]
	scratch_load_b128 v[10:13], off, off offset:624
	v_add_f64_e32 v[163:164], v[145:146], v[147:148]
	v_add_f64_e32 v[149:150], v[155:156], v[149:150]
	s_wait_loadcnt_dscnt 0x800
	v_mul_f64_e32 v[155:156], v[2:3], v[20:21]
	v_mul_f64_e32 v[20:21], v[4:5], v[20:21]
	v_fma_f64 v[153:154], v[153:154], v[14:15], v[157:158]
	v_fma_f64 v[151:152], v[151:152], v[14:15], -v[16:17]
	ds_load_b128 v[145:148], v1 offset:1248
	scratch_load_b128 v[14:17], off, off offset:640
	v_add_f64_e32 v[157:158], v[163:164], v[161:162]
	v_add_f64_e32 v[149:150], v[149:150], v[159:160]
	v_fma_f64 v[155:156], v[4:5], v[18:19], v[155:156]
	v_fma_f64 v[161:162], v[2:3], v[18:19], -v[20:21]
	ds_load_b128 v[2:5], v1 offset:1264
	s_wait_loadcnt_dscnt 0x801
	v_mul_f64_e32 v[159:160], v[145:146], v[24:25]
	v_mul_f64_e32 v[24:25], v[147:148], v[24:25]
	scratch_load_b128 v[18:21], off, off offset:656
	s_wait_loadcnt_dscnt 0x800
	v_mul_f64_e32 v[163:164], v[2:3], v[28:29]
	v_mul_f64_e32 v[28:29], v[4:5], v[28:29]
	v_add_f64_e32 v[157:158], v[157:158], v[151:152]
	v_add_f64_e32 v[153:154], v[149:150], v[153:154]
	ds_load_b128 v[149:152], v1 offset:1280
	v_fma_f64 v[147:148], v[147:148], v[22:23], v[159:160]
	v_fma_f64 v[145:146], v[145:146], v[22:23], -v[24:25]
	scratch_load_b128 v[22:25], off, off offset:672
	v_fma_f64 v[159:160], v[4:5], v[26:27], v[163:164]
	v_add_f64_e32 v[157:158], v[157:158], v[161:162]
	v_add_f64_e32 v[153:154], v[153:154], v[155:156]
	v_fma_f64 v[161:162], v[2:3], v[26:27], -v[28:29]
	ds_load_b128 v[2:5], v1 offset:1296
	s_wait_loadcnt_dscnt 0x801
	v_mul_f64_e32 v[155:156], v[149:150], v[32:33]
	v_mul_f64_e32 v[32:33], v[151:152], v[32:33]
	scratch_load_b128 v[26:29], off, off offset:688
	s_wait_loadcnt_dscnt 0x800
	v_mul_f64_e32 v[163:164], v[2:3], v[40:41]
	v_mul_f64_e32 v[40:41], v[4:5], v[40:41]
	v_add_f64_e32 v[157:158], v[157:158], v[145:146]
	v_add_f64_e32 v[153:154], v[153:154], v[147:148]
	ds_load_b128 v[145:148], v1 offset:1312
	v_fma_f64 v[151:152], v[151:152], v[30:31], v[155:156]
	v_fma_f64 v[149:150], v[149:150], v[30:31], -v[32:33]
	scratch_load_b128 v[30:33], off, off offset:704
	v_add_f64_e32 v[155:156], v[157:158], v[161:162]
	v_add_f64_e32 v[153:154], v[153:154], v[159:160]
	v_fma_f64 v[159:160], v[4:5], v[38:39], v[163:164]
	v_fma_f64 v[161:162], v[2:3], v[38:39], -v[40:41]
	ds_load_b128 v[2:5], v1 offset:1328
	s_wait_loadcnt_dscnt 0x801
	v_mul_f64_e32 v[157:158], v[145:146], v[143:144]
	v_mul_f64_e32 v[143:144], v[147:148], v[143:144]
	scratch_load_b128 v[38:41], off, off offset:720
	s_wait_loadcnt_dscnt 0x800
	v_mul_f64_e32 v[163:164], v[2:3], v[36:37]
	v_mul_f64_e32 v[36:37], v[4:5], v[36:37]
	v_add_f64_e32 v[155:156], v[155:156], v[149:150]
	v_add_f64_e32 v[153:154], v[153:154], v[151:152]
	ds_load_b128 v[149:152], v1 offset:1344
	v_fma_f64 v[147:148], v[147:148], v[141:142], v[157:158]
	v_fma_f64 v[145:146], v[145:146], v[141:142], -v[143:144]
	scratch_load_b128 v[141:144], off, off offset:736
	v_add_f64_e32 v[155:156], v[155:156], v[161:162]
	v_add_f64_e32 v[153:154], v[153:154], v[159:160]
	v_fma_f64 v[159:160], v[4:5], v[34:35], v[163:164]
	v_fma_f64 v[161:162], v[2:3], v[34:35], -v[36:37]
	ds_load_b128 v[2:5], v1 offset:1360
	s_wait_loadcnt_dscnt 0x801
	v_mul_f64_e32 v[157:158], v[149:150], v[8:9]
	v_mul_f64_e32 v[8:9], v[151:152], v[8:9]
	scratch_load_b128 v[34:37], off, off offset:752
	s_wait_loadcnt_dscnt 0x800
	v_mul_f64_e32 v[163:164], v[2:3], v[12:13]
	v_mul_f64_e32 v[12:13], v[4:5], v[12:13]
	v_add_f64_e32 v[155:156], v[155:156], v[145:146]
	v_add_f64_e32 v[153:154], v[153:154], v[147:148]
	ds_load_b128 v[145:148], v1 offset:1376
	v_fma_f64 v[151:152], v[151:152], v[6:7], v[157:158]
	v_fma_f64 v[6:7], v[149:150], v[6:7], -v[8:9]
	v_add_f64_e32 v[8:9], v[155:156], v[161:162]
	v_add_f64_e32 v[149:150], v[153:154], v[159:160]
	s_wait_loadcnt_dscnt 0x700
	v_mul_f64_e32 v[153:154], v[145:146], v[16:17]
	v_mul_f64_e32 v[16:17], v[147:148], v[16:17]
	v_fma_f64 v[155:156], v[4:5], v[10:11], v[163:164]
	v_fma_f64 v[10:11], v[2:3], v[10:11], -v[12:13]
	v_add_f64_e32 v[12:13], v[8:9], v[6:7]
	v_add_f64_e32 v[149:150], v[149:150], v[151:152]
	ds_load_b128 v[2:5], v1 offset:1392
	ds_load_b128 v[6:9], v1 offset:1408
	v_fma_f64 v[147:148], v[147:148], v[14:15], v[153:154]
	v_fma_f64 v[14:15], v[145:146], v[14:15], -v[16:17]
	s_wait_loadcnt_dscnt 0x601
	v_mul_f64_e32 v[151:152], v[2:3], v[20:21]
	v_mul_f64_e32 v[20:21], v[4:5], v[20:21]
	s_wait_loadcnt_dscnt 0x500
	v_mul_f64_e32 v[16:17], v[6:7], v[24:25]
	v_mul_f64_e32 v[24:25], v[8:9], v[24:25]
	v_add_f64_e32 v[10:11], v[12:13], v[10:11]
	v_add_f64_e32 v[12:13], v[149:150], v[155:156]
	v_fma_f64 v[145:146], v[4:5], v[18:19], v[151:152]
	v_fma_f64 v[18:19], v[2:3], v[18:19], -v[20:21]
	v_fma_f64 v[8:9], v[8:9], v[22:23], v[16:17]
	v_fma_f64 v[6:7], v[6:7], v[22:23], -v[24:25]
	v_add_f64_e32 v[14:15], v[10:11], v[14:15]
	v_add_f64_e32 v[20:21], v[12:13], v[147:148]
	ds_load_b128 v[2:5], v1 offset:1424
	ds_load_b128 v[10:13], v1 offset:1440
	s_wait_loadcnt_dscnt 0x401
	v_mul_f64_e32 v[147:148], v[2:3], v[28:29]
	v_mul_f64_e32 v[28:29], v[4:5], v[28:29]
	v_add_f64_e32 v[14:15], v[14:15], v[18:19]
	v_add_f64_e32 v[16:17], v[20:21], v[145:146]
	s_wait_loadcnt_dscnt 0x300
	v_mul_f64_e32 v[18:19], v[10:11], v[32:33]
	v_mul_f64_e32 v[20:21], v[12:13], v[32:33]
	v_fma_f64 v[22:23], v[4:5], v[26:27], v[147:148]
	v_fma_f64 v[24:25], v[2:3], v[26:27], -v[28:29]
	v_add_f64_e32 v[14:15], v[14:15], v[6:7]
	v_add_f64_e32 v[16:17], v[16:17], v[8:9]
	ds_load_b128 v[2:5], v1 offset:1456
	ds_load_b128 v[6:9], v1 offset:1472
	v_fma_f64 v[12:13], v[12:13], v[30:31], v[18:19]
	v_fma_f64 v[10:11], v[10:11], v[30:31], -v[20:21]
	s_wait_loadcnt_dscnt 0x201
	v_mul_f64_e32 v[26:27], v[2:3], v[40:41]
	v_mul_f64_e32 v[28:29], v[4:5], v[40:41]
	s_wait_loadcnt_dscnt 0x100
	v_mul_f64_e32 v[18:19], v[6:7], v[143:144]
	v_mul_f64_e32 v[20:21], v[8:9], v[143:144]
	v_add_f64_e32 v[14:15], v[14:15], v[24:25]
	v_add_f64_e32 v[16:17], v[16:17], v[22:23]
	v_fma_f64 v[22:23], v[4:5], v[38:39], v[26:27]
	v_fma_f64 v[24:25], v[2:3], v[38:39], -v[28:29]
	ds_load_b128 v[2:5], v1 offset:1488
	v_fma_f64 v[8:9], v[8:9], v[141:142], v[18:19]
	v_fma_f64 v[6:7], v[6:7], v[141:142], -v[20:21]
	v_add_f64_e32 v[10:11], v[14:15], v[10:11]
	v_add_f64_e32 v[12:13], v[16:17], v[12:13]
	s_wait_loadcnt_dscnt 0x0
	v_mul_f64_e32 v[14:15], v[2:3], v[36:37]
	v_mul_f64_e32 v[16:17], v[4:5], v[36:37]
	s_delay_alu instid0(VALU_DEP_4) | instskip(NEXT) | instid1(VALU_DEP_4)
	v_add_f64_e32 v[10:11], v[10:11], v[24:25]
	v_add_f64_e32 v[12:13], v[12:13], v[22:23]
	s_delay_alu instid0(VALU_DEP_4) | instskip(NEXT) | instid1(VALU_DEP_4)
	v_fma_f64 v[4:5], v[4:5], v[34:35], v[14:15]
	v_fma_f64 v[2:3], v[2:3], v[34:35], -v[16:17]
	s_delay_alu instid0(VALU_DEP_4) | instskip(NEXT) | instid1(VALU_DEP_4)
	v_add_f64_e32 v[6:7], v[10:11], v[6:7]
	v_add_f64_e32 v[8:9], v[12:13], v[8:9]
	s_delay_alu instid0(VALU_DEP_2) | instskip(NEXT) | instid1(VALU_DEP_2)
	v_add_f64_e32 v[2:3], v[6:7], v[2:3]
	v_add_f64_e32 v[4:5], v[8:9], v[4:5]
	s_delay_alu instid0(VALU_DEP_2) | instskip(NEXT) | instid1(VALU_DEP_2)
	v_add_f64_e64 v[2:3], v[42:43], -v[2:3]
	v_add_f64_e64 v[4:5], v[44:45], -v[4:5]
	scratch_store_b128 off, v[2:5], off offset:256
	v_cmpx_lt_u32_e32 14, v0
	s_cbranch_execz .LBB46_267
; %bb.266:
	scratch_load_b128 v[5:8], off, s46
	v_dual_mov_b32 v2, v1 :: v_dual_mov_b32 v3, v1
	v_mov_b32_e32 v4, v1
	scratch_store_b128 off, v[1:4], off offset:240
	s_wait_loadcnt 0x0
	ds_store_b128 v140, v[5:8]
.LBB46_267:
	s_wait_alu 0xfffe
	s_or_b32 exec_lo, exec_lo, s0
	s_wait_storecnt_dscnt 0x0
	s_barrier_signal -1
	s_barrier_wait -1
	global_inv scope:SCOPE_SE
	s_clause 0x8
	scratch_load_b128 v[2:5], off, off offset:256
	scratch_load_b128 v[6:9], off, off offset:272
	;; [unrolled: 1-line block ×9, first 2 shown]
	ds_load_b128 v[38:41], v1 offset:992
	ds_load_b128 v[42:45], v1 offset:1008
	s_clause 0x1
	scratch_load_b128 v[141:144], off, off offset:240
	scratch_load_b128 v[145:148], off, off offset:400
	s_mov_b32 s0, exec_lo
	s_wait_loadcnt_dscnt 0xa01
	v_mul_f64_e32 v[149:150], v[40:41], v[4:5]
	v_mul_f64_e32 v[4:5], v[38:39], v[4:5]
	s_wait_loadcnt_dscnt 0x900
	v_mul_f64_e32 v[153:154], v[42:43], v[8:9]
	v_mul_f64_e32 v[8:9], v[44:45], v[8:9]
	s_delay_alu instid0(VALU_DEP_4) | instskip(NEXT) | instid1(VALU_DEP_4)
	v_fma_f64 v[155:156], v[38:39], v[2:3], -v[149:150]
	v_fma_f64 v[157:158], v[40:41], v[2:3], v[4:5]
	ds_load_b128 v[2:5], v1 offset:1024
	ds_load_b128 v[149:152], v1 offset:1040
	scratch_load_b128 v[38:41], off, off offset:416
	v_fma_f64 v[44:45], v[44:45], v[6:7], v[153:154]
	v_fma_f64 v[42:43], v[42:43], v[6:7], -v[8:9]
	scratch_load_b128 v[6:9], off, off offset:432
	s_wait_loadcnt_dscnt 0xa01
	v_mul_f64_e32 v[159:160], v[2:3], v[12:13]
	v_mul_f64_e32 v[12:13], v[4:5], v[12:13]
	v_add_f64_e32 v[153:154], 0, v[155:156]
	v_add_f64_e32 v[155:156], 0, v[157:158]
	s_wait_loadcnt_dscnt 0x900
	v_mul_f64_e32 v[157:158], v[149:150], v[16:17]
	v_mul_f64_e32 v[16:17], v[151:152], v[16:17]
	v_fma_f64 v[159:160], v[4:5], v[10:11], v[159:160]
	v_fma_f64 v[161:162], v[2:3], v[10:11], -v[12:13]
	ds_load_b128 v[2:5], v1 offset:1056
	scratch_load_b128 v[10:13], off, off offset:448
	v_add_f64_e32 v[153:154], v[153:154], v[42:43]
	v_add_f64_e32 v[155:156], v[155:156], v[44:45]
	ds_load_b128 v[42:45], v1 offset:1072
	v_fma_f64 v[151:152], v[151:152], v[14:15], v[157:158]
	v_fma_f64 v[149:150], v[149:150], v[14:15], -v[16:17]
	scratch_load_b128 v[14:17], off, off offset:464
	s_wait_loadcnt_dscnt 0xa01
	v_mul_f64_e32 v[163:164], v[2:3], v[20:21]
	v_mul_f64_e32 v[20:21], v[4:5], v[20:21]
	s_wait_loadcnt_dscnt 0x900
	v_mul_f64_e32 v[157:158], v[42:43], v[24:25]
	v_mul_f64_e32 v[24:25], v[44:45], v[24:25]
	v_add_f64_e32 v[153:154], v[153:154], v[161:162]
	v_add_f64_e32 v[155:156], v[155:156], v[159:160]
	v_fma_f64 v[159:160], v[4:5], v[18:19], v[163:164]
	v_fma_f64 v[161:162], v[2:3], v[18:19], -v[20:21]
	ds_load_b128 v[2:5], v1 offset:1088
	scratch_load_b128 v[18:21], off, off offset:480
	v_fma_f64 v[44:45], v[44:45], v[22:23], v[157:158]
	v_fma_f64 v[42:43], v[42:43], v[22:23], -v[24:25]
	scratch_load_b128 v[22:25], off, off offset:496
	v_add_f64_e32 v[153:154], v[153:154], v[149:150]
	v_add_f64_e32 v[155:156], v[155:156], v[151:152]
	ds_load_b128 v[149:152], v1 offset:1104
	s_wait_loadcnt_dscnt 0xa01
	v_mul_f64_e32 v[163:164], v[2:3], v[28:29]
	v_mul_f64_e32 v[28:29], v[4:5], v[28:29]
	s_wait_loadcnt_dscnt 0x900
	v_mul_f64_e32 v[157:158], v[149:150], v[32:33]
	v_mul_f64_e32 v[32:33], v[151:152], v[32:33]
	v_add_f64_e32 v[153:154], v[153:154], v[161:162]
	v_add_f64_e32 v[155:156], v[155:156], v[159:160]
	v_fma_f64 v[159:160], v[4:5], v[26:27], v[163:164]
	v_fma_f64 v[161:162], v[2:3], v[26:27], -v[28:29]
	ds_load_b128 v[2:5], v1 offset:1120
	scratch_load_b128 v[26:29], off, off offset:512
	v_fma_f64 v[151:152], v[151:152], v[30:31], v[157:158]
	v_fma_f64 v[149:150], v[149:150], v[30:31], -v[32:33]
	scratch_load_b128 v[30:33], off, off offset:528
	v_add_f64_e32 v[153:154], v[153:154], v[42:43]
	v_add_f64_e32 v[155:156], v[155:156], v[44:45]
	ds_load_b128 v[42:45], v1 offset:1136
	s_wait_loadcnt_dscnt 0xa01
	v_mul_f64_e32 v[163:164], v[2:3], v[36:37]
	v_mul_f64_e32 v[36:37], v[4:5], v[36:37]
	s_wait_loadcnt_dscnt 0x800
	v_mul_f64_e32 v[157:158], v[42:43], v[147:148]
	v_add_f64_e32 v[153:154], v[153:154], v[161:162]
	v_add_f64_e32 v[155:156], v[155:156], v[159:160]
	v_mul_f64_e32 v[159:160], v[44:45], v[147:148]
	v_fma_f64 v[161:162], v[4:5], v[34:35], v[163:164]
	v_fma_f64 v[163:164], v[2:3], v[34:35], -v[36:37]
	ds_load_b128 v[2:5], v1 offset:1152
	scratch_load_b128 v[34:37], off, off offset:544
	v_fma_f64 v[44:45], v[44:45], v[145:146], v[157:158]
	v_add_f64_e32 v[153:154], v[153:154], v[149:150]
	v_add_f64_e32 v[151:152], v[155:156], v[151:152]
	ds_load_b128 v[147:150], v1 offset:1168
	v_fma_f64 v[145:146], v[42:43], v[145:146], -v[159:160]
	s_wait_loadcnt_dscnt 0x801
	v_mul_f64_e32 v[155:156], v[2:3], v[40:41]
	v_mul_f64_e32 v[165:166], v[4:5], v[40:41]
	scratch_load_b128 v[40:43], off, off offset:560
	s_wait_loadcnt_dscnt 0x800
	v_mul_f64_e32 v[159:160], v[147:148], v[8:9]
	v_mul_f64_e32 v[8:9], v[149:150], v[8:9]
	v_add_f64_e32 v[153:154], v[153:154], v[163:164]
	v_add_f64_e32 v[151:152], v[151:152], v[161:162]
	v_fma_f64 v[161:162], v[4:5], v[38:39], v[155:156]
	v_fma_f64 v[38:39], v[2:3], v[38:39], -v[165:166]
	ds_load_b128 v[2:5], v1 offset:1184
	ds_load_b128 v[155:158], v1 offset:1200
	v_fma_f64 v[149:150], v[149:150], v[6:7], v[159:160]
	v_fma_f64 v[147:148], v[147:148], v[6:7], -v[8:9]
	scratch_load_b128 v[6:9], off, off offset:592
	v_add_f64_e32 v[145:146], v[153:154], v[145:146]
	v_add_f64_e32 v[44:45], v[151:152], v[44:45]
	scratch_load_b128 v[151:154], off, off offset:576
	s_wait_loadcnt_dscnt 0x901
	v_mul_f64_e32 v[163:164], v[2:3], v[12:13]
	v_mul_f64_e32 v[12:13], v[4:5], v[12:13]
	s_wait_loadcnt_dscnt 0x800
	v_mul_f64_e32 v[159:160], v[155:156], v[16:17]
	v_mul_f64_e32 v[16:17], v[157:158], v[16:17]
	v_add_f64_e32 v[38:39], v[145:146], v[38:39]
	v_add_f64_e32 v[44:45], v[44:45], v[161:162]
	v_fma_f64 v[161:162], v[4:5], v[10:11], v[163:164]
	v_fma_f64 v[163:164], v[2:3], v[10:11], -v[12:13]
	ds_load_b128 v[2:5], v1 offset:1216
	scratch_load_b128 v[10:13], off, off offset:608
	v_fma_f64 v[157:158], v[157:158], v[14:15], v[159:160]
	v_fma_f64 v[155:156], v[155:156], v[14:15], -v[16:17]
	scratch_load_b128 v[14:17], off, off offset:624
	v_add_f64_e32 v[38:39], v[38:39], v[147:148]
	v_add_f64_e32 v[44:45], v[44:45], v[149:150]
	ds_load_b128 v[145:148], v1 offset:1232
	s_wait_loadcnt_dscnt 0x901
	v_mul_f64_e32 v[149:150], v[2:3], v[20:21]
	v_mul_f64_e32 v[20:21], v[4:5], v[20:21]
	s_wait_loadcnt_dscnt 0x800
	v_mul_f64_e32 v[159:160], v[145:146], v[24:25]
	v_mul_f64_e32 v[24:25], v[147:148], v[24:25]
	v_add_f64_e32 v[38:39], v[38:39], v[163:164]
	v_add_f64_e32 v[44:45], v[44:45], v[161:162]
	v_fma_f64 v[149:150], v[4:5], v[18:19], v[149:150]
	v_fma_f64 v[161:162], v[2:3], v[18:19], -v[20:21]
	ds_load_b128 v[2:5], v1 offset:1248
	scratch_load_b128 v[18:21], off, off offset:640
	v_fma_f64 v[147:148], v[147:148], v[22:23], v[159:160]
	v_fma_f64 v[145:146], v[145:146], v[22:23], -v[24:25]
	scratch_load_b128 v[22:25], off, off offset:656
	v_add_f64_e32 v[38:39], v[38:39], v[155:156]
	v_add_f64_e32 v[44:45], v[44:45], v[157:158]
	ds_load_b128 v[155:158], v1 offset:1264
	s_wait_loadcnt_dscnt 0x901
	v_mul_f64_e32 v[163:164], v[2:3], v[28:29]
	v_mul_f64_e32 v[28:29], v[4:5], v[28:29]
	v_add_f64_e32 v[38:39], v[38:39], v[161:162]
	v_add_f64_e32 v[44:45], v[44:45], v[149:150]
	s_wait_loadcnt_dscnt 0x800
	v_mul_f64_e32 v[149:150], v[155:156], v[32:33]
	v_mul_f64_e32 v[32:33], v[157:158], v[32:33]
	v_fma_f64 v[159:160], v[4:5], v[26:27], v[163:164]
	v_fma_f64 v[161:162], v[2:3], v[26:27], -v[28:29]
	ds_load_b128 v[2:5], v1 offset:1280
	scratch_load_b128 v[26:29], off, off offset:672
	v_add_f64_e32 v[38:39], v[38:39], v[145:146]
	v_add_f64_e32 v[44:45], v[44:45], v[147:148]
	ds_load_b128 v[145:148], v1 offset:1296
	s_wait_loadcnt_dscnt 0x801
	v_mul_f64_e32 v[163:164], v[2:3], v[36:37]
	v_mul_f64_e32 v[36:37], v[4:5], v[36:37]
	v_fma_f64 v[149:150], v[157:158], v[30:31], v[149:150]
	v_fma_f64 v[155:156], v[155:156], v[30:31], -v[32:33]
	scratch_load_b128 v[30:33], off, off offset:688
	s_wait_loadcnt_dscnt 0x800
	v_mul_f64_e32 v[157:158], v[145:146], v[42:43]
	v_add_f64_e32 v[38:39], v[38:39], v[161:162]
	v_add_f64_e32 v[44:45], v[44:45], v[159:160]
	v_mul_f64_e32 v[159:160], v[147:148], v[42:43]
	v_fma_f64 v[161:162], v[4:5], v[34:35], v[163:164]
	v_fma_f64 v[163:164], v[2:3], v[34:35], -v[36:37]
	ds_load_b128 v[2:5], v1 offset:1312
	scratch_load_b128 v[34:37], off, off offset:704
	v_fma_f64 v[147:148], v[147:148], v[40:41], v[157:158]
	v_add_f64_e32 v[38:39], v[38:39], v[155:156]
	v_add_f64_e32 v[149:150], v[44:45], v[149:150]
	ds_load_b128 v[42:45], v1 offset:1328
	v_fma_f64 v[145:146], v[145:146], v[40:41], -v[159:160]
	s_wait_loadcnt_dscnt 0x701
	v_mul_f64_e32 v[155:156], v[2:3], v[153:154]
	v_mul_f64_e32 v[153:154], v[4:5], v[153:154]
	s_wait_dscnt 0x0
	v_mul_f64_e32 v[159:160], v[42:43], v[8:9]
	v_mul_f64_e32 v[8:9], v[44:45], v[8:9]
	v_add_f64_e32 v[157:158], v[38:39], v[163:164]
	v_add_f64_e32 v[149:150], v[149:150], v[161:162]
	scratch_load_b128 v[38:41], off, off offset:720
	v_fma_f64 v[155:156], v[4:5], v[151:152], v[155:156]
	v_fma_f64 v[153:154], v[2:3], v[151:152], -v[153:154]
	ds_load_b128 v[2:5], v1 offset:1344
	v_fma_f64 v[44:45], v[44:45], v[6:7], v[159:160]
	v_fma_f64 v[42:43], v[42:43], v[6:7], -v[8:9]
	scratch_load_b128 v[6:9], off, off offset:752
	v_add_f64_e32 v[157:158], v[157:158], v[145:146]
	v_add_f64_e32 v[161:162], v[149:150], v[147:148]
	scratch_load_b128 v[145:148], off, off offset:736
	ds_load_b128 v[149:152], v1 offset:1360
	s_wait_loadcnt_dscnt 0x901
	v_mul_f64_e32 v[163:164], v[2:3], v[12:13]
	v_mul_f64_e32 v[12:13], v[4:5], v[12:13]
	v_add_f64_e32 v[153:154], v[157:158], v[153:154]
	v_add_f64_e32 v[155:156], v[161:162], v[155:156]
	s_wait_loadcnt_dscnt 0x800
	v_mul_f64_e32 v[157:158], v[149:150], v[16:17]
	v_mul_f64_e32 v[16:17], v[151:152], v[16:17]
	v_fma_f64 v[159:160], v[4:5], v[10:11], v[163:164]
	v_fma_f64 v[161:162], v[2:3], v[10:11], -v[12:13]
	ds_load_b128 v[2:5], v1 offset:1376
	ds_load_b128 v[10:13], v1 offset:1392
	v_add_f64_e32 v[42:43], v[153:154], v[42:43]
	v_add_f64_e32 v[44:45], v[155:156], v[44:45]
	s_wait_loadcnt_dscnt 0x701
	v_mul_f64_e32 v[153:154], v[2:3], v[20:21]
	v_mul_f64_e32 v[20:21], v[4:5], v[20:21]
	v_fma_f64 v[151:152], v[151:152], v[14:15], v[157:158]
	v_fma_f64 v[14:15], v[149:150], v[14:15], -v[16:17]
	v_add_f64_e32 v[16:17], v[42:43], v[161:162]
	v_add_f64_e32 v[42:43], v[44:45], v[159:160]
	s_wait_loadcnt_dscnt 0x600
	v_mul_f64_e32 v[44:45], v[10:11], v[24:25]
	v_mul_f64_e32 v[24:25], v[12:13], v[24:25]
	v_fma_f64 v[149:150], v[4:5], v[18:19], v[153:154]
	v_fma_f64 v[18:19], v[2:3], v[18:19], -v[20:21]
	v_add_f64_e32 v[20:21], v[16:17], v[14:15]
	v_add_f64_e32 v[42:43], v[42:43], v[151:152]
	ds_load_b128 v[2:5], v1 offset:1408
	ds_load_b128 v[14:17], v1 offset:1424
	v_fma_f64 v[12:13], v[12:13], v[22:23], v[44:45]
	v_fma_f64 v[10:11], v[10:11], v[22:23], -v[24:25]
	s_wait_loadcnt_dscnt 0x501
	v_mul_f64_e32 v[151:152], v[2:3], v[28:29]
	v_mul_f64_e32 v[28:29], v[4:5], v[28:29]
	s_wait_loadcnt_dscnt 0x400
	v_mul_f64_e32 v[22:23], v[14:15], v[32:33]
	v_mul_f64_e32 v[24:25], v[16:17], v[32:33]
	v_add_f64_e32 v[18:19], v[20:21], v[18:19]
	v_add_f64_e32 v[20:21], v[42:43], v[149:150]
	v_fma_f64 v[32:33], v[4:5], v[26:27], v[151:152]
	v_fma_f64 v[26:27], v[2:3], v[26:27], -v[28:29]
	v_fma_f64 v[16:17], v[16:17], v[30:31], v[22:23]
	v_fma_f64 v[14:15], v[14:15], v[30:31], -v[24:25]
	v_add_f64_e32 v[18:19], v[18:19], v[10:11]
	v_add_f64_e32 v[20:21], v[20:21], v[12:13]
	ds_load_b128 v[2:5], v1 offset:1440
	ds_load_b128 v[10:13], v1 offset:1456
	s_wait_loadcnt_dscnt 0x301
	v_mul_f64_e32 v[28:29], v[2:3], v[36:37]
	v_mul_f64_e32 v[36:37], v[4:5], v[36:37]
	v_add_f64_e32 v[18:19], v[18:19], v[26:27]
	v_add_f64_e32 v[20:21], v[20:21], v[32:33]
	s_wait_loadcnt_dscnt 0x200
	v_mul_f64_e32 v[22:23], v[10:11], v[40:41]
	v_mul_f64_e32 v[24:25], v[12:13], v[40:41]
	v_fma_f64 v[26:27], v[4:5], v[34:35], v[28:29]
	v_fma_f64 v[28:29], v[2:3], v[34:35], -v[36:37]
	v_add_f64_e32 v[18:19], v[18:19], v[14:15]
	v_add_f64_e32 v[20:21], v[20:21], v[16:17]
	ds_load_b128 v[2:5], v1 offset:1472
	ds_load_b128 v[14:17], v1 offset:1488
	v_fma_f64 v[12:13], v[12:13], v[38:39], v[22:23]
	v_fma_f64 v[10:11], v[10:11], v[38:39], -v[24:25]
	s_wait_loadcnt_dscnt 0x1
	v_mul_f64_e32 v[30:31], v[2:3], v[147:148]
	v_mul_f64_e32 v[32:33], v[4:5], v[147:148]
	s_wait_dscnt 0x0
	v_mul_f64_e32 v[22:23], v[14:15], v[8:9]
	v_mul_f64_e32 v[8:9], v[16:17], v[8:9]
	v_add_f64_e32 v[18:19], v[18:19], v[28:29]
	v_add_f64_e32 v[20:21], v[20:21], v[26:27]
	v_fma_f64 v[4:5], v[4:5], v[145:146], v[30:31]
	v_fma_f64 v[1:2], v[2:3], v[145:146], -v[32:33]
	v_fma_f64 v[16:17], v[16:17], v[6:7], v[22:23]
	v_fma_f64 v[6:7], v[14:15], v[6:7], -v[8:9]
	v_add_f64_e32 v[10:11], v[18:19], v[10:11]
	v_add_f64_e32 v[12:13], v[20:21], v[12:13]
	s_delay_alu instid0(VALU_DEP_2) | instskip(NEXT) | instid1(VALU_DEP_2)
	v_add_f64_e32 v[1:2], v[10:11], v[1:2]
	v_add_f64_e32 v[3:4], v[12:13], v[4:5]
	s_delay_alu instid0(VALU_DEP_2) | instskip(NEXT) | instid1(VALU_DEP_2)
	;; [unrolled: 3-line block ×3, first 2 shown]
	v_add_f64_e64 v[1:2], v[141:142], -v[1:2]
	v_add_f64_e64 v[3:4], v[143:144], -v[3:4]
	scratch_store_b128 off, v[1:4], off offset:240
	v_cmpx_lt_u32_e32 13, v0
	s_cbranch_execz .LBB46_269
; %bb.268:
	scratch_load_b128 v[1:4], off, s47
	v_mov_b32_e32 v5, 0
	s_delay_alu instid0(VALU_DEP_1)
	v_dual_mov_b32 v6, v5 :: v_dual_mov_b32 v7, v5
	v_mov_b32_e32 v8, v5
	scratch_store_b128 off, v[5:8], off offset:224
	s_wait_loadcnt 0x0
	ds_store_b128 v140, v[1:4]
.LBB46_269:
	s_wait_alu 0xfffe
	s_or_b32 exec_lo, exec_lo, s0
	s_wait_storecnt_dscnt 0x0
	s_barrier_signal -1
	s_barrier_wait -1
	global_inv scope:SCOPE_SE
	s_clause 0x7
	scratch_load_b128 v[2:5], off, off offset:240
	scratch_load_b128 v[6:9], off, off offset:256
	;; [unrolled: 1-line block ×8, first 2 shown]
	v_mov_b32_e32 v1, 0
	s_mov_b32 s0, exec_lo
	ds_load_b128 v[34:37], v1 offset:976
	s_clause 0x1
	scratch_load_b128 v[38:41], off, off offset:368
	scratch_load_b128 v[42:45], off, off offset:224
	ds_load_b128 v[141:144], v1 offset:992
	scratch_load_b128 v[145:148], off, off offset:384
	s_wait_loadcnt_dscnt 0xa01
	v_mul_f64_e32 v[149:150], v[36:37], v[4:5]
	v_mul_f64_e32 v[4:5], v[34:35], v[4:5]
	s_delay_alu instid0(VALU_DEP_2) | instskip(NEXT) | instid1(VALU_DEP_2)
	v_fma_f64 v[155:156], v[34:35], v[2:3], -v[149:150]
	v_fma_f64 v[157:158], v[36:37], v[2:3], v[4:5]
	ds_load_b128 v[2:5], v1 offset:1008
	s_wait_loadcnt_dscnt 0x901
	v_mul_f64_e32 v[153:154], v[141:142], v[8:9]
	v_mul_f64_e32 v[8:9], v[143:144], v[8:9]
	scratch_load_b128 v[34:37], off, off offset:400
	ds_load_b128 v[149:152], v1 offset:1024
	s_wait_loadcnt_dscnt 0x901
	v_mul_f64_e32 v[159:160], v[2:3], v[12:13]
	v_mul_f64_e32 v[12:13], v[4:5], v[12:13]
	v_fma_f64 v[143:144], v[143:144], v[6:7], v[153:154]
	v_fma_f64 v[141:142], v[141:142], v[6:7], -v[8:9]
	v_add_f64_e32 v[153:154], 0, v[155:156]
	v_add_f64_e32 v[155:156], 0, v[157:158]
	scratch_load_b128 v[6:9], off, off offset:416
	v_fma_f64 v[159:160], v[4:5], v[10:11], v[159:160]
	v_fma_f64 v[161:162], v[2:3], v[10:11], -v[12:13]
	ds_load_b128 v[2:5], v1 offset:1040
	s_wait_loadcnt_dscnt 0x901
	v_mul_f64_e32 v[157:158], v[149:150], v[16:17]
	v_mul_f64_e32 v[16:17], v[151:152], v[16:17]
	scratch_load_b128 v[10:13], off, off offset:432
	v_add_f64_e32 v[153:154], v[153:154], v[141:142]
	v_add_f64_e32 v[155:156], v[155:156], v[143:144]
	s_wait_loadcnt_dscnt 0x900
	v_mul_f64_e32 v[163:164], v[2:3], v[20:21]
	v_mul_f64_e32 v[20:21], v[4:5], v[20:21]
	ds_load_b128 v[141:144], v1 offset:1056
	v_fma_f64 v[151:152], v[151:152], v[14:15], v[157:158]
	v_fma_f64 v[149:150], v[149:150], v[14:15], -v[16:17]
	scratch_load_b128 v[14:17], off, off offset:448
	v_add_f64_e32 v[153:154], v[153:154], v[161:162]
	v_add_f64_e32 v[155:156], v[155:156], v[159:160]
	v_fma_f64 v[159:160], v[4:5], v[18:19], v[163:164]
	v_fma_f64 v[161:162], v[2:3], v[18:19], -v[20:21]
	ds_load_b128 v[2:5], v1 offset:1072
	s_wait_loadcnt_dscnt 0x901
	v_mul_f64_e32 v[157:158], v[141:142], v[24:25]
	v_mul_f64_e32 v[24:25], v[143:144], v[24:25]
	scratch_load_b128 v[18:21], off, off offset:464
	s_wait_loadcnt_dscnt 0x900
	v_mul_f64_e32 v[163:164], v[2:3], v[28:29]
	v_mul_f64_e32 v[28:29], v[4:5], v[28:29]
	v_add_f64_e32 v[153:154], v[153:154], v[149:150]
	v_add_f64_e32 v[155:156], v[155:156], v[151:152]
	ds_load_b128 v[149:152], v1 offset:1088
	v_fma_f64 v[143:144], v[143:144], v[22:23], v[157:158]
	v_fma_f64 v[141:142], v[141:142], v[22:23], -v[24:25]
	scratch_load_b128 v[22:25], off, off offset:480
	v_add_f64_e32 v[153:154], v[153:154], v[161:162]
	v_add_f64_e32 v[155:156], v[155:156], v[159:160]
	v_fma_f64 v[159:160], v[4:5], v[26:27], v[163:164]
	v_fma_f64 v[161:162], v[2:3], v[26:27], -v[28:29]
	ds_load_b128 v[2:5], v1 offset:1104
	s_wait_loadcnt_dscnt 0x901
	v_mul_f64_e32 v[157:158], v[149:150], v[32:33]
	v_mul_f64_e32 v[32:33], v[151:152], v[32:33]
	scratch_load_b128 v[26:29], off, off offset:496
	s_wait_loadcnt_dscnt 0x900
	v_mul_f64_e32 v[163:164], v[2:3], v[40:41]
	v_mul_f64_e32 v[40:41], v[4:5], v[40:41]
	v_add_f64_e32 v[153:154], v[153:154], v[141:142]
	v_add_f64_e32 v[155:156], v[155:156], v[143:144]
	ds_load_b128 v[141:144], v1 offset:1120
	v_fma_f64 v[151:152], v[151:152], v[30:31], v[157:158]
	v_fma_f64 v[149:150], v[149:150], v[30:31], -v[32:33]
	scratch_load_b128 v[30:33], off, off offset:512
	v_add_f64_e32 v[153:154], v[153:154], v[161:162]
	v_add_f64_e32 v[155:156], v[155:156], v[159:160]
	v_fma_f64 v[161:162], v[4:5], v[38:39], v[163:164]
	v_fma_f64 v[163:164], v[2:3], v[38:39], -v[40:41]
	ds_load_b128 v[2:5], v1 offset:1136
	s_wait_loadcnt_dscnt 0x801
	v_mul_f64_e32 v[157:158], v[141:142], v[147:148]
	v_mul_f64_e32 v[159:160], v[143:144], v[147:148]
	scratch_load_b128 v[38:41], off, off offset:528
	v_add_f64_e32 v[153:154], v[153:154], v[149:150]
	v_add_f64_e32 v[151:152], v[155:156], v[151:152]
	ds_load_b128 v[147:150], v1 offset:1152
	v_fma_f64 v[157:158], v[143:144], v[145:146], v[157:158]
	v_fma_f64 v[145:146], v[141:142], v[145:146], -v[159:160]
	scratch_load_b128 v[141:144], off, off offset:544
	s_wait_loadcnt_dscnt 0x901
	v_mul_f64_e32 v[155:156], v[2:3], v[36:37]
	v_mul_f64_e32 v[36:37], v[4:5], v[36:37]
	v_add_f64_e32 v[153:154], v[153:154], v[163:164]
	v_add_f64_e32 v[151:152], v[151:152], v[161:162]
	s_delay_alu instid0(VALU_DEP_4) | instskip(NEXT) | instid1(VALU_DEP_4)
	v_fma_f64 v[155:156], v[4:5], v[34:35], v[155:156]
	v_fma_f64 v[161:162], v[2:3], v[34:35], -v[36:37]
	ds_load_b128 v[2:5], v1 offset:1168
	s_wait_loadcnt_dscnt 0x801
	v_mul_f64_e32 v[159:160], v[147:148], v[8:9]
	v_mul_f64_e32 v[8:9], v[149:150], v[8:9]
	scratch_load_b128 v[34:37], off, off offset:560
	s_wait_loadcnt_dscnt 0x800
	v_mul_f64_e32 v[163:164], v[2:3], v[12:13]
	v_add_f64_e32 v[145:146], v[153:154], v[145:146]
	v_add_f64_e32 v[157:158], v[151:152], v[157:158]
	v_mul_f64_e32 v[12:13], v[4:5], v[12:13]
	ds_load_b128 v[151:154], v1 offset:1184
	v_fma_f64 v[149:150], v[149:150], v[6:7], v[159:160]
	v_fma_f64 v[147:148], v[147:148], v[6:7], -v[8:9]
	scratch_load_b128 v[6:9], off, off offset:576
	v_fma_f64 v[159:160], v[4:5], v[10:11], v[163:164]
	v_add_f64_e32 v[145:146], v[145:146], v[161:162]
	v_add_f64_e32 v[155:156], v[157:158], v[155:156]
	v_fma_f64 v[161:162], v[2:3], v[10:11], -v[12:13]
	ds_load_b128 v[2:5], v1 offset:1200
	s_wait_loadcnt_dscnt 0x801
	v_mul_f64_e32 v[157:158], v[151:152], v[16:17]
	v_mul_f64_e32 v[16:17], v[153:154], v[16:17]
	scratch_load_b128 v[10:13], off, off offset:592
	v_add_f64_e32 v[163:164], v[145:146], v[147:148]
	v_add_f64_e32 v[149:150], v[155:156], v[149:150]
	s_wait_loadcnt_dscnt 0x800
	v_mul_f64_e32 v[155:156], v[2:3], v[20:21]
	v_mul_f64_e32 v[20:21], v[4:5], v[20:21]
	v_fma_f64 v[153:154], v[153:154], v[14:15], v[157:158]
	v_fma_f64 v[151:152], v[151:152], v[14:15], -v[16:17]
	ds_load_b128 v[145:148], v1 offset:1216
	scratch_load_b128 v[14:17], off, off offset:608
	v_add_f64_e32 v[157:158], v[163:164], v[161:162]
	v_add_f64_e32 v[149:150], v[149:150], v[159:160]
	v_fma_f64 v[155:156], v[4:5], v[18:19], v[155:156]
	v_fma_f64 v[161:162], v[2:3], v[18:19], -v[20:21]
	ds_load_b128 v[2:5], v1 offset:1232
	s_wait_loadcnt_dscnt 0x801
	v_mul_f64_e32 v[159:160], v[145:146], v[24:25]
	v_mul_f64_e32 v[24:25], v[147:148], v[24:25]
	scratch_load_b128 v[18:21], off, off offset:624
	s_wait_loadcnt_dscnt 0x800
	v_mul_f64_e32 v[163:164], v[2:3], v[28:29]
	v_mul_f64_e32 v[28:29], v[4:5], v[28:29]
	v_add_f64_e32 v[157:158], v[157:158], v[151:152]
	v_add_f64_e32 v[153:154], v[149:150], v[153:154]
	ds_load_b128 v[149:152], v1 offset:1248
	v_fma_f64 v[147:148], v[147:148], v[22:23], v[159:160]
	v_fma_f64 v[145:146], v[145:146], v[22:23], -v[24:25]
	scratch_load_b128 v[22:25], off, off offset:640
	v_fma_f64 v[159:160], v[4:5], v[26:27], v[163:164]
	v_add_f64_e32 v[157:158], v[157:158], v[161:162]
	v_add_f64_e32 v[153:154], v[153:154], v[155:156]
	v_fma_f64 v[161:162], v[2:3], v[26:27], -v[28:29]
	ds_load_b128 v[2:5], v1 offset:1264
	s_wait_loadcnt_dscnt 0x801
	v_mul_f64_e32 v[155:156], v[149:150], v[32:33]
	v_mul_f64_e32 v[32:33], v[151:152], v[32:33]
	scratch_load_b128 v[26:29], off, off offset:656
	s_wait_loadcnt_dscnt 0x800
	v_mul_f64_e32 v[163:164], v[2:3], v[40:41]
	v_mul_f64_e32 v[40:41], v[4:5], v[40:41]
	v_add_f64_e32 v[157:158], v[157:158], v[145:146]
	v_add_f64_e32 v[153:154], v[153:154], v[147:148]
	ds_load_b128 v[145:148], v1 offset:1280
	v_fma_f64 v[151:152], v[151:152], v[30:31], v[155:156]
	v_fma_f64 v[149:150], v[149:150], v[30:31], -v[32:33]
	scratch_load_b128 v[30:33], off, off offset:672
	v_add_f64_e32 v[155:156], v[157:158], v[161:162]
	v_add_f64_e32 v[153:154], v[153:154], v[159:160]
	v_fma_f64 v[159:160], v[4:5], v[38:39], v[163:164]
	v_fma_f64 v[161:162], v[2:3], v[38:39], -v[40:41]
	ds_load_b128 v[2:5], v1 offset:1296
	s_wait_loadcnt_dscnt 0x801
	v_mul_f64_e32 v[157:158], v[145:146], v[143:144]
	v_mul_f64_e32 v[143:144], v[147:148], v[143:144]
	scratch_load_b128 v[38:41], off, off offset:688
	s_wait_loadcnt_dscnt 0x800
	v_mul_f64_e32 v[163:164], v[2:3], v[36:37]
	v_mul_f64_e32 v[36:37], v[4:5], v[36:37]
	v_add_f64_e32 v[155:156], v[155:156], v[149:150]
	v_add_f64_e32 v[153:154], v[153:154], v[151:152]
	ds_load_b128 v[149:152], v1 offset:1312
	v_fma_f64 v[147:148], v[147:148], v[141:142], v[157:158]
	v_fma_f64 v[145:146], v[145:146], v[141:142], -v[143:144]
	scratch_load_b128 v[141:144], off, off offset:704
	v_add_f64_e32 v[155:156], v[155:156], v[161:162]
	v_add_f64_e32 v[153:154], v[153:154], v[159:160]
	v_fma_f64 v[159:160], v[4:5], v[34:35], v[163:164]
	;; [unrolled: 18-line block ×3, first 2 shown]
	v_fma_f64 v[161:162], v[2:3], v[10:11], -v[12:13]
	ds_load_b128 v[2:5], v1 offset:1360
	s_wait_loadcnt_dscnt 0x801
	v_mul_f64_e32 v[157:158], v[145:146], v[16:17]
	v_mul_f64_e32 v[16:17], v[147:148], v[16:17]
	scratch_load_b128 v[10:13], off, off offset:752
	s_wait_loadcnt_dscnt 0x800
	v_mul_f64_e32 v[163:164], v[2:3], v[20:21]
	v_mul_f64_e32 v[20:21], v[4:5], v[20:21]
	v_add_f64_e32 v[155:156], v[155:156], v[149:150]
	v_add_f64_e32 v[153:154], v[153:154], v[151:152]
	ds_load_b128 v[149:152], v1 offset:1376
	v_fma_f64 v[147:148], v[147:148], v[14:15], v[157:158]
	v_fma_f64 v[14:15], v[145:146], v[14:15], -v[16:17]
	v_add_f64_e32 v[16:17], v[155:156], v[161:162]
	v_add_f64_e32 v[145:146], v[153:154], v[159:160]
	s_wait_loadcnt_dscnt 0x700
	v_mul_f64_e32 v[153:154], v[149:150], v[24:25]
	v_mul_f64_e32 v[24:25], v[151:152], v[24:25]
	v_fma_f64 v[155:156], v[4:5], v[18:19], v[163:164]
	v_fma_f64 v[18:19], v[2:3], v[18:19], -v[20:21]
	v_add_f64_e32 v[20:21], v[16:17], v[14:15]
	v_add_f64_e32 v[145:146], v[145:146], v[147:148]
	ds_load_b128 v[2:5], v1 offset:1392
	ds_load_b128 v[14:17], v1 offset:1408
	v_fma_f64 v[151:152], v[151:152], v[22:23], v[153:154]
	v_fma_f64 v[22:23], v[149:150], v[22:23], -v[24:25]
	s_wait_loadcnt_dscnt 0x601
	v_mul_f64_e32 v[147:148], v[2:3], v[28:29]
	v_mul_f64_e32 v[28:29], v[4:5], v[28:29]
	s_wait_loadcnt_dscnt 0x500
	v_mul_f64_e32 v[24:25], v[14:15], v[32:33]
	v_mul_f64_e32 v[32:33], v[16:17], v[32:33]
	v_add_f64_e32 v[18:19], v[20:21], v[18:19]
	v_add_f64_e32 v[20:21], v[145:146], v[155:156]
	v_fma_f64 v[145:146], v[4:5], v[26:27], v[147:148]
	v_fma_f64 v[26:27], v[2:3], v[26:27], -v[28:29]
	v_fma_f64 v[16:17], v[16:17], v[30:31], v[24:25]
	v_fma_f64 v[14:15], v[14:15], v[30:31], -v[32:33]
	v_add_f64_e32 v[22:23], v[18:19], v[22:23]
	v_add_f64_e32 v[28:29], v[20:21], v[151:152]
	ds_load_b128 v[2:5], v1 offset:1424
	ds_load_b128 v[18:21], v1 offset:1440
	s_wait_loadcnt_dscnt 0x401
	v_mul_f64_e32 v[147:148], v[2:3], v[40:41]
	v_mul_f64_e32 v[40:41], v[4:5], v[40:41]
	v_add_f64_e32 v[22:23], v[22:23], v[26:27]
	v_add_f64_e32 v[24:25], v[28:29], v[145:146]
	s_wait_loadcnt_dscnt 0x300
	v_mul_f64_e32 v[26:27], v[18:19], v[143:144]
	v_mul_f64_e32 v[28:29], v[20:21], v[143:144]
	v_fma_f64 v[30:31], v[4:5], v[38:39], v[147:148]
	v_fma_f64 v[32:33], v[2:3], v[38:39], -v[40:41]
	v_add_f64_e32 v[22:23], v[22:23], v[14:15]
	v_add_f64_e32 v[24:25], v[24:25], v[16:17]
	ds_load_b128 v[2:5], v1 offset:1456
	ds_load_b128 v[14:17], v1 offset:1472
	v_fma_f64 v[20:21], v[20:21], v[141:142], v[26:27]
	v_fma_f64 v[18:19], v[18:19], v[141:142], -v[28:29]
	s_wait_loadcnt_dscnt 0x201
	v_mul_f64_e32 v[38:39], v[2:3], v[36:37]
	v_mul_f64_e32 v[36:37], v[4:5], v[36:37]
	s_wait_loadcnt_dscnt 0x100
	v_mul_f64_e32 v[26:27], v[14:15], v[8:9]
	v_mul_f64_e32 v[8:9], v[16:17], v[8:9]
	v_add_f64_e32 v[22:23], v[22:23], v[32:33]
	v_add_f64_e32 v[24:25], v[24:25], v[30:31]
	v_fma_f64 v[28:29], v[4:5], v[34:35], v[38:39]
	v_fma_f64 v[30:31], v[2:3], v[34:35], -v[36:37]
	ds_load_b128 v[2:5], v1 offset:1488
	v_fma_f64 v[16:17], v[16:17], v[6:7], v[26:27]
	v_fma_f64 v[6:7], v[14:15], v[6:7], -v[8:9]
	v_add_f64_e32 v[18:19], v[22:23], v[18:19]
	v_add_f64_e32 v[20:21], v[24:25], v[20:21]
	s_wait_loadcnt_dscnt 0x0
	v_mul_f64_e32 v[22:23], v[2:3], v[12:13]
	v_mul_f64_e32 v[12:13], v[4:5], v[12:13]
	s_delay_alu instid0(VALU_DEP_4) | instskip(NEXT) | instid1(VALU_DEP_4)
	v_add_f64_e32 v[8:9], v[18:19], v[30:31]
	v_add_f64_e32 v[14:15], v[20:21], v[28:29]
	s_delay_alu instid0(VALU_DEP_4) | instskip(NEXT) | instid1(VALU_DEP_4)
	v_fma_f64 v[4:5], v[4:5], v[10:11], v[22:23]
	v_fma_f64 v[2:3], v[2:3], v[10:11], -v[12:13]
	s_delay_alu instid0(VALU_DEP_4) | instskip(NEXT) | instid1(VALU_DEP_4)
	v_add_f64_e32 v[6:7], v[8:9], v[6:7]
	v_add_f64_e32 v[8:9], v[14:15], v[16:17]
	s_delay_alu instid0(VALU_DEP_2) | instskip(NEXT) | instid1(VALU_DEP_2)
	v_add_f64_e32 v[2:3], v[6:7], v[2:3]
	v_add_f64_e32 v[4:5], v[8:9], v[4:5]
	s_delay_alu instid0(VALU_DEP_2) | instskip(NEXT) | instid1(VALU_DEP_2)
	v_add_f64_e64 v[2:3], v[42:43], -v[2:3]
	v_add_f64_e64 v[4:5], v[44:45], -v[4:5]
	scratch_store_b128 off, v[2:5], off offset:224
	v_cmpx_lt_u32_e32 12, v0
	s_cbranch_execz .LBB46_271
; %bb.270:
	scratch_load_b128 v[5:8], off, s48
	v_dual_mov_b32 v2, v1 :: v_dual_mov_b32 v3, v1
	v_mov_b32_e32 v4, v1
	scratch_store_b128 off, v[1:4], off offset:208
	s_wait_loadcnt 0x0
	ds_store_b128 v140, v[5:8]
.LBB46_271:
	s_wait_alu 0xfffe
	s_or_b32 exec_lo, exec_lo, s0
	s_wait_storecnt_dscnt 0x0
	s_barrier_signal -1
	s_barrier_wait -1
	global_inv scope:SCOPE_SE
	s_clause 0x8
	scratch_load_b128 v[2:5], off, off offset:224
	scratch_load_b128 v[6:9], off, off offset:240
	;; [unrolled: 1-line block ×9, first 2 shown]
	ds_load_b128 v[38:41], v1 offset:960
	ds_load_b128 v[42:45], v1 offset:976
	s_clause 0x1
	scratch_load_b128 v[141:144], off, off offset:208
	scratch_load_b128 v[145:148], off, off offset:368
	s_mov_b32 s0, exec_lo
	s_wait_loadcnt_dscnt 0xa01
	v_mul_f64_e32 v[149:150], v[40:41], v[4:5]
	v_mul_f64_e32 v[4:5], v[38:39], v[4:5]
	s_wait_loadcnt_dscnt 0x900
	v_mul_f64_e32 v[153:154], v[42:43], v[8:9]
	v_mul_f64_e32 v[8:9], v[44:45], v[8:9]
	s_delay_alu instid0(VALU_DEP_4) | instskip(NEXT) | instid1(VALU_DEP_4)
	v_fma_f64 v[155:156], v[38:39], v[2:3], -v[149:150]
	v_fma_f64 v[157:158], v[40:41], v[2:3], v[4:5]
	ds_load_b128 v[2:5], v1 offset:992
	ds_load_b128 v[149:152], v1 offset:1008
	scratch_load_b128 v[38:41], off, off offset:384
	v_fma_f64 v[44:45], v[44:45], v[6:7], v[153:154]
	v_fma_f64 v[42:43], v[42:43], v[6:7], -v[8:9]
	scratch_load_b128 v[6:9], off, off offset:400
	s_wait_loadcnt_dscnt 0xa01
	v_mul_f64_e32 v[159:160], v[2:3], v[12:13]
	v_mul_f64_e32 v[12:13], v[4:5], v[12:13]
	v_add_f64_e32 v[153:154], 0, v[155:156]
	v_add_f64_e32 v[155:156], 0, v[157:158]
	s_wait_loadcnt_dscnt 0x900
	v_mul_f64_e32 v[157:158], v[149:150], v[16:17]
	v_mul_f64_e32 v[16:17], v[151:152], v[16:17]
	v_fma_f64 v[159:160], v[4:5], v[10:11], v[159:160]
	v_fma_f64 v[161:162], v[2:3], v[10:11], -v[12:13]
	ds_load_b128 v[2:5], v1 offset:1024
	scratch_load_b128 v[10:13], off, off offset:416
	v_add_f64_e32 v[153:154], v[153:154], v[42:43]
	v_add_f64_e32 v[155:156], v[155:156], v[44:45]
	ds_load_b128 v[42:45], v1 offset:1040
	v_fma_f64 v[151:152], v[151:152], v[14:15], v[157:158]
	v_fma_f64 v[149:150], v[149:150], v[14:15], -v[16:17]
	scratch_load_b128 v[14:17], off, off offset:432
	s_wait_loadcnt_dscnt 0xa01
	v_mul_f64_e32 v[163:164], v[2:3], v[20:21]
	v_mul_f64_e32 v[20:21], v[4:5], v[20:21]
	s_wait_loadcnt_dscnt 0x900
	v_mul_f64_e32 v[157:158], v[42:43], v[24:25]
	v_mul_f64_e32 v[24:25], v[44:45], v[24:25]
	v_add_f64_e32 v[153:154], v[153:154], v[161:162]
	v_add_f64_e32 v[155:156], v[155:156], v[159:160]
	v_fma_f64 v[159:160], v[4:5], v[18:19], v[163:164]
	v_fma_f64 v[161:162], v[2:3], v[18:19], -v[20:21]
	ds_load_b128 v[2:5], v1 offset:1056
	scratch_load_b128 v[18:21], off, off offset:448
	v_fma_f64 v[44:45], v[44:45], v[22:23], v[157:158]
	v_fma_f64 v[42:43], v[42:43], v[22:23], -v[24:25]
	scratch_load_b128 v[22:25], off, off offset:464
	v_add_f64_e32 v[153:154], v[153:154], v[149:150]
	v_add_f64_e32 v[155:156], v[155:156], v[151:152]
	ds_load_b128 v[149:152], v1 offset:1072
	s_wait_loadcnt_dscnt 0xa01
	v_mul_f64_e32 v[163:164], v[2:3], v[28:29]
	v_mul_f64_e32 v[28:29], v[4:5], v[28:29]
	s_wait_loadcnt_dscnt 0x900
	v_mul_f64_e32 v[157:158], v[149:150], v[32:33]
	v_mul_f64_e32 v[32:33], v[151:152], v[32:33]
	v_add_f64_e32 v[153:154], v[153:154], v[161:162]
	v_add_f64_e32 v[155:156], v[155:156], v[159:160]
	v_fma_f64 v[159:160], v[4:5], v[26:27], v[163:164]
	v_fma_f64 v[161:162], v[2:3], v[26:27], -v[28:29]
	ds_load_b128 v[2:5], v1 offset:1088
	scratch_load_b128 v[26:29], off, off offset:480
	v_fma_f64 v[151:152], v[151:152], v[30:31], v[157:158]
	v_fma_f64 v[149:150], v[149:150], v[30:31], -v[32:33]
	scratch_load_b128 v[30:33], off, off offset:496
	v_add_f64_e32 v[153:154], v[153:154], v[42:43]
	v_add_f64_e32 v[155:156], v[155:156], v[44:45]
	ds_load_b128 v[42:45], v1 offset:1104
	s_wait_loadcnt_dscnt 0xa01
	v_mul_f64_e32 v[163:164], v[2:3], v[36:37]
	v_mul_f64_e32 v[36:37], v[4:5], v[36:37]
	s_wait_loadcnt_dscnt 0x800
	v_mul_f64_e32 v[157:158], v[42:43], v[147:148]
	v_add_f64_e32 v[153:154], v[153:154], v[161:162]
	v_add_f64_e32 v[155:156], v[155:156], v[159:160]
	v_mul_f64_e32 v[159:160], v[44:45], v[147:148]
	v_fma_f64 v[161:162], v[4:5], v[34:35], v[163:164]
	v_fma_f64 v[163:164], v[2:3], v[34:35], -v[36:37]
	ds_load_b128 v[2:5], v1 offset:1120
	scratch_load_b128 v[34:37], off, off offset:512
	v_fma_f64 v[44:45], v[44:45], v[145:146], v[157:158]
	v_add_f64_e32 v[153:154], v[153:154], v[149:150]
	v_add_f64_e32 v[151:152], v[155:156], v[151:152]
	ds_load_b128 v[147:150], v1 offset:1136
	v_fma_f64 v[145:146], v[42:43], v[145:146], -v[159:160]
	s_wait_loadcnt_dscnt 0x801
	v_mul_f64_e32 v[155:156], v[2:3], v[40:41]
	v_mul_f64_e32 v[165:166], v[4:5], v[40:41]
	scratch_load_b128 v[40:43], off, off offset:528
	s_wait_loadcnt_dscnt 0x800
	v_mul_f64_e32 v[159:160], v[147:148], v[8:9]
	v_mul_f64_e32 v[8:9], v[149:150], v[8:9]
	v_add_f64_e32 v[153:154], v[153:154], v[163:164]
	v_add_f64_e32 v[151:152], v[151:152], v[161:162]
	v_fma_f64 v[161:162], v[4:5], v[38:39], v[155:156]
	v_fma_f64 v[38:39], v[2:3], v[38:39], -v[165:166]
	ds_load_b128 v[2:5], v1 offset:1152
	ds_load_b128 v[155:158], v1 offset:1168
	v_fma_f64 v[149:150], v[149:150], v[6:7], v[159:160]
	v_fma_f64 v[147:148], v[147:148], v[6:7], -v[8:9]
	scratch_load_b128 v[6:9], off, off offset:560
	v_add_f64_e32 v[145:146], v[153:154], v[145:146]
	v_add_f64_e32 v[44:45], v[151:152], v[44:45]
	scratch_load_b128 v[151:154], off, off offset:544
	s_wait_loadcnt_dscnt 0x901
	v_mul_f64_e32 v[163:164], v[2:3], v[12:13]
	v_mul_f64_e32 v[12:13], v[4:5], v[12:13]
	s_wait_loadcnt_dscnt 0x800
	v_mul_f64_e32 v[159:160], v[155:156], v[16:17]
	v_mul_f64_e32 v[16:17], v[157:158], v[16:17]
	v_add_f64_e32 v[38:39], v[145:146], v[38:39]
	v_add_f64_e32 v[44:45], v[44:45], v[161:162]
	v_fma_f64 v[161:162], v[4:5], v[10:11], v[163:164]
	v_fma_f64 v[163:164], v[2:3], v[10:11], -v[12:13]
	ds_load_b128 v[2:5], v1 offset:1184
	scratch_load_b128 v[10:13], off, off offset:576
	v_fma_f64 v[157:158], v[157:158], v[14:15], v[159:160]
	v_fma_f64 v[155:156], v[155:156], v[14:15], -v[16:17]
	scratch_load_b128 v[14:17], off, off offset:592
	v_add_f64_e32 v[38:39], v[38:39], v[147:148]
	v_add_f64_e32 v[44:45], v[44:45], v[149:150]
	ds_load_b128 v[145:148], v1 offset:1200
	s_wait_loadcnt_dscnt 0x901
	v_mul_f64_e32 v[149:150], v[2:3], v[20:21]
	v_mul_f64_e32 v[20:21], v[4:5], v[20:21]
	s_wait_loadcnt_dscnt 0x800
	v_mul_f64_e32 v[159:160], v[145:146], v[24:25]
	v_mul_f64_e32 v[24:25], v[147:148], v[24:25]
	v_add_f64_e32 v[38:39], v[38:39], v[163:164]
	v_add_f64_e32 v[44:45], v[44:45], v[161:162]
	v_fma_f64 v[149:150], v[4:5], v[18:19], v[149:150]
	v_fma_f64 v[161:162], v[2:3], v[18:19], -v[20:21]
	ds_load_b128 v[2:5], v1 offset:1216
	scratch_load_b128 v[18:21], off, off offset:608
	v_fma_f64 v[147:148], v[147:148], v[22:23], v[159:160]
	v_fma_f64 v[145:146], v[145:146], v[22:23], -v[24:25]
	scratch_load_b128 v[22:25], off, off offset:624
	v_add_f64_e32 v[38:39], v[38:39], v[155:156]
	v_add_f64_e32 v[44:45], v[44:45], v[157:158]
	ds_load_b128 v[155:158], v1 offset:1232
	s_wait_loadcnt_dscnt 0x901
	v_mul_f64_e32 v[163:164], v[2:3], v[28:29]
	v_mul_f64_e32 v[28:29], v[4:5], v[28:29]
	v_add_f64_e32 v[38:39], v[38:39], v[161:162]
	v_add_f64_e32 v[44:45], v[44:45], v[149:150]
	s_wait_loadcnt_dscnt 0x800
	v_mul_f64_e32 v[149:150], v[155:156], v[32:33]
	v_mul_f64_e32 v[32:33], v[157:158], v[32:33]
	v_fma_f64 v[159:160], v[4:5], v[26:27], v[163:164]
	v_fma_f64 v[161:162], v[2:3], v[26:27], -v[28:29]
	ds_load_b128 v[2:5], v1 offset:1248
	scratch_load_b128 v[26:29], off, off offset:640
	v_add_f64_e32 v[38:39], v[38:39], v[145:146]
	v_add_f64_e32 v[44:45], v[44:45], v[147:148]
	ds_load_b128 v[145:148], v1 offset:1264
	s_wait_loadcnt_dscnt 0x801
	v_mul_f64_e32 v[163:164], v[2:3], v[36:37]
	v_mul_f64_e32 v[36:37], v[4:5], v[36:37]
	v_fma_f64 v[149:150], v[157:158], v[30:31], v[149:150]
	v_fma_f64 v[155:156], v[155:156], v[30:31], -v[32:33]
	scratch_load_b128 v[30:33], off, off offset:656
	s_wait_loadcnt_dscnt 0x800
	v_mul_f64_e32 v[157:158], v[145:146], v[42:43]
	v_add_f64_e32 v[38:39], v[38:39], v[161:162]
	v_add_f64_e32 v[44:45], v[44:45], v[159:160]
	v_mul_f64_e32 v[159:160], v[147:148], v[42:43]
	v_fma_f64 v[161:162], v[4:5], v[34:35], v[163:164]
	v_fma_f64 v[163:164], v[2:3], v[34:35], -v[36:37]
	ds_load_b128 v[2:5], v1 offset:1280
	scratch_load_b128 v[34:37], off, off offset:672
	v_fma_f64 v[147:148], v[147:148], v[40:41], v[157:158]
	v_add_f64_e32 v[38:39], v[38:39], v[155:156]
	v_add_f64_e32 v[149:150], v[44:45], v[149:150]
	ds_load_b128 v[42:45], v1 offset:1296
	v_fma_f64 v[145:146], v[145:146], v[40:41], -v[159:160]
	s_wait_loadcnt_dscnt 0x701
	v_mul_f64_e32 v[155:156], v[2:3], v[153:154]
	v_mul_f64_e32 v[153:154], v[4:5], v[153:154]
	s_wait_dscnt 0x0
	v_mul_f64_e32 v[159:160], v[42:43], v[8:9]
	v_mul_f64_e32 v[8:9], v[44:45], v[8:9]
	v_add_f64_e32 v[157:158], v[38:39], v[163:164]
	v_add_f64_e32 v[149:150], v[149:150], v[161:162]
	scratch_load_b128 v[38:41], off, off offset:688
	v_fma_f64 v[155:156], v[4:5], v[151:152], v[155:156]
	v_fma_f64 v[153:154], v[2:3], v[151:152], -v[153:154]
	ds_load_b128 v[2:5], v1 offset:1312
	v_fma_f64 v[44:45], v[44:45], v[6:7], v[159:160]
	v_fma_f64 v[42:43], v[42:43], v[6:7], -v[8:9]
	scratch_load_b128 v[6:9], off, off offset:720
	v_add_f64_e32 v[157:158], v[157:158], v[145:146]
	v_add_f64_e32 v[161:162], v[149:150], v[147:148]
	scratch_load_b128 v[145:148], off, off offset:704
	ds_load_b128 v[149:152], v1 offset:1328
	s_wait_loadcnt_dscnt 0x901
	v_mul_f64_e32 v[163:164], v[2:3], v[12:13]
	v_mul_f64_e32 v[12:13], v[4:5], v[12:13]
	v_add_f64_e32 v[153:154], v[157:158], v[153:154]
	v_add_f64_e32 v[155:156], v[161:162], v[155:156]
	s_wait_loadcnt_dscnt 0x800
	v_mul_f64_e32 v[157:158], v[149:150], v[16:17]
	v_mul_f64_e32 v[16:17], v[151:152], v[16:17]
	v_fma_f64 v[159:160], v[4:5], v[10:11], v[163:164]
	v_fma_f64 v[161:162], v[2:3], v[10:11], -v[12:13]
	ds_load_b128 v[2:5], v1 offset:1344
	scratch_load_b128 v[10:13], off, off offset:736
	v_add_f64_e32 v[153:154], v[153:154], v[42:43]
	v_add_f64_e32 v[155:156], v[155:156], v[44:45]
	ds_load_b128 v[42:45], v1 offset:1360
	s_wait_loadcnt_dscnt 0x801
	v_mul_f64_e32 v[163:164], v[2:3], v[20:21]
	v_mul_f64_e32 v[20:21], v[4:5], v[20:21]
	v_fma_f64 v[151:152], v[151:152], v[14:15], v[157:158]
	v_fma_f64 v[149:150], v[149:150], v[14:15], -v[16:17]
	scratch_load_b128 v[14:17], off, off offset:752
	s_wait_loadcnt_dscnt 0x800
	v_mul_f64_e32 v[157:158], v[42:43], v[24:25]
	v_mul_f64_e32 v[24:25], v[44:45], v[24:25]
	v_add_f64_e32 v[153:154], v[153:154], v[161:162]
	v_add_f64_e32 v[155:156], v[155:156], v[159:160]
	v_fma_f64 v[159:160], v[4:5], v[18:19], v[163:164]
	v_fma_f64 v[161:162], v[2:3], v[18:19], -v[20:21]
	ds_load_b128 v[2:5], v1 offset:1376
	ds_load_b128 v[18:21], v1 offset:1392
	v_fma_f64 v[44:45], v[44:45], v[22:23], v[157:158]
	v_fma_f64 v[22:23], v[42:43], v[22:23], -v[24:25]
	v_add_f64_e32 v[149:150], v[153:154], v[149:150]
	v_add_f64_e32 v[151:152], v[155:156], v[151:152]
	s_wait_loadcnt_dscnt 0x701
	v_mul_f64_e32 v[153:154], v[2:3], v[28:29]
	v_mul_f64_e32 v[28:29], v[4:5], v[28:29]
	s_delay_alu instid0(VALU_DEP_4) | instskip(NEXT) | instid1(VALU_DEP_4)
	v_add_f64_e32 v[24:25], v[149:150], v[161:162]
	v_add_f64_e32 v[42:43], v[151:152], v[159:160]
	s_wait_loadcnt_dscnt 0x600
	v_mul_f64_e32 v[149:150], v[18:19], v[32:33]
	v_mul_f64_e32 v[32:33], v[20:21], v[32:33]
	v_fma_f64 v[151:152], v[4:5], v[26:27], v[153:154]
	v_fma_f64 v[26:27], v[2:3], v[26:27], -v[28:29]
	v_add_f64_e32 v[28:29], v[24:25], v[22:23]
	v_add_f64_e32 v[42:43], v[42:43], v[44:45]
	ds_load_b128 v[2:5], v1 offset:1408
	ds_load_b128 v[22:25], v1 offset:1424
	v_fma_f64 v[20:21], v[20:21], v[30:31], v[149:150]
	v_fma_f64 v[18:19], v[18:19], v[30:31], -v[32:33]
	s_wait_loadcnt_dscnt 0x501
	v_mul_f64_e32 v[44:45], v[2:3], v[36:37]
	v_mul_f64_e32 v[36:37], v[4:5], v[36:37]
	v_add_f64_e32 v[26:27], v[28:29], v[26:27]
	v_add_f64_e32 v[28:29], v[42:43], v[151:152]
	s_wait_loadcnt_dscnt 0x400
	v_mul_f64_e32 v[30:31], v[22:23], v[40:41]
	v_mul_f64_e32 v[32:33], v[24:25], v[40:41]
	v_fma_f64 v[40:41], v[4:5], v[34:35], v[44:45]
	v_fma_f64 v[34:35], v[2:3], v[34:35], -v[36:37]
	v_add_f64_e32 v[26:27], v[26:27], v[18:19]
	v_add_f64_e32 v[28:29], v[28:29], v[20:21]
	ds_load_b128 v[2:5], v1 offset:1440
	ds_load_b128 v[18:21], v1 offset:1456
	v_fma_f64 v[24:25], v[24:25], v[38:39], v[30:31]
	v_fma_f64 v[22:23], v[22:23], v[38:39], -v[32:33]
	s_wait_loadcnt_dscnt 0x201
	v_mul_f64_e32 v[36:37], v[2:3], v[147:148]
	v_mul_f64_e32 v[42:43], v[4:5], v[147:148]
	s_wait_dscnt 0x0
	v_mul_f64_e32 v[30:31], v[18:19], v[8:9]
	v_mul_f64_e32 v[8:9], v[20:21], v[8:9]
	v_add_f64_e32 v[26:27], v[26:27], v[34:35]
	v_add_f64_e32 v[28:29], v[28:29], v[40:41]
	v_fma_f64 v[32:33], v[4:5], v[145:146], v[36:37]
	v_fma_f64 v[34:35], v[2:3], v[145:146], -v[42:43]
	v_fma_f64 v[20:21], v[20:21], v[6:7], v[30:31]
	v_fma_f64 v[6:7], v[18:19], v[6:7], -v[8:9]
	v_add_f64_e32 v[26:27], v[26:27], v[22:23]
	v_add_f64_e32 v[28:29], v[28:29], v[24:25]
	ds_load_b128 v[2:5], v1 offset:1472
	ds_load_b128 v[22:25], v1 offset:1488
	s_wait_loadcnt_dscnt 0x101
	v_mul_f64_e32 v[36:37], v[2:3], v[12:13]
	v_mul_f64_e32 v[12:13], v[4:5], v[12:13]
	v_add_f64_e32 v[8:9], v[26:27], v[34:35]
	v_add_f64_e32 v[18:19], v[28:29], v[32:33]
	s_wait_loadcnt_dscnt 0x0
	v_mul_f64_e32 v[26:27], v[22:23], v[16:17]
	v_mul_f64_e32 v[16:17], v[24:25], v[16:17]
	v_fma_f64 v[4:5], v[4:5], v[10:11], v[36:37]
	v_fma_f64 v[1:2], v[2:3], v[10:11], -v[12:13]
	v_add_f64_e32 v[6:7], v[8:9], v[6:7]
	v_add_f64_e32 v[8:9], v[18:19], v[20:21]
	v_fma_f64 v[10:11], v[24:25], v[14:15], v[26:27]
	v_fma_f64 v[12:13], v[22:23], v[14:15], -v[16:17]
	s_delay_alu instid0(VALU_DEP_4) | instskip(NEXT) | instid1(VALU_DEP_4)
	v_add_f64_e32 v[1:2], v[6:7], v[1:2]
	v_add_f64_e32 v[3:4], v[8:9], v[4:5]
	s_delay_alu instid0(VALU_DEP_2) | instskip(NEXT) | instid1(VALU_DEP_2)
	v_add_f64_e32 v[1:2], v[1:2], v[12:13]
	v_add_f64_e32 v[3:4], v[3:4], v[10:11]
	s_delay_alu instid0(VALU_DEP_2) | instskip(NEXT) | instid1(VALU_DEP_2)
	v_add_f64_e64 v[1:2], v[141:142], -v[1:2]
	v_add_f64_e64 v[3:4], v[143:144], -v[3:4]
	scratch_store_b128 off, v[1:4], off offset:208
	v_cmpx_lt_u32_e32 11, v0
	s_cbranch_execz .LBB46_273
; %bb.272:
	scratch_load_b128 v[1:4], off, s49
	v_mov_b32_e32 v5, 0
	s_delay_alu instid0(VALU_DEP_1)
	v_dual_mov_b32 v6, v5 :: v_dual_mov_b32 v7, v5
	v_mov_b32_e32 v8, v5
	scratch_store_b128 off, v[5:8], off offset:192
	s_wait_loadcnt 0x0
	ds_store_b128 v140, v[1:4]
.LBB46_273:
	s_wait_alu 0xfffe
	s_or_b32 exec_lo, exec_lo, s0
	s_wait_storecnt_dscnt 0x0
	s_barrier_signal -1
	s_barrier_wait -1
	global_inv scope:SCOPE_SE
	s_clause 0x7
	scratch_load_b128 v[2:5], off, off offset:208
	scratch_load_b128 v[6:9], off, off offset:224
	;; [unrolled: 1-line block ×8, first 2 shown]
	v_mov_b32_e32 v1, 0
	s_mov_b32 s0, exec_lo
	ds_load_b128 v[38:41], v1 offset:944
	s_clause 0x1
	scratch_load_b128 v[34:37], off, off offset:336
	scratch_load_b128 v[42:45], off, off offset:192
	ds_load_b128 v[141:144], v1 offset:960
	scratch_load_b128 v[145:148], off, off offset:352
	s_wait_loadcnt_dscnt 0xa01
	v_mul_f64_e32 v[149:150], v[40:41], v[4:5]
	v_mul_f64_e32 v[4:5], v[38:39], v[4:5]
	s_delay_alu instid0(VALU_DEP_2) | instskip(NEXT) | instid1(VALU_DEP_2)
	v_fma_f64 v[155:156], v[38:39], v[2:3], -v[149:150]
	v_fma_f64 v[157:158], v[40:41], v[2:3], v[4:5]
	ds_load_b128 v[2:5], v1 offset:976
	s_wait_loadcnt_dscnt 0x901
	v_mul_f64_e32 v[153:154], v[141:142], v[8:9]
	v_mul_f64_e32 v[8:9], v[143:144], v[8:9]
	scratch_load_b128 v[38:41], off, off offset:368
	ds_load_b128 v[149:152], v1 offset:992
	s_wait_loadcnt_dscnt 0x901
	v_mul_f64_e32 v[159:160], v[2:3], v[12:13]
	v_mul_f64_e32 v[12:13], v[4:5], v[12:13]
	v_fma_f64 v[143:144], v[143:144], v[6:7], v[153:154]
	v_fma_f64 v[141:142], v[141:142], v[6:7], -v[8:9]
	v_add_f64_e32 v[153:154], 0, v[155:156]
	v_add_f64_e32 v[155:156], 0, v[157:158]
	scratch_load_b128 v[6:9], off, off offset:384
	v_fma_f64 v[159:160], v[4:5], v[10:11], v[159:160]
	v_fma_f64 v[161:162], v[2:3], v[10:11], -v[12:13]
	ds_load_b128 v[2:5], v1 offset:1008
	s_wait_loadcnt_dscnt 0x901
	v_mul_f64_e32 v[157:158], v[149:150], v[16:17]
	v_mul_f64_e32 v[16:17], v[151:152], v[16:17]
	scratch_load_b128 v[10:13], off, off offset:400
	v_add_f64_e32 v[153:154], v[153:154], v[141:142]
	v_add_f64_e32 v[155:156], v[155:156], v[143:144]
	s_wait_loadcnt_dscnt 0x900
	v_mul_f64_e32 v[163:164], v[2:3], v[20:21]
	v_mul_f64_e32 v[20:21], v[4:5], v[20:21]
	ds_load_b128 v[141:144], v1 offset:1024
	v_fma_f64 v[151:152], v[151:152], v[14:15], v[157:158]
	v_fma_f64 v[149:150], v[149:150], v[14:15], -v[16:17]
	scratch_load_b128 v[14:17], off, off offset:416
	v_add_f64_e32 v[153:154], v[153:154], v[161:162]
	v_add_f64_e32 v[155:156], v[155:156], v[159:160]
	v_fma_f64 v[159:160], v[4:5], v[18:19], v[163:164]
	v_fma_f64 v[161:162], v[2:3], v[18:19], -v[20:21]
	ds_load_b128 v[2:5], v1 offset:1040
	s_wait_loadcnt_dscnt 0x901
	v_mul_f64_e32 v[157:158], v[141:142], v[24:25]
	v_mul_f64_e32 v[24:25], v[143:144], v[24:25]
	scratch_load_b128 v[18:21], off, off offset:432
	s_wait_loadcnt_dscnt 0x900
	v_mul_f64_e32 v[163:164], v[2:3], v[28:29]
	v_mul_f64_e32 v[28:29], v[4:5], v[28:29]
	v_add_f64_e32 v[153:154], v[153:154], v[149:150]
	v_add_f64_e32 v[155:156], v[155:156], v[151:152]
	ds_load_b128 v[149:152], v1 offset:1056
	v_fma_f64 v[143:144], v[143:144], v[22:23], v[157:158]
	v_fma_f64 v[141:142], v[141:142], v[22:23], -v[24:25]
	scratch_load_b128 v[22:25], off, off offset:448
	v_add_f64_e32 v[153:154], v[153:154], v[161:162]
	v_add_f64_e32 v[155:156], v[155:156], v[159:160]
	v_fma_f64 v[159:160], v[4:5], v[26:27], v[163:164]
	v_fma_f64 v[161:162], v[2:3], v[26:27], -v[28:29]
	ds_load_b128 v[2:5], v1 offset:1072
	s_wait_loadcnt_dscnt 0x901
	v_mul_f64_e32 v[157:158], v[149:150], v[32:33]
	v_mul_f64_e32 v[32:33], v[151:152], v[32:33]
	scratch_load_b128 v[26:29], off, off offset:464
	s_wait_loadcnt_dscnt 0x900
	v_mul_f64_e32 v[163:164], v[2:3], v[36:37]
	v_mul_f64_e32 v[36:37], v[4:5], v[36:37]
	v_add_f64_e32 v[153:154], v[153:154], v[141:142]
	v_add_f64_e32 v[155:156], v[155:156], v[143:144]
	ds_load_b128 v[141:144], v1 offset:1088
	v_fma_f64 v[151:152], v[151:152], v[30:31], v[157:158]
	v_fma_f64 v[149:150], v[149:150], v[30:31], -v[32:33]
	scratch_load_b128 v[30:33], off, off offset:480
	v_add_f64_e32 v[153:154], v[153:154], v[161:162]
	v_add_f64_e32 v[155:156], v[155:156], v[159:160]
	v_fma_f64 v[161:162], v[4:5], v[34:35], v[163:164]
	v_fma_f64 v[163:164], v[2:3], v[34:35], -v[36:37]
	ds_load_b128 v[2:5], v1 offset:1104
	s_wait_loadcnt_dscnt 0x801
	v_mul_f64_e32 v[157:158], v[141:142], v[147:148]
	v_mul_f64_e32 v[159:160], v[143:144], v[147:148]
	scratch_load_b128 v[34:37], off, off offset:496
	v_add_f64_e32 v[153:154], v[153:154], v[149:150]
	v_add_f64_e32 v[151:152], v[155:156], v[151:152]
	ds_load_b128 v[147:150], v1 offset:1120
	v_fma_f64 v[157:158], v[143:144], v[145:146], v[157:158]
	v_fma_f64 v[145:146], v[141:142], v[145:146], -v[159:160]
	scratch_load_b128 v[141:144], off, off offset:512
	s_wait_loadcnt_dscnt 0x901
	v_mul_f64_e32 v[155:156], v[2:3], v[40:41]
	v_mul_f64_e32 v[40:41], v[4:5], v[40:41]
	v_add_f64_e32 v[153:154], v[153:154], v[163:164]
	v_add_f64_e32 v[151:152], v[151:152], v[161:162]
	s_delay_alu instid0(VALU_DEP_4) | instskip(NEXT) | instid1(VALU_DEP_4)
	v_fma_f64 v[155:156], v[4:5], v[38:39], v[155:156]
	v_fma_f64 v[161:162], v[2:3], v[38:39], -v[40:41]
	ds_load_b128 v[2:5], v1 offset:1136
	s_wait_loadcnt_dscnt 0x801
	v_mul_f64_e32 v[159:160], v[147:148], v[8:9]
	v_mul_f64_e32 v[8:9], v[149:150], v[8:9]
	scratch_load_b128 v[38:41], off, off offset:528
	s_wait_loadcnt_dscnt 0x800
	v_mul_f64_e32 v[163:164], v[2:3], v[12:13]
	v_add_f64_e32 v[145:146], v[153:154], v[145:146]
	v_add_f64_e32 v[157:158], v[151:152], v[157:158]
	v_mul_f64_e32 v[12:13], v[4:5], v[12:13]
	ds_load_b128 v[151:154], v1 offset:1152
	v_fma_f64 v[149:150], v[149:150], v[6:7], v[159:160]
	v_fma_f64 v[147:148], v[147:148], v[6:7], -v[8:9]
	scratch_load_b128 v[6:9], off, off offset:544
	v_fma_f64 v[159:160], v[4:5], v[10:11], v[163:164]
	v_add_f64_e32 v[145:146], v[145:146], v[161:162]
	v_add_f64_e32 v[155:156], v[157:158], v[155:156]
	v_fma_f64 v[161:162], v[2:3], v[10:11], -v[12:13]
	ds_load_b128 v[2:5], v1 offset:1168
	s_wait_loadcnt_dscnt 0x801
	v_mul_f64_e32 v[157:158], v[151:152], v[16:17]
	v_mul_f64_e32 v[16:17], v[153:154], v[16:17]
	scratch_load_b128 v[10:13], off, off offset:560
	v_add_f64_e32 v[163:164], v[145:146], v[147:148]
	v_add_f64_e32 v[149:150], v[155:156], v[149:150]
	s_wait_loadcnt_dscnt 0x800
	v_mul_f64_e32 v[155:156], v[2:3], v[20:21]
	v_mul_f64_e32 v[20:21], v[4:5], v[20:21]
	v_fma_f64 v[153:154], v[153:154], v[14:15], v[157:158]
	v_fma_f64 v[151:152], v[151:152], v[14:15], -v[16:17]
	ds_load_b128 v[145:148], v1 offset:1184
	scratch_load_b128 v[14:17], off, off offset:576
	v_add_f64_e32 v[157:158], v[163:164], v[161:162]
	v_add_f64_e32 v[149:150], v[149:150], v[159:160]
	v_fma_f64 v[155:156], v[4:5], v[18:19], v[155:156]
	v_fma_f64 v[161:162], v[2:3], v[18:19], -v[20:21]
	ds_load_b128 v[2:5], v1 offset:1200
	s_wait_loadcnt_dscnt 0x801
	v_mul_f64_e32 v[159:160], v[145:146], v[24:25]
	v_mul_f64_e32 v[24:25], v[147:148], v[24:25]
	scratch_load_b128 v[18:21], off, off offset:592
	s_wait_loadcnt_dscnt 0x800
	v_mul_f64_e32 v[163:164], v[2:3], v[28:29]
	v_mul_f64_e32 v[28:29], v[4:5], v[28:29]
	v_add_f64_e32 v[157:158], v[157:158], v[151:152]
	v_add_f64_e32 v[153:154], v[149:150], v[153:154]
	ds_load_b128 v[149:152], v1 offset:1216
	v_fma_f64 v[147:148], v[147:148], v[22:23], v[159:160]
	v_fma_f64 v[145:146], v[145:146], v[22:23], -v[24:25]
	scratch_load_b128 v[22:25], off, off offset:608
	v_fma_f64 v[159:160], v[4:5], v[26:27], v[163:164]
	v_add_f64_e32 v[157:158], v[157:158], v[161:162]
	v_add_f64_e32 v[153:154], v[153:154], v[155:156]
	v_fma_f64 v[161:162], v[2:3], v[26:27], -v[28:29]
	ds_load_b128 v[2:5], v1 offset:1232
	s_wait_loadcnt_dscnt 0x801
	v_mul_f64_e32 v[155:156], v[149:150], v[32:33]
	v_mul_f64_e32 v[32:33], v[151:152], v[32:33]
	scratch_load_b128 v[26:29], off, off offset:624
	s_wait_loadcnt_dscnt 0x800
	v_mul_f64_e32 v[163:164], v[2:3], v[36:37]
	v_mul_f64_e32 v[36:37], v[4:5], v[36:37]
	v_add_f64_e32 v[157:158], v[157:158], v[145:146]
	v_add_f64_e32 v[153:154], v[153:154], v[147:148]
	ds_load_b128 v[145:148], v1 offset:1248
	v_fma_f64 v[151:152], v[151:152], v[30:31], v[155:156]
	v_fma_f64 v[149:150], v[149:150], v[30:31], -v[32:33]
	scratch_load_b128 v[30:33], off, off offset:640
	v_add_f64_e32 v[155:156], v[157:158], v[161:162]
	v_add_f64_e32 v[153:154], v[153:154], v[159:160]
	v_fma_f64 v[159:160], v[4:5], v[34:35], v[163:164]
	v_fma_f64 v[161:162], v[2:3], v[34:35], -v[36:37]
	ds_load_b128 v[2:5], v1 offset:1264
	s_wait_loadcnt_dscnt 0x801
	v_mul_f64_e32 v[157:158], v[145:146], v[143:144]
	v_mul_f64_e32 v[143:144], v[147:148], v[143:144]
	scratch_load_b128 v[34:37], off, off offset:656
	s_wait_loadcnt_dscnt 0x800
	v_mul_f64_e32 v[163:164], v[2:3], v[40:41]
	v_mul_f64_e32 v[40:41], v[4:5], v[40:41]
	v_add_f64_e32 v[155:156], v[155:156], v[149:150]
	v_add_f64_e32 v[153:154], v[153:154], v[151:152]
	ds_load_b128 v[149:152], v1 offset:1280
	v_fma_f64 v[147:148], v[147:148], v[141:142], v[157:158]
	v_fma_f64 v[145:146], v[145:146], v[141:142], -v[143:144]
	scratch_load_b128 v[141:144], off, off offset:672
	v_add_f64_e32 v[155:156], v[155:156], v[161:162]
	v_add_f64_e32 v[153:154], v[153:154], v[159:160]
	v_fma_f64 v[159:160], v[4:5], v[38:39], v[163:164]
	;; [unrolled: 18-line block ×4, first 2 shown]
	v_fma_f64 v[161:162], v[2:3], v[18:19], -v[20:21]
	ds_load_b128 v[2:5], v1 offset:1360
	s_wait_loadcnt_dscnt 0x801
	v_mul_f64_e32 v[157:158], v[149:150], v[24:25]
	v_mul_f64_e32 v[24:25], v[151:152], v[24:25]
	scratch_load_b128 v[18:21], off, off offset:752
	s_wait_loadcnt_dscnt 0x800
	v_mul_f64_e32 v[163:164], v[2:3], v[28:29]
	v_mul_f64_e32 v[28:29], v[4:5], v[28:29]
	v_add_f64_e32 v[155:156], v[155:156], v[145:146]
	v_add_f64_e32 v[153:154], v[153:154], v[147:148]
	ds_load_b128 v[145:148], v1 offset:1376
	v_fma_f64 v[151:152], v[151:152], v[22:23], v[157:158]
	v_fma_f64 v[22:23], v[149:150], v[22:23], -v[24:25]
	v_add_f64_e32 v[24:25], v[155:156], v[161:162]
	v_add_f64_e32 v[149:150], v[153:154], v[159:160]
	s_wait_loadcnt_dscnt 0x700
	v_mul_f64_e32 v[153:154], v[145:146], v[32:33]
	v_mul_f64_e32 v[32:33], v[147:148], v[32:33]
	v_fma_f64 v[155:156], v[4:5], v[26:27], v[163:164]
	v_fma_f64 v[26:27], v[2:3], v[26:27], -v[28:29]
	v_add_f64_e32 v[28:29], v[24:25], v[22:23]
	v_add_f64_e32 v[149:150], v[149:150], v[151:152]
	ds_load_b128 v[2:5], v1 offset:1392
	ds_load_b128 v[22:25], v1 offset:1408
	v_fma_f64 v[147:148], v[147:148], v[30:31], v[153:154]
	v_fma_f64 v[30:31], v[145:146], v[30:31], -v[32:33]
	s_wait_loadcnt_dscnt 0x601
	v_mul_f64_e32 v[151:152], v[2:3], v[36:37]
	v_mul_f64_e32 v[36:37], v[4:5], v[36:37]
	s_wait_loadcnt_dscnt 0x500
	v_mul_f64_e32 v[32:33], v[22:23], v[143:144]
	v_mul_f64_e32 v[143:144], v[24:25], v[143:144]
	v_add_f64_e32 v[26:27], v[28:29], v[26:27]
	v_add_f64_e32 v[28:29], v[149:150], v[155:156]
	v_fma_f64 v[145:146], v[4:5], v[34:35], v[151:152]
	v_fma_f64 v[34:35], v[2:3], v[34:35], -v[36:37]
	v_fma_f64 v[24:25], v[24:25], v[141:142], v[32:33]
	v_fma_f64 v[22:23], v[22:23], v[141:142], -v[143:144]
	v_add_f64_e32 v[30:31], v[26:27], v[30:31]
	v_add_f64_e32 v[36:37], v[28:29], v[147:148]
	ds_load_b128 v[2:5], v1 offset:1424
	ds_load_b128 v[26:29], v1 offset:1440
	s_wait_loadcnt_dscnt 0x401
	v_mul_f64_e32 v[147:148], v[2:3], v[40:41]
	v_mul_f64_e32 v[40:41], v[4:5], v[40:41]
	v_add_f64_e32 v[30:31], v[30:31], v[34:35]
	v_add_f64_e32 v[32:33], v[36:37], v[145:146]
	s_wait_loadcnt_dscnt 0x300
	v_mul_f64_e32 v[34:35], v[26:27], v[8:9]
	v_mul_f64_e32 v[8:9], v[28:29], v[8:9]
	v_fma_f64 v[36:37], v[4:5], v[38:39], v[147:148]
	v_fma_f64 v[38:39], v[2:3], v[38:39], -v[40:41]
	v_add_f64_e32 v[30:31], v[30:31], v[22:23]
	v_add_f64_e32 v[32:33], v[32:33], v[24:25]
	ds_load_b128 v[2:5], v1 offset:1456
	ds_load_b128 v[22:25], v1 offset:1472
	v_fma_f64 v[28:29], v[28:29], v[6:7], v[34:35]
	v_fma_f64 v[6:7], v[26:27], v[6:7], -v[8:9]
	s_wait_loadcnt_dscnt 0x201
	v_mul_f64_e32 v[40:41], v[2:3], v[12:13]
	v_mul_f64_e32 v[12:13], v[4:5], v[12:13]
	v_add_f64_e32 v[8:9], v[30:31], v[38:39]
	v_add_f64_e32 v[26:27], v[32:33], v[36:37]
	s_wait_loadcnt_dscnt 0x100
	v_mul_f64_e32 v[30:31], v[22:23], v[16:17]
	v_mul_f64_e32 v[16:17], v[24:25], v[16:17]
	v_fma_f64 v[32:33], v[4:5], v[10:11], v[40:41]
	v_fma_f64 v[10:11], v[2:3], v[10:11], -v[12:13]
	ds_load_b128 v[2:5], v1 offset:1488
	v_add_f64_e32 v[6:7], v[8:9], v[6:7]
	v_add_f64_e32 v[8:9], v[26:27], v[28:29]
	v_fma_f64 v[24:25], v[24:25], v[14:15], v[30:31]
	v_fma_f64 v[14:15], v[22:23], v[14:15], -v[16:17]
	s_wait_loadcnt_dscnt 0x0
	v_mul_f64_e32 v[12:13], v[2:3], v[20:21]
	v_mul_f64_e32 v[20:21], v[4:5], v[20:21]
	v_add_f64_e32 v[6:7], v[6:7], v[10:11]
	v_add_f64_e32 v[8:9], v[8:9], v[32:33]
	s_delay_alu instid0(VALU_DEP_4) | instskip(NEXT) | instid1(VALU_DEP_4)
	v_fma_f64 v[4:5], v[4:5], v[18:19], v[12:13]
	v_fma_f64 v[2:3], v[2:3], v[18:19], -v[20:21]
	s_delay_alu instid0(VALU_DEP_4) | instskip(NEXT) | instid1(VALU_DEP_4)
	v_add_f64_e32 v[6:7], v[6:7], v[14:15]
	v_add_f64_e32 v[8:9], v[8:9], v[24:25]
	s_delay_alu instid0(VALU_DEP_2) | instskip(NEXT) | instid1(VALU_DEP_2)
	v_add_f64_e32 v[2:3], v[6:7], v[2:3]
	v_add_f64_e32 v[4:5], v[8:9], v[4:5]
	s_delay_alu instid0(VALU_DEP_2) | instskip(NEXT) | instid1(VALU_DEP_2)
	v_add_f64_e64 v[2:3], v[42:43], -v[2:3]
	v_add_f64_e64 v[4:5], v[44:45], -v[4:5]
	scratch_store_b128 off, v[2:5], off offset:192
	v_cmpx_lt_u32_e32 10, v0
	s_cbranch_execz .LBB46_275
; %bb.274:
	scratch_load_b128 v[5:8], off, s50
	v_dual_mov_b32 v2, v1 :: v_dual_mov_b32 v3, v1
	v_mov_b32_e32 v4, v1
	scratch_store_b128 off, v[1:4], off offset:176
	s_wait_loadcnt 0x0
	ds_store_b128 v140, v[5:8]
.LBB46_275:
	s_wait_alu 0xfffe
	s_or_b32 exec_lo, exec_lo, s0
	s_wait_storecnt_dscnt 0x0
	s_barrier_signal -1
	s_barrier_wait -1
	global_inv scope:SCOPE_SE
	s_clause 0x8
	scratch_load_b128 v[2:5], off, off offset:192
	scratch_load_b128 v[6:9], off, off offset:208
	;; [unrolled: 1-line block ×9, first 2 shown]
	ds_load_b128 v[38:41], v1 offset:928
	ds_load_b128 v[42:45], v1 offset:944
	s_clause 0x1
	scratch_load_b128 v[141:144], off, off offset:176
	scratch_load_b128 v[145:148], off, off offset:336
	s_mov_b32 s0, exec_lo
	s_wait_loadcnt_dscnt 0xa01
	v_mul_f64_e32 v[149:150], v[40:41], v[4:5]
	v_mul_f64_e32 v[4:5], v[38:39], v[4:5]
	s_wait_loadcnt_dscnt 0x900
	v_mul_f64_e32 v[153:154], v[42:43], v[8:9]
	v_mul_f64_e32 v[8:9], v[44:45], v[8:9]
	s_delay_alu instid0(VALU_DEP_4) | instskip(NEXT) | instid1(VALU_DEP_4)
	v_fma_f64 v[155:156], v[38:39], v[2:3], -v[149:150]
	v_fma_f64 v[157:158], v[40:41], v[2:3], v[4:5]
	ds_load_b128 v[2:5], v1 offset:960
	ds_load_b128 v[149:152], v1 offset:976
	scratch_load_b128 v[38:41], off, off offset:352
	v_fma_f64 v[44:45], v[44:45], v[6:7], v[153:154]
	v_fma_f64 v[42:43], v[42:43], v[6:7], -v[8:9]
	scratch_load_b128 v[6:9], off, off offset:368
	s_wait_loadcnt_dscnt 0xa01
	v_mul_f64_e32 v[159:160], v[2:3], v[12:13]
	v_mul_f64_e32 v[12:13], v[4:5], v[12:13]
	v_add_f64_e32 v[153:154], 0, v[155:156]
	v_add_f64_e32 v[155:156], 0, v[157:158]
	s_wait_loadcnt_dscnt 0x900
	v_mul_f64_e32 v[157:158], v[149:150], v[16:17]
	v_mul_f64_e32 v[16:17], v[151:152], v[16:17]
	v_fma_f64 v[159:160], v[4:5], v[10:11], v[159:160]
	v_fma_f64 v[161:162], v[2:3], v[10:11], -v[12:13]
	ds_load_b128 v[2:5], v1 offset:992
	scratch_load_b128 v[10:13], off, off offset:384
	v_add_f64_e32 v[153:154], v[153:154], v[42:43]
	v_add_f64_e32 v[155:156], v[155:156], v[44:45]
	ds_load_b128 v[42:45], v1 offset:1008
	v_fma_f64 v[151:152], v[151:152], v[14:15], v[157:158]
	v_fma_f64 v[149:150], v[149:150], v[14:15], -v[16:17]
	scratch_load_b128 v[14:17], off, off offset:400
	s_wait_loadcnt_dscnt 0xa01
	v_mul_f64_e32 v[163:164], v[2:3], v[20:21]
	v_mul_f64_e32 v[20:21], v[4:5], v[20:21]
	s_wait_loadcnt_dscnt 0x900
	v_mul_f64_e32 v[157:158], v[42:43], v[24:25]
	v_mul_f64_e32 v[24:25], v[44:45], v[24:25]
	v_add_f64_e32 v[153:154], v[153:154], v[161:162]
	v_add_f64_e32 v[155:156], v[155:156], v[159:160]
	v_fma_f64 v[159:160], v[4:5], v[18:19], v[163:164]
	v_fma_f64 v[161:162], v[2:3], v[18:19], -v[20:21]
	ds_load_b128 v[2:5], v1 offset:1024
	scratch_load_b128 v[18:21], off, off offset:416
	v_fma_f64 v[44:45], v[44:45], v[22:23], v[157:158]
	v_fma_f64 v[42:43], v[42:43], v[22:23], -v[24:25]
	scratch_load_b128 v[22:25], off, off offset:432
	v_add_f64_e32 v[153:154], v[153:154], v[149:150]
	v_add_f64_e32 v[155:156], v[155:156], v[151:152]
	ds_load_b128 v[149:152], v1 offset:1040
	s_wait_loadcnt_dscnt 0xa01
	v_mul_f64_e32 v[163:164], v[2:3], v[28:29]
	v_mul_f64_e32 v[28:29], v[4:5], v[28:29]
	s_wait_loadcnt_dscnt 0x900
	v_mul_f64_e32 v[157:158], v[149:150], v[32:33]
	v_mul_f64_e32 v[32:33], v[151:152], v[32:33]
	v_add_f64_e32 v[153:154], v[153:154], v[161:162]
	v_add_f64_e32 v[155:156], v[155:156], v[159:160]
	v_fma_f64 v[159:160], v[4:5], v[26:27], v[163:164]
	v_fma_f64 v[161:162], v[2:3], v[26:27], -v[28:29]
	ds_load_b128 v[2:5], v1 offset:1056
	scratch_load_b128 v[26:29], off, off offset:448
	v_fma_f64 v[151:152], v[151:152], v[30:31], v[157:158]
	v_fma_f64 v[149:150], v[149:150], v[30:31], -v[32:33]
	scratch_load_b128 v[30:33], off, off offset:464
	v_add_f64_e32 v[153:154], v[153:154], v[42:43]
	v_add_f64_e32 v[155:156], v[155:156], v[44:45]
	ds_load_b128 v[42:45], v1 offset:1072
	s_wait_loadcnt_dscnt 0xa01
	v_mul_f64_e32 v[163:164], v[2:3], v[36:37]
	v_mul_f64_e32 v[36:37], v[4:5], v[36:37]
	s_wait_loadcnt_dscnt 0x800
	v_mul_f64_e32 v[157:158], v[42:43], v[147:148]
	v_add_f64_e32 v[153:154], v[153:154], v[161:162]
	v_add_f64_e32 v[155:156], v[155:156], v[159:160]
	v_mul_f64_e32 v[159:160], v[44:45], v[147:148]
	v_fma_f64 v[161:162], v[4:5], v[34:35], v[163:164]
	v_fma_f64 v[163:164], v[2:3], v[34:35], -v[36:37]
	ds_load_b128 v[2:5], v1 offset:1088
	scratch_load_b128 v[34:37], off, off offset:480
	v_fma_f64 v[44:45], v[44:45], v[145:146], v[157:158]
	v_add_f64_e32 v[153:154], v[153:154], v[149:150]
	v_add_f64_e32 v[151:152], v[155:156], v[151:152]
	ds_load_b128 v[147:150], v1 offset:1104
	v_fma_f64 v[145:146], v[42:43], v[145:146], -v[159:160]
	s_wait_loadcnt_dscnt 0x801
	v_mul_f64_e32 v[155:156], v[2:3], v[40:41]
	v_mul_f64_e32 v[165:166], v[4:5], v[40:41]
	scratch_load_b128 v[40:43], off, off offset:496
	s_wait_loadcnt_dscnt 0x800
	v_mul_f64_e32 v[159:160], v[147:148], v[8:9]
	v_mul_f64_e32 v[8:9], v[149:150], v[8:9]
	v_add_f64_e32 v[153:154], v[153:154], v[163:164]
	v_add_f64_e32 v[151:152], v[151:152], v[161:162]
	v_fma_f64 v[161:162], v[4:5], v[38:39], v[155:156]
	v_fma_f64 v[38:39], v[2:3], v[38:39], -v[165:166]
	ds_load_b128 v[2:5], v1 offset:1120
	ds_load_b128 v[155:158], v1 offset:1136
	v_fma_f64 v[149:150], v[149:150], v[6:7], v[159:160]
	v_fma_f64 v[147:148], v[147:148], v[6:7], -v[8:9]
	scratch_load_b128 v[6:9], off, off offset:528
	v_add_f64_e32 v[145:146], v[153:154], v[145:146]
	v_add_f64_e32 v[44:45], v[151:152], v[44:45]
	scratch_load_b128 v[151:154], off, off offset:512
	s_wait_loadcnt_dscnt 0x901
	v_mul_f64_e32 v[163:164], v[2:3], v[12:13]
	v_mul_f64_e32 v[12:13], v[4:5], v[12:13]
	s_wait_loadcnt_dscnt 0x800
	v_mul_f64_e32 v[159:160], v[155:156], v[16:17]
	v_mul_f64_e32 v[16:17], v[157:158], v[16:17]
	v_add_f64_e32 v[38:39], v[145:146], v[38:39]
	v_add_f64_e32 v[44:45], v[44:45], v[161:162]
	v_fma_f64 v[161:162], v[4:5], v[10:11], v[163:164]
	v_fma_f64 v[163:164], v[2:3], v[10:11], -v[12:13]
	ds_load_b128 v[2:5], v1 offset:1152
	scratch_load_b128 v[10:13], off, off offset:544
	v_fma_f64 v[157:158], v[157:158], v[14:15], v[159:160]
	v_fma_f64 v[155:156], v[155:156], v[14:15], -v[16:17]
	scratch_load_b128 v[14:17], off, off offset:560
	v_add_f64_e32 v[38:39], v[38:39], v[147:148]
	v_add_f64_e32 v[44:45], v[44:45], v[149:150]
	ds_load_b128 v[145:148], v1 offset:1168
	s_wait_loadcnt_dscnt 0x901
	v_mul_f64_e32 v[149:150], v[2:3], v[20:21]
	v_mul_f64_e32 v[20:21], v[4:5], v[20:21]
	s_wait_loadcnt_dscnt 0x800
	v_mul_f64_e32 v[159:160], v[145:146], v[24:25]
	v_mul_f64_e32 v[24:25], v[147:148], v[24:25]
	v_add_f64_e32 v[38:39], v[38:39], v[163:164]
	v_add_f64_e32 v[44:45], v[44:45], v[161:162]
	v_fma_f64 v[149:150], v[4:5], v[18:19], v[149:150]
	v_fma_f64 v[161:162], v[2:3], v[18:19], -v[20:21]
	ds_load_b128 v[2:5], v1 offset:1184
	scratch_load_b128 v[18:21], off, off offset:576
	v_fma_f64 v[147:148], v[147:148], v[22:23], v[159:160]
	v_fma_f64 v[145:146], v[145:146], v[22:23], -v[24:25]
	scratch_load_b128 v[22:25], off, off offset:592
	v_add_f64_e32 v[38:39], v[38:39], v[155:156]
	v_add_f64_e32 v[44:45], v[44:45], v[157:158]
	ds_load_b128 v[155:158], v1 offset:1200
	s_wait_loadcnt_dscnt 0x901
	v_mul_f64_e32 v[163:164], v[2:3], v[28:29]
	v_mul_f64_e32 v[28:29], v[4:5], v[28:29]
	v_add_f64_e32 v[38:39], v[38:39], v[161:162]
	v_add_f64_e32 v[44:45], v[44:45], v[149:150]
	s_wait_loadcnt_dscnt 0x800
	v_mul_f64_e32 v[149:150], v[155:156], v[32:33]
	v_mul_f64_e32 v[32:33], v[157:158], v[32:33]
	v_fma_f64 v[159:160], v[4:5], v[26:27], v[163:164]
	v_fma_f64 v[161:162], v[2:3], v[26:27], -v[28:29]
	ds_load_b128 v[2:5], v1 offset:1216
	scratch_load_b128 v[26:29], off, off offset:608
	v_add_f64_e32 v[38:39], v[38:39], v[145:146]
	v_add_f64_e32 v[44:45], v[44:45], v[147:148]
	ds_load_b128 v[145:148], v1 offset:1232
	s_wait_loadcnt_dscnt 0x801
	v_mul_f64_e32 v[163:164], v[2:3], v[36:37]
	v_mul_f64_e32 v[36:37], v[4:5], v[36:37]
	v_fma_f64 v[149:150], v[157:158], v[30:31], v[149:150]
	v_fma_f64 v[155:156], v[155:156], v[30:31], -v[32:33]
	scratch_load_b128 v[30:33], off, off offset:624
	s_wait_loadcnt_dscnt 0x800
	v_mul_f64_e32 v[157:158], v[145:146], v[42:43]
	v_add_f64_e32 v[38:39], v[38:39], v[161:162]
	v_add_f64_e32 v[44:45], v[44:45], v[159:160]
	v_mul_f64_e32 v[159:160], v[147:148], v[42:43]
	v_fma_f64 v[161:162], v[4:5], v[34:35], v[163:164]
	v_fma_f64 v[163:164], v[2:3], v[34:35], -v[36:37]
	ds_load_b128 v[2:5], v1 offset:1248
	scratch_load_b128 v[34:37], off, off offset:640
	v_fma_f64 v[147:148], v[147:148], v[40:41], v[157:158]
	v_add_f64_e32 v[38:39], v[38:39], v[155:156]
	v_add_f64_e32 v[149:150], v[44:45], v[149:150]
	ds_load_b128 v[42:45], v1 offset:1264
	v_fma_f64 v[145:146], v[145:146], v[40:41], -v[159:160]
	s_wait_loadcnt_dscnt 0x701
	v_mul_f64_e32 v[155:156], v[2:3], v[153:154]
	v_mul_f64_e32 v[153:154], v[4:5], v[153:154]
	s_wait_dscnt 0x0
	v_mul_f64_e32 v[159:160], v[42:43], v[8:9]
	v_mul_f64_e32 v[8:9], v[44:45], v[8:9]
	v_add_f64_e32 v[157:158], v[38:39], v[163:164]
	v_add_f64_e32 v[149:150], v[149:150], v[161:162]
	scratch_load_b128 v[38:41], off, off offset:656
	v_fma_f64 v[155:156], v[4:5], v[151:152], v[155:156]
	v_fma_f64 v[153:154], v[2:3], v[151:152], -v[153:154]
	ds_load_b128 v[2:5], v1 offset:1280
	v_fma_f64 v[44:45], v[44:45], v[6:7], v[159:160]
	v_fma_f64 v[42:43], v[42:43], v[6:7], -v[8:9]
	scratch_load_b128 v[6:9], off, off offset:688
	v_add_f64_e32 v[157:158], v[157:158], v[145:146]
	v_add_f64_e32 v[161:162], v[149:150], v[147:148]
	scratch_load_b128 v[145:148], off, off offset:672
	ds_load_b128 v[149:152], v1 offset:1296
	s_wait_loadcnt_dscnt 0x901
	v_mul_f64_e32 v[163:164], v[2:3], v[12:13]
	v_mul_f64_e32 v[12:13], v[4:5], v[12:13]
	v_add_f64_e32 v[153:154], v[157:158], v[153:154]
	v_add_f64_e32 v[155:156], v[161:162], v[155:156]
	s_wait_loadcnt_dscnt 0x800
	v_mul_f64_e32 v[157:158], v[149:150], v[16:17]
	v_mul_f64_e32 v[16:17], v[151:152], v[16:17]
	v_fma_f64 v[159:160], v[4:5], v[10:11], v[163:164]
	v_fma_f64 v[161:162], v[2:3], v[10:11], -v[12:13]
	ds_load_b128 v[2:5], v1 offset:1312
	scratch_load_b128 v[10:13], off, off offset:704
	v_add_f64_e32 v[153:154], v[153:154], v[42:43]
	v_add_f64_e32 v[155:156], v[155:156], v[44:45]
	ds_load_b128 v[42:45], v1 offset:1328
	s_wait_loadcnt_dscnt 0x801
	v_mul_f64_e32 v[163:164], v[2:3], v[20:21]
	v_mul_f64_e32 v[20:21], v[4:5], v[20:21]
	v_fma_f64 v[151:152], v[151:152], v[14:15], v[157:158]
	v_fma_f64 v[149:150], v[149:150], v[14:15], -v[16:17]
	scratch_load_b128 v[14:17], off, off offset:720
	s_wait_loadcnt_dscnt 0x800
	v_mul_f64_e32 v[157:158], v[42:43], v[24:25]
	v_mul_f64_e32 v[24:25], v[44:45], v[24:25]
	v_add_f64_e32 v[153:154], v[153:154], v[161:162]
	v_add_f64_e32 v[155:156], v[155:156], v[159:160]
	v_fma_f64 v[159:160], v[4:5], v[18:19], v[163:164]
	v_fma_f64 v[161:162], v[2:3], v[18:19], -v[20:21]
	ds_load_b128 v[2:5], v1 offset:1344
	scratch_load_b128 v[18:21], off, off offset:736
	v_fma_f64 v[44:45], v[44:45], v[22:23], v[157:158]
	v_fma_f64 v[42:43], v[42:43], v[22:23], -v[24:25]
	scratch_load_b128 v[22:25], off, off offset:752
	v_add_f64_e32 v[153:154], v[153:154], v[149:150]
	v_add_f64_e32 v[155:156], v[155:156], v[151:152]
	ds_load_b128 v[149:152], v1 offset:1360
	s_wait_loadcnt_dscnt 0x901
	v_mul_f64_e32 v[163:164], v[2:3], v[28:29]
	v_mul_f64_e32 v[28:29], v[4:5], v[28:29]
	s_wait_loadcnt_dscnt 0x800
	v_mul_f64_e32 v[157:158], v[149:150], v[32:33]
	v_mul_f64_e32 v[32:33], v[151:152], v[32:33]
	v_add_f64_e32 v[153:154], v[153:154], v[161:162]
	v_add_f64_e32 v[155:156], v[155:156], v[159:160]
	v_fma_f64 v[159:160], v[4:5], v[26:27], v[163:164]
	v_fma_f64 v[161:162], v[2:3], v[26:27], -v[28:29]
	ds_load_b128 v[2:5], v1 offset:1376
	ds_load_b128 v[26:29], v1 offset:1392
	v_fma_f64 v[151:152], v[151:152], v[30:31], v[157:158]
	v_fma_f64 v[30:31], v[149:150], v[30:31], -v[32:33]
	v_add_f64_e32 v[42:43], v[153:154], v[42:43]
	v_add_f64_e32 v[44:45], v[155:156], v[44:45]
	s_wait_loadcnt_dscnt 0x701
	v_mul_f64_e32 v[153:154], v[2:3], v[36:37]
	v_mul_f64_e32 v[36:37], v[4:5], v[36:37]
	s_delay_alu instid0(VALU_DEP_4) | instskip(NEXT) | instid1(VALU_DEP_4)
	v_add_f64_e32 v[32:33], v[42:43], v[161:162]
	v_add_f64_e32 v[42:43], v[44:45], v[159:160]
	s_delay_alu instid0(VALU_DEP_4) | instskip(NEXT) | instid1(VALU_DEP_4)
	v_fma_f64 v[149:150], v[4:5], v[34:35], v[153:154]
	v_fma_f64 v[34:35], v[2:3], v[34:35], -v[36:37]
	s_wait_loadcnt_dscnt 0x600
	v_mul_f64_e32 v[44:45], v[26:27], v[40:41]
	v_mul_f64_e32 v[40:41], v[28:29], v[40:41]
	v_add_f64_e32 v[36:37], v[32:33], v[30:31]
	v_add_f64_e32 v[42:43], v[42:43], v[151:152]
	ds_load_b128 v[2:5], v1 offset:1408
	ds_load_b128 v[30:33], v1 offset:1424
	v_fma_f64 v[28:29], v[28:29], v[38:39], v[44:45]
	v_fma_f64 v[26:27], v[26:27], v[38:39], -v[40:41]
	s_wait_loadcnt_dscnt 0x401
	v_mul_f64_e32 v[151:152], v[2:3], v[147:148]
	v_mul_f64_e32 v[147:148], v[4:5], v[147:148]
	s_wait_dscnt 0x0
	v_mul_f64_e32 v[38:39], v[30:31], v[8:9]
	v_mul_f64_e32 v[8:9], v[32:33], v[8:9]
	v_add_f64_e32 v[34:35], v[36:37], v[34:35]
	v_add_f64_e32 v[36:37], v[42:43], v[149:150]
	v_fma_f64 v[40:41], v[4:5], v[145:146], v[151:152]
	v_fma_f64 v[42:43], v[2:3], v[145:146], -v[147:148]
	v_fma_f64 v[32:33], v[32:33], v[6:7], v[38:39]
	v_fma_f64 v[6:7], v[30:31], v[6:7], -v[8:9]
	v_add_f64_e32 v[34:35], v[34:35], v[26:27]
	v_add_f64_e32 v[36:37], v[36:37], v[28:29]
	ds_load_b128 v[2:5], v1 offset:1440
	ds_load_b128 v[26:29], v1 offset:1456
	s_wait_loadcnt_dscnt 0x301
	v_mul_f64_e32 v[44:45], v[2:3], v[12:13]
	v_mul_f64_e32 v[12:13], v[4:5], v[12:13]
	v_add_f64_e32 v[8:9], v[34:35], v[42:43]
	v_add_f64_e32 v[30:31], v[36:37], v[40:41]
	s_wait_loadcnt_dscnt 0x200
	v_mul_f64_e32 v[34:35], v[26:27], v[16:17]
	v_mul_f64_e32 v[16:17], v[28:29], v[16:17]
	v_fma_f64 v[36:37], v[4:5], v[10:11], v[44:45]
	v_fma_f64 v[10:11], v[2:3], v[10:11], -v[12:13]
	v_add_f64_e32 v[12:13], v[8:9], v[6:7]
	v_add_f64_e32 v[30:31], v[30:31], v[32:33]
	ds_load_b128 v[2:5], v1 offset:1472
	ds_load_b128 v[6:9], v1 offset:1488
	v_fma_f64 v[28:29], v[28:29], v[14:15], v[34:35]
	v_fma_f64 v[14:15], v[26:27], v[14:15], -v[16:17]
	s_wait_loadcnt_dscnt 0x101
	v_mul_f64_e32 v[32:33], v[2:3], v[20:21]
	v_mul_f64_e32 v[20:21], v[4:5], v[20:21]
	s_wait_loadcnt_dscnt 0x0
	v_mul_f64_e32 v[16:17], v[6:7], v[24:25]
	v_mul_f64_e32 v[24:25], v[8:9], v[24:25]
	v_add_f64_e32 v[10:11], v[12:13], v[10:11]
	v_add_f64_e32 v[12:13], v[30:31], v[36:37]
	v_fma_f64 v[4:5], v[4:5], v[18:19], v[32:33]
	v_fma_f64 v[1:2], v[2:3], v[18:19], -v[20:21]
	v_fma_f64 v[8:9], v[8:9], v[22:23], v[16:17]
	v_fma_f64 v[6:7], v[6:7], v[22:23], -v[24:25]
	v_add_f64_e32 v[10:11], v[10:11], v[14:15]
	v_add_f64_e32 v[12:13], v[12:13], v[28:29]
	s_delay_alu instid0(VALU_DEP_2) | instskip(NEXT) | instid1(VALU_DEP_2)
	v_add_f64_e32 v[1:2], v[10:11], v[1:2]
	v_add_f64_e32 v[3:4], v[12:13], v[4:5]
	s_delay_alu instid0(VALU_DEP_2) | instskip(NEXT) | instid1(VALU_DEP_2)
	;; [unrolled: 3-line block ×3, first 2 shown]
	v_add_f64_e64 v[1:2], v[141:142], -v[1:2]
	v_add_f64_e64 v[3:4], v[143:144], -v[3:4]
	scratch_store_b128 off, v[1:4], off offset:176
	v_cmpx_lt_u32_e32 9, v0
	s_cbranch_execz .LBB46_277
; %bb.276:
	scratch_load_b128 v[1:4], off, s51
	v_mov_b32_e32 v5, 0
	s_delay_alu instid0(VALU_DEP_1)
	v_dual_mov_b32 v6, v5 :: v_dual_mov_b32 v7, v5
	v_mov_b32_e32 v8, v5
	scratch_store_b128 off, v[5:8], off offset:160
	s_wait_loadcnt 0x0
	ds_store_b128 v140, v[1:4]
.LBB46_277:
	s_wait_alu 0xfffe
	s_or_b32 exec_lo, exec_lo, s0
	s_wait_storecnt_dscnt 0x0
	s_barrier_signal -1
	s_barrier_wait -1
	global_inv scope:SCOPE_SE
	s_clause 0x7
	scratch_load_b128 v[2:5], off, off offset:176
	scratch_load_b128 v[6:9], off, off offset:192
	;; [unrolled: 1-line block ×8, first 2 shown]
	v_mov_b32_e32 v1, 0
	s_mov_b32 s0, exec_lo
	ds_load_b128 v[38:41], v1 offset:912
	s_clause 0x1
	scratch_load_b128 v[34:37], off, off offset:304
	scratch_load_b128 v[42:45], off, off offset:160
	ds_load_b128 v[141:144], v1 offset:928
	scratch_load_b128 v[145:148], off, off offset:320
	s_wait_loadcnt_dscnt 0xa01
	v_mul_f64_e32 v[149:150], v[40:41], v[4:5]
	v_mul_f64_e32 v[4:5], v[38:39], v[4:5]
	s_delay_alu instid0(VALU_DEP_2) | instskip(NEXT) | instid1(VALU_DEP_2)
	v_fma_f64 v[155:156], v[38:39], v[2:3], -v[149:150]
	v_fma_f64 v[157:158], v[40:41], v[2:3], v[4:5]
	ds_load_b128 v[2:5], v1 offset:944
	s_wait_loadcnt_dscnt 0x901
	v_mul_f64_e32 v[153:154], v[141:142], v[8:9]
	v_mul_f64_e32 v[8:9], v[143:144], v[8:9]
	scratch_load_b128 v[38:41], off, off offset:336
	ds_load_b128 v[149:152], v1 offset:960
	s_wait_loadcnt_dscnt 0x901
	v_mul_f64_e32 v[159:160], v[2:3], v[12:13]
	v_mul_f64_e32 v[12:13], v[4:5], v[12:13]
	v_fma_f64 v[143:144], v[143:144], v[6:7], v[153:154]
	v_fma_f64 v[141:142], v[141:142], v[6:7], -v[8:9]
	v_add_f64_e32 v[153:154], 0, v[155:156]
	v_add_f64_e32 v[155:156], 0, v[157:158]
	scratch_load_b128 v[6:9], off, off offset:352
	v_fma_f64 v[159:160], v[4:5], v[10:11], v[159:160]
	v_fma_f64 v[161:162], v[2:3], v[10:11], -v[12:13]
	ds_load_b128 v[2:5], v1 offset:976
	s_wait_loadcnt_dscnt 0x901
	v_mul_f64_e32 v[157:158], v[149:150], v[16:17]
	v_mul_f64_e32 v[16:17], v[151:152], v[16:17]
	scratch_load_b128 v[10:13], off, off offset:368
	v_add_f64_e32 v[153:154], v[153:154], v[141:142]
	v_add_f64_e32 v[155:156], v[155:156], v[143:144]
	s_wait_loadcnt_dscnt 0x900
	v_mul_f64_e32 v[163:164], v[2:3], v[20:21]
	v_mul_f64_e32 v[20:21], v[4:5], v[20:21]
	ds_load_b128 v[141:144], v1 offset:992
	v_fma_f64 v[151:152], v[151:152], v[14:15], v[157:158]
	v_fma_f64 v[149:150], v[149:150], v[14:15], -v[16:17]
	scratch_load_b128 v[14:17], off, off offset:384
	v_add_f64_e32 v[153:154], v[153:154], v[161:162]
	v_add_f64_e32 v[155:156], v[155:156], v[159:160]
	v_fma_f64 v[159:160], v[4:5], v[18:19], v[163:164]
	v_fma_f64 v[161:162], v[2:3], v[18:19], -v[20:21]
	ds_load_b128 v[2:5], v1 offset:1008
	s_wait_loadcnt_dscnt 0x901
	v_mul_f64_e32 v[157:158], v[141:142], v[24:25]
	v_mul_f64_e32 v[24:25], v[143:144], v[24:25]
	scratch_load_b128 v[18:21], off, off offset:400
	s_wait_loadcnt_dscnt 0x900
	v_mul_f64_e32 v[163:164], v[2:3], v[28:29]
	v_mul_f64_e32 v[28:29], v[4:5], v[28:29]
	v_add_f64_e32 v[153:154], v[153:154], v[149:150]
	v_add_f64_e32 v[155:156], v[155:156], v[151:152]
	ds_load_b128 v[149:152], v1 offset:1024
	v_fma_f64 v[143:144], v[143:144], v[22:23], v[157:158]
	v_fma_f64 v[141:142], v[141:142], v[22:23], -v[24:25]
	scratch_load_b128 v[22:25], off, off offset:416
	v_add_f64_e32 v[153:154], v[153:154], v[161:162]
	v_add_f64_e32 v[155:156], v[155:156], v[159:160]
	v_fma_f64 v[159:160], v[4:5], v[26:27], v[163:164]
	v_fma_f64 v[161:162], v[2:3], v[26:27], -v[28:29]
	ds_load_b128 v[2:5], v1 offset:1040
	s_wait_loadcnt_dscnt 0x901
	v_mul_f64_e32 v[157:158], v[149:150], v[32:33]
	v_mul_f64_e32 v[32:33], v[151:152], v[32:33]
	scratch_load_b128 v[26:29], off, off offset:432
	s_wait_loadcnt_dscnt 0x900
	v_mul_f64_e32 v[163:164], v[2:3], v[36:37]
	v_mul_f64_e32 v[36:37], v[4:5], v[36:37]
	v_add_f64_e32 v[153:154], v[153:154], v[141:142]
	v_add_f64_e32 v[155:156], v[155:156], v[143:144]
	ds_load_b128 v[141:144], v1 offset:1056
	v_fma_f64 v[151:152], v[151:152], v[30:31], v[157:158]
	v_fma_f64 v[149:150], v[149:150], v[30:31], -v[32:33]
	scratch_load_b128 v[30:33], off, off offset:448
	v_add_f64_e32 v[153:154], v[153:154], v[161:162]
	v_add_f64_e32 v[155:156], v[155:156], v[159:160]
	v_fma_f64 v[161:162], v[4:5], v[34:35], v[163:164]
	v_fma_f64 v[163:164], v[2:3], v[34:35], -v[36:37]
	ds_load_b128 v[2:5], v1 offset:1072
	s_wait_loadcnt_dscnt 0x801
	v_mul_f64_e32 v[157:158], v[141:142], v[147:148]
	v_mul_f64_e32 v[159:160], v[143:144], v[147:148]
	scratch_load_b128 v[34:37], off, off offset:464
	v_add_f64_e32 v[153:154], v[153:154], v[149:150]
	v_add_f64_e32 v[151:152], v[155:156], v[151:152]
	ds_load_b128 v[147:150], v1 offset:1088
	v_fma_f64 v[157:158], v[143:144], v[145:146], v[157:158]
	v_fma_f64 v[145:146], v[141:142], v[145:146], -v[159:160]
	scratch_load_b128 v[141:144], off, off offset:480
	s_wait_loadcnt_dscnt 0x901
	v_mul_f64_e32 v[155:156], v[2:3], v[40:41]
	v_mul_f64_e32 v[40:41], v[4:5], v[40:41]
	v_add_f64_e32 v[153:154], v[153:154], v[163:164]
	v_add_f64_e32 v[151:152], v[151:152], v[161:162]
	s_delay_alu instid0(VALU_DEP_4) | instskip(NEXT) | instid1(VALU_DEP_4)
	v_fma_f64 v[155:156], v[4:5], v[38:39], v[155:156]
	v_fma_f64 v[161:162], v[2:3], v[38:39], -v[40:41]
	ds_load_b128 v[2:5], v1 offset:1104
	s_wait_loadcnt_dscnt 0x801
	v_mul_f64_e32 v[159:160], v[147:148], v[8:9]
	v_mul_f64_e32 v[8:9], v[149:150], v[8:9]
	scratch_load_b128 v[38:41], off, off offset:496
	s_wait_loadcnt_dscnt 0x800
	v_mul_f64_e32 v[163:164], v[2:3], v[12:13]
	v_add_f64_e32 v[145:146], v[153:154], v[145:146]
	v_add_f64_e32 v[157:158], v[151:152], v[157:158]
	v_mul_f64_e32 v[12:13], v[4:5], v[12:13]
	ds_load_b128 v[151:154], v1 offset:1120
	v_fma_f64 v[149:150], v[149:150], v[6:7], v[159:160]
	v_fma_f64 v[147:148], v[147:148], v[6:7], -v[8:9]
	scratch_load_b128 v[6:9], off, off offset:512
	v_fma_f64 v[159:160], v[4:5], v[10:11], v[163:164]
	v_add_f64_e32 v[145:146], v[145:146], v[161:162]
	v_add_f64_e32 v[155:156], v[157:158], v[155:156]
	v_fma_f64 v[161:162], v[2:3], v[10:11], -v[12:13]
	ds_load_b128 v[2:5], v1 offset:1136
	s_wait_loadcnt_dscnt 0x801
	v_mul_f64_e32 v[157:158], v[151:152], v[16:17]
	v_mul_f64_e32 v[16:17], v[153:154], v[16:17]
	scratch_load_b128 v[10:13], off, off offset:528
	v_add_f64_e32 v[163:164], v[145:146], v[147:148]
	v_add_f64_e32 v[149:150], v[155:156], v[149:150]
	s_wait_loadcnt_dscnt 0x800
	v_mul_f64_e32 v[155:156], v[2:3], v[20:21]
	v_mul_f64_e32 v[20:21], v[4:5], v[20:21]
	v_fma_f64 v[153:154], v[153:154], v[14:15], v[157:158]
	v_fma_f64 v[151:152], v[151:152], v[14:15], -v[16:17]
	ds_load_b128 v[145:148], v1 offset:1152
	scratch_load_b128 v[14:17], off, off offset:544
	v_add_f64_e32 v[157:158], v[163:164], v[161:162]
	v_add_f64_e32 v[149:150], v[149:150], v[159:160]
	v_fma_f64 v[155:156], v[4:5], v[18:19], v[155:156]
	v_fma_f64 v[161:162], v[2:3], v[18:19], -v[20:21]
	ds_load_b128 v[2:5], v1 offset:1168
	s_wait_loadcnt_dscnt 0x801
	v_mul_f64_e32 v[159:160], v[145:146], v[24:25]
	v_mul_f64_e32 v[24:25], v[147:148], v[24:25]
	scratch_load_b128 v[18:21], off, off offset:560
	s_wait_loadcnt_dscnt 0x800
	v_mul_f64_e32 v[163:164], v[2:3], v[28:29]
	v_mul_f64_e32 v[28:29], v[4:5], v[28:29]
	v_add_f64_e32 v[157:158], v[157:158], v[151:152]
	v_add_f64_e32 v[153:154], v[149:150], v[153:154]
	ds_load_b128 v[149:152], v1 offset:1184
	v_fma_f64 v[147:148], v[147:148], v[22:23], v[159:160]
	v_fma_f64 v[145:146], v[145:146], v[22:23], -v[24:25]
	scratch_load_b128 v[22:25], off, off offset:576
	v_fma_f64 v[159:160], v[4:5], v[26:27], v[163:164]
	v_add_f64_e32 v[157:158], v[157:158], v[161:162]
	v_add_f64_e32 v[153:154], v[153:154], v[155:156]
	v_fma_f64 v[161:162], v[2:3], v[26:27], -v[28:29]
	ds_load_b128 v[2:5], v1 offset:1200
	s_wait_loadcnt_dscnt 0x801
	v_mul_f64_e32 v[155:156], v[149:150], v[32:33]
	v_mul_f64_e32 v[32:33], v[151:152], v[32:33]
	scratch_load_b128 v[26:29], off, off offset:592
	s_wait_loadcnt_dscnt 0x800
	v_mul_f64_e32 v[163:164], v[2:3], v[36:37]
	v_mul_f64_e32 v[36:37], v[4:5], v[36:37]
	v_add_f64_e32 v[157:158], v[157:158], v[145:146]
	v_add_f64_e32 v[153:154], v[153:154], v[147:148]
	ds_load_b128 v[145:148], v1 offset:1216
	v_fma_f64 v[151:152], v[151:152], v[30:31], v[155:156]
	v_fma_f64 v[149:150], v[149:150], v[30:31], -v[32:33]
	scratch_load_b128 v[30:33], off, off offset:608
	v_add_f64_e32 v[155:156], v[157:158], v[161:162]
	v_add_f64_e32 v[153:154], v[153:154], v[159:160]
	v_fma_f64 v[159:160], v[4:5], v[34:35], v[163:164]
	v_fma_f64 v[161:162], v[2:3], v[34:35], -v[36:37]
	ds_load_b128 v[2:5], v1 offset:1232
	s_wait_loadcnt_dscnt 0x801
	v_mul_f64_e32 v[157:158], v[145:146], v[143:144]
	v_mul_f64_e32 v[143:144], v[147:148], v[143:144]
	scratch_load_b128 v[34:37], off, off offset:624
	s_wait_loadcnt_dscnt 0x800
	v_mul_f64_e32 v[163:164], v[2:3], v[40:41]
	v_mul_f64_e32 v[40:41], v[4:5], v[40:41]
	v_add_f64_e32 v[155:156], v[155:156], v[149:150]
	v_add_f64_e32 v[153:154], v[153:154], v[151:152]
	ds_load_b128 v[149:152], v1 offset:1248
	v_fma_f64 v[147:148], v[147:148], v[141:142], v[157:158]
	v_fma_f64 v[145:146], v[145:146], v[141:142], -v[143:144]
	scratch_load_b128 v[141:144], off, off offset:640
	v_add_f64_e32 v[155:156], v[155:156], v[161:162]
	v_add_f64_e32 v[153:154], v[153:154], v[159:160]
	v_fma_f64 v[159:160], v[4:5], v[38:39], v[163:164]
	;; [unrolled: 18-line block ×5, first 2 shown]
	v_fma_f64 v[161:162], v[2:3], v[26:27], -v[28:29]
	ds_load_b128 v[2:5], v1 offset:1360
	s_wait_loadcnt_dscnt 0x801
	v_mul_f64_e32 v[157:158], v[145:146], v[32:33]
	v_mul_f64_e32 v[32:33], v[147:148], v[32:33]
	scratch_load_b128 v[26:29], off, off offset:752
	s_wait_loadcnt_dscnt 0x800
	v_mul_f64_e32 v[163:164], v[2:3], v[36:37]
	v_mul_f64_e32 v[36:37], v[4:5], v[36:37]
	v_add_f64_e32 v[155:156], v[155:156], v[149:150]
	v_add_f64_e32 v[153:154], v[153:154], v[151:152]
	ds_load_b128 v[149:152], v1 offset:1376
	v_fma_f64 v[147:148], v[147:148], v[30:31], v[157:158]
	v_fma_f64 v[30:31], v[145:146], v[30:31], -v[32:33]
	v_add_f64_e32 v[32:33], v[155:156], v[161:162]
	v_add_f64_e32 v[145:146], v[153:154], v[159:160]
	s_wait_loadcnt_dscnt 0x700
	v_mul_f64_e32 v[153:154], v[149:150], v[143:144]
	v_mul_f64_e32 v[143:144], v[151:152], v[143:144]
	v_fma_f64 v[155:156], v[4:5], v[34:35], v[163:164]
	v_fma_f64 v[34:35], v[2:3], v[34:35], -v[36:37]
	v_add_f64_e32 v[36:37], v[32:33], v[30:31]
	v_add_f64_e32 v[145:146], v[145:146], v[147:148]
	ds_load_b128 v[2:5], v1 offset:1392
	ds_load_b128 v[30:33], v1 offset:1408
	v_fma_f64 v[151:152], v[151:152], v[141:142], v[153:154]
	v_fma_f64 v[141:142], v[149:150], v[141:142], -v[143:144]
	s_wait_loadcnt_dscnt 0x601
	v_mul_f64_e32 v[147:148], v[2:3], v[40:41]
	v_mul_f64_e32 v[40:41], v[4:5], v[40:41]
	s_wait_loadcnt_dscnt 0x500
	v_mul_f64_e32 v[143:144], v[30:31], v[8:9]
	v_mul_f64_e32 v[8:9], v[32:33], v[8:9]
	v_add_f64_e32 v[34:35], v[36:37], v[34:35]
	v_add_f64_e32 v[36:37], v[145:146], v[155:156]
	v_fma_f64 v[145:146], v[4:5], v[38:39], v[147:148]
	v_fma_f64 v[38:39], v[2:3], v[38:39], -v[40:41]
	v_fma_f64 v[32:33], v[32:33], v[6:7], v[143:144]
	v_fma_f64 v[6:7], v[30:31], v[6:7], -v[8:9]
	v_add_f64_e32 v[40:41], v[34:35], v[141:142]
	v_add_f64_e32 v[141:142], v[36:37], v[151:152]
	ds_load_b128 v[2:5], v1 offset:1424
	ds_load_b128 v[34:37], v1 offset:1440
	s_wait_loadcnt_dscnt 0x401
	v_mul_f64_e32 v[147:148], v[2:3], v[12:13]
	v_mul_f64_e32 v[12:13], v[4:5], v[12:13]
	v_add_f64_e32 v[8:9], v[40:41], v[38:39]
	v_add_f64_e32 v[30:31], v[141:142], v[145:146]
	s_wait_loadcnt_dscnt 0x300
	v_mul_f64_e32 v[38:39], v[34:35], v[16:17]
	v_mul_f64_e32 v[16:17], v[36:37], v[16:17]
	v_fma_f64 v[40:41], v[4:5], v[10:11], v[147:148]
	v_fma_f64 v[10:11], v[2:3], v[10:11], -v[12:13]
	v_add_f64_e32 v[12:13], v[8:9], v[6:7]
	v_add_f64_e32 v[30:31], v[30:31], v[32:33]
	ds_load_b128 v[2:5], v1 offset:1456
	ds_load_b128 v[6:9], v1 offset:1472
	v_fma_f64 v[36:37], v[36:37], v[14:15], v[38:39]
	v_fma_f64 v[14:15], v[34:35], v[14:15], -v[16:17]
	s_wait_loadcnt_dscnt 0x201
	v_mul_f64_e32 v[32:33], v[2:3], v[20:21]
	v_mul_f64_e32 v[20:21], v[4:5], v[20:21]
	s_wait_loadcnt_dscnt 0x100
	v_mul_f64_e32 v[16:17], v[6:7], v[24:25]
	v_mul_f64_e32 v[24:25], v[8:9], v[24:25]
	v_add_f64_e32 v[10:11], v[12:13], v[10:11]
	v_add_f64_e32 v[12:13], v[30:31], v[40:41]
	v_fma_f64 v[30:31], v[4:5], v[18:19], v[32:33]
	v_fma_f64 v[18:19], v[2:3], v[18:19], -v[20:21]
	ds_load_b128 v[2:5], v1 offset:1488
	v_fma_f64 v[8:9], v[8:9], v[22:23], v[16:17]
	v_fma_f64 v[6:7], v[6:7], v[22:23], -v[24:25]
	v_add_f64_e32 v[10:11], v[10:11], v[14:15]
	v_add_f64_e32 v[12:13], v[12:13], v[36:37]
	s_wait_loadcnt_dscnt 0x0
	v_mul_f64_e32 v[14:15], v[2:3], v[28:29]
	v_mul_f64_e32 v[20:21], v[4:5], v[28:29]
	s_delay_alu instid0(VALU_DEP_4) | instskip(NEXT) | instid1(VALU_DEP_4)
	v_add_f64_e32 v[10:11], v[10:11], v[18:19]
	v_add_f64_e32 v[12:13], v[12:13], v[30:31]
	s_delay_alu instid0(VALU_DEP_4) | instskip(NEXT) | instid1(VALU_DEP_4)
	v_fma_f64 v[4:5], v[4:5], v[26:27], v[14:15]
	v_fma_f64 v[2:3], v[2:3], v[26:27], -v[20:21]
	s_delay_alu instid0(VALU_DEP_4) | instskip(NEXT) | instid1(VALU_DEP_4)
	v_add_f64_e32 v[6:7], v[10:11], v[6:7]
	v_add_f64_e32 v[8:9], v[12:13], v[8:9]
	s_delay_alu instid0(VALU_DEP_2) | instskip(NEXT) | instid1(VALU_DEP_2)
	v_add_f64_e32 v[2:3], v[6:7], v[2:3]
	v_add_f64_e32 v[4:5], v[8:9], v[4:5]
	s_delay_alu instid0(VALU_DEP_2) | instskip(NEXT) | instid1(VALU_DEP_2)
	v_add_f64_e64 v[2:3], v[42:43], -v[2:3]
	v_add_f64_e64 v[4:5], v[44:45], -v[4:5]
	scratch_store_b128 off, v[2:5], off offset:160
	v_cmpx_lt_u32_e32 8, v0
	s_cbranch_execz .LBB46_279
; %bb.278:
	scratch_load_b128 v[5:8], off, s52
	v_dual_mov_b32 v2, v1 :: v_dual_mov_b32 v3, v1
	v_mov_b32_e32 v4, v1
	scratch_store_b128 off, v[1:4], off offset:144
	s_wait_loadcnt 0x0
	ds_store_b128 v140, v[5:8]
.LBB46_279:
	s_wait_alu 0xfffe
	s_or_b32 exec_lo, exec_lo, s0
	s_wait_storecnt_dscnt 0x0
	s_barrier_signal -1
	s_barrier_wait -1
	global_inv scope:SCOPE_SE
	s_clause 0x8
	scratch_load_b128 v[2:5], off, off offset:160
	scratch_load_b128 v[6:9], off, off offset:176
	;; [unrolled: 1-line block ×9, first 2 shown]
	ds_load_b128 v[42:45], v1 offset:896
	ds_load_b128 v[38:41], v1 offset:912
	s_clause 0x1
	scratch_load_b128 v[141:144], off, off offset:144
	scratch_load_b128 v[145:148], off, off offset:304
	s_mov_b32 s0, exec_lo
	s_wait_loadcnt_dscnt 0xa01
	v_mul_f64_e32 v[149:150], v[44:45], v[4:5]
	v_mul_f64_e32 v[4:5], v[42:43], v[4:5]
	s_wait_loadcnt_dscnt 0x900
	v_mul_f64_e32 v[153:154], v[38:39], v[8:9]
	v_mul_f64_e32 v[8:9], v[40:41], v[8:9]
	s_delay_alu instid0(VALU_DEP_4) | instskip(NEXT) | instid1(VALU_DEP_4)
	v_fma_f64 v[155:156], v[42:43], v[2:3], -v[149:150]
	v_fma_f64 v[157:158], v[44:45], v[2:3], v[4:5]
	ds_load_b128 v[2:5], v1 offset:928
	ds_load_b128 v[149:152], v1 offset:944
	scratch_load_b128 v[42:45], off, off offset:320
	v_fma_f64 v[40:41], v[40:41], v[6:7], v[153:154]
	v_fma_f64 v[38:39], v[38:39], v[6:7], -v[8:9]
	scratch_load_b128 v[6:9], off, off offset:336
	s_wait_loadcnt_dscnt 0xa01
	v_mul_f64_e32 v[159:160], v[2:3], v[12:13]
	v_mul_f64_e32 v[12:13], v[4:5], v[12:13]
	v_add_f64_e32 v[153:154], 0, v[155:156]
	v_add_f64_e32 v[155:156], 0, v[157:158]
	s_wait_loadcnt_dscnt 0x900
	v_mul_f64_e32 v[157:158], v[149:150], v[16:17]
	v_mul_f64_e32 v[16:17], v[151:152], v[16:17]
	v_fma_f64 v[159:160], v[4:5], v[10:11], v[159:160]
	v_fma_f64 v[161:162], v[2:3], v[10:11], -v[12:13]
	ds_load_b128 v[2:5], v1 offset:960
	scratch_load_b128 v[10:13], off, off offset:352
	v_add_f64_e32 v[153:154], v[153:154], v[38:39]
	v_add_f64_e32 v[155:156], v[155:156], v[40:41]
	ds_load_b128 v[38:41], v1 offset:976
	v_fma_f64 v[151:152], v[151:152], v[14:15], v[157:158]
	v_fma_f64 v[149:150], v[149:150], v[14:15], -v[16:17]
	scratch_load_b128 v[14:17], off, off offset:368
	s_wait_loadcnt_dscnt 0xa01
	v_mul_f64_e32 v[163:164], v[2:3], v[20:21]
	v_mul_f64_e32 v[20:21], v[4:5], v[20:21]
	s_wait_loadcnt_dscnt 0x900
	v_mul_f64_e32 v[157:158], v[38:39], v[24:25]
	v_mul_f64_e32 v[24:25], v[40:41], v[24:25]
	v_add_f64_e32 v[153:154], v[153:154], v[161:162]
	v_add_f64_e32 v[155:156], v[155:156], v[159:160]
	v_fma_f64 v[159:160], v[4:5], v[18:19], v[163:164]
	v_fma_f64 v[161:162], v[2:3], v[18:19], -v[20:21]
	ds_load_b128 v[2:5], v1 offset:992
	scratch_load_b128 v[18:21], off, off offset:384
	v_fma_f64 v[40:41], v[40:41], v[22:23], v[157:158]
	v_fma_f64 v[38:39], v[38:39], v[22:23], -v[24:25]
	scratch_load_b128 v[22:25], off, off offset:400
	v_add_f64_e32 v[153:154], v[153:154], v[149:150]
	v_add_f64_e32 v[155:156], v[155:156], v[151:152]
	ds_load_b128 v[149:152], v1 offset:1008
	s_wait_loadcnt_dscnt 0xa01
	v_mul_f64_e32 v[163:164], v[2:3], v[28:29]
	v_mul_f64_e32 v[28:29], v[4:5], v[28:29]
	s_wait_loadcnt_dscnt 0x900
	v_mul_f64_e32 v[157:158], v[149:150], v[32:33]
	v_mul_f64_e32 v[32:33], v[151:152], v[32:33]
	v_add_f64_e32 v[153:154], v[153:154], v[161:162]
	v_add_f64_e32 v[155:156], v[155:156], v[159:160]
	v_fma_f64 v[159:160], v[4:5], v[26:27], v[163:164]
	v_fma_f64 v[161:162], v[2:3], v[26:27], -v[28:29]
	ds_load_b128 v[2:5], v1 offset:1024
	scratch_load_b128 v[26:29], off, off offset:416
	v_fma_f64 v[151:152], v[151:152], v[30:31], v[157:158]
	v_fma_f64 v[149:150], v[149:150], v[30:31], -v[32:33]
	scratch_load_b128 v[30:33], off, off offset:432
	v_add_f64_e32 v[153:154], v[153:154], v[38:39]
	v_add_f64_e32 v[155:156], v[155:156], v[40:41]
	ds_load_b128 v[38:41], v1 offset:1040
	s_wait_loadcnt_dscnt 0xa01
	v_mul_f64_e32 v[163:164], v[2:3], v[36:37]
	v_mul_f64_e32 v[36:37], v[4:5], v[36:37]
	s_wait_loadcnt_dscnt 0x800
	v_mul_f64_e32 v[157:158], v[38:39], v[147:148]
	v_add_f64_e32 v[153:154], v[153:154], v[161:162]
	v_add_f64_e32 v[155:156], v[155:156], v[159:160]
	v_mul_f64_e32 v[159:160], v[40:41], v[147:148]
	v_fma_f64 v[161:162], v[4:5], v[34:35], v[163:164]
	v_fma_f64 v[163:164], v[2:3], v[34:35], -v[36:37]
	ds_load_b128 v[2:5], v1 offset:1056
	scratch_load_b128 v[34:37], off, off offset:448
	v_fma_f64 v[157:158], v[40:41], v[145:146], v[157:158]
	v_add_f64_e32 v[153:154], v[153:154], v[149:150]
	v_add_f64_e32 v[151:152], v[155:156], v[151:152]
	ds_load_b128 v[147:150], v1 offset:1072
	v_fma_f64 v[145:146], v[38:39], v[145:146], -v[159:160]
	scratch_load_b128 v[38:41], off, off offset:464
	s_wait_loadcnt_dscnt 0x901
	v_mul_f64_e32 v[155:156], v[2:3], v[44:45]
	v_mul_f64_e32 v[44:45], v[4:5], v[44:45]
	s_wait_loadcnt_dscnt 0x800
	v_mul_f64_e32 v[159:160], v[147:148], v[8:9]
	v_mul_f64_e32 v[8:9], v[149:150], v[8:9]
	v_add_f64_e32 v[153:154], v[153:154], v[163:164]
	v_add_f64_e32 v[151:152], v[151:152], v[161:162]
	v_fma_f64 v[155:156], v[4:5], v[42:43], v[155:156]
	v_fma_f64 v[161:162], v[2:3], v[42:43], -v[44:45]
	ds_load_b128 v[2:5], v1 offset:1088
	scratch_load_b128 v[42:45], off, off offset:480
	v_fma_f64 v[149:150], v[149:150], v[6:7], v[159:160]
	v_fma_f64 v[147:148], v[147:148], v[6:7], -v[8:9]
	scratch_load_b128 v[6:9], off, off offset:496
	v_add_f64_e32 v[145:146], v[153:154], v[145:146]
	v_add_f64_e32 v[157:158], v[151:152], v[157:158]
	ds_load_b128 v[151:154], v1 offset:1104
	s_wait_loadcnt_dscnt 0x901
	v_mul_f64_e32 v[163:164], v[2:3], v[12:13]
	v_mul_f64_e32 v[12:13], v[4:5], v[12:13]
	v_add_f64_e32 v[145:146], v[145:146], v[161:162]
	v_add_f64_e32 v[155:156], v[157:158], v[155:156]
	s_wait_loadcnt_dscnt 0x800
	v_mul_f64_e32 v[157:158], v[151:152], v[16:17]
	v_mul_f64_e32 v[16:17], v[153:154], v[16:17]
	v_fma_f64 v[159:160], v[4:5], v[10:11], v[163:164]
	v_fma_f64 v[161:162], v[2:3], v[10:11], -v[12:13]
	ds_load_b128 v[2:5], v1 offset:1120
	scratch_load_b128 v[10:13], off, off offset:512
	v_add_f64_e32 v[163:164], v[145:146], v[147:148]
	v_add_f64_e32 v[149:150], v[155:156], v[149:150]
	ds_load_b128 v[145:148], v1 offset:1136
	s_wait_loadcnt_dscnt 0x801
	v_mul_f64_e32 v[155:156], v[2:3], v[20:21]
	v_mul_f64_e32 v[20:21], v[4:5], v[20:21]
	v_fma_f64 v[153:154], v[153:154], v[14:15], v[157:158]
	v_fma_f64 v[151:152], v[151:152], v[14:15], -v[16:17]
	scratch_load_b128 v[14:17], off, off offset:528
	v_add_f64_e32 v[157:158], v[163:164], v[161:162]
	v_add_f64_e32 v[149:150], v[149:150], v[159:160]
	s_wait_loadcnt_dscnt 0x800
	v_mul_f64_e32 v[159:160], v[145:146], v[24:25]
	v_mul_f64_e32 v[24:25], v[147:148], v[24:25]
	v_fma_f64 v[155:156], v[4:5], v[18:19], v[155:156]
	v_fma_f64 v[161:162], v[2:3], v[18:19], -v[20:21]
	ds_load_b128 v[2:5], v1 offset:1152
	scratch_load_b128 v[18:21], off, off offset:544
	v_add_f64_e32 v[157:158], v[157:158], v[151:152]
	v_add_f64_e32 v[153:154], v[149:150], v[153:154]
	ds_load_b128 v[149:152], v1 offset:1168
	s_wait_loadcnt_dscnt 0x801
	v_mul_f64_e32 v[163:164], v[2:3], v[28:29]
	v_mul_f64_e32 v[28:29], v[4:5], v[28:29]
	v_fma_f64 v[147:148], v[147:148], v[22:23], v[159:160]
	v_fma_f64 v[145:146], v[145:146], v[22:23], -v[24:25]
	scratch_load_b128 v[22:25], off, off offset:560
	;; [unrolled: 18-line block ×4, first 2 shown]
	s_wait_loadcnt_dscnt 0x800
	v_mul_f64_e32 v[157:158], v[149:150], v[8:9]
	v_mul_f64_e32 v[8:9], v[151:152], v[8:9]
	v_add_f64_e32 v[155:156], v[155:156], v[161:162]
	v_add_f64_e32 v[153:154], v[153:154], v[159:160]
	v_fma_f64 v[159:160], v[4:5], v[42:43], v[163:164]
	v_fma_f64 v[161:162], v[2:3], v[42:43], -v[44:45]
	ds_load_b128 v[2:5], v1 offset:1248
	scratch_load_b128 v[42:45], off, off offset:640
	v_fma_f64 v[151:152], v[151:152], v[6:7], v[157:158]
	v_fma_f64 v[149:150], v[149:150], v[6:7], -v[8:9]
	scratch_load_b128 v[6:9], off, off offset:656
	v_add_f64_e32 v[155:156], v[155:156], v[145:146]
	v_add_f64_e32 v[153:154], v[153:154], v[147:148]
	ds_load_b128 v[145:148], v1 offset:1264
	s_wait_loadcnt_dscnt 0x901
	v_mul_f64_e32 v[163:164], v[2:3], v[12:13]
	v_mul_f64_e32 v[12:13], v[4:5], v[12:13]
	s_wait_loadcnt_dscnt 0x800
	v_mul_f64_e32 v[157:158], v[145:146], v[16:17]
	v_mul_f64_e32 v[16:17], v[147:148], v[16:17]
	v_add_f64_e32 v[155:156], v[155:156], v[161:162]
	v_add_f64_e32 v[153:154], v[153:154], v[159:160]
	v_fma_f64 v[159:160], v[4:5], v[10:11], v[163:164]
	v_fma_f64 v[161:162], v[2:3], v[10:11], -v[12:13]
	ds_load_b128 v[2:5], v1 offset:1280
	scratch_load_b128 v[10:13], off, off offset:672
	v_fma_f64 v[147:148], v[147:148], v[14:15], v[157:158]
	v_fma_f64 v[145:146], v[145:146], v[14:15], -v[16:17]
	scratch_load_b128 v[14:17], off, off offset:688
	v_add_f64_e32 v[155:156], v[155:156], v[149:150]
	v_add_f64_e32 v[153:154], v[153:154], v[151:152]
	ds_load_b128 v[149:152], v1 offset:1296
	s_wait_loadcnt_dscnt 0x901
	v_mul_f64_e32 v[163:164], v[2:3], v[20:21]
	v_mul_f64_e32 v[20:21], v[4:5], v[20:21]
	s_wait_loadcnt_dscnt 0x800
	v_mul_f64_e32 v[157:158], v[149:150], v[24:25]
	v_mul_f64_e32 v[24:25], v[151:152], v[24:25]
	v_add_f64_e32 v[155:156], v[155:156], v[161:162]
	v_add_f64_e32 v[153:154], v[153:154], v[159:160]
	v_fma_f64 v[159:160], v[4:5], v[18:19], v[163:164]
	v_fma_f64 v[161:162], v[2:3], v[18:19], -v[20:21]
	ds_load_b128 v[2:5], v1 offset:1312
	scratch_load_b128 v[18:21], off, off offset:704
	v_fma_f64 v[151:152], v[151:152], v[22:23], v[157:158]
	v_fma_f64 v[149:150], v[149:150], v[22:23], -v[24:25]
	scratch_load_b128 v[22:25], off, off offset:720
	v_add_f64_e32 v[155:156], v[155:156], v[145:146]
	v_add_f64_e32 v[153:154], v[153:154], v[147:148]
	ds_load_b128 v[145:148], v1 offset:1328
	s_wait_loadcnt_dscnt 0x901
	v_mul_f64_e32 v[163:164], v[2:3], v[28:29]
	v_mul_f64_e32 v[28:29], v[4:5], v[28:29]
	s_wait_loadcnt_dscnt 0x800
	v_mul_f64_e32 v[157:158], v[145:146], v[32:33]
	v_mul_f64_e32 v[32:33], v[147:148], v[32:33]
	v_add_f64_e32 v[155:156], v[155:156], v[161:162]
	v_add_f64_e32 v[153:154], v[153:154], v[159:160]
	v_fma_f64 v[159:160], v[4:5], v[26:27], v[163:164]
	v_fma_f64 v[161:162], v[2:3], v[26:27], -v[28:29]
	ds_load_b128 v[2:5], v1 offset:1344
	scratch_load_b128 v[26:29], off, off offset:736
	v_fma_f64 v[147:148], v[147:148], v[30:31], v[157:158]
	v_fma_f64 v[145:146], v[145:146], v[30:31], -v[32:33]
	scratch_load_b128 v[30:33], off, off offset:752
	v_add_f64_e32 v[155:156], v[155:156], v[149:150]
	v_add_f64_e32 v[153:154], v[153:154], v[151:152]
	ds_load_b128 v[149:152], v1 offset:1360
	s_wait_loadcnt_dscnt 0x901
	v_mul_f64_e32 v[163:164], v[2:3], v[36:37]
	v_mul_f64_e32 v[36:37], v[4:5], v[36:37]
	s_wait_loadcnt_dscnt 0x800
	v_mul_f64_e32 v[157:158], v[149:150], v[40:41]
	v_mul_f64_e32 v[40:41], v[151:152], v[40:41]
	v_add_f64_e32 v[155:156], v[155:156], v[161:162]
	v_add_f64_e32 v[153:154], v[153:154], v[159:160]
	v_fma_f64 v[159:160], v[4:5], v[34:35], v[163:164]
	v_fma_f64 v[161:162], v[2:3], v[34:35], -v[36:37]
	ds_load_b128 v[2:5], v1 offset:1376
	ds_load_b128 v[34:37], v1 offset:1392
	v_fma_f64 v[151:152], v[151:152], v[38:39], v[157:158]
	v_fma_f64 v[38:39], v[149:150], v[38:39], -v[40:41]
	v_add_f64_e32 v[145:146], v[155:156], v[145:146]
	v_add_f64_e32 v[147:148], v[153:154], v[147:148]
	s_wait_loadcnt_dscnt 0x701
	v_mul_f64_e32 v[153:154], v[2:3], v[44:45]
	v_mul_f64_e32 v[44:45], v[4:5], v[44:45]
	s_delay_alu instid0(VALU_DEP_4) | instskip(NEXT) | instid1(VALU_DEP_4)
	v_add_f64_e32 v[40:41], v[145:146], v[161:162]
	v_add_f64_e32 v[145:146], v[147:148], v[159:160]
	s_wait_loadcnt_dscnt 0x600
	v_mul_f64_e32 v[147:148], v[34:35], v[8:9]
	v_mul_f64_e32 v[8:9], v[36:37], v[8:9]
	v_fma_f64 v[149:150], v[4:5], v[42:43], v[153:154]
	v_fma_f64 v[42:43], v[2:3], v[42:43], -v[44:45]
	v_add_f64_e32 v[44:45], v[40:41], v[38:39]
	v_add_f64_e32 v[145:146], v[145:146], v[151:152]
	ds_load_b128 v[2:5], v1 offset:1408
	ds_load_b128 v[38:41], v1 offset:1424
	v_fma_f64 v[36:37], v[36:37], v[6:7], v[147:148]
	v_fma_f64 v[6:7], v[34:35], v[6:7], -v[8:9]
	s_wait_loadcnt_dscnt 0x501
	v_mul_f64_e32 v[151:152], v[2:3], v[12:13]
	v_mul_f64_e32 v[12:13], v[4:5], v[12:13]
	v_add_f64_e32 v[8:9], v[44:45], v[42:43]
	v_add_f64_e32 v[34:35], v[145:146], v[149:150]
	s_wait_loadcnt_dscnt 0x400
	v_mul_f64_e32 v[42:43], v[38:39], v[16:17]
	v_mul_f64_e32 v[16:17], v[40:41], v[16:17]
	v_fma_f64 v[44:45], v[4:5], v[10:11], v[151:152]
	v_fma_f64 v[10:11], v[2:3], v[10:11], -v[12:13]
	v_add_f64_e32 v[12:13], v[8:9], v[6:7]
	v_add_f64_e32 v[34:35], v[34:35], v[36:37]
	ds_load_b128 v[2:5], v1 offset:1440
	ds_load_b128 v[6:9], v1 offset:1456
	v_fma_f64 v[40:41], v[40:41], v[14:15], v[42:43]
	v_fma_f64 v[14:15], v[38:39], v[14:15], -v[16:17]
	s_wait_loadcnt_dscnt 0x301
	v_mul_f64_e32 v[36:37], v[2:3], v[20:21]
	v_mul_f64_e32 v[20:21], v[4:5], v[20:21]
	s_wait_loadcnt_dscnt 0x200
	v_mul_f64_e32 v[16:17], v[6:7], v[24:25]
	v_mul_f64_e32 v[24:25], v[8:9], v[24:25]
	v_add_f64_e32 v[10:11], v[12:13], v[10:11]
	v_add_f64_e32 v[12:13], v[34:35], v[44:45]
	v_fma_f64 v[34:35], v[4:5], v[18:19], v[36:37]
	v_fma_f64 v[18:19], v[2:3], v[18:19], -v[20:21]
	v_fma_f64 v[8:9], v[8:9], v[22:23], v[16:17]
	v_fma_f64 v[6:7], v[6:7], v[22:23], -v[24:25]
	v_add_f64_e32 v[14:15], v[10:11], v[14:15]
	v_add_f64_e32 v[20:21], v[12:13], v[40:41]
	ds_load_b128 v[2:5], v1 offset:1472
	ds_load_b128 v[10:13], v1 offset:1488
	s_wait_loadcnt_dscnt 0x101
	v_mul_f64_e32 v[36:37], v[2:3], v[28:29]
	v_mul_f64_e32 v[28:29], v[4:5], v[28:29]
	v_add_f64_e32 v[14:15], v[14:15], v[18:19]
	v_add_f64_e32 v[16:17], v[20:21], v[34:35]
	s_wait_loadcnt_dscnt 0x0
	v_mul_f64_e32 v[18:19], v[10:11], v[32:33]
	v_mul_f64_e32 v[20:21], v[12:13], v[32:33]
	v_fma_f64 v[4:5], v[4:5], v[26:27], v[36:37]
	v_fma_f64 v[1:2], v[2:3], v[26:27], -v[28:29]
	v_add_f64_e32 v[6:7], v[14:15], v[6:7]
	v_add_f64_e32 v[8:9], v[16:17], v[8:9]
	v_fma_f64 v[12:13], v[12:13], v[30:31], v[18:19]
	v_fma_f64 v[10:11], v[10:11], v[30:31], -v[20:21]
	s_delay_alu instid0(VALU_DEP_4) | instskip(NEXT) | instid1(VALU_DEP_4)
	v_add_f64_e32 v[1:2], v[6:7], v[1:2]
	v_add_f64_e32 v[3:4], v[8:9], v[4:5]
	s_delay_alu instid0(VALU_DEP_2) | instskip(NEXT) | instid1(VALU_DEP_2)
	v_add_f64_e32 v[1:2], v[1:2], v[10:11]
	v_add_f64_e32 v[3:4], v[3:4], v[12:13]
	s_delay_alu instid0(VALU_DEP_2) | instskip(NEXT) | instid1(VALU_DEP_2)
	v_add_f64_e64 v[1:2], v[141:142], -v[1:2]
	v_add_f64_e64 v[3:4], v[143:144], -v[3:4]
	scratch_store_b128 off, v[1:4], off offset:144
	v_cmpx_lt_u32_e32 7, v0
	s_cbranch_execz .LBB46_281
; %bb.280:
	scratch_load_b128 v[1:4], off, s53
	v_mov_b32_e32 v5, 0
	s_delay_alu instid0(VALU_DEP_1)
	v_dual_mov_b32 v6, v5 :: v_dual_mov_b32 v7, v5
	v_mov_b32_e32 v8, v5
	scratch_store_b128 off, v[5:8], off offset:128
	s_wait_loadcnt 0x0
	ds_store_b128 v140, v[1:4]
.LBB46_281:
	s_wait_alu 0xfffe
	s_or_b32 exec_lo, exec_lo, s0
	s_wait_storecnt_dscnt 0x0
	s_barrier_signal -1
	s_barrier_wait -1
	global_inv scope:SCOPE_SE
	s_clause 0x7
	scratch_load_b128 v[2:5], off, off offset:144
	scratch_load_b128 v[6:9], off, off offset:160
	;; [unrolled: 1-line block ×8, first 2 shown]
	v_mov_b32_e32 v1, 0
	s_mov_b32 s0, exec_lo
	ds_load_b128 v[38:41], v1 offset:880
	s_clause 0x1
	scratch_load_b128 v[34:37], off, off offset:272
	scratch_load_b128 v[42:45], off, off offset:128
	ds_load_b128 v[141:144], v1 offset:896
	scratch_load_b128 v[145:148], off, off offset:288
	s_wait_loadcnt_dscnt 0xa01
	v_mul_f64_e32 v[149:150], v[40:41], v[4:5]
	v_mul_f64_e32 v[4:5], v[38:39], v[4:5]
	s_delay_alu instid0(VALU_DEP_2) | instskip(NEXT) | instid1(VALU_DEP_2)
	v_fma_f64 v[155:156], v[38:39], v[2:3], -v[149:150]
	v_fma_f64 v[157:158], v[40:41], v[2:3], v[4:5]
	ds_load_b128 v[2:5], v1 offset:912
	s_wait_loadcnt_dscnt 0x901
	v_mul_f64_e32 v[153:154], v[141:142], v[8:9]
	v_mul_f64_e32 v[8:9], v[143:144], v[8:9]
	scratch_load_b128 v[38:41], off, off offset:304
	ds_load_b128 v[149:152], v1 offset:928
	s_wait_loadcnt_dscnt 0x901
	v_mul_f64_e32 v[159:160], v[2:3], v[12:13]
	v_mul_f64_e32 v[12:13], v[4:5], v[12:13]
	v_fma_f64 v[143:144], v[143:144], v[6:7], v[153:154]
	v_fma_f64 v[141:142], v[141:142], v[6:7], -v[8:9]
	v_add_f64_e32 v[153:154], 0, v[155:156]
	v_add_f64_e32 v[155:156], 0, v[157:158]
	scratch_load_b128 v[6:9], off, off offset:320
	v_fma_f64 v[159:160], v[4:5], v[10:11], v[159:160]
	v_fma_f64 v[161:162], v[2:3], v[10:11], -v[12:13]
	ds_load_b128 v[2:5], v1 offset:944
	s_wait_loadcnt_dscnt 0x901
	v_mul_f64_e32 v[157:158], v[149:150], v[16:17]
	v_mul_f64_e32 v[16:17], v[151:152], v[16:17]
	scratch_load_b128 v[10:13], off, off offset:336
	v_add_f64_e32 v[153:154], v[153:154], v[141:142]
	v_add_f64_e32 v[155:156], v[155:156], v[143:144]
	s_wait_loadcnt_dscnt 0x900
	v_mul_f64_e32 v[163:164], v[2:3], v[20:21]
	v_mul_f64_e32 v[20:21], v[4:5], v[20:21]
	ds_load_b128 v[141:144], v1 offset:960
	v_fma_f64 v[151:152], v[151:152], v[14:15], v[157:158]
	v_fma_f64 v[149:150], v[149:150], v[14:15], -v[16:17]
	scratch_load_b128 v[14:17], off, off offset:352
	v_add_f64_e32 v[153:154], v[153:154], v[161:162]
	v_add_f64_e32 v[155:156], v[155:156], v[159:160]
	v_fma_f64 v[159:160], v[4:5], v[18:19], v[163:164]
	v_fma_f64 v[161:162], v[2:3], v[18:19], -v[20:21]
	ds_load_b128 v[2:5], v1 offset:976
	s_wait_loadcnt_dscnt 0x901
	v_mul_f64_e32 v[157:158], v[141:142], v[24:25]
	v_mul_f64_e32 v[24:25], v[143:144], v[24:25]
	scratch_load_b128 v[18:21], off, off offset:368
	s_wait_loadcnt_dscnt 0x900
	v_mul_f64_e32 v[163:164], v[2:3], v[28:29]
	v_mul_f64_e32 v[28:29], v[4:5], v[28:29]
	v_add_f64_e32 v[153:154], v[153:154], v[149:150]
	v_add_f64_e32 v[155:156], v[155:156], v[151:152]
	ds_load_b128 v[149:152], v1 offset:992
	v_fma_f64 v[143:144], v[143:144], v[22:23], v[157:158]
	v_fma_f64 v[141:142], v[141:142], v[22:23], -v[24:25]
	scratch_load_b128 v[22:25], off, off offset:384
	v_add_f64_e32 v[153:154], v[153:154], v[161:162]
	v_add_f64_e32 v[155:156], v[155:156], v[159:160]
	v_fma_f64 v[159:160], v[4:5], v[26:27], v[163:164]
	v_fma_f64 v[161:162], v[2:3], v[26:27], -v[28:29]
	ds_load_b128 v[2:5], v1 offset:1008
	s_wait_loadcnt_dscnt 0x901
	v_mul_f64_e32 v[157:158], v[149:150], v[32:33]
	v_mul_f64_e32 v[32:33], v[151:152], v[32:33]
	scratch_load_b128 v[26:29], off, off offset:400
	s_wait_loadcnt_dscnt 0x900
	v_mul_f64_e32 v[163:164], v[2:3], v[36:37]
	v_mul_f64_e32 v[36:37], v[4:5], v[36:37]
	v_add_f64_e32 v[153:154], v[153:154], v[141:142]
	v_add_f64_e32 v[155:156], v[155:156], v[143:144]
	ds_load_b128 v[141:144], v1 offset:1024
	v_fma_f64 v[151:152], v[151:152], v[30:31], v[157:158]
	v_fma_f64 v[149:150], v[149:150], v[30:31], -v[32:33]
	scratch_load_b128 v[30:33], off, off offset:416
	v_add_f64_e32 v[153:154], v[153:154], v[161:162]
	v_add_f64_e32 v[155:156], v[155:156], v[159:160]
	v_fma_f64 v[161:162], v[4:5], v[34:35], v[163:164]
	v_fma_f64 v[163:164], v[2:3], v[34:35], -v[36:37]
	ds_load_b128 v[2:5], v1 offset:1040
	s_wait_loadcnt_dscnt 0x801
	v_mul_f64_e32 v[157:158], v[141:142], v[147:148]
	v_mul_f64_e32 v[159:160], v[143:144], v[147:148]
	scratch_load_b128 v[34:37], off, off offset:432
	v_add_f64_e32 v[153:154], v[153:154], v[149:150]
	v_add_f64_e32 v[151:152], v[155:156], v[151:152]
	ds_load_b128 v[147:150], v1 offset:1056
	v_fma_f64 v[157:158], v[143:144], v[145:146], v[157:158]
	v_fma_f64 v[145:146], v[141:142], v[145:146], -v[159:160]
	scratch_load_b128 v[141:144], off, off offset:448
	s_wait_loadcnt_dscnt 0x901
	v_mul_f64_e32 v[155:156], v[2:3], v[40:41]
	v_mul_f64_e32 v[40:41], v[4:5], v[40:41]
	v_add_f64_e32 v[153:154], v[153:154], v[163:164]
	v_add_f64_e32 v[151:152], v[151:152], v[161:162]
	s_delay_alu instid0(VALU_DEP_4) | instskip(NEXT) | instid1(VALU_DEP_4)
	v_fma_f64 v[155:156], v[4:5], v[38:39], v[155:156]
	v_fma_f64 v[161:162], v[2:3], v[38:39], -v[40:41]
	ds_load_b128 v[2:5], v1 offset:1072
	s_wait_loadcnt_dscnt 0x801
	v_mul_f64_e32 v[159:160], v[147:148], v[8:9]
	v_mul_f64_e32 v[8:9], v[149:150], v[8:9]
	scratch_load_b128 v[38:41], off, off offset:464
	s_wait_loadcnt_dscnt 0x800
	v_mul_f64_e32 v[163:164], v[2:3], v[12:13]
	v_add_f64_e32 v[145:146], v[153:154], v[145:146]
	v_add_f64_e32 v[157:158], v[151:152], v[157:158]
	v_mul_f64_e32 v[12:13], v[4:5], v[12:13]
	ds_load_b128 v[151:154], v1 offset:1088
	v_fma_f64 v[149:150], v[149:150], v[6:7], v[159:160]
	v_fma_f64 v[147:148], v[147:148], v[6:7], -v[8:9]
	scratch_load_b128 v[6:9], off, off offset:480
	v_fma_f64 v[159:160], v[4:5], v[10:11], v[163:164]
	v_add_f64_e32 v[145:146], v[145:146], v[161:162]
	v_add_f64_e32 v[155:156], v[157:158], v[155:156]
	v_fma_f64 v[161:162], v[2:3], v[10:11], -v[12:13]
	ds_load_b128 v[2:5], v1 offset:1104
	s_wait_loadcnt_dscnt 0x801
	v_mul_f64_e32 v[157:158], v[151:152], v[16:17]
	v_mul_f64_e32 v[16:17], v[153:154], v[16:17]
	scratch_load_b128 v[10:13], off, off offset:496
	v_add_f64_e32 v[163:164], v[145:146], v[147:148]
	v_add_f64_e32 v[149:150], v[155:156], v[149:150]
	s_wait_loadcnt_dscnt 0x800
	v_mul_f64_e32 v[155:156], v[2:3], v[20:21]
	v_mul_f64_e32 v[20:21], v[4:5], v[20:21]
	v_fma_f64 v[153:154], v[153:154], v[14:15], v[157:158]
	v_fma_f64 v[151:152], v[151:152], v[14:15], -v[16:17]
	ds_load_b128 v[145:148], v1 offset:1120
	scratch_load_b128 v[14:17], off, off offset:512
	v_add_f64_e32 v[157:158], v[163:164], v[161:162]
	v_add_f64_e32 v[149:150], v[149:150], v[159:160]
	v_fma_f64 v[155:156], v[4:5], v[18:19], v[155:156]
	v_fma_f64 v[161:162], v[2:3], v[18:19], -v[20:21]
	ds_load_b128 v[2:5], v1 offset:1136
	s_wait_loadcnt_dscnt 0x801
	v_mul_f64_e32 v[159:160], v[145:146], v[24:25]
	v_mul_f64_e32 v[24:25], v[147:148], v[24:25]
	scratch_load_b128 v[18:21], off, off offset:528
	s_wait_loadcnt_dscnt 0x800
	v_mul_f64_e32 v[163:164], v[2:3], v[28:29]
	v_mul_f64_e32 v[28:29], v[4:5], v[28:29]
	v_add_f64_e32 v[157:158], v[157:158], v[151:152]
	v_add_f64_e32 v[153:154], v[149:150], v[153:154]
	ds_load_b128 v[149:152], v1 offset:1152
	v_fma_f64 v[147:148], v[147:148], v[22:23], v[159:160]
	v_fma_f64 v[145:146], v[145:146], v[22:23], -v[24:25]
	scratch_load_b128 v[22:25], off, off offset:544
	v_fma_f64 v[159:160], v[4:5], v[26:27], v[163:164]
	v_add_f64_e32 v[157:158], v[157:158], v[161:162]
	v_add_f64_e32 v[153:154], v[153:154], v[155:156]
	v_fma_f64 v[161:162], v[2:3], v[26:27], -v[28:29]
	ds_load_b128 v[2:5], v1 offset:1168
	s_wait_loadcnt_dscnt 0x801
	v_mul_f64_e32 v[155:156], v[149:150], v[32:33]
	v_mul_f64_e32 v[32:33], v[151:152], v[32:33]
	scratch_load_b128 v[26:29], off, off offset:560
	s_wait_loadcnt_dscnt 0x800
	v_mul_f64_e32 v[163:164], v[2:3], v[36:37]
	v_mul_f64_e32 v[36:37], v[4:5], v[36:37]
	v_add_f64_e32 v[157:158], v[157:158], v[145:146]
	v_add_f64_e32 v[153:154], v[153:154], v[147:148]
	ds_load_b128 v[145:148], v1 offset:1184
	v_fma_f64 v[151:152], v[151:152], v[30:31], v[155:156]
	v_fma_f64 v[149:150], v[149:150], v[30:31], -v[32:33]
	scratch_load_b128 v[30:33], off, off offset:576
	v_add_f64_e32 v[155:156], v[157:158], v[161:162]
	v_add_f64_e32 v[153:154], v[153:154], v[159:160]
	v_fma_f64 v[159:160], v[4:5], v[34:35], v[163:164]
	v_fma_f64 v[161:162], v[2:3], v[34:35], -v[36:37]
	ds_load_b128 v[2:5], v1 offset:1200
	s_wait_loadcnt_dscnt 0x801
	v_mul_f64_e32 v[157:158], v[145:146], v[143:144]
	v_mul_f64_e32 v[143:144], v[147:148], v[143:144]
	scratch_load_b128 v[34:37], off, off offset:592
	s_wait_loadcnt_dscnt 0x800
	v_mul_f64_e32 v[163:164], v[2:3], v[40:41]
	v_mul_f64_e32 v[40:41], v[4:5], v[40:41]
	v_add_f64_e32 v[155:156], v[155:156], v[149:150]
	v_add_f64_e32 v[153:154], v[153:154], v[151:152]
	ds_load_b128 v[149:152], v1 offset:1216
	v_fma_f64 v[147:148], v[147:148], v[141:142], v[157:158]
	v_fma_f64 v[145:146], v[145:146], v[141:142], -v[143:144]
	scratch_load_b128 v[141:144], off, off offset:608
	v_add_f64_e32 v[155:156], v[155:156], v[161:162]
	v_add_f64_e32 v[153:154], v[153:154], v[159:160]
	v_fma_f64 v[159:160], v[4:5], v[38:39], v[163:164]
	;; [unrolled: 18-line block ×6, first 2 shown]
	v_fma_f64 v[163:164], v[2:3], v[34:35], -v[36:37]
	ds_load_b128 v[2:5], v1 offset:1360
	s_wait_loadcnt_dscnt 0x801
	v_mul_f64_e32 v[157:158], v[149:150], v[143:144]
	v_mul_f64_e32 v[159:160], v[151:152], v[143:144]
	scratch_load_b128 v[34:37], off, off offset:752
	v_add_f64_e32 v[155:156], v[155:156], v[145:146]
	v_add_f64_e32 v[147:148], v[153:154], v[147:148]
	s_wait_loadcnt_dscnt 0x800
	v_mul_f64_e32 v[153:154], v[2:3], v[40:41]
	v_mul_f64_e32 v[40:41], v[4:5], v[40:41]
	ds_load_b128 v[143:146], v1 offset:1376
	v_fma_f64 v[151:152], v[151:152], v[141:142], v[157:158]
	v_fma_f64 v[141:142], v[149:150], v[141:142], -v[159:160]
	v_add_f64_e32 v[149:150], v[155:156], v[163:164]
	v_add_f64_e32 v[147:148], v[147:148], v[161:162]
	s_wait_loadcnt_dscnt 0x700
	v_mul_f64_e32 v[155:156], v[143:144], v[8:9]
	v_mul_f64_e32 v[8:9], v[145:146], v[8:9]
	v_fma_f64 v[153:154], v[4:5], v[38:39], v[153:154]
	v_fma_f64 v[157:158], v[2:3], v[38:39], -v[40:41]
	ds_load_b128 v[2:5], v1 offset:1392
	ds_load_b128 v[38:41], v1 offset:1408
	v_add_f64_e32 v[141:142], v[149:150], v[141:142]
	v_add_f64_e32 v[147:148], v[147:148], v[151:152]
	s_wait_loadcnt_dscnt 0x601
	v_mul_f64_e32 v[149:150], v[2:3], v[12:13]
	v_mul_f64_e32 v[12:13], v[4:5], v[12:13]
	v_fma_f64 v[145:146], v[145:146], v[6:7], v[155:156]
	v_fma_f64 v[6:7], v[143:144], v[6:7], -v[8:9]
	s_wait_loadcnt_dscnt 0x500
	v_mul_f64_e32 v[143:144], v[38:39], v[16:17]
	v_mul_f64_e32 v[16:17], v[40:41], v[16:17]
	v_add_f64_e32 v[8:9], v[141:142], v[157:158]
	v_add_f64_e32 v[141:142], v[147:148], v[153:154]
	v_fma_f64 v[147:148], v[4:5], v[10:11], v[149:150]
	v_fma_f64 v[10:11], v[2:3], v[10:11], -v[12:13]
	v_fma_f64 v[40:41], v[40:41], v[14:15], v[143:144]
	v_fma_f64 v[14:15], v[38:39], v[14:15], -v[16:17]
	v_add_f64_e32 v[12:13], v[8:9], v[6:7]
	v_add_f64_e32 v[141:142], v[141:142], v[145:146]
	ds_load_b128 v[2:5], v1 offset:1424
	ds_load_b128 v[6:9], v1 offset:1440
	s_wait_loadcnt_dscnt 0x401
	v_mul_f64_e32 v[145:146], v[2:3], v[20:21]
	v_mul_f64_e32 v[20:21], v[4:5], v[20:21]
	s_wait_loadcnt_dscnt 0x300
	v_mul_f64_e32 v[16:17], v[6:7], v[24:25]
	v_mul_f64_e32 v[24:25], v[8:9], v[24:25]
	v_add_f64_e32 v[10:11], v[12:13], v[10:11]
	v_add_f64_e32 v[12:13], v[141:142], v[147:148]
	v_fma_f64 v[38:39], v[4:5], v[18:19], v[145:146]
	v_fma_f64 v[18:19], v[2:3], v[18:19], -v[20:21]
	v_fma_f64 v[8:9], v[8:9], v[22:23], v[16:17]
	v_fma_f64 v[6:7], v[6:7], v[22:23], -v[24:25]
	v_add_f64_e32 v[14:15], v[10:11], v[14:15]
	v_add_f64_e32 v[20:21], v[12:13], v[40:41]
	ds_load_b128 v[2:5], v1 offset:1456
	ds_load_b128 v[10:13], v1 offset:1472
	s_wait_loadcnt_dscnt 0x201
	v_mul_f64_e32 v[40:41], v[2:3], v[28:29]
	v_mul_f64_e32 v[28:29], v[4:5], v[28:29]
	v_add_f64_e32 v[14:15], v[14:15], v[18:19]
	v_add_f64_e32 v[16:17], v[20:21], v[38:39]
	s_wait_loadcnt_dscnt 0x100
	v_mul_f64_e32 v[18:19], v[10:11], v[32:33]
	v_mul_f64_e32 v[20:21], v[12:13], v[32:33]
	v_fma_f64 v[22:23], v[4:5], v[26:27], v[40:41]
	v_fma_f64 v[24:25], v[2:3], v[26:27], -v[28:29]
	ds_load_b128 v[2:5], v1 offset:1488
	v_add_f64_e32 v[6:7], v[14:15], v[6:7]
	v_add_f64_e32 v[8:9], v[16:17], v[8:9]
	v_fma_f64 v[12:13], v[12:13], v[30:31], v[18:19]
	v_fma_f64 v[10:11], v[10:11], v[30:31], -v[20:21]
	s_wait_loadcnt_dscnt 0x0
	v_mul_f64_e32 v[14:15], v[2:3], v[36:37]
	v_mul_f64_e32 v[16:17], v[4:5], v[36:37]
	v_add_f64_e32 v[6:7], v[6:7], v[24:25]
	v_add_f64_e32 v[8:9], v[8:9], v[22:23]
	s_delay_alu instid0(VALU_DEP_4) | instskip(NEXT) | instid1(VALU_DEP_4)
	v_fma_f64 v[4:5], v[4:5], v[34:35], v[14:15]
	v_fma_f64 v[2:3], v[2:3], v[34:35], -v[16:17]
	s_delay_alu instid0(VALU_DEP_4) | instskip(NEXT) | instid1(VALU_DEP_4)
	v_add_f64_e32 v[6:7], v[6:7], v[10:11]
	v_add_f64_e32 v[8:9], v[8:9], v[12:13]
	s_delay_alu instid0(VALU_DEP_2) | instskip(NEXT) | instid1(VALU_DEP_2)
	v_add_f64_e32 v[2:3], v[6:7], v[2:3]
	v_add_f64_e32 v[4:5], v[8:9], v[4:5]
	s_delay_alu instid0(VALU_DEP_2) | instskip(NEXT) | instid1(VALU_DEP_2)
	v_add_f64_e64 v[2:3], v[42:43], -v[2:3]
	v_add_f64_e64 v[4:5], v[44:45], -v[4:5]
	scratch_store_b128 off, v[2:5], off offset:128
	v_cmpx_lt_u32_e32 6, v0
	s_cbranch_execz .LBB46_283
; %bb.282:
	scratch_load_b128 v[5:8], off, s54
	v_dual_mov_b32 v2, v1 :: v_dual_mov_b32 v3, v1
	v_mov_b32_e32 v4, v1
	scratch_store_b128 off, v[1:4], off offset:112
	s_wait_loadcnt 0x0
	ds_store_b128 v140, v[5:8]
.LBB46_283:
	s_wait_alu 0xfffe
	s_or_b32 exec_lo, exec_lo, s0
	s_wait_storecnt_dscnt 0x0
	s_barrier_signal -1
	s_barrier_wait -1
	global_inv scope:SCOPE_SE
	s_clause 0x8
	scratch_load_b128 v[2:5], off, off offset:128
	scratch_load_b128 v[6:9], off, off offset:144
	;; [unrolled: 1-line block ×9, first 2 shown]
	ds_load_b128 v[42:45], v1 offset:864
	ds_load_b128 v[38:41], v1 offset:880
	s_clause 0x1
	scratch_load_b128 v[141:144], off, off offset:112
	scratch_load_b128 v[145:148], off, off offset:272
	s_mov_b32 s0, exec_lo
	s_wait_loadcnt_dscnt 0xa01
	v_mul_f64_e32 v[149:150], v[44:45], v[4:5]
	v_mul_f64_e32 v[4:5], v[42:43], v[4:5]
	s_wait_loadcnt_dscnt 0x900
	v_mul_f64_e32 v[153:154], v[38:39], v[8:9]
	v_mul_f64_e32 v[8:9], v[40:41], v[8:9]
	s_delay_alu instid0(VALU_DEP_4) | instskip(NEXT) | instid1(VALU_DEP_4)
	v_fma_f64 v[155:156], v[42:43], v[2:3], -v[149:150]
	v_fma_f64 v[157:158], v[44:45], v[2:3], v[4:5]
	ds_load_b128 v[2:5], v1 offset:896
	ds_load_b128 v[149:152], v1 offset:912
	scratch_load_b128 v[42:45], off, off offset:288
	v_fma_f64 v[40:41], v[40:41], v[6:7], v[153:154]
	v_fma_f64 v[38:39], v[38:39], v[6:7], -v[8:9]
	scratch_load_b128 v[6:9], off, off offset:304
	s_wait_loadcnt_dscnt 0xa01
	v_mul_f64_e32 v[159:160], v[2:3], v[12:13]
	v_mul_f64_e32 v[12:13], v[4:5], v[12:13]
	v_add_f64_e32 v[153:154], 0, v[155:156]
	v_add_f64_e32 v[155:156], 0, v[157:158]
	s_wait_loadcnt_dscnt 0x900
	v_mul_f64_e32 v[157:158], v[149:150], v[16:17]
	v_mul_f64_e32 v[16:17], v[151:152], v[16:17]
	v_fma_f64 v[159:160], v[4:5], v[10:11], v[159:160]
	v_fma_f64 v[161:162], v[2:3], v[10:11], -v[12:13]
	ds_load_b128 v[2:5], v1 offset:928
	scratch_load_b128 v[10:13], off, off offset:320
	v_add_f64_e32 v[153:154], v[153:154], v[38:39]
	v_add_f64_e32 v[155:156], v[155:156], v[40:41]
	ds_load_b128 v[38:41], v1 offset:944
	v_fma_f64 v[151:152], v[151:152], v[14:15], v[157:158]
	v_fma_f64 v[149:150], v[149:150], v[14:15], -v[16:17]
	scratch_load_b128 v[14:17], off, off offset:336
	s_wait_loadcnt_dscnt 0xa01
	v_mul_f64_e32 v[163:164], v[2:3], v[20:21]
	v_mul_f64_e32 v[20:21], v[4:5], v[20:21]
	s_wait_loadcnt_dscnt 0x900
	v_mul_f64_e32 v[157:158], v[38:39], v[24:25]
	v_mul_f64_e32 v[24:25], v[40:41], v[24:25]
	v_add_f64_e32 v[153:154], v[153:154], v[161:162]
	v_add_f64_e32 v[155:156], v[155:156], v[159:160]
	v_fma_f64 v[159:160], v[4:5], v[18:19], v[163:164]
	v_fma_f64 v[161:162], v[2:3], v[18:19], -v[20:21]
	ds_load_b128 v[2:5], v1 offset:960
	scratch_load_b128 v[18:21], off, off offset:352
	v_fma_f64 v[40:41], v[40:41], v[22:23], v[157:158]
	v_fma_f64 v[38:39], v[38:39], v[22:23], -v[24:25]
	scratch_load_b128 v[22:25], off, off offset:368
	v_add_f64_e32 v[153:154], v[153:154], v[149:150]
	v_add_f64_e32 v[155:156], v[155:156], v[151:152]
	ds_load_b128 v[149:152], v1 offset:976
	s_wait_loadcnt_dscnt 0xa01
	v_mul_f64_e32 v[163:164], v[2:3], v[28:29]
	v_mul_f64_e32 v[28:29], v[4:5], v[28:29]
	s_wait_loadcnt_dscnt 0x900
	v_mul_f64_e32 v[157:158], v[149:150], v[32:33]
	v_mul_f64_e32 v[32:33], v[151:152], v[32:33]
	v_add_f64_e32 v[153:154], v[153:154], v[161:162]
	v_add_f64_e32 v[155:156], v[155:156], v[159:160]
	v_fma_f64 v[159:160], v[4:5], v[26:27], v[163:164]
	v_fma_f64 v[161:162], v[2:3], v[26:27], -v[28:29]
	ds_load_b128 v[2:5], v1 offset:992
	scratch_load_b128 v[26:29], off, off offset:384
	v_fma_f64 v[151:152], v[151:152], v[30:31], v[157:158]
	v_fma_f64 v[149:150], v[149:150], v[30:31], -v[32:33]
	scratch_load_b128 v[30:33], off, off offset:400
	v_add_f64_e32 v[153:154], v[153:154], v[38:39]
	v_add_f64_e32 v[155:156], v[155:156], v[40:41]
	ds_load_b128 v[38:41], v1 offset:1008
	s_wait_loadcnt_dscnt 0xa01
	v_mul_f64_e32 v[163:164], v[2:3], v[36:37]
	v_mul_f64_e32 v[36:37], v[4:5], v[36:37]
	s_wait_loadcnt_dscnt 0x800
	v_mul_f64_e32 v[157:158], v[38:39], v[147:148]
	v_add_f64_e32 v[153:154], v[153:154], v[161:162]
	v_add_f64_e32 v[155:156], v[155:156], v[159:160]
	v_mul_f64_e32 v[159:160], v[40:41], v[147:148]
	v_fma_f64 v[161:162], v[4:5], v[34:35], v[163:164]
	v_fma_f64 v[163:164], v[2:3], v[34:35], -v[36:37]
	ds_load_b128 v[2:5], v1 offset:1024
	scratch_load_b128 v[34:37], off, off offset:416
	v_fma_f64 v[157:158], v[40:41], v[145:146], v[157:158]
	v_add_f64_e32 v[153:154], v[153:154], v[149:150]
	v_add_f64_e32 v[151:152], v[155:156], v[151:152]
	ds_load_b128 v[147:150], v1 offset:1040
	v_fma_f64 v[145:146], v[38:39], v[145:146], -v[159:160]
	scratch_load_b128 v[38:41], off, off offset:432
	s_wait_loadcnt_dscnt 0x901
	v_mul_f64_e32 v[155:156], v[2:3], v[44:45]
	v_mul_f64_e32 v[44:45], v[4:5], v[44:45]
	s_wait_loadcnt_dscnt 0x800
	v_mul_f64_e32 v[159:160], v[147:148], v[8:9]
	v_mul_f64_e32 v[8:9], v[149:150], v[8:9]
	v_add_f64_e32 v[153:154], v[153:154], v[163:164]
	v_add_f64_e32 v[151:152], v[151:152], v[161:162]
	v_fma_f64 v[155:156], v[4:5], v[42:43], v[155:156]
	v_fma_f64 v[161:162], v[2:3], v[42:43], -v[44:45]
	ds_load_b128 v[2:5], v1 offset:1056
	scratch_load_b128 v[42:45], off, off offset:448
	v_fma_f64 v[149:150], v[149:150], v[6:7], v[159:160]
	v_fma_f64 v[147:148], v[147:148], v[6:7], -v[8:9]
	scratch_load_b128 v[6:9], off, off offset:464
	v_add_f64_e32 v[145:146], v[153:154], v[145:146]
	v_add_f64_e32 v[157:158], v[151:152], v[157:158]
	ds_load_b128 v[151:154], v1 offset:1072
	s_wait_loadcnt_dscnt 0x901
	v_mul_f64_e32 v[163:164], v[2:3], v[12:13]
	v_mul_f64_e32 v[12:13], v[4:5], v[12:13]
	v_add_f64_e32 v[145:146], v[145:146], v[161:162]
	v_add_f64_e32 v[155:156], v[157:158], v[155:156]
	s_wait_loadcnt_dscnt 0x800
	v_mul_f64_e32 v[157:158], v[151:152], v[16:17]
	v_mul_f64_e32 v[16:17], v[153:154], v[16:17]
	v_fma_f64 v[159:160], v[4:5], v[10:11], v[163:164]
	v_fma_f64 v[161:162], v[2:3], v[10:11], -v[12:13]
	ds_load_b128 v[2:5], v1 offset:1088
	scratch_load_b128 v[10:13], off, off offset:480
	v_add_f64_e32 v[163:164], v[145:146], v[147:148]
	v_add_f64_e32 v[149:150], v[155:156], v[149:150]
	ds_load_b128 v[145:148], v1 offset:1104
	s_wait_loadcnt_dscnt 0x801
	v_mul_f64_e32 v[155:156], v[2:3], v[20:21]
	v_mul_f64_e32 v[20:21], v[4:5], v[20:21]
	v_fma_f64 v[153:154], v[153:154], v[14:15], v[157:158]
	v_fma_f64 v[151:152], v[151:152], v[14:15], -v[16:17]
	scratch_load_b128 v[14:17], off, off offset:496
	v_add_f64_e32 v[157:158], v[163:164], v[161:162]
	v_add_f64_e32 v[149:150], v[149:150], v[159:160]
	s_wait_loadcnt_dscnt 0x800
	v_mul_f64_e32 v[159:160], v[145:146], v[24:25]
	v_mul_f64_e32 v[24:25], v[147:148], v[24:25]
	v_fma_f64 v[155:156], v[4:5], v[18:19], v[155:156]
	v_fma_f64 v[161:162], v[2:3], v[18:19], -v[20:21]
	ds_load_b128 v[2:5], v1 offset:1120
	scratch_load_b128 v[18:21], off, off offset:512
	v_add_f64_e32 v[157:158], v[157:158], v[151:152]
	v_add_f64_e32 v[153:154], v[149:150], v[153:154]
	ds_load_b128 v[149:152], v1 offset:1136
	s_wait_loadcnt_dscnt 0x801
	v_mul_f64_e32 v[163:164], v[2:3], v[28:29]
	v_mul_f64_e32 v[28:29], v[4:5], v[28:29]
	v_fma_f64 v[147:148], v[147:148], v[22:23], v[159:160]
	v_fma_f64 v[145:146], v[145:146], v[22:23], -v[24:25]
	scratch_load_b128 v[22:25], off, off offset:528
	;; [unrolled: 18-line block ×4, first 2 shown]
	s_wait_loadcnt_dscnt 0x800
	v_mul_f64_e32 v[157:158], v[149:150], v[8:9]
	v_mul_f64_e32 v[8:9], v[151:152], v[8:9]
	v_add_f64_e32 v[155:156], v[155:156], v[161:162]
	v_add_f64_e32 v[153:154], v[153:154], v[159:160]
	v_fma_f64 v[159:160], v[4:5], v[42:43], v[163:164]
	v_fma_f64 v[161:162], v[2:3], v[42:43], -v[44:45]
	ds_load_b128 v[2:5], v1 offset:1216
	scratch_load_b128 v[42:45], off, off offset:608
	v_fma_f64 v[151:152], v[151:152], v[6:7], v[157:158]
	v_fma_f64 v[149:150], v[149:150], v[6:7], -v[8:9]
	scratch_load_b128 v[6:9], off, off offset:624
	v_add_f64_e32 v[155:156], v[155:156], v[145:146]
	v_add_f64_e32 v[153:154], v[153:154], v[147:148]
	ds_load_b128 v[145:148], v1 offset:1232
	s_wait_loadcnt_dscnt 0x901
	v_mul_f64_e32 v[163:164], v[2:3], v[12:13]
	v_mul_f64_e32 v[12:13], v[4:5], v[12:13]
	s_wait_loadcnt_dscnt 0x800
	v_mul_f64_e32 v[157:158], v[145:146], v[16:17]
	v_mul_f64_e32 v[16:17], v[147:148], v[16:17]
	v_add_f64_e32 v[155:156], v[155:156], v[161:162]
	v_add_f64_e32 v[153:154], v[153:154], v[159:160]
	v_fma_f64 v[159:160], v[4:5], v[10:11], v[163:164]
	v_fma_f64 v[161:162], v[2:3], v[10:11], -v[12:13]
	ds_load_b128 v[2:5], v1 offset:1248
	scratch_load_b128 v[10:13], off, off offset:640
	v_fma_f64 v[147:148], v[147:148], v[14:15], v[157:158]
	v_fma_f64 v[145:146], v[145:146], v[14:15], -v[16:17]
	scratch_load_b128 v[14:17], off, off offset:656
	v_add_f64_e32 v[155:156], v[155:156], v[149:150]
	v_add_f64_e32 v[153:154], v[153:154], v[151:152]
	ds_load_b128 v[149:152], v1 offset:1264
	s_wait_loadcnt_dscnt 0x901
	v_mul_f64_e32 v[163:164], v[2:3], v[20:21]
	v_mul_f64_e32 v[20:21], v[4:5], v[20:21]
	;; [unrolled: 18-line block ×5, first 2 shown]
	s_wait_loadcnt_dscnt 0x800
	v_mul_f64_e32 v[157:158], v[145:146], v[8:9]
	v_mul_f64_e32 v[8:9], v[147:148], v[8:9]
	v_add_f64_e32 v[155:156], v[155:156], v[161:162]
	v_add_f64_e32 v[153:154], v[153:154], v[159:160]
	v_fma_f64 v[159:160], v[4:5], v[42:43], v[163:164]
	v_fma_f64 v[161:162], v[2:3], v[42:43], -v[44:45]
	ds_load_b128 v[2:5], v1 offset:1376
	ds_load_b128 v[42:45], v1 offset:1392
	v_fma_f64 v[147:148], v[147:148], v[6:7], v[157:158]
	v_fma_f64 v[6:7], v[145:146], v[6:7], -v[8:9]
	v_add_f64_e32 v[149:150], v[155:156], v[149:150]
	v_add_f64_e32 v[151:152], v[153:154], v[151:152]
	s_wait_loadcnt_dscnt 0x701
	v_mul_f64_e32 v[153:154], v[2:3], v[12:13]
	v_mul_f64_e32 v[12:13], v[4:5], v[12:13]
	s_delay_alu instid0(VALU_DEP_4) | instskip(NEXT) | instid1(VALU_DEP_4)
	v_add_f64_e32 v[8:9], v[149:150], v[161:162]
	v_add_f64_e32 v[145:146], v[151:152], v[159:160]
	s_wait_loadcnt_dscnt 0x600
	v_mul_f64_e32 v[149:150], v[42:43], v[16:17]
	v_mul_f64_e32 v[16:17], v[44:45], v[16:17]
	v_fma_f64 v[151:152], v[4:5], v[10:11], v[153:154]
	v_fma_f64 v[10:11], v[2:3], v[10:11], -v[12:13]
	v_add_f64_e32 v[12:13], v[8:9], v[6:7]
	v_add_f64_e32 v[145:146], v[145:146], v[147:148]
	ds_load_b128 v[2:5], v1 offset:1408
	ds_load_b128 v[6:9], v1 offset:1424
	v_fma_f64 v[44:45], v[44:45], v[14:15], v[149:150]
	v_fma_f64 v[14:15], v[42:43], v[14:15], -v[16:17]
	s_wait_loadcnt_dscnt 0x501
	v_mul_f64_e32 v[147:148], v[2:3], v[20:21]
	v_mul_f64_e32 v[20:21], v[4:5], v[20:21]
	s_wait_loadcnt_dscnt 0x400
	v_mul_f64_e32 v[16:17], v[6:7], v[24:25]
	v_mul_f64_e32 v[24:25], v[8:9], v[24:25]
	v_add_f64_e32 v[10:11], v[12:13], v[10:11]
	v_add_f64_e32 v[12:13], v[145:146], v[151:152]
	v_fma_f64 v[42:43], v[4:5], v[18:19], v[147:148]
	v_fma_f64 v[18:19], v[2:3], v[18:19], -v[20:21]
	v_fma_f64 v[8:9], v[8:9], v[22:23], v[16:17]
	v_fma_f64 v[6:7], v[6:7], v[22:23], -v[24:25]
	v_add_f64_e32 v[14:15], v[10:11], v[14:15]
	v_add_f64_e32 v[20:21], v[12:13], v[44:45]
	ds_load_b128 v[2:5], v1 offset:1440
	ds_load_b128 v[10:13], v1 offset:1456
	s_wait_loadcnt_dscnt 0x301
	v_mul_f64_e32 v[44:45], v[2:3], v[28:29]
	v_mul_f64_e32 v[28:29], v[4:5], v[28:29]
	v_add_f64_e32 v[14:15], v[14:15], v[18:19]
	v_add_f64_e32 v[16:17], v[20:21], v[42:43]
	s_wait_loadcnt_dscnt 0x200
	v_mul_f64_e32 v[18:19], v[10:11], v[32:33]
	v_mul_f64_e32 v[20:21], v[12:13], v[32:33]
	v_fma_f64 v[22:23], v[4:5], v[26:27], v[44:45]
	v_fma_f64 v[24:25], v[2:3], v[26:27], -v[28:29]
	v_add_f64_e32 v[14:15], v[14:15], v[6:7]
	v_add_f64_e32 v[16:17], v[16:17], v[8:9]
	ds_load_b128 v[2:5], v1 offset:1472
	ds_load_b128 v[6:9], v1 offset:1488
	v_fma_f64 v[12:13], v[12:13], v[30:31], v[18:19]
	v_fma_f64 v[10:11], v[10:11], v[30:31], -v[20:21]
	s_wait_loadcnt_dscnt 0x101
	v_mul_f64_e32 v[26:27], v[2:3], v[36:37]
	v_mul_f64_e32 v[28:29], v[4:5], v[36:37]
	s_wait_loadcnt_dscnt 0x0
	v_mul_f64_e32 v[18:19], v[6:7], v[40:41]
	v_mul_f64_e32 v[20:21], v[8:9], v[40:41]
	v_add_f64_e32 v[14:15], v[14:15], v[24:25]
	v_add_f64_e32 v[16:17], v[16:17], v[22:23]
	v_fma_f64 v[4:5], v[4:5], v[34:35], v[26:27]
	v_fma_f64 v[1:2], v[2:3], v[34:35], -v[28:29]
	v_fma_f64 v[8:9], v[8:9], v[38:39], v[18:19]
	v_fma_f64 v[6:7], v[6:7], v[38:39], -v[20:21]
	v_add_f64_e32 v[10:11], v[14:15], v[10:11]
	v_add_f64_e32 v[12:13], v[16:17], v[12:13]
	s_delay_alu instid0(VALU_DEP_2) | instskip(NEXT) | instid1(VALU_DEP_2)
	v_add_f64_e32 v[1:2], v[10:11], v[1:2]
	v_add_f64_e32 v[3:4], v[12:13], v[4:5]
	s_delay_alu instid0(VALU_DEP_2) | instskip(NEXT) | instid1(VALU_DEP_2)
	;; [unrolled: 3-line block ×3, first 2 shown]
	v_add_f64_e64 v[1:2], v[141:142], -v[1:2]
	v_add_f64_e64 v[3:4], v[143:144], -v[3:4]
	scratch_store_b128 off, v[1:4], off offset:112
	v_cmpx_lt_u32_e32 5, v0
	s_cbranch_execz .LBB46_285
; %bb.284:
	scratch_load_b128 v[1:4], off, s55
	v_mov_b32_e32 v5, 0
	s_delay_alu instid0(VALU_DEP_1)
	v_dual_mov_b32 v6, v5 :: v_dual_mov_b32 v7, v5
	v_mov_b32_e32 v8, v5
	scratch_store_b128 off, v[5:8], off offset:96
	s_wait_loadcnt 0x0
	ds_store_b128 v140, v[1:4]
.LBB46_285:
	s_wait_alu 0xfffe
	s_or_b32 exec_lo, exec_lo, s0
	s_wait_storecnt_dscnt 0x0
	s_barrier_signal -1
	s_barrier_wait -1
	global_inv scope:SCOPE_SE
	s_clause 0x7
	scratch_load_b128 v[2:5], off, off offset:112
	scratch_load_b128 v[6:9], off, off offset:128
	;; [unrolled: 1-line block ×8, first 2 shown]
	v_mov_b32_e32 v1, 0
	s_mov_b32 s0, exec_lo
	ds_load_b128 v[38:41], v1 offset:848
	s_clause 0x1
	scratch_load_b128 v[34:37], off, off offset:240
	scratch_load_b128 v[42:45], off, off offset:96
	ds_load_b128 v[141:144], v1 offset:864
	scratch_load_b128 v[145:148], off, off offset:256
	s_wait_loadcnt_dscnt 0xa01
	v_mul_f64_e32 v[149:150], v[40:41], v[4:5]
	v_mul_f64_e32 v[4:5], v[38:39], v[4:5]
	s_delay_alu instid0(VALU_DEP_2) | instskip(NEXT) | instid1(VALU_DEP_2)
	v_fma_f64 v[155:156], v[38:39], v[2:3], -v[149:150]
	v_fma_f64 v[157:158], v[40:41], v[2:3], v[4:5]
	ds_load_b128 v[2:5], v1 offset:880
	s_wait_loadcnt_dscnt 0x901
	v_mul_f64_e32 v[153:154], v[141:142], v[8:9]
	v_mul_f64_e32 v[8:9], v[143:144], v[8:9]
	scratch_load_b128 v[38:41], off, off offset:272
	ds_load_b128 v[149:152], v1 offset:896
	s_wait_loadcnt_dscnt 0x901
	v_mul_f64_e32 v[159:160], v[2:3], v[12:13]
	v_mul_f64_e32 v[12:13], v[4:5], v[12:13]
	v_fma_f64 v[143:144], v[143:144], v[6:7], v[153:154]
	v_fma_f64 v[141:142], v[141:142], v[6:7], -v[8:9]
	v_add_f64_e32 v[153:154], 0, v[155:156]
	v_add_f64_e32 v[155:156], 0, v[157:158]
	scratch_load_b128 v[6:9], off, off offset:288
	v_fma_f64 v[159:160], v[4:5], v[10:11], v[159:160]
	v_fma_f64 v[161:162], v[2:3], v[10:11], -v[12:13]
	ds_load_b128 v[2:5], v1 offset:912
	s_wait_loadcnt_dscnt 0x901
	v_mul_f64_e32 v[157:158], v[149:150], v[16:17]
	v_mul_f64_e32 v[16:17], v[151:152], v[16:17]
	scratch_load_b128 v[10:13], off, off offset:304
	v_add_f64_e32 v[153:154], v[153:154], v[141:142]
	v_add_f64_e32 v[155:156], v[155:156], v[143:144]
	s_wait_loadcnt_dscnt 0x900
	v_mul_f64_e32 v[163:164], v[2:3], v[20:21]
	v_mul_f64_e32 v[20:21], v[4:5], v[20:21]
	ds_load_b128 v[141:144], v1 offset:928
	v_fma_f64 v[151:152], v[151:152], v[14:15], v[157:158]
	v_fma_f64 v[149:150], v[149:150], v[14:15], -v[16:17]
	scratch_load_b128 v[14:17], off, off offset:320
	v_add_f64_e32 v[153:154], v[153:154], v[161:162]
	v_add_f64_e32 v[155:156], v[155:156], v[159:160]
	v_fma_f64 v[159:160], v[4:5], v[18:19], v[163:164]
	v_fma_f64 v[161:162], v[2:3], v[18:19], -v[20:21]
	ds_load_b128 v[2:5], v1 offset:944
	s_wait_loadcnt_dscnt 0x901
	v_mul_f64_e32 v[157:158], v[141:142], v[24:25]
	v_mul_f64_e32 v[24:25], v[143:144], v[24:25]
	scratch_load_b128 v[18:21], off, off offset:336
	s_wait_loadcnt_dscnt 0x900
	v_mul_f64_e32 v[163:164], v[2:3], v[28:29]
	v_mul_f64_e32 v[28:29], v[4:5], v[28:29]
	v_add_f64_e32 v[153:154], v[153:154], v[149:150]
	v_add_f64_e32 v[155:156], v[155:156], v[151:152]
	ds_load_b128 v[149:152], v1 offset:960
	v_fma_f64 v[143:144], v[143:144], v[22:23], v[157:158]
	v_fma_f64 v[141:142], v[141:142], v[22:23], -v[24:25]
	scratch_load_b128 v[22:25], off, off offset:352
	v_add_f64_e32 v[153:154], v[153:154], v[161:162]
	v_add_f64_e32 v[155:156], v[155:156], v[159:160]
	v_fma_f64 v[159:160], v[4:5], v[26:27], v[163:164]
	v_fma_f64 v[161:162], v[2:3], v[26:27], -v[28:29]
	ds_load_b128 v[2:5], v1 offset:976
	s_wait_loadcnt_dscnt 0x901
	v_mul_f64_e32 v[157:158], v[149:150], v[32:33]
	v_mul_f64_e32 v[32:33], v[151:152], v[32:33]
	scratch_load_b128 v[26:29], off, off offset:368
	s_wait_loadcnt_dscnt 0x900
	v_mul_f64_e32 v[163:164], v[2:3], v[36:37]
	v_mul_f64_e32 v[36:37], v[4:5], v[36:37]
	v_add_f64_e32 v[153:154], v[153:154], v[141:142]
	v_add_f64_e32 v[155:156], v[155:156], v[143:144]
	ds_load_b128 v[141:144], v1 offset:992
	v_fma_f64 v[151:152], v[151:152], v[30:31], v[157:158]
	v_fma_f64 v[149:150], v[149:150], v[30:31], -v[32:33]
	scratch_load_b128 v[30:33], off, off offset:384
	v_add_f64_e32 v[153:154], v[153:154], v[161:162]
	v_add_f64_e32 v[155:156], v[155:156], v[159:160]
	v_fma_f64 v[161:162], v[4:5], v[34:35], v[163:164]
	v_fma_f64 v[163:164], v[2:3], v[34:35], -v[36:37]
	ds_load_b128 v[2:5], v1 offset:1008
	s_wait_loadcnt_dscnt 0x801
	v_mul_f64_e32 v[157:158], v[141:142], v[147:148]
	v_mul_f64_e32 v[159:160], v[143:144], v[147:148]
	scratch_load_b128 v[34:37], off, off offset:400
	v_add_f64_e32 v[153:154], v[153:154], v[149:150]
	v_add_f64_e32 v[151:152], v[155:156], v[151:152]
	ds_load_b128 v[147:150], v1 offset:1024
	v_fma_f64 v[157:158], v[143:144], v[145:146], v[157:158]
	v_fma_f64 v[145:146], v[141:142], v[145:146], -v[159:160]
	scratch_load_b128 v[141:144], off, off offset:416
	s_wait_loadcnt_dscnt 0x901
	v_mul_f64_e32 v[155:156], v[2:3], v[40:41]
	v_mul_f64_e32 v[40:41], v[4:5], v[40:41]
	v_add_f64_e32 v[153:154], v[153:154], v[163:164]
	v_add_f64_e32 v[151:152], v[151:152], v[161:162]
	s_delay_alu instid0(VALU_DEP_4) | instskip(NEXT) | instid1(VALU_DEP_4)
	v_fma_f64 v[155:156], v[4:5], v[38:39], v[155:156]
	v_fma_f64 v[161:162], v[2:3], v[38:39], -v[40:41]
	ds_load_b128 v[2:5], v1 offset:1040
	s_wait_loadcnt_dscnt 0x801
	v_mul_f64_e32 v[159:160], v[147:148], v[8:9]
	v_mul_f64_e32 v[8:9], v[149:150], v[8:9]
	scratch_load_b128 v[38:41], off, off offset:432
	s_wait_loadcnt_dscnt 0x800
	v_mul_f64_e32 v[163:164], v[2:3], v[12:13]
	v_add_f64_e32 v[145:146], v[153:154], v[145:146]
	v_add_f64_e32 v[157:158], v[151:152], v[157:158]
	v_mul_f64_e32 v[12:13], v[4:5], v[12:13]
	ds_load_b128 v[151:154], v1 offset:1056
	v_fma_f64 v[149:150], v[149:150], v[6:7], v[159:160]
	v_fma_f64 v[147:148], v[147:148], v[6:7], -v[8:9]
	scratch_load_b128 v[6:9], off, off offset:448
	v_fma_f64 v[159:160], v[4:5], v[10:11], v[163:164]
	v_add_f64_e32 v[145:146], v[145:146], v[161:162]
	v_add_f64_e32 v[155:156], v[157:158], v[155:156]
	v_fma_f64 v[161:162], v[2:3], v[10:11], -v[12:13]
	ds_load_b128 v[2:5], v1 offset:1072
	s_wait_loadcnt_dscnt 0x801
	v_mul_f64_e32 v[157:158], v[151:152], v[16:17]
	v_mul_f64_e32 v[16:17], v[153:154], v[16:17]
	scratch_load_b128 v[10:13], off, off offset:464
	v_add_f64_e32 v[163:164], v[145:146], v[147:148]
	v_add_f64_e32 v[149:150], v[155:156], v[149:150]
	s_wait_loadcnt_dscnt 0x800
	v_mul_f64_e32 v[155:156], v[2:3], v[20:21]
	v_mul_f64_e32 v[20:21], v[4:5], v[20:21]
	v_fma_f64 v[153:154], v[153:154], v[14:15], v[157:158]
	v_fma_f64 v[151:152], v[151:152], v[14:15], -v[16:17]
	ds_load_b128 v[145:148], v1 offset:1088
	scratch_load_b128 v[14:17], off, off offset:480
	v_add_f64_e32 v[157:158], v[163:164], v[161:162]
	v_add_f64_e32 v[149:150], v[149:150], v[159:160]
	v_fma_f64 v[155:156], v[4:5], v[18:19], v[155:156]
	v_fma_f64 v[161:162], v[2:3], v[18:19], -v[20:21]
	ds_load_b128 v[2:5], v1 offset:1104
	s_wait_loadcnt_dscnt 0x801
	v_mul_f64_e32 v[159:160], v[145:146], v[24:25]
	v_mul_f64_e32 v[24:25], v[147:148], v[24:25]
	scratch_load_b128 v[18:21], off, off offset:496
	s_wait_loadcnt_dscnt 0x800
	v_mul_f64_e32 v[163:164], v[2:3], v[28:29]
	v_mul_f64_e32 v[28:29], v[4:5], v[28:29]
	v_add_f64_e32 v[157:158], v[157:158], v[151:152]
	v_add_f64_e32 v[153:154], v[149:150], v[153:154]
	ds_load_b128 v[149:152], v1 offset:1120
	v_fma_f64 v[147:148], v[147:148], v[22:23], v[159:160]
	v_fma_f64 v[145:146], v[145:146], v[22:23], -v[24:25]
	scratch_load_b128 v[22:25], off, off offset:512
	v_fma_f64 v[159:160], v[4:5], v[26:27], v[163:164]
	v_add_f64_e32 v[157:158], v[157:158], v[161:162]
	v_add_f64_e32 v[153:154], v[153:154], v[155:156]
	v_fma_f64 v[161:162], v[2:3], v[26:27], -v[28:29]
	ds_load_b128 v[2:5], v1 offset:1136
	s_wait_loadcnt_dscnt 0x801
	v_mul_f64_e32 v[155:156], v[149:150], v[32:33]
	v_mul_f64_e32 v[32:33], v[151:152], v[32:33]
	scratch_load_b128 v[26:29], off, off offset:528
	s_wait_loadcnt_dscnt 0x800
	v_mul_f64_e32 v[163:164], v[2:3], v[36:37]
	v_mul_f64_e32 v[36:37], v[4:5], v[36:37]
	v_add_f64_e32 v[157:158], v[157:158], v[145:146]
	v_add_f64_e32 v[153:154], v[153:154], v[147:148]
	ds_load_b128 v[145:148], v1 offset:1152
	v_fma_f64 v[151:152], v[151:152], v[30:31], v[155:156]
	v_fma_f64 v[149:150], v[149:150], v[30:31], -v[32:33]
	scratch_load_b128 v[30:33], off, off offset:544
	v_add_f64_e32 v[155:156], v[157:158], v[161:162]
	v_add_f64_e32 v[153:154], v[153:154], v[159:160]
	v_fma_f64 v[159:160], v[4:5], v[34:35], v[163:164]
	v_fma_f64 v[161:162], v[2:3], v[34:35], -v[36:37]
	ds_load_b128 v[2:5], v1 offset:1168
	s_wait_loadcnt_dscnt 0x801
	v_mul_f64_e32 v[157:158], v[145:146], v[143:144]
	v_mul_f64_e32 v[143:144], v[147:148], v[143:144]
	scratch_load_b128 v[34:37], off, off offset:560
	s_wait_loadcnt_dscnt 0x800
	v_mul_f64_e32 v[163:164], v[2:3], v[40:41]
	v_mul_f64_e32 v[40:41], v[4:5], v[40:41]
	v_add_f64_e32 v[155:156], v[155:156], v[149:150]
	v_add_f64_e32 v[153:154], v[153:154], v[151:152]
	ds_load_b128 v[149:152], v1 offset:1184
	v_fma_f64 v[147:148], v[147:148], v[141:142], v[157:158]
	v_fma_f64 v[145:146], v[145:146], v[141:142], -v[143:144]
	scratch_load_b128 v[141:144], off, off offset:576
	v_add_f64_e32 v[155:156], v[155:156], v[161:162]
	v_add_f64_e32 v[153:154], v[153:154], v[159:160]
	v_fma_f64 v[159:160], v[4:5], v[38:39], v[163:164]
	;; [unrolled: 18-line block ×6, first 2 shown]
	v_fma_f64 v[163:164], v[2:3], v[34:35], -v[36:37]
	ds_load_b128 v[2:5], v1 offset:1328
	s_wait_loadcnt_dscnt 0x801
	v_mul_f64_e32 v[157:158], v[149:150], v[143:144]
	v_mul_f64_e32 v[159:160], v[151:152], v[143:144]
	scratch_load_b128 v[34:37], off, off offset:720
	v_add_f64_e32 v[155:156], v[155:156], v[145:146]
	v_add_f64_e32 v[147:148], v[153:154], v[147:148]
	s_wait_loadcnt_dscnt 0x800
	v_mul_f64_e32 v[153:154], v[2:3], v[40:41]
	v_mul_f64_e32 v[40:41], v[4:5], v[40:41]
	ds_load_b128 v[143:146], v1 offset:1344
	v_fma_f64 v[151:152], v[151:152], v[141:142], v[157:158]
	v_fma_f64 v[141:142], v[149:150], v[141:142], -v[159:160]
	v_add_f64_e32 v[155:156], v[155:156], v[163:164]
	v_add_f64_e32 v[157:158], v[147:148], v[161:162]
	scratch_load_b128 v[147:150], off, off offset:736
	v_fma_f64 v[161:162], v[4:5], v[38:39], v[153:154]
	v_fma_f64 v[163:164], v[2:3], v[38:39], -v[40:41]
	ds_load_b128 v[2:5], v1 offset:1360
	s_wait_loadcnt_dscnt 0x801
	v_mul_f64_e32 v[159:160], v[143:144], v[8:9]
	v_mul_f64_e32 v[8:9], v[145:146], v[8:9]
	scratch_load_b128 v[38:41], off, off offset:752
	v_add_f64_e32 v[141:142], v[155:156], v[141:142]
	v_add_f64_e32 v[155:156], v[157:158], v[151:152]
	s_wait_loadcnt_dscnt 0x800
	v_mul_f64_e32 v[157:158], v[2:3], v[12:13]
	v_mul_f64_e32 v[12:13], v[4:5], v[12:13]
	ds_load_b128 v[151:154], v1 offset:1376
	v_fma_f64 v[145:146], v[145:146], v[6:7], v[159:160]
	v_fma_f64 v[6:7], v[143:144], v[6:7], -v[8:9]
	s_wait_loadcnt_dscnt 0x700
	v_mul_f64_e32 v[143:144], v[151:152], v[16:17]
	v_mul_f64_e32 v[16:17], v[153:154], v[16:17]
	v_add_f64_e32 v[8:9], v[141:142], v[163:164]
	v_add_f64_e32 v[141:142], v[155:156], v[161:162]
	v_fma_f64 v[155:156], v[4:5], v[10:11], v[157:158]
	v_fma_f64 v[10:11], v[2:3], v[10:11], -v[12:13]
	v_fma_f64 v[143:144], v[153:154], v[14:15], v[143:144]
	v_fma_f64 v[14:15], v[151:152], v[14:15], -v[16:17]
	v_add_f64_e32 v[12:13], v[8:9], v[6:7]
	v_add_f64_e32 v[141:142], v[141:142], v[145:146]
	ds_load_b128 v[2:5], v1 offset:1392
	ds_load_b128 v[6:9], v1 offset:1408
	s_wait_loadcnt_dscnt 0x601
	v_mul_f64_e32 v[145:146], v[2:3], v[20:21]
	v_mul_f64_e32 v[20:21], v[4:5], v[20:21]
	s_wait_loadcnt_dscnt 0x500
	v_mul_f64_e32 v[16:17], v[6:7], v[24:25]
	v_mul_f64_e32 v[24:25], v[8:9], v[24:25]
	v_add_f64_e32 v[10:11], v[12:13], v[10:11]
	v_add_f64_e32 v[12:13], v[141:142], v[155:156]
	v_fma_f64 v[141:142], v[4:5], v[18:19], v[145:146]
	v_fma_f64 v[18:19], v[2:3], v[18:19], -v[20:21]
	v_fma_f64 v[8:9], v[8:9], v[22:23], v[16:17]
	v_fma_f64 v[6:7], v[6:7], v[22:23], -v[24:25]
	v_add_f64_e32 v[14:15], v[10:11], v[14:15]
	v_add_f64_e32 v[20:21], v[12:13], v[143:144]
	ds_load_b128 v[2:5], v1 offset:1424
	ds_load_b128 v[10:13], v1 offset:1440
	s_wait_loadcnt_dscnt 0x401
	v_mul_f64_e32 v[143:144], v[2:3], v[28:29]
	v_mul_f64_e32 v[28:29], v[4:5], v[28:29]
	v_add_f64_e32 v[14:15], v[14:15], v[18:19]
	v_add_f64_e32 v[16:17], v[20:21], v[141:142]
	s_wait_loadcnt_dscnt 0x300
	v_mul_f64_e32 v[18:19], v[10:11], v[32:33]
	v_mul_f64_e32 v[20:21], v[12:13], v[32:33]
	v_fma_f64 v[22:23], v[4:5], v[26:27], v[143:144]
	v_fma_f64 v[24:25], v[2:3], v[26:27], -v[28:29]
	v_add_f64_e32 v[14:15], v[14:15], v[6:7]
	v_add_f64_e32 v[16:17], v[16:17], v[8:9]
	ds_load_b128 v[2:5], v1 offset:1456
	ds_load_b128 v[6:9], v1 offset:1472
	v_fma_f64 v[12:13], v[12:13], v[30:31], v[18:19]
	v_fma_f64 v[10:11], v[10:11], v[30:31], -v[20:21]
	s_wait_loadcnt_dscnt 0x201
	v_mul_f64_e32 v[26:27], v[2:3], v[36:37]
	v_mul_f64_e32 v[28:29], v[4:5], v[36:37]
	v_add_f64_e32 v[14:15], v[14:15], v[24:25]
	v_add_f64_e32 v[16:17], v[16:17], v[22:23]
	s_wait_loadcnt_dscnt 0x100
	v_mul_f64_e32 v[18:19], v[6:7], v[149:150]
	v_mul_f64_e32 v[20:21], v[8:9], v[149:150]
	v_fma_f64 v[22:23], v[4:5], v[34:35], v[26:27]
	v_fma_f64 v[24:25], v[2:3], v[34:35], -v[28:29]
	ds_load_b128 v[2:5], v1 offset:1488
	v_add_f64_e32 v[10:11], v[14:15], v[10:11]
	v_add_f64_e32 v[12:13], v[16:17], v[12:13]
	s_wait_loadcnt_dscnt 0x0
	v_mul_f64_e32 v[14:15], v[2:3], v[40:41]
	v_mul_f64_e32 v[16:17], v[4:5], v[40:41]
	v_fma_f64 v[8:9], v[8:9], v[147:148], v[18:19]
	v_fma_f64 v[6:7], v[6:7], v[147:148], -v[20:21]
	v_add_f64_e32 v[10:11], v[10:11], v[24:25]
	v_add_f64_e32 v[12:13], v[12:13], v[22:23]
	v_fma_f64 v[4:5], v[4:5], v[38:39], v[14:15]
	v_fma_f64 v[2:3], v[2:3], v[38:39], -v[16:17]
	s_delay_alu instid0(VALU_DEP_4) | instskip(NEXT) | instid1(VALU_DEP_4)
	v_add_f64_e32 v[6:7], v[10:11], v[6:7]
	v_add_f64_e32 v[8:9], v[12:13], v[8:9]
	s_delay_alu instid0(VALU_DEP_2) | instskip(NEXT) | instid1(VALU_DEP_2)
	v_add_f64_e32 v[2:3], v[6:7], v[2:3]
	v_add_f64_e32 v[4:5], v[8:9], v[4:5]
	s_delay_alu instid0(VALU_DEP_2) | instskip(NEXT) | instid1(VALU_DEP_2)
	v_add_f64_e64 v[2:3], v[42:43], -v[2:3]
	v_add_f64_e64 v[4:5], v[44:45], -v[4:5]
	scratch_store_b128 off, v[2:5], off offset:96
	v_cmpx_lt_u32_e32 4, v0
	s_cbranch_execz .LBB46_287
; %bb.286:
	scratch_load_b128 v[5:8], off, s21
	v_dual_mov_b32 v2, v1 :: v_dual_mov_b32 v3, v1
	v_mov_b32_e32 v4, v1
	scratch_store_b128 off, v[1:4], off offset:80
	s_wait_loadcnt 0x0
	ds_store_b128 v140, v[5:8]
.LBB46_287:
	s_wait_alu 0xfffe
	s_or_b32 exec_lo, exec_lo, s0
	s_wait_storecnt_dscnt 0x0
	s_barrier_signal -1
	s_barrier_wait -1
	global_inv scope:SCOPE_SE
	s_clause 0x8
	scratch_load_b128 v[2:5], off, off offset:96
	scratch_load_b128 v[6:9], off, off offset:112
	scratch_load_b128 v[10:13], off, off offset:128
	scratch_load_b128 v[14:17], off, off offset:144
	scratch_load_b128 v[18:21], off, off offset:160
	scratch_load_b128 v[22:25], off, off offset:176
	scratch_load_b128 v[26:29], off, off offset:192
	scratch_load_b128 v[30:33], off, off offset:208
	scratch_load_b128 v[34:37], off, off offset:224
	ds_load_b128 v[42:45], v1 offset:832
	ds_load_b128 v[38:41], v1 offset:848
	s_clause 0x1
	scratch_load_b128 v[141:144], off, off offset:80
	scratch_load_b128 v[145:148], off, off offset:240
	s_mov_b32 s0, exec_lo
	s_wait_loadcnt_dscnt 0xa01
	v_mul_f64_e32 v[149:150], v[44:45], v[4:5]
	v_mul_f64_e32 v[4:5], v[42:43], v[4:5]
	s_wait_loadcnt_dscnt 0x900
	v_mul_f64_e32 v[153:154], v[38:39], v[8:9]
	v_mul_f64_e32 v[8:9], v[40:41], v[8:9]
	s_delay_alu instid0(VALU_DEP_4) | instskip(NEXT) | instid1(VALU_DEP_4)
	v_fma_f64 v[155:156], v[42:43], v[2:3], -v[149:150]
	v_fma_f64 v[157:158], v[44:45], v[2:3], v[4:5]
	ds_load_b128 v[2:5], v1 offset:864
	ds_load_b128 v[149:152], v1 offset:880
	scratch_load_b128 v[42:45], off, off offset:256
	v_fma_f64 v[40:41], v[40:41], v[6:7], v[153:154]
	v_fma_f64 v[38:39], v[38:39], v[6:7], -v[8:9]
	scratch_load_b128 v[6:9], off, off offset:272
	s_wait_loadcnt_dscnt 0xa01
	v_mul_f64_e32 v[159:160], v[2:3], v[12:13]
	v_mul_f64_e32 v[12:13], v[4:5], v[12:13]
	v_add_f64_e32 v[153:154], 0, v[155:156]
	v_add_f64_e32 v[155:156], 0, v[157:158]
	s_wait_loadcnt_dscnt 0x900
	v_mul_f64_e32 v[157:158], v[149:150], v[16:17]
	v_mul_f64_e32 v[16:17], v[151:152], v[16:17]
	v_fma_f64 v[159:160], v[4:5], v[10:11], v[159:160]
	v_fma_f64 v[161:162], v[2:3], v[10:11], -v[12:13]
	ds_load_b128 v[2:5], v1 offset:896
	scratch_load_b128 v[10:13], off, off offset:288
	v_add_f64_e32 v[153:154], v[153:154], v[38:39]
	v_add_f64_e32 v[155:156], v[155:156], v[40:41]
	ds_load_b128 v[38:41], v1 offset:912
	v_fma_f64 v[151:152], v[151:152], v[14:15], v[157:158]
	v_fma_f64 v[149:150], v[149:150], v[14:15], -v[16:17]
	scratch_load_b128 v[14:17], off, off offset:304
	s_wait_loadcnt_dscnt 0xa01
	v_mul_f64_e32 v[163:164], v[2:3], v[20:21]
	v_mul_f64_e32 v[20:21], v[4:5], v[20:21]
	s_wait_loadcnt_dscnt 0x900
	v_mul_f64_e32 v[157:158], v[38:39], v[24:25]
	v_mul_f64_e32 v[24:25], v[40:41], v[24:25]
	v_add_f64_e32 v[153:154], v[153:154], v[161:162]
	v_add_f64_e32 v[155:156], v[155:156], v[159:160]
	v_fma_f64 v[159:160], v[4:5], v[18:19], v[163:164]
	v_fma_f64 v[161:162], v[2:3], v[18:19], -v[20:21]
	ds_load_b128 v[2:5], v1 offset:928
	scratch_load_b128 v[18:21], off, off offset:320
	v_fma_f64 v[40:41], v[40:41], v[22:23], v[157:158]
	v_fma_f64 v[38:39], v[38:39], v[22:23], -v[24:25]
	scratch_load_b128 v[22:25], off, off offset:336
	v_add_f64_e32 v[153:154], v[153:154], v[149:150]
	v_add_f64_e32 v[155:156], v[155:156], v[151:152]
	ds_load_b128 v[149:152], v1 offset:944
	s_wait_loadcnt_dscnt 0xa01
	v_mul_f64_e32 v[163:164], v[2:3], v[28:29]
	v_mul_f64_e32 v[28:29], v[4:5], v[28:29]
	s_wait_loadcnt_dscnt 0x900
	v_mul_f64_e32 v[157:158], v[149:150], v[32:33]
	v_mul_f64_e32 v[32:33], v[151:152], v[32:33]
	v_add_f64_e32 v[153:154], v[153:154], v[161:162]
	v_add_f64_e32 v[155:156], v[155:156], v[159:160]
	v_fma_f64 v[159:160], v[4:5], v[26:27], v[163:164]
	v_fma_f64 v[161:162], v[2:3], v[26:27], -v[28:29]
	ds_load_b128 v[2:5], v1 offset:960
	scratch_load_b128 v[26:29], off, off offset:352
	v_fma_f64 v[151:152], v[151:152], v[30:31], v[157:158]
	v_fma_f64 v[149:150], v[149:150], v[30:31], -v[32:33]
	scratch_load_b128 v[30:33], off, off offset:368
	v_add_f64_e32 v[153:154], v[153:154], v[38:39]
	v_add_f64_e32 v[155:156], v[155:156], v[40:41]
	ds_load_b128 v[38:41], v1 offset:976
	s_wait_loadcnt_dscnt 0xa01
	v_mul_f64_e32 v[163:164], v[2:3], v[36:37]
	v_mul_f64_e32 v[36:37], v[4:5], v[36:37]
	s_wait_loadcnt_dscnt 0x800
	v_mul_f64_e32 v[157:158], v[38:39], v[147:148]
	v_add_f64_e32 v[153:154], v[153:154], v[161:162]
	v_add_f64_e32 v[155:156], v[155:156], v[159:160]
	v_mul_f64_e32 v[159:160], v[40:41], v[147:148]
	v_fma_f64 v[161:162], v[4:5], v[34:35], v[163:164]
	v_fma_f64 v[163:164], v[2:3], v[34:35], -v[36:37]
	ds_load_b128 v[2:5], v1 offset:992
	scratch_load_b128 v[34:37], off, off offset:384
	v_fma_f64 v[157:158], v[40:41], v[145:146], v[157:158]
	v_add_f64_e32 v[153:154], v[153:154], v[149:150]
	v_add_f64_e32 v[151:152], v[155:156], v[151:152]
	ds_load_b128 v[147:150], v1 offset:1008
	v_fma_f64 v[145:146], v[38:39], v[145:146], -v[159:160]
	scratch_load_b128 v[38:41], off, off offset:400
	s_wait_loadcnt_dscnt 0x901
	v_mul_f64_e32 v[155:156], v[2:3], v[44:45]
	v_mul_f64_e32 v[44:45], v[4:5], v[44:45]
	s_wait_loadcnt_dscnt 0x800
	v_mul_f64_e32 v[159:160], v[147:148], v[8:9]
	v_mul_f64_e32 v[8:9], v[149:150], v[8:9]
	v_add_f64_e32 v[153:154], v[153:154], v[163:164]
	v_add_f64_e32 v[151:152], v[151:152], v[161:162]
	v_fma_f64 v[155:156], v[4:5], v[42:43], v[155:156]
	v_fma_f64 v[161:162], v[2:3], v[42:43], -v[44:45]
	ds_load_b128 v[2:5], v1 offset:1024
	scratch_load_b128 v[42:45], off, off offset:416
	v_fma_f64 v[149:150], v[149:150], v[6:7], v[159:160]
	v_fma_f64 v[147:148], v[147:148], v[6:7], -v[8:9]
	scratch_load_b128 v[6:9], off, off offset:432
	v_add_f64_e32 v[145:146], v[153:154], v[145:146]
	v_add_f64_e32 v[157:158], v[151:152], v[157:158]
	ds_load_b128 v[151:154], v1 offset:1040
	s_wait_loadcnt_dscnt 0x901
	v_mul_f64_e32 v[163:164], v[2:3], v[12:13]
	v_mul_f64_e32 v[12:13], v[4:5], v[12:13]
	v_add_f64_e32 v[145:146], v[145:146], v[161:162]
	v_add_f64_e32 v[155:156], v[157:158], v[155:156]
	s_wait_loadcnt_dscnt 0x800
	v_mul_f64_e32 v[157:158], v[151:152], v[16:17]
	v_mul_f64_e32 v[16:17], v[153:154], v[16:17]
	v_fma_f64 v[159:160], v[4:5], v[10:11], v[163:164]
	v_fma_f64 v[161:162], v[2:3], v[10:11], -v[12:13]
	ds_load_b128 v[2:5], v1 offset:1056
	scratch_load_b128 v[10:13], off, off offset:448
	v_add_f64_e32 v[163:164], v[145:146], v[147:148]
	v_add_f64_e32 v[149:150], v[155:156], v[149:150]
	ds_load_b128 v[145:148], v1 offset:1072
	s_wait_loadcnt_dscnt 0x801
	v_mul_f64_e32 v[155:156], v[2:3], v[20:21]
	v_mul_f64_e32 v[20:21], v[4:5], v[20:21]
	v_fma_f64 v[153:154], v[153:154], v[14:15], v[157:158]
	v_fma_f64 v[151:152], v[151:152], v[14:15], -v[16:17]
	scratch_load_b128 v[14:17], off, off offset:464
	v_add_f64_e32 v[157:158], v[163:164], v[161:162]
	v_add_f64_e32 v[149:150], v[149:150], v[159:160]
	s_wait_loadcnt_dscnt 0x800
	v_mul_f64_e32 v[159:160], v[145:146], v[24:25]
	v_mul_f64_e32 v[24:25], v[147:148], v[24:25]
	v_fma_f64 v[155:156], v[4:5], v[18:19], v[155:156]
	v_fma_f64 v[161:162], v[2:3], v[18:19], -v[20:21]
	ds_load_b128 v[2:5], v1 offset:1088
	scratch_load_b128 v[18:21], off, off offset:480
	v_add_f64_e32 v[157:158], v[157:158], v[151:152]
	v_add_f64_e32 v[153:154], v[149:150], v[153:154]
	ds_load_b128 v[149:152], v1 offset:1104
	s_wait_loadcnt_dscnt 0x801
	v_mul_f64_e32 v[163:164], v[2:3], v[28:29]
	v_mul_f64_e32 v[28:29], v[4:5], v[28:29]
	v_fma_f64 v[147:148], v[147:148], v[22:23], v[159:160]
	v_fma_f64 v[145:146], v[145:146], v[22:23], -v[24:25]
	scratch_load_b128 v[22:25], off, off offset:496
	;; [unrolled: 18-line block ×4, first 2 shown]
	s_wait_loadcnt_dscnt 0x800
	v_mul_f64_e32 v[157:158], v[149:150], v[8:9]
	v_mul_f64_e32 v[8:9], v[151:152], v[8:9]
	v_add_f64_e32 v[155:156], v[155:156], v[161:162]
	v_add_f64_e32 v[153:154], v[153:154], v[159:160]
	v_fma_f64 v[159:160], v[4:5], v[42:43], v[163:164]
	v_fma_f64 v[161:162], v[2:3], v[42:43], -v[44:45]
	ds_load_b128 v[2:5], v1 offset:1184
	scratch_load_b128 v[42:45], off, off offset:576
	v_fma_f64 v[151:152], v[151:152], v[6:7], v[157:158]
	v_fma_f64 v[149:150], v[149:150], v[6:7], -v[8:9]
	scratch_load_b128 v[6:9], off, off offset:592
	v_add_f64_e32 v[155:156], v[155:156], v[145:146]
	v_add_f64_e32 v[153:154], v[153:154], v[147:148]
	ds_load_b128 v[145:148], v1 offset:1200
	s_wait_loadcnt_dscnt 0x901
	v_mul_f64_e32 v[163:164], v[2:3], v[12:13]
	v_mul_f64_e32 v[12:13], v[4:5], v[12:13]
	s_wait_loadcnt_dscnt 0x800
	v_mul_f64_e32 v[157:158], v[145:146], v[16:17]
	v_mul_f64_e32 v[16:17], v[147:148], v[16:17]
	v_add_f64_e32 v[155:156], v[155:156], v[161:162]
	v_add_f64_e32 v[153:154], v[153:154], v[159:160]
	v_fma_f64 v[159:160], v[4:5], v[10:11], v[163:164]
	v_fma_f64 v[161:162], v[2:3], v[10:11], -v[12:13]
	ds_load_b128 v[2:5], v1 offset:1216
	scratch_load_b128 v[10:13], off, off offset:608
	v_fma_f64 v[147:148], v[147:148], v[14:15], v[157:158]
	v_fma_f64 v[145:146], v[145:146], v[14:15], -v[16:17]
	scratch_load_b128 v[14:17], off, off offset:624
	v_add_f64_e32 v[155:156], v[155:156], v[149:150]
	v_add_f64_e32 v[153:154], v[153:154], v[151:152]
	ds_load_b128 v[149:152], v1 offset:1232
	s_wait_loadcnt_dscnt 0x901
	v_mul_f64_e32 v[163:164], v[2:3], v[20:21]
	v_mul_f64_e32 v[20:21], v[4:5], v[20:21]
	;; [unrolled: 18-line block ×6, first 2 shown]
	s_wait_loadcnt_dscnt 0x800
	v_mul_f64_e32 v[157:158], v[149:150], v[16:17]
	v_mul_f64_e32 v[16:17], v[151:152], v[16:17]
	v_add_f64_e32 v[155:156], v[155:156], v[161:162]
	v_add_f64_e32 v[153:154], v[153:154], v[159:160]
	v_fma_f64 v[159:160], v[4:5], v[10:11], v[163:164]
	v_fma_f64 v[161:162], v[2:3], v[10:11], -v[12:13]
	ds_load_b128 v[2:5], v1 offset:1376
	ds_load_b128 v[10:13], v1 offset:1392
	v_fma_f64 v[151:152], v[151:152], v[14:15], v[157:158]
	v_fma_f64 v[14:15], v[149:150], v[14:15], -v[16:17]
	v_add_f64_e32 v[145:146], v[155:156], v[145:146]
	v_add_f64_e32 v[147:148], v[153:154], v[147:148]
	s_wait_loadcnt_dscnt 0x701
	v_mul_f64_e32 v[153:154], v[2:3], v[20:21]
	v_mul_f64_e32 v[20:21], v[4:5], v[20:21]
	s_delay_alu instid0(VALU_DEP_4) | instskip(NEXT) | instid1(VALU_DEP_4)
	v_add_f64_e32 v[16:17], v[145:146], v[161:162]
	v_add_f64_e32 v[145:146], v[147:148], v[159:160]
	s_wait_loadcnt_dscnt 0x600
	v_mul_f64_e32 v[147:148], v[10:11], v[24:25]
	v_mul_f64_e32 v[24:25], v[12:13], v[24:25]
	v_fma_f64 v[149:150], v[4:5], v[18:19], v[153:154]
	v_fma_f64 v[18:19], v[2:3], v[18:19], -v[20:21]
	v_add_f64_e32 v[20:21], v[16:17], v[14:15]
	v_add_f64_e32 v[145:146], v[145:146], v[151:152]
	ds_load_b128 v[2:5], v1 offset:1408
	ds_load_b128 v[14:17], v1 offset:1424
	v_fma_f64 v[12:13], v[12:13], v[22:23], v[147:148]
	v_fma_f64 v[10:11], v[10:11], v[22:23], -v[24:25]
	s_wait_loadcnt_dscnt 0x501
	v_mul_f64_e32 v[151:152], v[2:3], v[28:29]
	v_mul_f64_e32 v[28:29], v[4:5], v[28:29]
	s_wait_loadcnt_dscnt 0x400
	v_mul_f64_e32 v[22:23], v[14:15], v[32:33]
	v_mul_f64_e32 v[24:25], v[16:17], v[32:33]
	v_add_f64_e32 v[18:19], v[20:21], v[18:19]
	v_add_f64_e32 v[20:21], v[145:146], v[149:150]
	v_fma_f64 v[32:33], v[4:5], v[26:27], v[151:152]
	v_fma_f64 v[26:27], v[2:3], v[26:27], -v[28:29]
	v_fma_f64 v[16:17], v[16:17], v[30:31], v[22:23]
	v_fma_f64 v[14:15], v[14:15], v[30:31], -v[24:25]
	v_add_f64_e32 v[18:19], v[18:19], v[10:11]
	v_add_f64_e32 v[20:21], v[20:21], v[12:13]
	ds_load_b128 v[2:5], v1 offset:1440
	ds_load_b128 v[10:13], v1 offset:1456
	s_wait_loadcnt_dscnt 0x301
	v_mul_f64_e32 v[28:29], v[2:3], v[36:37]
	v_mul_f64_e32 v[36:37], v[4:5], v[36:37]
	s_wait_loadcnt_dscnt 0x200
	v_mul_f64_e32 v[22:23], v[10:11], v[40:41]
	v_mul_f64_e32 v[24:25], v[12:13], v[40:41]
	v_add_f64_e32 v[18:19], v[18:19], v[26:27]
	v_add_f64_e32 v[20:21], v[20:21], v[32:33]
	v_fma_f64 v[26:27], v[4:5], v[34:35], v[28:29]
	v_fma_f64 v[28:29], v[2:3], v[34:35], -v[36:37]
	v_fma_f64 v[12:13], v[12:13], v[38:39], v[22:23]
	v_fma_f64 v[10:11], v[10:11], v[38:39], -v[24:25]
	v_add_f64_e32 v[18:19], v[18:19], v[14:15]
	v_add_f64_e32 v[20:21], v[20:21], v[16:17]
	ds_load_b128 v[2:5], v1 offset:1472
	ds_load_b128 v[14:17], v1 offset:1488
	s_wait_loadcnt_dscnt 0x101
	v_mul_f64_e32 v[30:31], v[2:3], v[44:45]
	v_mul_f64_e32 v[32:33], v[4:5], v[44:45]
	s_wait_loadcnt_dscnt 0x0
	v_mul_f64_e32 v[22:23], v[14:15], v[8:9]
	v_mul_f64_e32 v[8:9], v[16:17], v[8:9]
	v_add_f64_e32 v[18:19], v[18:19], v[28:29]
	v_add_f64_e32 v[20:21], v[20:21], v[26:27]
	v_fma_f64 v[4:5], v[4:5], v[42:43], v[30:31]
	v_fma_f64 v[1:2], v[2:3], v[42:43], -v[32:33]
	v_fma_f64 v[16:17], v[16:17], v[6:7], v[22:23]
	v_fma_f64 v[6:7], v[14:15], v[6:7], -v[8:9]
	v_add_f64_e32 v[10:11], v[18:19], v[10:11]
	v_add_f64_e32 v[12:13], v[20:21], v[12:13]
	s_delay_alu instid0(VALU_DEP_2) | instskip(NEXT) | instid1(VALU_DEP_2)
	v_add_f64_e32 v[1:2], v[10:11], v[1:2]
	v_add_f64_e32 v[3:4], v[12:13], v[4:5]
	s_delay_alu instid0(VALU_DEP_2) | instskip(NEXT) | instid1(VALU_DEP_2)
	;; [unrolled: 3-line block ×3, first 2 shown]
	v_add_f64_e64 v[1:2], v[141:142], -v[1:2]
	v_add_f64_e64 v[3:4], v[143:144], -v[3:4]
	scratch_store_b128 off, v[1:4], off offset:80
	v_cmpx_lt_u32_e32 3, v0
	s_cbranch_execz .LBB46_289
; %bb.288:
	scratch_load_b128 v[1:4], off, s23
	v_mov_b32_e32 v5, 0
	s_delay_alu instid0(VALU_DEP_1)
	v_dual_mov_b32 v6, v5 :: v_dual_mov_b32 v7, v5
	v_mov_b32_e32 v8, v5
	scratch_store_b128 off, v[5:8], off offset:64
	s_wait_loadcnt 0x0
	ds_store_b128 v140, v[1:4]
.LBB46_289:
	s_wait_alu 0xfffe
	s_or_b32 exec_lo, exec_lo, s0
	s_wait_storecnt_dscnt 0x0
	s_barrier_signal -1
	s_barrier_wait -1
	global_inv scope:SCOPE_SE
	s_clause 0x7
	scratch_load_b128 v[2:5], off, off offset:80
	scratch_load_b128 v[6:9], off, off offset:96
	;; [unrolled: 1-line block ×8, first 2 shown]
	v_mov_b32_e32 v1, 0
	s_mov_b32 s0, exec_lo
	ds_load_b128 v[38:41], v1 offset:816
	s_clause 0x1
	scratch_load_b128 v[34:37], off, off offset:208
	scratch_load_b128 v[42:45], off, off offset:64
	ds_load_b128 v[141:144], v1 offset:832
	scratch_load_b128 v[145:148], off, off offset:224
	s_wait_loadcnt_dscnt 0xa01
	v_mul_f64_e32 v[149:150], v[40:41], v[4:5]
	v_mul_f64_e32 v[4:5], v[38:39], v[4:5]
	s_delay_alu instid0(VALU_DEP_2) | instskip(NEXT) | instid1(VALU_DEP_2)
	v_fma_f64 v[155:156], v[38:39], v[2:3], -v[149:150]
	v_fma_f64 v[157:158], v[40:41], v[2:3], v[4:5]
	ds_load_b128 v[2:5], v1 offset:848
	s_wait_loadcnt_dscnt 0x901
	v_mul_f64_e32 v[153:154], v[141:142], v[8:9]
	v_mul_f64_e32 v[8:9], v[143:144], v[8:9]
	scratch_load_b128 v[38:41], off, off offset:240
	ds_load_b128 v[149:152], v1 offset:864
	s_wait_loadcnt_dscnt 0x901
	v_mul_f64_e32 v[159:160], v[2:3], v[12:13]
	v_mul_f64_e32 v[12:13], v[4:5], v[12:13]
	v_fma_f64 v[143:144], v[143:144], v[6:7], v[153:154]
	v_fma_f64 v[141:142], v[141:142], v[6:7], -v[8:9]
	v_add_f64_e32 v[153:154], 0, v[155:156]
	v_add_f64_e32 v[155:156], 0, v[157:158]
	scratch_load_b128 v[6:9], off, off offset:256
	v_fma_f64 v[159:160], v[4:5], v[10:11], v[159:160]
	v_fma_f64 v[161:162], v[2:3], v[10:11], -v[12:13]
	ds_load_b128 v[2:5], v1 offset:880
	s_wait_loadcnt_dscnt 0x901
	v_mul_f64_e32 v[157:158], v[149:150], v[16:17]
	v_mul_f64_e32 v[16:17], v[151:152], v[16:17]
	scratch_load_b128 v[10:13], off, off offset:272
	v_add_f64_e32 v[153:154], v[153:154], v[141:142]
	v_add_f64_e32 v[155:156], v[155:156], v[143:144]
	s_wait_loadcnt_dscnt 0x900
	v_mul_f64_e32 v[163:164], v[2:3], v[20:21]
	v_mul_f64_e32 v[20:21], v[4:5], v[20:21]
	ds_load_b128 v[141:144], v1 offset:896
	v_fma_f64 v[151:152], v[151:152], v[14:15], v[157:158]
	v_fma_f64 v[149:150], v[149:150], v[14:15], -v[16:17]
	scratch_load_b128 v[14:17], off, off offset:288
	v_add_f64_e32 v[153:154], v[153:154], v[161:162]
	v_add_f64_e32 v[155:156], v[155:156], v[159:160]
	v_fma_f64 v[159:160], v[4:5], v[18:19], v[163:164]
	v_fma_f64 v[161:162], v[2:3], v[18:19], -v[20:21]
	ds_load_b128 v[2:5], v1 offset:912
	s_wait_loadcnt_dscnt 0x901
	v_mul_f64_e32 v[157:158], v[141:142], v[24:25]
	v_mul_f64_e32 v[24:25], v[143:144], v[24:25]
	scratch_load_b128 v[18:21], off, off offset:304
	s_wait_loadcnt_dscnt 0x900
	v_mul_f64_e32 v[163:164], v[2:3], v[28:29]
	v_mul_f64_e32 v[28:29], v[4:5], v[28:29]
	v_add_f64_e32 v[153:154], v[153:154], v[149:150]
	v_add_f64_e32 v[155:156], v[155:156], v[151:152]
	ds_load_b128 v[149:152], v1 offset:928
	v_fma_f64 v[143:144], v[143:144], v[22:23], v[157:158]
	v_fma_f64 v[141:142], v[141:142], v[22:23], -v[24:25]
	scratch_load_b128 v[22:25], off, off offset:320
	v_add_f64_e32 v[153:154], v[153:154], v[161:162]
	v_add_f64_e32 v[155:156], v[155:156], v[159:160]
	v_fma_f64 v[159:160], v[4:5], v[26:27], v[163:164]
	v_fma_f64 v[161:162], v[2:3], v[26:27], -v[28:29]
	ds_load_b128 v[2:5], v1 offset:944
	s_wait_loadcnt_dscnt 0x901
	v_mul_f64_e32 v[157:158], v[149:150], v[32:33]
	v_mul_f64_e32 v[32:33], v[151:152], v[32:33]
	scratch_load_b128 v[26:29], off, off offset:336
	s_wait_loadcnt_dscnt 0x900
	v_mul_f64_e32 v[163:164], v[2:3], v[36:37]
	v_mul_f64_e32 v[36:37], v[4:5], v[36:37]
	v_add_f64_e32 v[153:154], v[153:154], v[141:142]
	v_add_f64_e32 v[155:156], v[155:156], v[143:144]
	ds_load_b128 v[141:144], v1 offset:960
	v_fma_f64 v[151:152], v[151:152], v[30:31], v[157:158]
	v_fma_f64 v[149:150], v[149:150], v[30:31], -v[32:33]
	scratch_load_b128 v[30:33], off, off offset:352
	v_add_f64_e32 v[153:154], v[153:154], v[161:162]
	v_add_f64_e32 v[155:156], v[155:156], v[159:160]
	v_fma_f64 v[161:162], v[4:5], v[34:35], v[163:164]
	v_fma_f64 v[163:164], v[2:3], v[34:35], -v[36:37]
	ds_load_b128 v[2:5], v1 offset:976
	s_wait_loadcnt_dscnt 0x801
	v_mul_f64_e32 v[157:158], v[141:142], v[147:148]
	v_mul_f64_e32 v[159:160], v[143:144], v[147:148]
	scratch_load_b128 v[34:37], off, off offset:368
	v_add_f64_e32 v[153:154], v[153:154], v[149:150]
	v_add_f64_e32 v[151:152], v[155:156], v[151:152]
	ds_load_b128 v[147:150], v1 offset:992
	v_fma_f64 v[157:158], v[143:144], v[145:146], v[157:158]
	v_fma_f64 v[145:146], v[141:142], v[145:146], -v[159:160]
	scratch_load_b128 v[141:144], off, off offset:384
	s_wait_loadcnt_dscnt 0x901
	v_mul_f64_e32 v[155:156], v[2:3], v[40:41]
	v_mul_f64_e32 v[40:41], v[4:5], v[40:41]
	v_add_f64_e32 v[153:154], v[153:154], v[163:164]
	v_add_f64_e32 v[151:152], v[151:152], v[161:162]
	s_delay_alu instid0(VALU_DEP_4) | instskip(NEXT) | instid1(VALU_DEP_4)
	v_fma_f64 v[155:156], v[4:5], v[38:39], v[155:156]
	v_fma_f64 v[161:162], v[2:3], v[38:39], -v[40:41]
	ds_load_b128 v[2:5], v1 offset:1008
	s_wait_loadcnt_dscnt 0x801
	v_mul_f64_e32 v[159:160], v[147:148], v[8:9]
	v_mul_f64_e32 v[8:9], v[149:150], v[8:9]
	scratch_load_b128 v[38:41], off, off offset:400
	s_wait_loadcnt_dscnt 0x800
	v_mul_f64_e32 v[163:164], v[2:3], v[12:13]
	v_add_f64_e32 v[145:146], v[153:154], v[145:146]
	v_add_f64_e32 v[157:158], v[151:152], v[157:158]
	v_mul_f64_e32 v[12:13], v[4:5], v[12:13]
	ds_load_b128 v[151:154], v1 offset:1024
	v_fma_f64 v[149:150], v[149:150], v[6:7], v[159:160]
	v_fma_f64 v[147:148], v[147:148], v[6:7], -v[8:9]
	scratch_load_b128 v[6:9], off, off offset:416
	v_fma_f64 v[159:160], v[4:5], v[10:11], v[163:164]
	v_add_f64_e32 v[145:146], v[145:146], v[161:162]
	v_add_f64_e32 v[155:156], v[157:158], v[155:156]
	v_fma_f64 v[161:162], v[2:3], v[10:11], -v[12:13]
	ds_load_b128 v[2:5], v1 offset:1040
	s_wait_loadcnt_dscnt 0x801
	v_mul_f64_e32 v[157:158], v[151:152], v[16:17]
	v_mul_f64_e32 v[16:17], v[153:154], v[16:17]
	scratch_load_b128 v[10:13], off, off offset:432
	v_add_f64_e32 v[163:164], v[145:146], v[147:148]
	v_add_f64_e32 v[149:150], v[155:156], v[149:150]
	s_wait_loadcnt_dscnt 0x800
	v_mul_f64_e32 v[155:156], v[2:3], v[20:21]
	v_mul_f64_e32 v[20:21], v[4:5], v[20:21]
	v_fma_f64 v[153:154], v[153:154], v[14:15], v[157:158]
	v_fma_f64 v[151:152], v[151:152], v[14:15], -v[16:17]
	ds_load_b128 v[145:148], v1 offset:1056
	scratch_load_b128 v[14:17], off, off offset:448
	v_add_f64_e32 v[157:158], v[163:164], v[161:162]
	v_add_f64_e32 v[149:150], v[149:150], v[159:160]
	v_fma_f64 v[155:156], v[4:5], v[18:19], v[155:156]
	v_fma_f64 v[161:162], v[2:3], v[18:19], -v[20:21]
	ds_load_b128 v[2:5], v1 offset:1072
	s_wait_loadcnt_dscnt 0x801
	v_mul_f64_e32 v[159:160], v[145:146], v[24:25]
	v_mul_f64_e32 v[24:25], v[147:148], v[24:25]
	scratch_load_b128 v[18:21], off, off offset:464
	s_wait_loadcnt_dscnt 0x800
	v_mul_f64_e32 v[163:164], v[2:3], v[28:29]
	v_mul_f64_e32 v[28:29], v[4:5], v[28:29]
	v_add_f64_e32 v[157:158], v[157:158], v[151:152]
	v_add_f64_e32 v[153:154], v[149:150], v[153:154]
	ds_load_b128 v[149:152], v1 offset:1088
	v_fma_f64 v[147:148], v[147:148], v[22:23], v[159:160]
	v_fma_f64 v[145:146], v[145:146], v[22:23], -v[24:25]
	scratch_load_b128 v[22:25], off, off offset:480
	v_fma_f64 v[159:160], v[4:5], v[26:27], v[163:164]
	v_add_f64_e32 v[157:158], v[157:158], v[161:162]
	v_add_f64_e32 v[153:154], v[153:154], v[155:156]
	v_fma_f64 v[161:162], v[2:3], v[26:27], -v[28:29]
	ds_load_b128 v[2:5], v1 offset:1104
	s_wait_loadcnt_dscnt 0x801
	v_mul_f64_e32 v[155:156], v[149:150], v[32:33]
	v_mul_f64_e32 v[32:33], v[151:152], v[32:33]
	scratch_load_b128 v[26:29], off, off offset:496
	s_wait_loadcnt_dscnt 0x800
	v_mul_f64_e32 v[163:164], v[2:3], v[36:37]
	v_mul_f64_e32 v[36:37], v[4:5], v[36:37]
	v_add_f64_e32 v[157:158], v[157:158], v[145:146]
	v_add_f64_e32 v[153:154], v[153:154], v[147:148]
	ds_load_b128 v[145:148], v1 offset:1120
	v_fma_f64 v[151:152], v[151:152], v[30:31], v[155:156]
	v_fma_f64 v[149:150], v[149:150], v[30:31], -v[32:33]
	scratch_load_b128 v[30:33], off, off offset:512
	v_add_f64_e32 v[155:156], v[157:158], v[161:162]
	v_add_f64_e32 v[153:154], v[153:154], v[159:160]
	v_fma_f64 v[159:160], v[4:5], v[34:35], v[163:164]
	v_fma_f64 v[161:162], v[2:3], v[34:35], -v[36:37]
	ds_load_b128 v[2:5], v1 offset:1136
	s_wait_loadcnt_dscnt 0x801
	v_mul_f64_e32 v[157:158], v[145:146], v[143:144]
	v_mul_f64_e32 v[143:144], v[147:148], v[143:144]
	scratch_load_b128 v[34:37], off, off offset:528
	s_wait_loadcnt_dscnt 0x800
	v_mul_f64_e32 v[163:164], v[2:3], v[40:41]
	v_mul_f64_e32 v[40:41], v[4:5], v[40:41]
	v_add_f64_e32 v[155:156], v[155:156], v[149:150]
	v_add_f64_e32 v[153:154], v[153:154], v[151:152]
	ds_load_b128 v[149:152], v1 offset:1152
	v_fma_f64 v[147:148], v[147:148], v[141:142], v[157:158]
	v_fma_f64 v[145:146], v[145:146], v[141:142], -v[143:144]
	scratch_load_b128 v[141:144], off, off offset:544
	v_add_f64_e32 v[155:156], v[155:156], v[161:162]
	v_add_f64_e32 v[153:154], v[153:154], v[159:160]
	v_fma_f64 v[159:160], v[4:5], v[38:39], v[163:164]
	;; [unrolled: 18-line block ×6, first 2 shown]
	v_fma_f64 v[163:164], v[2:3], v[34:35], -v[36:37]
	ds_load_b128 v[2:5], v1 offset:1296
	s_wait_loadcnt_dscnt 0x801
	v_mul_f64_e32 v[157:158], v[149:150], v[143:144]
	v_mul_f64_e32 v[159:160], v[151:152], v[143:144]
	scratch_load_b128 v[34:37], off, off offset:688
	v_add_f64_e32 v[155:156], v[155:156], v[145:146]
	v_add_f64_e32 v[147:148], v[153:154], v[147:148]
	s_wait_loadcnt_dscnt 0x800
	v_mul_f64_e32 v[153:154], v[2:3], v[40:41]
	v_mul_f64_e32 v[40:41], v[4:5], v[40:41]
	ds_load_b128 v[143:146], v1 offset:1312
	v_fma_f64 v[151:152], v[151:152], v[141:142], v[157:158]
	v_fma_f64 v[141:142], v[149:150], v[141:142], -v[159:160]
	v_add_f64_e32 v[155:156], v[155:156], v[163:164]
	v_add_f64_e32 v[157:158], v[147:148], v[161:162]
	scratch_load_b128 v[147:150], off, off offset:704
	v_fma_f64 v[161:162], v[4:5], v[38:39], v[153:154]
	v_fma_f64 v[163:164], v[2:3], v[38:39], -v[40:41]
	ds_load_b128 v[2:5], v1 offset:1328
	s_wait_loadcnt_dscnt 0x801
	v_mul_f64_e32 v[159:160], v[143:144], v[8:9]
	v_mul_f64_e32 v[8:9], v[145:146], v[8:9]
	scratch_load_b128 v[38:41], off, off offset:720
	v_add_f64_e32 v[141:142], v[155:156], v[141:142]
	v_add_f64_e32 v[155:156], v[157:158], v[151:152]
	s_wait_loadcnt_dscnt 0x800
	v_mul_f64_e32 v[157:158], v[2:3], v[12:13]
	v_mul_f64_e32 v[12:13], v[4:5], v[12:13]
	ds_load_b128 v[151:154], v1 offset:1344
	v_fma_f64 v[145:146], v[145:146], v[6:7], v[159:160]
	v_fma_f64 v[143:144], v[143:144], v[6:7], -v[8:9]
	scratch_load_b128 v[6:9], off, off offset:736
	v_add_f64_e32 v[141:142], v[141:142], v[163:164]
	v_add_f64_e32 v[155:156], v[155:156], v[161:162]
	v_fma_f64 v[157:158], v[4:5], v[10:11], v[157:158]
	v_fma_f64 v[161:162], v[2:3], v[10:11], -v[12:13]
	ds_load_b128 v[2:5], v1 offset:1360
	s_wait_loadcnt_dscnt 0x801
	v_mul_f64_e32 v[159:160], v[151:152], v[16:17]
	v_mul_f64_e32 v[16:17], v[153:154], v[16:17]
	scratch_load_b128 v[10:13], off, off offset:752
	v_add_f64_e32 v[163:164], v[141:142], v[143:144]
	v_add_f64_e32 v[145:146], v[155:156], v[145:146]
	s_wait_loadcnt_dscnt 0x800
	v_mul_f64_e32 v[155:156], v[2:3], v[20:21]
	v_mul_f64_e32 v[20:21], v[4:5], v[20:21]
	ds_load_b128 v[141:144], v1 offset:1376
	v_fma_f64 v[153:154], v[153:154], v[14:15], v[159:160]
	v_fma_f64 v[14:15], v[151:152], v[14:15], -v[16:17]
	s_wait_loadcnt_dscnt 0x700
	v_mul_f64_e32 v[151:152], v[141:142], v[24:25]
	v_mul_f64_e32 v[24:25], v[143:144], v[24:25]
	v_add_f64_e32 v[16:17], v[163:164], v[161:162]
	v_add_f64_e32 v[145:146], v[145:146], v[157:158]
	v_fma_f64 v[155:156], v[4:5], v[18:19], v[155:156]
	v_fma_f64 v[18:19], v[2:3], v[18:19], -v[20:21]
	v_fma_f64 v[143:144], v[143:144], v[22:23], v[151:152]
	v_fma_f64 v[22:23], v[141:142], v[22:23], -v[24:25]
	v_add_f64_e32 v[20:21], v[16:17], v[14:15]
	v_add_f64_e32 v[145:146], v[145:146], v[153:154]
	ds_load_b128 v[2:5], v1 offset:1392
	ds_load_b128 v[14:17], v1 offset:1408
	s_wait_loadcnt_dscnt 0x601
	v_mul_f64_e32 v[153:154], v[2:3], v[28:29]
	v_mul_f64_e32 v[28:29], v[4:5], v[28:29]
	s_wait_loadcnt_dscnt 0x500
	v_mul_f64_e32 v[24:25], v[14:15], v[32:33]
	v_mul_f64_e32 v[32:33], v[16:17], v[32:33]
	v_add_f64_e32 v[18:19], v[20:21], v[18:19]
	v_add_f64_e32 v[20:21], v[145:146], v[155:156]
	v_fma_f64 v[141:142], v[4:5], v[26:27], v[153:154]
	v_fma_f64 v[26:27], v[2:3], v[26:27], -v[28:29]
	v_fma_f64 v[16:17], v[16:17], v[30:31], v[24:25]
	v_fma_f64 v[14:15], v[14:15], v[30:31], -v[32:33]
	v_add_f64_e32 v[22:23], v[18:19], v[22:23]
	v_add_f64_e32 v[28:29], v[20:21], v[143:144]
	ds_load_b128 v[2:5], v1 offset:1424
	ds_load_b128 v[18:21], v1 offset:1440
	s_wait_loadcnt_dscnt 0x401
	v_mul_f64_e32 v[143:144], v[2:3], v[36:37]
	v_mul_f64_e32 v[36:37], v[4:5], v[36:37]
	v_add_f64_e32 v[22:23], v[22:23], v[26:27]
	v_add_f64_e32 v[24:25], v[28:29], v[141:142]
	s_wait_loadcnt_dscnt 0x300
	v_mul_f64_e32 v[26:27], v[18:19], v[149:150]
	v_mul_f64_e32 v[28:29], v[20:21], v[149:150]
	v_fma_f64 v[30:31], v[4:5], v[34:35], v[143:144]
	v_fma_f64 v[32:33], v[2:3], v[34:35], -v[36:37]
	v_add_f64_e32 v[22:23], v[22:23], v[14:15]
	v_add_f64_e32 v[24:25], v[24:25], v[16:17]
	ds_load_b128 v[2:5], v1 offset:1456
	ds_load_b128 v[14:17], v1 offset:1472
	v_fma_f64 v[20:21], v[20:21], v[147:148], v[26:27]
	v_fma_f64 v[18:19], v[18:19], v[147:148], -v[28:29]
	s_wait_loadcnt_dscnt 0x201
	v_mul_f64_e32 v[34:35], v[2:3], v[40:41]
	v_mul_f64_e32 v[36:37], v[4:5], v[40:41]
	s_wait_loadcnt_dscnt 0x100
	v_mul_f64_e32 v[26:27], v[14:15], v[8:9]
	v_mul_f64_e32 v[8:9], v[16:17], v[8:9]
	v_add_f64_e32 v[22:23], v[22:23], v[32:33]
	v_add_f64_e32 v[24:25], v[24:25], v[30:31]
	v_fma_f64 v[28:29], v[4:5], v[38:39], v[34:35]
	v_fma_f64 v[30:31], v[2:3], v[38:39], -v[36:37]
	ds_load_b128 v[2:5], v1 offset:1488
	v_fma_f64 v[16:17], v[16:17], v[6:7], v[26:27]
	v_fma_f64 v[6:7], v[14:15], v[6:7], -v[8:9]
	v_add_f64_e32 v[18:19], v[22:23], v[18:19]
	v_add_f64_e32 v[20:21], v[24:25], v[20:21]
	s_wait_loadcnt_dscnt 0x0
	v_mul_f64_e32 v[22:23], v[2:3], v[12:13]
	v_mul_f64_e32 v[12:13], v[4:5], v[12:13]
	s_delay_alu instid0(VALU_DEP_4) | instskip(NEXT) | instid1(VALU_DEP_4)
	v_add_f64_e32 v[8:9], v[18:19], v[30:31]
	v_add_f64_e32 v[14:15], v[20:21], v[28:29]
	s_delay_alu instid0(VALU_DEP_4) | instskip(NEXT) | instid1(VALU_DEP_4)
	v_fma_f64 v[4:5], v[4:5], v[10:11], v[22:23]
	v_fma_f64 v[2:3], v[2:3], v[10:11], -v[12:13]
	s_delay_alu instid0(VALU_DEP_4) | instskip(NEXT) | instid1(VALU_DEP_4)
	v_add_f64_e32 v[6:7], v[8:9], v[6:7]
	v_add_f64_e32 v[8:9], v[14:15], v[16:17]
	s_delay_alu instid0(VALU_DEP_2) | instskip(NEXT) | instid1(VALU_DEP_2)
	v_add_f64_e32 v[2:3], v[6:7], v[2:3]
	v_add_f64_e32 v[4:5], v[8:9], v[4:5]
	s_delay_alu instid0(VALU_DEP_2) | instskip(NEXT) | instid1(VALU_DEP_2)
	v_add_f64_e64 v[2:3], v[42:43], -v[2:3]
	v_add_f64_e64 v[4:5], v[44:45], -v[4:5]
	scratch_store_b128 off, v[2:5], off offset:64
	v_cmpx_lt_u32_e32 2, v0
	s_cbranch_execz .LBB46_291
; %bb.290:
	scratch_load_b128 v[5:8], off, s25
	v_dual_mov_b32 v2, v1 :: v_dual_mov_b32 v3, v1
	v_mov_b32_e32 v4, v1
	scratch_store_b128 off, v[1:4], off offset:48
	s_wait_loadcnt 0x0
	ds_store_b128 v140, v[5:8]
.LBB46_291:
	s_wait_alu 0xfffe
	s_or_b32 exec_lo, exec_lo, s0
	s_wait_storecnt_dscnt 0x0
	s_barrier_signal -1
	s_barrier_wait -1
	global_inv scope:SCOPE_SE
	s_clause 0x8
	scratch_load_b128 v[2:5], off, off offset:64
	scratch_load_b128 v[6:9], off, off offset:80
	;; [unrolled: 1-line block ×9, first 2 shown]
	ds_load_b128 v[42:45], v1 offset:800
	ds_load_b128 v[38:41], v1 offset:816
	s_clause 0x1
	scratch_load_b128 v[141:144], off, off offset:48
	scratch_load_b128 v[145:148], off, off offset:208
	s_mov_b32 s0, exec_lo
	s_wait_loadcnt_dscnt 0xa01
	v_mul_f64_e32 v[149:150], v[44:45], v[4:5]
	v_mul_f64_e32 v[4:5], v[42:43], v[4:5]
	s_wait_loadcnt_dscnt 0x900
	v_mul_f64_e32 v[153:154], v[38:39], v[8:9]
	v_mul_f64_e32 v[8:9], v[40:41], v[8:9]
	s_delay_alu instid0(VALU_DEP_4) | instskip(NEXT) | instid1(VALU_DEP_4)
	v_fma_f64 v[155:156], v[42:43], v[2:3], -v[149:150]
	v_fma_f64 v[157:158], v[44:45], v[2:3], v[4:5]
	ds_load_b128 v[2:5], v1 offset:832
	ds_load_b128 v[149:152], v1 offset:848
	scratch_load_b128 v[42:45], off, off offset:224
	v_fma_f64 v[40:41], v[40:41], v[6:7], v[153:154]
	v_fma_f64 v[38:39], v[38:39], v[6:7], -v[8:9]
	scratch_load_b128 v[6:9], off, off offset:240
	s_wait_loadcnt_dscnt 0xa01
	v_mul_f64_e32 v[159:160], v[2:3], v[12:13]
	v_mul_f64_e32 v[12:13], v[4:5], v[12:13]
	v_add_f64_e32 v[153:154], 0, v[155:156]
	v_add_f64_e32 v[155:156], 0, v[157:158]
	s_wait_loadcnt_dscnt 0x900
	v_mul_f64_e32 v[157:158], v[149:150], v[16:17]
	v_mul_f64_e32 v[16:17], v[151:152], v[16:17]
	v_fma_f64 v[159:160], v[4:5], v[10:11], v[159:160]
	v_fma_f64 v[161:162], v[2:3], v[10:11], -v[12:13]
	ds_load_b128 v[2:5], v1 offset:864
	scratch_load_b128 v[10:13], off, off offset:256
	v_add_f64_e32 v[153:154], v[153:154], v[38:39]
	v_add_f64_e32 v[155:156], v[155:156], v[40:41]
	ds_load_b128 v[38:41], v1 offset:880
	v_fma_f64 v[151:152], v[151:152], v[14:15], v[157:158]
	v_fma_f64 v[149:150], v[149:150], v[14:15], -v[16:17]
	scratch_load_b128 v[14:17], off, off offset:272
	s_wait_loadcnt_dscnt 0xa01
	v_mul_f64_e32 v[163:164], v[2:3], v[20:21]
	v_mul_f64_e32 v[20:21], v[4:5], v[20:21]
	s_wait_loadcnt_dscnt 0x900
	v_mul_f64_e32 v[157:158], v[38:39], v[24:25]
	v_mul_f64_e32 v[24:25], v[40:41], v[24:25]
	v_add_f64_e32 v[153:154], v[153:154], v[161:162]
	v_add_f64_e32 v[155:156], v[155:156], v[159:160]
	v_fma_f64 v[159:160], v[4:5], v[18:19], v[163:164]
	v_fma_f64 v[161:162], v[2:3], v[18:19], -v[20:21]
	ds_load_b128 v[2:5], v1 offset:896
	scratch_load_b128 v[18:21], off, off offset:288
	v_fma_f64 v[40:41], v[40:41], v[22:23], v[157:158]
	v_fma_f64 v[38:39], v[38:39], v[22:23], -v[24:25]
	scratch_load_b128 v[22:25], off, off offset:304
	v_add_f64_e32 v[153:154], v[153:154], v[149:150]
	v_add_f64_e32 v[155:156], v[155:156], v[151:152]
	ds_load_b128 v[149:152], v1 offset:912
	s_wait_loadcnt_dscnt 0xa01
	v_mul_f64_e32 v[163:164], v[2:3], v[28:29]
	v_mul_f64_e32 v[28:29], v[4:5], v[28:29]
	s_wait_loadcnt_dscnt 0x900
	v_mul_f64_e32 v[157:158], v[149:150], v[32:33]
	v_mul_f64_e32 v[32:33], v[151:152], v[32:33]
	v_add_f64_e32 v[153:154], v[153:154], v[161:162]
	v_add_f64_e32 v[155:156], v[155:156], v[159:160]
	v_fma_f64 v[159:160], v[4:5], v[26:27], v[163:164]
	v_fma_f64 v[161:162], v[2:3], v[26:27], -v[28:29]
	ds_load_b128 v[2:5], v1 offset:928
	scratch_load_b128 v[26:29], off, off offset:320
	v_fma_f64 v[151:152], v[151:152], v[30:31], v[157:158]
	v_fma_f64 v[149:150], v[149:150], v[30:31], -v[32:33]
	scratch_load_b128 v[30:33], off, off offset:336
	v_add_f64_e32 v[153:154], v[153:154], v[38:39]
	v_add_f64_e32 v[155:156], v[155:156], v[40:41]
	ds_load_b128 v[38:41], v1 offset:944
	s_wait_loadcnt_dscnt 0xa01
	v_mul_f64_e32 v[163:164], v[2:3], v[36:37]
	v_mul_f64_e32 v[36:37], v[4:5], v[36:37]
	s_wait_loadcnt_dscnt 0x800
	v_mul_f64_e32 v[157:158], v[38:39], v[147:148]
	v_add_f64_e32 v[153:154], v[153:154], v[161:162]
	v_add_f64_e32 v[155:156], v[155:156], v[159:160]
	v_mul_f64_e32 v[159:160], v[40:41], v[147:148]
	v_fma_f64 v[161:162], v[4:5], v[34:35], v[163:164]
	v_fma_f64 v[163:164], v[2:3], v[34:35], -v[36:37]
	ds_load_b128 v[2:5], v1 offset:960
	scratch_load_b128 v[34:37], off, off offset:352
	v_fma_f64 v[157:158], v[40:41], v[145:146], v[157:158]
	v_add_f64_e32 v[153:154], v[153:154], v[149:150]
	v_add_f64_e32 v[151:152], v[155:156], v[151:152]
	ds_load_b128 v[147:150], v1 offset:976
	v_fma_f64 v[145:146], v[38:39], v[145:146], -v[159:160]
	scratch_load_b128 v[38:41], off, off offset:368
	s_wait_loadcnt_dscnt 0x901
	v_mul_f64_e32 v[155:156], v[2:3], v[44:45]
	v_mul_f64_e32 v[44:45], v[4:5], v[44:45]
	s_wait_loadcnt_dscnt 0x800
	v_mul_f64_e32 v[159:160], v[147:148], v[8:9]
	v_mul_f64_e32 v[8:9], v[149:150], v[8:9]
	v_add_f64_e32 v[153:154], v[153:154], v[163:164]
	v_add_f64_e32 v[151:152], v[151:152], v[161:162]
	v_fma_f64 v[155:156], v[4:5], v[42:43], v[155:156]
	v_fma_f64 v[161:162], v[2:3], v[42:43], -v[44:45]
	ds_load_b128 v[2:5], v1 offset:992
	scratch_load_b128 v[42:45], off, off offset:384
	v_fma_f64 v[149:150], v[149:150], v[6:7], v[159:160]
	v_fma_f64 v[147:148], v[147:148], v[6:7], -v[8:9]
	scratch_load_b128 v[6:9], off, off offset:400
	v_add_f64_e32 v[145:146], v[153:154], v[145:146]
	v_add_f64_e32 v[157:158], v[151:152], v[157:158]
	ds_load_b128 v[151:154], v1 offset:1008
	s_wait_loadcnt_dscnt 0x901
	v_mul_f64_e32 v[163:164], v[2:3], v[12:13]
	v_mul_f64_e32 v[12:13], v[4:5], v[12:13]
	v_add_f64_e32 v[145:146], v[145:146], v[161:162]
	v_add_f64_e32 v[155:156], v[157:158], v[155:156]
	s_wait_loadcnt_dscnt 0x800
	v_mul_f64_e32 v[157:158], v[151:152], v[16:17]
	v_mul_f64_e32 v[16:17], v[153:154], v[16:17]
	v_fma_f64 v[159:160], v[4:5], v[10:11], v[163:164]
	v_fma_f64 v[161:162], v[2:3], v[10:11], -v[12:13]
	ds_load_b128 v[2:5], v1 offset:1024
	scratch_load_b128 v[10:13], off, off offset:416
	v_add_f64_e32 v[163:164], v[145:146], v[147:148]
	v_add_f64_e32 v[149:150], v[155:156], v[149:150]
	ds_load_b128 v[145:148], v1 offset:1040
	s_wait_loadcnt_dscnt 0x801
	v_mul_f64_e32 v[155:156], v[2:3], v[20:21]
	v_mul_f64_e32 v[20:21], v[4:5], v[20:21]
	v_fma_f64 v[153:154], v[153:154], v[14:15], v[157:158]
	v_fma_f64 v[151:152], v[151:152], v[14:15], -v[16:17]
	scratch_load_b128 v[14:17], off, off offset:432
	v_add_f64_e32 v[157:158], v[163:164], v[161:162]
	v_add_f64_e32 v[149:150], v[149:150], v[159:160]
	s_wait_loadcnt_dscnt 0x800
	v_mul_f64_e32 v[159:160], v[145:146], v[24:25]
	v_mul_f64_e32 v[24:25], v[147:148], v[24:25]
	v_fma_f64 v[155:156], v[4:5], v[18:19], v[155:156]
	v_fma_f64 v[161:162], v[2:3], v[18:19], -v[20:21]
	ds_load_b128 v[2:5], v1 offset:1056
	scratch_load_b128 v[18:21], off, off offset:448
	v_add_f64_e32 v[157:158], v[157:158], v[151:152]
	v_add_f64_e32 v[153:154], v[149:150], v[153:154]
	ds_load_b128 v[149:152], v1 offset:1072
	s_wait_loadcnt_dscnt 0x801
	v_mul_f64_e32 v[163:164], v[2:3], v[28:29]
	v_mul_f64_e32 v[28:29], v[4:5], v[28:29]
	v_fma_f64 v[147:148], v[147:148], v[22:23], v[159:160]
	v_fma_f64 v[145:146], v[145:146], v[22:23], -v[24:25]
	scratch_load_b128 v[22:25], off, off offset:464
	;; [unrolled: 18-line block ×4, first 2 shown]
	s_wait_loadcnt_dscnt 0x800
	v_mul_f64_e32 v[157:158], v[149:150], v[8:9]
	v_mul_f64_e32 v[8:9], v[151:152], v[8:9]
	v_add_f64_e32 v[155:156], v[155:156], v[161:162]
	v_add_f64_e32 v[153:154], v[153:154], v[159:160]
	v_fma_f64 v[159:160], v[4:5], v[42:43], v[163:164]
	v_fma_f64 v[161:162], v[2:3], v[42:43], -v[44:45]
	ds_load_b128 v[2:5], v1 offset:1152
	scratch_load_b128 v[42:45], off, off offset:544
	v_fma_f64 v[151:152], v[151:152], v[6:7], v[157:158]
	v_fma_f64 v[149:150], v[149:150], v[6:7], -v[8:9]
	scratch_load_b128 v[6:9], off, off offset:560
	v_add_f64_e32 v[155:156], v[155:156], v[145:146]
	v_add_f64_e32 v[153:154], v[153:154], v[147:148]
	ds_load_b128 v[145:148], v1 offset:1168
	s_wait_loadcnt_dscnt 0x901
	v_mul_f64_e32 v[163:164], v[2:3], v[12:13]
	v_mul_f64_e32 v[12:13], v[4:5], v[12:13]
	s_wait_loadcnt_dscnt 0x800
	v_mul_f64_e32 v[157:158], v[145:146], v[16:17]
	v_mul_f64_e32 v[16:17], v[147:148], v[16:17]
	v_add_f64_e32 v[155:156], v[155:156], v[161:162]
	v_add_f64_e32 v[153:154], v[153:154], v[159:160]
	v_fma_f64 v[159:160], v[4:5], v[10:11], v[163:164]
	v_fma_f64 v[161:162], v[2:3], v[10:11], -v[12:13]
	ds_load_b128 v[2:5], v1 offset:1184
	scratch_load_b128 v[10:13], off, off offset:576
	v_fma_f64 v[147:148], v[147:148], v[14:15], v[157:158]
	v_fma_f64 v[145:146], v[145:146], v[14:15], -v[16:17]
	scratch_load_b128 v[14:17], off, off offset:592
	v_add_f64_e32 v[155:156], v[155:156], v[149:150]
	v_add_f64_e32 v[153:154], v[153:154], v[151:152]
	ds_load_b128 v[149:152], v1 offset:1200
	s_wait_loadcnt_dscnt 0x901
	v_mul_f64_e32 v[163:164], v[2:3], v[20:21]
	v_mul_f64_e32 v[20:21], v[4:5], v[20:21]
	;; [unrolled: 18-line block ×7, first 2 shown]
	s_wait_loadcnt_dscnt 0x800
	v_mul_f64_e32 v[157:158], v[145:146], v[24:25]
	v_mul_f64_e32 v[24:25], v[147:148], v[24:25]
	v_add_f64_e32 v[155:156], v[155:156], v[161:162]
	v_add_f64_e32 v[153:154], v[153:154], v[159:160]
	v_fma_f64 v[159:160], v[4:5], v[18:19], v[163:164]
	v_fma_f64 v[161:162], v[2:3], v[18:19], -v[20:21]
	ds_load_b128 v[2:5], v1 offset:1376
	ds_load_b128 v[18:21], v1 offset:1392
	v_fma_f64 v[147:148], v[147:148], v[22:23], v[157:158]
	v_fma_f64 v[22:23], v[145:146], v[22:23], -v[24:25]
	v_add_f64_e32 v[149:150], v[155:156], v[149:150]
	v_add_f64_e32 v[151:152], v[153:154], v[151:152]
	s_wait_loadcnt_dscnt 0x701
	v_mul_f64_e32 v[153:154], v[2:3], v[28:29]
	v_mul_f64_e32 v[28:29], v[4:5], v[28:29]
	s_delay_alu instid0(VALU_DEP_4) | instskip(NEXT) | instid1(VALU_DEP_4)
	v_add_f64_e32 v[24:25], v[149:150], v[161:162]
	v_add_f64_e32 v[145:146], v[151:152], v[159:160]
	s_wait_loadcnt_dscnt 0x600
	v_mul_f64_e32 v[149:150], v[18:19], v[32:33]
	v_mul_f64_e32 v[32:33], v[20:21], v[32:33]
	v_fma_f64 v[151:152], v[4:5], v[26:27], v[153:154]
	v_fma_f64 v[26:27], v[2:3], v[26:27], -v[28:29]
	v_add_f64_e32 v[28:29], v[24:25], v[22:23]
	v_add_f64_e32 v[145:146], v[145:146], v[147:148]
	ds_load_b128 v[2:5], v1 offset:1408
	ds_load_b128 v[22:25], v1 offset:1424
	v_fma_f64 v[20:21], v[20:21], v[30:31], v[149:150]
	v_fma_f64 v[18:19], v[18:19], v[30:31], -v[32:33]
	s_wait_loadcnt_dscnt 0x501
	v_mul_f64_e32 v[147:148], v[2:3], v[36:37]
	v_mul_f64_e32 v[36:37], v[4:5], v[36:37]
	s_wait_loadcnt_dscnt 0x400
	v_mul_f64_e32 v[30:31], v[22:23], v[40:41]
	v_mul_f64_e32 v[32:33], v[24:25], v[40:41]
	v_add_f64_e32 v[26:27], v[28:29], v[26:27]
	v_add_f64_e32 v[28:29], v[145:146], v[151:152]
	v_fma_f64 v[40:41], v[4:5], v[34:35], v[147:148]
	v_fma_f64 v[34:35], v[2:3], v[34:35], -v[36:37]
	v_fma_f64 v[24:25], v[24:25], v[38:39], v[30:31]
	v_fma_f64 v[22:23], v[22:23], v[38:39], -v[32:33]
	v_add_f64_e32 v[26:27], v[26:27], v[18:19]
	v_add_f64_e32 v[28:29], v[28:29], v[20:21]
	ds_load_b128 v[2:5], v1 offset:1440
	ds_load_b128 v[18:21], v1 offset:1456
	s_wait_loadcnt_dscnt 0x301
	v_mul_f64_e32 v[36:37], v[2:3], v[44:45]
	v_mul_f64_e32 v[44:45], v[4:5], v[44:45]
	s_wait_loadcnt_dscnt 0x200
	v_mul_f64_e32 v[30:31], v[18:19], v[8:9]
	v_mul_f64_e32 v[8:9], v[20:21], v[8:9]
	v_add_f64_e32 v[26:27], v[26:27], v[34:35]
	v_add_f64_e32 v[28:29], v[28:29], v[40:41]
	v_fma_f64 v[32:33], v[4:5], v[42:43], v[36:37]
	v_fma_f64 v[34:35], v[2:3], v[42:43], -v[44:45]
	v_fma_f64 v[20:21], v[20:21], v[6:7], v[30:31]
	v_fma_f64 v[6:7], v[18:19], v[6:7], -v[8:9]
	v_add_f64_e32 v[26:27], v[26:27], v[22:23]
	v_add_f64_e32 v[28:29], v[28:29], v[24:25]
	ds_load_b128 v[2:5], v1 offset:1472
	ds_load_b128 v[22:25], v1 offset:1488
	s_wait_loadcnt_dscnt 0x101
	v_mul_f64_e32 v[36:37], v[2:3], v[12:13]
	v_mul_f64_e32 v[12:13], v[4:5], v[12:13]
	v_add_f64_e32 v[8:9], v[26:27], v[34:35]
	v_add_f64_e32 v[18:19], v[28:29], v[32:33]
	s_wait_loadcnt_dscnt 0x0
	v_mul_f64_e32 v[26:27], v[22:23], v[16:17]
	v_mul_f64_e32 v[16:17], v[24:25], v[16:17]
	v_fma_f64 v[4:5], v[4:5], v[10:11], v[36:37]
	v_fma_f64 v[1:2], v[2:3], v[10:11], -v[12:13]
	v_add_f64_e32 v[6:7], v[8:9], v[6:7]
	v_add_f64_e32 v[8:9], v[18:19], v[20:21]
	v_fma_f64 v[10:11], v[24:25], v[14:15], v[26:27]
	v_fma_f64 v[12:13], v[22:23], v[14:15], -v[16:17]
	s_delay_alu instid0(VALU_DEP_4) | instskip(NEXT) | instid1(VALU_DEP_4)
	v_add_f64_e32 v[1:2], v[6:7], v[1:2]
	v_add_f64_e32 v[3:4], v[8:9], v[4:5]
	s_delay_alu instid0(VALU_DEP_2) | instskip(NEXT) | instid1(VALU_DEP_2)
	v_add_f64_e32 v[1:2], v[1:2], v[12:13]
	v_add_f64_e32 v[3:4], v[3:4], v[10:11]
	s_delay_alu instid0(VALU_DEP_2) | instskip(NEXT) | instid1(VALU_DEP_2)
	v_add_f64_e64 v[1:2], v[141:142], -v[1:2]
	v_add_f64_e64 v[3:4], v[143:144], -v[3:4]
	scratch_store_b128 off, v[1:4], off offset:48
	v_cmpx_lt_u32_e32 1, v0
	s_cbranch_execz .LBB46_293
; %bb.292:
	scratch_load_b128 v[1:4], off, s26
	v_mov_b32_e32 v5, 0
	s_delay_alu instid0(VALU_DEP_1)
	v_dual_mov_b32 v6, v5 :: v_dual_mov_b32 v7, v5
	v_mov_b32_e32 v8, v5
	scratch_store_b128 off, v[5:8], off offset:32
	s_wait_loadcnt 0x0
	ds_store_b128 v140, v[1:4]
.LBB46_293:
	s_wait_alu 0xfffe
	s_or_b32 exec_lo, exec_lo, s0
	s_wait_storecnt_dscnt 0x0
	s_barrier_signal -1
	s_barrier_wait -1
	global_inv scope:SCOPE_SE
	s_clause 0x7
	scratch_load_b128 v[2:5], off, off offset:48
	scratch_load_b128 v[6:9], off, off offset:64
	;; [unrolled: 1-line block ×8, first 2 shown]
	v_mov_b32_e32 v1, 0
	s_mov_b32 s0, exec_lo
	ds_load_b128 v[38:41], v1 offset:784
	s_clause 0x1
	scratch_load_b128 v[34:37], off, off offset:176
	scratch_load_b128 v[42:45], off, off offset:32
	ds_load_b128 v[141:144], v1 offset:800
	scratch_load_b128 v[145:148], off, off offset:192
	s_wait_loadcnt_dscnt 0xa01
	v_mul_f64_e32 v[149:150], v[40:41], v[4:5]
	v_mul_f64_e32 v[4:5], v[38:39], v[4:5]
	s_delay_alu instid0(VALU_DEP_2) | instskip(NEXT) | instid1(VALU_DEP_2)
	v_fma_f64 v[155:156], v[38:39], v[2:3], -v[149:150]
	v_fma_f64 v[157:158], v[40:41], v[2:3], v[4:5]
	ds_load_b128 v[2:5], v1 offset:816
	s_wait_loadcnt_dscnt 0x901
	v_mul_f64_e32 v[153:154], v[141:142], v[8:9]
	v_mul_f64_e32 v[8:9], v[143:144], v[8:9]
	scratch_load_b128 v[38:41], off, off offset:208
	ds_load_b128 v[149:152], v1 offset:832
	s_wait_loadcnt_dscnt 0x901
	v_mul_f64_e32 v[159:160], v[2:3], v[12:13]
	v_mul_f64_e32 v[12:13], v[4:5], v[12:13]
	v_fma_f64 v[143:144], v[143:144], v[6:7], v[153:154]
	v_fma_f64 v[141:142], v[141:142], v[6:7], -v[8:9]
	v_add_f64_e32 v[153:154], 0, v[155:156]
	v_add_f64_e32 v[155:156], 0, v[157:158]
	scratch_load_b128 v[6:9], off, off offset:224
	v_fma_f64 v[159:160], v[4:5], v[10:11], v[159:160]
	v_fma_f64 v[161:162], v[2:3], v[10:11], -v[12:13]
	ds_load_b128 v[2:5], v1 offset:848
	s_wait_loadcnt_dscnt 0x901
	v_mul_f64_e32 v[157:158], v[149:150], v[16:17]
	v_mul_f64_e32 v[16:17], v[151:152], v[16:17]
	scratch_load_b128 v[10:13], off, off offset:240
	v_add_f64_e32 v[153:154], v[153:154], v[141:142]
	v_add_f64_e32 v[155:156], v[155:156], v[143:144]
	s_wait_loadcnt_dscnt 0x900
	v_mul_f64_e32 v[163:164], v[2:3], v[20:21]
	v_mul_f64_e32 v[20:21], v[4:5], v[20:21]
	ds_load_b128 v[141:144], v1 offset:864
	v_fma_f64 v[151:152], v[151:152], v[14:15], v[157:158]
	v_fma_f64 v[149:150], v[149:150], v[14:15], -v[16:17]
	scratch_load_b128 v[14:17], off, off offset:256
	v_add_f64_e32 v[153:154], v[153:154], v[161:162]
	v_add_f64_e32 v[155:156], v[155:156], v[159:160]
	v_fma_f64 v[159:160], v[4:5], v[18:19], v[163:164]
	v_fma_f64 v[161:162], v[2:3], v[18:19], -v[20:21]
	ds_load_b128 v[2:5], v1 offset:880
	s_wait_loadcnt_dscnt 0x901
	v_mul_f64_e32 v[157:158], v[141:142], v[24:25]
	v_mul_f64_e32 v[24:25], v[143:144], v[24:25]
	scratch_load_b128 v[18:21], off, off offset:272
	s_wait_loadcnt_dscnt 0x900
	v_mul_f64_e32 v[163:164], v[2:3], v[28:29]
	v_mul_f64_e32 v[28:29], v[4:5], v[28:29]
	v_add_f64_e32 v[153:154], v[153:154], v[149:150]
	v_add_f64_e32 v[155:156], v[155:156], v[151:152]
	ds_load_b128 v[149:152], v1 offset:896
	v_fma_f64 v[143:144], v[143:144], v[22:23], v[157:158]
	v_fma_f64 v[141:142], v[141:142], v[22:23], -v[24:25]
	scratch_load_b128 v[22:25], off, off offset:288
	v_add_f64_e32 v[153:154], v[153:154], v[161:162]
	v_add_f64_e32 v[155:156], v[155:156], v[159:160]
	v_fma_f64 v[159:160], v[4:5], v[26:27], v[163:164]
	v_fma_f64 v[161:162], v[2:3], v[26:27], -v[28:29]
	ds_load_b128 v[2:5], v1 offset:912
	s_wait_loadcnt_dscnt 0x901
	v_mul_f64_e32 v[157:158], v[149:150], v[32:33]
	v_mul_f64_e32 v[32:33], v[151:152], v[32:33]
	scratch_load_b128 v[26:29], off, off offset:304
	s_wait_loadcnt_dscnt 0x900
	v_mul_f64_e32 v[163:164], v[2:3], v[36:37]
	v_mul_f64_e32 v[36:37], v[4:5], v[36:37]
	v_add_f64_e32 v[153:154], v[153:154], v[141:142]
	v_add_f64_e32 v[155:156], v[155:156], v[143:144]
	ds_load_b128 v[141:144], v1 offset:928
	v_fma_f64 v[151:152], v[151:152], v[30:31], v[157:158]
	v_fma_f64 v[149:150], v[149:150], v[30:31], -v[32:33]
	scratch_load_b128 v[30:33], off, off offset:320
	v_add_f64_e32 v[153:154], v[153:154], v[161:162]
	v_add_f64_e32 v[155:156], v[155:156], v[159:160]
	v_fma_f64 v[161:162], v[4:5], v[34:35], v[163:164]
	v_fma_f64 v[163:164], v[2:3], v[34:35], -v[36:37]
	ds_load_b128 v[2:5], v1 offset:944
	s_wait_loadcnt_dscnt 0x801
	v_mul_f64_e32 v[157:158], v[141:142], v[147:148]
	v_mul_f64_e32 v[159:160], v[143:144], v[147:148]
	scratch_load_b128 v[34:37], off, off offset:336
	v_add_f64_e32 v[153:154], v[153:154], v[149:150]
	v_add_f64_e32 v[151:152], v[155:156], v[151:152]
	ds_load_b128 v[147:150], v1 offset:960
	v_fma_f64 v[157:158], v[143:144], v[145:146], v[157:158]
	v_fma_f64 v[145:146], v[141:142], v[145:146], -v[159:160]
	scratch_load_b128 v[141:144], off, off offset:352
	s_wait_loadcnt_dscnt 0x901
	v_mul_f64_e32 v[155:156], v[2:3], v[40:41]
	v_mul_f64_e32 v[40:41], v[4:5], v[40:41]
	v_add_f64_e32 v[153:154], v[153:154], v[163:164]
	v_add_f64_e32 v[151:152], v[151:152], v[161:162]
	s_delay_alu instid0(VALU_DEP_4) | instskip(NEXT) | instid1(VALU_DEP_4)
	v_fma_f64 v[155:156], v[4:5], v[38:39], v[155:156]
	v_fma_f64 v[161:162], v[2:3], v[38:39], -v[40:41]
	ds_load_b128 v[2:5], v1 offset:976
	s_wait_loadcnt_dscnt 0x801
	v_mul_f64_e32 v[159:160], v[147:148], v[8:9]
	v_mul_f64_e32 v[8:9], v[149:150], v[8:9]
	scratch_load_b128 v[38:41], off, off offset:368
	s_wait_loadcnt_dscnt 0x800
	v_mul_f64_e32 v[163:164], v[2:3], v[12:13]
	v_add_f64_e32 v[145:146], v[153:154], v[145:146]
	v_add_f64_e32 v[157:158], v[151:152], v[157:158]
	v_mul_f64_e32 v[12:13], v[4:5], v[12:13]
	ds_load_b128 v[151:154], v1 offset:992
	v_fma_f64 v[149:150], v[149:150], v[6:7], v[159:160]
	v_fma_f64 v[147:148], v[147:148], v[6:7], -v[8:9]
	scratch_load_b128 v[6:9], off, off offset:384
	v_fma_f64 v[159:160], v[4:5], v[10:11], v[163:164]
	v_add_f64_e32 v[145:146], v[145:146], v[161:162]
	v_add_f64_e32 v[155:156], v[157:158], v[155:156]
	v_fma_f64 v[161:162], v[2:3], v[10:11], -v[12:13]
	ds_load_b128 v[2:5], v1 offset:1008
	s_wait_loadcnt_dscnt 0x801
	v_mul_f64_e32 v[157:158], v[151:152], v[16:17]
	v_mul_f64_e32 v[16:17], v[153:154], v[16:17]
	scratch_load_b128 v[10:13], off, off offset:400
	v_add_f64_e32 v[163:164], v[145:146], v[147:148]
	v_add_f64_e32 v[149:150], v[155:156], v[149:150]
	s_wait_loadcnt_dscnt 0x800
	v_mul_f64_e32 v[155:156], v[2:3], v[20:21]
	v_mul_f64_e32 v[20:21], v[4:5], v[20:21]
	v_fma_f64 v[153:154], v[153:154], v[14:15], v[157:158]
	v_fma_f64 v[151:152], v[151:152], v[14:15], -v[16:17]
	ds_load_b128 v[145:148], v1 offset:1024
	scratch_load_b128 v[14:17], off, off offset:416
	v_add_f64_e32 v[157:158], v[163:164], v[161:162]
	v_add_f64_e32 v[149:150], v[149:150], v[159:160]
	v_fma_f64 v[155:156], v[4:5], v[18:19], v[155:156]
	v_fma_f64 v[161:162], v[2:3], v[18:19], -v[20:21]
	ds_load_b128 v[2:5], v1 offset:1040
	s_wait_loadcnt_dscnt 0x801
	v_mul_f64_e32 v[159:160], v[145:146], v[24:25]
	v_mul_f64_e32 v[24:25], v[147:148], v[24:25]
	scratch_load_b128 v[18:21], off, off offset:432
	s_wait_loadcnt_dscnt 0x800
	v_mul_f64_e32 v[163:164], v[2:3], v[28:29]
	v_mul_f64_e32 v[28:29], v[4:5], v[28:29]
	v_add_f64_e32 v[157:158], v[157:158], v[151:152]
	v_add_f64_e32 v[153:154], v[149:150], v[153:154]
	ds_load_b128 v[149:152], v1 offset:1056
	v_fma_f64 v[147:148], v[147:148], v[22:23], v[159:160]
	v_fma_f64 v[145:146], v[145:146], v[22:23], -v[24:25]
	scratch_load_b128 v[22:25], off, off offset:448
	v_fma_f64 v[159:160], v[4:5], v[26:27], v[163:164]
	v_add_f64_e32 v[157:158], v[157:158], v[161:162]
	v_add_f64_e32 v[153:154], v[153:154], v[155:156]
	v_fma_f64 v[161:162], v[2:3], v[26:27], -v[28:29]
	ds_load_b128 v[2:5], v1 offset:1072
	s_wait_loadcnt_dscnt 0x801
	v_mul_f64_e32 v[155:156], v[149:150], v[32:33]
	v_mul_f64_e32 v[32:33], v[151:152], v[32:33]
	scratch_load_b128 v[26:29], off, off offset:464
	s_wait_loadcnt_dscnt 0x800
	v_mul_f64_e32 v[163:164], v[2:3], v[36:37]
	v_mul_f64_e32 v[36:37], v[4:5], v[36:37]
	v_add_f64_e32 v[157:158], v[157:158], v[145:146]
	v_add_f64_e32 v[153:154], v[153:154], v[147:148]
	ds_load_b128 v[145:148], v1 offset:1088
	v_fma_f64 v[151:152], v[151:152], v[30:31], v[155:156]
	v_fma_f64 v[149:150], v[149:150], v[30:31], -v[32:33]
	scratch_load_b128 v[30:33], off, off offset:480
	v_add_f64_e32 v[155:156], v[157:158], v[161:162]
	v_add_f64_e32 v[153:154], v[153:154], v[159:160]
	v_fma_f64 v[159:160], v[4:5], v[34:35], v[163:164]
	v_fma_f64 v[161:162], v[2:3], v[34:35], -v[36:37]
	ds_load_b128 v[2:5], v1 offset:1104
	s_wait_loadcnt_dscnt 0x801
	v_mul_f64_e32 v[157:158], v[145:146], v[143:144]
	v_mul_f64_e32 v[143:144], v[147:148], v[143:144]
	scratch_load_b128 v[34:37], off, off offset:496
	s_wait_loadcnt_dscnt 0x800
	v_mul_f64_e32 v[163:164], v[2:3], v[40:41]
	v_mul_f64_e32 v[40:41], v[4:5], v[40:41]
	v_add_f64_e32 v[155:156], v[155:156], v[149:150]
	v_add_f64_e32 v[153:154], v[153:154], v[151:152]
	ds_load_b128 v[149:152], v1 offset:1120
	v_fma_f64 v[147:148], v[147:148], v[141:142], v[157:158]
	v_fma_f64 v[145:146], v[145:146], v[141:142], -v[143:144]
	scratch_load_b128 v[141:144], off, off offset:512
	v_add_f64_e32 v[155:156], v[155:156], v[161:162]
	v_add_f64_e32 v[153:154], v[153:154], v[159:160]
	v_fma_f64 v[159:160], v[4:5], v[38:39], v[163:164]
	;; [unrolled: 18-line block ×6, first 2 shown]
	v_fma_f64 v[163:164], v[2:3], v[34:35], -v[36:37]
	ds_load_b128 v[2:5], v1 offset:1264
	s_wait_loadcnt_dscnt 0x801
	v_mul_f64_e32 v[157:158], v[149:150], v[143:144]
	v_mul_f64_e32 v[159:160], v[151:152], v[143:144]
	scratch_load_b128 v[34:37], off, off offset:656
	v_add_f64_e32 v[155:156], v[155:156], v[145:146]
	v_add_f64_e32 v[147:148], v[153:154], v[147:148]
	s_wait_loadcnt_dscnt 0x800
	v_mul_f64_e32 v[153:154], v[2:3], v[40:41]
	v_mul_f64_e32 v[40:41], v[4:5], v[40:41]
	ds_load_b128 v[143:146], v1 offset:1280
	v_fma_f64 v[151:152], v[151:152], v[141:142], v[157:158]
	v_fma_f64 v[141:142], v[149:150], v[141:142], -v[159:160]
	v_add_f64_e32 v[155:156], v[155:156], v[163:164]
	v_add_f64_e32 v[157:158], v[147:148], v[161:162]
	scratch_load_b128 v[147:150], off, off offset:672
	v_fma_f64 v[161:162], v[4:5], v[38:39], v[153:154]
	v_fma_f64 v[163:164], v[2:3], v[38:39], -v[40:41]
	ds_load_b128 v[2:5], v1 offset:1296
	s_wait_loadcnt_dscnt 0x801
	v_mul_f64_e32 v[159:160], v[143:144], v[8:9]
	v_mul_f64_e32 v[8:9], v[145:146], v[8:9]
	scratch_load_b128 v[38:41], off, off offset:688
	v_add_f64_e32 v[141:142], v[155:156], v[141:142]
	v_add_f64_e32 v[155:156], v[157:158], v[151:152]
	s_wait_loadcnt_dscnt 0x800
	v_mul_f64_e32 v[157:158], v[2:3], v[12:13]
	v_mul_f64_e32 v[12:13], v[4:5], v[12:13]
	ds_load_b128 v[151:154], v1 offset:1312
	v_fma_f64 v[145:146], v[145:146], v[6:7], v[159:160]
	v_fma_f64 v[143:144], v[143:144], v[6:7], -v[8:9]
	scratch_load_b128 v[6:9], off, off offset:704
	v_add_f64_e32 v[141:142], v[141:142], v[163:164]
	v_add_f64_e32 v[155:156], v[155:156], v[161:162]
	v_fma_f64 v[157:158], v[4:5], v[10:11], v[157:158]
	v_fma_f64 v[161:162], v[2:3], v[10:11], -v[12:13]
	ds_load_b128 v[2:5], v1 offset:1328
	s_wait_loadcnt_dscnt 0x801
	v_mul_f64_e32 v[159:160], v[151:152], v[16:17]
	v_mul_f64_e32 v[16:17], v[153:154], v[16:17]
	scratch_load_b128 v[10:13], off, off offset:720
	v_add_f64_e32 v[163:164], v[141:142], v[143:144]
	v_add_f64_e32 v[145:146], v[155:156], v[145:146]
	s_wait_loadcnt_dscnt 0x800
	v_mul_f64_e32 v[155:156], v[2:3], v[20:21]
	v_mul_f64_e32 v[20:21], v[4:5], v[20:21]
	ds_load_b128 v[141:144], v1 offset:1344
	v_fma_f64 v[153:154], v[153:154], v[14:15], v[159:160]
	v_fma_f64 v[151:152], v[151:152], v[14:15], -v[16:17]
	scratch_load_b128 v[14:17], off, off offset:736
	v_add_f64_e32 v[159:160], v[163:164], v[161:162]
	v_add_f64_e32 v[145:146], v[145:146], v[157:158]
	v_fma_f64 v[155:156], v[4:5], v[18:19], v[155:156]
	v_fma_f64 v[161:162], v[2:3], v[18:19], -v[20:21]
	ds_load_b128 v[2:5], v1 offset:1360
	s_wait_loadcnt_dscnt 0x801
	v_mul_f64_e32 v[157:158], v[141:142], v[24:25]
	v_mul_f64_e32 v[24:25], v[143:144], v[24:25]
	scratch_load_b128 v[18:21], off, off offset:752
	s_wait_loadcnt_dscnt 0x800
	v_mul_f64_e32 v[163:164], v[2:3], v[28:29]
	v_mul_f64_e32 v[28:29], v[4:5], v[28:29]
	v_add_f64_e32 v[159:160], v[159:160], v[151:152]
	v_add_f64_e32 v[145:146], v[145:146], v[153:154]
	ds_load_b128 v[151:154], v1 offset:1376
	v_fma_f64 v[143:144], v[143:144], v[22:23], v[157:158]
	v_fma_f64 v[22:23], v[141:142], v[22:23], -v[24:25]
	v_add_f64_e32 v[24:25], v[159:160], v[161:162]
	v_add_f64_e32 v[141:142], v[145:146], v[155:156]
	s_wait_loadcnt_dscnt 0x700
	v_mul_f64_e32 v[145:146], v[151:152], v[32:33]
	v_mul_f64_e32 v[32:33], v[153:154], v[32:33]
	v_fma_f64 v[155:156], v[4:5], v[26:27], v[163:164]
	v_fma_f64 v[26:27], v[2:3], v[26:27], -v[28:29]
	v_add_f64_e32 v[28:29], v[24:25], v[22:23]
	v_add_f64_e32 v[141:142], v[141:142], v[143:144]
	ds_load_b128 v[2:5], v1 offset:1392
	ds_load_b128 v[22:25], v1 offset:1408
	v_fma_f64 v[145:146], v[153:154], v[30:31], v[145:146]
	v_fma_f64 v[30:31], v[151:152], v[30:31], -v[32:33]
	s_wait_loadcnt_dscnt 0x601
	v_mul_f64_e32 v[143:144], v[2:3], v[36:37]
	v_mul_f64_e32 v[36:37], v[4:5], v[36:37]
	v_add_f64_e32 v[26:27], v[28:29], v[26:27]
	v_add_f64_e32 v[28:29], v[141:142], v[155:156]
	s_wait_loadcnt_dscnt 0x500
	v_mul_f64_e32 v[32:33], v[22:23], v[149:150]
	v_mul_f64_e32 v[141:142], v[24:25], v[149:150]
	v_fma_f64 v[143:144], v[4:5], v[34:35], v[143:144]
	v_fma_f64 v[34:35], v[2:3], v[34:35], -v[36:37]
	v_add_f64_e32 v[30:31], v[26:27], v[30:31]
	v_add_f64_e32 v[36:37], v[28:29], v[145:146]
	ds_load_b128 v[2:5], v1 offset:1424
	ds_load_b128 v[26:29], v1 offset:1440
	v_fma_f64 v[24:25], v[24:25], v[147:148], v[32:33]
	v_fma_f64 v[22:23], v[22:23], v[147:148], -v[141:142]
	s_wait_loadcnt_dscnt 0x401
	v_mul_f64_e32 v[145:146], v[2:3], v[40:41]
	v_mul_f64_e32 v[40:41], v[4:5], v[40:41]
	;; [unrolled: 16-line block ×3, first 2 shown]
	v_add_f64_e32 v[8:9], v[30:31], v[38:39]
	v_add_f64_e32 v[26:27], v[32:33], v[36:37]
	s_wait_loadcnt_dscnt 0x100
	v_mul_f64_e32 v[30:31], v[22:23], v[16:17]
	v_mul_f64_e32 v[16:17], v[24:25], v[16:17]
	v_fma_f64 v[32:33], v[4:5], v[10:11], v[40:41]
	v_fma_f64 v[10:11], v[2:3], v[10:11], -v[12:13]
	ds_load_b128 v[2:5], v1 offset:1488
	v_add_f64_e32 v[6:7], v[8:9], v[6:7]
	v_add_f64_e32 v[8:9], v[26:27], v[28:29]
	v_fma_f64 v[24:25], v[24:25], v[14:15], v[30:31]
	v_fma_f64 v[14:15], v[22:23], v[14:15], -v[16:17]
	s_wait_loadcnt_dscnt 0x0
	v_mul_f64_e32 v[12:13], v[2:3], v[20:21]
	v_mul_f64_e32 v[20:21], v[4:5], v[20:21]
	v_add_f64_e32 v[6:7], v[6:7], v[10:11]
	v_add_f64_e32 v[8:9], v[8:9], v[32:33]
	s_delay_alu instid0(VALU_DEP_4) | instskip(NEXT) | instid1(VALU_DEP_4)
	v_fma_f64 v[4:5], v[4:5], v[18:19], v[12:13]
	v_fma_f64 v[2:3], v[2:3], v[18:19], -v[20:21]
	s_delay_alu instid0(VALU_DEP_4) | instskip(NEXT) | instid1(VALU_DEP_4)
	v_add_f64_e32 v[6:7], v[6:7], v[14:15]
	v_add_f64_e32 v[8:9], v[8:9], v[24:25]
	s_delay_alu instid0(VALU_DEP_2) | instskip(NEXT) | instid1(VALU_DEP_2)
	v_add_f64_e32 v[2:3], v[6:7], v[2:3]
	v_add_f64_e32 v[4:5], v[8:9], v[4:5]
	s_delay_alu instid0(VALU_DEP_2) | instskip(NEXT) | instid1(VALU_DEP_2)
	v_add_f64_e64 v[2:3], v[42:43], -v[2:3]
	v_add_f64_e64 v[4:5], v[44:45], -v[4:5]
	scratch_store_b128 off, v[2:5], off offset:32
	v_cmpx_ne_u32_e32 0, v0
	s_cbranch_execz .LBB46_295
; %bb.294:
	scratch_load_b128 v[5:8], off, off offset:16
	v_dual_mov_b32 v2, v1 :: v_dual_mov_b32 v3, v1
	v_mov_b32_e32 v4, v1
	scratch_store_b128 off, v[1:4], off offset:16
	s_wait_loadcnt 0x0
	ds_store_b128 v140, v[5:8]
.LBB46_295:
	s_wait_alu 0xfffe
	s_or_b32 exec_lo, exec_lo, s0
	s_wait_storecnt_dscnt 0x0
	s_barrier_signal -1
	s_barrier_wait -1
	global_inv scope:SCOPE_SE
	s_clause 0x8
	scratch_load_b128 v[2:5], off, off offset:32
	scratch_load_b128 v[6:9], off, off offset:48
	;; [unrolled: 1-line block ×9, first 2 shown]
	ds_load_b128 v[42:45], v1 offset:768
	ds_load_b128 v[38:41], v1 offset:784
	s_clause 0x1
	scratch_load_b128 v[140:143], off, off offset:16
	scratch_load_b128 v[144:147], off, off offset:176
	s_and_b32 vcc_lo, exec_lo, s18
	s_wait_loadcnt_dscnt 0xa01
	v_mul_f64_e32 v[148:149], v[44:45], v[4:5]
	v_mul_f64_e32 v[4:5], v[42:43], v[4:5]
	s_wait_loadcnt_dscnt 0x900
	v_mul_f64_e32 v[152:153], v[38:39], v[8:9]
	v_mul_f64_e32 v[8:9], v[40:41], v[8:9]
	s_delay_alu instid0(VALU_DEP_4) | instskip(NEXT) | instid1(VALU_DEP_4)
	v_fma_f64 v[154:155], v[42:43], v[2:3], -v[148:149]
	v_fma_f64 v[156:157], v[44:45], v[2:3], v[4:5]
	ds_load_b128 v[2:5], v1 offset:800
	ds_load_b128 v[148:151], v1 offset:816
	scratch_load_b128 v[42:45], off, off offset:192
	v_fma_f64 v[40:41], v[40:41], v[6:7], v[152:153]
	v_fma_f64 v[38:39], v[38:39], v[6:7], -v[8:9]
	scratch_load_b128 v[6:9], off, off offset:208
	s_wait_loadcnt_dscnt 0xa01
	v_mul_f64_e32 v[158:159], v[2:3], v[12:13]
	v_mul_f64_e32 v[12:13], v[4:5], v[12:13]
	v_add_f64_e32 v[152:153], 0, v[154:155]
	v_add_f64_e32 v[154:155], 0, v[156:157]
	s_wait_loadcnt_dscnt 0x900
	v_mul_f64_e32 v[156:157], v[148:149], v[16:17]
	v_mul_f64_e32 v[16:17], v[150:151], v[16:17]
	v_fma_f64 v[158:159], v[4:5], v[10:11], v[158:159]
	v_fma_f64 v[160:161], v[2:3], v[10:11], -v[12:13]
	ds_load_b128 v[2:5], v1 offset:832
	scratch_load_b128 v[10:13], off, off offset:224
	v_add_f64_e32 v[152:153], v[152:153], v[38:39]
	v_add_f64_e32 v[154:155], v[154:155], v[40:41]
	ds_load_b128 v[38:41], v1 offset:848
	v_fma_f64 v[150:151], v[150:151], v[14:15], v[156:157]
	v_fma_f64 v[148:149], v[148:149], v[14:15], -v[16:17]
	scratch_load_b128 v[14:17], off, off offset:240
	s_wait_loadcnt_dscnt 0xa01
	v_mul_f64_e32 v[162:163], v[2:3], v[20:21]
	v_mul_f64_e32 v[20:21], v[4:5], v[20:21]
	s_wait_loadcnt_dscnt 0x900
	v_mul_f64_e32 v[156:157], v[38:39], v[24:25]
	v_mul_f64_e32 v[24:25], v[40:41], v[24:25]
	v_add_f64_e32 v[152:153], v[152:153], v[160:161]
	v_add_f64_e32 v[154:155], v[154:155], v[158:159]
	v_fma_f64 v[158:159], v[4:5], v[18:19], v[162:163]
	v_fma_f64 v[160:161], v[2:3], v[18:19], -v[20:21]
	ds_load_b128 v[2:5], v1 offset:864
	scratch_load_b128 v[18:21], off, off offset:256
	v_fma_f64 v[40:41], v[40:41], v[22:23], v[156:157]
	v_fma_f64 v[38:39], v[38:39], v[22:23], -v[24:25]
	scratch_load_b128 v[22:25], off, off offset:272
	v_add_f64_e32 v[152:153], v[152:153], v[148:149]
	v_add_f64_e32 v[154:155], v[154:155], v[150:151]
	ds_load_b128 v[148:151], v1 offset:880
	s_wait_loadcnt_dscnt 0xa01
	v_mul_f64_e32 v[162:163], v[2:3], v[28:29]
	v_mul_f64_e32 v[28:29], v[4:5], v[28:29]
	s_wait_loadcnt_dscnt 0x900
	v_mul_f64_e32 v[156:157], v[148:149], v[32:33]
	v_mul_f64_e32 v[32:33], v[150:151], v[32:33]
	v_add_f64_e32 v[152:153], v[152:153], v[160:161]
	v_add_f64_e32 v[154:155], v[154:155], v[158:159]
	v_fma_f64 v[158:159], v[4:5], v[26:27], v[162:163]
	v_fma_f64 v[160:161], v[2:3], v[26:27], -v[28:29]
	ds_load_b128 v[2:5], v1 offset:896
	scratch_load_b128 v[26:29], off, off offset:288
	v_fma_f64 v[150:151], v[150:151], v[30:31], v[156:157]
	v_fma_f64 v[148:149], v[148:149], v[30:31], -v[32:33]
	scratch_load_b128 v[30:33], off, off offset:304
	v_add_f64_e32 v[152:153], v[152:153], v[38:39]
	v_add_f64_e32 v[154:155], v[154:155], v[40:41]
	ds_load_b128 v[38:41], v1 offset:912
	s_wait_loadcnt_dscnt 0xa01
	v_mul_f64_e32 v[162:163], v[2:3], v[36:37]
	v_mul_f64_e32 v[36:37], v[4:5], v[36:37]
	s_wait_loadcnt_dscnt 0x800
	v_mul_f64_e32 v[156:157], v[38:39], v[146:147]
	v_add_f64_e32 v[152:153], v[152:153], v[160:161]
	v_add_f64_e32 v[154:155], v[154:155], v[158:159]
	v_mul_f64_e32 v[158:159], v[40:41], v[146:147]
	v_fma_f64 v[160:161], v[4:5], v[34:35], v[162:163]
	v_fma_f64 v[162:163], v[2:3], v[34:35], -v[36:37]
	ds_load_b128 v[2:5], v1 offset:928
	scratch_load_b128 v[34:37], off, off offset:320
	v_fma_f64 v[156:157], v[40:41], v[144:145], v[156:157]
	v_add_f64_e32 v[152:153], v[152:153], v[148:149]
	v_add_f64_e32 v[150:151], v[154:155], v[150:151]
	ds_load_b128 v[146:149], v1 offset:944
	v_fma_f64 v[144:145], v[38:39], v[144:145], -v[158:159]
	scratch_load_b128 v[38:41], off, off offset:336
	s_wait_loadcnt_dscnt 0x901
	v_mul_f64_e32 v[154:155], v[2:3], v[44:45]
	v_mul_f64_e32 v[44:45], v[4:5], v[44:45]
	s_wait_loadcnt_dscnt 0x800
	v_mul_f64_e32 v[158:159], v[146:147], v[8:9]
	v_mul_f64_e32 v[8:9], v[148:149], v[8:9]
	v_add_f64_e32 v[152:153], v[152:153], v[162:163]
	v_add_f64_e32 v[150:151], v[150:151], v[160:161]
	v_fma_f64 v[154:155], v[4:5], v[42:43], v[154:155]
	v_fma_f64 v[160:161], v[2:3], v[42:43], -v[44:45]
	ds_load_b128 v[2:5], v1 offset:960
	scratch_load_b128 v[42:45], off, off offset:352
	v_fma_f64 v[148:149], v[148:149], v[6:7], v[158:159]
	v_fma_f64 v[146:147], v[146:147], v[6:7], -v[8:9]
	scratch_load_b128 v[6:9], off, off offset:368
	v_add_f64_e32 v[144:145], v[152:153], v[144:145]
	v_add_f64_e32 v[156:157], v[150:151], v[156:157]
	ds_load_b128 v[150:153], v1 offset:976
	s_wait_loadcnt_dscnt 0x901
	v_mul_f64_e32 v[162:163], v[2:3], v[12:13]
	v_mul_f64_e32 v[12:13], v[4:5], v[12:13]
	v_add_f64_e32 v[144:145], v[144:145], v[160:161]
	v_add_f64_e32 v[154:155], v[156:157], v[154:155]
	s_wait_loadcnt_dscnt 0x800
	v_mul_f64_e32 v[156:157], v[150:151], v[16:17]
	v_mul_f64_e32 v[16:17], v[152:153], v[16:17]
	v_fma_f64 v[158:159], v[4:5], v[10:11], v[162:163]
	v_fma_f64 v[160:161], v[2:3], v[10:11], -v[12:13]
	ds_load_b128 v[2:5], v1 offset:992
	scratch_load_b128 v[10:13], off, off offset:384
	v_add_f64_e32 v[162:163], v[144:145], v[146:147]
	v_add_f64_e32 v[148:149], v[154:155], v[148:149]
	ds_load_b128 v[144:147], v1 offset:1008
	s_wait_loadcnt_dscnt 0x801
	v_mul_f64_e32 v[154:155], v[2:3], v[20:21]
	v_mul_f64_e32 v[20:21], v[4:5], v[20:21]
	v_fma_f64 v[152:153], v[152:153], v[14:15], v[156:157]
	v_fma_f64 v[150:151], v[150:151], v[14:15], -v[16:17]
	scratch_load_b128 v[14:17], off, off offset:400
	v_add_f64_e32 v[156:157], v[162:163], v[160:161]
	v_add_f64_e32 v[148:149], v[148:149], v[158:159]
	s_wait_loadcnt_dscnt 0x800
	v_mul_f64_e32 v[158:159], v[144:145], v[24:25]
	v_mul_f64_e32 v[24:25], v[146:147], v[24:25]
	v_fma_f64 v[154:155], v[4:5], v[18:19], v[154:155]
	v_fma_f64 v[160:161], v[2:3], v[18:19], -v[20:21]
	ds_load_b128 v[2:5], v1 offset:1024
	scratch_load_b128 v[18:21], off, off offset:416
	v_add_f64_e32 v[156:157], v[156:157], v[150:151]
	v_add_f64_e32 v[152:153], v[148:149], v[152:153]
	ds_load_b128 v[148:151], v1 offset:1040
	s_wait_loadcnt_dscnt 0x801
	v_mul_f64_e32 v[162:163], v[2:3], v[28:29]
	v_mul_f64_e32 v[28:29], v[4:5], v[28:29]
	v_fma_f64 v[146:147], v[146:147], v[22:23], v[158:159]
	v_fma_f64 v[144:145], v[144:145], v[22:23], -v[24:25]
	scratch_load_b128 v[22:25], off, off offset:432
	;; [unrolled: 18-line block ×4, first 2 shown]
	s_wait_loadcnt_dscnt 0x800
	v_mul_f64_e32 v[156:157], v[148:149], v[8:9]
	v_mul_f64_e32 v[8:9], v[150:151], v[8:9]
	v_add_f64_e32 v[154:155], v[154:155], v[160:161]
	v_add_f64_e32 v[152:153], v[152:153], v[158:159]
	v_fma_f64 v[158:159], v[4:5], v[42:43], v[162:163]
	v_fma_f64 v[160:161], v[2:3], v[42:43], -v[44:45]
	ds_load_b128 v[2:5], v1 offset:1120
	scratch_load_b128 v[42:45], off, off offset:512
	v_fma_f64 v[150:151], v[150:151], v[6:7], v[156:157]
	v_fma_f64 v[148:149], v[148:149], v[6:7], -v[8:9]
	scratch_load_b128 v[6:9], off, off offset:528
	v_add_f64_e32 v[154:155], v[154:155], v[144:145]
	v_add_f64_e32 v[152:153], v[152:153], v[146:147]
	ds_load_b128 v[144:147], v1 offset:1136
	s_wait_loadcnt_dscnt 0x901
	v_mul_f64_e32 v[162:163], v[2:3], v[12:13]
	v_mul_f64_e32 v[12:13], v[4:5], v[12:13]
	s_wait_loadcnt_dscnt 0x800
	v_mul_f64_e32 v[156:157], v[144:145], v[16:17]
	v_mul_f64_e32 v[16:17], v[146:147], v[16:17]
	v_add_f64_e32 v[154:155], v[154:155], v[160:161]
	v_add_f64_e32 v[152:153], v[152:153], v[158:159]
	v_fma_f64 v[158:159], v[4:5], v[10:11], v[162:163]
	v_fma_f64 v[160:161], v[2:3], v[10:11], -v[12:13]
	ds_load_b128 v[2:5], v1 offset:1152
	scratch_load_b128 v[10:13], off, off offset:544
	v_fma_f64 v[146:147], v[146:147], v[14:15], v[156:157]
	v_fma_f64 v[144:145], v[144:145], v[14:15], -v[16:17]
	scratch_load_b128 v[14:17], off, off offset:560
	v_add_f64_e32 v[154:155], v[154:155], v[148:149]
	v_add_f64_e32 v[152:153], v[152:153], v[150:151]
	ds_load_b128 v[148:151], v1 offset:1168
	s_wait_loadcnt_dscnt 0x901
	v_mul_f64_e32 v[162:163], v[2:3], v[20:21]
	v_mul_f64_e32 v[20:21], v[4:5], v[20:21]
	;; [unrolled: 18-line block ×8, first 2 shown]
	s_wait_loadcnt_dscnt 0x800
	v_mul_f64_e32 v[156:157], v[148:149], v[32:33]
	v_mul_f64_e32 v[32:33], v[150:151], v[32:33]
	v_add_f64_e32 v[154:155], v[154:155], v[160:161]
	v_add_f64_e32 v[152:153], v[152:153], v[158:159]
	v_fma_f64 v[158:159], v[4:5], v[26:27], v[162:163]
	v_fma_f64 v[160:161], v[2:3], v[26:27], -v[28:29]
	ds_load_b128 v[2:5], v1 offset:1376
	ds_load_b128 v[26:29], v1 offset:1392
	v_fma_f64 v[150:151], v[150:151], v[30:31], v[156:157]
	v_fma_f64 v[30:31], v[148:149], v[30:31], -v[32:33]
	v_add_f64_e32 v[144:145], v[154:155], v[144:145]
	v_add_f64_e32 v[146:147], v[152:153], v[146:147]
	s_wait_loadcnt_dscnt 0x701
	v_mul_f64_e32 v[152:153], v[2:3], v[36:37]
	v_mul_f64_e32 v[36:37], v[4:5], v[36:37]
	s_delay_alu instid0(VALU_DEP_4) | instskip(NEXT) | instid1(VALU_DEP_4)
	v_add_f64_e32 v[32:33], v[144:145], v[160:161]
	v_add_f64_e32 v[144:145], v[146:147], v[158:159]
	s_wait_loadcnt_dscnt 0x600
	v_mul_f64_e32 v[146:147], v[26:27], v[40:41]
	v_mul_f64_e32 v[40:41], v[28:29], v[40:41]
	v_fma_f64 v[148:149], v[4:5], v[34:35], v[152:153]
	v_fma_f64 v[34:35], v[2:3], v[34:35], -v[36:37]
	v_add_f64_e32 v[36:37], v[32:33], v[30:31]
	v_add_f64_e32 v[144:145], v[144:145], v[150:151]
	ds_load_b128 v[2:5], v1 offset:1408
	ds_load_b128 v[30:33], v1 offset:1424
	v_fma_f64 v[28:29], v[28:29], v[38:39], v[146:147]
	v_fma_f64 v[26:27], v[26:27], v[38:39], -v[40:41]
	s_wait_loadcnt_dscnt 0x501
	v_mul_f64_e32 v[150:151], v[2:3], v[44:45]
	v_mul_f64_e32 v[44:45], v[4:5], v[44:45]
	s_wait_loadcnt_dscnt 0x400
	v_mul_f64_e32 v[38:39], v[30:31], v[8:9]
	v_mul_f64_e32 v[8:9], v[32:33], v[8:9]
	v_add_f64_e32 v[34:35], v[36:37], v[34:35]
	v_add_f64_e32 v[36:37], v[144:145], v[148:149]
	v_fma_f64 v[40:41], v[4:5], v[42:43], v[150:151]
	v_fma_f64 v[42:43], v[2:3], v[42:43], -v[44:45]
	v_fma_f64 v[32:33], v[32:33], v[6:7], v[38:39]
	v_fma_f64 v[6:7], v[30:31], v[6:7], -v[8:9]
	v_add_f64_e32 v[34:35], v[34:35], v[26:27]
	v_add_f64_e32 v[36:37], v[36:37], v[28:29]
	ds_load_b128 v[2:5], v1 offset:1440
	ds_load_b128 v[26:29], v1 offset:1456
	s_wait_loadcnt_dscnt 0x301
	v_mul_f64_e32 v[44:45], v[2:3], v[12:13]
	v_mul_f64_e32 v[12:13], v[4:5], v[12:13]
	v_add_f64_e32 v[8:9], v[34:35], v[42:43]
	v_add_f64_e32 v[30:31], v[36:37], v[40:41]
	s_wait_loadcnt_dscnt 0x200
	v_mul_f64_e32 v[34:35], v[26:27], v[16:17]
	v_mul_f64_e32 v[16:17], v[28:29], v[16:17]
	v_fma_f64 v[36:37], v[4:5], v[10:11], v[44:45]
	v_fma_f64 v[10:11], v[2:3], v[10:11], -v[12:13]
	v_add_f64_e32 v[12:13], v[8:9], v[6:7]
	v_add_f64_e32 v[30:31], v[30:31], v[32:33]
	ds_load_b128 v[2:5], v1 offset:1472
	ds_load_b128 v[6:9], v1 offset:1488
	v_fma_f64 v[28:29], v[28:29], v[14:15], v[34:35]
	v_fma_f64 v[14:15], v[26:27], v[14:15], -v[16:17]
	s_wait_loadcnt_dscnt 0x101
	v_mul_f64_e32 v[0:1], v[2:3], v[20:21]
	v_mul_f64_e32 v[20:21], v[4:5], v[20:21]
	s_wait_loadcnt_dscnt 0x0
	v_mul_f64_e32 v[16:17], v[6:7], v[24:25]
	v_mul_f64_e32 v[24:25], v[8:9], v[24:25]
	v_add_f64_e32 v[10:11], v[12:13], v[10:11]
	v_add_f64_e32 v[12:13], v[30:31], v[36:37]
	v_fma_f64 v[0:1], v[4:5], v[18:19], v[0:1]
	v_fma_f64 v[2:3], v[2:3], v[18:19], -v[20:21]
	v_fma_f64 v[8:9], v[8:9], v[22:23], v[16:17]
	v_fma_f64 v[6:7], v[6:7], v[22:23], -v[24:25]
	v_add_f64_e32 v[4:5], v[10:11], v[14:15]
	v_add_f64_e32 v[10:11], v[12:13], v[28:29]
	s_delay_alu instid0(VALU_DEP_2) | instskip(NEXT) | instid1(VALU_DEP_2)
	v_add_f64_e32 v[2:3], v[4:5], v[2:3]
	v_add_f64_e32 v[0:1], v[10:11], v[0:1]
	s_delay_alu instid0(VALU_DEP_2) | instskip(NEXT) | instid1(VALU_DEP_2)
	;; [unrolled: 3-line block ×3, first 2 shown]
	v_add_f64_e64 v[0:1], v[140:141], -v[2:3]
	v_add_f64_e64 v[2:3], v[142:143], -v[4:5]
	scratch_store_b128 off, v[0:3], off offset:16
	s_wait_alu 0xfffe
	s_cbranch_vccz .LBB46_388
; %bb.296:
	v_mov_b32_e32 v0, 0
	global_load_b32 v1, v0, s[2:3] offset:180
	s_wait_loadcnt 0x0
	v_cmp_ne_u32_e32 vcc_lo, 46, v1
	s_cbranch_vccz .LBB46_298
; %bb.297:
	v_lshlrev_b32_e32 v1, 4, v1
	s_delay_alu instid0(VALU_DEP_1)
	v_add_nc_u32_e32 v9, 16, v1
	s_clause 0x1
	scratch_load_b128 v[1:4], v9, off offset:-16
	scratch_load_b128 v[5:8], off, s15
	s_wait_loadcnt 0x1
	scratch_store_b128 off, v[1:4], s15
	s_wait_loadcnt 0x0
	scratch_store_b128 v9, v[5:8], off offset:-16
.LBB46_298:
	global_load_b32 v0, v0, s[2:3] offset:176
	s_wait_loadcnt 0x0
	v_cmp_eq_u32_e32 vcc_lo, 45, v0
	s_cbranch_vccnz .LBB46_300
; %bb.299:
	v_lshlrev_b32_e32 v0, 4, v0
	s_delay_alu instid0(VALU_DEP_1)
	v_add_nc_u32_e32 v8, 16, v0
	s_clause 0x1
	scratch_load_b128 v[0:3], v8, off offset:-16
	scratch_load_b128 v[4:7], off, s20
	s_wait_loadcnt 0x1
	scratch_store_b128 off, v[0:3], s20
	s_wait_loadcnt 0x0
	scratch_store_b128 v8, v[4:7], off offset:-16
.LBB46_300:
	v_mov_b32_e32 v0, 0
	global_load_b32 v1, v0, s[2:3] offset:172
	s_wait_loadcnt 0x0
	v_cmp_eq_u32_e32 vcc_lo, 44, v1
	s_cbranch_vccnz .LBB46_302
; %bb.301:
	v_lshlrev_b32_e32 v1, 4, v1
	s_delay_alu instid0(VALU_DEP_1)
	v_add_nc_u32_e32 v9, 16, v1
	s_clause 0x1
	scratch_load_b128 v[1:4], v9, off offset:-16
	scratch_load_b128 v[5:8], off, s4
	s_wait_loadcnt 0x1
	scratch_store_b128 off, v[1:4], s4
	s_wait_loadcnt 0x0
	scratch_store_b128 v9, v[5:8], off offset:-16
.LBB46_302:
	global_load_b32 v0, v0, s[2:3] offset:168
	s_wait_loadcnt 0x0
	v_cmp_eq_u32_e32 vcc_lo, 43, v0
	s_cbranch_vccnz .LBB46_304
; %bb.303:
	v_lshlrev_b32_e32 v0, 4, v0
	s_delay_alu instid0(VALU_DEP_1)
	v_add_nc_u32_e32 v8, 16, v0
	s_clause 0x1
	scratch_load_b128 v[0:3], v8, off offset:-16
	scratch_load_b128 v[4:7], off, s5
	s_wait_loadcnt 0x1
	scratch_store_b128 off, v[0:3], s5
	s_wait_loadcnt 0x0
	scratch_store_b128 v8, v[4:7], off offset:-16
.LBB46_304:
	v_mov_b32_e32 v0, 0
	global_load_b32 v1, v0, s[2:3] offset:164
	s_wait_loadcnt 0x0
	v_cmp_eq_u32_e32 vcc_lo, 42, v1
	s_cbranch_vccnz .LBB46_306
; %bb.305:
	v_lshlrev_b32_e32 v1, 4, v1
	s_delay_alu instid0(VALU_DEP_1)
	v_add_nc_u32_e32 v9, 16, v1
	s_clause 0x1
	scratch_load_b128 v[1:4], v9, off offset:-16
	scratch_load_b128 v[5:8], off, s8
	s_wait_loadcnt 0x1
	scratch_store_b128 off, v[1:4], s8
	s_wait_loadcnt 0x0
	scratch_store_b128 v9, v[5:8], off offset:-16
.LBB46_306:
	;; [unrolled: 33-line block ×22, first 2 shown]
	global_load_b32 v0, v0, s[2:3]
	s_wait_loadcnt 0x0
	v_cmp_eq_u32_e32 vcc_lo, 1, v0
	s_cbranch_vccnz .LBB46_388
; %bb.387:
	v_lshlrev_b32_e32 v0, 4, v0
	s_delay_alu instid0(VALU_DEP_1)
	v_add_nc_u32_e32 v8, 16, v0
	scratch_load_b128 v[0:3], v8, off offset:-16
	scratch_load_b128 v[4:7], off, off offset:16
	s_wait_loadcnt 0x1
	scratch_store_b128 off, v[0:3], off offset:16
	s_wait_loadcnt 0x0
	scratch_store_b128 v8, v[4:7], off offset:-16
.LBB46_388:
	scratch_load_b128 v[0:3], off, off offset:16
	s_clause 0xf
	scratch_load_b128 v[4:7], off, s26
	scratch_load_b128 v[8:11], off, s25
	;; [unrolled: 1-line block ×16, first 2 shown]
	s_wait_loadcnt 0x10
	global_store_b128 v[46:47], v[0:3], off
	s_clause 0x1
	scratch_load_b128 v[0:3], off, s43
	scratch_load_b128 v[44:47], off, s42
	s_wait_loadcnt 0x11
	global_store_b128 v[48:49], v[4:7], off
	scratch_load_b128 v[4:7], off, s41
	s_wait_loadcnt 0x11
	global_store_b128 v[50:51], v[8:11], off
	s_wait_loadcnt 0x10
	global_store_b128 v[52:53], v[12:15], off
	s_clause 0x2
	scratch_load_b128 v[8:11], off, s40
	scratch_load_b128 v[12:15], off, s39
	;; [unrolled: 1-line block ×3, first 2 shown]
	s_wait_loadcnt 0x12
	global_store_b128 v[54:55], v[16:19], off
	s_clause 0x1
	scratch_load_b128 v[16:19], off, s37
	scratch_load_b128 v[52:55], off, s36
	s_wait_loadcnt 0x13
	global_store_b128 v[56:57], v[20:23], off
	s_wait_loadcnt 0x12
	global_store_b128 v[58:59], v[24:27], off
	s_clause 0x1
	scratch_load_b128 v[20:23], off, s35
	scratch_load_b128 v[24:27], off, s34
	s_wait_loadcnt 0x13
	global_store_b128 v[60:61], v[28:31], off
	s_clause 0x1
	scratch_load_b128 v[28:31], off, s33
	scratch_load_b128 v[56:59], off, s31
	s_wait_loadcnt 0x14
	global_store_b128 v[62:63], v[32:35], off
	s_clause 0x1
	scratch_load_b128 v[32:35], off, s30
	scratch_load_b128 v[60:63], off, s29
	s_wait_loadcnt 0x15
	global_store_b128 v[64:65], v[36:39], off
	s_wait_loadcnt 0x14
	global_store_b128 v[66:67], v[40:43], off
	s_clause 0x1
	scratch_load_b128 v[36:39], off, s28
	scratch_load_b128 v[40:43], off, s27
	s_wait_loadcnt 0x15
	global_store_b128 v[68:69], v[140:143], off
	s_clause 0x1
	scratch_load_b128 v[64:67], off, s24
	scratch_load_b128 v[140:143], off, s22
	;; [unrolled: 17-line block ×4, first 2 shown]
	s_wait_loadcnt 0x1a
	global_store_b128 v[86:87], v[8:11], off
	s_wait_loadcnt 0x19
	global_store_b128 v[88:89], v[12:15], off
	;; [unrolled: 2-line block ×27, first 2 shown]
	s_nop 0
	s_sendmsg sendmsg(MSG_DEALLOC_VGPRS)
	s_endpgm
	.section	.rodata,"a",@progbits
	.p2align	6, 0x0
	.amdhsa_kernel _ZN9rocsolver6v33100L18getri_kernel_smallILi47E19rocblas_complex_numIdEPS3_EEvT1_iilPiilS6_bb
		.amdhsa_group_segment_fixed_size 1512
		.amdhsa_private_segment_fixed_size 784
		.amdhsa_kernarg_size 60
		.amdhsa_user_sgpr_count 2
		.amdhsa_user_sgpr_dispatch_ptr 0
		.amdhsa_user_sgpr_queue_ptr 0
		.amdhsa_user_sgpr_kernarg_segment_ptr 1
		.amdhsa_user_sgpr_dispatch_id 0
		.amdhsa_user_sgpr_private_segment_size 0
		.amdhsa_wavefront_size32 1
		.amdhsa_uses_dynamic_stack 0
		.amdhsa_enable_private_segment 1
		.amdhsa_system_sgpr_workgroup_id_x 1
		.amdhsa_system_sgpr_workgroup_id_y 0
		.amdhsa_system_sgpr_workgroup_id_z 0
		.amdhsa_system_sgpr_workgroup_info 0
		.amdhsa_system_vgpr_workitem_id 0
		.amdhsa_next_free_vgpr 167
		.amdhsa_next_free_sgpr 77
		.amdhsa_reserve_vcc 1
		.amdhsa_float_round_mode_32 0
		.amdhsa_float_round_mode_16_64 0
		.amdhsa_float_denorm_mode_32 3
		.amdhsa_float_denorm_mode_16_64 3
		.amdhsa_fp16_overflow 0
		.amdhsa_workgroup_processor_mode 1
		.amdhsa_memory_ordered 1
		.amdhsa_forward_progress 1
		.amdhsa_inst_pref_size 255
		.amdhsa_round_robin_scheduling 0
		.amdhsa_exception_fp_ieee_invalid_op 0
		.amdhsa_exception_fp_denorm_src 0
		.amdhsa_exception_fp_ieee_div_zero 0
		.amdhsa_exception_fp_ieee_overflow 0
		.amdhsa_exception_fp_ieee_underflow 0
		.amdhsa_exception_fp_ieee_inexact 0
		.amdhsa_exception_int_div_zero 0
	.end_amdhsa_kernel
	.section	.text._ZN9rocsolver6v33100L18getri_kernel_smallILi47E19rocblas_complex_numIdEPS3_EEvT1_iilPiilS6_bb,"axG",@progbits,_ZN9rocsolver6v33100L18getri_kernel_smallILi47E19rocblas_complex_numIdEPS3_EEvT1_iilPiilS6_bb,comdat
.Lfunc_end46:
	.size	_ZN9rocsolver6v33100L18getri_kernel_smallILi47E19rocblas_complex_numIdEPS3_EEvT1_iilPiilS6_bb, .Lfunc_end46-_ZN9rocsolver6v33100L18getri_kernel_smallILi47E19rocblas_complex_numIdEPS3_EEvT1_iilPiilS6_bb
                                        ; -- End function
	.set _ZN9rocsolver6v33100L18getri_kernel_smallILi47E19rocblas_complex_numIdEPS3_EEvT1_iilPiilS6_bb.num_vgpr, 167
	.set _ZN9rocsolver6v33100L18getri_kernel_smallILi47E19rocblas_complex_numIdEPS3_EEvT1_iilPiilS6_bb.num_agpr, 0
	.set _ZN9rocsolver6v33100L18getri_kernel_smallILi47E19rocblas_complex_numIdEPS3_EEvT1_iilPiilS6_bb.numbered_sgpr, 77
	.set _ZN9rocsolver6v33100L18getri_kernel_smallILi47E19rocblas_complex_numIdEPS3_EEvT1_iilPiilS6_bb.num_named_barrier, 0
	.set _ZN9rocsolver6v33100L18getri_kernel_smallILi47E19rocblas_complex_numIdEPS3_EEvT1_iilPiilS6_bb.private_seg_size, 784
	.set _ZN9rocsolver6v33100L18getri_kernel_smallILi47E19rocblas_complex_numIdEPS3_EEvT1_iilPiilS6_bb.uses_vcc, 1
	.set _ZN9rocsolver6v33100L18getri_kernel_smallILi47E19rocblas_complex_numIdEPS3_EEvT1_iilPiilS6_bb.uses_flat_scratch, 1
	.set _ZN9rocsolver6v33100L18getri_kernel_smallILi47E19rocblas_complex_numIdEPS3_EEvT1_iilPiilS6_bb.has_dyn_sized_stack, 0
	.set _ZN9rocsolver6v33100L18getri_kernel_smallILi47E19rocblas_complex_numIdEPS3_EEvT1_iilPiilS6_bb.has_recursion, 0
	.set _ZN9rocsolver6v33100L18getri_kernel_smallILi47E19rocblas_complex_numIdEPS3_EEvT1_iilPiilS6_bb.has_indirect_call, 0
	.section	.AMDGPU.csdata,"",@progbits
; Kernel info:
; codeLenInByte = 92104
; TotalNumSgprs: 79
; NumVgprs: 167
; ScratchSize: 784
; MemoryBound: 0
; FloatMode: 240
; IeeeMode: 1
; LDSByteSize: 1512 bytes/workgroup (compile time only)
; SGPRBlocks: 0
; VGPRBlocks: 20
; NumSGPRsForWavesPerEU: 79
; NumVGPRsForWavesPerEU: 167
; Occupancy: 9
; WaveLimiterHint : 1
; COMPUTE_PGM_RSRC2:SCRATCH_EN: 1
; COMPUTE_PGM_RSRC2:USER_SGPR: 2
; COMPUTE_PGM_RSRC2:TRAP_HANDLER: 0
; COMPUTE_PGM_RSRC2:TGID_X_EN: 1
; COMPUTE_PGM_RSRC2:TGID_Y_EN: 0
; COMPUTE_PGM_RSRC2:TGID_Z_EN: 0
; COMPUTE_PGM_RSRC2:TIDIG_COMP_CNT: 0
	.section	.text._ZN9rocsolver6v33100L18getri_kernel_smallILi48E19rocblas_complex_numIdEPS3_EEvT1_iilPiilS6_bb,"axG",@progbits,_ZN9rocsolver6v33100L18getri_kernel_smallILi48E19rocblas_complex_numIdEPS3_EEvT1_iilPiilS6_bb,comdat
	.globl	_ZN9rocsolver6v33100L18getri_kernel_smallILi48E19rocblas_complex_numIdEPS3_EEvT1_iilPiilS6_bb ; -- Begin function _ZN9rocsolver6v33100L18getri_kernel_smallILi48E19rocblas_complex_numIdEPS3_EEvT1_iilPiilS6_bb
	.p2align	8
	.type	_ZN9rocsolver6v33100L18getri_kernel_smallILi48E19rocblas_complex_numIdEPS3_EEvT1_iilPiilS6_bb,@function
_ZN9rocsolver6v33100L18getri_kernel_smallILi48E19rocblas_complex_numIdEPS3_EEvT1_iilPiilS6_bb: ; @_ZN9rocsolver6v33100L18getri_kernel_smallILi48E19rocblas_complex_numIdEPS3_EEvT1_iilPiilS6_bb
; %bb.0:
	s_mov_b32 s2, exec_lo
	v_cmpx_gt_u32_e32 48, v0
	s_cbranch_execz .LBB47_206
; %bb.1:
	s_clause 0x2
	s_load_b32 s2, s[0:1], 0x38
	s_load_b128 s[12:15], s[0:1], 0x10
	s_load_b128 s[4:7], s[0:1], 0x28
	s_mov_b32 s16, ttmp9
	s_wait_kmcnt 0x0
	s_bitcmp1_b32 s2, 8
	s_cselect_b32 s18, -1, 0
	s_bfe_u32 s2, s2, 0x10008
	s_ashr_i32 s17, ttmp9, 31
	s_cmp_eq_u32 s2, 0
                                        ; implicit-def: $sgpr2_sgpr3
	s_cbranch_scc1 .LBB47_3
; %bb.2:
	s_load_b32 s2, s[0:1], 0x20
	s_mul_u64 s[4:5], s[4:5], s[16:17]
	s_delay_alu instid0(SALU_CYCLE_1) | instskip(NEXT) | instid1(SALU_CYCLE_1)
	s_lshl_b64 s[4:5], s[4:5], 2
	s_add_nc_u64 s[4:5], s[14:15], s[4:5]
	s_wait_kmcnt 0x0
	s_ashr_i32 s3, s2, 31
	s_delay_alu instid0(SALU_CYCLE_1) | instskip(NEXT) | instid1(SALU_CYCLE_1)
	s_lshl_b64 s[2:3], s[2:3], 2
	s_add_nc_u64 s[2:3], s[4:5], s[2:3]
.LBB47_3:
	s_clause 0x1
	s_load_b128 s[8:11], s[0:1], 0x0
	s_load_b32 s57, s[0:1], 0x38
	s_mul_u64 s[0:1], s[12:13], s[16:17]
	v_lshlrev_b32_e32 v15, 4, v0
	s_lshl_b64 s[0:1], s[0:1], 4
	s_movk_i32 s12, 0xd0
	s_movk_i32 s13, 0xe0
	;; [unrolled: 1-line block ×15, first 2 shown]
	s_wait_kmcnt 0x0
	v_add3_u32 v5, s11, s11, v0
	s_ashr_i32 s5, s10, 31
	s_mov_b32 s4, s10
	s_add_nc_u64 s[0:1], s[8:9], s[0:1]
	s_lshl_b64 s[4:5], s[4:5], 4
	v_add_nc_u32_e32 v7, s11, v5
	v_ashrrev_i32_e32 v6, 31, v5
	s_add_nc_u64 s[0:1], s[0:1], s[4:5]
	s_ashr_i32 s9, s11, 31
	v_add_co_u32 v42, s4, s0, v15
	v_add_nc_u32_e32 v9, s11, v7
	s_mov_b32 s8, s11
	v_lshlrev_b64_e32 v[12:13], 4, v[5:6]
	v_add_co_ci_u32_e64 v43, null, s1, 0, s4
	s_lshl_b64 s[8:9], s[8:9], 4
	v_add_nc_u32_e32 v11, s11, v9
	v_add_co_u32 v44, vcc_lo, v42, s8
	s_delay_alu instid0(VALU_DEP_1)
	v_add_co_ci_u32_e64 v45, null, s9, v43, vcc_lo
	v_add_co_u32 v46, vcc_lo, s0, v12
	s_wait_alu 0xfffd
	v_add_co_ci_u32_e64 v47, null, s1, v13, vcc_lo
	v_add_nc_u32_e32 v13, s11, v11
	v_ashrrev_i32_e32 v8, 31, v7
	v_ashrrev_i32_e32 v10, 31, v9
	;; [unrolled: 1-line block ×3, first 2 shown]
	global_load_b128 v[1:4], v15, s[0:1]
	v_add_nc_u32_e32 v36, s11, v13
	v_lshlrev_b64_e32 v[16:17], 4, v[7:8]
	v_ashrrev_i32_e32 v14, 31, v13
	v_lshlrev_b64_e32 v[9:10], 4, v[9:10]
	v_lshlrev_b64_e32 v[11:12], 4, v[11:12]
	v_ashrrev_i32_e32 v37, 31, v36
	global_load_b128 v[5:8], v[44:45], off
	v_add_co_u32 v48, vcc_lo, s0, v16
	v_lshlrev_b64_e32 v[13:14], 4, v[13:14]
	s_wait_alu 0xfffd
	v_add_co_ci_u32_e64 v49, null, s1, v17, vcc_lo
	v_add_co_u32 v50, vcc_lo, s0, v9
	v_lshlrev_b64_e32 v[28:29], 4, v[36:37]
	s_wait_alu 0xfffd
	v_add_co_ci_u32_e64 v51, null, s1, v10, vcc_lo
	v_add_co_u32 v52, vcc_lo, s0, v11
	s_wait_alu 0xfffd
	v_add_co_ci_u32_e64 v53, null, s1, v12, vcc_lo
	v_add_co_u32 v54, vcc_lo, s0, v13
	;; [unrolled: 3-line block ×3, first 2 shown]
	s_clause 0x2
	global_load_b128 v[16:19], v[46:47], off
	global_load_b128 v[9:12], v[48:49], off
	;; [unrolled: 1-line block ×3, first 2 shown]
	s_wait_alu 0xfffd
	v_add_co_ci_u32_e64 v57, null, s1, v29, vcc_lo
	s_clause 0x2
	global_load_b128 v[24:27], v[52:53], off
	global_load_b128 v[28:31], v[54:55], off
	;; [unrolled: 1-line block ×3, first 2 shown]
	v_add_nc_u32_e32 v13, s11, v36
	s_movk_i32 s4, 0x70
	s_movk_i32 s5, 0x80
	;; [unrolled: 1-line block ×4, first 2 shown]
	v_add_nc_u32_e32 v36, s11, v13
	v_ashrrev_i32_e32 v14, 31, v13
	s_movk_i32 s10, 0xb0
	s_movk_i32 s36, 0x1c0
	;; [unrolled: 1-line block ×3, first 2 shown]
	v_add_nc_u32_e32 v38, s11, v36
	v_ashrrev_i32_e32 v37, 31, v36
	v_lshlrev_b64_e32 v[13:14], 4, v[13:14]
	s_movk_i32 s58, 0x1e0
	s_movk_i32 s59, 0x1f0
	v_add_nc_u32_e32 v40, s11, v38
	v_lshlrev_b64_e32 v[36:37], 4, v[36:37]
	v_ashrrev_i32_e32 v39, 31, v38
	v_add_co_u32 v58, vcc_lo, s0, v13
	s_delay_alu instid0(VALU_DEP_4) | instskip(SKIP_3) | instid1(VALU_DEP_3)
	v_add_nc_u32_e32 v64, s11, v40
	s_wait_alu 0xfffd
	v_add_co_ci_u32_e64 v59, null, s1, v14, vcc_lo
	v_add_co_u32 v60, vcc_lo, s0, v36
	v_add_nc_u32_e32 v66, s11, v64
	v_lshlrev_b64_e32 v[13:14], 4, v[38:39]
	s_wait_alu 0xfffd
	v_add_co_ci_u32_e64 v61, null, s1, v37, vcc_lo
	global_load_b128 v[36:39], v[58:59], off
	v_add_nc_u32_e32 v68, s11, v66
	v_ashrrev_i32_e32 v41, 31, v40
	v_ashrrev_i32_e32 v65, 31, v64
	v_add_co_u32 v62, vcc_lo, s0, v13
	s_delay_alu instid0(VALU_DEP_4) | instskip(NEXT) | instid1(VALU_DEP_4)
	v_add_nc_u32_e32 v70, s11, v68
	v_lshlrev_b64_e32 v[40:41], 4, v[40:41]
	s_wait_alu 0xfffd
	v_add_co_ci_u32_e64 v63, null, s1, v14, vcc_lo
	v_lshlrev_b64_e32 v[13:14], 4, v[64:65]
	v_add_nc_u32_e32 v72, s11, v70
	v_ashrrev_i32_e32 v67, 31, v66
	v_ashrrev_i32_e32 v69, 31, v68
	v_add_co_u32 v64, vcc_lo, s0, v40
	s_delay_alu instid0(VALU_DEP_4)
	v_add_nc_u32_e32 v74, s11, v72
	s_wait_alu 0xfffd
	v_add_co_ci_u32_e64 v65, null, s1, v41, vcc_lo
	v_lshlrev_b64_e32 v[40:41], 4, v[66:67]
	v_add_co_u32 v66, vcc_lo, s0, v13
	v_add_nc_u32_e32 v76, s11, v74
	s_clause 0x1
	global_load_b128 v[106:109], v[60:61], off
	global_load_b128 v[110:113], v[62:63], off
	s_wait_alu 0xfffd
	v_add_co_ci_u32_e64 v67, null, s1, v14, vcc_lo
	v_lshlrev_b64_e32 v[13:14], 4, v[68:69]
	v_add_nc_u32_e32 v78, s11, v76
	v_ashrrev_i32_e32 v71, 31, v70
	v_ashrrev_i32_e32 v73, 31, v72
	v_add_co_u32 v68, vcc_lo, s0, v40
	s_delay_alu instid0(VALU_DEP_4)
	v_add_nc_u32_e32 v80, s11, v78
	s_clause 0x1
	global_load_b128 v[114:117], v[64:65], off
	global_load_b128 v[118:121], v[66:67], off
	s_wait_alu 0xfffd
	v_add_co_ci_u32_e64 v69, null, s1, v41, vcc_lo
	v_lshlrev_b64_e32 v[40:41], 4, v[70:71]
	v_add_co_u32 v70, vcc_lo, s0, v13
	s_wait_alu 0xfffd
	v_add_co_ci_u32_e64 v71, null, s1, v14, vcc_lo
	v_lshlrev_b64_e32 v[13:14], 4, v[72:73]
	v_ashrrev_i32_e32 v75, 31, v74
	v_add_nc_u32_e32 v82, s11, v80
	v_ashrrev_i32_e32 v77, 31, v76
	v_add_co_u32 v72, vcc_lo, s0, v40
	s_wait_alu 0xfffd
	v_add_co_ci_u32_e64 v73, null, s1, v41, vcc_lo
	v_lshlrev_b64_e32 v[40:41], 4, v[74:75]
	v_add_co_u32 v74, vcc_lo, s0, v13
	v_add_nc_u32_e32 v84, s11, v82
	s_clause 0x1
	global_load_b128 v[122:125], v[68:69], off
	global_load_b128 v[126:129], v[70:71], off
	s_wait_alu 0xfffd
	v_add_co_ci_u32_e64 v75, null, s1, v14, vcc_lo
	v_lshlrev_b64_e32 v[13:14], 4, v[76:77]
	v_ashrrev_i32_e32 v79, 31, v78
	v_ashrrev_i32_e32 v81, 31, v80
	v_add_nc_u32_e32 v86, s11, v84
	v_add_co_u32 v76, vcc_lo, s0, v40
	s_wait_alu 0xfffd
	v_add_co_ci_u32_e64 v77, null, s1, v41, vcc_lo
	v_lshlrev_b64_e32 v[40:41], 4, v[78:79]
	v_add_co_u32 v78, vcc_lo, s0, v13
	s_wait_alu 0xfffd
	v_add_co_ci_u32_e64 v79, null, s1, v14, vcc_lo
	v_lshlrev_b64_e32 v[13:14], 4, v[80:81]
	v_add_nc_u32_e32 v88, s11, v86
	v_ashrrev_i32_e32 v83, 31, v82
	v_ashrrev_i32_e32 v85, 31, v84
	v_add_co_u32 v80, vcc_lo, s0, v40
	s_delay_alu instid0(VALU_DEP_4)
	v_add_nc_u32_e32 v90, s11, v88
	s_wait_alu 0xfffd
	v_add_co_ci_u32_e64 v81, null, s1, v41, vcc_lo
	v_lshlrev_b64_e32 v[40:41], 4, v[82:83]
	v_add_co_u32 v82, vcc_lo, s0, v13
	s_wait_alu 0xfffd
	v_add_co_ci_u32_e64 v83, null, s1, v14, vcc_lo
	v_lshlrev_b64_e32 v[13:14], 4, v[84:85]
	v_ashrrev_i32_e32 v87, 31, v86
	v_add_nc_u32_e32 v92, s11, v90
	v_ashrrev_i32_e32 v89, 31, v88
	v_add_co_u32 v84, vcc_lo, s0, v40
	s_wait_alu 0xfffd
	v_add_co_ci_u32_e64 v85, null, s1, v41, vcc_lo
	v_lshlrev_b64_e32 v[40:41], 4, v[86:87]
	v_add_co_u32 v86, vcc_lo, s0, v13
	v_add_nc_u32_e32 v94, s11, v92
	s_wait_alu 0xfffd
	v_add_co_ci_u32_e64 v87, null, s1, v14, vcc_lo
	v_lshlrev_b64_e32 v[13:14], 4, v[88:89]
	v_ashrrev_i32_e32 v91, 31, v90
	v_ashrrev_i32_e32 v93, 31, v92
	s_clause 0x1
	global_load_b128 v[130:133], v[72:73], off
	global_load_b128 v[134:137], v[74:75], off
	v_add_co_u32 v88, vcc_lo, s0, v40
	v_add_nc_u32_e32 v96, s11, v94
	s_wait_alu 0xfffd
	v_add_co_ci_u32_e64 v89, null, s1, v41, vcc_lo
	v_lshlrev_b64_e32 v[40:41], 4, v[90:91]
	v_add_co_u32 v90, vcc_lo, s0, v13
	s_wait_alu 0xfffd
	v_add_co_ci_u32_e64 v91, null, s1, v14, vcc_lo
	v_lshlrev_b64_e32 v[13:14], 4, v[92:93]
	v_ashrrev_i32_e32 v95, 31, v94
	v_add_nc_u32_e32 v98, s11, v96
	v_ashrrev_i32_e32 v97, 31, v96
	v_add_co_u32 v92, vcc_lo, s0, v40
	s_wait_alu 0xfffd
	v_add_co_ci_u32_e64 v93, null, s1, v41, vcc_lo
	v_lshlrev_b64_e32 v[40:41], 4, v[94:95]
	v_add_co_u32 v94, vcc_lo, s0, v13
	v_add_nc_u32_e32 v100, s11, v98
	s_wait_alu 0xfffd
	v_add_co_ci_u32_e64 v95, null, s1, v14, vcc_lo
	v_lshlrev_b64_e32 v[13:14], 4, v[96:97]
	v_ashrrev_i32_e32 v99, 31, v98
	v_ashrrev_i32_e32 v101, 31, v100
	v_add_co_u32 v96, vcc_lo, s0, v40
	s_wait_alu 0xfffd
	v_add_co_ci_u32_e64 v97, null, s1, v41, vcc_lo
	v_lshlrev_b64_e32 v[40:41], 4, v[98:99]
	v_add_co_u32 v98, vcc_lo, s0, v13
	s_wait_alu 0xfffd
	v_add_co_ci_u32_e64 v99, null, s1, v14, vcc_lo
	v_lshlrev_b64_e32 v[13:14], 4, v[100:101]
	v_add_nc_u32_e32 v166, s11, v100
	v_add_co_u32 v100, vcc_lo, s0, v40
	s_wait_alu 0xfffd
	v_add_co_ci_u32_e64 v101, null, s1, v41, vcc_lo
	s_delay_alu instid0(VALU_DEP_4)
	v_add_co_u32 v102, vcc_lo, s0, v13
	s_clause 0x1
	global_load_b128 v[138:141], v[76:77], off
	global_load_b128 v[142:145], v[78:79], off
	s_wait_alu 0xfffd
	v_add_co_ci_u32_e64 v103, null, s1, v14, vcc_lo
	s_clause 0x4
	global_load_b128 v[146:149], v[80:81], off
	global_load_b128 v[150:153], v[82:83], off
	;; [unrolled: 1-line block ×5, first 2 shown]
	v_add_nc_u32_e32 v13, s11, v166
	v_ashrrev_i32_e32 v167, 31, v166
	s_movk_i32 s60, 0x200
	s_movk_i32 s61, 0x210
	;; [unrolled: 1-line block ×3, first 2 shown]
	v_ashrrev_i32_e32 v14, 31, v13
	v_lshlrev_b64_e32 v[40:41], 4, v[166:167]
	s_movk_i32 s63, 0x230
	s_movk_i32 s64, 0x240
	;; [unrolled: 1-line block ×5, first 2 shown]
	v_add_co_u32 v104, vcc_lo, s0, v40
	s_wait_alu 0xfffd
	v_add_co_ci_u32_e64 v105, null, s1, v41, vcc_lo
	s_movk_i32 s68, 0x280
	s_movk_i32 s69, 0x290
	s_movk_i32 s70, 0x2a0
	s_movk_i32 s71, 0x2b0
	s_movk_i32 s72, 0x2c0
	s_movk_i32 s73, 0x2d0
	s_movk_i32 s74, 0x2e0
	s_movk_i32 s75, 0x2f0
	s_wait_alu 0xfffe
	s_add_co_i32 s54, s4, 16
	s_add_co_i32 s53, s5, 16
	;; [unrolled: 1-line block ×39, first 2 shown]
	s_mov_b32 s46, 32
	s_mov_b32 s45, 48
	;; [unrolled: 1-line block ×3, first 2 shown]
	s_movk_i32 s43, 0x50
	s_wait_loadcnt 0x17
	scratch_store_b128 off, v[1:4], off offset:16
	global_load_b128 v[1:4], v[90:91], off
	s_wait_loadcnt 0x17
	scratch_store_b128 off, v[5:8], off offset:32
	global_load_b128 v[5:8], v[92:93], off
	;; [unrolled: 3-line block ×3, first 2 shown]
	s_wait_loadcnt 0x17
	scratch_store_b128 off, v[9:12], off offset:64
	s_wait_loadcnt 0x16
	scratch_store_b128 off, v[20:23], off offset:80
	s_clause 0x1
	global_load_b128 v[9:12], v[96:97], off
	global_load_b128 v[20:23], v[98:99], off
	s_wait_loadcnt 0x17
	scratch_store_b128 off, v[24:27], off offset:96
	s_wait_loadcnt 0x16
	scratch_store_b128 off, v[28:31], off offset:112
	s_clause 0x1
	global_load_b128 v[24:27], v[100:101], off
	global_load_b128 v[28:31], v[102:103], off
	s_wait_loadcnt 0x17
	scratch_store_b128 off, v[32:35], off offset:128
	global_load_b128 v[32:35], v[104:105], off
	s_wait_loadcnt 0x17
	scratch_store_b128 off, v[36:39], off offset:144
	v_add_nc_u32_e32 v36, s11, v13
	v_lshlrev_b64_e32 v[13:14], 4, v[13:14]
	s_delay_alu instid0(VALU_DEP_2) | instskip(SKIP_1) | instid1(VALU_DEP_2)
	v_add_nc_u32_e32 v38, s11, v36
	v_ashrrev_i32_e32 v37, 31, v36
	v_add_nc_u32_e32 v40, s11, v38
	v_ashrrev_i32_e32 v39, 31, v38
	s_delay_alu instid0(VALU_DEP_3) | instskip(NEXT) | instid1(VALU_DEP_3)
	v_lshlrev_b64_e32 v[36:37], 4, v[36:37]
	v_ashrrev_i32_e32 v41, 31, v40
	s_delay_alu instid0(VALU_DEP_3)
	v_lshlrev_b64_e32 v[166:167], 4, v[38:39]
	s_wait_loadcnt 0x16
	scratch_store_b128 off, v[106:109], off offset:160
	s_wait_loadcnt 0x15
	scratch_store_b128 off, v[110:113], off offset:176
	v_add_co_u32 v106, vcc_lo, s0, v13
	v_add_nc_u32_e32 v13, s11, v40
	v_lshlrev_b64_e32 v[40:41], 4, v[40:41]
	s_wait_alu 0xfffd
	v_add_co_ci_u32_e64 v107, null, s1, v14, vcc_lo
	v_add_co_u32 v108, vcc_lo, s0, v36
	s_wait_loadcnt 0x14
	scratch_store_b128 off, v[114:117], off offset:192
	v_add_nc_u32_e32 v114, s11, v13
	v_ashrrev_i32_e32 v14, 31, v13
	s_wait_alu 0xfffd
	v_add_co_ci_u32_e64 v109, null, s1, v37, vcc_lo
	v_add_co_u32 v110, vcc_lo, s0, v166
	s_wait_alu 0xfffd
	v_add_co_ci_u32_e64 v111, null, s1, v167, vcc_lo
	v_add_co_u32 v112, vcc_lo, s0, v40
	v_add_nc_u32_e32 v40, s11, v114
	v_lshlrev_b64_e32 v[13:14], 4, v[13:14]
	v_ashrrev_i32_e32 v115, 31, v114
	global_load_b128 v[36:39], v[106:107], off
	s_wait_alu 0xfffd
	v_add_co_ci_u32_e64 v113, null, s1, v41, vcc_lo
	s_wait_loadcnt 0x14
	scratch_store_b128 off, v[118:121], off offset:208
	s_wait_loadcnt 0x13
	scratch_store_b128 off, v[122:125], off offset:224
	v_ashrrev_i32_e32 v41, 31, v40
	v_add_nc_u32_e32 v118, s11, v40
	v_lshlrev_b64_e32 v[116:117], 4, v[114:115]
	v_add_co_u32 v114, vcc_lo, s0, v13
	s_wait_alu 0xfffd
	v_add_co_ci_u32_e64 v115, null, s1, v14, vcc_lo
	v_lshlrev_b64_e32 v[13:14], 4, v[40:41]
	v_add_nc_u32_e32 v40, s11, v118
	v_ashrrev_i32_e32 v119, 31, v118
	v_add_co_u32 v116, vcc_lo, s0, v116
	s_wait_alu 0xfffd
	v_add_co_ci_u32_e64 v117, null, s1, v117, vcc_lo
	v_ashrrev_i32_e32 v41, 31, v40
	v_add_nc_u32_e32 v122, s11, v40
	v_lshlrev_b64_e32 v[120:121], 4, v[118:119]
	v_add_co_u32 v118, vcc_lo, s0, v13
	s_wait_alu 0xfffd
	v_add_co_ci_u32_e64 v119, null, s1, v14, vcc_lo
	v_lshlrev_b64_e32 v[13:14], 4, v[40:41]
	v_add_nc_u32_e32 v40, s11, v122
	v_ashrrev_i32_e32 v123, 31, v122
	s_clause 0x1
	global_load_b128 v[166:169], v[108:109], off
	global_load_b128 v[170:173], v[110:111], off
	s_wait_loadcnt 0x14
	scratch_store_b128 off, v[126:129], off offset:240
	v_add_co_u32 v120, vcc_lo, s0, v120
	v_ashrrev_i32_e32 v41, 31, v40
	v_add_nc_u32_e32 v126, s11, v40
	s_wait_alu 0xfffd
	v_add_co_ci_u32_e64 v121, null, s1, v121, vcc_lo
	v_lshlrev_b64_e32 v[124:125], 4, v[122:123]
	v_add_co_u32 v122, vcc_lo, s0, v13
	s_wait_alu 0xfffd
	v_add_co_ci_u32_e64 v123, null, s1, v14, vcc_lo
	v_lshlrev_b64_e32 v[13:14], 4, v[40:41]
	v_add_nc_u32_e32 v40, s11, v126
	v_ashrrev_i32_e32 v127, 31, v126
	s_wait_loadcnt 0x13
	scratch_store_b128 off, v[130:133], off offset:256
	s_wait_loadcnt 0x12
	scratch_store_b128 off, v[134:137], off offset:272
	v_ashrrev_i32_e32 v41, 31, v40
	v_add_nc_u32_e32 v130, s11, v40
	v_add_co_u32 v124, vcc_lo, s0, v124
	s_wait_alu 0xfffd
	v_add_co_ci_u32_e64 v125, null, s1, v125, vcc_lo
	v_lshlrev_b64_e32 v[128:129], 4, v[126:127]
	v_add_co_u32 v126, vcc_lo, s0, v13
	s_wait_alu 0xfffd
	v_add_co_ci_u32_e64 v127, null, s1, v14, vcc_lo
	v_lshlrev_b64_e32 v[13:14], 4, v[40:41]
	v_add_nc_u32_e32 v40, s11, v130
	v_ashrrev_i32_e32 v131, 31, v130
	v_add_co_u32 v128, vcc_lo, s0, v128
	s_wait_alu 0xfffd
	v_add_co_ci_u32_e64 v129, null, s1, v129, vcc_lo
	v_add_nc_u32_e32 v134, s11, v40
	v_ashrrev_i32_e32 v41, 31, v40
	v_lshlrev_b64_e32 v[132:133], 4, v[130:131]
	v_add_co_u32 v130, vcc_lo, s0, v13
	s_delay_alu instid0(VALU_DEP_4)
	v_ashrrev_i32_e32 v135, 31, v134
	s_wait_alu 0xfffd
	v_add_co_ci_u32_e64 v131, null, s1, v14, vcc_lo
	v_lshlrev_b64_e32 v[13:14], 4, v[40:41]
	v_add_co_u32 v132, vcc_lo, s0, v132
	v_lshlrev_b64_e32 v[40:41], 4, v[134:135]
	s_wait_alu 0xfffd
	v_add_co_ci_u32_e64 v133, null, s1, v133, vcc_lo
	s_delay_alu instid0(VALU_DEP_4)
	v_add_co_u32 v134, vcc_lo, s0, v13
	s_wait_alu 0xfffd
	v_add_co_ci_u32_e64 v135, null, s1, v14, vcc_lo
	v_add_co_u32 v136, vcc_lo, s0, v40
	s_clause 0x1
	global_load_b128 v[174:177], v[112:113], off
	global_load_b128 v[178:181], v[114:115], off
	s_wait_alu 0xfffd
	v_add_co_ci_u32_e64 v137, null, s1, v41, vcc_lo
	s_movk_i32 s0, 0x50
	s_movk_i32 s1, 0x60
	s_wait_loadcnt 0x13
	scratch_store_b128 off, v[138:141], off offset:288
	s_wait_loadcnt 0x12
	scratch_store_b128 off, v[142:145], off offset:304
	;; [unrolled: 2-line block ×3, first 2 shown]
	s_clause 0x1
	global_load_b128 v[138:141], v[116:117], off
	global_load_b128 v[142:145], v[118:119], off
	s_wait_loadcnt 0x12
	scratch_store_b128 off, v[150:153], off offset:336
	s_wait_loadcnt 0x11
	scratch_store_b128 off, v[154:157], off offset:352
	;; [unrolled: 2-line block ×3, first 2 shown]
	s_clause 0x1
	global_load_b128 v[146:149], v[120:121], off
	global_load_b128 v[150:153], v[122:123], off
	s_wait_loadcnt 0x11
	scratch_store_b128 off, v[162:165], off offset:384
	s_movk_i32 s11, 0xc0
	s_wait_alu 0xfffe
	s_add_co_i32 s56, s0, 16
	s_add_co_i32 s55, s1, 16
	;; [unrolled: 1-line block ×4, first 2 shown]
	s_bitcmp0_b32 s57, 0
	s_mov_b32 s1, -1
	s_wait_loadcnt 0x10
	scratch_store_b128 off, v[1:4], off offset:400
	s_wait_loadcnt 0xf
	scratch_store_b128 off, v[5:8], off offset:416
	s_clause 0x1
	global_load_b128 v[1:4], v[124:125], off
	global_load_b128 v[5:8], v[126:127], off
	s_wait_loadcnt 0x10
	scratch_store_b128 off, v[16:19], off offset:432
	s_wait_loadcnt 0xf
	scratch_store_b128 off, v[9:12], off offset:448
	;; [unrolled: 2-line block ×3, first 2 shown]
	s_clause 0x2
	global_load_b128 v[9:12], v[128:129], off
	global_load_b128 v[16:19], v[130:131], off
	;; [unrolled: 1-line block ×3, first 2 shown]
	s_wait_loadcnt 0x10
	scratch_store_b128 off, v[24:27], off offset:480
	s_wait_loadcnt 0xf
	scratch_store_b128 off, v[28:31], off offset:496
	s_clause 0x1
	global_load_b128 v[24:27], v[134:135], off
	global_load_b128 v[28:31], v[136:137], off
	s_wait_loadcnt 0x10
	scratch_store_b128 off, v[32:35], off offset:512
	s_wait_loadcnt 0xf
	scratch_store_b128 off, v[36:39], off offset:528
	;; [unrolled: 2-line block ×17, first 2 shown]
	s_cbranch_scc1 .LBB47_204
; %bb.4:
	v_cmp_eq_u32_e64 s0, 0, v0
	s_and_saveexec_b32 s1, s0
; %bb.5:
	v_mov_b32_e32 v1, 0
	ds_store_b32 v1, v1 offset:1536
; %bb.6:
	s_wait_alu 0xfffe
	s_or_b32 exec_lo, exec_lo, s1
	s_wait_storecnt_dscnt 0x0
	s_barrier_signal -1
	s_barrier_wait -1
	global_inv scope:SCOPE_SE
	scratch_load_b128 v[1:4], v15, off offset:16
	s_wait_loadcnt 0x0
	v_cmp_eq_f64_e32 vcc_lo, 0, v[1:2]
	v_cmp_eq_f64_e64 s1, 0, v[3:4]
	s_and_b32 s1, vcc_lo, s1
	s_wait_alu 0xfffe
	s_and_saveexec_b32 s57, s1
	s_cbranch_execz .LBB47_10
; %bb.7:
	v_mov_b32_e32 v1, 0
	s_mov_b32 s58, 0
	ds_load_b32 v2, v1 offset:1536
	s_wait_dscnt 0x0
	v_readfirstlane_b32 s1, v2
	v_add_nc_u32_e32 v2, 1, v0
	s_cmp_eq_u32 s1, 0
	s_delay_alu instid0(VALU_DEP_1) | instskip(SKIP_1) | instid1(SALU_CYCLE_1)
	v_cmp_gt_i32_e32 vcc_lo, s1, v2
	s_cselect_b32 s59, -1, 0
	s_or_b32 s59, s59, vcc_lo
	s_delay_alu instid0(SALU_CYCLE_1)
	s_and_b32 exec_lo, exec_lo, s59
	s_cbranch_execz .LBB47_10
; %bb.8:
	v_mov_b32_e32 v3, s1
.LBB47_9:                               ; =>This Inner Loop Header: Depth=1
	ds_cmpstore_rtn_b32 v3, v1, v2, v3 offset:1536
	s_wait_dscnt 0x0
	v_cmp_ne_u32_e32 vcc_lo, 0, v3
	v_cmp_le_i32_e64 s1, v3, v2
	s_and_b32 s1, vcc_lo, s1
	s_wait_alu 0xfffe
	s_and_b32 s1, exec_lo, s1
	s_wait_alu 0xfffe
	s_or_b32 s58, s1, s58
	s_delay_alu instid0(SALU_CYCLE_1)
	s_and_not1_b32 exec_lo, exec_lo, s58
	s_cbranch_execnz .LBB47_9
.LBB47_10:
	s_or_b32 exec_lo, exec_lo, s57
	v_mov_b32_e32 v1, 0
	s_barrier_signal -1
	s_barrier_wait -1
	global_inv scope:SCOPE_SE
	ds_load_b32 v2, v1 offset:1536
	s_and_saveexec_b32 s1, s0
	s_cbranch_execz .LBB47_12
; %bb.11:
	s_lshl_b64 s[58:59], s[16:17], 2
	s_delay_alu instid0(SALU_CYCLE_1)
	s_add_nc_u64 s[58:59], s[6:7], s[58:59]
	s_wait_dscnt 0x0
	global_store_b32 v1, v2, s[58:59]
.LBB47_12:
	s_wait_alu 0xfffe
	s_or_b32 exec_lo, exec_lo, s1
	s_wait_dscnt 0x0
	v_cmp_ne_u32_e32 vcc_lo, 0, v2
	s_mov_b32 s1, 0
	s_cbranch_vccnz .LBB47_204
; %bb.13:
	v_add_nc_u32_e32 v13, 16, v15
                                        ; implicit-def: $vgpr1_vgpr2
                                        ; implicit-def: $vgpr9_vgpr10
	scratch_load_b128 v[5:8], v13, off
	s_wait_loadcnt 0x0
	v_cmp_ngt_f64_e64 s1, |v[5:6]|, |v[7:8]|
	s_wait_alu 0xfffe
	s_and_saveexec_b32 s57, s1
	s_delay_alu instid0(SALU_CYCLE_1)
	s_xor_b32 s1, exec_lo, s57
	s_cbranch_execz .LBB47_15
; %bb.14:
	v_div_scale_f64 v[1:2], null, v[7:8], v[7:8], v[5:6]
	v_div_scale_f64 v[11:12], vcc_lo, v[5:6], v[7:8], v[5:6]
	s_delay_alu instid0(VALU_DEP_2) | instskip(NEXT) | instid1(TRANS32_DEP_1)
	v_rcp_f64_e32 v[3:4], v[1:2]
	v_fma_f64 v[9:10], -v[1:2], v[3:4], 1.0
	s_delay_alu instid0(VALU_DEP_1) | instskip(NEXT) | instid1(VALU_DEP_1)
	v_fma_f64 v[3:4], v[3:4], v[9:10], v[3:4]
	v_fma_f64 v[9:10], -v[1:2], v[3:4], 1.0
	s_delay_alu instid0(VALU_DEP_1) | instskip(NEXT) | instid1(VALU_DEP_1)
	v_fma_f64 v[3:4], v[3:4], v[9:10], v[3:4]
	v_mul_f64_e32 v[9:10], v[11:12], v[3:4]
	s_delay_alu instid0(VALU_DEP_1) | instskip(SKIP_1) | instid1(VALU_DEP_1)
	v_fma_f64 v[1:2], -v[1:2], v[9:10], v[11:12]
	s_wait_alu 0xfffd
	v_div_fmas_f64 v[1:2], v[1:2], v[3:4], v[9:10]
	s_delay_alu instid0(VALU_DEP_1) | instskip(NEXT) | instid1(VALU_DEP_1)
	v_div_fixup_f64 v[1:2], v[1:2], v[7:8], v[5:6]
	v_fma_f64 v[3:4], v[5:6], v[1:2], v[7:8]
	s_delay_alu instid0(VALU_DEP_1) | instskip(SKIP_1) | instid1(VALU_DEP_2)
	v_div_scale_f64 v[5:6], null, v[3:4], v[3:4], 1.0
	v_div_scale_f64 v[11:12], vcc_lo, 1.0, v[3:4], 1.0
	v_rcp_f64_e32 v[7:8], v[5:6]
	s_delay_alu instid0(TRANS32_DEP_1) | instskip(NEXT) | instid1(VALU_DEP_1)
	v_fma_f64 v[9:10], -v[5:6], v[7:8], 1.0
	v_fma_f64 v[7:8], v[7:8], v[9:10], v[7:8]
	s_delay_alu instid0(VALU_DEP_1) | instskip(NEXT) | instid1(VALU_DEP_1)
	v_fma_f64 v[9:10], -v[5:6], v[7:8], 1.0
	v_fma_f64 v[7:8], v[7:8], v[9:10], v[7:8]
	s_delay_alu instid0(VALU_DEP_1) | instskip(NEXT) | instid1(VALU_DEP_1)
	v_mul_f64_e32 v[9:10], v[11:12], v[7:8]
	v_fma_f64 v[5:6], -v[5:6], v[9:10], v[11:12]
	s_wait_alu 0xfffd
	s_delay_alu instid0(VALU_DEP_1) | instskip(NEXT) | instid1(VALU_DEP_1)
	v_div_fmas_f64 v[5:6], v[5:6], v[7:8], v[9:10]
	v_div_fixup_f64 v[3:4], v[5:6], v[3:4], 1.0
                                        ; implicit-def: $vgpr5_vgpr6
	s_delay_alu instid0(VALU_DEP_1) | instskip(SKIP_1) | instid1(VALU_DEP_2)
	v_mul_f64_e32 v[1:2], v[1:2], v[3:4]
	v_xor_b32_e32 v4, 0x80000000, v4
	v_xor_b32_e32 v10, 0x80000000, v2
	s_delay_alu instid0(VALU_DEP_3)
	v_mov_b32_e32 v9, v1
.LBB47_15:
	s_wait_alu 0xfffe
	s_and_not1_saveexec_b32 s1, s1
	s_cbranch_execz .LBB47_17
; %bb.16:
	v_div_scale_f64 v[1:2], null, v[5:6], v[5:6], v[7:8]
	v_div_scale_f64 v[11:12], vcc_lo, v[7:8], v[5:6], v[7:8]
	s_delay_alu instid0(VALU_DEP_2) | instskip(NEXT) | instid1(TRANS32_DEP_1)
	v_rcp_f64_e32 v[3:4], v[1:2]
	v_fma_f64 v[9:10], -v[1:2], v[3:4], 1.0
	s_delay_alu instid0(VALU_DEP_1) | instskip(NEXT) | instid1(VALU_DEP_1)
	v_fma_f64 v[3:4], v[3:4], v[9:10], v[3:4]
	v_fma_f64 v[9:10], -v[1:2], v[3:4], 1.0
	s_delay_alu instid0(VALU_DEP_1) | instskip(NEXT) | instid1(VALU_DEP_1)
	v_fma_f64 v[3:4], v[3:4], v[9:10], v[3:4]
	v_mul_f64_e32 v[9:10], v[11:12], v[3:4]
	s_delay_alu instid0(VALU_DEP_1) | instskip(SKIP_1) | instid1(VALU_DEP_1)
	v_fma_f64 v[1:2], -v[1:2], v[9:10], v[11:12]
	s_wait_alu 0xfffd
	v_div_fmas_f64 v[1:2], v[1:2], v[3:4], v[9:10]
	s_delay_alu instid0(VALU_DEP_1) | instskip(NEXT) | instid1(VALU_DEP_1)
	v_div_fixup_f64 v[3:4], v[1:2], v[5:6], v[7:8]
	v_fma_f64 v[1:2], v[7:8], v[3:4], v[5:6]
	s_delay_alu instid0(VALU_DEP_1) | instskip(NEXT) | instid1(VALU_DEP_1)
	v_div_scale_f64 v[5:6], null, v[1:2], v[1:2], 1.0
	v_rcp_f64_e32 v[7:8], v[5:6]
	s_delay_alu instid0(TRANS32_DEP_1) | instskip(NEXT) | instid1(VALU_DEP_1)
	v_fma_f64 v[9:10], -v[5:6], v[7:8], 1.0
	v_fma_f64 v[7:8], v[7:8], v[9:10], v[7:8]
	s_delay_alu instid0(VALU_DEP_1) | instskip(NEXT) | instid1(VALU_DEP_1)
	v_fma_f64 v[9:10], -v[5:6], v[7:8], 1.0
	v_fma_f64 v[7:8], v[7:8], v[9:10], v[7:8]
	v_div_scale_f64 v[9:10], vcc_lo, 1.0, v[1:2], 1.0
	s_delay_alu instid0(VALU_DEP_1) | instskip(NEXT) | instid1(VALU_DEP_1)
	v_mul_f64_e32 v[11:12], v[9:10], v[7:8]
	v_fma_f64 v[5:6], -v[5:6], v[11:12], v[9:10]
	s_wait_alu 0xfffd
	s_delay_alu instid0(VALU_DEP_1) | instskip(NEXT) | instid1(VALU_DEP_1)
	v_div_fmas_f64 v[5:6], v[5:6], v[7:8], v[11:12]
	v_div_fixup_f64 v[1:2], v[5:6], v[1:2], 1.0
	s_delay_alu instid0(VALU_DEP_1)
	v_mul_f64_e64 v[3:4], v[3:4], -v[1:2]
	v_xor_b32_e32 v10, 0x80000000, v2
	v_mov_b32_e32 v9, v1
.LBB47_17:
	s_wait_alu 0xfffe
	s_or_b32 exec_lo, exec_lo, s1
	scratch_store_b128 v13, v[1:4], off
	scratch_load_b128 v[16:19], off, s46
	v_xor_b32_e32 v12, 0x80000000, v4
	v_mov_b32_e32 v11, v3
	v_add_nc_u32_e32 v5, 0x300, v15
	ds_store_b128 v15, v[9:12]
	s_wait_loadcnt 0x0
	ds_store_b128 v15, v[16:19] offset:768
	s_wait_storecnt_dscnt 0x0
	s_barrier_signal -1
	s_barrier_wait -1
	global_inv scope:SCOPE_SE
	s_and_saveexec_b32 s1, s0
	s_cbranch_execz .LBB47_19
; %bb.18:
	scratch_load_b128 v[1:4], v13, off
	ds_load_b128 v[6:9], v5
	v_mov_b32_e32 v10, 0
	ds_load_b128 v[16:19], v10 offset:16
	s_wait_loadcnt_dscnt 0x1
	v_mul_f64_e32 v[10:11], v[6:7], v[3:4]
	v_mul_f64_e32 v[3:4], v[8:9], v[3:4]
	s_delay_alu instid0(VALU_DEP_2) | instskip(NEXT) | instid1(VALU_DEP_2)
	v_fma_f64 v[8:9], v[8:9], v[1:2], v[10:11]
	v_fma_f64 v[1:2], v[6:7], v[1:2], -v[3:4]
	s_delay_alu instid0(VALU_DEP_2) | instskip(NEXT) | instid1(VALU_DEP_2)
	v_add_f64_e32 v[3:4], 0, v[8:9]
	v_add_f64_e32 v[1:2], 0, v[1:2]
	s_wait_dscnt 0x0
	s_delay_alu instid0(VALU_DEP_2) | instskip(NEXT) | instid1(VALU_DEP_2)
	v_mul_f64_e32 v[6:7], v[3:4], v[18:19]
	v_mul_f64_e32 v[8:9], v[1:2], v[18:19]
	s_delay_alu instid0(VALU_DEP_2) | instskip(NEXT) | instid1(VALU_DEP_2)
	v_fma_f64 v[1:2], v[1:2], v[16:17], -v[6:7]
	v_fma_f64 v[3:4], v[3:4], v[16:17], v[8:9]
	scratch_store_b128 off, v[1:4], off offset:32
.LBB47_19:
	s_wait_alu 0xfffe
	s_or_b32 exec_lo, exec_lo, s1
	s_wait_loadcnt 0x0
	s_wait_storecnt 0x0
	s_barrier_signal -1
	s_barrier_wait -1
	global_inv scope:SCOPE_SE
	scratch_load_b128 v[1:4], off, s45
	s_mov_b32 s1, exec_lo
	s_wait_loadcnt 0x0
	ds_store_b128 v5, v[1:4]
	s_wait_dscnt 0x0
	s_barrier_signal -1
	s_barrier_wait -1
	global_inv scope:SCOPE_SE
	v_cmpx_gt_u32_e32 2, v0
	s_cbranch_execz .LBB47_23
; %bb.20:
	scratch_load_b128 v[1:4], v13, off
	ds_load_b128 v[6:9], v5
	s_wait_loadcnt_dscnt 0x0
	v_mul_f64_e32 v[10:11], v[8:9], v[3:4]
	v_mul_f64_e32 v[3:4], v[6:7], v[3:4]
	s_delay_alu instid0(VALU_DEP_2) | instskip(NEXT) | instid1(VALU_DEP_2)
	v_fma_f64 v[6:7], v[6:7], v[1:2], -v[10:11]
	v_fma_f64 v[3:4], v[8:9], v[1:2], v[3:4]
	s_delay_alu instid0(VALU_DEP_2) | instskip(NEXT) | instid1(VALU_DEP_2)
	v_add_f64_e32 v[1:2], 0, v[6:7]
	v_add_f64_e32 v[3:4], 0, v[3:4]
	s_and_saveexec_b32 s57, s0
	s_cbranch_execz .LBB47_22
; %bb.21:
	scratch_load_b128 v[6:9], off, off offset:32
	v_mov_b32_e32 v10, 0
	ds_load_b128 v[16:19], v10 offset:784
	s_wait_loadcnt_dscnt 0x0
	v_mul_f64_e32 v[10:11], v[16:17], v[8:9]
	v_mul_f64_e32 v[8:9], v[18:19], v[8:9]
	s_delay_alu instid0(VALU_DEP_2) | instskip(NEXT) | instid1(VALU_DEP_2)
	v_fma_f64 v[10:11], v[18:19], v[6:7], v[10:11]
	v_fma_f64 v[6:7], v[16:17], v[6:7], -v[8:9]
	s_delay_alu instid0(VALU_DEP_2) | instskip(NEXT) | instid1(VALU_DEP_2)
	v_add_f64_e32 v[3:4], v[3:4], v[10:11]
	v_add_f64_e32 v[1:2], v[1:2], v[6:7]
.LBB47_22:
	s_or_b32 exec_lo, exec_lo, s57
	v_mov_b32_e32 v6, 0
	ds_load_b128 v[6:9], v6 offset:32
	s_wait_dscnt 0x0
	v_mul_f64_e32 v[10:11], v[3:4], v[8:9]
	v_mul_f64_e32 v[8:9], v[1:2], v[8:9]
	s_delay_alu instid0(VALU_DEP_2) | instskip(NEXT) | instid1(VALU_DEP_2)
	v_fma_f64 v[1:2], v[1:2], v[6:7], -v[10:11]
	v_fma_f64 v[3:4], v[3:4], v[6:7], v[8:9]
	scratch_store_b128 off, v[1:4], off offset:48
.LBB47_23:
	s_wait_alu 0xfffe
	s_or_b32 exec_lo, exec_lo, s1
	s_wait_loadcnt 0x0
	s_wait_storecnt 0x0
	s_barrier_signal -1
	s_barrier_wait -1
	global_inv scope:SCOPE_SE
	scratch_load_b128 v[1:4], off, s44
	v_add_nc_u32_e32 v6, -1, v0
	s_mov_b32 s0, exec_lo
	s_wait_loadcnt 0x0
	ds_store_b128 v5, v[1:4]
	s_wait_dscnt 0x0
	s_barrier_signal -1
	s_barrier_wait -1
	global_inv scope:SCOPE_SE
	v_cmpx_gt_u32_e32 3, v0
	s_cbranch_execz .LBB47_27
; %bb.24:
	v_dual_mov_b32 v1, 0 :: v_dual_add_nc_u32 v8, 0x300, v15
	v_mov_b32_e32 v3, 0
	v_dual_mov_b32 v2, 0 :: v_dual_add_nc_u32 v7, -1, v0
	v_mov_b32_e32 v4, 0
	v_or_b32_e32 v9, 8, v13
	s_mov_b32 s1, 0
.LBB47_25:                              ; =>This Inner Loop Header: Depth=1
	scratch_load_b128 v[16:19], v9, off offset:-8
	ds_load_b128 v[20:23], v8
	v_add_nc_u32_e32 v7, 1, v7
	v_add_nc_u32_e32 v8, 16, v8
	v_add_nc_u32_e32 v9, 16, v9
	s_delay_alu instid0(VALU_DEP_3)
	v_cmp_lt_u32_e32 vcc_lo, 1, v7
	s_wait_alu 0xfffe
	s_or_b32 s1, vcc_lo, s1
	s_wait_loadcnt_dscnt 0x0
	v_mul_f64_e32 v[10:11], v[22:23], v[18:19]
	v_mul_f64_e32 v[18:19], v[20:21], v[18:19]
	s_delay_alu instid0(VALU_DEP_2) | instskip(NEXT) | instid1(VALU_DEP_2)
	v_fma_f64 v[10:11], v[20:21], v[16:17], -v[10:11]
	v_fma_f64 v[16:17], v[22:23], v[16:17], v[18:19]
	s_delay_alu instid0(VALU_DEP_2) | instskip(NEXT) | instid1(VALU_DEP_2)
	v_add_f64_e32 v[3:4], v[3:4], v[10:11]
	v_add_f64_e32 v[1:2], v[1:2], v[16:17]
	s_wait_alu 0xfffe
	s_and_not1_b32 exec_lo, exec_lo, s1
	s_cbranch_execnz .LBB47_25
; %bb.26:
	s_or_b32 exec_lo, exec_lo, s1
	v_mov_b32_e32 v7, 0
	ds_load_b128 v[7:10], v7 offset:48
	s_wait_dscnt 0x0
	v_mul_f64_e32 v[11:12], v[1:2], v[9:10]
	v_mul_f64_e32 v[16:17], v[3:4], v[9:10]
	s_delay_alu instid0(VALU_DEP_2) | instskip(NEXT) | instid1(VALU_DEP_2)
	v_fma_f64 v[9:10], v[3:4], v[7:8], -v[11:12]
	v_fma_f64 v[11:12], v[1:2], v[7:8], v[16:17]
	scratch_store_b128 off, v[9:12], off offset:64
.LBB47_27:
	s_wait_alu 0xfffe
	s_or_b32 exec_lo, exec_lo, s0
	s_wait_loadcnt 0x0
	s_wait_storecnt 0x0
	s_barrier_signal -1
	s_barrier_wait -1
	global_inv scope:SCOPE_SE
	scratch_load_b128 v[1:4], off, s43
	s_mov_b32 s0, exec_lo
	s_wait_loadcnt 0x0
	ds_store_b128 v5, v[1:4]
	s_wait_dscnt 0x0
	s_barrier_signal -1
	s_barrier_wait -1
	global_inv scope:SCOPE_SE
	v_cmpx_gt_u32_e32 4, v0
	s_cbranch_execz .LBB47_31
; %bb.28:
	v_dual_mov_b32 v1, 0 :: v_dual_add_nc_u32 v8, 0x300, v15
	v_mov_b32_e32 v3, 0
	v_dual_mov_b32 v2, 0 :: v_dual_add_nc_u32 v7, -1, v0
	v_mov_b32_e32 v4, 0
	v_or_b32_e32 v9, 8, v13
	s_mov_b32 s1, 0
.LBB47_29:                              ; =>This Inner Loop Header: Depth=1
	scratch_load_b128 v[16:19], v9, off offset:-8
	ds_load_b128 v[20:23], v8
	v_add_nc_u32_e32 v7, 1, v7
	v_add_nc_u32_e32 v8, 16, v8
	v_add_nc_u32_e32 v9, 16, v9
	s_delay_alu instid0(VALU_DEP_3)
	v_cmp_lt_u32_e32 vcc_lo, 2, v7
	s_wait_alu 0xfffe
	s_or_b32 s1, vcc_lo, s1
	s_wait_loadcnt_dscnt 0x0
	v_mul_f64_e32 v[10:11], v[22:23], v[18:19]
	v_mul_f64_e32 v[18:19], v[20:21], v[18:19]
	s_delay_alu instid0(VALU_DEP_2) | instskip(NEXT) | instid1(VALU_DEP_2)
	v_fma_f64 v[10:11], v[20:21], v[16:17], -v[10:11]
	v_fma_f64 v[16:17], v[22:23], v[16:17], v[18:19]
	s_delay_alu instid0(VALU_DEP_2) | instskip(NEXT) | instid1(VALU_DEP_2)
	v_add_f64_e32 v[3:4], v[3:4], v[10:11]
	v_add_f64_e32 v[1:2], v[1:2], v[16:17]
	s_wait_alu 0xfffe
	s_and_not1_b32 exec_lo, exec_lo, s1
	s_cbranch_execnz .LBB47_29
; %bb.30:
	s_or_b32 exec_lo, exec_lo, s1
	v_mov_b32_e32 v7, 0
	ds_load_b128 v[7:10], v7 offset:64
	s_wait_dscnt 0x0
	v_mul_f64_e32 v[11:12], v[1:2], v[9:10]
	v_mul_f64_e32 v[16:17], v[3:4], v[9:10]
	s_delay_alu instid0(VALU_DEP_2) | instskip(NEXT) | instid1(VALU_DEP_2)
	v_fma_f64 v[9:10], v[3:4], v[7:8], -v[11:12]
	v_fma_f64 v[11:12], v[1:2], v[7:8], v[16:17]
	scratch_store_b128 off, v[9:12], off offset:80
.LBB47_31:
	s_wait_alu 0xfffe
	s_or_b32 exec_lo, exec_lo, s0
	s_wait_loadcnt 0x0
	s_wait_storecnt 0x0
	s_barrier_signal -1
	s_barrier_wait -1
	global_inv scope:SCOPE_SE
	scratch_load_b128 v[1:4], off, s56
	;; [unrolled: 58-line block ×19, first 2 shown]
	s_mov_b32 s0, exec_lo
	s_wait_loadcnt 0x0
	ds_store_b128 v5, v[1:4]
	s_wait_dscnt 0x0
	s_barrier_signal -1
	s_barrier_wait -1
	global_inv scope:SCOPE_SE
	v_cmpx_gt_u32_e32 22, v0
	s_cbranch_execz .LBB47_103
; %bb.100:
	v_dual_mov_b32 v1, 0 :: v_dual_add_nc_u32 v8, 0x300, v15
	v_mov_b32_e32 v3, 0
	v_dual_mov_b32 v2, 0 :: v_dual_add_nc_u32 v7, -1, v0
	v_mov_b32_e32 v4, 0
	v_or_b32_e32 v9, 8, v13
	s_mov_b32 s1, 0
.LBB47_101:                             ; =>This Inner Loop Header: Depth=1
	scratch_load_b128 v[16:19], v9, off offset:-8
	ds_load_b128 v[20:23], v8
	v_add_nc_u32_e32 v7, 1, v7
	v_add_nc_u32_e32 v8, 16, v8
	v_add_nc_u32_e32 v9, 16, v9
	s_delay_alu instid0(VALU_DEP_3)
	v_cmp_lt_u32_e32 vcc_lo, 20, v7
	s_wait_alu 0xfffe
	s_or_b32 s1, vcc_lo, s1
	s_wait_loadcnt_dscnt 0x0
	v_mul_f64_e32 v[10:11], v[22:23], v[18:19]
	v_mul_f64_e32 v[18:19], v[20:21], v[18:19]
	s_delay_alu instid0(VALU_DEP_2) | instskip(NEXT) | instid1(VALU_DEP_2)
	v_fma_f64 v[10:11], v[20:21], v[16:17], -v[10:11]
	v_fma_f64 v[16:17], v[22:23], v[16:17], v[18:19]
	s_delay_alu instid0(VALU_DEP_2) | instskip(NEXT) | instid1(VALU_DEP_2)
	v_add_f64_e32 v[3:4], v[3:4], v[10:11]
	v_add_f64_e32 v[1:2], v[1:2], v[16:17]
	s_wait_alu 0xfffe
	s_and_not1_b32 exec_lo, exec_lo, s1
	s_cbranch_execnz .LBB47_101
; %bb.102:
	s_or_b32 exec_lo, exec_lo, s1
	v_mov_b32_e32 v7, 0
	ds_load_b128 v[7:10], v7 offset:352
	s_wait_dscnt 0x0
	v_mul_f64_e32 v[11:12], v[1:2], v[9:10]
	v_mul_f64_e32 v[16:17], v[3:4], v[9:10]
	s_delay_alu instid0(VALU_DEP_2) | instskip(NEXT) | instid1(VALU_DEP_2)
	v_fma_f64 v[9:10], v[3:4], v[7:8], -v[11:12]
	v_fma_f64 v[11:12], v[1:2], v[7:8], v[16:17]
	scratch_store_b128 off, v[9:12], off offset:368
.LBB47_103:
	s_wait_alu 0xfffe
	s_or_b32 exec_lo, exec_lo, s0
	s_wait_loadcnt 0x0
	s_wait_storecnt 0x0
	s_barrier_signal -1
	s_barrier_wait -1
	global_inv scope:SCOPE_SE
	scratch_load_b128 v[1:4], off, s27
	s_mov_b32 s0, exec_lo
	s_wait_loadcnt 0x0
	ds_store_b128 v5, v[1:4]
	s_wait_dscnt 0x0
	s_barrier_signal -1
	s_barrier_wait -1
	global_inv scope:SCOPE_SE
	v_cmpx_gt_u32_e32 23, v0
	s_cbranch_execz .LBB47_107
; %bb.104:
	v_dual_mov_b32 v1, 0 :: v_dual_add_nc_u32 v8, 0x300, v15
	v_mov_b32_e32 v3, 0
	v_dual_mov_b32 v2, 0 :: v_dual_add_nc_u32 v7, -1, v0
	v_mov_b32_e32 v4, 0
	v_or_b32_e32 v9, 8, v13
	s_mov_b32 s1, 0
.LBB47_105:                             ; =>This Inner Loop Header: Depth=1
	scratch_load_b128 v[16:19], v9, off offset:-8
	ds_load_b128 v[20:23], v8
	v_add_nc_u32_e32 v7, 1, v7
	v_add_nc_u32_e32 v8, 16, v8
	v_add_nc_u32_e32 v9, 16, v9
	s_delay_alu instid0(VALU_DEP_3)
	v_cmp_lt_u32_e32 vcc_lo, 21, v7
	s_wait_alu 0xfffe
	s_or_b32 s1, vcc_lo, s1
	s_wait_loadcnt_dscnt 0x0
	v_mul_f64_e32 v[10:11], v[22:23], v[18:19]
	v_mul_f64_e32 v[18:19], v[20:21], v[18:19]
	s_delay_alu instid0(VALU_DEP_2) | instskip(NEXT) | instid1(VALU_DEP_2)
	v_fma_f64 v[10:11], v[20:21], v[16:17], -v[10:11]
	v_fma_f64 v[16:17], v[22:23], v[16:17], v[18:19]
	s_delay_alu instid0(VALU_DEP_2) | instskip(NEXT) | instid1(VALU_DEP_2)
	v_add_f64_e32 v[3:4], v[3:4], v[10:11]
	v_add_f64_e32 v[1:2], v[1:2], v[16:17]
	s_wait_alu 0xfffe
	s_and_not1_b32 exec_lo, exec_lo, s1
	s_cbranch_execnz .LBB47_105
; %bb.106:
	s_or_b32 exec_lo, exec_lo, s1
	v_mov_b32_e32 v7, 0
	ds_load_b128 v[7:10], v7 offset:368
	s_wait_dscnt 0x0
	v_mul_f64_e32 v[11:12], v[1:2], v[9:10]
	v_mul_f64_e32 v[16:17], v[3:4], v[9:10]
	s_delay_alu instid0(VALU_DEP_2) | instskip(NEXT) | instid1(VALU_DEP_2)
	v_fma_f64 v[9:10], v[3:4], v[7:8], -v[11:12]
	v_fma_f64 v[11:12], v[1:2], v[7:8], v[16:17]
	scratch_store_b128 off, v[9:12], off offset:384
.LBB47_107:
	s_wait_alu 0xfffe
	s_or_b32 exec_lo, exec_lo, s0
	s_wait_loadcnt 0x0
	s_wait_storecnt 0x0
	s_barrier_signal -1
	s_barrier_wait -1
	global_inv scope:SCOPE_SE
	scratch_load_b128 v[1:4], off, s28
	;; [unrolled: 58-line block ×25, first 2 shown]
	s_mov_b32 s0, exec_lo
	s_wait_loadcnt 0x0
	ds_store_b128 v5, v[1:4]
	s_wait_dscnt 0x0
	s_barrier_signal -1
	s_barrier_wait -1
	global_inv scope:SCOPE_SE
	v_cmpx_ne_u32_e32 47, v0
	s_cbranch_execz .LBB47_203
; %bb.200:
	v_mov_b32_e32 v1, 0
	v_dual_mov_b32 v2, 0 :: v_dual_mov_b32 v3, 0
	v_mov_b32_e32 v4, 0
	v_or_b32_e32 v7, 8, v13
	s_mov_b32 s1, 0
.LBB47_201:                             ; =>This Inner Loop Header: Depth=1
	scratch_load_b128 v[8:11], v7, off offset:-8
	ds_load_b128 v[12:15], v5
	v_add_nc_u32_e32 v6, 1, v6
	v_add_nc_u32_e32 v5, 16, v5
	;; [unrolled: 1-line block ×3, first 2 shown]
	s_delay_alu instid0(VALU_DEP_3)
	v_cmp_lt_u32_e32 vcc_lo, 45, v6
	s_wait_alu 0xfffe
	s_or_b32 s1, vcc_lo, s1
	s_wait_loadcnt_dscnt 0x0
	v_mul_f64_e32 v[16:17], v[14:15], v[10:11]
	v_mul_f64_e32 v[10:11], v[12:13], v[10:11]
	s_delay_alu instid0(VALU_DEP_2) | instskip(NEXT) | instid1(VALU_DEP_2)
	v_fma_f64 v[12:13], v[12:13], v[8:9], -v[16:17]
	v_fma_f64 v[8:9], v[14:15], v[8:9], v[10:11]
	s_delay_alu instid0(VALU_DEP_2) | instskip(NEXT) | instid1(VALU_DEP_2)
	v_add_f64_e32 v[3:4], v[3:4], v[12:13]
	v_add_f64_e32 v[1:2], v[1:2], v[8:9]
	s_wait_alu 0xfffe
	s_and_not1_b32 exec_lo, exec_lo, s1
	s_cbranch_execnz .LBB47_201
; %bb.202:
	s_or_b32 exec_lo, exec_lo, s1
	v_mov_b32_e32 v5, 0
	ds_load_b128 v[5:8], v5 offset:752
	s_wait_dscnt 0x0
	v_mul_f64_e32 v[9:10], v[1:2], v[7:8]
	v_mul_f64_e32 v[7:8], v[3:4], v[7:8]
	s_delay_alu instid0(VALU_DEP_2) | instskip(NEXT) | instid1(VALU_DEP_2)
	v_fma_f64 v[3:4], v[3:4], v[5:6], -v[9:10]
	v_fma_f64 v[5:6], v[1:2], v[5:6], v[7:8]
	scratch_store_b128 off, v[3:6], off offset:768
.LBB47_203:
	s_wait_alu 0xfffe
	s_or_b32 exec_lo, exec_lo, s0
	s_mov_b32 s1, -1
	s_wait_loadcnt 0x0
	s_wait_storecnt 0x0
	s_barrier_signal -1
	s_barrier_wait -1
	global_inv scope:SCOPE_SE
.LBB47_204:
	s_wait_alu 0xfffe
	s_and_b32 vcc_lo, exec_lo, s1
	s_wait_alu 0xfffe
	s_cbranch_vccz .LBB47_206
; %bb.205:
	v_mov_b32_e32 v1, 0
	s_lshl_b64 s[0:1], s[16:17], 2
	s_wait_alu 0xfffe
	s_add_nc_u64 s[0:1], s[6:7], s[0:1]
	global_load_b32 v1, v1, s[0:1]
	s_wait_loadcnt 0x0
	v_cmp_ne_u32_e32 vcc_lo, 0, v1
	s_cbranch_vccz .LBB47_207
.LBB47_206:
	s_nop 0
	s_sendmsg sendmsg(MSG_DEALLOC_VGPRS)
	s_endpgm
.LBB47_207:
	v_lshl_add_u32 v138, v0, 4, 0x300
	s_mov_b32 s0, exec_lo
	v_cmpx_eq_u32_e32 47, v0
	s_cbranch_execz .LBB47_209
; %bb.208:
	scratch_load_b128 v[1:4], off, s26
	v_mov_b32_e32 v5, 0
	s_delay_alu instid0(VALU_DEP_1)
	v_dual_mov_b32 v6, v5 :: v_dual_mov_b32 v7, v5
	v_mov_b32_e32 v8, v5
	scratch_store_b128 off, v[5:8], off offset:752
	s_wait_loadcnt 0x0
	ds_store_b128 v138, v[1:4]
.LBB47_209:
	s_wait_alu 0xfffe
	s_or_b32 exec_lo, exec_lo, s0
	s_wait_storecnt_dscnt 0x0
	s_barrier_signal -1
	s_barrier_wait -1
	global_inv scope:SCOPE_SE
	s_clause 0x1
	scratch_load_b128 v[2:5], off, off offset:768
	scratch_load_b128 v[6:9], off, off offset:752
	v_mov_b32_e32 v1, 0
	s_mov_b32 s0, exec_lo
	ds_load_b128 v[10:13], v1 offset:1520
	s_wait_loadcnt_dscnt 0x100
	v_mul_f64_e32 v[14:15], v[12:13], v[4:5]
	v_mul_f64_e32 v[4:5], v[10:11], v[4:5]
	s_delay_alu instid0(VALU_DEP_2) | instskip(NEXT) | instid1(VALU_DEP_2)
	v_fma_f64 v[10:11], v[10:11], v[2:3], -v[14:15]
	v_fma_f64 v[2:3], v[12:13], v[2:3], v[4:5]
	s_delay_alu instid0(VALU_DEP_2) | instskip(NEXT) | instid1(VALU_DEP_2)
	v_add_f64_e32 v[4:5], 0, v[10:11]
	v_add_f64_e32 v[10:11], 0, v[2:3]
	s_wait_loadcnt 0x0
	s_delay_alu instid0(VALU_DEP_2) | instskip(NEXT) | instid1(VALU_DEP_2)
	v_add_f64_e64 v[2:3], v[6:7], -v[4:5]
	v_add_f64_e64 v[4:5], v[8:9], -v[10:11]
	scratch_store_b128 off, v[2:5], off offset:752
	v_cmpx_lt_u32_e32 45, v0
	s_cbranch_execz .LBB47_211
; %bb.210:
	scratch_load_b128 v[5:8], off, s25
	v_dual_mov_b32 v2, v1 :: v_dual_mov_b32 v3, v1
	v_mov_b32_e32 v4, v1
	scratch_store_b128 off, v[1:4], off offset:736
	s_wait_loadcnt 0x0
	ds_store_b128 v138, v[5:8]
.LBB47_211:
	s_wait_alu 0xfffe
	s_or_b32 exec_lo, exec_lo, s0
	s_wait_storecnt_dscnt 0x0
	s_barrier_signal -1
	s_barrier_wait -1
	global_inv scope:SCOPE_SE
	s_clause 0x2
	scratch_load_b128 v[2:5], off, off offset:752
	scratch_load_b128 v[6:9], off, off offset:768
	;; [unrolled: 1-line block ×3, first 2 shown]
	ds_load_b128 v[14:17], v1 offset:1504
	ds_load_b128 v[18:21], v1 offset:1520
	s_mov_b32 s0, exec_lo
	s_wait_loadcnt_dscnt 0x201
	v_mul_f64_e32 v[22:23], v[16:17], v[4:5]
	v_mul_f64_e32 v[4:5], v[14:15], v[4:5]
	s_wait_loadcnt_dscnt 0x100
	v_mul_f64_e32 v[24:25], v[18:19], v[8:9]
	v_mul_f64_e32 v[8:9], v[20:21], v[8:9]
	s_delay_alu instid0(VALU_DEP_4) | instskip(NEXT) | instid1(VALU_DEP_4)
	v_fma_f64 v[14:15], v[14:15], v[2:3], -v[22:23]
	v_fma_f64 v[1:2], v[16:17], v[2:3], v[4:5]
	s_delay_alu instid0(VALU_DEP_4) | instskip(NEXT) | instid1(VALU_DEP_4)
	v_fma_f64 v[3:4], v[20:21], v[6:7], v[24:25]
	v_fma_f64 v[5:6], v[18:19], v[6:7], -v[8:9]
	s_delay_alu instid0(VALU_DEP_4) | instskip(NEXT) | instid1(VALU_DEP_4)
	v_add_f64_e32 v[7:8], 0, v[14:15]
	v_add_f64_e32 v[1:2], 0, v[1:2]
	s_delay_alu instid0(VALU_DEP_2) | instskip(NEXT) | instid1(VALU_DEP_2)
	v_add_f64_e32 v[5:6], v[7:8], v[5:6]
	v_add_f64_e32 v[3:4], v[1:2], v[3:4]
	s_wait_loadcnt 0x0
	s_delay_alu instid0(VALU_DEP_2) | instskip(NEXT) | instid1(VALU_DEP_2)
	v_add_f64_e64 v[1:2], v[10:11], -v[5:6]
	v_add_f64_e64 v[3:4], v[12:13], -v[3:4]
	scratch_store_b128 off, v[1:4], off offset:736
	v_cmpx_lt_u32_e32 44, v0
	s_cbranch_execz .LBB47_213
; %bb.212:
	scratch_load_b128 v[1:4], off, s30
	v_mov_b32_e32 v5, 0
	s_delay_alu instid0(VALU_DEP_1)
	v_dual_mov_b32 v6, v5 :: v_dual_mov_b32 v7, v5
	v_mov_b32_e32 v8, v5
	scratch_store_b128 off, v[5:8], off offset:720
	s_wait_loadcnt 0x0
	ds_store_b128 v138, v[1:4]
.LBB47_213:
	s_wait_alu 0xfffe
	s_or_b32 exec_lo, exec_lo, s0
	s_wait_storecnt_dscnt 0x0
	s_barrier_signal -1
	s_barrier_wait -1
	global_inv scope:SCOPE_SE
	s_clause 0x3
	scratch_load_b128 v[2:5], off, off offset:736
	scratch_load_b128 v[6:9], off, off offset:752
	;; [unrolled: 1-line block ×4, first 2 shown]
	v_mov_b32_e32 v1, 0
	ds_load_b128 v[18:21], v1 offset:1488
	ds_load_b128 v[22:25], v1 offset:1504
	s_mov_b32 s0, exec_lo
	s_wait_loadcnt_dscnt 0x301
	v_mul_f64_e32 v[26:27], v[20:21], v[4:5]
	v_mul_f64_e32 v[4:5], v[18:19], v[4:5]
	s_wait_loadcnt_dscnt 0x200
	v_mul_f64_e32 v[28:29], v[22:23], v[8:9]
	v_mul_f64_e32 v[8:9], v[24:25], v[8:9]
	s_delay_alu instid0(VALU_DEP_4) | instskip(NEXT) | instid1(VALU_DEP_4)
	v_fma_f64 v[18:19], v[18:19], v[2:3], -v[26:27]
	v_fma_f64 v[20:21], v[20:21], v[2:3], v[4:5]
	ds_load_b128 v[2:5], v1 offset:1520
	v_fma_f64 v[24:25], v[24:25], v[6:7], v[28:29]
	v_fma_f64 v[6:7], v[22:23], v[6:7], -v[8:9]
	s_wait_loadcnt_dscnt 0x100
	v_mul_f64_e32 v[26:27], v[2:3], v[12:13]
	v_mul_f64_e32 v[12:13], v[4:5], v[12:13]
	v_add_f64_e32 v[8:9], 0, v[18:19]
	v_add_f64_e32 v[18:19], 0, v[20:21]
	s_delay_alu instid0(VALU_DEP_4) | instskip(NEXT) | instid1(VALU_DEP_4)
	v_fma_f64 v[4:5], v[4:5], v[10:11], v[26:27]
	v_fma_f64 v[2:3], v[2:3], v[10:11], -v[12:13]
	s_delay_alu instid0(VALU_DEP_4) | instskip(NEXT) | instid1(VALU_DEP_4)
	v_add_f64_e32 v[6:7], v[8:9], v[6:7]
	v_add_f64_e32 v[8:9], v[18:19], v[24:25]
	s_delay_alu instid0(VALU_DEP_2) | instskip(NEXT) | instid1(VALU_DEP_2)
	v_add_f64_e32 v[2:3], v[6:7], v[2:3]
	v_add_f64_e32 v[4:5], v[8:9], v[4:5]
	s_wait_loadcnt 0x0
	s_delay_alu instid0(VALU_DEP_2) | instskip(NEXT) | instid1(VALU_DEP_2)
	v_add_f64_e64 v[2:3], v[14:15], -v[2:3]
	v_add_f64_e64 v[4:5], v[16:17], -v[4:5]
	scratch_store_b128 off, v[2:5], off offset:720
	v_cmpx_lt_u32_e32 43, v0
	s_cbranch_execz .LBB47_215
; %bb.214:
	scratch_load_b128 v[5:8], off, s29
	v_dual_mov_b32 v2, v1 :: v_dual_mov_b32 v3, v1
	v_mov_b32_e32 v4, v1
	scratch_store_b128 off, v[1:4], off offset:704
	s_wait_loadcnt 0x0
	ds_store_b128 v138, v[5:8]
.LBB47_215:
	s_wait_alu 0xfffe
	s_or_b32 exec_lo, exec_lo, s0
	s_wait_storecnt_dscnt 0x0
	s_barrier_signal -1
	s_barrier_wait -1
	global_inv scope:SCOPE_SE
	s_clause 0x4
	scratch_load_b128 v[2:5], off, off offset:720
	scratch_load_b128 v[6:9], off, off offset:736
	;; [unrolled: 1-line block ×5, first 2 shown]
	ds_load_b128 v[22:25], v1 offset:1472
	ds_load_b128 v[26:29], v1 offset:1488
	s_mov_b32 s0, exec_lo
	s_wait_loadcnt_dscnt 0x401
	v_mul_f64_e32 v[30:31], v[24:25], v[4:5]
	v_mul_f64_e32 v[4:5], v[22:23], v[4:5]
	s_wait_loadcnt_dscnt 0x300
	v_mul_f64_e32 v[32:33], v[26:27], v[8:9]
	v_mul_f64_e32 v[8:9], v[28:29], v[8:9]
	s_delay_alu instid0(VALU_DEP_4) | instskip(NEXT) | instid1(VALU_DEP_4)
	v_fma_f64 v[30:31], v[22:23], v[2:3], -v[30:31]
	v_fma_f64 v[34:35], v[24:25], v[2:3], v[4:5]
	ds_load_b128 v[2:5], v1 offset:1504
	ds_load_b128 v[22:25], v1 offset:1520
	v_fma_f64 v[28:29], v[28:29], v[6:7], v[32:33]
	v_fma_f64 v[6:7], v[26:27], v[6:7], -v[8:9]
	s_wait_loadcnt_dscnt 0x201
	v_mul_f64_e32 v[36:37], v[2:3], v[12:13]
	v_mul_f64_e32 v[12:13], v[4:5], v[12:13]
	v_add_f64_e32 v[8:9], 0, v[30:31]
	v_add_f64_e32 v[26:27], 0, v[34:35]
	s_wait_loadcnt_dscnt 0x100
	v_mul_f64_e32 v[30:31], v[22:23], v[16:17]
	v_mul_f64_e32 v[16:17], v[24:25], v[16:17]
	v_fma_f64 v[4:5], v[4:5], v[10:11], v[36:37]
	v_fma_f64 v[1:2], v[2:3], v[10:11], -v[12:13]
	v_add_f64_e32 v[6:7], v[8:9], v[6:7]
	v_add_f64_e32 v[8:9], v[26:27], v[28:29]
	v_fma_f64 v[10:11], v[24:25], v[14:15], v[30:31]
	v_fma_f64 v[12:13], v[22:23], v[14:15], -v[16:17]
	s_delay_alu instid0(VALU_DEP_4) | instskip(NEXT) | instid1(VALU_DEP_4)
	v_add_f64_e32 v[1:2], v[6:7], v[1:2]
	v_add_f64_e32 v[3:4], v[8:9], v[4:5]
	s_delay_alu instid0(VALU_DEP_2) | instskip(NEXT) | instid1(VALU_DEP_2)
	v_add_f64_e32 v[1:2], v[1:2], v[12:13]
	v_add_f64_e32 v[3:4], v[3:4], v[10:11]
	s_wait_loadcnt 0x0
	s_delay_alu instid0(VALU_DEP_2) | instskip(NEXT) | instid1(VALU_DEP_2)
	v_add_f64_e64 v[1:2], v[18:19], -v[1:2]
	v_add_f64_e64 v[3:4], v[20:21], -v[3:4]
	scratch_store_b128 off, v[1:4], off offset:704
	v_cmpx_lt_u32_e32 42, v0
	s_cbranch_execz .LBB47_217
; %bb.216:
	scratch_load_b128 v[1:4], off, s36
	v_mov_b32_e32 v5, 0
	s_delay_alu instid0(VALU_DEP_1)
	v_dual_mov_b32 v6, v5 :: v_dual_mov_b32 v7, v5
	v_mov_b32_e32 v8, v5
	scratch_store_b128 off, v[5:8], off offset:688
	s_wait_loadcnt 0x0
	ds_store_b128 v138, v[1:4]
.LBB47_217:
	s_wait_alu 0xfffe
	s_or_b32 exec_lo, exec_lo, s0
	s_wait_storecnt_dscnt 0x0
	s_barrier_signal -1
	s_barrier_wait -1
	global_inv scope:SCOPE_SE
	s_clause 0x5
	scratch_load_b128 v[2:5], off, off offset:704
	scratch_load_b128 v[6:9], off, off offset:720
	scratch_load_b128 v[10:13], off, off offset:736
	scratch_load_b128 v[14:17], off, off offset:752
	scratch_load_b128 v[18:21], off, off offset:768
	scratch_load_b128 v[22:25], off, off offset:688
	v_mov_b32_e32 v1, 0
	ds_load_b128 v[26:29], v1 offset:1456
	ds_load_b128 v[30:33], v1 offset:1472
	s_mov_b32 s0, exec_lo
	s_wait_loadcnt_dscnt 0x501
	v_mul_f64_e32 v[34:35], v[28:29], v[4:5]
	v_mul_f64_e32 v[4:5], v[26:27], v[4:5]
	s_wait_loadcnt_dscnt 0x400
	v_mul_f64_e32 v[36:37], v[30:31], v[8:9]
	v_mul_f64_e32 v[8:9], v[32:33], v[8:9]
	s_delay_alu instid0(VALU_DEP_4) | instskip(NEXT) | instid1(VALU_DEP_4)
	v_fma_f64 v[34:35], v[26:27], v[2:3], -v[34:35]
	v_fma_f64 v[38:39], v[28:29], v[2:3], v[4:5]
	ds_load_b128 v[2:5], v1 offset:1488
	ds_load_b128 v[26:29], v1 offset:1504
	v_fma_f64 v[32:33], v[32:33], v[6:7], v[36:37]
	v_fma_f64 v[6:7], v[30:31], v[6:7], -v[8:9]
	s_wait_loadcnt_dscnt 0x301
	v_mul_f64_e32 v[40:41], v[2:3], v[12:13]
	v_mul_f64_e32 v[12:13], v[4:5], v[12:13]
	v_add_f64_e32 v[8:9], 0, v[34:35]
	v_add_f64_e32 v[30:31], 0, v[38:39]
	s_wait_loadcnt_dscnt 0x200
	v_mul_f64_e32 v[34:35], v[26:27], v[16:17]
	v_mul_f64_e32 v[16:17], v[28:29], v[16:17]
	v_fma_f64 v[36:37], v[4:5], v[10:11], v[40:41]
	v_fma_f64 v[10:11], v[2:3], v[10:11], -v[12:13]
	ds_load_b128 v[2:5], v1 offset:1520
	v_add_f64_e32 v[6:7], v[8:9], v[6:7]
	v_add_f64_e32 v[8:9], v[30:31], v[32:33]
	v_fma_f64 v[28:29], v[28:29], v[14:15], v[34:35]
	v_fma_f64 v[14:15], v[26:27], v[14:15], -v[16:17]
	s_wait_loadcnt_dscnt 0x100
	v_mul_f64_e32 v[12:13], v[2:3], v[20:21]
	v_mul_f64_e32 v[20:21], v[4:5], v[20:21]
	v_add_f64_e32 v[6:7], v[6:7], v[10:11]
	v_add_f64_e32 v[8:9], v[8:9], v[36:37]
	s_delay_alu instid0(VALU_DEP_4) | instskip(NEXT) | instid1(VALU_DEP_4)
	v_fma_f64 v[4:5], v[4:5], v[18:19], v[12:13]
	v_fma_f64 v[2:3], v[2:3], v[18:19], -v[20:21]
	s_delay_alu instid0(VALU_DEP_4) | instskip(NEXT) | instid1(VALU_DEP_4)
	v_add_f64_e32 v[6:7], v[6:7], v[14:15]
	v_add_f64_e32 v[8:9], v[8:9], v[28:29]
	s_delay_alu instid0(VALU_DEP_2) | instskip(NEXT) | instid1(VALU_DEP_2)
	v_add_f64_e32 v[2:3], v[6:7], v[2:3]
	v_add_f64_e32 v[4:5], v[8:9], v[4:5]
	s_wait_loadcnt 0x0
	s_delay_alu instid0(VALU_DEP_2) | instskip(NEXT) | instid1(VALU_DEP_2)
	v_add_f64_e64 v[2:3], v[22:23], -v[2:3]
	v_add_f64_e64 v[4:5], v[24:25], -v[4:5]
	scratch_store_b128 off, v[2:5], off offset:688
	v_cmpx_lt_u32_e32 41, v0
	s_cbranch_execz .LBB47_219
; %bb.218:
	scratch_load_b128 v[5:8], off, s35
	v_dual_mov_b32 v2, v1 :: v_dual_mov_b32 v3, v1
	v_mov_b32_e32 v4, v1
	scratch_store_b128 off, v[1:4], off offset:672
	s_wait_loadcnt 0x0
	ds_store_b128 v138, v[5:8]
.LBB47_219:
	s_wait_alu 0xfffe
	s_or_b32 exec_lo, exec_lo, s0
	s_wait_storecnt_dscnt 0x0
	s_barrier_signal -1
	s_barrier_wait -1
	global_inv scope:SCOPE_SE
	s_clause 0x5
	scratch_load_b128 v[2:5], off, off offset:688
	scratch_load_b128 v[6:9], off, off offset:704
	;; [unrolled: 1-line block ×6, first 2 shown]
	ds_load_b128 v[26:29], v1 offset:1440
	ds_load_b128 v[34:37], v1 offset:1456
	scratch_load_b128 v[30:33], off, off offset:672
	s_mov_b32 s0, exec_lo
	s_wait_loadcnt_dscnt 0x601
	v_mul_f64_e32 v[38:39], v[28:29], v[4:5]
	v_mul_f64_e32 v[4:5], v[26:27], v[4:5]
	s_wait_loadcnt_dscnt 0x500
	v_mul_f64_e32 v[40:41], v[34:35], v[8:9]
	v_mul_f64_e32 v[8:9], v[36:37], v[8:9]
	s_delay_alu instid0(VALU_DEP_4) | instskip(NEXT) | instid1(VALU_DEP_4)
	v_fma_f64 v[38:39], v[26:27], v[2:3], -v[38:39]
	v_fma_f64 v[139:140], v[28:29], v[2:3], v[4:5]
	ds_load_b128 v[2:5], v1 offset:1472
	ds_load_b128 v[26:29], v1 offset:1488
	v_fma_f64 v[36:37], v[36:37], v[6:7], v[40:41]
	v_fma_f64 v[6:7], v[34:35], v[6:7], -v[8:9]
	s_wait_loadcnt_dscnt 0x401
	v_mul_f64_e32 v[141:142], v[2:3], v[12:13]
	v_mul_f64_e32 v[12:13], v[4:5], v[12:13]
	v_add_f64_e32 v[8:9], 0, v[38:39]
	v_add_f64_e32 v[34:35], 0, v[139:140]
	s_wait_loadcnt_dscnt 0x300
	v_mul_f64_e32 v[38:39], v[26:27], v[16:17]
	v_mul_f64_e32 v[16:17], v[28:29], v[16:17]
	v_fma_f64 v[40:41], v[4:5], v[10:11], v[141:142]
	v_fma_f64 v[10:11], v[2:3], v[10:11], -v[12:13]
	v_add_f64_e32 v[12:13], v[8:9], v[6:7]
	v_add_f64_e32 v[34:35], v[34:35], v[36:37]
	ds_load_b128 v[2:5], v1 offset:1504
	ds_load_b128 v[6:9], v1 offset:1520
	v_fma_f64 v[28:29], v[28:29], v[14:15], v[38:39]
	v_fma_f64 v[14:15], v[26:27], v[14:15], -v[16:17]
	s_wait_loadcnt_dscnt 0x201
	v_mul_f64_e32 v[36:37], v[2:3], v[20:21]
	v_mul_f64_e32 v[20:21], v[4:5], v[20:21]
	s_wait_loadcnt_dscnt 0x100
	v_mul_f64_e32 v[16:17], v[6:7], v[24:25]
	v_mul_f64_e32 v[24:25], v[8:9], v[24:25]
	v_add_f64_e32 v[10:11], v[12:13], v[10:11]
	v_add_f64_e32 v[12:13], v[34:35], v[40:41]
	v_fma_f64 v[4:5], v[4:5], v[18:19], v[36:37]
	v_fma_f64 v[1:2], v[2:3], v[18:19], -v[20:21]
	v_fma_f64 v[8:9], v[8:9], v[22:23], v[16:17]
	v_fma_f64 v[6:7], v[6:7], v[22:23], -v[24:25]
	v_add_f64_e32 v[10:11], v[10:11], v[14:15]
	v_add_f64_e32 v[12:13], v[12:13], v[28:29]
	s_delay_alu instid0(VALU_DEP_2) | instskip(NEXT) | instid1(VALU_DEP_2)
	v_add_f64_e32 v[1:2], v[10:11], v[1:2]
	v_add_f64_e32 v[3:4], v[12:13], v[4:5]
	s_delay_alu instid0(VALU_DEP_2) | instskip(NEXT) | instid1(VALU_DEP_2)
	v_add_f64_e32 v[1:2], v[1:2], v[6:7]
	v_add_f64_e32 v[3:4], v[3:4], v[8:9]
	s_wait_loadcnt 0x0
	s_delay_alu instid0(VALU_DEP_2) | instskip(NEXT) | instid1(VALU_DEP_2)
	v_add_f64_e64 v[1:2], v[30:31], -v[1:2]
	v_add_f64_e64 v[3:4], v[32:33], -v[3:4]
	scratch_store_b128 off, v[1:4], off offset:672
	v_cmpx_lt_u32_e32 40, v0
	s_cbranch_execz .LBB47_221
; %bb.220:
	scratch_load_b128 v[1:4], off, s5
	v_mov_b32_e32 v5, 0
	s_delay_alu instid0(VALU_DEP_1)
	v_dual_mov_b32 v6, v5 :: v_dual_mov_b32 v7, v5
	v_mov_b32_e32 v8, v5
	scratch_store_b128 off, v[5:8], off offset:656
	s_wait_loadcnt 0x0
	ds_store_b128 v138, v[1:4]
.LBB47_221:
	s_wait_alu 0xfffe
	s_or_b32 exec_lo, exec_lo, s0
	s_wait_storecnt_dscnt 0x0
	s_barrier_signal -1
	s_barrier_wait -1
	global_inv scope:SCOPE_SE
	s_clause 0x6
	scratch_load_b128 v[2:5], off, off offset:672
	scratch_load_b128 v[6:9], off, off offset:688
	;; [unrolled: 1-line block ×7, first 2 shown]
	v_mov_b32_e32 v1, 0
	scratch_load_b128 v[34:37], off, off offset:656
	s_mov_b32 s0, exec_lo
	ds_load_b128 v[30:33], v1 offset:1424
	ds_load_b128 v[38:41], v1 offset:1440
	s_wait_loadcnt_dscnt 0x701
	v_mul_f64_e32 v[139:140], v[32:33], v[4:5]
	v_mul_f64_e32 v[4:5], v[30:31], v[4:5]
	s_wait_loadcnt_dscnt 0x600
	v_mul_f64_e32 v[141:142], v[38:39], v[8:9]
	v_mul_f64_e32 v[8:9], v[40:41], v[8:9]
	s_delay_alu instid0(VALU_DEP_4) | instskip(NEXT) | instid1(VALU_DEP_4)
	v_fma_f64 v[139:140], v[30:31], v[2:3], -v[139:140]
	v_fma_f64 v[143:144], v[32:33], v[2:3], v[4:5]
	ds_load_b128 v[2:5], v1 offset:1456
	ds_load_b128 v[30:33], v1 offset:1472
	v_fma_f64 v[40:41], v[40:41], v[6:7], v[141:142]
	v_fma_f64 v[6:7], v[38:39], v[6:7], -v[8:9]
	s_wait_loadcnt_dscnt 0x501
	v_mul_f64_e32 v[145:146], v[2:3], v[12:13]
	v_mul_f64_e32 v[12:13], v[4:5], v[12:13]
	v_add_f64_e32 v[8:9], 0, v[139:140]
	v_add_f64_e32 v[38:39], 0, v[143:144]
	s_wait_loadcnt_dscnt 0x400
	v_mul_f64_e32 v[139:140], v[30:31], v[16:17]
	v_mul_f64_e32 v[16:17], v[32:33], v[16:17]
	v_fma_f64 v[141:142], v[4:5], v[10:11], v[145:146]
	v_fma_f64 v[10:11], v[2:3], v[10:11], -v[12:13]
	v_add_f64_e32 v[12:13], v[8:9], v[6:7]
	v_add_f64_e32 v[38:39], v[38:39], v[40:41]
	ds_load_b128 v[2:5], v1 offset:1488
	ds_load_b128 v[6:9], v1 offset:1504
	v_fma_f64 v[32:33], v[32:33], v[14:15], v[139:140]
	v_fma_f64 v[14:15], v[30:31], v[14:15], -v[16:17]
	s_wait_loadcnt_dscnt 0x301
	v_mul_f64_e32 v[40:41], v[2:3], v[20:21]
	v_mul_f64_e32 v[20:21], v[4:5], v[20:21]
	s_wait_loadcnt_dscnt 0x200
	v_mul_f64_e32 v[16:17], v[6:7], v[24:25]
	v_mul_f64_e32 v[24:25], v[8:9], v[24:25]
	v_add_f64_e32 v[10:11], v[12:13], v[10:11]
	v_add_f64_e32 v[12:13], v[38:39], v[141:142]
	v_fma_f64 v[30:31], v[4:5], v[18:19], v[40:41]
	v_fma_f64 v[18:19], v[2:3], v[18:19], -v[20:21]
	ds_load_b128 v[2:5], v1 offset:1520
	v_fma_f64 v[8:9], v[8:9], v[22:23], v[16:17]
	v_fma_f64 v[6:7], v[6:7], v[22:23], -v[24:25]
	v_add_f64_e32 v[10:11], v[10:11], v[14:15]
	v_add_f64_e32 v[12:13], v[12:13], v[32:33]
	s_wait_loadcnt_dscnt 0x100
	v_mul_f64_e32 v[14:15], v[2:3], v[28:29]
	v_mul_f64_e32 v[20:21], v[4:5], v[28:29]
	s_delay_alu instid0(VALU_DEP_4) | instskip(NEXT) | instid1(VALU_DEP_4)
	v_add_f64_e32 v[10:11], v[10:11], v[18:19]
	v_add_f64_e32 v[12:13], v[12:13], v[30:31]
	s_delay_alu instid0(VALU_DEP_4) | instskip(NEXT) | instid1(VALU_DEP_4)
	v_fma_f64 v[4:5], v[4:5], v[26:27], v[14:15]
	v_fma_f64 v[2:3], v[2:3], v[26:27], -v[20:21]
	s_delay_alu instid0(VALU_DEP_4) | instskip(NEXT) | instid1(VALU_DEP_4)
	v_add_f64_e32 v[6:7], v[10:11], v[6:7]
	v_add_f64_e32 v[8:9], v[12:13], v[8:9]
	s_delay_alu instid0(VALU_DEP_2) | instskip(NEXT) | instid1(VALU_DEP_2)
	v_add_f64_e32 v[2:3], v[6:7], v[2:3]
	v_add_f64_e32 v[4:5], v[8:9], v[4:5]
	s_wait_loadcnt 0x0
	s_delay_alu instid0(VALU_DEP_2) | instskip(NEXT) | instid1(VALU_DEP_2)
	v_add_f64_e64 v[2:3], v[34:35], -v[2:3]
	v_add_f64_e64 v[4:5], v[36:37], -v[4:5]
	scratch_store_b128 off, v[2:5], off offset:656
	v_cmpx_lt_u32_e32 39, v0
	s_cbranch_execz .LBB47_223
; %bb.222:
	scratch_load_b128 v[5:8], off, s4
	v_dual_mov_b32 v2, v1 :: v_dual_mov_b32 v3, v1
	v_mov_b32_e32 v4, v1
	scratch_store_b128 off, v[1:4], off offset:640
	s_wait_loadcnt 0x0
	ds_store_b128 v138, v[5:8]
.LBB47_223:
	s_wait_alu 0xfffe
	s_or_b32 exec_lo, exec_lo, s0
	s_wait_storecnt_dscnt 0x0
	s_barrier_signal -1
	s_barrier_wait -1
	global_inv scope:SCOPE_SE
	s_clause 0x7
	scratch_load_b128 v[2:5], off, off offset:656
	scratch_load_b128 v[6:9], off, off offset:672
	;; [unrolled: 1-line block ×8, first 2 shown]
	ds_load_b128 v[34:37], v1 offset:1408
	ds_load_b128 v[38:41], v1 offset:1424
	scratch_load_b128 v[139:142], off, off offset:640
	s_mov_b32 s0, exec_lo
	s_wait_loadcnt_dscnt 0x801
	v_mul_f64_e32 v[143:144], v[36:37], v[4:5]
	v_mul_f64_e32 v[4:5], v[34:35], v[4:5]
	s_wait_loadcnt_dscnt 0x700
	v_mul_f64_e32 v[145:146], v[38:39], v[8:9]
	v_mul_f64_e32 v[8:9], v[40:41], v[8:9]
	s_delay_alu instid0(VALU_DEP_4) | instskip(NEXT) | instid1(VALU_DEP_4)
	v_fma_f64 v[143:144], v[34:35], v[2:3], -v[143:144]
	v_fma_f64 v[147:148], v[36:37], v[2:3], v[4:5]
	ds_load_b128 v[2:5], v1 offset:1440
	ds_load_b128 v[34:37], v1 offset:1456
	v_fma_f64 v[40:41], v[40:41], v[6:7], v[145:146]
	v_fma_f64 v[6:7], v[38:39], v[6:7], -v[8:9]
	s_wait_loadcnt_dscnt 0x601
	v_mul_f64_e32 v[149:150], v[2:3], v[12:13]
	v_mul_f64_e32 v[12:13], v[4:5], v[12:13]
	v_add_f64_e32 v[8:9], 0, v[143:144]
	v_add_f64_e32 v[38:39], 0, v[147:148]
	s_wait_loadcnt_dscnt 0x500
	v_mul_f64_e32 v[143:144], v[34:35], v[16:17]
	v_mul_f64_e32 v[16:17], v[36:37], v[16:17]
	v_fma_f64 v[145:146], v[4:5], v[10:11], v[149:150]
	v_fma_f64 v[10:11], v[2:3], v[10:11], -v[12:13]
	v_add_f64_e32 v[12:13], v[8:9], v[6:7]
	v_add_f64_e32 v[38:39], v[38:39], v[40:41]
	ds_load_b128 v[2:5], v1 offset:1472
	ds_load_b128 v[6:9], v1 offset:1488
	v_fma_f64 v[36:37], v[36:37], v[14:15], v[143:144]
	v_fma_f64 v[14:15], v[34:35], v[14:15], -v[16:17]
	s_wait_loadcnt_dscnt 0x401
	v_mul_f64_e32 v[40:41], v[2:3], v[20:21]
	v_mul_f64_e32 v[20:21], v[4:5], v[20:21]
	s_wait_loadcnt_dscnt 0x300
	v_mul_f64_e32 v[16:17], v[6:7], v[24:25]
	v_mul_f64_e32 v[24:25], v[8:9], v[24:25]
	v_add_f64_e32 v[10:11], v[12:13], v[10:11]
	v_add_f64_e32 v[12:13], v[38:39], v[145:146]
	v_fma_f64 v[34:35], v[4:5], v[18:19], v[40:41]
	v_fma_f64 v[18:19], v[2:3], v[18:19], -v[20:21]
	v_fma_f64 v[8:9], v[8:9], v[22:23], v[16:17]
	v_fma_f64 v[6:7], v[6:7], v[22:23], -v[24:25]
	v_add_f64_e32 v[14:15], v[10:11], v[14:15]
	v_add_f64_e32 v[20:21], v[12:13], v[36:37]
	ds_load_b128 v[2:5], v1 offset:1504
	ds_load_b128 v[10:13], v1 offset:1520
	s_wait_loadcnt_dscnt 0x201
	v_mul_f64_e32 v[36:37], v[2:3], v[28:29]
	v_mul_f64_e32 v[28:29], v[4:5], v[28:29]
	v_add_f64_e32 v[14:15], v[14:15], v[18:19]
	v_add_f64_e32 v[16:17], v[20:21], v[34:35]
	s_wait_loadcnt_dscnt 0x100
	v_mul_f64_e32 v[18:19], v[10:11], v[32:33]
	v_mul_f64_e32 v[20:21], v[12:13], v[32:33]
	v_fma_f64 v[4:5], v[4:5], v[26:27], v[36:37]
	v_fma_f64 v[1:2], v[2:3], v[26:27], -v[28:29]
	v_add_f64_e32 v[6:7], v[14:15], v[6:7]
	v_add_f64_e32 v[8:9], v[16:17], v[8:9]
	v_fma_f64 v[12:13], v[12:13], v[30:31], v[18:19]
	v_fma_f64 v[10:11], v[10:11], v[30:31], -v[20:21]
	s_delay_alu instid0(VALU_DEP_4) | instskip(NEXT) | instid1(VALU_DEP_4)
	v_add_f64_e32 v[1:2], v[6:7], v[1:2]
	v_add_f64_e32 v[3:4], v[8:9], v[4:5]
	s_delay_alu instid0(VALU_DEP_2) | instskip(NEXT) | instid1(VALU_DEP_2)
	v_add_f64_e32 v[1:2], v[1:2], v[10:11]
	v_add_f64_e32 v[3:4], v[3:4], v[12:13]
	s_wait_loadcnt 0x0
	s_delay_alu instid0(VALU_DEP_2) | instskip(NEXT) | instid1(VALU_DEP_2)
	v_add_f64_e64 v[1:2], v[139:140], -v[1:2]
	v_add_f64_e64 v[3:4], v[141:142], -v[3:4]
	scratch_store_b128 off, v[1:4], off offset:640
	v_cmpx_lt_u32_e32 38, v0
	s_cbranch_execz .LBB47_225
; %bb.224:
	scratch_load_b128 v[1:4], off, s9
	v_mov_b32_e32 v5, 0
	s_delay_alu instid0(VALU_DEP_1)
	v_dual_mov_b32 v6, v5 :: v_dual_mov_b32 v7, v5
	v_mov_b32_e32 v8, v5
	scratch_store_b128 off, v[5:8], off offset:624
	s_wait_loadcnt 0x0
	ds_store_b128 v138, v[1:4]
.LBB47_225:
	s_wait_alu 0xfffe
	s_or_b32 exec_lo, exec_lo, s0
	s_wait_storecnt_dscnt 0x0
	s_barrier_signal -1
	s_barrier_wait -1
	global_inv scope:SCOPE_SE
	s_clause 0x7
	scratch_load_b128 v[2:5], off, off offset:640
	scratch_load_b128 v[6:9], off, off offset:656
	scratch_load_b128 v[10:13], off, off offset:672
	scratch_load_b128 v[14:17], off, off offset:688
	scratch_load_b128 v[18:21], off, off offset:704
	scratch_load_b128 v[22:25], off, off offset:720
	scratch_load_b128 v[26:29], off, off offset:736
	scratch_load_b128 v[30:33], off, off offset:752
	v_mov_b32_e32 v1, 0
	s_mov_b32 s0, exec_lo
	ds_load_b128 v[34:37], v1 offset:1392
	s_clause 0x1
	scratch_load_b128 v[38:41], off, off offset:768
	scratch_load_b128 v[139:142], off, off offset:624
	ds_load_b128 v[143:146], v1 offset:1408
	s_wait_loadcnt_dscnt 0x901
	v_mul_f64_e32 v[147:148], v[36:37], v[4:5]
	v_mul_f64_e32 v[4:5], v[34:35], v[4:5]
	s_wait_loadcnt_dscnt 0x800
	v_mul_f64_e32 v[149:150], v[143:144], v[8:9]
	v_mul_f64_e32 v[8:9], v[145:146], v[8:9]
	s_delay_alu instid0(VALU_DEP_4) | instskip(NEXT) | instid1(VALU_DEP_4)
	v_fma_f64 v[147:148], v[34:35], v[2:3], -v[147:148]
	v_fma_f64 v[151:152], v[36:37], v[2:3], v[4:5]
	ds_load_b128 v[2:5], v1 offset:1424
	ds_load_b128 v[34:37], v1 offset:1440
	v_fma_f64 v[145:146], v[145:146], v[6:7], v[149:150]
	v_fma_f64 v[6:7], v[143:144], v[6:7], -v[8:9]
	s_wait_loadcnt_dscnt 0x701
	v_mul_f64_e32 v[153:154], v[2:3], v[12:13]
	v_mul_f64_e32 v[12:13], v[4:5], v[12:13]
	v_add_f64_e32 v[8:9], 0, v[147:148]
	v_add_f64_e32 v[143:144], 0, v[151:152]
	s_wait_loadcnt_dscnt 0x600
	v_mul_f64_e32 v[147:148], v[34:35], v[16:17]
	v_mul_f64_e32 v[16:17], v[36:37], v[16:17]
	v_fma_f64 v[149:150], v[4:5], v[10:11], v[153:154]
	v_fma_f64 v[10:11], v[2:3], v[10:11], -v[12:13]
	v_add_f64_e32 v[12:13], v[8:9], v[6:7]
	v_add_f64_e32 v[143:144], v[143:144], v[145:146]
	ds_load_b128 v[2:5], v1 offset:1456
	ds_load_b128 v[6:9], v1 offset:1472
	v_fma_f64 v[36:37], v[36:37], v[14:15], v[147:148]
	v_fma_f64 v[14:15], v[34:35], v[14:15], -v[16:17]
	s_wait_loadcnt_dscnt 0x501
	v_mul_f64_e32 v[145:146], v[2:3], v[20:21]
	v_mul_f64_e32 v[20:21], v[4:5], v[20:21]
	s_wait_loadcnt_dscnt 0x400
	v_mul_f64_e32 v[16:17], v[6:7], v[24:25]
	v_mul_f64_e32 v[24:25], v[8:9], v[24:25]
	v_add_f64_e32 v[10:11], v[12:13], v[10:11]
	v_add_f64_e32 v[12:13], v[143:144], v[149:150]
	v_fma_f64 v[34:35], v[4:5], v[18:19], v[145:146]
	v_fma_f64 v[18:19], v[2:3], v[18:19], -v[20:21]
	v_fma_f64 v[8:9], v[8:9], v[22:23], v[16:17]
	v_fma_f64 v[6:7], v[6:7], v[22:23], -v[24:25]
	v_add_f64_e32 v[14:15], v[10:11], v[14:15]
	v_add_f64_e32 v[20:21], v[12:13], v[36:37]
	ds_load_b128 v[2:5], v1 offset:1488
	ds_load_b128 v[10:13], v1 offset:1504
	s_wait_loadcnt_dscnt 0x301
	v_mul_f64_e32 v[36:37], v[2:3], v[28:29]
	v_mul_f64_e32 v[28:29], v[4:5], v[28:29]
	v_add_f64_e32 v[14:15], v[14:15], v[18:19]
	v_add_f64_e32 v[16:17], v[20:21], v[34:35]
	s_wait_loadcnt_dscnt 0x200
	v_mul_f64_e32 v[18:19], v[10:11], v[32:33]
	v_mul_f64_e32 v[20:21], v[12:13], v[32:33]
	v_fma_f64 v[22:23], v[4:5], v[26:27], v[36:37]
	v_fma_f64 v[24:25], v[2:3], v[26:27], -v[28:29]
	ds_load_b128 v[2:5], v1 offset:1520
	v_add_f64_e32 v[6:7], v[14:15], v[6:7]
	v_add_f64_e32 v[8:9], v[16:17], v[8:9]
	v_fma_f64 v[12:13], v[12:13], v[30:31], v[18:19]
	v_fma_f64 v[10:11], v[10:11], v[30:31], -v[20:21]
	s_wait_loadcnt_dscnt 0x100
	v_mul_f64_e32 v[14:15], v[2:3], v[40:41]
	v_mul_f64_e32 v[16:17], v[4:5], v[40:41]
	v_add_f64_e32 v[6:7], v[6:7], v[24:25]
	v_add_f64_e32 v[8:9], v[8:9], v[22:23]
	s_delay_alu instid0(VALU_DEP_4) | instskip(NEXT) | instid1(VALU_DEP_4)
	v_fma_f64 v[4:5], v[4:5], v[38:39], v[14:15]
	v_fma_f64 v[2:3], v[2:3], v[38:39], -v[16:17]
	s_delay_alu instid0(VALU_DEP_4) | instskip(NEXT) | instid1(VALU_DEP_4)
	v_add_f64_e32 v[6:7], v[6:7], v[10:11]
	v_add_f64_e32 v[8:9], v[8:9], v[12:13]
	s_delay_alu instid0(VALU_DEP_2) | instskip(NEXT) | instid1(VALU_DEP_2)
	v_add_f64_e32 v[2:3], v[6:7], v[2:3]
	v_add_f64_e32 v[4:5], v[8:9], v[4:5]
	s_wait_loadcnt 0x0
	s_delay_alu instid0(VALU_DEP_2) | instskip(NEXT) | instid1(VALU_DEP_2)
	v_add_f64_e64 v[2:3], v[139:140], -v[2:3]
	v_add_f64_e64 v[4:5], v[141:142], -v[4:5]
	scratch_store_b128 off, v[2:5], off offset:624
	v_cmpx_lt_u32_e32 37, v0
	s_cbranch_execz .LBB47_227
; %bb.226:
	scratch_load_b128 v[5:8], off, s8
	v_dual_mov_b32 v2, v1 :: v_dual_mov_b32 v3, v1
	v_mov_b32_e32 v4, v1
	scratch_store_b128 off, v[1:4], off offset:608
	s_wait_loadcnt 0x0
	ds_store_b128 v138, v[5:8]
.LBB47_227:
	s_wait_alu 0xfffe
	s_or_b32 exec_lo, exec_lo, s0
	s_wait_storecnt_dscnt 0x0
	s_barrier_signal -1
	s_barrier_wait -1
	global_inv scope:SCOPE_SE
	s_clause 0x8
	scratch_load_b128 v[2:5], off, off offset:624
	scratch_load_b128 v[6:9], off, off offset:640
	;; [unrolled: 1-line block ×9, first 2 shown]
	ds_load_b128 v[38:41], v1 offset:1376
	ds_load_b128 v[139:142], v1 offset:1392
	s_clause 0x1
	scratch_load_b128 v[143:146], off, off offset:608
	scratch_load_b128 v[147:150], off, off offset:768
	s_mov_b32 s0, exec_lo
	s_wait_loadcnt_dscnt 0xa01
	v_mul_f64_e32 v[151:152], v[40:41], v[4:5]
	v_mul_f64_e32 v[4:5], v[38:39], v[4:5]
	s_wait_loadcnt_dscnt 0x900
	v_mul_f64_e32 v[153:154], v[139:140], v[8:9]
	v_mul_f64_e32 v[8:9], v[141:142], v[8:9]
	s_delay_alu instid0(VALU_DEP_4) | instskip(NEXT) | instid1(VALU_DEP_4)
	v_fma_f64 v[151:152], v[38:39], v[2:3], -v[151:152]
	v_fma_f64 v[155:156], v[40:41], v[2:3], v[4:5]
	ds_load_b128 v[2:5], v1 offset:1408
	ds_load_b128 v[38:41], v1 offset:1424
	v_fma_f64 v[141:142], v[141:142], v[6:7], v[153:154]
	v_fma_f64 v[6:7], v[139:140], v[6:7], -v[8:9]
	s_wait_loadcnt_dscnt 0x801
	v_mul_f64_e32 v[157:158], v[2:3], v[12:13]
	v_mul_f64_e32 v[12:13], v[4:5], v[12:13]
	v_add_f64_e32 v[8:9], 0, v[151:152]
	v_add_f64_e32 v[139:140], 0, v[155:156]
	s_wait_loadcnt_dscnt 0x700
	v_mul_f64_e32 v[151:152], v[38:39], v[16:17]
	v_mul_f64_e32 v[16:17], v[40:41], v[16:17]
	v_fma_f64 v[153:154], v[4:5], v[10:11], v[157:158]
	v_fma_f64 v[10:11], v[2:3], v[10:11], -v[12:13]
	v_add_f64_e32 v[12:13], v[8:9], v[6:7]
	v_add_f64_e32 v[139:140], v[139:140], v[141:142]
	ds_load_b128 v[2:5], v1 offset:1440
	ds_load_b128 v[6:9], v1 offset:1456
	v_fma_f64 v[40:41], v[40:41], v[14:15], v[151:152]
	v_fma_f64 v[14:15], v[38:39], v[14:15], -v[16:17]
	s_wait_loadcnt_dscnt 0x601
	v_mul_f64_e32 v[141:142], v[2:3], v[20:21]
	v_mul_f64_e32 v[20:21], v[4:5], v[20:21]
	s_wait_loadcnt_dscnt 0x500
	v_mul_f64_e32 v[16:17], v[6:7], v[24:25]
	v_mul_f64_e32 v[24:25], v[8:9], v[24:25]
	v_add_f64_e32 v[10:11], v[12:13], v[10:11]
	v_add_f64_e32 v[12:13], v[139:140], v[153:154]
	v_fma_f64 v[38:39], v[4:5], v[18:19], v[141:142]
	v_fma_f64 v[18:19], v[2:3], v[18:19], -v[20:21]
	v_fma_f64 v[8:9], v[8:9], v[22:23], v[16:17]
	v_fma_f64 v[6:7], v[6:7], v[22:23], -v[24:25]
	v_add_f64_e32 v[14:15], v[10:11], v[14:15]
	v_add_f64_e32 v[20:21], v[12:13], v[40:41]
	ds_load_b128 v[2:5], v1 offset:1472
	ds_load_b128 v[10:13], v1 offset:1488
	s_wait_loadcnt_dscnt 0x401
	v_mul_f64_e32 v[40:41], v[2:3], v[28:29]
	v_mul_f64_e32 v[28:29], v[4:5], v[28:29]
	v_add_f64_e32 v[14:15], v[14:15], v[18:19]
	v_add_f64_e32 v[16:17], v[20:21], v[38:39]
	s_wait_loadcnt_dscnt 0x300
	v_mul_f64_e32 v[18:19], v[10:11], v[32:33]
	v_mul_f64_e32 v[20:21], v[12:13], v[32:33]
	v_fma_f64 v[22:23], v[4:5], v[26:27], v[40:41]
	v_fma_f64 v[24:25], v[2:3], v[26:27], -v[28:29]
	v_add_f64_e32 v[14:15], v[14:15], v[6:7]
	v_add_f64_e32 v[16:17], v[16:17], v[8:9]
	ds_load_b128 v[2:5], v1 offset:1504
	ds_load_b128 v[6:9], v1 offset:1520
	v_fma_f64 v[12:13], v[12:13], v[30:31], v[18:19]
	v_fma_f64 v[10:11], v[10:11], v[30:31], -v[20:21]
	s_wait_loadcnt_dscnt 0x201
	v_mul_f64_e32 v[26:27], v[2:3], v[36:37]
	v_mul_f64_e32 v[28:29], v[4:5], v[36:37]
	s_wait_loadcnt_dscnt 0x0
	v_mul_f64_e32 v[18:19], v[6:7], v[149:150]
	v_mul_f64_e32 v[20:21], v[8:9], v[149:150]
	v_add_f64_e32 v[14:15], v[14:15], v[24:25]
	v_add_f64_e32 v[16:17], v[16:17], v[22:23]
	v_fma_f64 v[4:5], v[4:5], v[34:35], v[26:27]
	v_fma_f64 v[1:2], v[2:3], v[34:35], -v[28:29]
	v_fma_f64 v[8:9], v[8:9], v[147:148], v[18:19]
	v_fma_f64 v[6:7], v[6:7], v[147:148], -v[20:21]
	v_add_f64_e32 v[10:11], v[14:15], v[10:11]
	v_add_f64_e32 v[12:13], v[16:17], v[12:13]
	s_delay_alu instid0(VALU_DEP_2) | instskip(NEXT) | instid1(VALU_DEP_2)
	v_add_f64_e32 v[1:2], v[10:11], v[1:2]
	v_add_f64_e32 v[3:4], v[12:13], v[4:5]
	s_delay_alu instid0(VALU_DEP_2) | instskip(NEXT) | instid1(VALU_DEP_2)
	;; [unrolled: 3-line block ×3, first 2 shown]
	v_add_f64_e64 v[1:2], v[143:144], -v[1:2]
	v_add_f64_e64 v[3:4], v[145:146], -v[3:4]
	scratch_store_b128 off, v[1:4], off offset:608
	v_cmpx_lt_u32_e32 36, v0
	s_cbranch_execz .LBB47_229
; %bb.228:
	scratch_load_b128 v[1:4], off, s11
	v_mov_b32_e32 v5, 0
	s_delay_alu instid0(VALU_DEP_1)
	v_dual_mov_b32 v6, v5 :: v_dual_mov_b32 v7, v5
	v_mov_b32_e32 v8, v5
	scratch_store_b128 off, v[5:8], off offset:592
	s_wait_loadcnt 0x0
	ds_store_b128 v138, v[1:4]
.LBB47_229:
	s_wait_alu 0xfffe
	s_or_b32 exec_lo, exec_lo, s0
	s_wait_storecnt_dscnt 0x0
	s_barrier_signal -1
	s_barrier_wait -1
	global_inv scope:SCOPE_SE
	s_clause 0x7
	scratch_load_b128 v[2:5], off, off offset:608
	scratch_load_b128 v[6:9], off, off offset:624
	;; [unrolled: 1-line block ×8, first 2 shown]
	v_mov_b32_e32 v1, 0
	s_mov_b32 s0, exec_lo
	ds_load_b128 v[34:37], v1 offset:1360
	s_clause 0x1
	scratch_load_b128 v[38:41], off, off offset:736
	scratch_load_b128 v[139:142], off, off offset:592
	ds_load_b128 v[143:146], v1 offset:1376
	scratch_load_b128 v[147:150], off, off offset:752
	s_wait_loadcnt_dscnt 0xa01
	v_mul_f64_e32 v[151:152], v[36:37], v[4:5]
	v_mul_f64_e32 v[4:5], v[34:35], v[4:5]
	s_delay_alu instid0(VALU_DEP_2) | instskip(NEXT) | instid1(VALU_DEP_2)
	v_fma_f64 v[157:158], v[34:35], v[2:3], -v[151:152]
	v_fma_f64 v[159:160], v[36:37], v[2:3], v[4:5]
	ds_load_b128 v[2:5], v1 offset:1392
	s_wait_loadcnt_dscnt 0x901
	v_mul_f64_e32 v[155:156], v[143:144], v[8:9]
	v_mul_f64_e32 v[8:9], v[145:146], v[8:9]
	scratch_load_b128 v[34:37], off, off offset:768
	ds_load_b128 v[151:154], v1 offset:1408
	s_wait_loadcnt_dscnt 0x901
	v_mul_f64_e32 v[161:162], v[2:3], v[12:13]
	v_mul_f64_e32 v[12:13], v[4:5], v[12:13]
	v_fma_f64 v[145:146], v[145:146], v[6:7], v[155:156]
	v_fma_f64 v[6:7], v[143:144], v[6:7], -v[8:9]
	v_add_f64_e32 v[8:9], 0, v[157:158]
	v_add_f64_e32 v[143:144], 0, v[159:160]
	s_wait_loadcnt_dscnt 0x800
	v_mul_f64_e32 v[155:156], v[151:152], v[16:17]
	v_mul_f64_e32 v[16:17], v[153:154], v[16:17]
	v_fma_f64 v[157:158], v[4:5], v[10:11], v[161:162]
	v_fma_f64 v[10:11], v[2:3], v[10:11], -v[12:13]
	v_add_f64_e32 v[12:13], v[8:9], v[6:7]
	v_add_f64_e32 v[143:144], v[143:144], v[145:146]
	ds_load_b128 v[2:5], v1 offset:1424
	ds_load_b128 v[6:9], v1 offset:1440
	v_fma_f64 v[153:154], v[153:154], v[14:15], v[155:156]
	v_fma_f64 v[14:15], v[151:152], v[14:15], -v[16:17]
	s_wait_loadcnt_dscnt 0x701
	v_mul_f64_e32 v[145:146], v[2:3], v[20:21]
	v_mul_f64_e32 v[20:21], v[4:5], v[20:21]
	s_wait_loadcnt_dscnt 0x600
	v_mul_f64_e32 v[16:17], v[6:7], v[24:25]
	v_mul_f64_e32 v[24:25], v[8:9], v[24:25]
	v_add_f64_e32 v[10:11], v[12:13], v[10:11]
	v_add_f64_e32 v[12:13], v[143:144], v[157:158]
	v_fma_f64 v[143:144], v[4:5], v[18:19], v[145:146]
	v_fma_f64 v[18:19], v[2:3], v[18:19], -v[20:21]
	v_fma_f64 v[8:9], v[8:9], v[22:23], v[16:17]
	v_fma_f64 v[6:7], v[6:7], v[22:23], -v[24:25]
	v_add_f64_e32 v[14:15], v[10:11], v[14:15]
	v_add_f64_e32 v[20:21], v[12:13], v[153:154]
	ds_load_b128 v[2:5], v1 offset:1456
	ds_load_b128 v[10:13], v1 offset:1472
	s_wait_loadcnt_dscnt 0x501
	v_mul_f64_e32 v[145:146], v[2:3], v[28:29]
	v_mul_f64_e32 v[28:29], v[4:5], v[28:29]
	v_add_f64_e32 v[14:15], v[14:15], v[18:19]
	v_add_f64_e32 v[16:17], v[20:21], v[143:144]
	s_wait_loadcnt_dscnt 0x400
	v_mul_f64_e32 v[18:19], v[10:11], v[32:33]
	v_mul_f64_e32 v[20:21], v[12:13], v[32:33]
	v_fma_f64 v[22:23], v[4:5], v[26:27], v[145:146]
	v_fma_f64 v[24:25], v[2:3], v[26:27], -v[28:29]
	v_add_f64_e32 v[14:15], v[14:15], v[6:7]
	v_add_f64_e32 v[16:17], v[16:17], v[8:9]
	ds_load_b128 v[2:5], v1 offset:1488
	ds_load_b128 v[6:9], v1 offset:1504
	v_fma_f64 v[12:13], v[12:13], v[30:31], v[18:19]
	v_fma_f64 v[10:11], v[10:11], v[30:31], -v[20:21]
	s_wait_loadcnt_dscnt 0x301
	v_mul_f64_e32 v[26:27], v[2:3], v[40:41]
	v_mul_f64_e32 v[28:29], v[4:5], v[40:41]
	s_wait_loadcnt_dscnt 0x100
	v_mul_f64_e32 v[18:19], v[6:7], v[149:150]
	v_mul_f64_e32 v[20:21], v[8:9], v[149:150]
	v_add_f64_e32 v[14:15], v[14:15], v[24:25]
	v_add_f64_e32 v[16:17], v[16:17], v[22:23]
	v_fma_f64 v[22:23], v[4:5], v[38:39], v[26:27]
	v_fma_f64 v[24:25], v[2:3], v[38:39], -v[28:29]
	ds_load_b128 v[2:5], v1 offset:1520
	v_fma_f64 v[8:9], v[8:9], v[147:148], v[18:19]
	v_fma_f64 v[6:7], v[6:7], v[147:148], -v[20:21]
	v_add_f64_e32 v[10:11], v[14:15], v[10:11]
	v_add_f64_e32 v[12:13], v[16:17], v[12:13]
	s_wait_loadcnt_dscnt 0x0
	v_mul_f64_e32 v[14:15], v[2:3], v[36:37]
	v_mul_f64_e32 v[16:17], v[4:5], v[36:37]
	s_delay_alu instid0(VALU_DEP_4) | instskip(NEXT) | instid1(VALU_DEP_4)
	v_add_f64_e32 v[10:11], v[10:11], v[24:25]
	v_add_f64_e32 v[12:13], v[12:13], v[22:23]
	s_delay_alu instid0(VALU_DEP_4) | instskip(NEXT) | instid1(VALU_DEP_4)
	v_fma_f64 v[4:5], v[4:5], v[34:35], v[14:15]
	v_fma_f64 v[2:3], v[2:3], v[34:35], -v[16:17]
	s_delay_alu instid0(VALU_DEP_4) | instskip(NEXT) | instid1(VALU_DEP_4)
	v_add_f64_e32 v[6:7], v[10:11], v[6:7]
	v_add_f64_e32 v[8:9], v[12:13], v[8:9]
	s_delay_alu instid0(VALU_DEP_2) | instskip(NEXT) | instid1(VALU_DEP_2)
	v_add_f64_e32 v[2:3], v[6:7], v[2:3]
	v_add_f64_e32 v[4:5], v[8:9], v[4:5]
	s_delay_alu instid0(VALU_DEP_2) | instskip(NEXT) | instid1(VALU_DEP_2)
	v_add_f64_e64 v[2:3], v[139:140], -v[2:3]
	v_add_f64_e64 v[4:5], v[141:142], -v[4:5]
	scratch_store_b128 off, v[2:5], off offset:592
	v_cmpx_lt_u32_e32 35, v0
	s_cbranch_execz .LBB47_231
; %bb.230:
	scratch_load_b128 v[5:8], off, s10
	v_dual_mov_b32 v2, v1 :: v_dual_mov_b32 v3, v1
	v_mov_b32_e32 v4, v1
	scratch_store_b128 off, v[1:4], off offset:576
	s_wait_loadcnt 0x0
	ds_store_b128 v138, v[5:8]
.LBB47_231:
	s_wait_alu 0xfffe
	s_or_b32 exec_lo, exec_lo, s0
	s_wait_storecnt_dscnt 0x0
	s_barrier_signal -1
	s_barrier_wait -1
	global_inv scope:SCOPE_SE
	s_clause 0x8
	scratch_load_b128 v[2:5], off, off offset:592
	scratch_load_b128 v[6:9], off, off offset:608
	scratch_load_b128 v[10:13], off, off offset:624
	scratch_load_b128 v[14:17], off, off offset:640
	scratch_load_b128 v[18:21], off, off offset:656
	scratch_load_b128 v[22:25], off, off offset:672
	scratch_load_b128 v[26:29], off, off offset:688
	scratch_load_b128 v[30:33], off, off offset:704
	scratch_load_b128 v[34:37], off, off offset:720
	ds_load_b128 v[38:41], v1 offset:1344
	ds_load_b128 v[139:142], v1 offset:1360
	s_clause 0x1
	scratch_load_b128 v[143:146], off, off offset:576
	scratch_load_b128 v[147:150], off, off offset:736
	s_mov_b32 s0, exec_lo
	s_wait_loadcnt_dscnt 0xa01
	v_mul_f64_e32 v[151:152], v[40:41], v[4:5]
	v_mul_f64_e32 v[4:5], v[38:39], v[4:5]
	s_wait_loadcnt_dscnt 0x900
	v_mul_f64_e32 v[155:156], v[139:140], v[8:9]
	v_mul_f64_e32 v[8:9], v[141:142], v[8:9]
	s_delay_alu instid0(VALU_DEP_4) | instskip(NEXT) | instid1(VALU_DEP_4)
	v_fma_f64 v[157:158], v[38:39], v[2:3], -v[151:152]
	v_fma_f64 v[159:160], v[40:41], v[2:3], v[4:5]
	ds_load_b128 v[2:5], v1 offset:1376
	ds_load_b128 v[151:154], v1 offset:1392
	scratch_load_b128 v[38:41], off, off offset:752
	v_fma_f64 v[141:142], v[141:142], v[6:7], v[155:156]
	v_fma_f64 v[139:140], v[139:140], v[6:7], -v[8:9]
	scratch_load_b128 v[6:9], off, off offset:768
	s_wait_loadcnt_dscnt 0xa01
	v_mul_f64_e32 v[161:162], v[2:3], v[12:13]
	v_mul_f64_e32 v[12:13], v[4:5], v[12:13]
	v_add_f64_e32 v[155:156], 0, v[157:158]
	v_add_f64_e32 v[157:158], 0, v[159:160]
	s_wait_loadcnt_dscnt 0x900
	v_mul_f64_e32 v[159:160], v[151:152], v[16:17]
	v_mul_f64_e32 v[16:17], v[153:154], v[16:17]
	v_fma_f64 v[161:162], v[4:5], v[10:11], v[161:162]
	v_fma_f64 v[163:164], v[2:3], v[10:11], -v[12:13]
	ds_load_b128 v[2:5], v1 offset:1408
	ds_load_b128 v[10:13], v1 offset:1424
	v_add_f64_e32 v[139:140], v[155:156], v[139:140]
	v_add_f64_e32 v[141:142], v[157:158], v[141:142]
	v_fma_f64 v[153:154], v[153:154], v[14:15], v[159:160]
	v_fma_f64 v[14:15], v[151:152], v[14:15], -v[16:17]
	s_wait_loadcnt_dscnt 0x801
	v_mul_f64_e32 v[155:156], v[2:3], v[20:21]
	v_mul_f64_e32 v[20:21], v[4:5], v[20:21]
	v_add_f64_e32 v[16:17], v[139:140], v[163:164]
	v_add_f64_e32 v[139:140], v[141:142], v[161:162]
	s_wait_loadcnt_dscnt 0x700
	v_mul_f64_e32 v[141:142], v[10:11], v[24:25]
	v_mul_f64_e32 v[24:25], v[12:13], v[24:25]
	v_fma_f64 v[151:152], v[4:5], v[18:19], v[155:156]
	v_fma_f64 v[18:19], v[2:3], v[18:19], -v[20:21]
	v_add_f64_e32 v[20:21], v[16:17], v[14:15]
	v_add_f64_e32 v[139:140], v[139:140], v[153:154]
	ds_load_b128 v[2:5], v1 offset:1440
	ds_load_b128 v[14:17], v1 offset:1456
	v_fma_f64 v[12:13], v[12:13], v[22:23], v[141:142]
	v_fma_f64 v[10:11], v[10:11], v[22:23], -v[24:25]
	s_wait_loadcnt_dscnt 0x601
	v_mul_f64_e32 v[153:154], v[2:3], v[28:29]
	v_mul_f64_e32 v[28:29], v[4:5], v[28:29]
	s_wait_loadcnt_dscnt 0x500
	v_mul_f64_e32 v[22:23], v[14:15], v[32:33]
	v_mul_f64_e32 v[24:25], v[16:17], v[32:33]
	v_add_f64_e32 v[18:19], v[20:21], v[18:19]
	v_add_f64_e32 v[20:21], v[139:140], v[151:152]
	v_fma_f64 v[32:33], v[4:5], v[26:27], v[153:154]
	v_fma_f64 v[26:27], v[2:3], v[26:27], -v[28:29]
	v_fma_f64 v[16:17], v[16:17], v[30:31], v[22:23]
	v_fma_f64 v[14:15], v[14:15], v[30:31], -v[24:25]
	v_add_f64_e32 v[18:19], v[18:19], v[10:11]
	v_add_f64_e32 v[20:21], v[20:21], v[12:13]
	ds_load_b128 v[2:5], v1 offset:1472
	ds_load_b128 v[10:13], v1 offset:1488
	s_wait_loadcnt_dscnt 0x401
	v_mul_f64_e32 v[28:29], v[2:3], v[36:37]
	v_mul_f64_e32 v[36:37], v[4:5], v[36:37]
	s_wait_loadcnt_dscnt 0x200
	v_mul_f64_e32 v[22:23], v[10:11], v[149:150]
	v_mul_f64_e32 v[24:25], v[12:13], v[149:150]
	v_add_f64_e32 v[18:19], v[18:19], v[26:27]
	v_add_f64_e32 v[20:21], v[20:21], v[32:33]
	v_fma_f64 v[26:27], v[4:5], v[34:35], v[28:29]
	v_fma_f64 v[28:29], v[2:3], v[34:35], -v[36:37]
	v_fma_f64 v[12:13], v[12:13], v[147:148], v[22:23]
	v_fma_f64 v[10:11], v[10:11], v[147:148], -v[24:25]
	v_add_f64_e32 v[18:19], v[18:19], v[14:15]
	v_add_f64_e32 v[20:21], v[20:21], v[16:17]
	ds_load_b128 v[2:5], v1 offset:1504
	ds_load_b128 v[14:17], v1 offset:1520
	s_wait_loadcnt_dscnt 0x101
	v_mul_f64_e32 v[30:31], v[2:3], v[40:41]
	v_mul_f64_e32 v[32:33], v[4:5], v[40:41]
	s_wait_loadcnt_dscnt 0x0
	v_mul_f64_e32 v[22:23], v[14:15], v[8:9]
	v_mul_f64_e32 v[8:9], v[16:17], v[8:9]
	v_add_f64_e32 v[18:19], v[18:19], v[28:29]
	v_add_f64_e32 v[20:21], v[20:21], v[26:27]
	v_fma_f64 v[4:5], v[4:5], v[38:39], v[30:31]
	v_fma_f64 v[1:2], v[2:3], v[38:39], -v[32:33]
	v_fma_f64 v[16:17], v[16:17], v[6:7], v[22:23]
	v_fma_f64 v[6:7], v[14:15], v[6:7], -v[8:9]
	v_add_f64_e32 v[10:11], v[18:19], v[10:11]
	v_add_f64_e32 v[12:13], v[20:21], v[12:13]
	s_delay_alu instid0(VALU_DEP_2) | instskip(NEXT) | instid1(VALU_DEP_2)
	v_add_f64_e32 v[1:2], v[10:11], v[1:2]
	v_add_f64_e32 v[3:4], v[12:13], v[4:5]
	s_delay_alu instid0(VALU_DEP_2) | instskip(NEXT) | instid1(VALU_DEP_2)
	;; [unrolled: 3-line block ×3, first 2 shown]
	v_add_f64_e64 v[1:2], v[143:144], -v[1:2]
	v_add_f64_e64 v[3:4], v[145:146], -v[3:4]
	scratch_store_b128 off, v[1:4], off offset:576
	v_cmpx_lt_u32_e32 34, v0
	s_cbranch_execz .LBB47_233
; %bb.232:
	scratch_load_b128 v[1:4], off, s13
	v_mov_b32_e32 v5, 0
	s_delay_alu instid0(VALU_DEP_1)
	v_dual_mov_b32 v6, v5 :: v_dual_mov_b32 v7, v5
	v_mov_b32_e32 v8, v5
	scratch_store_b128 off, v[5:8], off offset:560
	s_wait_loadcnt 0x0
	ds_store_b128 v138, v[1:4]
.LBB47_233:
	s_wait_alu 0xfffe
	s_or_b32 exec_lo, exec_lo, s0
	s_wait_storecnt_dscnt 0x0
	s_barrier_signal -1
	s_barrier_wait -1
	global_inv scope:SCOPE_SE
	s_clause 0x7
	scratch_load_b128 v[2:5], off, off offset:576
	scratch_load_b128 v[6:9], off, off offset:592
	;; [unrolled: 1-line block ×8, first 2 shown]
	v_mov_b32_e32 v1, 0
	s_clause 0x1
	scratch_load_b128 v[38:41], off, off offset:704
	scratch_load_b128 v[143:146], off, off offset:720
	s_mov_b32 s0, exec_lo
	ds_load_b128 v[34:37], v1 offset:1328
	ds_load_b128 v[139:142], v1 offset:1344
	s_wait_loadcnt_dscnt 0x901
	v_mul_f64_e32 v[147:148], v[36:37], v[4:5]
	v_mul_f64_e32 v[4:5], v[34:35], v[4:5]
	s_wait_loadcnt_dscnt 0x800
	v_mul_f64_e32 v[149:150], v[139:140], v[8:9]
	v_mul_f64_e32 v[8:9], v[141:142], v[8:9]
	s_delay_alu instid0(VALU_DEP_4) | instskip(NEXT) | instid1(VALU_DEP_4)
	v_fma_f64 v[147:148], v[34:35], v[2:3], -v[147:148]
	v_fma_f64 v[151:152], v[36:37], v[2:3], v[4:5]
	ds_load_b128 v[2:5], v1 offset:1360
	scratch_load_b128 v[34:37], off, off offset:736
	v_fma_f64 v[149:150], v[141:142], v[6:7], v[149:150]
	v_fma_f64 v[155:156], v[139:140], v[6:7], -v[8:9]
	ds_load_b128 v[6:9], v1 offset:1376
	scratch_load_b128 v[139:142], off, off offset:752
	s_wait_loadcnt_dscnt 0x901
	v_mul_f64_e32 v[153:154], v[2:3], v[12:13]
	v_mul_f64_e32 v[12:13], v[4:5], v[12:13]
	s_wait_loadcnt_dscnt 0x800
	v_mul_f64_e32 v[157:158], v[6:7], v[16:17]
	v_mul_f64_e32 v[16:17], v[8:9], v[16:17]
	v_add_f64_e32 v[147:148], 0, v[147:148]
	v_add_f64_e32 v[151:152], 0, v[151:152]
	v_fma_f64 v[153:154], v[4:5], v[10:11], v[153:154]
	v_fma_f64 v[159:160], v[2:3], v[10:11], -v[12:13]
	ds_load_b128 v[2:5], v1 offset:1392
	scratch_load_b128 v[10:13], off, off offset:768
	v_add_f64_e32 v[147:148], v[147:148], v[155:156]
	v_add_f64_e32 v[149:150], v[151:152], v[149:150]
	v_fma_f64 v[155:156], v[8:9], v[14:15], v[157:158]
	v_fma_f64 v[14:15], v[6:7], v[14:15], -v[16:17]
	ds_load_b128 v[6:9], v1 offset:1408
	s_wait_loadcnt_dscnt 0x801
	v_mul_f64_e32 v[151:152], v[2:3], v[20:21]
	v_mul_f64_e32 v[20:21], v[4:5], v[20:21]
	v_add_f64_e32 v[16:17], v[147:148], v[159:160]
	v_add_f64_e32 v[147:148], v[149:150], v[153:154]
	s_wait_loadcnt_dscnt 0x700
	v_mul_f64_e32 v[149:150], v[6:7], v[24:25]
	v_mul_f64_e32 v[24:25], v[8:9], v[24:25]
	v_fma_f64 v[151:152], v[4:5], v[18:19], v[151:152]
	v_fma_f64 v[18:19], v[2:3], v[18:19], -v[20:21]
	ds_load_b128 v[2:5], v1 offset:1424
	v_add_f64_e32 v[14:15], v[16:17], v[14:15]
	v_add_f64_e32 v[16:17], v[147:148], v[155:156]
	v_fma_f64 v[147:148], v[8:9], v[22:23], v[149:150]
	v_fma_f64 v[22:23], v[6:7], v[22:23], -v[24:25]
	ds_load_b128 v[6:9], v1 offset:1440
	s_wait_loadcnt_dscnt 0x601
	v_mul_f64_e32 v[20:21], v[2:3], v[28:29]
	v_mul_f64_e32 v[28:29], v[4:5], v[28:29]
	s_wait_loadcnt_dscnt 0x500
	v_mul_f64_e32 v[149:150], v[6:7], v[32:33]
	v_mul_f64_e32 v[32:33], v[8:9], v[32:33]
	v_add_f64_e32 v[18:19], v[14:15], v[18:19]
	v_add_f64_e32 v[24:25], v[16:17], v[151:152]
	scratch_load_b128 v[14:17], off, off offset:560
	v_fma_f64 v[20:21], v[4:5], v[26:27], v[20:21]
	v_fma_f64 v[26:27], v[2:3], v[26:27], -v[28:29]
	ds_load_b128 v[2:5], v1 offset:1456
	s_wait_loadcnt_dscnt 0x500
	v_mul_f64_e32 v[28:29], v[4:5], v[40:41]
	v_add_f64_e32 v[18:19], v[18:19], v[22:23]
	v_add_f64_e32 v[22:23], v[24:25], v[147:148]
	v_mul_f64_e32 v[24:25], v[2:3], v[40:41]
	v_fma_f64 v[40:41], v[8:9], v[30:31], v[149:150]
	v_fma_f64 v[30:31], v[6:7], v[30:31], -v[32:33]
	ds_load_b128 v[6:9], v1 offset:1472
	v_fma_f64 v[28:29], v[2:3], v[38:39], -v[28:29]
	v_add_f64_e32 v[18:19], v[18:19], v[26:27]
	v_add_f64_e32 v[20:21], v[22:23], v[20:21]
	v_fma_f64 v[24:25], v[4:5], v[38:39], v[24:25]
	ds_load_b128 v[2:5], v1 offset:1488
	s_wait_loadcnt_dscnt 0x401
	v_mul_f64_e32 v[22:23], v[6:7], v[145:146]
	v_mul_f64_e32 v[26:27], v[8:9], v[145:146]
	v_add_f64_e32 v[18:19], v[18:19], v[30:31]
	v_add_f64_e32 v[20:21], v[20:21], v[40:41]
	s_delay_alu instid0(VALU_DEP_4) | instskip(NEXT) | instid1(VALU_DEP_4)
	v_fma_f64 v[22:23], v[8:9], v[143:144], v[22:23]
	v_fma_f64 v[26:27], v[6:7], v[143:144], -v[26:27]
	ds_load_b128 v[6:9], v1 offset:1504
	s_wait_loadcnt_dscnt 0x301
	v_mul_f64_e32 v[30:31], v[2:3], v[36:37]
	v_mul_f64_e32 v[32:33], v[4:5], v[36:37]
	v_add_f64_e32 v[18:19], v[18:19], v[28:29]
	v_add_f64_e32 v[20:21], v[20:21], v[24:25]
	s_delay_alu instid0(VALU_DEP_4) | instskip(NEXT) | instid1(VALU_DEP_4)
	v_fma_f64 v[30:31], v[4:5], v[34:35], v[30:31]
	v_fma_f64 v[32:33], v[2:3], v[34:35], -v[32:33]
	ds_load_b128 v[2:5], v1 offset:1520
	s_wait_loadcnt_dscnt 0x201
	v_mul_f64_e32 v[24:25], v[6:7], v[141:142]
	v_mul_f64_e32 v[28:29], v[8:9], v[141:142]
	v_add_f64_e32 v[18:19], v[18:19], v[26:27]
	v_add_f64_e32 v[20:21], v[20:21], v[22:23]
	s_wait_loadcnt_dscnt 0x100
	v_mul_f64_e32 v[22:23], v[2:3], v[12:13]
	v_mul_f64_e32 v[12:13], v[4:5], v[12:13]
	v_fma_f64 v[8:9], v[8:9], v[139:140], v[24:25]
	v_fma_f64 v[6:7], v[6:7], v[139:140], -v[28:29]
	v_add_f64_e32 v[18:19], v[18:19], v[32:33]
	v_add_f64_e32 v[20:21], v[20:21], v[30:31]
	v_fma_f64 v[4:5], v[4:5], v[10:11], v[22:23]
	v_fma_f64 v[2:3], v[2:3], v[10:11], -v[12:13]
	s_delay_alu instid0(VALU_DEP_4) | instskip(NEXT) | instid1(VALU_DEP_4)
	v_add_f64_e32 v[6:7], v[18:19], v[6:7]
	v_add_f64_e32 v[8:9], v[20:21], v[8:9]
	s_delay_alu instid0(VALU_DEP_2) | instskip(NEXT) | instid1(VALU_DEP_2)
	v_add_f64_e32 v[2:3], v[6:7], v[2:3]
	v_add_f64_e32 v[4:5], v[8:9], v[4:5]
	s_wait_loadcnt 0x0
	s_delay_alu instid0(VALU_DEP_2) | instskip(NEXT) | instid1(VALU_DEP_2)
	v_add_f64_e64 v[2:3], v[14:15], -v[2:3]
	v_add_f64_e64 v[4:5], v[16:17], -v[4:5]
	scratch_store_b128 off, v[2:5], off offset:560
	v_cmpx_lt_u32_e32 33, v0
	s_cbranch_execz .LBB47_235
; %bb.234:
	scratch_load_b128 v[5:8], off, s12
	v_dual_mov_b32 v2, v1 :: v_dual_mov_b32 v3, v1
	v_mov_b32_e32 v4, v1
	scratch_store_b128 off, v[1:4], off offset:544
	s_wait_loadcnt 0x0
	ds_store_b128 v138, v[5:8]
.LBB47_235:
	s_wait_alu 0xfffe
	s_or_b32 exec_lo, exec_lo, s0
	s_wait_storecnt_dscnt 0x0
	s_barrier_signal -1
	s_barrier_wait -1
	global_inv scope:SCOPE_SE
	s_clause 0x7
	scratch_load_b128 v[2:5], off, off offset:560
	scratch_load_b128 v[6:9], off, off offset:576
	;; [unrolled: 1-line block ×8, first 2 shown]
	ds_load_b128 v[34:37], v1 offset:1312
	ds_load_b128 v[139:142], v1 offset:1328
	s_clause 0x1
	scratch_load_b128 v[38:41], off, off offset:688
	scratch_load_b128 v[143:146], off, off offset:704
	s_mov_b32 s0, exec_lo
	s_wait_loadcnt_dscnt 0x901
	v_mul_f64_e32 v[147:148], v[36:37], v[4:5]
	v_mul_f64_e32 v[4:5], v[34:35], v[4:5]
	s_wait_loadcnt_dscnt 0x800
	v_mul_f64_e32 v[149:150], v[139:140], v[8:9]
	v_mul_f64_e32 v[8:9], v[141:142], v[8:9]
	s_delay_alu instid0(VALU_DEP_4) | instskip(NEXT) | instid1(VALU_DEP_4)
	v_fma_f64 v[147:148], v[34:35], v[2:3], -v[147:148]
	v_fma_f64 v[151:152], v[36:37], v[2:3], v[4:5]
	ds_load_b128 v[2:5], v1 offset:1344
	scratch_load_b128 v[34:37], off, off offset:720
	v_fma_f64 v[149:150], v[141:142], v[6:7], v[149:150]
	v_fma_f64 v[155:156], v[139:140], v[6:7], -v[8:9]
	ds_load_b128 v[6:9], v1 offset:1360
	scratch_load_b128 v[139:142], off, off offset:736
	s_wait_loadcnt_dscnt 0x901
	v_mul_f64_e32 v[153:154], v[2:3], v[12:13]
	v_mul_f64_e32 v[12:13], v[4:5], v[12:13]
	s_wait_loadcnt_dscnt 0x800
	v_mul_f64_e32 v[157:158], v[6:7], v[16:17]
	v_mul_f64_e32 v[16:17], v[8:9], v[16:17]
	v_add_f64_e32 v[147:148], 0, v[147:148]
	v_add_f64_e32 v[151:152], 0, v[151:152]
	v_fma_f64 v[153:154], v[4:5], v[10:11], v[153:154]
	v_fma_f64 v[159:160], v[2:3], v[10:11], -v[12:13]
	ds_load_b128 v[2:5], v1 offset:1376
	scratch_load_b128 v[10:13], off, off offset:752
	v_add_f64_e32 v[147:148], v[147:148], v[155:156]
	v_add_f64_e32 v[149:150], v[151:152], v[149:150]
	v_fma_f64 v[155:156], v[8:9], v[14:15], v[157:158]
	v_fma_f64 v[157:158], v[6:7], v[14:15], -v[16:17]
	ds_load_b128 v[6:9], v1 offset:1392
	scratch_load_b128 v[14:17], off, off offset:768
	s_wait_loadcnt_dscnt 0x901
	v_mul_f64_e32 v[151:152], v[2:3], v[20:21]
	v_mul_f64_e32 v[20:21], v[4:5], v[20:21]
	v_add_f64_e32 v[147:148], v[147:148], v[159:160]
	v_add_f64_e32 v[149:150], v[149:150], v[153:154]
	s_wait_loadcnt_dscnt 0x800
	v_mul_f64_e32 v[153:154], v[6:7], v[24:25]
	v_mul_f64_e32 v[24:25], v[8:9], v[24:25]
	v_fma_f64 v[151:152], v[4:5], v[18:19], v[151:152]
	v_fma_f64 v[18:19], v[2:3], v[18:19], -v[20:21]
	ds_load_b128 v[2:5], v1 offset:1408
	v_add_f64_e32 v[20:21], v[147:148], v[157:158]
	v_add_f64_e32 v[147:148], v[149:150], v[155:156]
	v_fma_f64 v[153:154], v[8:9], v[22:23], v[153:154]
	v_fma_f64 v[22:23], v[6:7], v[22:23], -v[24:25]
	ds_load_b128 v[6:9], v1 offset:1424
	s_wait_loadcnt_dscnt 0x701
	v_mul_f64_e32 v[149:150], v[2:3], v[28:29]
	v_mul_f64_e32 v[28:29], v[4:5], v[28:29]
	s_wait_loadcnt_dscnt 0x600
	v_mul_f64_e32 v[24:25], v[6:7], v[32:33]
	v_mul_f64_e32 v[32:33], v[8:9], v[32:33]
	v_add_f64_e32 v[18:19], v[20:21], v[18:19]
	v_add_f64_e32 v[20:21], v[147:148], v[151:152]
	v_fma_f64 v[147:148], v[4:5], v[26:27], v[149:150]
	v_fma_f64 v[26:27], v[2:3], v[26:27], -v[28:29]
	ds_load_b128 v[2:5], v1 offset:1440
	v_fma_f64 v[24:25], v[8:9], v[30:31], v[24:25]
	v_fma_f64 v[30:31], v[6:7], v[30:31], -v[32:33]
	ds_load_b128 v[6:9], v1 offset:1456
	v_add_f64_e32 v[22:23], v[18:19], v[22:23]
	v_add_f64_e32 v[28:29], v[20:21], v[153:154]
	scratch_load_b128 v[18:21], off, off offset:544
	s_wait_loadcnt_dscnt 0x601
	v_mul_f64_e32 v[149:150], v[2:3], v[40:41]
	v_mul_f64_e32 v[40:41], v[4:5], v[40:41]
	s_wait_loadcnt_dscnt 0x500
	v_mul_f64_e32 v[32:33], v[8:9], v[145:146]
	v_add_f64_e32 v[22:23], v[22:23], v[26:27]
	v_add_f64_e32 v[26:27], v[28:29], v[147:148]
	v_mul_f64_e32 v[28:29], v[6:7], v[145:146]
	v_fma_f64 v[145:146], v[4:5], v[38:39], v[149:150]
	v_fma_f64 v[38:39], v[2:3], v[38:39], -v[40:41]
	ds_load_b128 v[2:5], v1 offset:1472
	v_fma_f64 v[32:33], v[6:7], v[143:144], -v[32:33]
	v_add_f64_e32 v[22:23], v[22:23], v[30:31]
	v_add_f64_e32 v[24:25], v[26:27], v[24:25]
	v_fma_f64 v[28:29], v[8:9], v[143:144], v[28:29]
	ds_load_b128 v[6:9], v1 offset:1488
	s_wait_loadcnt_dscnt 0x401
	v_mul_f64_e32 v[26:27], v[2:3], v[36:37]
	v_mul_f64_e32 v[30:31], v[4:5], v[36:37]
	s_wait_loadcnt_dscnt 0x300
	v_mul_f64_e32 v[36:37], v[6:7], v[141:142]
	v_add_f64_e32 v[22:23], v[22:23], v[38:39]
	v_add_f64_e32 v[24:25], v[24:25], v[145:146]
	v_mul_f64_e32 v[38:39], v[8:9], v[141:142]
	v_fma_f64 v[26:27], v[4:5], v[34:35], v[26:27]
	v_fma_f64 v[30:31], v[2:3], v[34:35], -v[30:31]
	ds_load_b128 v[2:5], v1 offset:1504
	v_add_f64_e32 v[22:23], v[22:23], v[32:33]
	v_add_f64_e32 v[24:25], v[24:25], v[28:29]
	v_fma_f64 v[32:33], v[8:9], v[139:140], v[36:37]
	v_fma_f64 v[34:35], v[6:7], v[139:140], -v[38:39]
	ds_load_b128 v[6:9], v1 offset:1520
	s_wait_loadcnt_dscnt 0x201
	v_mul_f64_e32 v[28:29], v[2:3], v[12:13]
	v_mul_f64_e32 v[12:13], v[4:5], v[12:13]
	v_add_f64_e32 v[22:23], v[22:23], v[30:31]
	v_add_f64_e32 v[24:25], v[24:25], v[26:27]
	s_wait_loadcnt_dscnt 0x100
	v_mul_f64_e32 v[26:27], v[6:7], v[16:17]
	v_mul_f64_e32 v[16:17], v[8:9], v[16:17]
	v_fma_f64 v[4:5], v[4:5], v[10:11], v[28:29]
	v_fma_f64 v[1:2], v[2:3], v[10:11], -v[12:13]
	v_add_f64_e32 v[10:11], v[22:23], v[34:35]
	v_add_f64_e32 v[12:13], v[24:25], v[32:33]
	v_fma_f64 v[8:9], v[8:9], v[14:15], v[26:27]
	v_fma_f64 v[6:7], v[6:7], v[14:15], -v[16:17]
	s_delay_alu instid0(VALU_DEP_4) | instskip(NEXT) | instid1(VALU_DEP_4)
	v_add_f64_e32 v[1:2], v[10:11], v[1:2]
	v_add_f64_e32 v[3:4], v[12:13], v[4:5]
	s_delay_alu instid0(VALU_DEP_2) | instskip(NEXT) | instid1(VALU_DEP_2)
	v_add_f64_e32 v[1:2], v[1:2], v[6:7]
	v_add_f64_e32 v[3:4], v[3:4], v[8:9]
	s_wait_loadcnt 0x0
	s_delay_alu instid0(VALU_DEP_2) | instskip(NEXT) | instid1(VALU_DEP_2)
	v_add_f64_e64 v[1:2], v[18:19], -v[1:2]
	v_add_f64_e64 v[3:4], v[20:21], -v[3:4]
	scratch_store_b128 off, v[1:4], off offset:544
	v_cmpx_lt_u32_e32 32, v0
	s_cbranch_execz .LBB47_237
; %bb.236:
	scratch_load_b128 v[1:4], off, s15
	v_mov_b32_e32 v5, 0
	s_delay_alu instid0(VALU_DEP_1)
	v_dual_mov_b32 v6, v5 :: v_dual_mov_b32 v7, v5
	v_mov_b32_e32 v8, v5
	scratch_store_b128 off, v[5:8], off offset:528
	s_wait_loadcnt 0x0
	ds_store_b128 v138, v[1:4]
.LBB47_237:
	s_wait_alu 0xfffe
	s_or_b32 exec_lo, exec_lo, s0
	s_wait_storecnt_dscnt 0x0
	s_barrier_signal -1
	s_barrier_wait -1
	global_inv scope:SCOPE_SE
	s_clause 0x7
	scratch_load_b128 v[2:5], off, off offset:544
	scratch_load_b128 v[6:9], off, off offset:560
	;; [unrolled: 1-line block ×8, first 2 shown]
	v_mov_b32_e32 v1, 0
	s_clause 0x1
	scratch_load_b128 v[38:41], off, off offset:672
	scratch_load_b128 v[143:146], off, off offset:688
	s_mov_b32 s0, exec_lo
	ds_load_b128 v[34:37], v1 offset:1296
	ds_load_b128 v[139:142], v1 offset:1312
	s_wait_loadcnt_dscnt 0x901
	v_mul_f64_e32 v[147:148], v[36:37], v[4:5]
	v_mul_f64_e32 v[4:5], v[34:35], v[4:5]
	s_wait_loadcnt_dscnt 0x800
	v_mul_f64_e32 v[149:150], v[139:140], v[8:9]
	v_mul_f64_e32 v[8:9], v[141:142], v[8:9]
	s_delay_alu instid0(VALU_DEP_4) | instskip(NEXT) | instid1(VALU_DEP_4)
	v_fma_f64 v[147:148], v[34:35], v[2:3], -v[147:148]
	v_fma_f64 v[151:152], v[36:37], v[2:3], v[4:5]
	ds_load_b128 v[2:5], v1 offset:1328
	scratch_load_b128 v[34:37], off, off offset:704
	v_fma_f64 v[149:150], v[141:142], v[6:7], v[149:150]
	v_fma_f64 v[155:156], v[139:140], v[6:7], -v[8:9]
	ds_load_b128 v[6:9], v1 offset:1344
	scratch_load_b128 v[139:142], off, off offset:720
	s_wait_loadcnt_dscnt 0x901
	v_mul_f64_e32 v[153:154], v[2:3], v[12:13]
	v_mul_f64_e32 v[12:13], v[4:5], v[12:13]
	s_wait_loadcnt_dscnt 0x800
	v_mul_f64_e32 v[157:158], v[6:7], v[16:17]
	v_mul_f64_e32 v[16:17], v[8:9], v[16:17]
	v_add_f64_e32 v[147:148], 0, v[147:148]
	v_add_f64_e32 v[151:152], 0, v[151:152]
	v_fma_f64 v[153:154], v[4:5], v[10:11], v[153:154]
	v_fma_f64 v[159:160], v[2:3], v[10:11], -v[12:13]
	ds_load_b128 v[2:5], v1 offset:1360
	scratch_load_b128 v[10:13], off, off offset:736
	v_add_f64_e32 v[147:148], v[147:148], v[155:156]
	v_add_f64_e32 v[149:150], v[151:152], v[149:150]
	v_fma_f64 v[155:156], v[8:9], v[14:15], v[157:158]
	v_fma_f64 v[157:158], v[6:7], v[14:15], -v[16:17]
	ds_load_b128 v[6:9], v1 offset:1376
	scratch_load_b128 v[14:17], off, off offset:752
	s_wait_loadcnt_dscnt 0x901
	v_mul_f64_e32 v[151:152], v[2:3], v[20:21]
	v_mul_f64_e32 v[20:21], v[4:5], v[20:21]
	v_add_f64_e32 v[147:148], v[147:148], v[159:160]
	v_add_f64_e32 v[149:150], v[149:150], v[153:154]
	s_wait_loadcnt_dscnt 0x800
	v_mul_f64_e32 v[153:154], v[6:7], v[24:25]
	v_mul_f64_e32 v[24:25], v[8:9], v[24:25]
	v_fma_f64 v[151:152], v[4:5], v[18:19], v[151:152]
	v_fma_f64 v[159:160], v[2:3], v[18:19], -v[20:21]
	ds_load_b128 v[2:5], v1 offset:1392
	scratch_load_b128 v[18:21], off, off offset:768
	v_add_f64_e32 v[147:148], v[147:148], v[157:158]
	v_add_f64_e32 v[149:150], v[149:150], v[155:156]
	v_fma_f64 v[153:154], v[8:9], v[22:23], v[153:154]
	v_fma_f64 v[22:23], v[6:7], v[22:23], -v[24:25]
	ds_load_b128 v[6:9], v1 offset:1408
	s_wait_loadcnt_dscnt 0x801
	v_mul_f64_e32 v[155:156], v[2:3], v[28:29]
	v_mul_f64_e32 v[28:29], v[4:5], v[28:29]
	v_add_f64_e32 v[24:25], v[147:148], v[159:160]
	v_add_f64_e32 v[147:148], v[149:150], v[151:152]
	s_wait_loadcnt_dscnt 0x700
	v_mul_f64_e32 v[149:150], v[6:7], v[32:33]
	v_mul_f64_e32 v[32:33], v[8:9], v[32:33]
	v_fma_f64 v[151:152], v[4:5], v[26:27], v[155:156]
	v_fma_f64 v[26:27], v[2:3], v[26:27], -v[28:29]
	ds_load_b128 v[2:5], v1 offset:1424
	v_add_f64_e32 v[22:23], v[24:25], v[22:23]
	v_add_f64_e32 v[24:25], v[147:148], v[153:154]
	v_fma_f64 v[147:148], v[8:9], v[30:31], v[149:150]
	v_fma_f64 v[30:31], v[6:7], v[30:31], -v[32:33]
	ds_load_b128 v[6:9], v1 offset:1440
	s_wait_loadcnt_dscnt 0x500
	v_mul_f64_e32 v[149:150], v[6:7], v[145:146]
	v_mul_f64_e32 v[145:146], v[8:9], v[145:146]
	v_add_f64_e32 v[26:27], v[22:23], v[26:27]
	v_add_f64_e32 v[32:33], v[24:25], v[151:152]
	scratch_load_b128 v[22:25], off, off offset:528
	v_mul_f64_e32 v[28:29], v[2:3], v[40:41]
	v_mul_f64_e32 v[40:41], v[4:5], v[40:41]
	v_add_f64_e32 v[26:27], v[26:27], v[30:31]
	v_add_f64_e32 v[30:31], v[32:33], v[147:148]
	s_delay_alu instid0(VALU_DEP_4) | instskip(NEXT) | instid1(VALU_DEP_4)
	v_fma_f64 v[28:29], v[4:5], v[38:39], v[28:29]
	v_fma_f64 v[38:39], v[2:3], v[38:39], -v[40:41]
	ds_load_b128 v[2:5], v1 offset:1456
	v_fma_f64 v[40:41], v[8:9], v[143:144], v[149:150]
	v_fma_f64 v[143:144], v[6:7], v[143:144], -v[145:146]
	ds_load_b128 v[6:9], v1 offset:1472
	s_wait_loadcnt_dscnt 0x501
	v_mul_f64_e32 v[32:33], v[2:3], v[36:37]
	v_mul_f64_e32 v[36:37], v[4:5], v[36:37]
	v_add_f64_e32 v[28:29], v[30:31], v[28:29]
	v_add_f64_e32 v[26:27], v[26:27], v[38:39]
	s_wait_loadcnt_dscnt 0x400
	v_mul_f64_e32 v[30:31], v[6:7], v[141:142]
	v_mul_f64_e32 v[38:39], v[8:9], v[141:142]
	v_fma_f64 v[32:33], v[4:5], v[34:35], v[32:33]
	v_fma_f64 v[34:35], v[2:3], v[34:35], -v[36:37]
	ds_load_b128 v[2:5], v1 offset:1488
	v_add_f64_e32 v[28:29], v[28:29], v[40:41]
	v_add_f64_e32 v[26:27], v[26:27], v[143:144]
	v_fma_f64 v[30:31], v[8:9], v[139:140], v[30:31]
	v_fma_f64 v[38:39], v[6:7], v[139:140], -v[38:39]
	ds_load_b128 v[6:9], v1 offset:1504
	s_wait_loadcnt_dscnt 0x301
	v_mul_f64_e32 v[36:37], v[2:3], v[12:13]
	v_mul_f64_e32 v[12:13], v[4:5], v[12:13]
	v_add_f64_e32 v[28:29], v[28:29], v[32:33]
	v_add_f64_e32 v[26:27], v[26:27], v[34:35]
	s_wait_loadcnt_dscnt 0x200
	v_mul_f64_e32 v[32:33], v[6:7], v[16:17]
	v_mul_f64_e32 v[16:17], v[8:9], v[16:17]
	v_fma_f64 v[34:35], v[4:5], v[10:11], v[36:37]
	v_fma_f64 v[10:11], v[2:3], v[10:11], -v[12:13]
	ds_load_b128 v[2:5], v1 offset:1520
	v_add_f64_e32 v[12:13], v[26:27], v[38:39]
	v_add_f64_e32 v[26:27], v[28:29], v[30:31]
	s_wait_loadcnt_dscnt 0x100
	v_mul_f64_e32 v[28:29], v[2:3], v[20:21]
	v_mul_f64_e32 v[20:21], v[4:5], v[20:21]
	v_fma_f64 v[8:9], v[8:9], v[14:15], v[32:33]
	v_fma_f64 v[6:7], v[6:7], v[14:15], -v[16:17]
	v_add_f64_e32 v[10:11], v[12:13], v[10:11]
	v_add_f64_e32 v[12:13], v[26:27], v[34:35]
	v_fma_f64 v[4:5], v[4:5], v[18:19], v[28:29]
	v_fma_f64 v[2:3], v[2:3], v[18:19], -v[20:21]
	s_delay_alu instid0(VALU_DEP_4) | instskip(NEXT) | instid1(VALU_DEP_4)
	v_add_f64_e32 v[6:7], v[10:11], v[6:7]
	v_add_f64_e32 v[8:9], v[12:13], v[8:9]
	s_delay_alu instid0(VALU_DEP_2) | instskip(NEXT) | instid1(VALU_DEP_2)
	v_add_f64_e32 v[2:3], v[6:7], v[2:3]
	v_add_f64_e32 v[4:5], v[8:9], v[4:5]
	s_wait_loadcnt 0x0
	s_delay_alu instid0(VALU_DEP_2) | instskip(NEXT) | instid1(VALU_DEP_2)
	v_add_f64_e64 v[2:3], v[22:23], -v[2:3]
	v_add_f64_e64 v[4:5], v[24:25], -v[4:5]
	scratch_store_b128 off, v[2:5], off offset:528
	v_cmpx_lt_u32_e32 31, v0
	s_cbranch_execz .LBB47_239
; %bb.238:
	scratch_load_b128 v[5:8], off, s14
	v_dual_mov_b32 v2, v1 :: v_dual_mov_b32 v3, v1
	v_mov_b32_e32 v4, v1
	scratch_store_b128 off, v[1:4], off offset:512
	s_wait_loadcnt 0x0
	ds_store_b128 v138, v[5:8]
.LBB47_239:
	s_wait_alu 0xfffe
	s_or_b32 exec_lo, exec_lo, s0
	s_wait_storecnt_dscnt 0x0
	s_barrier_signal -1
	s_barrier_wait -1
	global_inv scope:SCOPE_SE
	s_clause 0x7
	scratch_load_b128 v[2:5], off, off offset:528
	scratch_load_b128 v[6:9], off, off offset:544
	;; [unrolled: 1-line block ×8, first 2 shown]
	ds_load_b128 v[34:37], v1 offset:1280
	ds_load_b128 v[139:142], v1 offset:1296
	s_clause 0x1
	scratch_load_b128 v[38:41], off, off offset:656
	scratch_load_b128 v[143:146], off, off offset:672
	s_mov_b32 s0, exec_lo
	s_wait_loadcnt_dscnt 0x901
	v_mul_f64_e32 v[147:148], v[36:37], v[4:5]
	v_mul_f64_e32 v[4:5], v[34:35], v[4:5]
	s_wait_loadcnt_dscnt 0x800
	v_mul_f64_e32 v[149:150], v[139:140], v[8:9]
	v_mul_f64_e32 v[8:9], v[141:142], v[8:9]
	s_delay_alu instid0(VALU_DEP_4) | instskip(NEXT) | instid1(VALU_DEP_4)
	v_fma_f64 v[147:148], v[34:35], v[2:3], -v[147:148]
	v_fma_f64 v[151:152], v[36:37], v[2:3], v[4:5]
	ds_load_b128 v[2:5], v1 offset:1312
	scratch_load_b128 v[34:37], off, off offset:688
	v_fma_f64 v[149:150], v[141:142], v[6:7], v[149:150]
	v_fma_f64 v[155:156], v[139:140], v[6:7], -v[8:9]
	ds_load_b128 v[6:9], v1 offset:1328
	scratch_load_b128 v[139:142], off, off offset:704
	s_wait_loadcnt_dscnt 0x901
	v_mul_f64_e32 v[153:154], v[2:3], v[12:13]
	v_mul_f64_e32 v[12:13], v[4:5], v[12:13]
	s_wait_loadcnt_dscnt 0x800
	v_mul_f64_e32 v[157:158], v[6:7], v[16:17]
	v_mul_f64_e32 v[16:17], v[8:9], v[16:17]
	v_add_f64_e32 v[147:148], 0, v[147:148]
	v_add_f64_e32 v[151:152], 0, v[151:152]
	v_fma_f64 v[153:154], v[4:5], v[10:11], v[153:154]
	v_fma_f64 v[159:160], v[2:3], v[10:11], -v[12:13]
	ds_load_b128 v[2:5], v1 offset:1344
	scratch_load_b128 v[10:13], off, off offset:720
	v_add_f64_e32 v[147:148], v[147:148], v[155:156]
	v_add_f64_e32 v[149:150], v[151:152], v[149:150]
	v_fma_f64 v[155:156], v[8:9], v[14:15], v[157:158]
	v_fma_f64 v[157:158], v[6:7], v[14:15], -v[16:17]
	ds_load_b128 v[6:9], v1 offset:1360
	scratch_load_b128 v[14:17], off, off offset:736
	s_wait_loadcnt_dscnt 0x901
	v_mul_f64_e32 v[151:152], v[2:3], v[20:21]
	v_mul_f64_e32 v[20:21], v[4:5], v[20:21]
	v_add_f64_e32 v[147:148], v[147:148], v[159:160]
	v_add_f64_e32 v[149:150], v[149:150], v[153:154]
	s_wait_loadcnt_dscnt 0x800
	v_mul_f64_e32 v[153:154], v[6:7], v[24:25]
	v_mul_f64_e32 v[24:25], v[8:9], v[24:25]
	v_fma_f64 v[151:152], v[4:5], v[18:19], v[151:152]
	v_fma_f64 v[159:160], v[2:3], v[18:19], -v[20:21]
	ds_load_b128 v[2:5], v1 offset:1376
	scratch_load_b128 v[18:21], off, off offset:752
	v_add_f64_e32 v[147:148], v[147:148], v[157:158]
	v_add_f64_e32 v[149:150], v[149:150], v[155:156]
	v_fma_f64 v[153:154], v[8:9], v[22:23], v[153:154]
	v_fma_f64 v[157:158], v[6:7], v[22:23], -v[24:25]
	ds_load_b128 v[6:9], v1 offset:1392
	s_wait_loadcnt_dscnt 0x801
	v_mul_f64_e32 v[155:156], v[2:3], v[28:29]
	v_mul_f64_e32 v[28:29], v[4:5], v[28:29]
	scratch_load_b128 v[22:25], off, off offset:768
	v_add_f64_e32 v[147:148], v[147:148], v[159:160]
	v_add_f64_e32 v[149:150], v[149:150], v[151:152]
	s_wait_loadcnt_dscnt 0x800
	v_mul_f64_e32 v[151:152], v[6:7], v[32:33]
	v_mul_f64_e32 v[32:33], v[8:9], v[32:33]
	v_fma_f64 v[155:156], v[4:5], v[26:27], v[155:156]
	v_fma_f64 v[26:27], v[2:3], v[26:27], -v[28:29]
	ds_load_b128 v[2:5], v1 offset:1408
	v_add_f64_e32 v[28:29], v[147:148], v[157:158]
	v_add_f64_e32 v[147:148], v[149:150], v[153:154]
	v_fma_f64 v[151:152], v[8:9], v[30:31], v[151:152]
	v_fma_f64 v[30:31], v[6:7], v[30:31], -v[32:33]
	ds_load_b128 v[6:9], v1 offset:1424
	s_wait_loadcnt_dscnt 0x701
	v_mul_f64_e32 v[149:150], v[2:3], v[40:41]
	v_mul_f64_e32 v[40:41], v[4:5], v[40:41]
	v_add_f64_e32 v[26:27], v[28:29], v[26:27]
	v_add_f64_e32 v[28:29], v[147:148], v[155:156]
	s_delay_alu instid0(VALU_DEP_4) | instskip(NEXT) | instid1(VALU_DEP_4)
	v_fma_f64 v[147:148], v[4:5], v[38:39], v[149:150]
	v_fma_f64 v[38:39], v[2:3], v[38:39], -v[40:41]
	ds_load_b128 v[2:5], v1 offset:1440
	v_add_f64_e32 v[30:31], v[26:27], v[30:31]
	v_add_f64_e32 v[40:41], v[28:29], v[151:152]
	scratch_load_b128 v[26:29], off, off offset:512
	s_wait_loadcnt_dscnt 0x701
	v_mul_f64_e32 v[32:33], v[6:7], v[145:146]
	v_mul_f64_e32 v[145:146], v[8:9], v[145:146]
	v_add_f64_e32 v[30:31], v[30:31], v[38:39]
	v_add_f64_e32 v[38:39], v[40:41], v[147:148]
	s_delay_alu instid0(VALU_DEP_4) | instskip(NEXT) | instid1(VALU_DEP_4)
	v_fma_f64 v[32:33], v[8:9], v[143:144], v[32:33]
	v_fma_f64 v[143:144], v[6:7], v[143:144], -v[145:146]
	ds_load_b128 v[6:9], v1 offset:1456
	s_wait_loadcnt_dscnt 0x601
	v_mul_f64_e32 v[149:150], v[2:3], v[36:37]
	v_mul_f64_e32 v[36:37], v[4:5], v[36:37]
	s_wait_loadcnt_dscnt 0x500
	v_mul_f64_e32 v[40:41], v[6:7], v[141:142]
	v_mul_f64_e32 v[141:142], v[8:9], v[141:142]
	v_add_f64_e32 v[32:33], v[38:39], v[32:33]
	v_add_f64_e32 v[30:31], v[30:31], v[143:144]
	v_fma_f64 v[145:146], v[4:5], v[34:35], v[149:150]
	v_fma_f64 v[34:35], v[2:3], v[34:35], -v[36:37]
	ds_load_b128 v[2:5], v1 offset:1472
	v_fma_f64 v[38:39], v[8:9], v[139:140], v[40:41]
	v_fma_f64 v[40:41], v[6:7], v[139:140], -v[141:142]
	ds_load_b128 v[6:9], v1 offset:1488
	s_wait_loadcnt_dscnt 0x401
	v_mul_f64_e32 v[36:37], v[2:3], v[12:13]
	v_mul_f64_e32 v[12:13], v[4:5], v[12:13]
	v_add_f64_e32 v[32:33], v[32:33], v[145:146]
	v_add_f64_e32 v[30:31], v[30:31], v[34:35]
	s_wait_loadcnt_dscnt 0x300
	v_mul_f64_e32 v[34:35], v[6:7], v[16:17]
	v_mul_f64_e32 v[16:17], v[8:9], v[16:17]
	v_fma_f64 v[36:37], v[4:5], v[10:11], v[36:37]
	v_fma_f64 v[10:11], v[2:3], v[10:11], -v[12:13]
	ds_load_b128 v[2:5], v1 offset:1504
	v_add_f64_e32 v[12:13], v[30:31], v[40:41]
	v_add_f64_e32 v[30:31], v[32:33], v[38:39]
	v_fma_f64 v[34:35], v[8:9], v[14:15], v[34:35]
	v_fma_f64 v[14:15], v[6:7], v[14:15], -v[16:17]
	ds_load_b128 v[6:9], v1 offset:1520
	s_wait_loadcnt_dscnt 0x201
	v_mul_f64_e32 v[32:33], v[2:3], v[20:21]
	v_mul_f64_e32 v[20:21], v[4:5], v[20:21]
	s_wait_loadcnt_dscnt 0x100
	v_mul_f64_e32 v[16:17], v[6:7], v[24:25]
	v_mul_f64_e32 v[24:25], v[8:9], v[24:25]
	v_add_f64_e32 v[10:11], v[12:13], v[10:11]
	v_add_f64_e32 v[12:13], v[30:31], v[36:37]
	v_fma_f64 v[4:5], v[4:5], v[18:19], v[32:33]
	v_fma_f64 v[1:2], v[2:3], v[18:19], -v[20:21]
	v_fma_f64 v[8:9], v[8:9], v[22:23], v[16:17]
	v_fma_f64 v[6:7], v[6:7], v[22:23], -v[24:25]
	v_add_f64_e32 v[10:11], v[10:11], v[14:15]
	v_add_f64_e32 v[12:13], v[12:13], v[34:35]
	s_delay_alu instid0(VALU_DEP_2) | instskip(NEXT) | instid1(VALU_DEP_2)
	v_add_f64_e32 v[1:2], v[10:11], v[1:2]
	v_add_f64_e32 v[3:4], v[12:13], v[4:5]
	s_delay_alu instid0(VALU_DEP_2) | instskip(NEXT) | instid1(VALU_DEP_2)
	v_add_f64_e32 v[1:2], v[1:2], v[6:7]
	v_add_f64_e32 v[3:4], v[3:4], v[8:9]
	s_wait_loadcnt 0x0
	s_delay_alu instid0(VALU_DEP_2) | instskip(NEXT) | instid1(VALU_DEP_2)
	v_add_f64_e64 v[1:2], v[26:27], -v[1:2]
	v_add_f64_e64 v[3:4], v[28:29], -v[3:4]
	scratch_store_b128 off, v[1:4], off offset:512
	v_cmpx_lt_u32_e32 30, v0
	s_cbranch_execz .LBB47_241
; %bb.240:
	scratch_load_b128 v[1:4], off, s20
	v_mov_b32_e32 v5, 0
	s_delay_alu instid0(VALU_DEP_1)
	v_dual_mov_b32 v6, v5 :: v_dual_mov_b32 v7, v5
	v_mov_b32_e32 v8, v5
	scratch_store_b128 off, v[5:8], off offset:496
	s_wait_loadcnt 0x0
	ds_store_b128 v138, v[1:4]
.LBB47_241:
	s_wait_alu 0xfffe
	s_or_b32 exec_lo, exec_lo, s0
	s_wait_storecnt_dscnt 0x0
	s_barrier_signal -1
	s_barrier_wait -1
	global_inv scope:SCOPE_SE
	s_clause 0x7
	scratch_load_b128 v[2:5], off, off offset:512
	scratch_load_b128 v[6:9], off, off offset:528
	;; [unrolled: 1-line block ×8, first 2 shown]
	v_mov_b32_e32 v1, 0
	s_clause 0x1
	scratch_load_b128 v[38:41], off, off offset:640
	scratch_load_b128 v[143:146], off, off offset:656
	s_mov_b32 s0, exec_lo
	ds_load_b128 v[34:37], v1 offset:1264
	ds_load_b128 v[139:142], v1 offset:1280
	s_wait_loadcnt_dscnt 0x901
	v_mul_f64_e32 v[147:148], v[36:37], v[4:5]
	v_mul_f64_e32 v[4:5], v[34:35], v[4:5]
	s_wait_loadcnt_dscnt 0x800
	v_mul_f64_e32 v[149:150], v[139:140], v[8:9]
	v_mul_f64_e32 v[8:9], v[141:142], v[8:9]
	s_delay_alu instid0(VALU_DEP_4) | instskip(NEXT) | instid1(VALU_DEP_4)
	v_fma_f64 v[147:148], v[34:35], v[2:3], -v[147:148]
	v_fma_f64 v[151:152], v[36:37], v[2:3], v[4:5]
	ds_load_b128 v[2:5], v1 offset:1296
	scratch_load_b128 v[34:37], off, off offset:672
	v_fma_f64 v[149:150], v[141:142], v[6:7], v[149:150]
	v_fma_f64 v[155:156], v[139:140], v[6:7], -v[8:9]
	ds_load_b128 v[6:9], v1 offset:1312
	scratch_load_b128 v[139:142], off, off offset:688
	s_wait_loadcnt_dscnt 0x901
	v_mul_f64_e32 v[153:154], v[2:3], v[12:13]
	v_mul_f64_e32 v[12:13], v[4:5], v[12:13]
	s_wait_loadcnt_dscnt 0x800
	v_mul_f64_e32 v[157:158], v[6:7], v[16:17]
	v_mul_f64_e32 v[16:17], v[8:9], v[16:17]
	v_add_f64_e32 v[147:148], 0, v[147:148]
	v_add_f64_e32 v[151:152], 0, v[151:152]
	v_fma_f64 v[153:154], v[4:5], v[10:11], v[153:154]
	v_fma_f64 v[159:160], v[2:3], v[10:11], -v[12:13]
	ds_load_b128 v[2:5], v1 offset:1328
	scratch_load_b128 v[10:13], off, off offset:704
	v_add_f64_e32 v[147:148], v[147:148], v[155:156]
	v_add_f64_e32 v[149:150], v[151:152], v[149:150]
	v_fma_f64 v[155:156], v[8:9], v[14:15], v[157:158]
	v_fma_f64 v[157:158], v[6:7], v[14:15], -v[16:17]
	ds_load_b128 v[6:9], v1 offset:1344
	scratch_load_b128 v[14:17], off, off offset:720
	s_wait_loadcnt_dscnt 0x901
	v_mul_f64_e32 v[151:152], v[2:3], v[20:21]
	v_mul_f64_e32 v[20:21], v[4:5], v[20:21]
	v_add_f64_e32 v[147:148], v[147:148], v[159:160]
	v_add_f64_e32 v[149:150], v[149:150], v[153:154]
	s_wait_loadcnt_dscnt 0x800
	v_mul_f64_e32 v[153:154], v[6:7], v[24:25]
	v_mul_f64_e32 v[24:25], v[8:9], v[24:25]
	v_fma_f64 v[151:152], v[4:5], v[18:19], v[151:152]
	v_fma_f64 v[159:160], v[2:3], v[18:19], -v[20:21]
	ds_load_b128 v[2:5], v1 offset:1360
	scratch_load_b128 v[18:21], off, off offset:736
	v_add_f64_e32 v[147:148], v[147:148], v[157:158]
	v_add_f64_e32 v[149:150], v[149:150], v[155:156]
	v_fma_f64 v[153:154], v[8:9], v[22:23], v[153:154]
	v_fma_f64 v[157:158], v[6:7], v[22:23], -v[24:25]
	ds_load_b128 v[6:9], v1 offset:1376
	s_wait_loadcnt_dscnt 0x801
	v_mul_f64_e32 v[155:156], v[2:3], v[28:29]
	v_mul_f64_e32 v[28:29], v[4:5], v[28:29]
	scratch_load_b128 v[22:25], off, off offset:752
	v_add_f64_e32 v[147:148], v[147:148], v[159:160]
	v_add_f64_e32 v[149:150], v[149:150], v[151:152]
	s_wait_loadcnt_dscnt 0x800
	v_mul_f64_e32 v[151:152], v[6:7], v[32:33]
	v_mul_f64_e32 v[32:33], v[8:9], v[32:33]
	v_fma_f64 v[155:156], v[4:5], v[26:27], v[155:156]
	v_fma_f64 v[159:160], v[2:3], v[26:27], -v[28:29]
	ds_load_b128 v[2:5], v1 offset:1392
	scratch_load_b128 v[26:29], off, off offset:768
	v_add_f64_e32 v[147:148], v[147:148], v[157:158]
	v_add_f64_e32 v[149:150], v[149:150], v[153:154]
	v_fma_f64 v[151:152], v[8:9], v[30:31], v[151:152]
	v_fma_f64 v[30:31], v[6:7], v[30:31], -v[32:33]
	ds_load_b128 v[6:9], v1 offset:1408
	s_wait_loadcnt_dscnt 0x801
	v_mul_f64_e32 v[153:154], v[2:3], v[40:41]
	v_mul_f64_e32 v[40:41], v[4:5], v[40:41]
	v_add_f64_e32 v[32:33], v[147:148], v[159:160]
	v_add_f64_e32 v[147:148], v[149:150], v[155:156]
	s_wait_loadcnt_dscnt 0x700
	v_mul_f64_e32 v[149:150], v[6:7], v[145:146]
	v_mul_f64_e32 v[145:146], v[8:9], v[145:146]
	v_fma_f64 v[153:154], v[4:5], v[38:39], v[153:154]
	v_fma_f64 v[38:39], v[2:3], v[38:39], -v[40:41]
	ds_load_b128 v[2:5], v1 offset:1424
	v_add_f64_e32 v[30:31], v[32:33], v[30:31]
	v_add_f64_e32 v[32:33], v[147:148], v[151:152]
	v_fma_f64 v[147:148], v[8:9], v[143:144], v[149:150]
	v_fma_f64 v[143:144], v[6:7], v[143:144], -v[145:146]
	ds_load_b128 v[6:9], v1 offset:1440
	s_wait_loadcnt_dscnt 0x500
	v_mul_f64_e32 v[149:150], v[6:7], v[141:142]
	v_mul_f64_e32 v[141:142], v[8:9], v[141:142]
	v_add_f64_e32 v[38:39], v[30:31], v[38:39]
	v_add_f64_e32 v[145:146], v[32:33], v[153:154]
	scratch_load_b128 v[30:33], off, off offset:496
	v_mul_f64_e32 v[40:41], v[2:3], v[36:37]
	v_mul_f64_e32 v[36:37], v[4:5], v[36:37]
	s_delay_alu instid0(VALU_DEP_2) | instskip(NEXT) | instid1(VALU_DEP_2)
	v_fma_f64 v[40:41], v[4:5], v[34:35], v[40:41]
	v_fma_f64 v[34:35], v[2:3], v[34:35], -v[36:37]
	v_add_f64_e32 v[36:37], v[38:39], v[143:144]
	v_add_f64_e32 v[38:39], v[145:146], v[147:148]
	ds_load_b128 v[2:5], v1 offset:1456
	v_fma_f64 v[145:146], v[8:9], v[139:140], v[149:150]
	v_fma_f64 v[139:140], v[6:7], v[139:140], -v[141:142]
	ds_load_b128 v[6:9], v1 offset:1472
	s_wait_loadcnt_dscnt 0x501
	v_mul_f64_e32 v[143:144], v[2:3], v[12:13]
	v_mul_f64_e32 v[12:13], v[4:5], v[12:13]
	v_add_f64_e32 v[34:35], v[36:37], v[34:35]
	v_add_f64_e32 v[36:37], v[38:39], v[40:41]
	s_wait_loadcnt_dscnt 0x400
	v_mul_f64_e32 v[38:39], v[6:7], v[16:17]
	v_mul_f64_e32 v[16:17], v[8:9], v[16:17]
	v_fma_f64 v[40:41], v[4:5], v[10:11], v[143:144]
	v_fma_f64 v[10:11], v[2:3], v[10:11], -v[12:13]
	ds_load_b128 v[2:5], v1 offset:1488
	v_add_f64_e32 v[12:13], v[34:35], v[139:140]
	v_add_f64_e32 v[34:35], v[36:37], v[145:146]
	v_fma_f64 v[38:39], v[8:9], v[14:15], v[38:39]
	v_fma_f64 v[14:15], v[6:7], v[14:15], -v[16:17]
	ds_load_b128 v[6:9], v1 offset:1504
	s_wait_loadcnt_dscnt 0x301
	v_mul_f64_e32 v[36:37], v[2:3], v[20:21]
	v_mul_f64_e32 v[20:21], v[4:5], v[20:21]
	s_wait_loadcnt_dscnt 0x200
	v_mul_f64_e32 v[16:17], v[6:7], v[24:25]
	v_mul_f64_e32 v[24:25], v[8:9], v[24:25]
	v_add_f64_e32 v[10:11], v[12:13], v[10:11]
	v_add_f64_e32 v[12:13], v[34:35], v[40:41]
	v_fma_f64 v[34:35], v[4:5], v[18:19], v[36:37]
	v_fma_f64 v[18:19], v[2:3], v[18:19], -v[20:21]
	ds_load_b128 v[2:5], v1 offset:1520
	v_fma_f64 v[8:9], v[8:9], v[22:23], v[16:17]
	v_fma_f64 v[6:7], v[6:7], v[22:23], -v[24:25]
	s_wait_loadcnt_dscnt 0x100
	v_mul_f64_e32 v[20:21], v[4:5], v[28:29]
	v_add_f64_e32 v[10:11], v[10:11], v[14:15]
	v_add_f64_e32 v[12:13], v[12:13], v[38:39]
	v_mul_f64_e32 v[14:15], v[2:3], v[28:29]
	s_delay_alu instid0(VALU_DEP_4) | instskip(NEXT) | instid1(VALU_DEP_4)
	v_fma_f64 v[2:3], v[2:3], v[26:27], -v[20:21]
	v_add_f64_e32 v[10:11], v[10:11], v[18:19]
	s_delay_alu instid0(VALU_DEP_4) | instskip(NEXT) | instid1(VALU_DEP_4)
	v_add_f64_e32 v[12:13], v[12:13], v[34:35]
	v_fma_f64 v[4:5], v[4:5], v[26:27], v[14:15]
	s_delay_alu instid0(VALU_DEP_3) | instskip(NEXT) | instid1(VALU_DEP_3)
	v_add_f64_e32 v[6:7], v[10:11], v[6:7]
	v_add_f64_e32 v[8:9], v[12:13], v[8:9]
	s_delay_alu instid0(VALU_DEP_2) | instskip(NEXT) | instid1(VALU_DEP_2)
	v_add_f64_e32 v[2:3], v[6:7], v[2:3]
	v_add_f64_e32 v[4:5], v[8:9], v[4:5]
	s_wait_loadcnt 0x0
	s_delay_alu instid0(VALU_DEP_2) | instskip(NEXT) | instid1(VALU_DEP_2)
	v_add_f64_e64 v[2:3], v[30:31], -v[2:3]
	v_add_f64_e64 v[4:5], v[32:33], -v[4:5]
	scratch_store_b128 off, v[2:5], off offset:496
	v_cmpx_lt_u32_e32 29, v0
	s_cbranch_execz .LBB47_243
; %bb.242:
	scratch_load_b128 v[5:8], off, s19
	v_dual_mov_b32 v2, v1 :: v_dual_mov_b32 v3, v1
	v_mov_b32_e32 v4, v1
	scratch_store_b128 off, v[1:4], off offset:480
	s_wait_loadcnt 0x0
	ds_store_b128 v138, v[5:8]
.LBB47_243:
	s_wait_alu 0xfffe
	s_or_b32 exec_lo, exec_lo, s0
	s_wait_storecnt_dscnt 0x0
	s_barrier_signal -1
	s_barrier_wait -1
	global_inv scope:SCOPE_SE
	s_clause 0x7
	scratch_load_b128 v[2:5], off, off offset:496
	scratch_load_b128 v[6:9], off, off offset:512
	;; [unrolled: 1-line block ×8, first 2 shown]
	ds_load_b128 v[34:37], v1 offset:1248
	ds_load_b128 v[139:142], v1 offset:1264
	s_clause 0x1
	scratch_load_b128 v[38:41], off, off offset:624
	scratch_load_b128 v[143:146], off, off offset:640
	s_mov_b32 s0, exec_lo
	s_wait_loadcnt_dscnt 0x901
	v_mul_f64_e32 v[147:148], v[36:37], v[4:5]
	v_mul_f64_e32 v[4:5], v[34:35], v[4:5]
	s_wait_loadcnt_dscnt 0x800
	v_mul_f64_e32 v[149:150], v[139:140], v[8:9]
	v_mul_f64_e32 v[8:9], v[141:142], v[8:9]
	s_delay_alu instid0(VALU_DEP_4) | instskip(NEXT) | instid1(VALU_DEP_4)
	v_fma_f64 v[147:148], v[34:35], v[2:3], -v[147:148]
	v_fma_f64 v[151:152], v[36:37], v[2:3], v[4:5]
	scratch_load_b128 v[34:37], off, off offset:656
	ds_load_b128 v[2:5], v1 offset:1280
	v_fma_f64 v[149:150], v[141:142], v[6:7], v[149:150]
	v_fma_f64 v[155:156], v[139:140], v[6:7], -v[8:9]
	ds_load_b128 v[6:9], v1 offset:1296
	scratch_load_b128 v[139:142], off, off offset:672
	s_wait_loadcnt_dscnt 0x901
	v_mul_f64_e32 v[153:154], v[2:3], v[12:13]
	v_mul_f64_e32 v[12:13], v[4:5], v[12:13]
	s_wait_loadcnt_dscnt 0x800
	v_mul_f64_e32 v[157:158], v[6:7], v[16:17]
	v_mul_f64_e32 v[16:17], v[8:9], v[16:17]
	v_add_f64_e32 v[147:148], 0, v[147:148]
	v_add_f64_e32 v[151:152], 0, v[151:152]
	v_fma_f64 v[153:154], v[4:5], v[10:11], v[153:154]
	v_fma_f64 v[159:160], v[2:3], v[10:11], -v[12:13]
	ds_load_b128 v[2:5], v1 offset:1312
	scratch_load_b128 v[10:13], off, off offset:688
	v_add_f64_e32 v[147:148], v[147:148], v[155:156]
	v_add_f64_e32 v[149:150], v[151:152], v[149:150]
	v_fma_f64 v[155:156], v[8:9], v[14:15], v[157:158]
	v_fma_f64 v[157:158], v[6:7], v[14:15], -v[16:17]
	ds_load_b128 v[6:9], v1 offset:1328
	scratch_load_b128 v[14:17], off, off offset:704
	s_wait_loadcnt_dscnt 0x901
	v_mul_f64_e32 v[151:152], v[2:3], v[20:21]
	v_mul_f64_e32 v[20:21], v[4:5], v[20:21]
	v_add_f64_e32 v[147:148], v[147:148], v[159:160]
	v_add_f64_e32 v[149:150], v[149:150], v[153:154]
	s_wait_loadcnt_dscnt 0x800
	v_mul_f64_e32 v[153:154], v[6:7], v[24:25]
	v_mul_f64_e32 v[24:25], v[8:9], v[24:25]
	v_fma_f64 v[151:152], v[4:5], v[18:19], v[151:152]
	v_fma_f64 v[159:160], v[2:3], v[18:19], -v[20:21]
	ds_load_b128 v[2:5], v1 offset:1344
	scratch_load_b128 v[18:21], off, off offset:720
	v_add_f64_e32 v[147:148], v[147:148], v[157:158]
	v_add_f64_e32 v[149:150], v[149:150], v[155:156]
	v_fma_f64 v[153:154], v[8:9], v[22:23], v[153:154]
	v_fma_f64 v[157:158], v[6:7], v[22:23], -v[24:25]
	ds_load_b128 v[6:9], v1 offset:1360
	s_wait_loadcnt_dscnt 0x801
	v_mul_f64_e32 v[155:156], v[2:3], v[28:29]
	v_mul_f64_e32 v[28:29], v[4:5], v[28:29]
	scratch_load_b128 v[22:25], off, off offset:736
	v_add_f64_e32 v[147:148], v[147:148], v[159:160]
	v_add_f64_e32 v[149:150], v[149:150], v[151:152]
	s_wait_loadcnt_dscnt 0x800
	v_mul_f64_e32 v[151:152], v[6:7], v[32:33]
	v_mul_f64_e32 v[32:33], v[8:9], v[32:33]
	v_fma_f64 v[155:156], v[4:5], v[26:27], v[155:156]
	v_fma_f64 v[159:160], v[2:3], v[26:27], -v[28:29]
	ds_load_b128 v[2:5], v1 offset:1376
	scratch_load_b128 v[26:29], off, off offset:752
	v_add_f64_e32 v[147:148], v[147:148], v[157:158]
	v_add_f64_e32 v[149:150], v[149:150], v[153:154]
	v_fma_f64 v[151:152], v[8:9], v[30:31], v[151:152]
	v_fma_f64 v[157:158], v[6:7], v[30:31], -v[32:33]
	ds_load_b128 v[6:9], v1 offset:1392
	s_wait_loadcnt_dscnt 0x801
	v_mul_f64_e32 v[153:154], v[2:3], v[40:41]
	v_mul_f64_e32 v[40:41], v[4:5], v[40:41]
	scratch_load_b128 v[30:33], off, off offset:768
	v_add_f64_e32 v[147:148], v[147:148], v[159:160]
	v_add_f64_e32 v[149:150], v[149:150], v[155:156]
	v_fma_f64 v[153:154], v[4:5], v[38:39], v[153:154]
	v_fma_f64 v[38:39], v[2:3], v[38:39], -v[40:41]
	ds_load_b128 v[2:5], v1 offset:1408
	v_add_f64_e32 v[40:41], v[147:148], v[157:158]
	v_add_f64_e32 v[147:148], v[149:150], v[151:152]
	s_wait_loadcnt_dscnt 0x700
	v_mul_f64_e32 v[149:150], v[2:3], v[36:37]
	v_mul_f64_e32 v[36:37], v[4:5], v[36:37]
	s_delay_alu instid0(VALU_DEP_4) | instskip(NEXT) | instid1(VALU_DEP_4)
	v_add_f64_e32 v[38:39], v[40:41], v[38:39]
	v_add_f64_e32 v[40:41], v[147:148], v[153:154]
	s_delay_alu instid0(VALU_DEP_4) | instskip(NEXT) | instid1(VALU_DEP_4)
	v_fma_f64 v[147:148], v[4:5], v[34:35], v[149:150]
	v_fma_f64 v[149:150], v[2:3], v[34:35], -v[36:37]
	scratch_load_b128 v[34:37], off, off offset:480
	v_mul_f64_e32 v[155:156], v[6:7], v[145:146]
	v_mul_f64_e32 v[145:146], v[8:9], v[145:146]
	ds_load_b128 v[2:5], v1 offset:1440
	v_fma_f64 v[151:152], v[8:9], v[143:144], v[155:156]
	v_fma_f64 v[143:144], v[6:7], v[143:144], -v[145:146]
	ds_load_b128 v[6:9], v1 offset:1424
	s_wait_loadcnt_dscnt 0x700
	v_mul_f64_e32 v[145:146], v[6:7], v[141:142]
	v_mul_f64_e32 v[141:142], v[8:9], v[141:142]
	v_add_f64_e32 v[40:41], v[40:41], v[151:152]
	v_add_f64_e32 v[38:39], v[38:39], v[143:144]
	s_wait_loadcnt 0x6
	v_mul_f64_e32 v[143:144], v[2:3], v[12:13]
	v_mul_f64_e32 v[12:13], v[4:5], v[12:13]
	v_fma_f64 v[145:146], v[8:9], v[139:140], v[145:146]
	v_fma_f64 v[139:140], v[6:7], v[139:140], -v[141:142]
	ds_load_b128 v[6:9], v1 offset:1456
	v_add_f64_e32 v[40:41], v[40:41], v[147:148]
	v_add_f64_e32 v[38:39], v[38:39], v[149:150]
	v_fma_f64 v[143:144], v[4:5], v[10:11], v[143:144]
	v_fma_f64 v[10:11], v[2:3], v[10:11], -v[12:13]
	ds_load_b128 v[2:5], v1 offset:1472
	s_wait_loadcnt_dscnt 0x501
	v_mul_f64_e32 v[141:142], v[6:7], v[16:17]
	v_mul_f64_e32 v[16:17], v[8:9], v[16:17]
	v_add_f64_e32 v[12:13], v[38:39], v[139:140]
	v_add_f64_e32 v[38:39], v[40:41], v[145:146]
	s_wait_loadcnt_dscnt 0x400
	v_mul_f64_e32 v[40:41], v[2:3], v[20:21]
	v_mul_f64_e32 v[20:21], v[4:5], v[20:21]
	v_fma_f64 v[139:140], v[8:9], v[14:15], v[141:142]
	v_fma_f64 v[14:15], v[6:7], v[14:15], -v[16:17]
	ds_load_b128 v[6:9], v1 offset:1488
	v_add_f64_e32 v[10:11], v[12:13], v[10:11]
	v_add_f64_e32 v[12:13], v[38:39], v[143:144]
	v_fma_f64 v[38:39], v[4:5], v[18:19], v[40:41]
	v_fma_f64 v[18:19], v[2:3], v[18:19], -v[20:21]
	ds_load_b128 v[2:5], v1 offset:1504
	s_wait_loadcnt_dscnt 0x301
	v_mul_f64_e32 v[16:17], v[6:7], v[24:25]
	v_mul_f64_e32 v[24:25], v[8:9], v[24:25]
	s_wait_loadcnt_dscnt 0x200
	v_mul_f64_e32 v[20:21], v[4:5], v[28:29]
	v_add_f64_e32 v[10:11], v[10:11], v[14:15]
	v_add_f64_e32 v[12:13], v[12:13], v[139:140]
	v_mul_f64_e32 v[14:15], v[2:3], v[28:29]
	v_fma_f64 v[16:17], v[8:9], v[22:23], v[16:17]
	v_fma_f64 v[22:23], v[6:7], v[22:23], -v[24:25]
	ds_load_b128 v[6:9], v1 offset:1520
	v_fma_f64 v[1:2], v[2:3], v[26:27], -v[20:21]
	s_wait_loadcnt_dscnt 0x100
	v_mul_f64_e32 v[24:25], v[8:9], v[32:33]
	v_add_f64_e32 v[10:11], v[10:11], v[18:19]
	v_add_f64_e32 v[12:13], v[12:13], v[38:39]
	v_mul_f64_e32 v[18:19], v[6:7], v[32:33]
	v_fma_f64 v[4:5], v[4:5], v[26:27], v[14:15]
	v_fma_f64 v[6:7], v[6:7], v[30:31], -v[24:25]
	v_add_f64_e32 v[10:11], v[10:11], v[22:23]
	v_add_f64_e32 v[12:13], v[12:13], v[16:17]
	v_fma_f64 v[8:9], v[8:9], v[30:31], v[18:19]
	s_delay_alu instid0(VALU_DEP_3) | instskip(NEXT) | instid1(VALU_DEP_3)
	v_add_f64_e32 v[1:2], v[10:11], v[1:2]
	v_add_f64_e32 v[3:4], v[12:13], v[4:5]
	s_delay_alu instid0(VALU_DEP_2) | instskip(NEXT) | instid1(VALU_DEP_2)
	v_add_f64_e32 v[1:2], v[1:2], v[6:7]
	v_add_f64_e32 v[3:4], v[3:4], v[8:9]
	s_wait_loadcnt 0x0
	s_delay_alu instid0(VALU_DEP_2) | instskip(NEXT) | instid1(VALU_DEP_2)
	v_add_f64_e64 v[1:2], v[34:35], -v[1:2]
	v_add_f64_e64 v[3:4], v[36:37], -v[3:4]
	scratch_store_b128 off, v[1:4], off offset:480
	v_cmpx_lt_u32_e32 28, v0
	s_cbranch_execz .LBB47_245
; %bb.244:
	scratch_load_b128 v[1:4], off, s22
	v_mov_b32_e32 v5, 0
	s_delay_alu instid0(VALU_DEP_1)
	v_dual_mov_b32 v6, v5 :: v_dual_mov_b32 v7, v5
	v_mov_b32_e32 v8, v5
	scratch_store_b128 off, v[5:8], off offset:464
	s_wait_loadcnt 0x0
	ds_store_b128 v138, v[1:4]
.LBB47_245:
	s_wait_alu 0xfffe
	s_or_b32 exec_lo, exec_lo, s0
	s_wait_storecnt_dscnt 0x0
	s_barrier_signal -1
	s_barrier_wait -1
	global_inv scope:SCOPE_SE
	s_clause 0x7
	scratch_load_b128 v[2:5], off, off offset:480
	scratch_load_b128 v[6:9], off, off offset:496
	;; [unrolled: 1-line block ×8, first 2 shown]
	v_mov_b32_e32 v1, 0
	s_clause 0x1
	scratch_load_b128 v[38:41], off, off offset:608
	scratch_load_b128 v[143:146], off, off offset:624
	s_mov_b32 s0, exec_lo
	ds_load_b128 v[34:37], v1 offset:1232
	ds_load_b128 v[139:142], v1 offset:1248
	s_wait_loadcnt_dscnt 0x901
	v_mul_f64_e32 v[147:148], v[36:37], v[4:5]
	v_mul_f64_e32 v[4:5], v[34:35], v[4:5]
	s_wait_loadcnt_dscnt 0x800
	v_mul_f64_e32 v[149:150], v[139:140], v[8:9]
	v_mul_f64_e32 v[8:9], v[141:142], v[8:9]
	s_delay_alu instid0(VALU_DEP_4) | instskip(NEXT) | instid1(VALU_DEP_4)
	v_fma_f64 v[147:148], v[34:35], v[2:3], -v[147:148]
	v_fma_f64 v[151:152], v[36:37], v[2:3], v[4:5]
	ds_load_b128 v[2:5], v1 offset:1264
	scratch_load_b128 v[34:37], off, off offset:640
	v_fma_f64 v[149:150], v[141:142], v[6:7], v[149:150]
	v_fma_f64 v[155:156], v[139:140], v[6:7], -v[8:9]
	ds_load_b128 v[6:9], v1 offset:1280
	scratch_load_b128 v[139:142], off, off offset:656
	s_wait_loadcnt_dscnt 0x901
	v_mul_f64_e32 v[153:154], v[2:3], v[12:13]
	v_mul_f64_e32 v[12:13], v[4:5], v[12:13]
	s_wait_loadcnt_dscnt 0x800
	v_mul_f64_e32 v[157:158], v[6:7], v[16:17]
	v_mul_f64_e32 v[16:17], v[8:9], v[16:17]
	v_add_f64_e32 v[147:148], 0, v[147:148]
	v_add_f64_e32 v[151:152], 0, v[151:152]
	v_fma_f64 v[153:154], v[4:5], v[10:11], v[153:154]
	v_fma_f64 v[159:160], v[2:3], v[10:11], -v[12:13]
	ds_load_b128 v[2:5], v1 offset:1296
	scratch_load_b128 v[10:13], off, off offset:672
	v_add_f64_e32 v[147:148], v[147:148], v[155:156]
	v_add_f64_e32 v[149:150], v[151:152], v[149:150]
	v_fma_f64 v[155:156], v[8:9], v[14:15], v[157:158]
	v_fma_f64 v[157:158], v[6:7], v[14:15], -v[16:17]
	ds_load_b128 v[6:9], v1 offset:1312
	scratch_load_b128 v[14:17], off, off offset:688
	s_wait_loadcnt_dscnt 0x901
	v_mul_f64_e32 v[151:152], v[2:3], v[20:21]
	v_mul_f64_e32 v[20:21], v[4:5], v[20:21]
	v_add_f64_e32 v[147:148], v[147:148], v[159:160]
	v_add_f64_e32 v[149:150], v[149:150], v[153:154]
	s_wait_loadcnt_dscnt 0x800
	v_mul_f64_e32 v[153:154], v[6:7], v[24:25]
	v_mul_f64_e32 v[24:25], v[8:9], v[24:25]
	v_fma_f64 v[151:152], v[4:5], v[18:19], v[151:152]
	v_fma_f64 v[159:160], v[2:3], v[18:19], -v[20:21]
	ds_load_b128 v[2:5], v1 offset:1328
	scratch_load_b128 v[18:21], off, off offset:704
	v_add_f64_e32 v[147:148], v[147:148], v[157:158]
	v_add_f64_e32 v[149:150], v[149:150], v[155:156]
	v_fma_f64 v[153:154], v[8:9], v[22:23], v[153:154]
	v_fma_f64 v[157:158], v[6:7], v[22:23], -v[24:25]
	ds_load_b128 v[6:9], v1 offset:1344
	s_wait_loadcnt_dscnt 0x801
	v_mul_f64_e32 v[155:156], v[2:3], v[28:29]
	v_mul_f64_e32 v[28:29], v[4:5], v[28:29]
	scratch_load_b128 v[22:25], off, off offset:720
	v_add_f64_e32 v[147:148], v[147:148], v[159:160]
	v_add_f64_e32 v[149:150], v[149:150], v[151:152]
	s_wait_loadcnt_dscnt 0x800
	v_mul_f64_e32 v[151:152], v[6:7], v[32:33]
	v_mul_f64_e32 v[32:33], v[8:9], v[32:33]
	v_fma_f64 v[155:156], v[4:5], v[26:27], v[155:156]
	v_fma_f64 v[159:160], v[2:3], v[26:27], -v[28:29]
	ds_load_b128 v[2:5], v1 offset:1360
	scratch_load_b128 v[26:29], off, off offset:736
	v_add_f64_e32 v[147:148], v[147:148], v[157:158]
	v_add_f64_e32 v[149:150], v[149:150], v[153:154]
	v_fma_f64 v[151:152], v[8:9], v[30:31], v[151:152]
	v_fma_f64 v[157:158], v[6:7], v[30:31], -v[32:33]
	ds_load_b128 v[6:9], v1 offset:1376
	s_wait_loadcnt_dscnt 0x801
	v_mul_f64_e32 v[153:154], v[2:3], v[40:41]
	v_mul_f64_e32 v[40:41], v[4:5], v[40:41]
	scratch_load_b128 v[30:33], off, off offset:752
	v_add_f64_e32 v[147:148], v[147:148], v[159:160]
	v_add_f64_e32 v[149:150], v[149:150], v[155:156]
	s_wait_loadcnt_dscnt 0x800
	v_mul_f64_e32 v[155:156], v[6:7], v[145:146]
	v_mul_f64_e32 v[145:146], v[8:9], v[145:146]
	v_fma_f64 v[153:154], v[4:5], v[38:39], v[153:154]
	v_fma_f64 v[159:160], v[2:3], v[38:39], -v[40:41]
	ds_load_b128 v[2:5], v1 offset:1392
	scratch_load_b128 v[38:41], off, off offset:768
	v_add_f64_e32 v[147:148], v[147:148], v[157:158]
	v_add_f64_e32 v[149:150], v[149:150], v[151:152]
	v_fma_f64 v[155:156], v[8:9], v[143:144], v[155:156]
	v_fma_f64 v[143:144], v[6:7], v[143:144], -v[145:146]
	ds_load_b128 v[6:9], v1 offset:1408
	s_wait_loadcnt_dscnt 0x801
	v_mul_f64_e32 v[151:152], v[2:3], v[36:37]
	v_mul_f64_e32 v[36:37], v[4:5], v[36:37]
	v_add_f64_e32 v[145:146], v[147:148], v[159:160]
	v_add_f64_e32 v[147:148], v[149:150], v[153:154]
	s_wait_loadcnt_dscnt 0x700
	v_mul_f64_e32 v[149:150], v[6:7], v[141:142]
	v_mul_f64_e32 v[141:142], v[8:9], v[141:142]
	v_fma_f64 v[151:152], v[4:5], v[34:35], v[151:152]
	v_fma_f64 v[34:35], v[2:3], v[34:35], -v[36:37]
	ds_load_b128 v[2:5], v1 offset:1424
	v_add_f64_e32 v[36:37], v[145:146], v[143:144]
	v_add_f64_e32 v[143:144], v[147:148], v[155:156]
	v_fma_f64 v[147:148], v[8:9], v[139:140], v[149:150]
	v_fma_f64 v[139:140], v[6:7], v[139:140], -v[141:142]
	ds_load_b128 v[6:9], v1 offset:1440
	s_wait_loadcnt_dscnt 0x500
	v_mul_f64_e32 v[149:150], v[6:7], v[16:17]
	v_mul_f64_e32 v[16:17], v[8:9], v[16:17]
	v_add_f64_e32 v[141:142], v[36:37], v[34:35]
	v_add_f64_e32 v[143:144], v[143:144], v[151:152]
	scratch_load_b128 v[34:37], off, off offset:464
	v_mul_f64_e32 v[145:146], v[2:3], v[12:13]
	v_mul_f64_e32 v[12:13], v[4:5], v[12:13]
	s_delay_alu instid0(VALU_DEP_2) | instskip(NEXT) | instid1(VALU_DEP_2)
	v_fma_f64 v[145:146], v[4:5], v[10:11], v[145:146]
	v_fma_f64 v[10:11], v[2:3], v[10:11], -v[12:13]
	v_add_f64_e32 v[12:13], v[141:142], v[139:140]
	v_add_f64_e32 v[139:140], v[143:144], v[147:148]
	ds_load_b128 v[2:5], v1 offset:1456
	v_fma_f64 v[143:144], v[8:9], v[14:15], v[149:150]
	v_fma_f64 v[14:15], v[6:7], v[14:15], -v[16:17]
	ds_load_b128 v[6:9], v1 offset:1472
	s_wait_loadcnt_dscnt 0x501
	v_mul_f64_e32 v[141:142], v[2:3], v[20:21]
	v_mul_f64_e32 v[20:21], v[4:5], v[20:21]
	s_wait_loadcnt_dscnt 0x400
	v_mul_f64_e32 v[16:17], v[6:7], v[24:25]
	v_mul_f64_e32 v[24:25], v[8:9], v[24:25]
	v_add_f64_e32 v[10:11], v[12:13], v[10:11]
	v_add_f64_e32 v[12:13], v[139:140], v[145:146]
	v_fma_f64 v[139:140], v[4:5], v[18:19], v[141:142]
	v_fma_f64 v[18:19], v[2:3], v[18:19], -v[20:21]
	ds_load_b128 v[2:5], v1 offset:1488
	v_fma_f64 v[16:17], v[8:9], v[22:23], v[16:17]
	v_fma_f64 v[22:23], v[6:7], v[22:23], -v[24:25]
	ds_load_b128 v[6:9], v1 offset:1504
	v_add_f64_e32 v[10:11], v[10:11], v[14:15]
	v_add_f64_e32 v[12:13], v[12:13], v[143:144]
	s_wait_loadcnt_dscnt 0x301
	v_mul_f64_e32 v[14:15], v[2:3], v[28:29]
	v_mul_f64_e32 v[20:21], v[4:5], v[28:29]
	s_wait_loadcnt_dscnt 0x200
	v_mul_f64_e32 v[24:25], v[8:9], v[32:33]
	v_add_f64_e32 v[10:11], v[10:11], v[18:19]
	v_add_f64_e32 v[12:13], v[12:13], v[139:140]
	v_mul_f64_e32 v[18:19], v[6:7], v[32:33]
	v_fma_f64 v[14:15], v[4:5], v[26:27], v[14:15]
	v_fma_f64 v[20:21], v[2:3], v[26:27], -v[20:21]
	ds_load_b128 v[2:5], v1 offset:1520
	v_fma_f64 v[6:7], v[6:7], v[30:31], -v[24:25]
	v_add_f64_e32 v[10:11], v[10:11], v[22:23]
	v_add_f64_e32 v[12:13], v[12:13], v[16:17]
	s_wait_loadcnt_dscnt 0x100
	v_mul_f64_e32 v[16:17], v[2:3], v[40:41]
	v_mul_f64_e32 v[22:23], v[4:5], v[40:41]
	v_fma_f64 v[8:9], v[8:9], v[30:31], v[18:19]
	v_add_f64_e32 v[10:11], v[10:11], v[20:21]
	v_add_f64_e32 v[12:13], v[12:13], v[14:15]
	v_fma_f64 v[4:5], v[4:5], v[38:39], v[16:17]
	v_fma_f64 v[2:3], v[2:3], v[38:39], -v[22:23]
	s_delay_alu instid0(VALU_DEP_4) | instskip(NEXT) | instid1(VALU_DEP_4)
	v_add_f64_e32 v[6:7], v[10:11], v[6:7]
	v_add_f64_e32 v[8:9], v[12:13], v[8:9]
	s_delay_alu instid0(VALU_DEP_2) | instskip(NEXT) | instid1(VALU_DEP_2)
	v_add_f64_e32 v[2:3], v[6:7], v[2:3]
	v_add_f64_e32 v[4:5], v[8:9], v[4:5]
	s_wait_loadcnt 0x0
	s_delay_alu instid0(VALU_DEP_2) | instskip(NEXT) | instid1(VALU_DEP_2)
	v_add_f64_e64 v[2:3], v[34:35], -v[2:3]
	v_add_f64_e64 v[4:5], v[36:37], -v[4:5]
	scratch_store_b128 off, v[2:5], off offset:464
	v_cmpx_lt_u32_e32 27, v0
	s_cbranch_execz .LBB47_247
; %bb.246:
	scratch_load_b128 v[5:8], off, s21
	v_dual_mov_b32 v2, v1 :: v_dual_mov_b32 v3, v1
	v_mov_b32_e32 v4, v1
	scratch_store_b128 off, v[1:4], off offset:448
	s_wait_loadcnt 0x0
	ds_store_b128 v138, v[5:8]
.LBB47_247:
	s_wait_alu 0xfffe
	s_or_b32 exec_lo, exec_lo, s0
	s_wait_storecnt_dscnt 0x0
	s_barrier_signal -1
	s_barrier_wait -1
	global_inv scope:SCOPE_SE
	s_clause 0x7
	scratch_load_b128 v[2:5], off, off offset:464
	scratch_load_b128 v[6:9], off, off offset:480
	;; [unrolled: 1-line block ×8, first 2 shown]
	ds_load_b128 v[34:37], v1 offset:1216
	ds_load_b128 v[139:142], v1 offset:1232
	s_clause 0x1
	scratch_load_b128 v[38:41], off, off offset:592
	scratch_load_b128 v[143:146], off, off offset:608
	s_mov_b32 s0, exec_lo
	s_wait_loadcnt_dscnt 0x901
	v_mul_f64_e32 v[147:148], v[36:37], v[4:5]
	v_mul_f64_e32 v[4:5], v[34:35], v[4:5]
	s_wait_loadcnt_dscnt 0x800
	v_mul_f64_e32 v[149:150], v[139:140], v[8:9]
	v_mul_f64_e32 v[8:9], v[141:142], v[8:9]
	s_delay_alu instid0(VALU_DEP_4) | instskip(NEXT) | instid1(VALU_DEP_4)
	v_fma_f64 v[147:148], v[34:35], v[2:3], -v[147:148]
	v_fma_f64 v[151:152], v[36:37], v[2:3], v[4:5]
	ds_load_b128 v[2:5], v1 offset:1248
	scratch_load_b128 v[34:37], off, off offset:624
	v_fma_f64 v[149:150], v[141:142], v[6:7], v[149:150]
	v_fma_f64 v[155:156], v[139:140], v[6:7], -v[8:9]
	ds_load_b128 v[6:9], v1 offset:1264
	scratch_load_b128 v[139:142], off, off offset:640
	s_wait_loadcnt_dscnt 0x901
	v_mul_f64_e32 v[153:154], v[2:3], v[12:13]
	v_mul_f64_e32 v[12:13], v[4:5], v[12:13]
	s_wait_loadcnt_dscnt 0x800
	v_mul_f64_e32 v[157:158], v[6:7], v[16:17]
	v_mul_f64_e32 v[16:17], v[8:9], v[16:17]
	v_add_f64_e32 v[147:148], 0, v[147:148]
	v_add_f64_e32 v[151:152], 0, v[151:152]
	v_fma_f64 v[153:154], v[4:5], v[10:11], v[153:154]
	v_fma_f64 v[159:160], v[2:3], v[10:11], -v[12:13]
	scratch_load_b128 v[10:13], off, off offset:656
	ds_load_b128 v[2:5], v1 offset:1280
	v_add_f64_e32 v[147:148], v[147:148], v[155:156]
	v_add_f64_e32 v[149:150], v[151:152], v[149:150]
	v_fma_f64 v[155:156], v[8:9], v[14:15], v[157:158]
	v_fma_f64 v[157:158], v[6:7], v[14:15], -v[16:17]
	ds_load_b128 v[6:9], v1 offset:1296
	scratch_load_b128 v[14:17], off, off offset:672
	s_wait_loadcnt_dscnt 0x901
	v_mul_f64_e32 v[151:152], v[2:3], v[20:21]
	v_mul_f64_e32 v[20:21], v[4:5], v[20:21]
	v_add_f64_e32 v[147:148], v[147:148], v[159:160]
	v_add_f64_e32 v[149:150], v[149:150], v[153:154]
	s_wait_loadcnt_dscnt 0x800
	v_mul_f64_e32 v[153:154], v[6:7], v[24:25]
	v_mul_f64_e32 v[24:25], v[8:9], v[24:25]
	v_fma_f64 v[151:152], v[4:5], v[18:19], v[151:152]
	v_fma_f64 v[159:160], v[2:3], v[18:19], -v[20:21]
	ds_load_b128 v[2:5], v1 offset:1312
	scratch_load_b128 v[18:21], off, off offset:688
	v_add_f64_e32 v[147:148], v[147:148], v[157:158]
	v_add_f64_e32 v[149:150], v[149:150], v[155:156]
	v_fma_f64 v[153:154], v[8:9], v[22:23], v[153:154]
	v_fma_f64 v[157:158], v[6:7], v[22:23], -v[24:25]
	ds_load_b128 v[6:9], v1 offset:1328
	s_wait_loadcnt_dscnt 0x801
	v_mul_f64_e32 v[155:156], v[2:3], v[28:29]
	v_mul_f64_e32 v[28:29], v[4:5], v[28:29]
	scratch_load_b128 v[22:25], off, off offset:704
	v_add_f64_e32 v[147:148], v[147:148], v[159:160]
	v_add_f64_e32 v[149:150], v[149:150], v[151:152]
	s_wait_loadcnt_dscnt 0x800
	v_mul_f64_e32 v[151:152], v[6:7], v[32:33]
	v_mul_f64_e32 v[32:33], v[8:9], v[32:33]
	v_fma_f64 v[155:156], v[4:5], v[26:27], v[155:156]
	v_fma_f64 v[159:160], v[2:3], v[26:27], -v[28:29]
	ds_load_b128 v[2:5], v1 offset:1344
	scratch_load_b128 v[26:29], off, off offset:720
	v_add_f64_e32 v[147:148], v[147:148], v[157:158]
	v_add_f64_e32 v[149:150], v[149:150], v[153:154]
	v_fma_f64 v[151:152], v[8:9], v[30:31], v[151:152]
	v_fma_f64 v[157:158], v[6:7], v[30:31], -v[32:33]
	ds_load_b128 v[6:9], v1 offset:1360
	s_wait_loadcnt_dscnt 0x801
	v_mul_f64_e32 v[153:154], v[2:3], v[40:41]
	v_mul_f64_e32 v[40:41], v[4:5], v[40:41]
	scratch_load_b128 v[30:33], off, off offset:736
	v_add_f64_e32 v[147:148], v[147:148], v[159:160]
	v_add_f64_e32 v[149:150], v[149:150], v[155:156]
	s_wait_loadcnt_dscnt 0x800
	v_mul_f64_e32 v[155:156], v[6:7], v[145:146]
	v_mul_f64_e32 v[145:146], v[8:9], v[145:146]
	v_fma_f64 v[153:154], v[4:5], v[38:39], v[153:154]
	v_fma_f64 v[159:160], v[2:3], v[38:39], -v[40:41]
	ds_load_b128 v[2:5], v1 offset:1376
	scratch_load_b128 v[38:41], off, off offset:752
	v_add_f64_e32 v[147:148], v[147:148], v[157:158]
	v_add_f64_e32 v[149:150], v[149:150], v[151:152]
	v_fma_f64 v[155:156], v[8:9], v[143:144], v[155:156]
	v_fma_f64 v[157:158], v[6:7], v[143:144], -v[145:146]
	ds_load_b128 v[6:9], v1 offset:1392
	scratch_load_b128 v[143:146], off, off offset:768
	s_wait_loadcnt_dscnt 0x901
	v_mul_f64_e32 v[151:152], v[2:3], v[36:37]
	v_mul_f64_e32 v[36:37], v[4:5], v[36:37]
	v_add_f64_e32 v[147:148], v[147:148], v[159:160]
	v_add_f64_e32 v[149:150], v[149:150], v[153:154]
	s_delay_alu instid0(VALU_DEP_4) | instskip(NEXT) | instid1(VALU_DEP_4)
	v_fma_f64 v[151:152], v[4:5], v[34:35], v[151:152]
	v_fma_f64 v[34:35], v[2:3], v[34:35], -v[36:37]
	ds_load_b128 v[2:5], v1 offset:1408
	v_add_f64_e32 v[36:37], v[147:148], v[157:158]
	v_add_f64_e32 v[147:148], v[149:150], v[155:156]
	s_wait_loadcnt_dscnt 0x700
	v_mul_f64_e32 v[149:150], v[2:3], v[12:13]
	v_mul_f64_e32 v[12:13], v[4:5], v[12:13]
	s_delay_alu instid0(VALU_DEP_4) | instskip(NEXT) | instid1(VALU_DEP_4)
	v_add_f64_e32 v[34:35], v[36:37], v[34:35]
	v_add_f64_e32 v[36:37], v[147:148], v[151:152]
	s_delay_alu instid0(VALU_DEP_4) | instskip(NEXT) | instid1(VALU_DEP_4)
	v_fma_f64 v[147:148], v[4:5], v[10:11], v[149:150]
	v_fma_f64 v[149:150], v[2:3], v[10:11], -v[12:13]
	scratch_load_b128 v[10:13], off, off offset:448
	v_mul_f64_e32 v[153:154], v[6:7], v[141:142]
	v_mul_f64_e32 v[141:142], v[8:9], v[141:142]
	ds_load_b128 v[2:5], v1 offset:1440
	v_fma_f64 v[153:154], v[8:9], v[139:140], v[153:154]
	v_fma_f64 v[139:140], v[6:7], v[139:140], -v[141:142]
	ds_load_b128 v[6:9], v1 offset:1424
	s_wait_loadcnt_dscnt 0x700
	v_mul_f64_e32 v[141:142], v[6:7], v[16:17]
	v_mul_f64_e32 v[16:17], v[8:9], v[16:17]
	v_add_f64_e32 v[36:37], v[36:37], v[153:154]
	v_add_f64_e32 v[34:35], v[34:35], v[139:140]
	s_wait_loadcnt 0x6
	v_mul_f64_e32 v[139:140], v[2:3], v[20:21]
	v_mul_f64_e32 v[20:21], v[4:5], v[20:21]
	v_fma_f64 v[141:142], v[8:9], v[14:15], v[141:142]
	v_fma_f64 v[14:15], v[6:7], v[14:15], -v[16:17]
	ds_load_b128 v[6:9], v1 offset:1456
	v_add_f64_e32 v[16:17], v[34:35], v[149:150]
	v_add_f64_e32 v[34:35], v[36:37], v[147:148]
	v_fma_f64 v[139:140], v[4:5], v[18:19], v[139:140]
	v_fma_f64 v[18:19], v[2:3], v[18:19], -v[20:21]
	ds_load_b128 v[2:5], v1 offset:1472
	s_wait_loadcnt_dscnt 0x501
	v_mul_f64_e32 v[36:37], v[6:7], v[24:25]
	v_mul_f64_e32 v[24:25], v[8:9], v[24:25]
	s_wait_loadcnt_dscnt 0x400
	v_mul_f64_e32 v[20:21], v[2:3], v[28:29]
	v_mul_f64_e32 v[28:29], v[4:5], v[28:29]
	v_add_f64_e32 v[14:15], v[16:17], v[14:15]
	v_add_f64_e32 v[16:17], v[34:35], v[141:142]
	v_fma_f64 v[34:35], v[8:9], v[22:23], v[36:37]
	v_fma_f64 v[22:23], v[6:7], v[22:23], -v[24:25]
	ds_load_b128 v[6:9], v1 offset:1488
	v_fma_f64 v[20:21], v[4:5], v[26:27], v[20:21]
	v_fma_f64 v[26:27], v[2:3], v[26:27], -v[28:29]
	ds_load_b128 v[2:5], v1 offset:1504
	s_wait_loadcnt_dscnt 0x301
	v_mul_f64_e32 v[24:25], v[8:9], v[32:33]
	v_add_f64_e32 v[14:15], v[14:15], v[18:19]
	v_add_f64_e32 v[16:17], v[16:17], v[139:140]
	v_mul_f64_e32 v[18:19], v[6:7], v[32:33]
	s_wait_loadcnt_dscnt 0x200
	v_mul_f64_e32 v[28:29], v[4:5], v[40:41]
	v_fma_f64 v[24:25], v[6:7], v[30:31], -v[24:25]
	v_add_f64_e32 v[14:15], v[14:15], v[22:23]
	v_add_f64_e32 v[16:17], v[16:17], v[34:35]
	v_mul_f64_e32 v[22:23], v[2:3], v[40:41]
	v_fma_f64 v[18:19], v[8:9], v[30:31], v[18:19]
	ds_load_b128 v[6:9], v1 offset:1520
	v_fma_f64 v[1:2], v[2:3], v[38:39], -v[28:29]
	v_add_f64_e32 v[14:15], v[14:15], v[26:27]
	v_add_f64_e32 v[16:17], v[16:17], v[20:21]
	s_wait_loadcnt_dscnt 0x100
	v_mul_f64_e32 v[20:21], v[6:7], v[145:146]
	v_mul_f64_e32 v[26:27], v[8:9], v[145:146]
	v_fma_f64 v[4:5], v[4:5], v[38:39], v[22:23]
	v_add_f64_e32 v[14:15], v[14:15], v[24:25]
	v_add_f64_e32 v[16:17], v[16:17], v[18:19]
	v_fma_f64 v[8:9], v[8:9], v[143:144], v[20:21]
	v_fma_f64 v[6:7], v[6:7], v[143:144], -v[26:27]
	s_delay_alu instid0(VALU_DEP_4) | instskip(NEXT) | instid1(VALU_DEP_4)
	v_add_f64_e32 v[1:2], v[14:15], v[1:2]
	v_add_f64_e32 v[3:4], v[16:17], v[4:5]
	s_delay_alu instid0(VALU_DEP_2) | instskip(NEXT) | instid1(VALU_DEP_2)
	v_add_f64_e32 v[1:2], v[1:2], v[6:7]
	v_add_f64_e32 v[3:4], v[3:4], v[8:9]
	s_wait_loadcnt 0x0
	s_delay_alu instid0(VALU_DEP_2) | instskip(NEXT) | instid1(VALU_DEP_2)
	v_add_f64_e64 v[1:2], v[10:11], -v[1:2]
	v_add_f64_e64 v[3:4], v[12:13], -v[3:4]
	scratch_store_b128 off, v[1:4], off offset:448
	v_cmpx_lt_u32_e32 26, v0
	s_cbranch_execz .LBB47_249
; %bb.248:
	scratch_load_b128 v[1:4], off, s24
	v_mov_b32_e32 v5, 0
	s_delay_alu instid0(VALU_DEP_1)
	v_dual_mov_b32 v6, v5 :: v_dual_mov_b32 v7, v5
	v_mov_b32_e32 v8, v5
	scratch_store_b128 off, v[5:8], off offset:432
	s_wait_loadcnt 0x0
	ds_store_b128 v138, v[1:4]
.LBB47_249:
	s_wait_alu 0xfffe
	s_or_b32 exec_lo, exec_lo, s0
	s_wait_storecnt_dscnt 0x0
	s_barrier_signal -1
	s_barrier_wait -1
	global_inv scope:SCOPE_SE
	s_clause 0x7
	scratch_load_b128 v[2:5], off, off offset:448
	scratch_load_b128 v[6:9], off, off offset:464
	;; [unrolled: 1-line block ×8, first 2 shown]
	v_mov_b32_e32 v1, 0
	s_clause 0x1
	scratch_load_b128 v[38:41], off, off offset:576
	scratch_load_b128 v[143:146], off, off offset:592
	s_mov_b32 s0, exec_lo
	ds_load_b128 v[34:37], v1 offset:1200
	ds_load_b128 v[139:142], v1 offset:1216
	s_wait_loadcnt_dscnt 0x901
	v_mul_f64_e32 v[147:148], v[36:37], v[4:5]
	v_mul_f64_e32 v[4:5], v[34:35], v[4:5]
	s_wait_loadcnt_dscnt 0x800
	v_mul_f64_e32 v[149:150], v[139:140], v[8:9]
	v_mul_f64_e32 v[8:9], v[141:142], v[8:9]
	s_delay_alu instid0(VALU_DEP_4) | instskip(NEXT) | instid1(VALU_DEP_4)
	v_fma_f64 v[147:148], v[34:35], v[2:3], -v[147:148]
	v_fma_f64 v[151:152], v[36:37], v[2:3], v[4:5]
	ds_load_b128 v[2:5], v1 offset:1232
	scratch_load_b128 v[34:37], off, off offset:608
	v_fma_f64 v[149:150], v[141:142], v[6:7], v[149:150]
	v_fma_f64 v[155:156], v[139:140], v[6:7], -v[8:9]
	ds_load_b128 v[6:9], v1 offset:1248
	scratch_load_b128 v[139:142], off, off offset:624
	s_wait_loadcnt_dscnt 0x901
	v_mul_f64_e32 v[153:154], v[2:3], v[12:13]
	v_mul_f64_e32 v[12:13], v[4:5], v[12:13]
	s_wait_loadcnt_dscnt 0x800
	v_mul_f64_e32 v[157:158], v[6:7], v[16:17]
	v_mul_f64_e32 v[16:17], v[8:9], v[16:17]
	v_add_f64_e32 v[147:148], 0, v[147:148]
	v_add_f64_e32 v[151:152], 0, v[151:152]
	v_fma_f64 v[153:154], v[4:5], v[10:11], v[153:154]
	v_fma_f64 v[159:160], v[2:3], v[10:11], -v[12:13]
	ds_load_b128 v[2:5], v1 offset:1264
	scratch_load_b128 v[10:13], off, off offset:640
	v_add_f64_e32 v[147:148], v[147:148], v[155:156]
	v_add_f64_e32 v[149:150], v[151:152], v[149:150]
	v_fma_f64 v[155:156], v[8:9], v[14:15], v[157:158]
	v_fma_f64 v[157:158], v[6:7], v[14:15], -v[16:17]
	ds_load_b128 v[6:9], v1 offset:1280
	scratch_load_b128 v[14:17], off, off offset:656
	s_wait_loadcnt_dscnt 0x901
	v_mul_f64_e32 v[151:152], v[2:3], v[20:21]
	v_mul_f64_e32 v[20:21], v[4:5], v[20:21]
	v_add_f64_e32 v[147:148], v[147:148], v[159:160]
	v_add_f64_e32 v[149:150], v[149:150], v[153:154]
	s_wait_loadcnt_dscnt 0x800
	v_mul_f64_e32 v[153:154], v[6:7], v[24:25]
	v_mul_f64_e32 v[24:25], v[8:9], v[24:25]
	v_fma_f64 v[151:152], v[4:5], v[18:19], v[151:152]
	v_fma_f64 v[159:160], v[2:3], v[18:19], -v[20:21]
	ds_load_b128 v[2:5], v1 offset:1296
	scratch_load_b128 v[18:21], off, off offset:672
	v_add_f64_e32 v[147:148], v[147:148], v[157:158]
	v_add_f64_e32 v[149:150], v[149:150], v[155:156]
	v_fma_f64 v[153:154], v[8:9], v[22:23], v[153:154]
	v_fma_f64 v[157:158], v[6:7], v[22:23], -v[24:25]
	ds_load_b128 v[6:9], v1 offset:1312
	s_wait_loadcnt_dscnt 0x801
	v_mul_f64_e32 v[155:156], v[2:3], v[28:29]
	v_mul_f64_e32 v[28:29], v[4:5], v[28:29]
	scratch_load_b128 v[22:25], off, off offset:688
	v_add_f64_e32 v[147:148], v[147:148], v[159:160]
	v_add_f64_e32 v[149:150], v[149:150], v[151:152]
	s_wait_loadcnt_dscnt 0x800
	v_mul_f64_e32 v[151:152], v[6:7], v[32:33]
	v_mul_f64_e32 v[32:33], v[8:9], v[32:33]
	v_fma_f64 v[155:156], v[4:5], v[26:27], v[155:156]
	v_fma_f64 v[159:160], v[2:3], v[26:27], -v[28:29]
	ds_load_b128 v[2:5], v1 offset:1328
	scratch_load_b128 v[26:29], off, off offset:704
	v_add_f64_e32 v[147:148], v[147:148], v[157:158]
	v_add_f64_e32 v[149:150], v[149:150], v[153:154]
	v_fma_f64 v[151:152], v[8:9], v[30:31], v[151:152]
	v_fma_f64 v[157:158], v[6:7], v[30:31], -v[32:33]
	ds_load_b128 v[6:9], v1 offset:1344
	s_wait_loadcnt_dscnt 0x801
	v_mul_f64_e32 v[153:154], v[2:3], v[40:41]
	v_mul_f64_e32 v[40:41], v[4:5], v[40:41]
	scratch_load_b128 v[30:33], off, off offset:720
	v_add_f64_e32 v[147:148], v[147:148], v[159:160]
	v_add_f64_e32 v[149:150], v[149:150], v[155:156]
	s_wait_loadcnt_dscnt 0x800
	v_mul_f64_e32 v[155:156], v[6:7], v[145:146]
	v_mul_f64_e32 v[145:146], v[8:9], v[145:146]
	v_fma_f64 v[153:154], v[4:5], v[38:39], v[153:154]
	v_fma_f64 v[159:160], v[2:3], v[38:39], -v[40:41]
	ds_load_b128 v[2:5], v1 offset:1360
	scratch_load_b128 v[38:41], off, off offset:736
	v_add_f64_e32 v[147:148], v[147:148], v[157:158]
	v_add_f64_e32 v[149:150], v[149:150], v[151:152]
	v_fma_f64 v[155:156], v[8:9], v[143:144], v[155:156]
	v_fma_f64 v[157:158], v[6:7], v[143:144], -v[145:146]
	ds_load_b128 v[6:9], v1 offset:1376
	scratch_load_b128 v[143:146], off, off offset:752
	s_wait_loadcnt_dscnt 0x901
	v_mul_f64_e32 v[151:152], v[2:3], v[36:37]
	v_mul_f64_e32 v[36:37], v[4:5], v[36:37]
	v_add_f64_e32 v[147:148], v[147:148], v[159:160]
	v_add_f64_e32 v[149:150], v[149:150], v[153:154]
	s_wait_loadcnt_dscnt 0x800
	v_mul_f64_e32 v[153:154], v[6:7], v[141:142]
	v_mul_f64_e32 v[141:142], v[8:9], v[141:142]
	v_fma_f64 v[151:152], v[4:5], v[34:35], v[151:152]
	v_fma_f64 v[159:160], v[2:3], v[34:35], -v[36:37]
	ds_load_b128 v[2:5], v1 offset:1392
	scratch_load_b128 v[34:37], off, off offset:768
	v_add_f64_e32 v[147:148], v[147:148], v[157:158]
	v_add_f64_e32 v[149:150], v[149:150], v[155:156]
	v_fma_f64 v[153:154], v[8:9], v[139:140], v[153:154]
	v_fma_f64 v[139:140], v[6:7], v[139:140], -v[141:142]
	ds_load_b128 v[6:9], v1 offset:1408
	s_wait_loadcnt_dscnt 0x801
	v_mul_f64_e32 v[155:156], v[2:3], v[12:13]
	v_mul_f64_e32 v[12:13], v[4:5], v[12:13]
	v_add_f64_e32 v[141:142], v[147:148], v[159:160]
	v_add_f64_e32 v[147:148], v[149:150], v[151:152]
	s_wait_loadcnt_dscnt 0x700
	v_mul_f64_e32 v[149:150], v[6:7], v[16:17]
	v_mul_f64_e32 v[16:17], v[8:9], v[16:17]
	v_fma_f64 v[151:152], v[4:5], v[10:11], v[155:156]
	v_fma_f64 v[10:11], v[2:3], v[10:11], -v[12:13]
	ds_load_b128 v[2:5], v1 offset:1424
	v_add_f64_e32 v[12:13], v[141:142], v[139:140]
	v_add_f64_e32 v[139:140], v[147:148], v[153:154]
	v_fma_f64 v[147:148], v[8:9], v[14:15], v[149:150]
	v_fma_f64 v[14:15], v[6:7], v[14:15], -v[16:17]
	ds_load_b128 v[6:9], v1 offset:1440
	s_wait_loadcnt_dscnt 0x500
	v_mul_f64_e32 v[149:150], v[6:7], v[24:25]
	v_mul_f64_e32 v[24:25], v[8:9], v[24:25]
	v_add_f64_e32 v[16:17], v[12:13], v[10:11]
	v_add_f64_e32 v[139:140], v[139:140], v[151:152]
	scratch_load_b128 v[10:13], off, off offset:432
	v_mul_f64_e32 v[141:142], v[2:3], v[20:21]
	v_mul_f64_e32 v[20:21], v[4:5], v[20:21]
	v_add_f64_e32 v[14:15], v[16:17], v[14:15]
	v_add_f64_e32 v[16:17], v[139:140], v[147:148]
	v_fma_f64 v[139:140], v[8:9], v[22:23], v[149:150]
	v_fma_f64 v[141:142], v[4:5], v[18:19], v[141:142]
	v_fma_f64 v[18:19], v[2:3], v[18:19], -v[20:21]
	ds_load_b128 v[2:5], v1 offset:1456
	v_fma_f64 v[22:23], v[6:7], v[22:23], -v[24:25]
	ds_load_b128 v[6:9], v1 offset:1472
	s_wait_loadcnt_dscnt 0x501
	v_mul_f64_e32 v[20:21], v[2:3], v[28:29]
	v_mul_f64_e32 v[28:29], v[4:5], v[28:29]
	s_wait_loadcnt_dscnt 0x400
	v_mul_f64_e32 v[24:25], v[8:9], v[32:33]
	v_add_f64_e32 v[16:17], v[16:17], v[141:142]
	v_add_f64_e32 v[14:15], v[14:15], v[18:19]
	v_mul_f64_e32 v[18:19], v[6:7], v[32:33]
	v_fma_f64 v[20:21], v[4:5], v[26:27], v[20:21]
	v_fma_f64 v[26:27], v[2:3], v[26:27], -v[28:29]
	ds_load_b128 v[2:5], v1 offset:1488
	v_fma_f64 v[24:25], v[6:7], v[30:31], -v[24:25]
	v_add_f64_e32 v[16:17], v[16:17], v[139:140]
	v_add_f64_e32 v[14:15], v[14:15], v[22:23]
	v_fma_f64 v[18:19], v[8:9], v[30:31], v[18:19]
	ds_load_b128 v[6:9], v1 offset:1504
	s_wait_loadcnt_dscnt 0x301
	v_mul_f64_e32 v[22:23], v[2:3], v[40:41]
	v_mul_f64_e32 v[28:29], v[4:5], v[40:41]
	v_add_f64_e32 v[16:17], v[16:17], v[20:21]
	v_add_f64_e32 v[14:15], v[14:15], v[26:27]
	s_wait_loadcnt_dscnt 0x200
	v_mul_f64_e32 v[20:21], v[6:7], v[145:146]
	v_mul_f64_e32 v[26:27], v[8:9], v[145:146]
	v_fma_f64 v[22:23], v[4:5], v[38:39], v[22:23]
	v_fma_f64 v[28:29], v[2:3], v[38:39], -v[28:29]
	ds_load_b128 v[2:5], v1 offset:1520
	v_add_f64_e32 v[16:17], v[16:17], v[18:19]
	v_add_f64_e32 v[14:15], v[14:15], v[24:25]
	s_wait_loadcnt_dscnt 0x100
	v_mul_f64_e32 v[18:19], v[2:3], v[36:37]
	v_mul_f64_e32 v[24:25], v[4:5], v[36:37]
	v_fma_f64 v[8:9], v[8:9], v[143:144], v[20:21]
	v_fma_f64 v[6:7], v[6:7], v[143:144], -v[26:27]
	v_add_f64_e32 v[16:17], v[16:17], v[22:23]
	v_add_f64_e32 v[14:15], v[14:15], v[28:29]
	v_fma_f64 v[4:5], v[4:5], v[34:35], v[18:19]
	v_fma_f64 v[2:3], v[2:3], v[34:35], -v[24:25]
	s_delay_alu instid0(VALU_DEP_4) | instskip(NEXT) | instid1(VALU_DEP_4)
	v_add_f64_e32 v[8:9], v[16:17], v[8:9]
	v_add_f64_e32 v[6:7], v[14:15], v[6:7]
	s_delay_alu instid0(VALU_DEP_2) | instskip(NEXT) | instid1(VALU_DEP_2)
	v_add_f64_e32 v[4:5], v[8:9], v[4:5]
	v_add_f64_e32 v[2:3], v[6:7], v[2:3]
	s_wait_loadcnt 0x0
	s_delay_alu instid0(VALU_DEP_2) | instskip(NEXT) | instid1(VALU_DEP_2)
	v_add_f64_e64 v[4:5], v[12:13], -v[4:5]
	v_add_f64_e64 v[2:3], v[10:11], -v[2:3]
	scratch_store_b128 off, v[2:5], off offset:432
	v_cmpx_lt_u32_e32 25, v0
	s_cbranch_execz .LBB47_251
; %bb.250:
	scratch_load_b128 v[5:8], off, s23
	v_dual_mov_b32 v2, v1 :: v_dual_mov_b32 v3, v1
	v_mov_b32_e32 v4, v1
	scratch_store_b128 off, v[1:4], off offset:416
	s_wait_loadcnt 0x0
	ds_store_b128 v138, v[5:8]
.LBB47_251:
	s_wait_alu 0xfffe
	s_or_b32 exec_lo, exec_lo, s0
	s_wait_storecnt_dscnt 0x0
	s_barrier_signal -1
	s_barrier_wait -1
	global_inv scope:SCOPE_SE
	s_clause 0x7
	scratch_load_b128 v[2:5], off, off offset:432
	scratch_load_b128 v[6:9], off, off offset:448
	;; [unrolled: 1-line block ×8, first 2 shown]
	ds_load_b128 v[34:37], v1 offset:1184
	ds_load_b128 v[139:142], v1 offset:1200
	s_clause 0x1
	scratch_load_b128 v[38:41], off, off offset:560
	scratch_load_b128 v[143:146], off, off offset:576
	s_mov_b32 s0, exec_lo
	s_wait_loadcnt_dscnt 0x901
	v_mul_f64_e32 v[147:148], v[36:37], v[4:5]
	v_mul_f64_e32 v[4:5], v[34:35], v[4:5]
	s_wait_loadcnt_dscnt 0x800
	v_mul_f64_e32 v[149:150], v[139:140], v[8:9]
	v_mul_f64_e32 v[8:9], v[141:142], v[8:9]
	s_delay_alu instid0(VALU_DEP_4) | instskip(NEXT) | instid1(VALU_DEP_4)
	v_fma_f64 v[147:148], v[34:35], v[2:3], -v[147:148]
	v_fma_f64 v[151:152], v[36:37], v[2:3], v[4:5]
	ds_load_b128 v[2:5], v1 offset:1216
	scratch_load_b128 v[34:37], off, off offset:592
	v_fma_f64 v[149:150], v[141:142], v[6:7], v[149:150]
	v_fma_f64 v[155:156], v[139:140], v[6:7], -v[8:9]
	ds_load_b128 v[6:9], v1 offset:1232
	scratch_load_b128 v[139:142], off, off offset:608
	s_wait_loadcnt_dscnt 0x901
	v_mul_f64_e32 v[153:154], v[2:3], v[12:13]
	v_mul_f64_e32 v[12:13], v[4:5], v[12:13]
	s_wait_loadcnt_dscnt 0x800
	v_mul_f64_e32 v[157:158], v[6:7], v[16:17]
	v_mul_f64_e32 v[16:17], v[8:9], v[16:17]
	v_add_f64_e32 v[147:148], 0, v[147:148]
	v_add_f64_e32 v[151:152], 0, v[151:152]
	v_fma_f64 v[153:154], v[4:5], v[10:11], v[153:154]
	v_fma_f64 v[159:160], v[2:3], v[10:11], -v[12:13]
	ds_load_b128 v[2:5], v1 offset:1248
	scratch_load_b128 v[10:13], off, off offset:624
	v_add_f64_e32 v[147:148], v[147:148], v[155:156]
	v_add_f64_e32 v[149:150], v[151:152], v[149:150]
	v_fma_f64 v[155:156], v[8:9], v[14:15], v[157:158]
	v_fma_f64 v[157:158], v[6:7], v[14:15], -v[16:17]
	ds_load_b128 v[6:9], v1 offset:1264
	scratch_load_b128 v[14:17], off, off offset:640
	s_wait_loadcnt_dscnt 0x901
	v_mul_f64_e32 v[151:152], v[2:3], v[20:21]
	v_mul_f64_e32 v[20:21], v[4:5], v[20:21]
	v_add_f64_e32 v[147:148], v[147:148], v[159:160]
	v_add_f64_e32 v[149:150], v[149:150], v[153:154]
	s_wait_loadcnt_dscnt 0x800
	v_mul_f64_e32 v[153:154], v[6:7], v[24:25]
	v_mul_f64_e32 v[24:25], v[8:9], v[24:25]
	v_fma_f64 v[151:152], v[4:5], v[18:19], v[151:152]
	v_fma_f64 v[159:160], v[2:3], v[18:19], -v[20:21]
	ds_load_b128 v[2:5], v1 offset:1280
	scratch_load_b128 v[18:21], off, off offset:656
	v_add_f64_e32 v[147:148], v[147:148], v[157:158]
	v_add_f64_e32 v[149:150], v[149:150], v[155:156]
	v_fma_f64 v[153:154], v[8:9], v[22:23], v[153:154]
	v_fma_f64 v[157:158], v[6:7], v[22:23], -v[24:25]
	ds_load_b128 v[6:9], v1 offset:1296
	s_wait_loadcnt_dscnt 0x801
	v_mul_f64_e32 v[155:156], v[2:3], v[28:29]
	v_mul_f64_e32 v[28:29], v[4:5], v[28:29]
	scratch_load_b128 v[22:25], off, off offset:672
	v_add_f64_e32 v[147:148], v[147:148], v[159:160]
	v_add_f64_e32 v[149:150], v[149:150], v[151:152]
	s_wait_loadcnt_dscnt 0x800
	v_mul_f64_e32 v[151:152], v[6:7], v[32:33]
	v_mul_f64_e32 v[32:33], v[8:9], v[32:33]
	v_fma_f64 v[155:156], v[4:5], v[26:27], v[155:156]
	v_fma_f64 v[159:160], v[2:3], v[26:27], -v[28:29]
	ds_load_b128 v[2:5], v1 offset:1312
	scratch_load_b128 v[26:29], off, off offset:688
	v_add_f64_e32 v[147:148], v[147:148], v[157:158]
	v_add_f64_e32 v[149:150], v[149:150], v[153:154]
	v_fma_f64 v[151:152], v[8:9], v[30:31], v[151:152]
	v_fma_f64 v[157:158], v[6:7], v[30:31], -v[32:33]
	ds_load_b128 v[6:9], v1 offset:1328
	s_wait_loadcnt_dscnt 0x801
	v_mul_f64_e32 v[153:154], v[2:3], v[40:41]
	v_mul_f64_e32 v[40:41], v[4:5], v[40:41]
	scratch_load_b128 v[30:33], off, off offset:704
	v_add_f64_e32 v[147:148], v[147:148], v[159:160]
	v_add_f64_e32 v[149:150], v[149:150], v[155:156]
	s_wait_loadcnt_dscnt 0x800
	v_mul_f64_e32 v[155:156], v[6:7], v[145:146]
	v_mul_f64_e32 v[145:146], v[8:9], v[145:146]
	v_fma_f64 v[153:154], v[4:5], v[38:39], v[153:154]
	v_fma_f64 v[159:160], v[2:3], v[38:39], -v[40:41]
	ds_load_b128 v[2:5], v1 offset:1344
	scratch_load_b128 v[38:41], off, off offset:720
	v_add_f64_e32 v[147:148], v[147:148], v[157:158]
	v_add_f64_e32 v[149:150], v[149:150], v[151:152]
	v_fma_f64 v[155:156], v[8:9], v[143:144], v[155:156]
	v_fma_f64 v[157:158], v[6:7], v[143:144], -v[145:146]
	ds_load_b128 v[6:9], v1 offset:1360
	scratch_load_b128 v[143:146], off, off offset:736
	s_wait_loadcnt_dscnt 0x901
	v_mul_f64_e32 v[151:152], v[2:3], v[36:37]
	v_mul_f64_e32 v[36:37], v[4:5], v[36:37]
	v_add_f64_e32 v[147:148], v[147:148], v[159:160]
	v_add_f64_e32 v[149:150], v[149:150], v[153:154]
	s_wait_loadcnt_dscnt 0x800
	v_mul_f64_e32 v[153:154], v[6:7], v[141:142]
	v_mul_f64_e32 v[141:142], v[8:9], v[141:142]
	v_fma_f64 v[151:152], v[4:5], v[34:35], v[151:152]
	v_fma_f64 v[159:160], v[2:3], v[34:35], -v[36:37]
	ds_load_b128 v[2:5], v1 offset:1376
	scratch_load_b128 v[34:37], off, off offset:752
	v_add_f64_e32 v[147:148], v[147:148], v[157:158]
	v_add_f64_e32 v[149:150], v[149:150], v[155:156]
	v_fma_f64 v[153:154], v[8:9], v[139:140], v[153:154]
	v_fma_f64 v[157:158], v[6:7], v[139:140], -v[141:142]
	ds_load_b128 v[6:9], v1 offset:1392
	s_wait_loadcnt_dscnt 0x801
	v_mul_f64_e32 v[155:156], v[2:3], v[12:13]
	v_mul_f64_e32 v[12:13], v[4:5], v[12:13]
	scratch_load_b128 v[139:142], off, off offset:768
	v_add_f64_e32 v[147:148], v[147:148], v[159:160]
	v_add_f64_e32 v[149:150], v[149:150], v[151:152]
	s_wait_loadcnt_dscnt 0x800
	v_mul_f64_e32 v[151:152], v[6:7], v[16:17]
	v_mul_f64_e32 v[16:17], v[8:9], v[16:17]
	v_fma_f64 v[155:156], v[4:5], v[10:11], v[155:156]
	v_fma_f64 v[10:11], v[2:3], v[10:11], -v[12:13]
	ds_load_b128 v[2:5], v1 offset:1408
	v_add_f64_e32 v[12:13], v[147:148], v[157:158]
	v_add_f64_e32 v[147:148], v[149:150], v[153:154]
	v_fma_f64 v[151:152], v[8:9], v[14:15], v[151:152]
	v_fma_f64 v[14:15], v[6:7], v[14:15], -v[16:17]
	ds_load_b128 v[6:9], v1 offset:1424
	s_wait_loadcnt_dscnt 0x701
	v_mul_f64_e32 v[149:150], v[2:3], v[20:21]
	v_mul_f64_e32 v[20:21], v[4:5], v[20:21]
	v_add_f64_e32 v[10:11], v[12:13], v[10:11]
	v_add_f64_e32 v[12:13], v[147:148], v[155:156]
	s_delay_alu instid0(VALU_DEP_4) | instskip(NEXT) | instid1(VALU_DEP_4)
	v_fma_f64 v[147:148], v[4:5], v[18:19], v[149:150]
	v_fma_f64 v[18:19], v[2:3], v[18:19], -v[20:21]
	ds_load_b128 v[2:5], v1 offset:1440
	v_add_f64_e32 v[14:15], v[10:11], v[14:15]
	v_add_f64_e32 v[20:21], v[12:13], v[151:152]
	scratch_load_b128 v[10:13], off, off offset:416
	s_wait_loadcnt_dscnt 0x701
	v_mul_f64_e32 v[16:17], v[6:7], v[24:25]
	v_mul_f64_e32 v[24:25], v[8:9], v[24:25]
	v_add_f64_e32 v[14:15], v[14:15], v[18:19]
	v_add_f64_e32 v[18:19], v[20:21], v[147:148]
	s_delay_alu instid0(VALU_DEP_4) | instskip(NEXT) | instid1(VALU_DEP_4)
	v_fma_f64 v[16:17], v[8:9], v[22:23], v[16:17]
	v_fma_f64 v[22:23], v[6:7], v[22:23], -v[24:25]
	ds_load_b128 v[6:9], v1 offset:1456
	s_wait_loadcnt_dscnt 0x601
	v_mul_f64_e32 v[149:150], v[2:3], v[28:29]
	v_mul_f64_e32 v[28:29], v[4:5], v[28:29]
	s_wait_loadcnt_dscnt 0x500
	v_mul_f64_e32 v[20:21], v[6:7], v[32:33]
	v_mul_f64_e32 v[24:25], v[8:9], v[32:33]
	v_add_f64_e32 v[16:17], v[18:19], v[16:17]
	v_add_f64_e32 v[14:15], v[14:15], v[22:23]
	v_fma_f64 v[32:33], v[4:5], v[26:27], v[149:150]
	v_fma_f64 v[26:27], v[2:3], v[26:27], -v[28:29]
	ds_load_b128 v[2:5], v1 offset:1472
	v_fma_f64 v[20:21], v[8:9], v[30:31], v[20:21]
	v_fma_f64 v[24:25], v[6:7], v[30:31], -v[24:25]
	ds_load_b128 v[6:9], v1 offset:1488
	s_wait_loadcnt_dscnt 0x401
	v_mul_f64_e32 v[18:19], v[2:3], v[40:41]
	v_mul_f64_e32 v[22:23], v[4:5], v[40:41]
	v_add_f64_e32 v[16:17], v[16:17], v[32:33]
	v_add_f64_e32 v[14:15], v[14:15], v[26:27]
	s_wait_loadcnt_dscnt 0x300
	v_mul_f64_e32 v[26:27], v[6:7], v[145:146]
	v_mul_f64_e32 v[28:29], v[8:9], v[145:146]
	v_fma_f64 v[18:19], v[4:5], v[38:39], v[18:19]
	v_fma_f64 v[22:23], v[2:3], v[38:39], -v[22:23]
	ds_load_b128 v[2:5], v1 offset:1504
	v_add_f64_e32 v[16:17], v[16:17], v[20:21]
	v_add_f64_e32 v[14:15], v[14:15], v[24:25]
	v_fma_f64 v[26:27], v[8:9], v[143:144], v[26:27]
	v_fma_f64 v[28:29], v[6:7], v[143:144], -v[28:29]
	ds_load_b128 v[6:9], v1 offset:1520
	s_wait_loadcnt_dscnt 0x201
	v_mul_f64_e32 v[20:21], v[2:3], v[36:37]
	v_mul_f64_e32 v[24:25], v[4:5], v[36:37]
	v_add_f64_e32 v[16:17], v[16:17], v[18:19]
	v_add_f64_e32 v[14:15], v[14:15], v[22:23]
	s_wait_loadcnt_dscnt 0x100
	v_mul_f64_e32 v[18:19], v[6:7], v[141:142]
	v_mul_f64_e32 v[22:23], v[8:9], v[141:142]
	v_fma_f64 v[4:5], v[4:5], v[34:35], v[20:21]
	v_fma_f64 v[1:2], v[2:3], v[34:35], -v[24:25]
	v_add_f64_e32 v[16:17], v[16:17], v[26:27]
	v_add_f64_e32 v[14:15], v[14:15], v[28:29]
	v_fma_f64 v[8:9], v[8:9], v[139:140], v[18:19]
	v_fma_f64 v[6:7], v[6:7], v[139:140], -v[22:23]
	s_delay_alu instid0(VALU_DEP_4) | instskip(NEXT) | instid1(VALU_DEP_4)
	v_add_f64_e32 v[3:4], v[16:17], v[4:5]
	v_add_f64_e32 v[1:2], v[14:15], v[1:2]
	s_delay_alu instid0(VALU_DEP_2) | instskip(NEXT) | instid1(VALU_DEP_2)
	v_add_f64_e32 v[3:4], v[3:4], v[8:9]
	v_add_f64_e32 v[1:2], v[1:2], v[6:7]
	s_wait_loadcnt 0x0
	s_delay_alu instid0(VALU_DEP_2) | instskip(NEXT) | instid1(VALU_DEP_2)
	v_add_f64_e64 v[3:4], v[12:13], -v[3:4]
	v_add_f64_e64 v[1:2], v[10:11], -v[1:2]
	scratch_store_b128 off, v[1:4], off offset:416
	v_cmpx_lt_u32_e32 24, v0
	s_cbranch_execz .LBB47_253
; %bb.252:
	scratch_load_b128 v[1:4], off, s28
	v_mov_b32_e32 v5, 0
	s_delay_alu instid0(VALU_DEP_1)
	v_dual_mov_b32 v6, v5 :: v_dual_mov_b32 v7, v5
	v_mov_b32_e32 v8, v5
	scratch_store_b128 off, v[5:8], off offset:400
	s_wait_loadcnt 0x0
	ds_store_b128 v138, v[1:4]
.LBB47_253:
	s_wait_alu 0xfffe
	s_or_b32 exec_lo, exec_lo, s0
	s_wait_storecnt_dscnt 0x0
	s_barrier_signal -1
	s_barrier_wait -1
	global_inv scope:SCOPE_SE
	s_clause 0x7
	scratch_load_b128 v[2:5], off, off offset:416
	scratch_load_b128 v[6:9], off, off offset:432
	;; [unrolled: 1-line block ×8, first 2 shown]
	v_mov_b32_e32 v1, 0
	s_clause 0x1
	scratch_load_b128 v[38:41], off, off offset:544
	scratch_load_b128 v[143:146], off, off offset:560
	s_mov_b32 s0, exec_lo
	ds_load_b128 v[34:37], v1 offset:1168
	ds_load_b128 v[139:142], v1 offset:1184
	s_wait_loadcnt_dscnt 0x901
	v_mul_f64_e32 v[147:148], v[36:37], v[4:5]
	v_mul_f64_e32 v[4:5], v[34:35], v[4:5]
	s_wait_loadcnt_dscnt 0x800
	v_mul_f64_e32 v[149:150], v[139:140], v[8:9]
	v_mul_f64_e32 v[8:9], v[141:142], v[8:9]
	s_delay_alu instid0(VALU_DEP_4) | instskip(NEXT) | instid1(VALU_DEP_4)
	v_fma_f64 v[147:148], v[34:35], v[2:3], -v[147:148]
	v_fma_f64 v[151:152], v[36:37], v[2:3], v[4:5]
	ds_load_b128 v[2:5], v1 offset:1200
	scratch_load_b128 v[34:37], off, off offset:576
	v_fma_f64 v[149:150], v[141:142], v[6:7], v[149:150]
	v_fma_f64 v[155:156], v[139:140], v[6:7], -v[8:9]
	ds_load_b128 v[6:9], v1 offset:1216
	scratch_load_b128 v[139:142], off, off offset:592
	s_wait_loadcnt_dscnt 0x901
	v_mul_f64_e32 v[153:154], v[2:3], v[12:13]
	v_mul_f64_e32 v[12:13], v[4:5], v[12:13]
	s_wait_loadcnt_dscnt 0x800
	v_mul_f64_e32 v[157:158], v[6:7], v[16:17]
	v_mul_f64_e32 v[16:17], v[8:9], v[16:17]
	v_add_f64_e32 v[147:148], 0, v[147:148]
	v_add_f64_e32 v[151:152], 0, v[151:152]
	v_fma_f64 v[153:154], v[4:5], v[10:11], v[153:154]
	v_fma_f64 v[159:160], v[2:3], v[10:11], -v[12:13]
	ds_load_b128 v[2:5], v1 offset:1232
	scratch_load_b128 v[10:13], off, off offset:608
	v_add_f64_e32 v[147:148], v[147:148], v[155:156]
	v_add_f64_e32 v[149:150], v[151:152], v[149:150]
	v_fma_f64 v[155:156], v[8:9], v[14:15], v[157:158]
	v_fma_f64 v[157:158], v[6:7], v[14:15], -v[16:17]
	ds_load_b128 v[6:9], v1 offset:1248
	scratch_load_b128 v[14:17], off, off offset:624
	s_wait_loadcnt_dscnt 0x901
	v_mul_f64_e32 v[151:152], v[2:3], v[20:21]
	v_mul_f64_e32 v[20:21], v[4:5], v[20:21]
	v_add_f64_e32 v[147:148], v[147:148], v[159:160]
	v_add_f64_e32 v[149:150], v[149:150], v[153:154]
	s_wait_loadcnt_dscnt 0x800
	v_mul_f64_e32 v[153:154], v[6:7], v[24:25]
	v_mul_f64_e32 v[24:25], v[8:9], v[24:25]
	v_fma_f64 v[151:152], v[4:5], v[18:19], v[151:152]
	v_fma_f64 v[159:160], v[2:3], v[18:19], -v[20:21]
	ds_load_b128 v[2:5], v1 offset:1264
	scratch_load_b128 v[18:21], off, off offset:640
	v_add_f64_e32 v[147:148], v[147:148], v[157:158]
	v_add_f64_e32 v[149:150], v[149:150], v[155:156]
	v_fma_f64 v[153:154], v[8:9], v[22:23], v[153:154]
	v_fma_f64 v[157:158], v[6:7], v[22:23], -v[24:25]
	ds_load_b128 v[6:9], v1 offset:1280
	s_wait_loadcnt_dscnt 0x801
	v_mul_f64_e32 v[155:156], v[2:3], v[28:29]
	v_mul_f64_e32 v[28:29], v[4:5], v[28:29]
	scratch_load_b128 v[22:25], off, off offset:656
	v_add_f64_e32 v[147:148], v[147:148], v[159:160]
	v_add_f64_e32 v[149:150], v[149:150], v[151:152]
	s_wait_loadcnt_dscnt 0x800
	v_mul_f64_e32 v[151:152], v[6:7], v[32:33]
	v_mul_f64_e32 v[32:33], v[8:9], v[32:33]
	v_fma_f64 v[155:156], v[4:5], v[26:27], v[155:156]
	v_fma_f64 v[159:160], v[2:3], v[26:27], -v[28:29]
	ds_load_b128 v[2:5], v1 offset:1296
	scratch_load_b128 v[26:29], off, off offset:672
	v_add_f64_e32 v[147:148], v[147:148], v[157:158]
	v_add_f64_e32 v[149:150], v[149:150], v[153:154]
	v_fma_f64 v[151:152], v[8:9], v[30:31], v[151:152]
	v_fma_f64 v[157:158], v[6:7], v[30:31], -v[32:33]
	ds_load_b128 v[6:9], v1 offset:1312
	s_wait_loadcnt_dscnt 0x801
	v_mul_f64_e32 v[153:154], v[2:3], v[40:41]
	v_mul_f64_e32 v[40:41], v[4:5], v[40:41]
	scratch_load_b128 v[30:33], off, off offset:688
	v_add_f64_e32 v[147:148], v[147:148], v[159:160]
	v_add_f64_e32 v[149:150], v[149:150], v[155:156]
	s_wait_loadcnt_dscnt 0x800
	v_mul_f64_e32 v[155:156], v[6:7], v[145:146]
	v_mul_f64_e32 v[145:146], v[8:9], v[145:146]
	v_fma_f64 v[153:154], v[4:5], v[38:39], v[153:154]
	v_fma_f64 v[159:160], v[2:3], v[38:39], -v[40:41]
	ds_load_b128 v[2:5], v1 offset:1328
	scratch_load_b128 v[38:41], off, off offset:704
	v_add_f64_e32 v[147:148], v[147:148], v[157:158]
	v_add_f64_e32 v[149:150], v[149:150], v[151:152]
	v_fma_f64 v[155:156], v[8:9], v[143:144], v[155:156]
	v_fma_f64 v[157:158], v[6:7], v[143:144], -v[145:146]
	ds_load_b128 v[6:9], v1 offset:1344
	scratch_load_b128 v[143:146], off, off offset:720
	s_wait_loadcnt_dscnt 0x901
	v_mul_f64_e32 v[151:152], v[2:3], v[36:37]
	v_mul_f64_e32 v[36:37], v[4:5], v[36:37]
	v_add_f64_e32 v[147:148], v[147:148], v[159:160]
	v_add_f64_e32 v[149:150], v[149:150], v[153:154]
	s_wait_loadcnt_dscnt 0x800
	v_mul_f64_e32 v[153:154], v[6:7], v[141:142]
	v_mul_f64_e32 v[141:142], v[8:9], v[141:142]
	v_fma_f64 v[151:152], v[4:5], v[34:35], v[151:152]
	v_fma_f64 v[159:160], v[2:3], v[34:35], -v[36:37]
	ds_load_b128 v[2:5], v1 offset:1360
	scratch_load_b128 v[34:37], off, off offset:736
	v_add_f64_e32 v[147:148], v[147:148], v[157:158]
	v_add_f64_e32 v[149:150], v[149:150], v[155:156]
	v_fma_f64 v[153:154], v[8:9], v[139:140], v[153:154]
	v_fma_f64 v[157:158], v[6:7], v[139:140], -v[141:142]
	ds_load_b128 v[6:9], v1 offset:1376
	s_wait_loadcnt_dscnt 0x801
	v_mul_f64_e32 v[155:156], v[2:3], v[12:13]
	v_mul_f64_e32 v[12:13], v[4:5], v[12:13]
	scratch_load_b128 v[139:142], off, off offset:752
	v_add_f64_e32 v[147:148], v[147:148], v[159:160]
	v_add_f64_e32 v[149:150], v[149:150], v[151:152]
	s_wait_loadcnt_dscnt 0x800
	v_mul_f64_e32 v[151:152], v[6:7], v[16:17]
	v_mul_f64_e32 v[16:17], v[8:9], v[16:17]
	v_fma_f64 v[155:156], v[4:5], v[10:11], v[155:156]
	v_fma_f64 v[159:160], v[2:3], v[10:11], -v[12:13]
	ds_load_b128 v[2:5], v1 offset:1392
	scratch_load_b128 v[10:13], off, off offset:768
	v_add_f64_e32 v[147:148], v[147:148], v[157:158]
	v_add_f64_e32 v[149:150], v[149:150], v[153:154]
	v_fma_f64 v[151:152], v[8:9], v[14:15], v[151:152]
	v_fma_f64 v[14:15], v[6:7], v[14:15], -v[16:17]
	ds_load_b128 v[6:9], v1 offset:1408
	s_wait_loadcnt_dscnt 0x801
	v_mul_f64_e32 v[153:154], v[2:3], v[20:21]
	v_mul_f64_e32 v[20:21], v[4:5], v[20:21]
	v_add_f64_e32 v[16:17], v[147:148], v[159:160]
	v_add_f64_e32 v[147:148], v[149:150], v[155:156]
	s_wait_loadcnt_dscnt 0x700
	v_mul_f64_e32 v[149:150], v[6:7], v[24:25]
	v_mul_f64_e32 v[24:25], v[8:9], v[24:25]
	v_fma_f64 v[153:154], v[4:5], v[18:19], v[153:154]
	v_fma_f64 v[18:19], v[2:3], v[18:19], -v[20:21]
	ds_load_b128 v[2:5], v1 offset:1424
	v_add_f64_e32 v[14:15], v[16:17], v[14:15]
	v_add_f64_e32 v[16:17], v[147:148], v[151:152]
	v_fma_f64 v[147:148], v[8:9], v[22:23], v[149:150]
	v_fma_f64 v[22:23], v[6:7], v[22:23], -v[24:25]
	ds_load_b128 v[6:9], v1 offset:1440
	s_wait_loadcnt_dscnt 0x500
	v_mul_f64_e32 v[149:150], v[6:7], v[32:33]
	v_mul_f64_e32 v[32:33], v[8:9], v[32:33]
	v_add_f64_e32 v[18:19], v[14:15], v[18:19]
	v_add_f64_e32 v[24:25], v[16:17], v[153:154]
	scratch_load_b128 v[14:17], off, off offset:400
	v_mul_f64_e32 v[20:21], v[2:3], v[28:29]
	v_mul_f64_e32 v[28:29], v[4:5], v[28:29]
	v_add_f64_e32 v[18:19], v[18:19], v[22:23]
	v_add_f64_e32 v[22:23], v[24:25], v[147:148]
	s_delay_alu instid0(VALU_DEP_4) | instskip(NEXT) | instid1(VALU_DEP_4)
	v_fma_f64 v[20:21], v[4:5], v[26:27], v[20:21]
	v_fma_f64 v[26:27], v[2:3], v[26:27], -v[28:29]
	ds_load_b128 v[2:5], v1 offset:1456
	s_wait_loadcnt_dscnt 0x500
	v_mul_f64_e32 v[24:25], v[2:3], v[40:41]
	v_mul_f64_e32 v[28:29], v[4:5], v[40:41]
	v_fma_f64 v[40:41], v[8:9], v[30:31], v[149:150]
	v_fma_f64 v[30:31], v[6:7], v[30:31], -v[32:33]
	ds_load_b128 v[6:9], v1 offset:1472
	v_add_f64_e32 v[20:21], v[22:23], v[20:21]
	v_add_f64_e32 v[18:19], v[18:19], v[26:27]
	v_fma_f64 v[24:25], v[4:5], v[38:39], v[24:25]
	v_fma_f64 v[28:29], v[2:3], v[38:39], -v[28:29]
	ds_load_b128 v[2:5], v1 offset:1488
	s_wait_loadcnt_dscnt 0x401
	v_mul_f64_e32 v[22:23], v[6:7], v[145:146]
	v_mul_f64_e32 v[26:27], v[8:9], v[145:146]
	v_add_f64_e32 v[20:21], v[20:21], v[40:41]
	v_add_f64_e32 v[18:19], v[18:19], v[30:31]
	s_wait_loadcnt_dscnt 0x300
	v_mul_f64_e32 v[30:31], v[2:3], v[36:37]
	v_mul_f64_e32 v[32:33], v[4:5], v[36:37]
	v_fma_f64 v[22:23], v[8:9], v[143:144], v[22:23]
	v_fma_f64 v[26:27], v[6:7], v[143:144], -v[26:27]
	ds_load_b128 v[6:9], v1 offset:1504
	v_add_f64_e32 v[20:21], v[20:21], v[24:25]
	v_add_f64_e32 v[18:19], v[18:19], v[28:29]
	v_fma_f64 v[30:31], v[4:5], v[34:35], v[30:31]
	v_fma_f64 v[32:33], v[2:3], v[34:35], -v[32:33]
	ds_load_b128 v[2:5], v1 offset:1520
	s_wait_loadcnt_dscnt 0x201
	v_mul_f64_e32 v[24:25], v[6:7], v[141:142]
	v_mul_f64_e32 v[28:29], v[8:9], v[141:142]
	v_add_f64_e32 v[20:21], v[20:21], v[22:23]
	v_add_f64_e32 v[18:19], v[18:19], v[26:27]
	s_wait_loadcnt_dscnt 0x100
	v_mul_f64_e32 v[22:23], v[2:3], v[12:13]
	v_mul_f64_e32 v[12:13], v[4:5], v[12:13]
	v_fma_f64 v[8:9], v[8:9], v[139:140], v[24:25]
	v_fma_f64 v[6:7], v[6:7], v[139:140], -v[28:29]
	v_add_f64_e32 v[20:21], v[20:21], v[30:31]
	v_add_f64_e32 v[18:19], v[18:19], v[32:33]
	v_fma_f64 v[4:5], v[4:5], v[10:11], v[22:23]
	v_fma_f64 v[2:3], v[2:3], v[10:11], -v[12:13]
	s_delay_alu instid0(VALU_DEP_4) | instskip(NEXT) | instid1(VALU_DEP_4)
	v_add_f64_e32 v[8:9], v[20:21], v[8:9]
	v_add_f64_e32 v[6:7], v[18:19], v[6:7]
	s_delay_alu instid0(VALU_DEP_2) | instskip(NEXT) | instid1(VALU_DEP_2)
	v_add_f64_e32 v[4:5], v[8:9], v[4:5]
	v_add_f64_e32 v[2:3], v[6:7], v[2:3]
	s_wait_loadcnt 0x0
	s_delay_alu instid0(VALU_DEP_2) | instskip(NEXT) | instid1(VALU_DEP_2)
	v_add_f64_e64 v[4:5], v[16:17], -v[4:5]
	v_add_f64_e64 v[2:3], v[14:15], -v[2:3]
	scratch_store_b128 off, v[2:5], off offset:400
	v_cmpx_lt_u32_e32 23, v0
	s_cbranch_execz .LBB47_255
; %bb.254:
	scratch_load_b128 v[5:8], off, s27
	v_dual_mov_b32 v2, v1 :: v_dual_mov_b32 v3, v1
	v_mov_b32_e32 v4, v1
	scratch_store_b128 off, v[1:4], off offset:384
	s_wait_loadcnt 0x0
	ds_store_b128 v138, v[5:8]
.LBB47_255:
	s_wait_alu 0xfffe
	s_or_b32 exec_lo, exec_lo, s0
	s_wait_storecnt_dscnt 0x0
	s_barrier_signal -1
	s_barrier_wait -1
	global_inv scope:SCOPE_SE
	s_clause 0x7
	scratch_load_b128 v[2:5], off, off offset:400
	scratch_load_b128 v[6:9], off, off offset:416
	;; [unrolled: 1-line block ×8, first 2 shown]
	ds_load_b128 v[34:37], v1 offset:1152
	ds_load_b128 v[139:142], v1 offset:1168
	s_clause 0x1
	scratch_load_b128 v[38:41], off, off offset:528
	scratch_load_b128 v[143:146], off, off offset:544
	s_mov_b32 s0, exec_lo
	s_wait_loadcnt_dscnt 0x901
	v_mul_f64_e32 v[147:148], v[36:37], v[4:5]
	v_mul_f64_e32 v[4:5], v[34:35], v[4:5]
	s_wait_loadcnt_dscnt 0x800
	v_mul_f64_e32 v[149:150], v[139:140], v[8:9]
	v_mul_f64_e32 v[8:9], v[141:142], v[8:9]
	s_delay_alu instid0(VALU_DEP_4) | instskip(NEXT) | instid1(VALU_DEP_4)
	v_fma_f64 v[147:148], v[34:35], v[2:3], -v[147:148]
	v_fma_f64 v[151:152], v[36:37], v[2:3], v[4:5]
	ds_load_b128 v[2:5], v1 offset:1184
	scratch_load_b128 v[34:37], off, off offset:560
	v_fma_f64 v[149:150], v[141:142], v[6:7], v[149:150]
	v_fma_f64 v[155:156], v[139:140], v[6:7], -v[8:9]
	ds_load_b128 v[6:9], v1 offset:1200
	scratch_load_b128 v[139:142], off, off offset:576
	s_wait_loadcnt_dscnt 0x901
	v_mul_f64_e32 v[153:154], v[2:3], v[12:13]
	v_mul_f64_e32 v[12:13], v[4:5], v[12:13]
	s_wait_loadcnt_dscnt 0x800
	v_mul_f64_e32 v[157:158], v[6:7], v[16:17]
	v_mul_f64_e32 v[16:17], v[8:9], v[16:17]
	v_add_f64_e32 v[147:148], 0, v[147:148]
	v_add_f64_e32 v[151:152], 0, v[151:152]
	v_fma_f64 v[153:154], v[4:5], v[10:11], v[153:154]
	v_fma_f64 v[159:160], v[2:3], v[10:11], -v[12:13]
	ds_load_b128 v[2:5], v1 offset:1216
	scratch_load_b128 v[10:13], off, off offset:592
	v_add_f64_e32 v[147:148], v[147:148], v[155:156]
	v_add_f64_e32 v[149:150], v[151:152], v[149:150]
	v_fma_f64 v[155:156], v[8:9], v[14:15], v[157:158]
	v_fma_f64 v[157:158], v[6:7], v[14:15], -v[16:17]
	ds_load_b128 v[6:9], v1 offset:1232
	scratch_load_b128 v[14:17], off, off offset:608
	s_wait_loadcnt_dscnt 0x901
	v_mul_f64_e32 v[151:152], v[2:3], v[20:21]
	v_mul_f64_e32 v[20:21], v[4:5], v[20:21]
	v_add_f64_e32 v[147:148], v[147:148], v[159:160]
	v_add_f64_e32 v[149:150], v[149:150], v[153:154]
	s_wait_loadcnt_dscnt 0x800
	v_mul_f64_e32 v[153:154], v[6:7], v[24:25]
	v_mul_f64_e32 v[24:25], v[8:9], v[24:25]
	v_fma_f64 v[151:152], v[4:5], v[18:19], v[151:152]
	v_fma_f64 v[159:160], v[2:3], v[18:19], -v[20:21]
	ds_load_b128 v[2:5], v1 offset:1248
	scratch_load_b128 v[18:21], off, off offset:624
	v_add_f64_e32 v[147:148], v[147:148], v[157:158]
	v_add_f64_e32 v[149:150], v[149:150], v[155:156]
	v_fma_f64 v[153:154], v[8:9], v[22:23], v[153:154]
	v_fma_f64 v[157:158], v[6:7], v[22:23], -v[24:25]
	ds_load_b128 v[6:9], v1 offset:1264
	s_wait_loadcnt_dscnt 0x801
	v_mul_f64_e32 v[155:156], v[2:3], v[28:29]
	v_mul_f64_e32 v[28:29], v[4:5], v[28:29]
	scratch_load_b128 v[22:25], off, off offset:640
	v_add_f64_e32 v[147:148], v[147:148], v[159:160]
	v_add_f64_e32 v[149:150], v[149:150], v[151:152]
	s_wait_loadcnt_dscnt 0x800
	v_mul_f64_e32 v[151:152], v[6:7], v[32:33]
	v_mul_f64_e32 v[32:33], v[8:9], v[32:33]
	v_fma_f64 v[155:156], v[4:5], v[26:27], v[155:156]
	v_fma_f64 v[159:160], v[2:3], v[26:27], -v[28:29]
	ds_load_b128 v[2:5], v1 offset:1280
	scratch_load_b128 v[26:29], off, off offset:656
	v_add_f64_e32 v[147:148], v[147:148], v[157:158]
	v_add_f64_e32 v[149:150], v[149:150], v[153:154]
	v_fma_f64 v[151:152], v[8:9], v[30:31], v[151:152]
	v_fma_f64 v[157:158], v[6:7], v[30:31], -v[32:33]
	ds_load_b128 v[6:9], v1 offset:1296
	s_wait_loadcnt_dscnt 0x801
	v_mul_f64_e32 v[153:154], v[2:3], v[40:41]
	v_mul_f64_e32 v[40:41], v[4:5], v[40:41]
	scratch_load_b128 v[30:33], off, off offset:672
	v_add_f64_e32 v[147:148], v[147:148], v[159:160]
	v_add_f64_e32 v[149:150], v[149:150], v[155:156]
	s_wait_loadcnt_dscnt 0x800
	v_mul_f64_e32 v[155:156], v[6:7], v[145:146]
	v_mul_f64_e32 v[145:146], v[8:9], v[145:146]
	v_fma_f64 v[153:154], v[4:5], v[38:39], v[153:154]
	v_fma_f64 v[159:160], v[2:3], v[38:39], -v[40:41]
	ds_load_b128 v[2:5], v1 offset:1312
	scratch_load_b128 v[38:41], off, off offset:688
	v_add_f64_e32 v[147:148], v[147:148], v[157:158]
	v_add_f64_e32 v[149:150], v[149:150], v[151:152]
	v_fma_f64 v[155:156], v[8:9], v[143:144], v[155:156]
	v_fma_f64 v[157:158], v[6:7], v[143:144], -v[145:146]
	ds_load_b128 v[6:9], v1 offset:1328
	scratch_load_b128 v[143:146], off, off offset:704
	s_wait_loadcnt_dscnt 0x901
	v_mul_f64_e32 v[151:152], v[2:3], v[36:37]
	v_mul_f64_e32 v[36:37], v[4:5], v[36:37]
	v_add_f64_e32 v[147:148], v[147:148], v[159:160]
	v_add_f64_e32 v[149:150], v[149:150], v[153:154]
	s_wait_loadcnt_dscnt 0x800
	v_mul_f64_e32 v[153:154], v[6:7], v[141:142]
	v_mul_f64_e32 v[141:142], v[8:9], v[141:142]
	v_fma_f64 v[151:152], v[4:5], v[34:35], v[151:152]
	v_fma_f64 v[159:160], v[2:3], v[34:35], -v[36:37]
	ds_load_b128 v[2:5], v1 offset:1344
	scratch_load_b128 v[34:37], off, off offset:720
	v_add_f64_e32 v[147:148], v[147:148], v[157:158]
	v_add_f64_e32 v[149:150], v[149:150], v[155:156]
	v_fma_f64 v[153:154], v[8:9], v[139:140], v[153:154]
	v_fma_f64 v[157:158], v[6:7], v[139:140], -v[141:142]
	ds_load_b128 v[6:9], v1 offset:1360
	s_wait_loadcnt_dscnt 0x801
	v_mul_f64_e32 v[155:156], v[2:3], v[12:13]
	v_mul_f64_e32 v[12:13], v[4:5], v[12:13]
	scratch_load_b128 v[139:142], off, off offset:736
	v_add_f64_e32 v[147:148], v[147:148], v[159:160]
	v_add_f64_e32 v[149:150], v[149:150], v[151:152]
	s_wait_loadcnt_dscnt 0x800
	v_mul_f64_e32 v[151:152], v[6:7], v[16:17]
	v_mul_f64_e32 v[16:17], v[8:9], v[16:17]
	v_fma_f64 v[155:156], v[4:5], v[10:11], v[155:156]
	v_fma_f64 v[159:160], v[2:3], v[10:11], -v[12:13]
	ds_load_b128 v[2:5], v1 offset:1376
	scratch_load_b128 v[10:13], off, off offset:752
	v_add_f64_e32 v[147:148], v[147:148], v[157:158]
	v_add_f64_e32 v[149:150], v[149:150], v[153:154]
	v_fma_f64 v[151:152], v[8:9], v[14:15], v[151:152]
	v_fma_f64 v[157:158], v[6:7], v[14:15], -v[16:17]
	ds_load_b128 v[6:9], v1 offset:1392
	s_wait_loadcnt_dscnt 0x801
	v_mul_f64_e32 v[153:154], v[2:3], v[20:21]
	v_mul_f64_e32 v[20:21], v[4:5], v[20:21]
	scratch_load_b128 v[14:17], off, off offset:768
	v_add_f64_e32 v[147:148], v[147:148], v[159:160]
	v_add_f64_e32 v[149:150], v[149:150], v[155:156]
	s_wait_loadcnt_dscnt 0x800
	v_mul_f64_e32 v[155:156], v[6:7], v[24:25]
	v_mul_f64_e32 v[24:25], v[8:9], v[24:25]
	v_fma_f64 v[153:154], v[4:5], v[18:19], v[153:154]
	v_fma_f64 v[18:19], v[2:3], v[18:19], -v[20:21]
	ds_load_b128 v[2:5], v1 offset:1408
	v_add_f64_e32 v[20:21], v[147:148], v[157:158]
	v_add_f64_e32 v[147:148], v[149:150], v[151:152]
	v_fma_f64 v[151:152], v[8:9], v[22:23], v[155:156]
	v_fma_f64 v[22:23], v[6:7], v[22:23], -v[24:25]
	ds_load_b128 v[6:9], v1 offset:1424
	s_wait_loadcnt_dscnt 0x701
	v_mul_f64_e32 v[149:150], v[2:3], v[28:29]
	v_mul_f64_e32 v[28:29], v[4:5], v[28:29]
	v_add_f64_e32 v[18:19], v[20:21], v[18:19]
	v_add_f64_e32 v[20:21], v[147:148], v[153:154]
	s_delay_alu instid0(VALU_DEP_4) | instskip(NEXT) | instid1(VALU_DEP_4)
	v_fma_f64 v[147:148], v[4:5], v[26:27], v[149:150]
	v_fma_f64 v[26:27], v[2:3], v[26:27], -v[28:29]
	ds_load_b128 v[2:5], v1 offset:1440
	v_add_f64_e32 v[22:23], v[18:19], v[22:23]
	v_add_f64_e32 v[28:29], v[20:21], v[151:152]
	scratch_load_b128 v[18:21], off, off offset:384
	s_wait_loadcnt_dscnt 0x701
	v_mul_f64_e32 v[24:25], v[6:7], v[32:33]
	v_mul_f64_e32 v[32:33], v[8:9], v[32:33]
	v_add_f64_e32 v[22:23], v[22:23], v[26:27]
	v_add_f64_e32 v[26:27], v[28:29], v[147:148]
	s_delay_alu instid0(VALU_DEP_4) | instskip(NEXT) | instid1(VALU_DEP_4)
	v_fma_f64 v[24:25], v[8:9], v[30:31], v[24:25]
	v_fma_f64 v[30:31], v[6:7], v[30:31], -v[32:33]
	ds_load_b128 v[6:9], v1 offset:1456
	s_wait_loadcnt_dscnt 0x601
	v_mul_f64_e32 v[149:150], v[2:3], v[40:41]
	v_mul_f64_e32 v[40:41], v[4:5], v[40:41]
	s_wait_loadcnt_dscnt 0x500
	v_mul_f64_e32 v[28:29], v[6:7], v[145:146]
	v_mul_f64_e32 v[32:33], v[8:9], v[145:146]
	v_add_f64_e32 v[24:25], v[26:27], v[24:25]
	v_add_f64_e32 v[22:23], v[22:23], v[30:31]
	v_fma_f64 v[145:146], v[4:5], v[38:39], v[149:150]
	v_fma_f64 v[38:39], v[2:3], v[38:39], -v[40:41]
	ds_load_b128 v[2:5], v1 offset:1472
	v_fma_f64 v[28:29], v[8:9], v[143:144], v[28:29]
	v_fma_f64 v[32:33], v[6:7], v[143:144], -v[32:33]
	ds_load_b128 v[6:9], v1 offset:1488
	s_wait_loadcnt_dscnt 0x401
	v_mul_f64_e32 v[26:27], v[2:3], v[36:37]
	v_mul_f64_e32 v[30:31], v[4:5], v[36:37]
	v_add_f64_e32 v[24:25], v[24:25], v[145:146]
	v_add_f64_e32 v[22:23], v[22:23], v[38:39]
	s_wait_loadcnt_dscnt 0x300
	v_mul_f64_e32 v[36:37], v[6:7], v[141:142]
	v_mul_f64_e32 v[38:39], v[8:9], v[141:142]
	v_fma_f64 v[26:27], v[4:5], v[34:35], v[26:27]
	v_fma_f64 v[30:31], v[2:3], v[34:35], -v[30:31]
	ds_load_b128 v[2:5], v1 offset:1504
	v_add_f64_e32 v[24:25], v[24:25], v[28:29]
	v_add_f64_e32 v[22:23], v[22:23], v[32:33]
	v_fma_f64 v[32:33], v[8:9], v[139:140], v[36:37]
	v_fma_f64 v[34:35], v[6:7], v[139:140], -v[38:39]
	ds_load_b128 v[6:9], v1 offset:1520
	s_wait_loadcnt_dscnt 0x201
	v_mul_f64_e32 v[28:29], v[2:3], v[12:13]
	v_mul_f64_e32 v[12:13], v[4:5], v[12:13]
	v_add_f64_e32 v[24:25], v[24:25], v[26:27]
	v_add_f64_e32 v[22:23], v[22:23], v[30:31]
	s_wait_loadcnt_dscnt 0x100
	v_mul_f64_e32 v[26:27], v[6:7], v[16:17]
	v_mul_f64_e32 v[16:17], v[8:9], v[16:17]
	v_fma_f64 v[4:5], v[4:5], v[10:11], v[28:29]
	v_fma_f64 v[1:2], v[2:3], v[10:11], -v[12:13]
	v_add_f64_e32 v[12:13], v[24:25], v[32:33]
	v_add_f64_e32 v[10:11], v[22:23], v[34:35]
	v_fma_f64 v[8:9], v[8:9], v[14:15], v[26:27]
	v_fma_f64 v[6:7], v[6:7], v[14:15], -v[16:17]
	s_delay_alu instid0(VALU_DEP_4) | instskip(NEXT) | instid1(VALU_DEP_4)
	v_add_f64_e32 v[3:4], v[12:13], v[4:5]
	v_add_f64_e32 v[1:2], v[10:11], v[1:2]
	s_delay_alu instid0(VALU_DEP_2) | instskip(NEXT) | instid1(VALU_DEP_2)
	v_add_f64_e32 v[3:4], v[3:4], v[8:9]
	v_add_f64_e32 v[1:2], v[1:2], v[6:7]
	s_wait_loadcnt 0x0
	s_delay_alu instid0(VALU_DEP_2) | instskip(NEXT) | instid1(VALU_DEP_2)
	v_add_f64_e64 v[3:4], v[20:21], -v[3:4]
	v_add_f64_e64 v[1:2], v[18:19], -v[1:2]
	scratch_store_b128 off, v[1:4], off offset:384
	v_cmpx_lt_u32_e32 22, v0
	s_cbranch_execz .LBB47_257
; %bb.256:
	scratch_load_b128 v[1:4], off, s33
	v_mov_b32_e32 v5, 0
	s_delay_alu instid0(VALU_DEP_1)
	v_dual_mov_b32 v6, v5 :: v_dual_mov_b32 v7, v5
	v_mov_b32_e32 v8, v5
	scratch_store_b128 off, v[5:8], off offset:368
	s_wait_loadcnt 0x0
	ds_store_b128 v138, v[1:4]
.LBB47_257:
	s_wait_alu 0xfffe
	s_or_b32 exec_lo, exec_lo, s0
	s_wait_storecnt_dscnt 0x0
	s_barrier_signal -1
	s_barrier_wait -1
	global_inv scope:SCOPE_SE
	s_clause 0x7
	scratch_load_b128 v[2:5], off, off offset:384
	scratch_load_b128 v[6:9], off, off offset:400
	;; [unrolled: 1-line block ×8, first 2 shown]
	v_mov_b32_e32 v1, 0
	s_clause 0x1
	scratch_load_b128 v[38:41], off, off offset:512
	scratch_load_b128 v[143:146], off, off offset:528
	s_mov_b32 s0, exec_lo
	ds_load_b128 v[34:37], v1 offset:1136
	ds_load_b128 v[139:142], v1 offset:1152
	s_wait_loadcnt_dscnt 0x901
	v_mul_f64_e32 v[147:148], v[36:37], v[4:5]
	v_mul_f64_e32 v[4:5], v[34:35], v[4:5]
	s_wait_loadcnt_dscnt 0x800
	v_mul_f64_e32 v[149:150], v[139:140], v[8:9]
	v_mul_f64_e32 v[8:9], v[141:142], v[8:9]
	s_delay_alu instid0(VALU_DEP_4) | instskip(NEXT) | instid1(VALU_DEP_4)
	v_fma_f64 v[147:148], v[34:35], v[2:3], -v[147:148]
	v_fma_f64 v[151:152], v[36:37], v[2:3], v[4:5]
	ds_load_b128 v[2:5], v1 offset:1168
	scratch_load_b128 v[34:37], off, off offset:544
	v_fma_f64 v[149:150], v[141:142], v[6:7], v[149:150]
	v_fma_f64 v[155:156], v[139:140], v[6:7], -v[8:9]
	ds_load_b128 v[6:9], v1 offset:1184
	scratch_load_b128 v[139:142], off, off offset:560
	s_wait_loadcnt_dscnt 0x901
	v_mul_f64_e32 v[153:154], v[2:3], v[12:13]
	v_mul_f64_e32 v[12:13], v[4:5], v[12:13]
	s_wait_loadcnt_dscnt 0x800
	v_mul_f64_e32 v[157:158], v[6:7], v[16:17]
	v_mul_f64_e32 v[16:17], v[8:9], v[16:17]
	v_add_f64_e32 v[147:148], 0, v[147:148]
	v_add_f64_e32 v[151:152], 0, v[151:152]
	v_fma_f64 v[153:154], v[4:5], v[10:11], v[153:154]
	v_fma_f64 v[159:160], v[2:3], v[10:11], -v[12:13]
	ds_load_b128 v[2:5], v1 offset:1200
	scratch_load_b128 v[10:13], off, off offset:576
	v_add_f64_e32 v[147:148], v[147:148], v[155:156]
	v_add_f64_e32 v[149:150], v[151:152], v[149:150]
	v_fma_f64 v[155:156], v[8:9], v[14:15], v[157:158]
	v_fma_f64 v[157:158], v[6:7], v[14:15], -v[16:17]
	ds_load_b128 v[6:9], v1 offset:1216
	scratch_load_b128 v[14:17], off, off offset:592
	s_wait_loadcnt_dscnt 0x901
	v_mul_f64_e32 v[151:152], v[2:3], v[20:21]
	v_mul_f64_e32 v[20:21], v[4:5], v[20:21]
	v_add_f64_e32 v[147:148], v[147:148], v[159:160]
	v_add_f64_e32 v[149:150], v[149:150], v[153:154]
	s_wait_loadcnt_dscnt 0x800
	v_mul_f64_e32 v[153:154], v[6:7], v[24:25]
	v_mul_f64_e32 v[24:25], v[8:9], v[24:25]
	v_fma_f64 v[151:152], v[4:5], v[18:19], v[151:152]
	v_fma_f64 v[159:160], v[2:3], v[18:19], -v[20:21]
	ds_load_b128 v[2:5], v1 offset:1232
	scratch_load_b128 v[18:21], off, off offset:608
	v_add_f64_e32 v[147:148], v[147:148], v[157:158]
	v_add_f64_e32 v[149:150], v[149:150], v[155:156]
	v_fma_f64 v[153:154], v[8:9], v[22:23], v[153:154]
	v_fma_f64 v[157:158], v[6:7], v[22:23], -v[24:25]
	ds_load_b128 v[6:9], v1 offset:1248
	s_wait_loadcnt_dscnt 0x801
	v_mul_f64_e32 v[155:156], v[2:3], v[28:29]
	v_mul_f64_e32 v[28:29], v[4:5], v[28:29]
	scratch_load_b128 v[22:25], off, off offset:624
	v_add_f64_e32 v[147:148], v[147:148], v[159:160]
	v_add_f64_e32 v[149:150], v[149:150], v[151:152]
	s_wait_loadcnt_dscnt 0x800
	v_mul_f64_e32 v[151:152], v[6:7], v[32:33]
	v_mul_f64_e32 v[32:33], v[8:9], v[32:33]
	v_fma_f64 v[155:156], v[4:5], v[26:27], v[155:156]
	v_fma_f64 v[159:160], v[2:3], v[26:27], -v[28:29]
	ds_load_b128 v[2:5], v1 offset:1264
	scratch_load_b128 v[26:29], off, off offset:640
	v_add_f64_e32 v[147:148], v[147:148], v[157:158]
	v_add_f64_e32 v[149:150], v[149:150], v[153:154]
	v_fma_f64 v[151:152], v[8:9], v[30:31], v[151:152]
	v_fma_f64 v[157:158], v[6:7], v[30:31], -v[32:33]
	ds_load_b128 v[6:9], v1 offset:1280
	s_wait_loadcnt_dscnt 0x801
	v_mul_f64_e32 v[153:154], v[2:3], v[40:41]
	v_mul_f64_e32 v[40:41], v[4:5], v[40:41]
	scratch_load_b128 v[30:33], off, off offset:656
	v_add_f64_e32 v[147:148], v[147:148], v[159:160]
	v_add_f64_e32 v[149:150], v[149:150], v[155:156]
	s_wait_loadcnt_dscnt 0x800
	v_mul_f64_e32 v[155:156], v[6:7], v[145:146]
	v_mul_f64_e32 v[145:146], v[8:9], v[145:146]
	v_fma_f64 v[153:154], v[4:5], v[38:39], v[153:154]
	v_fma_f64 v[159:160], v[2:3], v[38:39], -v[40:41]
	ds_load_b128 v[2:5], v1 offset:1296
	scratch_load_b128 v[38:41], off, off offset:672
	v_add_f64_e32 v[147:148], v[147:148], v[157:158]
	v_add_f64_e32 v[149:150], v[149:150], v[151:152]
	v_fma_f64 v[155:156], v[8:9], v[143:144], v[155:156]
	v_fma_f64 v[157:158], v[6:7], v[143:144], -v[145:146]
	ds_load_b128 v[6:9], v1 offset:1312
	scratch_load_b128 v[143:146], off, off offset:688
	s_wait_loadcnt_dscnt 0x901
	v_mul_f64_e32 v[151:152], v[2:3], v[36:37]
	v_mul_f64_e32 v[36:37], v[4:5], v[36:37]
	v_add_f64_e32 v[147:148], v[147:148], v[159:160]
	v_add_f64_e32 v[149:150], v[149:150], v[153:154]
	s_wait_loadcnt_dscnt 0x800
	v_mul_f64_e32 v[153:154], v[6:7], v[141:142]
	v_mul_f64_e32 v[141:142], v[8:9], v[141:142]
	v_fma_f64 v[151:152], v[4:5], v[34:35], v[151:152]
	v_fma_f64 v[159:160], v[2:3], v[34:35], -v[36:37]
	ds_load_b128 v[2:5], v1 offset:1328
	scratch_load_b128 v[34:37], off, off offset:704
	v_add_f64_e32 v[147:148], v[147:148], v[157:158]
	v_add_f64_e32 v[149:150], v[149:150], v[155:156]
	v_fma_f64 v[153:154], v[8:9], v[139:140], v[153:154]
	v_fma_f64 v[157:158], v[6:7], v[139:140], -v[141:142]
	ds_load_b128 v[6:9], v1 offset:1344
	s_wait_loadcnt_dscnt 0x801
	v_mul_f64_e32 v[155:156], v[2:3], v[12:13]
	v_mul_f64_e32 v[12:13], v[4:5], v[12:13]
	scratch_load_b128 v[139:142], off, off offset:720
	v_add_f64_e32 v[147:148], v[147:148], v[159:160]
	v_add_f64_e32 v[149:150], v[149:150], v[151:152]
	s_wait_loadcnt_dscnt 0x800
	v_mul_f64_e32 v[151:152], v[6:7], v[16:17]
	v_mul_f64_e32 v[16:17], v[8:9], v[16:17]
	v_fma_f64 v[155:156], v[4:5], v[10:11], v[155:156]
	v_fma_f64 v[159:160], v[2:3], v[10:11], -v[12:13]
	ds_load_b128 v[2:5], v1 offset:1360
	scratch_load_b128 v[10:13], off, off offset:736
	v_add_f64_e32 v[147:148], v[147:148], v[157:158]
	v_add_f64_e32 v[149:150], v[149:150], v[153:154]
	v_fma_f64 v[151:152], v[8:9], v[14:15], v[151:152]
	v_fma_f64 v[157:158], v[6:7], v[14:15], -v[16:17]
	ds_load_b128 v[6:9], v1 offset:1376
	s_wait_loadcnt_dscnt 0x801
	v_mul_f64_e32 v[153:154], v[2:3], v[20:21]
	v_mul_f64_e32 v[20:21], v[4:5], v[20:21]
	scratch_load_b128 v[14:17], off, off offset:752
	v_add_f64_e32 v[147:148], v[147:148], v[159:160]
	v_add_f64_e32 v[149:150], v[149:150], v[155:156]
	s_wait_loadcnt_dscnt 0x800
	v_mul_f64_e32 v[155:156], v[6:7], v[24:25]
	v_mul_f64_e32 v[24:25], v[8:9], v[24:25]
	v_fma_f64 v[153:154], v[4:5], v[18:19], v[153:154]
	v_fma_f64 v[159:160], v[2:3], v[18:19], -v[20:21]
	ds_load_b128 v[2:5], v1 offset:1392
	scratch_load_b128 v[18:21], off, off offset:768
	v_add_f64_e32 v[147:148], v[147:148], v[157:158]
	v_add_f64_e32 v[149:150], v[149:150], v[151:152]
	v_fma_f64 v[155:156], v[8:9], v[22:23], v[155:156]
	v_fma_f64 v[22:23], v[6:7], v[22:23], -v[24:25]
	ds_load_b128 v[6:9], v1 offset:1408
	s_wait_loadcnt_dscnt 0x801
	v_mul_f64_e32 v[151:152], v[2:3], v[28:29]
	v_mul_f64_e32 v[28:29], v[4:5], v[28:29]
	v_add_f64_e32 v[24:25], v[147:148], v[159:160]
	v_add_f64_e32 v[147:148], v[149:150], v[153:154]
	s_wait_loadcnt_dscnt 0x700
	v_mul_f64_e32 v[149:150], v[6:7], v[32:33]
	v_mul_f64_e32 v[32:33], v[8:9], v[32:33]
	v_fma_f64 v[151:152], v[4:5], v[26:27], v[151:152]
	v_fma_f64 v[26:27], v[2:3], v[26:27], -v[28:29]
	ds_load_b128 v[2:5], v1 offset:1424
	v_add_f64_e32 v[22:23], v[24:25], v[22:23]
	v_add_f64_e32 v[24:25], v[147:148], v[155:156]
	v_fma_f64 v[147:148], v[8:9], v[30:31], v[149:150]
	v_fma_f64 v[30:31], v[6:7], v[30:31], -v[32:33]
	ds_load_b128 v[6:9], v1 offset:1440
	s_wait_loadcnt_dscnt 0x500
	v_mul_f64_e32 v[149:150], v[6:7], v[145:146]
	v_mul_f64_e32 v[145:146], v[8:9], v[145:146]
	v_add_f64_e32 v[26:27], v[22:23], v[26:27]
	v_add_f64_e32 v[32:33], v[24:25], v[151:152]
	scratch_load_b128 v[22:25], off, off offset:368
	v_mul_f64_e32 v[28:29], v[2:3], v[40:41]
	v_mul_f64_e32 v[40:41], v[4:5], v[40:41]
	v_add_f64_e32 v[26:27], v[26:27], v[30:31]
	v_add_f64_e32 v[30:31], v[32:33], v[147:148]
	s_delay_alu instid0(VALU_DEP_4) | instskip(NEXT) | instid1(VALU_DEP_4)
	v_fma_f64 v[28:29], v[4:5], v[38:39], v[28:29]
	v_fma_f64 v[38:39], v[2:3], v[38:39], -v[40:41]
	ds_load_b128 v[2:5], v1 offset:1456
	v_fma_f64 v[40:41], v[8:9], v[143:144], v[149:150]
	v_fma_f64 v[143:144], v[6:7], v[143:144], -v[145:146]
	ds_load_b128 v[6:9], v1 offset:1472
	s_wait_loadcnt_dscnt 0x501
	v_mul_f64_e32 v[32:33], v[2:3], v[36:37]
	v_mul_f64_e32 v[36:37], v[4:5], v[36:37]
	v_add_f64_e32 v[28:29], v[30:31], v[28:29]
	v_add_f64_e32 v[26:27], v[26:27], v[38:39]
	s_wait_loadcnt_dscnt 0x400
	v_mul_f64_e32 v[30:31], v[6:7], v[141:142]
	v_mul_f64_e32 v[38:39], v[8:9], v[141:142]
	v_fma_f64 v[32:33], v[4:5], v[34:35], v[32:33]
	v_fma_f64 v[34:35], v[2:3], v[34:35], -v[36:37]
	ds_load_b128 v[2:5], v1 offset:1488
	v_add_f64_e32 v[28:29], v[28:29], v[40:41]
	v_add_f64_e32 v[26:27], v[26:27], v[143:144]
	v_fma_f64 v[30:31], v[8:9], v[139:140], v[30:31]
	v_fma_f64 v[38:39], v[6:7], v[139:140], -v[38:39]
	ds_load_b128 v[6:9], v1 offset:1504
	s_wait_loadcnt_dscnt 0x301
	v_mul_f64_e32 v[36:37], v[2:3], v[12:13]
	v_mul_f64_e32 v[12:13], v[4:5], v[12:13]
	v_add_f64_e32 v[28:29], v[28:29], v[32:33]
	v_add_f64_e32 v[26:27], v[26:27], v[34:35]
	s_wait_loadcnt_dscnt 0x200
	v_mul_f64_e32 v[32:33], v[6:7], v[16:17]
	v_mul_f64_e32 v[16:17], v[8:9], v[16:17]
	v_fma_f64 v[34:35], v[4:5], v[10:11], v[36:37]
	v_fma_f64 v[10:11], v[2:3], v[10:11], -v[12:13]
	ds_load_b128 v[2:5], v1 offset:1520
	v_add_f64_e32 v[12:13], v[26:27], v[38:39]
	v_add_f64_e32 v[26:27], v[28:29], v[30:31]
	s_wait_loadcnt_dscnt 0x100
	v_mul_f64_e32 v[28:29], v[2:3], v[20:21]
	v_mul_f64_e32 v[20:21], v[4:5], v[20:21]
	v_fma_f64 v[8:9], v[8:9], v[14:15], v[32:33]
	v_fma_f64 v[6:7], v[6:7], v[14:15], -v[16:17]
	v_add_f64_e32 v[10:11], v[12:13], v[10:11]
	v_add_f64_e32 v[12:13], v[26:27], v[34:35]
	v_fma_f64 v[4:5], v[4:5], v[18:19], v[28:29]
	v_fma_f64 v[2:3], v[2:3], v[18:19], -v[20:21]
	s_delay_alu instid0(VALU_DEP_4) | instskip(NEXT) | instid1(VALU_DEP_4)
	v_add_f64_e32 v[6:7], v[10:11], v[6:7]
	v_add_f64_e32 v[8:9], v[12:13], v[8:9]
	s_delay_alu instid0(VALU_DEP_2) | instskip(NEXT) | instid1(VALU_DEP_2)
	v_add_f64_e32 v[2:3], v[6:7], v[2:3]
	v_add_f64_e32 v[4:5], v[8:9], v[4:5]
	s_wait_loadcnt 0x0
	s_delay_alu instid0(VALU_DEP_2) | instskip(NEXT) | instid1(VALU_DEP_2)
	v_add_f64_e64 v[2:3], v[22:23], -v[2:3]
	v_add_f64_e64 v[4:5], v[24:25], -v[4:5]
	scratch_store_b128 off, v[2:5], off offset:368
	v_cmpx_lt_u32_e32 21, v0
	s_cbranch_execz .LBB47_259
; %bb.258:
	scratch_load_b128 v[5:8], off, s31
	v_dual_mov_b32 v2, v1 :: v_dual_mov_b32 v3, v1
	v_mov_b32_e32 v4, v1
	scratch_store_b128 off, v[1:4], off offset:352
	s_wait_loadcnt 0x0
	ds_store_b128 v138, v[5:8]
.LBB47_259:
	s_wait_alu 0xfffe
	s_or_b32 exec_lo, exec_lo, s0
	s_wait_storecnt_dscnt 0x0
	s_barrier_signal -1
	s_barrier_wait -1
	global_inv scope:SCOPE_SE
	s_clause 0x7
	scratch_load_b128 v[2:5], off, off offset:368
	scratch_load_b128 v[6:9], off, off offset:384
	;; [unrolled: 1-line block ×8, first 2 shown]
	ds_load_b128 v[34:37], v1 offset:1120
	ds_load_b128 v[139:142], v1 offset:1136
	s_clause 0x1
	scratch_load_b128 v[38:41], off, off offset:496
	scratch_load_b128 v[143:146], off, off offset:512
	s_mov_b32 s0, exec_lo
	s_wait_loadcnt_dscnt 0x901
	v_mul_f64_e32 v[147:148], v[36:37], v[4:5]
	v_mul_f64_e32 v[4:5], v[34:35], v[4:5]
	s_wait_loadcnt_dscnt 0x800
	v_mul_f64_e32 v[149:150], v[139:140], v[8:9]
	v_mul_f64_e32 v[8:9], v[141:142], v[8:9]
	s_delay_alu instid0(VALU_DEP_4) | instskip(NEXT) | instid1(VALU_DEP_4)
	v_fma_f64 v[147:148], v[34:35], v[2:3], -v[147:148]
	v_fma_f64 v[151:152], v[36:37], v[2:3], v[4:5]
	ds_load_b128 v[2:5], v1 offset:1152
	scratch_load_b128 v[34:37], off, off offset:528
	v_fma_f64 v[149:150], v[141:142], v[6:7], v[149:150]
	v_fma_f64 v[155:156], v[139:140], v[6:7], -v[8:9]
	ds_load_b128 v[6:9], v1 offset:1168
	scratch_load_b128 v[139:142], off, off offset:544
	s_wait_loadcnt_dscnt 0x901
	v_mul_f64_e32 v[153:154], v[2:3], v[12:13]
	v_mul_f64_e32 v[12:13], v[4:5], v[12:13]
	s_wait_loadcnt_dscnt 0x800
	v_mul_f64_e32 v[157:158], v[6:7], v[16:17]
	v_mul_f64_e32 v[16:17], v[8:9], v[16:17]
	v_add_f64_e32 v[147:148], 0, v[147:148]
	v_add_f64_e32 v[151:152], 0, v[151:152]
	v_fma_f64 v[153:154], v[4:5], v[10:11], v[153:154]
	v_fma_f64 v[159:160], v[2:3], v[10:11], -v[12:13]
	ds_load_b128 v[2:5], v1 offset:1184
	scratch_load_b128 v[10:13], off, off offset:560
	v_add_f64_e32 v[147:148], v[147:148], v[155:156]
	v_add_f64_e32 v[149:150], v[151:152], v[149:150]
	v_fma_f64 v[155:156], v[8:9], v[14:15], v[157:158]
	v_fma_f64 v[157:158], v[6:7], v[14:15], -v[16:17]
	ds_load_b128 v[6:9], v1 offset:1200
	scratch_load_b128 v[14:17], off, off offset:576
	s_wait_loadcnt_dscnt 0x901
	v_mul_f64_e32 v[151:152], v[2:3], v[20:21]
	v_mul_f64_e32 v[20:21], v[4:5], v[20:21]
	v_add_f64_e32 v[147:148], v[147:148], v[159:160]
	v_add_f64_e32 v[149:150], v[149:150], v[153:154]
	s_wait_loadcnt_dscnt 0x800
	v_mul_f64_e32 v[153:154], v[6:7], v[24:25]
	v_mul_f64_e32 v[24:25], v[8:9], v[24:25]
	v_fma_f64 v[151:152], v[4:5], v[18:19], v[151:152]
	v_fma_f64 v[159:160], v[2:3], v[18:19], -v[20:21]
	ds_load_b128 v[2:5], v1 offset:1216
	scratch_load_b128 v[18:21], off, off offset:592
	v_add_f64_e32 v[147:148], v[147:148], v[157:158]
	v_add_f64_e32 v[149:150], v[149:150], v[155:156]
	v_fma_f64 v[153:154], v[8:9], v[22:23], v[153:154]
	v_fma_f64 v[157:158], v[6:7], v[22:23], -v[24:25]
	ds_load_b128 v[6:9], v1 offset:1232
	s_wait_loadcnt_dscnt 0x801
	v_mul_f64_e32 v[155:156], v[2:3], v[28:29]
	v_mul_f64_e32 v[28:29], v[4:5], v[28:29]
	scratch_load_b128 v[22:25], off, off offset:608
	v_add_f64_e32 v[147:148], v[147:148], v[159:160]
	v_add_f64_e32 v[149:150], v[149:150], v[151:152]
	s_wait_loadcnt_dscnt 0x800
	v_mul_f64_e32 v[151:152], v[6:7], v[32:33]
	v_mul_f64_e32 v[32:33], v[8:9], v[32:33]
	v_fma_f64 v[155:156], v[4:5], v[26:27], v[155:156]
	v_fma_f64 v[159:160], v[2:3], v[26:27], -v[28:29]
	ds_load_b128 v[2:5], v1 offset:1248
	scratch_load_b128 v[26:29], off, off offset:624
	v_add_f64_e32 v[147:148], v[147:148], v[157:158]
	v_add_f64_e32 v[149:150], v[149:150], v[153:154]
	v_fma_f64 v[151:152], v[8:9], v[30:31], v[151:152]
	v_fma_f64 v[157:158], v[6:7], v[30:31], -v[32:33]
	ds_load_b128 v[6:9], v1 offset:1264
	s_wait_loadcnt_dscnt 0x801
	v_mul_f64_e32 v[153:154], v[2:3], v[40:41]
	v_mul_f64_e32 v[40:41], v[4:5], v[40:41]
	scratch_load_b128 v[30:33], off, off offset:640
	v_add_f64_e32 v[147:148], v[147:148], v[159:160]
	v_add_f64_e32 v[149:150], v[149:150], v[155:156]
	s_wait_loadcnt_dscnt 0x800
	v_mul_f64_e32 v[155:156], v[6:7], v[145:146]
	v_mul_f64_e32 v[145:146], v[8:9], v[145:146]
	v_fma_f64 v[153:154], v[4:5], v[38:39], v[153:154]
	v_fma_f64 v[159:160], v[2:3], v[38:39], -v[40:41]
	ds_load_b128 v[2:5], v1 offset:1280
	scratch_load_b128 v[38:41], off, off offset:656
	v_add_f64_e32 v[147:148], v[147:148], v[157:158]
	v_add_f64_e32 v[149:150], v[149:150], v[151:152]
	v_fma_f64 v[155:156], v[8:9], v[143:144], v[155:156]
	v_fma_f64 v[157:158], v[6:7], v[143:144], -v[145:146]
	ds_load_b128 v[6:9], v1 offset:1296
	scratch_load_b128 v[143:146], off, off offset:672
	s_wait_loadcnt_dscnt 0x901
	v_mul_f64_e32 v[151:152], v[2:3], v[36:37]
	v_mul_f64_e32 v[36:37], v[4:5], v[36:37]
	v_add_f64_e32 v[147:148], v[147:148], v[159:160]
	v_add_f64_e32 v[149:150], v[149:150], v[153:154]
	s_wait_loadcnt_dscnt 0x800
	v_mul_f64_e32 v[153:154], v[6:7], v[141:142]
	v_mul_f64_e32 v[141:142], v[8:9], v[141:142]
	v_fma_f64 v[151:152], v[4:5], v[34:35], v[151:152]
	v_fma_f64 v[159:160], v[2:3], v[34:35], -v[36:37]
	ds_load_b128 v[2:5], v1 offset:1312
	scratch_load_b128 v[34:37], off, off offset:688
	v_add_f64_e32 v[147:148], v[147:148], v[157:158]
	v_add_f64_e32 v[149:150], v[149:150], v[155:156]
	v_fma_f64 v[153:154], v[8:9], v[139:140], v[153:154]
	v_fma_f64 v[157:158], v[6:7], v[139:140], -v[141:142]
	ds_load_b128 v[6:9], v1 offset:1328
	s_wait_loadcnt_dscnt 0x801
	v_mul_f64_e32 v[155:156], v[2:3], v[12:13]
	v_mul_f64_e32 v[12:13], v[4:5], v[12:13]
	scratch_load_b128 v[139:142], off, off offset:704
	v_add_f64_e32 v[147:148], v[147:148], v[159:160]
	v_add_f64_e32 v[149:150], v[149:150], v[151:152]
	s_wait_loadcnt_dscnt 0x800
	v_mul_f64_e32 v[151:152], v[6:7], v[16:17]
	v_mul_f64_e32 v[16:17], v[8:9], v[16:17]
	v_fma_f64 v[155:156], v[4:5], v[10:11], v[155:156]
	v_fma_f64 v[159:160], v[2:3], v[10:11], -v[12:13]
	ds_load_b128 v[2:5], v1 offset:1344
	scratch_load_b128 v[10:13], off, off offset:720
	v_add_f64_e32 v[147:148], v[147:148], v[157:158]
	v_add_f64_e32 v[149:150], v[149:150], v[153:154]
	v_fma_f64 v[151:152], v[8:9], v[14:15], v[151:152]
	v_fma_f64 v[157:158], v[6:7], v[14:15], -v[16:17]
	ds_load_b128 v[6:9], v1 offset:1360
	s_wait_loadcnt_dscnt 0x801
	v_mul_f64_e32 v[153:154], v[2:3], v[20:21]
	v_mul_f64_e32 v[20:21], v[4:5], v[20:21]
	scratch_load_b128 v[14:17], off, off offset:736
	;; [unrolled: 18-line block ×3, first 2 shown]
	v_add_f64_e32 v[147:148], v[147:148], v[159:160]
	v_add_f64_e32 v[149:150], v[149:150], v[153:154]
	s_wait_loadcnt_dscnt 0x800
	v_mul_f64_e32 v[153:154], v[6:7], v[32:33]
	v_mul_f64_e32 v[32:33], v[8:9], v[32:33]
	v_fma_f64 v[151:152], v[4:5], v[26:27], v[151:152]
	v_fma_f64 v[26:27], v[2:3], v[26:27], -v[28:29]
	ds_load_b128 v[2:5], v1 offset:1408
	v_add_f64_e32 v[28:29], v[147:148], v[157:158]
	v_add_f64_e32 v[147:148], v[149:150], v[155:156]
	v_fma_f64 v[153:154], v[8:9], v[30:31], v[153:154]
	v_fma_f64 v[30:31], v[6:7], v[30:31], -v[32:33]
	ds_load_b128 v[6:9], v1 offset:1424
	s_wait_loadcnt_dscnt 0x701
	v_mul_f64_e32 v[149:150], v[2:3], v[40:41]
	v_mul_f64_e32 v[40:41], v[4:5], v[40:41]
	v_add_f64_e32 v[26:27], v[28:29], v[26:27]
	v_add_f64_e32 v[28:29], v[147:148], v[151:152]
	s_delay_alu instid0(VALU_DEP_4) | instskip(NEXT) | instid1(VALU_DEP_4)
	v_fma_f64 v[147:148], v[4:5], v[38:39], v[149:150]
	v_fma_f64 v[38:39], v[2:3], v[38:39], -v[40:41]
	ds_load_b128 v[2:5], v1 offset:1440
	v_add_f64_e32 v[30:31], v[26:27], v[30:31]
	v_add_f64_e32 v[40:41], v[28:29], v[153:154]
	scratch_load_b128 v[26:29], off, off offset:352
	s_wait_loadcnt_dscnt 0x701
	v_mul_f64_e32 v[32:33], v[6:7], v[145:146]
	v_mul_f64_e32 v[145:146], v[8:9], v[145:146]
	v_add_f64_e32 v[30:31], v[30:31], v[38:39]
	v_add_f64_e32 v[38:39], v[40:41], v[147:148]
	s_delay_alu instid0(VALU_DEP_4) | instskip(NEXT) | instid1(VALU_DEP_4)
	v_fma_f64 v[32:33], v[8:9], v[143:144], v[32:33]
	v_fma_f64 v[143:144], v[6:7], v[143:144], -v[145:146]
	ds_load_b128 v[6:9], v1 offset:1456
	s_wait_loadcnt_dscnt 0x601
	v_mul_f64_e32 v[149:150], v[2:3], v[36:37]
	v_mul_f64_e32 v[36:37], v[4:5], v[36:37]
	s_wait_loadcnt_dscnt 0x500
	v_mul_f64_e32 v[40:41], v[6:7], v[141:142]
	v_mul_f64_e32 v[141:142], v[8:9], v[141:142]
	v_add_f64_e32 v[32:33], v[38:39], v[32:33]
	v_add_f64_e32 v[30:31], v[30:31], v[143:144]
	v_fma_f64 v[145:146], v[4:5], v[34:35], v[149:150]
	v_fma_f64 v[34:35], v[2:3], v[34:35], -v[36:37]
	ds_load_b128 v[2:5], v1 offset:1472
	v_fma_f64 v[38:39], v[8:9], v[139:140], v[40:41]
	v_fma_f64 v[40:41], v[6:7], v[139:140], -v[141:142]
	ds_load_b128 v[6:9], v1 offset:1488
	s_wait_loadcnt_dscnt 0x401
	v_mul_f64_e32 v[36:37], v[2:3], v[12:13]
	v_mul_f64_e32 v[12:13], v[4:5], v[12:13]
	v_add_f64_e32 v[32:33], v[32:33], v[145:146]
	v_add_f64_e32 v[30:31], v[30:31], v[34:35]
	s_wait_loadcnt_dscnt 0x300
	v_mul_f64_e32 v[34:35], v[6:7], v[16:17]
	v_mul_f64_e32 v[16:17], v[8:9], v[16:17]
	v_fma_f64 v[36:37], v[4:5], v[10:11], v[36:37]
	v_fma_f64 v[10:11], v[2:3], v[10:11], -v[12:13]
	ds_load_b128 v[2:5], v1 offset:1504
	v_add_f64_e32 v[12:13], v[30:31], v[40:41]
	v_add_f64_e32 v[30:31], v[32:33], v[38:39]
	v_fma_f64 v[34:35], v[8:9], v[14:15], v[34:35]
	v_fma_f64 v[14:15], v[6:7], v[14:15], -v[16:17]
	ds_load_b128 v[6:9], v1 offset:1520
	s_wait_loadcnt_dscnt 0x201
	v_mul_f64_e32 v[32:33], v[2:3], v[20:21]
	v_mul_f64_e32 v[20:21], v[4:5], v[20:21]
	s_wait_loadcnt_dscnt 0x100
	v_mul_f64_e32 v[16:17], v[6:7], v[24:25]
	v_mul_f64_e32 v[24:25], v[8:9], v[24:25]
	v_add_f64_e32 v[10:11], v[12:13], v[10:11]
	v_add_f64_e32 v[12:13], v[30:31], v[36:37]
	v_fma_f64 v[4:5], v[4:5], v[18:19], v[32:33]
	v_fma_f64 v[1:2], v[2:3], v[18:19], -v[20:21]
	v_fma_f64 v[8:9], v[8:9], v[22:23], v[16:17]
	v_fma_f64 v[6:7], v[6:7], v[22:23], -v[24:25]
	v_add_f64_e32 v[10:11], v[10:11], v[14:15]
	v_add_f64_e32 v[12:13], v[12:13], v[34:35]
	s_delay_alu instid0(VALU_DEP_2) | instskip(NEXT) | instid1(VALU_DEP_2)
	v_add_f64_e32 v[1:2], v[10:11], v[1:2]
	v_add_f64_e32 v[3:4], v[12:13], v[4:5]
	s_delay_alu instid0(VALU_DEP_2) | instskip(NEXT) | instid1(VALU_DEP_2)
	v_add_f64_e32 v[1:2], v[1:2], v[6:7]
	v_add_f64_e32 v[3:4], v[3:4], v[8:9]
	s_wait_loadcnt 0x0
	s_delay_alu instid0(VALU_DEP_2) | instskip(NEXT) | instid1(VALU_DEP_2)
	v_add_f64_e64 v[1:2], v[26:27], -v[1:2]
	v_add_f64_e64 v[3:4], v[28:29], -v[3:4]
	scratch_store_b128 off, v[1:4], off offset:352
	v_cmpx_lt_u32_e32 20, v0
	s_cbranch_execz .LBB47_261
; %bb.260:
	scratch_load_b128 v[1:4], off, s34
	v_mov_b32_e32 v5, 0
	s_delay_alu instid0(VALU_DEP_1)
	v_dual_mov_b32 v6, v5 :: v_dual_mov_b32 v7, v5
	v_mov_b32_e32 v8, v5
	scratch_store_b128 off, v[5:8], off offset:336
	s_wait_loadcnt 0x0
	ds_store_b128 v138, v[1:4]
.LBB47_261:
	s_wait_alu 0xfffe
	s_or_b32 exec_lo, exec_lo, s0
	s_wait_storecnt_dscnt 0x0
	s_barrier_signal -1
	s_barrier_wait -1
	global_inv scope:SCOPE_SE
	s_clause 0x7
	scratch_load_b128 v[2:5], off, off offset:352
	scratch_load_b128 v[6:9], off, off offset:368
	;; [unrolled: 1-line block ×8, first 2 shown]
	v_mov_b32_e32 v1, 0
	s_clause 0x1
	scratch_load_b128 v[38:41], off, off offset:480
	scratch_load_b128 v[143:146], off, off offset:496
	s_mov_b32 s0, exec_lo
	ds_load_b128 v[34:37], v1 offset:1104
	ds_load_b128 v[139:142], v1 offset:1120
	s_wait_loadcnt_dscnt 0x901
	v_mul_f64_e32 v[147:148], v[36:37], v[4:5]
	v_mul_f64_e32 v[4:5], v[34:35], v[4:5]
	s_wait_loadcnt_dscnt 0x800
	v_mul_f64_e32 v[149:150], v[139:140], v[8:9]
	v_mul_f64_e32 v[8:9], v[141:142], v[8:9]
	s_delay_alu instid0(VALU_DEP_4) | instskip(NEXT) | instid1(VALU_DEP_4)
	v_fma_f64 v[147:148], v[34:35], v[2:3], -v[147:148]
	v_fma_f64 v[151:152], v[36:37], v[2:3], v[4:5]
	ds_load_b128 v[2:5], v1 offset:1136
	scratch_load_b128 v[34:37], off, off offset:512
	v_fma_f64 v[149:150], v[141:142], v[6:7], v[149:150]
	v_fma_f64 v[155:156], v[139:140], v[6:7], -v[8:9]
	ds_load_b128 v[6:9], v1 offset:1152
	scratch_load_b128 v[139:142], off, off offset:528
	s_wait_loadcnt_dscnt 0x901
	v_mul_f64_e32 v[153:154], v[2:3], v[12:13]
	v_mul_f64_e32 v[12:13], v[4:5], v[12:13]
	s_wait_loadcnt_dscnt 0x800
	v_mul_f64_e32 v[157:158], v[6:7], v[16:17]
	v_mul_f64_e32 v[16:17], v[8:9], v[16:17]
	v_add_f64_e32 v[147:148], 0, v[147:148]
	v_add_f64_e32 v[151:152], 0, v[151:152]
	v_fma_f64 v[153:154], v[4:5], v[10:11], v[153:154]
	v_fma_f64 v[159:160], v[2:3], v[10:11], -v[12:13]
	ds_load_b128 v[2:5], v1 offset:1168
	scratch_load_b128 v[10:13], off, off offset:544
	v_add_f64_e32 v[147:148], v[147:148], v[155:156]
	v_add_f64_e32 v[149:150], v[151:152], v[149:150]
	v_fma_f64 v[155:156], v[8:9], v[14:15], v[157:158]
	v_fma_f64 v[157:158], v[6:7], v[14:15], -v[16:17]
	ds_load_b128 v[6:9], v1 offset:1184
	scratch_load_b128 v[14:17], off, off offset:560
	s_wait_loadcnt_dscnt 0x901
	v_mul_f64_e32 v[151:152], v[2:3], v[20:21]
	v_mul_f64_e32 v[20:21], v[4:5], v[20:21]
	v_add_f64_e32 v[147:148], v[147:148], v[159:160]
	v_add_f64_e32 v[149:150], v[149:150], v[153:154]
	s_wait_loadcnt_dscnt 0x800
	v_mul_f64_e32 v[153:154], v[6:7], v[24:25]
	v_mul_f64_e32 v[24:25], v[8:9], v[24:25]
	v_fma_f64 v[151:152], v[4:5], v[18:19], v[151:152]
	v_fma_f64 v[159:160], v[2:3], v[18:19], -v[20:21]
	ds_load_b128 v[2:5], v1 offset:1200
	scratch_load_b128 v[18:21], off, off offset:576
	v_add_f64_e32 v[147:148], v[147:148], v[157:158]
	v_add_f64_e32 v[149:150], v[149:150], v[155:156]
	v_fma_f64 v[153:154], v[8:9], v[22:23], v[153:154]
	v_fma_f64 v[157:158], v[6:7], v[22:23], -v[24:25]
	ds_load_b128 v[6:9], v1 offset:1216
	s_wait_loadcnt_dscnt 0x801
	v_mul_f64_e32 v[155:156], v[2:3], v[28:29]
	v_mul_f64_e32 v[28:29], v[4:5], v[28:29]
	scratch_load_b128 v[22:25], off, off offset:592
	v_add_f64_e32 v[147:148], v[147:148], v[159:160]
	v_add_f64_e32 v[149:150], v[149:150], v[151:152]
	s_wait_loadcnt_dscnt 0x800
	v_mul_f64_e32 v[151:152], v[6:7], v[32:33]
	v_mul_f64_e32 v[32:33], v[8:9], v[32:33]
	v_fma_f64 v[155:156], v[4:5], v[26:27], v[155:156]
	v_fma_f64 v[159:160], v[2:3], v[26:27], -v[28:29]
	ds_load_b128 v[2:5], v1 offset:1232
	scratch_load_b128 v[26:29], off, off offset:608
	v_add_f64_e32 v[147:148], v[147:148], v[157:158]
	v_add_f64_e32 v[149:150], v[149:150], v[153:154]
	v_fma_f64 v[151:152], v[8:9], v[30:31], v[151:152]
	v_fma_f64 v[157:158], v[6:7], v[30:31], -v[32:33]
	ds_load_b128 v[6:9], v1 offset:1248
	s_wait_loadcnt_dscnt 0x801
	v_mul_f64_e32 v[153:154], v[2:3], v[40:41]
	v_mul_f64_e32 v[40:41], v[4:5], v[40:41]
	scratch_load_b128 v[30:33], off, off offset:624
	v_add_f64_e32 v[147:148], v[147:148], v[159:160]
	v_add_f64_e32 v[149:150], v[149:150], v[155:156]
	s_wait_loadcnt_dscnt 0x800
	v_mul_f64_e32 v[155:156], v[6:7], v[145:146]
	v_mul_f64_e32 v[145:146], v[8:9], v[145:146]
	v_fma_f64 v[153:154], v[4:5], v[38:39], v[153:154]
	v_fma_f64 v[159:160], v[2:3], v[38:39], -v[40:41]
	ds_load_b128 v[2:5], v1 offset:1264
	scratch_load_b128 v[38:41], off, off offset:640
	v_add_f64_e32 v[147:148], v[147:148], v[157:158]
	v_add_f64_e32 v[149:150], v[149:150], v[151:152]
	v_fma_f64 v[155:156], v[8:9], v[143:144], v[155:156]
	v_fma_f64 v[157:158], v[6:7], v[143:144], -v[145:146]
	ds_load_b128 v[6:9], v1 offset:1280
	scratch_load_b128 v[143:146], off, off offset:656
	s_wait_loadcnt_dscnt 0x901
	v_mul_f64_e32 v[151:152], v[2:3], v[36:37]
	v_mul_f64_e32 v[36:37], v[4:5], v[36:37]
	v_add_f64_e32 v[147:148], v[147:148], v[159:160]
	v_add_f64_e32 v[149:150], v[149:150], v[153:154]
	s_wait_loadcnt_dscnt 0x800
	v_mul_f64_e32 v[153:154], v[6:7], v[141:142]
	v_mul_f64_e32 v[141:142], v[8:9], v[141:142]
	v_fma_f64 v[151:152], v[4:5], v[34:35], v[151:152]
	v_fma_f64 v[159:160], v[2:3], v[34:35], -v[36:37]
	ds_load_b128 v[2:5], v1 offset:1296
	scratch_load_b128 v[34:37], off, off offset:672
	v_add_f64_e32 v[147:148], v[147:148], v[157:158]
	v_add_f64_e32 v[149:150], v[149:150], v[155:156]
	v_fma_f64 v[153:154], v[8:9], v[139:140], v[153:154]
	v_fma_f64 v[157:158], v[6:7], v[139:140], -v[141:142]
	ds_load_b128 v[6:9], v1 offset:1312
	s_wait_loadcnt_dscnt 0x801
	v_mul_f64_e32 v[155:156], v[2:3], v[12:13]
	v_mul_f64_e32 v[12:13], v[4:5], v[12:13]
	scratch_load_b128 v[139:142], off, off offset:688
	v_add_f64_e32 v[147:148], v[147:148], v[159:160]
	v_add_f64_e32 v[149:150], v[149:150], v[151:152]
	s_wait_loadcnt_dscnt 0x800
	v_mul_f64_e32 v[151:152], v[6:7], v[16:17]
	v_mul_f64_e32 v[16:17], v[8:9], v[16:17]
	v_fma_f64 v[155:156], v[4:5], v[10:11], v[155:156]
	v_fma_f64 v[159:160], v[2:3], v[10:11], -v[12:13]
	ds_load_b128 v[2:5], v1 offset:1328
	scratch_load_b128 v[10:13], off, off offset:704
	v_add_f64_e32 v[147:148], v[147:148], v[157:158]
	v_add_f64_e32 v[149:150], v[149:150], v[153:154]
	v_fma_f64 v[151:152], v[8:9], v[14:15], v[151:152]
	v_fma_f64 v[157:158], v[6:7], v[14:15], -v[16:17]
	ds_load_b128 v[6:9], v1 offset:1344
	s_wait_loadcnt_dscnt 0x801
	v_mul_f64_e32 v[153:154], v[2:3], v[20:21]
	v_mul_f64_e32 v[20:21], v[4:5], v[20:21]
	scratch_load_b128 v[14:17], off, off offset:720
	;; [unrolled: 18-line block ×3, first 2 shown]
	v_add_f64_e32 v[147:148], v[147:148], v[159:160]
	v_add_f64_e32 v[149:150], v[149:150], v[153:154]
	s_wait_loadcnt_dscnt 0x800
	v_mul_f64_e32 v[153:154], v[6:7], v[32:33]
	v_mul_f64_e32 v[32:33], v[8:9], v[32:33]
	v_fma_f64 v[151:152], v[4:5], v[26:27], v[151:152]
	v_fma_f64 v[159:160], v[2:3], v[26:27], -v[28:29]
	ds_load_b128 v[2:5], v1 offset:1392
	scratch_load_b128 v[26:29], off, off offset:768
	v_add_f64_e32 v[147:148], v[147:148], v[157:158]
	v_add_f64_e32 v[149:150], v[149:150], v[155:156]
	v_fma_f64 v[153:154], v[8:9], v[30:31], v[153:154]
	v_fma_f64 v[30:31], v[6:7], v[30:31], -v[32:33]
	ds_load_b128 v[6:9], v1 offset:1408
	s_wait_loadcnt_dscnt 0x801
	v_mul_f64_e32 v[155:156], v[2:3], v[40:41]
	v_mul_f64_e32 v[40:41], v[4:5], v[40:41]
	v_add_f64_e32 v[32:33], v[147:148], v[159:160]
	v_add_f64_e32 v[147:148], v[149:150], v[151:152]
	s_wait_loadcnt_dscnt 0x700
	v_mul_f64_e32 v[149:150], v[6:7], v[145:146]
	v_mul_f64_e32 v[145:146], v[8:9], v[145:146]
	v_fma_f64 v[151:152], v[4:5], v[38:39], v[155:156]
	v_fma_f64 v[38:39], v[2:3], v[38:39], -v[40:41]
	ds_load_b128 v[2:5], v1 offset:1424
	v_add_f64_e32 v[30:31], v[32:33], v[30:31]
	v_add_f64_e32 v[32:33], v[147:148], v[153:154]
	v_fma_f64 v[147:148], v[8:9], v[143:144], v[149:150]
	v_fma_f64 v[143:144], v[6:7], v[143:144], -v[145:146]
	ds_load_b128 v[6:9], v1 offset:1440
	s_wait_loadcnt_dscnt 0x500
	v_mul_f64_e32 v[149:150], v[6:7], v[141:142]
	v_mul_f64_e32 v[141:142], v[8:9], v[141:142]
	v_add_f64_e32 v[38:39], v[30:31], v[38:39]
	v_add_f64_e32 v[145:146], v[32:33], v[151:152]
	scratch_load_b128 v[30:33], off, off offset:336
	v_mul_f64_e32 v[40:41], v[2:3], v[36:37]
	v_mul_f64_e32 v[36:37], v[4:5], v[36:37]
	s_delay_alu instid0(VALU_DEP_2) | instskip(NEXT) | instid1(VALU_DEP_2)
	v_fma_f64 v[40:41], v[4:5], v[34:35], v[40:41]
	v_fma_f64 v[34:35], v[2:3], v[34:35], -v[36:37]
	v_add_f64_e32 v[36:37], v[38:39], v[143:144]
	v_add_f64_e32 v[38:39], v[145:146], v[147:148]
	ds_load_b128 v[2:5], v1 offset:1456
	v_fma_f64 v[145:146], v[8:9], v[139:140], v[149:150]
	v_fma_f64 v[139:140], v[6:7], v[139:140], -v[141:142]
	ds_load_b128 v[6:9], v1 offset:1472
	s_wait_loadcnt_dscnt 0x501
	v_mul_f64_e32 v[143:144], v[2:3], v[12:13]
	v_mul_f64_e32 v[12:13], v[4:5], v[12:13]
	v_add_f64_e32 v[34:35], v[36:37], v[34:35]
	v_add_f64_e32 v[36:37], v[38:39], v[40:41]
	s_wait_loadcnt_dscnt 0x400
	v_mul_f64_e32 v[38:39], v[6:7], v[16:17]
	v_mul_f64_e32 v[16:17], v[8:9], v[16:17]
	v_fma_f64 v[40:41], v[4:5], v[10:11], v[143:144]
	v_fma_f64 v[10:11], v[2:3], v[10:11], -v[12:13]
	ds_load_b128 v[2:5], v1 offset:1488
	v_add_f64_e32 v[12:13], v[34:35], v[139:140]
	v_add_f64_e32 v[34:35], v[36:37], v[145:146]
	v_fma_f64 v[38:39], v[8:9], v[14:15], v[38:39]
	v_fma_f64 v[14:15], v[6:7], v[14:15], -v[16:17]
	ds_load_b128 v[6:9], v1 offset:1504
	s_wait_loadcnt_dscnt 0x301
	v_mul_f64_e32 v[36:37], v[2:3], v[20:21]
	v_mul_f64_e32 v[20:21], v[4:5], v[20:21]
	s_wait_loadcnt_dscnt 0x200
	v_mul_f64_e32 v[16:17], v[6:7], v[24:25]
	v_mul_f64_e32 v[24:25], v[8:9], v[24:25]
	v_add_f64_e32 v[10:11], v[12:13], v[10:11]
	v_add_f64_e32 v[12:13], v[34:35], v[40:41]
	v_fma_f64 v[34:35], v[4:5], v[18:19], v[36:37]
	v_fma_f64 v[18:19], v[2:3], v[18:19], -v[20:21]
	ds_load_b128 v[2:5], v1 offset:1520
	v_fma_f64 v[8:9], v[8:9], v[22:23], v[16:17]
	v_fma_f64 v[6:7], v[6:7], v[22:23], -v[24:25]
	s_wait_loadcnt_dscnt 0x100
	v_mul_f64_e32 v[20:21], v[4:5], v[28:29]
	v_add_f64_e32 v[10:11], v[10:11], v[14:15]
	v_add_f64_e32 v[12:13], v[12:13], v[38:39]
	v_mul_f64_e32 v[14:15], v[2:3], v[28:29]
	s_delay_alu instid0(VALU_DEP_4) | instskip(NEXT) | instid1(VALU_DEP_4)
	v_fma_f64 v[2:3], v[2:3], v[26:27], -v[20:21]
	v_add_f64_e32 v[10:11], v[10:11], v[18:19]
	s_delay_alu instid0(VALU_DEP_4) | instskip(NEXT) | instid1(VALU_DEP_4)
	v_add_f64_e32 v[12:13], v[12:13], v[34:35]
	v_fma_f64 v[4:5], v[4:5], v[26:27], v[14:15]
	s_delay_alu instid0(VALU_DEP_3) | instskip(NEXT) | instid1(VALU_DEP_3)
	v_add_f64_e32 v[6:7], v[10:11], v[6:7]
	v_add_f64_e32 v[8:9], v[12:13], v[8:9]
	s_delay_alu instid0(VALU_DEP_2) | instskip(NEXT) | instid1(VALU_DEP_2)
	v_add_f64_e32 v[2:3], v[6:7], v[2:3]
	v_add_f64_e32 v[4:5], v[8:9], v[4:5]
	s_wait_loadcnt 0x0
	s_delay_alu instid0(VALU_DEP_2) | instskip(NEXT) | instid1(VALU_DEP_2)
	v_add_f64_e64 v[2:3], v[30:31], -v[2:3]
	v_add_f64_e64 v[4:5], v[32:33], -v[4:5]
	scratch_store_b128 off, v[2:5], off offset:336
	v_cmpx_lt_u32_e32 19, v0
	s_cbranch_execz .LBB47_263
; %bb.262:
	scratch_load_b128 v[5:8], off, s37
	v_dual_mov_b32 v2, v1 :: v_dual_mov_b32 v3, v1
	v_mov_b32_e32 v4, v1
	scratch_store_b128 off, v[1:4], off offset:320
	s_wait_loadcnt 0x0
	ds_store_b128 v138, v[5:8]
.LBB47_263:
	s_wait_alu 0xfffe
	s_or_b32 exec_lo, exec_lo, s0
	s_wait_storecnt_dscnt 0x0
	s_barrier_signal -1
	s_barrier_wait -1
	global_inv scope:SCOPE_SE
	s_clause 0x7
	scratch_load_b128 v[2:5], off, off offset:336
	scratch_load_b128 v[6:9], off, off offset:352
	;; [unrolled: 1-line block ×8, first 2 shown]
	ds_load_b128 v[34:37], v1 offset:1088
	ds_load_b128 v[139:142], v1 offset:1104
	s_clause 0x1
	scratch_load_b128 v[38:41], off, off offset:464
	scratch_load_b128 v[143:146], off, off offset:480
	s_mov_b32 s0, exec_lo
	s_wait_loadcnt_dscnt 0x901
	v_mul_f64_e32 v[147:148], v[36:37], v[4:5]
	v_mul_f64_e32 v[4:5], v[34:35], v[4:5]
	s_wait_loadcnt_dscnt 0x800
	v_mul_f64_e32 v[149:150], v[139:140], v[8:9]
	v_mul_f64_e32 v[8:9], v[141:142], v[8:9]
	s_delay_alu instid0(VALU_DEP_4) | instskip(NEXT) | instid1(VALU_DEP_4)
	v_fma_f64 v[147:148], v[34:35], v[2:3], -v[147:148]
	v_fma_f64 v[151:152], v[36:37], v[2:3], v[4:5]
	scratch_load_b128 v[34:37], off, off offset:496
	ds_load_b128 v[2:5], v1 offset:1120
	v_fma_f64 v[149:150], v[141:142], v[6:7], v[149:150]
	v_fma_f64 v[155:156], v[139:140], v[6:7], -v[8:9]
	ds_load_b128 v[6:9], v1 offset:1136
	scratch_load_b128 v[139:142], off, off offset:512
	s_wait_loadcnt_dscnt 0x901
	v_mul_f64_e32 v[153:154], v[2:3], v[12:13]
	v_mul_f64_e32 v[12:13], v[4:5], v[12:13]
	s_wait_loadcnt_dscnt 0x800
	v_mul_f64_e32 v[157:158], v[6:7], v[16:17]
	v_mul_f64_e32 v[16:17], v[8:9], v[16:17]
	v_add_f64_e32 v[147:148], 0, v[147:148]
	v_add_f64_e32 v[151:152], 0, v[151:152]
	v_fma_f64 v[153:154], v[4:5], v[10:11], v[153:154]
	v_fma_f64 v[159:160], v[2:3], v[10:11], -v[12:13]
	ds_load_b128 v[2:5], v1 offset:1152
	scratch_load_b128 v[10:13], off, off offset:528
	v_add_f64_e32 v[147:148], v[147:148], v[155:156]
	v_add_f64_e32 v[149:150], v[151:152], v[149:150]
	v_fma_f64 v[155:156], v[8:9], v[14:15], v[157:158]
	v_fma_f64 v[157:158], v[6:7], v[14:15], -v[16:17]
	ds_load_b128 v[6:9], v1 offset:1168
	scratch_load_b128 v[14:17], off, off offset:544
	s_wait_loadcnt_dscnt 0x901
	v_mul_f64_e32 v[151:152], v[2:3], v[20:21]
	v_mul_f64_e32 v[20:21], v[4:5], v[20:21]
	v_add_f64_e32 v[147:148], v[147:148], v[159:160]
	v_add_f64_e32 v[149:150], v[149:150], v[153:154]
	s_wait_loadcnt_dscnt 0x800
	v_mul_f64_e32 v[153:154], v[6:7], v[24:25]
	v_mul_f64_e32 v[24:25], v[8:9], v[24:25]
	v_fma_f64 v[151:152], v[4:5], v[18:19], v[151:152]
	v_fma_f64 v[159:160], v[2:3], v[18:19], -v[20:21]
	ds_load_b128 v[2:5], v1 offset:1184
	scratch_load_b128 v[18:21], off, off offset:560
	v_add_f64_e32 v[147:148], v[147:148], v[157:158]
	v_add_f64_e32 v[149:150], v[149:150], v[155:156]
	v_fma_f64 v[153:154], v[8:9], v[22:23], v[153:154]
	v_fma_f64 v[157:158], v[6:7], v[22:23], -v[24:25]
	ds_load_b128 v[6:9], v1 offset:1200
	s_wait_loadcnt_dscnt 0x801
	v_mul_f64_e32 v[155:156], v[2:3], v[28:29]
	v_mul_f64_e32 v[28:29], v[4:5], v[28:29]
	scratch_load_b128 v[22:25], off, off offset:576
	v_add_f64_e32 v[147:148], v[147:148], v[159:160]
	v_add_f64_e32 v[149:150], v[149:150], v[151:152]
	s_wait_loadcnt_dscnt 0x800
	v_mul_f64_e32 v[151:152], v[6:7], v[32:33]
	v_mul_f64_e32 v[32:33], v[8:9], v[32:33]
	v_fma_f64 v[155:156], v[4:5], v[26:27], v[155:156]
	v_fma_f64 v[159:160], v[2:3], v[26:27], -v[28:29]
	ds_load_b128 v[2:5], v1 offset:1216
	scratch_load_b128 v[26:29], off, off offset:592
	v_add_f64_e32 v[147:148], v[147:148], v[157:158]
	v_add_f64_e32 v[149:150], v[149:150], v[153:154]
	v_fma_f64 v[151:152], v[8:9], v[30:31], v[151:152]
	v_fma_f64 v[157:158], v[6:7], v[30:31], -v[32:33]
	ds_load_b128 v[6:9], v1 offset:1232
	s_wait_loadcnt_dscnt 0x801
	v_mul_f64_e32 v[153:154], v[2:3], v[40:41]
	v_mul_f64_e32 v[40:41], v[4:5], v[40:41]
	scratch_load_b128 v[30:33], off, off offset:608
	v_add_f64_e32 v[147:148], v[147:148], v[159:160]
	v_add_f64_e32 v[149:150], v[149:150], v[155:156]
	s_wait_loadcnt_dscnt 0x800
	v_mul_f64_e32 v[155:156], v[6:7], v[145:146]
	v_mul_f64_e32 v[145:146], v[8:9], v[145:146]
	v_fma_f64 v[153:154], v[4:5], v[38:39], v[153:154]
	v_fma_f64 v[159:160], v[2:3], v[38:39], -v[40:41]
	ds_load_b128 v[2:5], v1 offset:1248
	scratch_load_b128 v[38:41], off, off offset:624
	v_add_f64_e32 v[147:148], v[147:148], v[157:158]
	v_add_f64_e32 v[149:150], v[149:150], v[151:152]
	v_fma_f64 v[155:156], v[8:9], v[143:144], v[155:156]
	v_fma_f64 v[157:158], v[6:7], v[143:144], -v[145:146]
	ds_load_b128 v[6:9], v1 offset:1264
	scratch_load_b128 v[143:146], off, off offset:640
	s_wait_loadcnt_dscnt 0x901
	v_mul_f64_e32 v[151:152], v[2:3], v[36:37]
	v_mul_f64_e32 v[36:37], v[4:5], v[36:37]
	v_add_f64_e32 v[147:148], v[147:148], v[159:160]
	v_add_f64_e32 v[149:150], v[149:150], v[153:154]
	s_wait_loadcnt_dscnt 0x800
	v_mul_f64_e32 v[153:154], v[6:7], v[141:142]
	v_mul_f64_e32 v[141:142], v[8:9], v[141:142]
	v_fma_f64 v[151:152], v[4:5], v[34:35], v[151:152]
	v_fma_f64 v[159:160], v[2:3], v[34:35], -v[36:37]
	scratch_load_b128 v[34:37], off, off offset:656
	ds_load_b128 v[2:5], v1 offset:1280
	v_add_f64_e32 v[147:148], v[147:148], v[157:158]
	v_add_f64_e32 v[149:150], v[149:150], v[155:156]
	v_fma_f64 v[153:154], v[8:9], v[139:140], v[153:154]
	v_fma_f64 v[157:158], v[6:7], v[139:140], -v[141:142]
	ds_load_b128 v[6:9], v1 offset:1296
	s_wait_loadcnt_dscnt 0x801
	v_mul_f64_e32 v[155:156], v[2:3], v[12:13]
	v_mul_f64_e32 v[12:13], v[4:5], v[12:13]
	scratch_load_b128 v[139:142], off, off offset:672
	v_add_f64_e32 v[147:148], v[147:148], v[159:160]
	v_add_f64_e32 v[149:150], v[149:150], v[151:152]
	s_wait_loadcnt_dscnt 0x800
	v_mul_f64_e32 v[151:152], v[6:7], v[16:17]
	v_mul_f64_e32 v[16:17], v[8:9], v[16:17]
	v_fma_f64 v[155:156], v[4:5], v[10:11], v[155:156]
	v_fma_f64 v[159:160], v[2:3], v[10:11], -v[12:13]
	ds_load_b128 v[2:5], v1 offset:1312
	scratch_load_b128 v[10:13], off, off offset:688
	v_add_f64_e32 v[147:148], v[147:148], v[157:158]
	v_add_f64_e32 v[149:150], v[149:150], v[153:154]
	v_fma_f64 v[151:152], v[8:9], v[14:15], v[151:152]
	v_fma_f64 v[157:158], v[6:7], v[14:15], -v[16:17]
	ds_load_b128 v[6:9], v1 offset:1328
	s_wait_loadcnt_dscnt 0x801
	v_mul_f64_e32 v[153:154], v[2:3], v[20:21]
	v_mul_f64_e32 v[20:21], v[4:5], v[20:21]
	scratch_load_b128 v[14:17], off, off offset:704
	v_add_f64_e32 v[147:148], v[147:148], v[159:160]
	v_add_f64_e32 v[149:150], v[149:150], v[155:156]
	s_wait_loadcnt_dscnt 0x800
	v_mul_f64_e32 v[155:156], v[6:7], v[24:25]
	v_mul_f64_e32 v[24:25], v[8:9], v[24:25]
	v_fma_f64 v[153:154], v[4:5], v[18:19], v[153:154]
	v_fma_f64 v[159:160], v[2:3], v[18:19], -v[20:21]
	ds_load_b128 v[2:5], v1 offset:1344
	scratch_load_b128 v[18:21], off, off offset:720
	;; [unrolled: 18-line block ×3, first 2 shown]
	v_add_f64_e32 v[147:148], v[147:148], v[157:158]
	v_add_f64_e32 v[149:150], v[149:150], v[155:156]
	v_fma_f64 v[153:154], v[8:9], v[30:31], v[153:154]
	v_fma_f64 v[157:158], v[6:7], v[30:31], -v[32:33]
	ds_load_b128 v[6:9], v1 offset:1392
	s_wait_loadcnt_dscnt 0x801
	v_mul_f64_e32 v[155:156], v[2:3], v[40:41]
	v_mul_f64_e32 v[40:41], v[4:5], v[40:41]
	scratch_load_b128 v[30:33], off, off offset:768
	v_add_f64_e32 v[147:148], v[147:148], v[159:160]
	v_add_f64_e32 v[149:150], v[149:150], v[151:152]
	v_fma_f64 v[155:156], v[4:5], v[38:39], v[155:156]
	v_fma_f64 v[38:39], v[2:3], v[38:39], -v[40:41]
	ds_load_b128 v[2:5], v1 offset:1408
	v_add_f64_e32 v[40:41], v[147:148], v[157:158]
	v_add_f64_e32 v[147:148], v[149:150], v[153:154]
	s_wait_loadcnt_dscnt 0x700
	v_mul_f64_e32 v[149:150], v[2:3], v[36:37]
	v_mul_f64_e32 v[36:37], v[4:5], v[36:37]
	s_delay_alu instid0(VALU_DEP_4) | instskip(NEXT) | instid1(VALU_DEP_4)
	v_add_f64_e32 v[38:39], v[40:41], v[38:39]
	v_add_f64_e32 v[40:41], v[147:148], v[155:156]
	s_delay_alu instid0(VALU_DEP_4) | instskip(NEXT) | instid1(VALU_DEP_4)
	v_fma_f64 v[147:148], v[4:5], v[34:35], v[149:150]
	v_fma_f64 v[149:150], v[2:3], v[34:35], -v[36:37]
	scratch_load_b128 v[34:37], off, off offset:320
	v_mul_f64_e32 v[151:152], v[6:7], v[145:146]
	v_mul_f64_e32 v[145:146], v[8:9], v[145:146]
	ds_load_b128 v[2:5], v1 offset:1440
	v_fma_f64 v[151:152], v[8:9], v[143:144], v[151:152]
	v_fma_f64 v[143:144], v[6:7], v[143:144], -v[145:146]
	ds_load_b128 v[6:9], v1 offset:1424
	s_wait_loadcnt_dscnt 0x700
	v_mul_f64_e32 v[145:146], v[6:7], v[141:142]
	v_mul_f64_e32 v[141:142], v[8:9], v[141:142]
	v_add_f64_e32 v[40:41], v[40:41], v[151:152]
	v_add_f64_e32 v[38:39], v[38:39], v[143:144]
	s_wait_loadcnt 0x6
	v_mul_f64_e32 v[143:144], v[2:3], v[12:13]
	v_mul_f64_e32 v[12:13], v[4:5], v[12:13]
	v_fma_f64 v[145:146], v[8:9], v[139:140], v[145:146]
	v_fma_f64 v[139:140], v[6:7], v[139:140], -v[141:142]
	ds_load_b128 v[6:9], v1 offset:1456
	v_add_f64_e32 v[40:41], v[40:41], v[147:148]
	v_add_f64_e32 v[38:39], v[38:39], v[149:150]
	v_fma_f64 v[143:144], v[4:5], v[10:11], v[143:144]
	v_fma_f64 v[10:11], v[2:3], v[10:11], -v[12:13]
	ds_load_b128 v[2:5], v1 offset:1472
	s_wait_loadcnt_dscnt 0x501
	v_mul_f64_e32 v[141:142], v[6:7], v[16:17]
	v_mul_f64_e32 v[16:17], v[8:9], v[16:17]
	v_add_f64_e32 v[12:13], v[38:39], v[139:140]
	v_add_f64_e32 v[38:39], v[40:41], v[145:146]
	s_wait_loadcnt_dscnt 0x400
	v_mul_f64_e32 v[40:41], v[2:3], v[20:21]
	v_mul_f64_e32 v[20:21], v[4:5], v[20:21]
	v_fma_f64 v[139:140], v[8:9], v[14:15], v[141:142]
	v_fma_f64 v[14:15], v[6:7], v[14:15], -v[16:17]
	ds_load_b128 v[6:9], v1 offset:1488
	v_add_f64_e32 v[10:11], v[12:13], v[10:11]
	v_add_f64_e32 v[12:13], v[38:39], v[143:144]
	v_fma_f64 v[38:39], v[4:5], v[18:19], v[40:41]
	v_fma_f64 v[18:19], v[2:3], v[18:19], -v[20:21]
	ds_load_b128 v[2:5], v1 offset:1504
	s_wait_loadcnt_dscnt 0x301
	v_mul_f64_e32 v[16:17], v[6:7], v[24:25]
	v_mul_f64_e32 v[24:25], v[8:9], v[24:25]
	s_wait_loadcnt_dscnt 0x200
	v_mul_f64_e32 v[20:21], v[4:5], v[28:29]
	v_add_f64_e32 v[10:11], v[10:11], v[14:15]
	v_add_f64_e32 v[12:13], v[12:13], v[139:140]
	v_mul_f64_e32 v[14:15], v[2:3], v[28:29]
	v_fma_f64 v[16:17], v[8:9], v[22:23], v[16:17]
	v_fma_f64 v[22:23], v[6:7], v[22:23], -v[24:25]
	ds_load_b128 v[6:9], v1 offset:1520
	v_fma_f64 v[1:2], v[2:3], v[26:27], -v[20:21]
	s_wait_loadcnt_dscnt 0x100
	v_mul_f64_e32 v[24:25], v[8:9], v[32:33]
	v_add_f64_e32 v[10:11], v[10:11], v[18:19]
	v_add_f64_e32 v[12:13], v[12:13], v[38:39]
	v_mul_f64_e32 v[18:19], v[6:7], v[32:33]
	v_fma_f64 v[4:5], v[4:5], v[26:27], v[14:15]
	v_fma_f64 v[6:7], v[6:7], v[30:31], -v[24:25]
	v_add_f64_e32 v[10:11], v[10:11], v[22:23]
	v_add_f64_e32 v[12:13], v[12:13], v[16:17]
	v_fma_f64 v[8:9], v[8:9], v[30:31], v[18:19]
	s_delay_alu instid0(VALU_DEP_3) | instskip(NEXT) | instid1(VALU_DEP_3)
	v_add_f64_e32 v[1:2], v[10:11], v[1:2]
	v_add_f64_e32 v[3:4], v[12:13], v[4:5]
	s_delay_alu instid0(VALU_DEP_2) | instskip(NEXT) | instid1(VALU_DEP_2)
	v_add_f64_e32 v[1:2], v[1:2], v[6:7]
	v_add_f64_e32 v[3:4], v[3:4], v[8:9]
	s_wait_loadcnt 0x0
	s_delay_alu instid0(VALU_DEP_2) | instskip(NEXT) | instid1(VALU_DEP_2)
	v_add_f64_e64 v[1:2], v[34:35], -v[1:2]
	v_add_f64_e64 v[3:4], v[36:37], -v[3:4]
	scratch_store_b128 off, v[1:4], off offset:320
	v_cmpx_lt_u32_e32 18, v0
	s_cbranch_execz .LBB47_265
; %bb.264:
	scratch_load_b128 v[1:4], off, s39
	v_mov_b32_e32 v5, 0
	s_delay_alu instid0(VALU_DEP_1)
	v_dual_mov_b32 v6, v5 :: v_dual_mov_b32 v7, v5
	v_mov_b32_e32 v8, v5
	scratch_store_b128 off, v[5:8], off offset:304
	s_wait_loadcnt 0x0
	ds_store_b128 v138, v[1:4]
.LBB47_265:
	s_wait_alu 0xfffe
	s_or_b32 exec_lo, exec_lo, s0
	s_wait_storecnt_dscnt 0x0
	s_barrier_signal -1
	s_barrier_wait -1
	global_inv scope:SCOPE_SE
	s_clause 0x7
	scratch_load_b128 v[2:5], off, off offset:320
	scratch_load_b128 v[6:9], off, off offset:336
	;; [unrolled: 1-line block ×8, first 2 shown]
	v_mov_b32_e32 v1, 0
	s_clause 0x1
	scratch_load_b128 v[38:41], off, off offset:448
	scratch_load_b128 v[143:146], off, off offset:464
	s_mov_b32 s0, exec_lo
	ds_load_b128 v[34:37], v1 offset:1072
	ds_load_b128 v[139:142], v1 offset:1088
	s_wait_loadcnt_dscnt 0x901
	v_mul_f64_e32 v[147:148], v[36:37], v[4:5]
	v_mul_f64_e32 v[4:5], v[34:35], v[4:5]
	s_wait_loadcnt_dscnt 0x800
	v_mul_f64_e32 v[149:150], v[139:140], v[8:9]
	v_mul_f64_e32 v[8:9], v[141:142], v[8:9]
	s_delay_alu instid0(VALU_DEP_4) | instskip(NEXT) | instid1(VALU_DEP_4)
	v_fma_f64 v[147:148], v[34:35], v[2:3], -v[147:148]
	v_fma_f64 v[151:152], v[36:37], v[2:3], v[4:5]
	ds_load_b128 v[2:5], v1 offset:1104
	scratch_load_b128 v[34:37], off, off offset:480
	v_fma_f64 v[149:150], v[141:142], v[6:7], v[149:150]
	v_fma_f64 v[155:156], v[139:140], v[6:7], -v[8:9]
	ds_load_b128 v[6:9], v1 offset:1120
	scratch_load_b128 v[139:142], off, off offset:496
	s_wait_loadcnt_dscnt 0x901
	v_mul_f64_e32 v[153:154], v[2:3], v[12:13]
	v_mul_f64_e32 v[12:13], v[4:5], v[12:13]
	s_wait_loadcnt_dscnt 0x800
	v_mul_f64_e32 v[157:158], v[6:7], v[16:17]
	v_mul_f64_e32 v[16:17], v[8:9], v[16:17]
	v_add_f64_e32 v[147:148], 0, v[147:148]
	v_add_f64_e32 v[151:152], 0, v[151:152]
	v_fma_f64 v[153:154], v[4:5], v[10:11], v[153:154]
	v_fma_f64 v[159:160], v[2:3], v[10:11], -v[12:13]
	ds_load_b128 v[2:5], v1 offset:1136
	scratch_load_b128 v[10:13], off, off offset:512
	v_add_f64_e32 v[147:148], v[147:148], v[155:156]
	v_add_f64_e32 v[149:150], v[151:152], v[149:150]
	v_fma_f64 v[155:156], v[8:9], v[14:15], v[157:158]
	v_fma_f64 v[157:158], v[6:7], v[14:15], -v[16:17]
	ds_load_b128 v[6:9], v1 offset:1152
	scratch_load_b128 v[14:17], off, off offset:528
	s_wait_loadcnt_dscnt 0x901
	v_mul_f64_e32 v[151:152], v[2:3], v[20:21]
	v_mul_f64_e32 v[20:21], v[4:5], v[20:21]
	v_add_f64_e32 v[147:148], v[147:148], v[159:160]
	v_add_f64_e32 v[149:150], v[149:150], v[153:154]
	s_wait_loadcnt_dscnt 0x800
	v_mul_f64_e32 v[153:154], v[6:7], v[24:25]
	v_mul_f64_e32 v[24:25], v[8:9], v[24:25]
	v_fma_f64 v[151:152], v[4:5], v[18:19], v[151:152]
	v_fma_f64 v[159:160], v[2:3], v[18:19], -v[20:21]
	ds_load_b128 v[2:5], v1 offset:1168
	scratch_load_b128 v[18:21], off, off offset:544
	v_add_f64_e32 v[147:148], v[147:148], v[157:158]
	v_add_f64_e32 v[149:150], v[149:150], v[155:156]
	v_fma_f64 v[153:154], v[8:9], v[22:23], v[153:154]
	v_fma_f64 v[157:158], v[6:7], v[22:23], -v[24:25]
	ds_load_b128 v[6:9], v1 offset:1184
	s_wait_loadcnt_dscnt 0x801
	v_mul_f64_e32 v[155:156], v[2:3], v[28:29]
	v_mul_f64_e32 v[28:29], v[4:5], v[28:29]
	scratch_load_b128 v[22:25], off, off offset:560
	v_add_f64_e32 v[147:148], v[147:148], v[159:160]
	v_add_f64_e32 v[149:150], v[149:150], v[151:152]
	s_wait_loadcnt_dscnt 0x800
	v_mul_f64_e32 v[151:152], v[6:7], v[32:33]
	v_mul_f64_e32 v[32:33], v[8:9], v[32:33]
	v_fma_f64 v[155:156], v[4:5], v[26:27], v[155:156]
	v_fma_f64 v[159:160], v[2:3], v[26:27], -v[28:29]
	ds_load_b128 v[2:5], v1 offset:1200
	scratch_load_b128 v[26:29], off, off offset:576
	v_add_f64_e32 v[147:148], v[147:148], v[157:158]
	v_add_f64_e32 v[149:150], v[149:150], v[153:154]
	v_fma_f64 v[151:152], v[8:9], v[30:31], v[151:152]
	v_fma_f64 v[157:158], v[6:7], v[30:31], -v[32:33]
	ds_load_b128 v[6:9], v1 offset:1216
	s_wait_loadcnt_dscnt 0x801
	v_mul_f64_e32 v[153:154], v[2:3], v[40:41]
	v_mul_f64_e32 v[40:41], v[4:5], v[40:41]
	scratch_load_b128 v[30:33], off, off offset:592
	v_add_f64_e32 v[147:148], v[147:148], v[159:160]
	v_add_f64_e32 v[149:150], v[149:150], v[155:156]
	s_wait_loadcnt_dscnt 0x800
	v_mul_f64_e32 v[155:156], v[6:7], v[145:146]
	v_mul_f64_e32 v[145:146], v[8:9], v[145:146]
	v_fma_f64 v[153:154], v[4:5], v[38:39], v[153:154]
	v_fma_f64 v[159:160], v[2:3], v[38:39], -v[40:41]
	ds_load_b128 v[2:5], v1 offset:1232
	scratch_load_b128 v[38:41], off, off offset:608
	v_add_f64_e32 v[147:148], v[147:148], v[157:158]
	v_add_f64_e32 v[149:150], v[149:150], v[151:152]
	v_fma_f64 v[155:156], v[8:9], v[143:144], v[155:156]
	v_fma_f64 v[157:158], v[6:7], v[143:144], -v[145:146]
	ds_load_b128 v[6:9], v1 offset:1248
	scratch_load_b128 v[143:146], off, off offset:624
	s_wait_loadcnt_dscnt 0x901
	v_mul_f64_e32 v[151:152], v[2:3], v[36:37]
	v_mul_f64_e32 v[36:37], v[4:5], v[36:37]
	v_add_f64_e32 v[147:148], v[147:148], v[159:160]
	v_add_f64_e32 v[149:150], v[149:150], v[153:154]
	s_wait_loadcnt_dscnt 0x800
	v_mul_f64_e32 v[153:154], v[6:7], v[141:142]
	v_mul_f64_e32 v[141:142], v[8:9], v[141:142]
	v_fma_f64 v[151:152], v[4:5], v[34:35], v[151:152]
	v_fma_f64 v[159:160], v[2:3], v[34:35], -v[36:37]
	ds_load_b128 v[2:5], v1 offset:1264
	scratch_load_b128 v[34:37], off, off offset:640
	v_add_f64_e32 v[147:148], v[147:148], v[157:158]
	v_add_f64_e32 v[149:150], v[149:150], v[155:156]
	v_fma_f64 v[153:154], v[8:9], v[139:140], v[153:154]
	v_fma_f64 v[157:158], v[6:7], v[139:140], -v[141:142]
	ds_load_b128 v[6:9], v1 offset:1280
	s_wait_loadcnt_dscnt 0x801
	v_mul_f64_e32 v[155:156], v[2:3], v[12:13]
	v_mul_f64_e32 v[12:13], v[4:5], v[12:13]
	scratch_load_b128 v[139:142], off, off offset:656
	v_add_f64_e32 v[147:148], v[147:148], v[159:160]
	v_add_f64_e32 v[149:150], v[149:150], v[151:152]
	s_wait_loadcnt_dscnt 0x800
	v_mul_f64_e32 v[151:152], v[6:7], v[16:17]
	v_mul_f64_e32 v[16:17], v[8:9], v[16:17]
	v_fma_f64 v[155:156], v[4:5], v[10:11], v[155:156]
	v_fma_f64 v[159:160], v[2:3], v[10:11], -v[12:13]
	ds_load_b128 v[2:5], v1 offset:1296
	scratch_load_b128 v[10:13], off, off offset:672
	v_add_f64_e32 v[147:148], v[147:148], v[157:158]
	v_add_f64_e32 v[149:150], v[149:150], v[153:154]
	v_fma_f64 v[151:152], v[8:9], v[14:15], v[151:152]
	v_fma_f64 v[157:158], v[6:7], v[14:15], -v[16:17]
	ds_load_b128 v[6:9], v1 offset:1312
	s_wait_loadcnt_dscnt 0x801
	v_mul_f64_e32 v[153:154], v[2:3], v[20:21]
	v_mul_f64_e32 v[20:21], v[4:5], v[20:21]
	scratch_load_b128 v[14:17], off, off offset:688
	;; [unrolled: 18-line block ×4, first 2 shown]
	v_add_f64_e32 v[147:148], v[147:148], v[159:160]
	v_add_f64_e32 v[149:150], v[149:150], v[151:152]
	s_wait_loadcnt_dscnt 0x800
	v_mul_f64_e32 v[151:152], v[6:7], v[145:146]
	v_mul_f64_e32 v[145:146], v[8:9], v[145:146]
	v_fma_f64 v[155:156], v[4:5], v[38:39], v[155:156]
	v_fma_f64 v[159:160], v[2:3], v[38:39], -v[40:41]
	ds_load_b128 v[2:5], v1 offset:1392
	scratch_load_b128 v[38:41], off, off offset:768
	v_add_f64_e32 v[147:148], v[147:148], v[157:158]
	v_add_f64_e32 v[149:150], v[149:150], v[153:154]
	v_fma_f64 v[151:152], v[8:9], v[143:144], v[151:152]
	v_fma_f64 v[143:144], v[6:7], v[143:144], -v[145:146]
	ds_load_b128 v[6:9], v1 offset:1408
	s_wait_loadcnt_dscnt 0x801
	v_mul_f64_e32 v[153:154], v[2:3], v[36:37]
	v_mul_f64_e32 v[36:37], v[4:5], v[36:37]
	v_add_f64_e32 v[145:146], v[147:148], v[159:160]
	v_add_f64_e32 v[147:148], v[149:150], v[155:156]
	s_wait_loadcnt_dscnt 0x700
	v_mul_f64_e32 v[149:150], v[6:7], v[141:142]
	v_mul_f64_e32 v[141:142], v[8:9], v[141:142]
	v_fma_f64 v[153:154], v[4:5], v[34:35], v[153:154]
	v_fma_f64 v[34:35], v[2:3], v[34:35], -v[36:37]
	ds_load_b128 v[2:5], v1 offset:1424
	v_add_f64_e32 v[36:37], v[145:146], v[143:144]
	v_add_f64_e32 v[143:144], v[147:148], v[151:152]
	v_fma_f64 v[147:148], v[8:9], v[139:140], v[149:150]
	v_fma_f64 v[139:140], v[6:7], v[139:140], -v[141:142]
	ds_load_b128 v[6:9], v1 offset:1440
	s_wait_loadcnt_dscnt 0x500
	v_mul_f64_e32 v[149:150], v[6:7], v[16:17]
	v_mul_f64_e32 v[16:17], v[8:9], v[16:17]
	v_add_f64_e32 v[141:142], v[36:37], v[34:35]
	v_add_f64_e32 v[143:144], v[143:144], v[153:154]
	scratch_load_b128 v[34:37], off, off offset:304
	v_mul_f64_e32 v[145:146], v[2:3], v[12:13]
	v_mul_f64_e32 v[12:13], v[4:5], v[12:13]
	s_delay_alu instid0(VALU_DEP_2) | instskip(NEXT) | instid1(VALU_DEP_2)
	v_fma_f64 v[145:146], v[4:5], v[10:11], v[145:146]
	v_fma_f64 v[10:11], v[2:3], v[10:11], -v[12:13]
	v_add_f64_e32 v[12:13], v[141:142], v[139:140]
	v_add_f64_e32 v[139:140], v[143:144], v[147:148]
	ds_load_b128 v[2:5], v1 offset:1456
	v_fma_f64 v[143:144], v[8:9], v[14:15], v[149:150]
	v_fma_f64 v[14:15], v[6:7], v[14:15], -v[16:17]
	ds_load_b128 v[6:9], v1 offset:1472
	s_wait_loadcnt_dscnt 0x501
	v_mul_f64_e32 v[141:142], v[2:3], v[20:21]
	v_mul_f64_e32 v[20:21], v[4:5], v[20:21]
	s_wait_loadcnt_dscnt 0x400
	v_mul_f64_e32 v[16:17], v[6:7], v[24:25]
	v_mul_f64_e32 v[24:25], v[8:9], v[24:25]
	v_add_f64_e32 v[10:11], v[12:13], v[10:11]
	v_add_f64_e32 v[12:13], v[139:140], v[145:146]
	v_fma_f64 v[139:140], v[4:5], v[18:19], v[141:142]
	v_fma_f64 v[18:19], v[2:3], v[18:19], -v[20:21]
	ds_load_b128 v[2:5], v1 offset:1488
	v_fma_f64 v[16:17], v[8:9], v[22:23], v[16:17]
	v_fma_f64 v[22:23], v[6:7], v[22:23], -v[24:25]
	ds_load_b128 v[6:9], v1 offset:1504
	v_add_f64_e32 v[10:11], v[10:11], v[14:15]
	v_add_f64_e32 v[12:13], v[12:13], v[143:144]
	s_wait_loadcnt_dscnt 0x301
	v_mul_f64_e32 v[14:15], v[2:3], v[28:29]
	v_mul_f64_e32 v[20:21], v[4:5], v[28:29]
	s_wait_loadcnt_dscnt 0x200
	v_mul_f64_e32 v[24:25], v[8:9], v[32:33]
	v_add_f64_e32 v[10:11], v[10:11], v[18:19]
	v_add_f64_e32 v[12:13], v[12:13], v[139:140]
	v_mul_f64_e32 v[18:19], v[6:7], v[32:33]
	v_fma_f64 v[14:15], v[4:5], v[26:27], v[14:15]
	v_fma_f64 v[20:21], v[2:3], v[26:27], -v[20:21]
	ds_load_b128 v[2:5], v1 offset:1520
	v_fma_f64 v[6:7], v[6:7], v[30:31], -v[24:25]
	v_add_f64_e32 v[10:11], v[10:11], v[22:23]
	v_add_f64_e32 v[12:13], v[12:13], v[16:17]
	s_wait_loadcnt_dscnt 0x100
	v_mul_f64_e32 v[16:17], v[2:3], v[40:41]
	v_mul_f64_e32 v[22:23], v[4:5], v[40:41]
	v_fma_f64 v[8:9], v[8:9], v[30:31], v[18:19]
	v_add_f64_e32 v[10:11], v[10:11], v[20:21]
	v_add_f64_e32 v[12:13], v[12:13], v[14:15]
	v_fma_f64 v[4:5], v[4:5], v[38:39], v[16:17]
	v_fma_f64 v[2:3], v[2:3], v[38:39], -v[22:23]
	s_delay_alu instid0(VALU_DEP_4) | instskip(NEXT) | instid1(VALU_DEP_4)
	v_add_f64_e32 v[6:7], v[10:11], v[6:7]
	v_add_f64_e32 v[8:9], v[12:13], v[8:9]
	s_delay_alu instid0(VALU_DEP_2) | instskip(NEXT) | instid1(VALU_DEP_2)
	v_add_f64_e32 v[2:3], v[6:7], v[2:3]
	v_add_f64_e32 v[4:5], v[8:9], v[4:5]
	s_wait_loadcnt 0x0
	s_delay_alu instid0(VALU_DEP_2) | instskip(NEXT) | instid1(VALU_DEP_2)
	v_add_f64_e64 v[2:3], v[34:35], -v[2:3]
	v_add_f64_e64 v[4:5], v[36:37], -v[4:5]
	scratch_store_b128 off, v[2:5], off offset:304
	v_cmpx_lt_u32_e32 17, v0
	s_cbranch_execz .LBB47_267
; %bb.266:
	scratch_load_b128 v[5:8], off, s38
	v_dual_mov_b32 v2, v1 :: v_dual_mov_b32 v3, v1
	v_mov_b32_e32 v4, v1
	scratch_store_b128 off, v[1:4], off offset:288
	s_wait_loadcnt 0x0
	ds_store_b128 v138, v[5:8]
.LBB47_267:
	s_wait_alu 0xfffe
	s_or_b32 exec_lo, exec_lo, s0
	s_wait_storecnt_dscnt 0x0
	s_barrier_signal -1
	s_barrier_wait -1
	global_inv scope:SCOPE_SE
	s_clause 0x7
	scratch_load_b128 v[2:5], off, off offset:304
	scratch_load_b128 v[6:9], off, off offset:320
	;; [unrolled: 1-line block ×8, first 2 shown]
	ds_load_b128 v[34:37], v1 offset:1056
	ds_load_b128 v[139:142], v1 offset:1072
	s_clause 0x1
	scratch_load_b128 v[38:41], off, off offset:432
	scratch_load_b128 v[143:146], off, off offset:448
	s_mov_b32 s0, exec_lo
	s_wait_loadcnt_dscnt 0x901
	v_mul_f64_e32 v[147:148], v[36:37], v[4:5]
	v_mul_f64_e32 v[4:5], v[34:35], v[4:5]
	s_wait_loadcnt_dscnt 0x800
	v_mul_f64_e32 v[149:150], v[139:140], v[8:9]
	v_mul_f64_e32 v[8:9], v[141:142], v[8:9]
	s_delay_alu instid0(VALU_DEP_4) | instskip(NEXT) | instid1(VALU_DEP_4)
	v_fma_f64 v[147:148], v[34:35], v[2:3], -v[147:148]
	v_fma_f64 v[151:152], v[36:37], v[2:3], v[4:5]
	ds_load_b128 v[2:5], v1 offset:1088
	scratch_load_b128 v[34:37], off, off offset:464
	v_fma_f64 v[149:150], v[141:142], v[6:7], v[149:150]
	v_fma_f64 v[155:156], v[139:140], v[6:7], -v[8:9]
	ds_load_b128 v[6:9], v1 offset:1104
	scratch_load_b128 v[139:142], off, off offset:480
	s_wait_loadcnt_dscnt 0x901
	v_mul_f64_e32 v[153:154], v[2:3], v[12:13]
	v_mul_f64_e32 v[12:13], v[4:5], v[12:13]
	s_wait_loadcnt_dscnt 0x800
	v_mul_f64_e32 v[157:158], v[6:7], v[16:17]
	v_mul_f64_e32 v[16:17], v[8:9], v[16:17]
	v_add_f64_e32 v[147:148], 0, v[147:148]
	v_add_f64_e32 v[151:152], 0, v[151:152]
	v_fma_f64 v[153:154], v[4:5], v[10:11], v[153:154]
	v_fma_f64 v[159:160], v[2:3], v[10:11], -v[12:13]
	scratch_load_b128 v[10:13], off, off offset:496
	ds_load_b128 v[2:5], v1 offset:1120
	v_add_f64_e32 v[147:148], v[147:148], v[155:156]
	v_add_f64_e32 v[149:150], v[151:152], v[149:150]
	v_fma_f64 v[155:156], v[8:9], v[14:15], v[157:158]
	v_fma_f64 v[157:158], v[6:7], v[14:15], -v[16:17]
	ds_load_b128 v[6:9], v1 offset:1136
	scratch_load_b128 v[14:17], off, off offset:512
	s_wait_loadcnt_dscnt 0x901
	v_mul_f64_e32 v[151:152], v[2:3], v[20:21]
	v_mul_f64_e32 v[20:21], v[4:5], v[20:21]
	v_add_f64_e32 v[147:148], v[147:148], v[159:160]
	v_add_f64_e32 v[149:150], v[149:150], v[153:154]
	s_wait_loadcnt_dscnt 0x800
	v_mul_f64_e32 v[153:154], v[6:7], v[24:25]
	v_mul_f64_e32 v[24:25], v[8:9], v[24:25]
	v_fma_f64 v[151:152], v[4:5], v[18:19], v[151:152]
	v_fma_f64 v[159:160], v[2:3], v[18:19], -v[20:21]
	ds_load_b128 v[2:5], v1 offset:1152
	scratch_load_b128 v[18:21], off, off offset:528
	v_add_f64_e32 v[147:148], v[147:148], v[157:158]
	v_add_f64_e32 v[149:150], v[149:150], v[155:156]
	v_fma_f64 v[153:154], v[8:9], v[22:23], v[153:154]
	v_fma_f64 v[157:158], v[6:7], v[22:23], -v[24:25]
	ds_load_b128 v[6:9], v1 offset:1168
	s_wait_loadcnt_dscnt 0x801
	v_mul_f64_e32 v[155:156], v[2:3], v[28:29]
	v_mul_f64_e32 v[28:29], v[4:5], v[28:29]
	scratch_load_b128 v[22:25], off, off offset:544
	v_add_f64_e32 v[147:148], v[147:148], v[159:160]
	v_add_f64_e32 v[149:150], v[149:150], v[151:152]
	s_wait_loadcnt_dscnt 0x800
	v_mul_f64_e32 v[151:152], v[6:7], v[32:33]
	v_mul_f64_e32 v[32:33], v[8:9], v[32:33]
	v_fma_f64 v[155:156], v[4:5], v[26:27], v[155:156]
	v_fma_f64 v[159:160], v[2:3], v[26:27], -v[28:29]
	ds_load_b128 v[2:5], v1 offset:1184
	scratch_load_b128 v[26:29], off, off offset:560
	v_add_f64_e32 v[147:148], v[147:148], v[157:158]
	v_add_f64_e32 v[149:150], v[149:150], v[153:154]
	v_fma_f64 v[151:152], v[8:9], v[30:31], v[151:152]
	v_fma_f64 v[157:158], v[6:7], v[30:31], -v[32:33]
	ds_load_b128 v[6:9], v1 offset:1200
	s_wait_loadcnt_dscnt 0x801
	v_mul_f64_e32 v[153:154], v[2:3], v[40:41]
	v_mul_f64_e32 v[40:41], v[4:5], v[40:41]
	scratch_load_b128 v[30:33], off, off offset:576
	v_add_f64_e32 v[147:148], v[147:148], v[159:160]
	v_add_f64_e32 v[149:150], v[149:150], v[155:156]
	s_wait_loadcnt_dscnt 0x800
	v_mul_f64_e32 v[155:156], v[6:7], v[145:146]
	v_mul_f64_e32 v[145:146], v[8:9], v[145:146]
	v_fma_f64 v[153:154], v[4:5], v[38:39], v[153:154]
	v_fma_f64 v[159:160], v[2:3], v[38:39], -v[40:41]
	ds_load_b128 v[2:5], v1 offset:1216
	scratch_load_b128 v[38:41], off, off offset:592
	v_add_f64_e32 v[147:148], v[147:148], v[157:158]
	v_add_f64_e32 v[149:150], v[149:150], v[151:152]
	v_fma_f64 v[155:156], v[8:9], v[143:144], v[155:156]
	v_fma_f64 v[157:158], v[6:7], v[143:144], -v[145:146]
	ds_load_b128 v[6:9], v1 offset:1232
	scratch_load_b128 v[143:146], off, off offset:608
	s_wait_loadcnt_dscnt 0x901
	v_mul_f64_e32 v[151:152], v[2:3], v[36:37]
	v_mul_f64_e32 v[36:37], v[4:5], v[36:37]
	v_add_f64_e32 v[147:148], v[147:148], v[159:160]
	v_add_f64_e32 v[149:150], v[149:150], v[153:154]
	s_wait_loadcnt_dscnt 0x800
	v_mul_f64_e32 v[153:154], v[6:7], v[141:142]
	v_mul_f64_e32 v[141:142], v[8:9], v[141:142]
	v_fma_f64 v[151:152], v[4:5], v[34:35], v[151:152]
	v_fma_f64 v[159:160], v[2:3], v[34:35], -v[36:37]
	ds_load_b128 v[2:5], v1 offset:1248
	scratch_load_b128 v[34:37], off, off offset:624
	v_add_f64_e32 v[147:148], v[147:148], v[157:158]
	v_add_f64_e32 v[149:150], v[149:150], v[155:156]
	v_fma_f64 v[153:154], v[8:9], v[139:140], v[153:154]
	v_fma_f64 v[157:158], v[6:7], v[139:140], -v[141:142]
	ds_load_b128 v[6:9], v1 offset:1264
	s_wait_loadcnt_dscnt 0x801
	v_mul_f64_e32 v[155:156], v[2:3], v[12:13]
	v_mul_f64_e32 v[12:13], v[4:5], v[12:13]
	scratch_load_b128 v[139:142], off, off offset:640
	v_add_f64_e32 v[147:148], v[147:148], v[159:160]
	v_add_f64_e32 v[149:150], v[149:150], v[151:152]
	s_wait_loadcnt_dscnt 0x800
	v_mul_f64_e32 v[151:152], v[6:7], v[16:17]
	v_mul_f64_e32 v[16:17], v[8:9], v[16:17]
	v_fma_f64 v[155:156], v[4:5], v[10:11], v[155:156]
	v_fma_f64 v[159:160], v[2:3], v[10:11], -v[12:13]
	scratch_load_b128 v[10:13], off, off offset:656
	ds_load_b128 v[2:5], v1 offset:1280
	v_add_f64_e32 v[147:148], v[147:148], v[157:158]
	v_add_f64_e32 v[149:150], v[149:150], v[153:154]
	v_fma_f64 v[151:152], v[8:9], v[14:15], v[151:152]
	v_fma_f64 v[157:158], v[6:7], v[14:15], -v[16:17]
	ds_load_b128 v[6:9], v1 offset:1296
	s_wait_loadcnt_dscnt 0x801
	v_mul_f64_e32 v[153:154], v[2:3], v[20:21]
	v_mul_f64_e32 v[20:21], v[4:5], v[20:21]
	scratch_load_b128 v[14:17], off, off offset:672
	v_add_f64_e32 v[147:148], v[147:148], v[159:160]
	v_add_f64_e32 v[149:150], v[149:150], v[155:156]
	s_wait_loadcnt_dscnt 0x800
	v_mul_f64_e32 v[155:156], v[6:7], v[24:25]
	v_mul_f64_e32 v[24:25], v[8:9], v[24:25]
	v_fma_f64 v[153:154], v[4:5], v[18:19], v[153:154]
	v_fma_f64 v[159:160], v[2:3], v[18:19], -v[20:21]
	ds_load_b128 v[2:5], v1 offset:1312
	scratch_load_b128 v[18:21], off, off offset:688
	v_add_f64_e32 v[147:148], v[147:148], v[157:158]
	v_add_f64_e32 v[149:150], v[149:150], v[151:152]
	v_fma_f64 v[155:156], v[8:9], v[22:23], v[155:156]
	v_fma_f64 v[157:158], v[6:7], v[22:23], -v[24:25]
	ds_load_b128 v[6:9], v1 offset:1328
	s_wait_loadcnt_dscnt 0x801
	v_mul_f64_e32 v[151:152], v[2:3], v[28:29]
	v_mul_f64_e32 v[28:29], v[4:5], v[28:29]
	scratch_load_b128 v[22:25], off, off offset:704
	v_add_f64_e32 v[147:148], v[147:148], v[159:160]
	v_add_f64_e32 v[149:150], v[149:150], v[153:154]
	s_wait_loadcnt_dscnt 0x800
	v_mul_f64_e32 v[153:154], v[6:7], v[32:33]
	v_mul_f64_e32 v[32:33], v[8:9], v[32:33]
	v_fma_f64 v[151:152], v[4:5], v[26:27], v[151:152]
	v_fma_f64 v[159:160], v[2:3], v[26:27], -v[28:29]
	ds_load_b128 v[2:5], v1 offset:1344
	scratch_load_b128 v[26:29], off, off offset:720
	;; [unrolled: 18-line block ×3, first 2 shown]
	v_add_f64_e32 v[147:148], v[147:148], v[157:158]
	v_add_f64_e32 v[149:150], v[149:150], v[153:154]
	v_fma_f64 v[151:152], v[8:9], v[143:144], v[151:152]
	v_fma_f64 v[157:158], v[6:7], v[143:144], -v[145:146]
	ds_load_b128 v[6:9], v1 offset:1392
	s_wait_loadcnt_dscnt 0x801
	v_mul_f64_e32 v[153:154], v[2:3], v[36:37]
	v_mul_f64_e32 v[36:37], v[4:5], v[36:37]
	scratch_load_b128 v[143:146], off, off offset:768
	v_add_f64_e32 v[147:148], v[147:148], v[159:160]
	v_add_f64_e32 v[149:150], v[149:150], v[155:156]
	v_fma_f64 v[153:154], v[4:5], v[34:35], v[153:154]
	v_fma_f64 v[34:35], v[2:3], v[34:35], -v[36:37]
	ds_load_b128 v[2:5], v1 offset:1408
	v_add_f64_e32 v[36:37], v[147:148], v[157:158]
	v_add_f64_e32 v[147:148], v[149:150], v[151:152]
	s_wait_loadcnt_dscnt 0x700
	v_mul_f64_e32 v[149:150], v[2:3], v[12:13]
	v_mul_f64_e32 v[12:13], v[4:5], v[12:13]
	s_delay_alu instid0(VALU_DEP_4) | instskip(NEXT) | instid1(VALU_DEP_4)
	v_add_f64_e32 v[34:35], v[36:37], v[34:35]
	v_add_f64_e32 v[36:37], v[147:148], v[153:154]
	s_delay_alu instid0(VALU_DEP_4) | instskip(NEXT) | instid1(VALU_DEP_4)
	v_fma_f64 v[147:148], v[4:5], v[10:11], v[149:150]
	v_fma_f64 v[149:150], v[2:3], v[10:11], -v[12:13]
	scratch_load_b128 v[10:13], off, off offset:288
	v_mul_f64_e32 v[155:156], v[6:7], v[141:142]
	v_mul_f64_e32 v[141:142], v[8:9], v[141:142]
	ds_load_b128 v[2:5], v1 offset:1440
	v_fma_f64 v[151:152], v[8:9], v[139:140], v[155:156]
	v_fma_f64 v[139:140], v[6:7], v[139:140], -v[141:142]
	ds_load_b128 v[6:9], v1 offset:1424
	s_wait_loadcnt_dscnt 0x700
	v_mul_f64_e32 v[141:142], v[6:7], v[16:17]
	v_mul_f64_e32 v[16:17], v[8:9], v[16:17]
	v_add_f64_e32 v[36:37], v[36:37], v[151:152]
	v_add_f64_e32 v[34:35], v[34:35], v[139:140]
	s_wait_loadcnt 0x6
	v_mul_f64_e32 v[139:140], v[2:3], v[20:21]
	v_mul_f64_e32 v[20:21], v[4:5], v[20:21]
	v_fma_f64 v[141:142], v[8:9], v[14:15], v[141:142]
	v_fma_f64 v[14:15], v[6:7], v[14:15], -v[16:17]
	ds_load_b128 v[6:9], v1 offset:1456
	v_add_f64_e32 v[16:17], v[34:35], v[149:150]
	v_add_f64_e32 v[34:35], v[36:37], v[147:148]
	v_fma_f64 v[139:140], v[4:5], v[18:19], v[139:140]
	v_fma_f64 v[18:19], v[2:3], v[18:19], -v[20:21]
	ds_load_b128 v[2:5], v1 offset:1472
	s_wait_loadcnt_dscnt 0x501
	v_mul_f64_e32 v[36:37], v[6:7], v[24:25]
	v_mul_f64_e32 v[24:25], v[8:9], v[24:25]
	s_wait_loadcnt_dscnt 0x400
	v_mul_f64_e32 v[20:21], v[2:3], v[28:29]
	v_mul_f64_e32 v[28:29], v[4:5], v[28:29]
	v_add_f64_e32 v[14:15], v[16:17], v[14:15]
	v_add_f64_e32 v[16:17], v[34:35], v[141:142]
	v_fma_f64 v[34:35], v[8:9], v[22:23], v[36:37]
	v_fma_f64 v[22:23], v[6:7], v[22:23], -v[24:25]
	ds_load_b128 v[6:9], v1 offset:1488
	v_fma_f64 v[20:21], v[4:5], v[26:27], v[20:21]
	v_fma_f64 v[26:27], v[2:3], v[26:27], -v[28:29]
	ds_load_b128 v[2:5], v1 offset:1504
	s_wait_loadcnt_dscnt 0x301
	v_mul_f64_e32 v[24:25], v[8:9], v[32:33]
	v_add_f64_e32 v[14:15], v[14:15], v[18:19]
	v_add_f64_e32 v[16:17], v[16:17], v[139:140]
	v_mul_f64_e32 v[18:19], v[6:7], v[32:33]
	s_wait_loadcnt_dscnt 0x200
	v_mul_f64_e32 v[28:29], v[4:5], v[40:41]
	v_fma_f64 v[24:25], v[6:7], v[30:31], -v[24:25]
	v_add_f64_e32 v[14:15], v[14:15], v[22:23]
	v_add_f64_e32 v[16:17], v[16:17], v[34:35]
	v_mul_f64_e32 v[22:23], v[2:3], v[40:41]
	v_fma_f64 v[18:19], v[8:9], v[30:31], v[18:19]
	ds_load_b128 v[6:9], v1 offset:1520
	v_fma_f64 v[1:2], v[2:3], v[38:39], -v[28:29]
	v_add_f64_e32 v[14:15], v[14:15], v[26:27]
	v_add_f64_e32 v[16:17], v[16:17], v[20:21]
	s_wait_loadcnt_dscnt 0x100
	v_mul_f64_e32 v[20:21], v[6:7], v[145:146]
	v_mul_f64_e32 v[26:27], v[8:9], v[145:146]
	v_fma_f64 v[4:5], v[4:5], v[38:39], v[22:23]
	v_add_f64_e32 v[14:15], v[14:15], v[24:25]
	v_add_f64_e32 v[16:17], v[16:17], v[18:19]
	v_fma_f64 v[8:9], v[8:9], v[143:144], v[20:21]
	v_fma_f64 v[6:7], v[6:7], v[143:144], -v[26:27]
	s_delay_alu instid0(VALU_DEP_4) | instskip(NEXT) | instid1(VALU_DEP_4)
	v_add_f64_e32 v[1:2], v[14:15], v[1:2]
	v_add_f64_e32 v[3:4], v[16:17], v[4:5]
	s_delay_alu instid0(VALU_DEP_2) | instskip(NEXT) | instid1(VALU_DEP_2)
	v_add_f64_e32 v[1:2], v[1:2], v[6:7]
	v_add_f64_e32 v[3:4], v[3:4], v[8:9]
	s_wait_loadcnt 0x0
	s_delay_alu instid0(VALU_DEP_2) | instskip(NEXT) | instid1(VALU_DEP_2)
	v_add_f64_e64 v[1:2], v[10:11], -v[1:2]
	v_add_f64_e64 v[3:4], v[12:13], -v[3:4]
	scratch_store_b128 off, v[1:4], off offset:288
	v_cmpx_lt_u32_e32 16, v0
	s_cbranch_execz .LBB47_269
; %bb.268:
	scratch_load_b128 v[1:4], off, s40
	v_mov_b32_e32 v5, 0
	s_delay_alu instid0(VALU_DEP_1)
	v_dual_mov_b32 v6, v5 :: v_dual_mov_b32 v7, v5
	v_mov_b32_e32 v8, v5
	scratch_store_b128 off, v[5:8], off offset:272
	s_wait_loadcnt 0x0
	ds_store_b128 v138, v[1:4]
.LBB47_269:
	s_wait_alu 0xfffe
	s_or_b32 exec_lo, exec_lo, s0
	s_wait_storecnt_dscnt 0x0
	s_barrier_signal -1
	s_barrier_wait -1
	global_inv scope:SCOPE_SE
	s_clause 0x7
	scratch_load_b128 v[2:5], off, off offset:288
	scratch_load_b128 v[6:9], off, off offset:304
	;; [unrolled: 1-line block ×8, first 2 shown]
	v_mov_b32_e32 v1, 0
	s_clause 0x1
	scratch_load_b128 v[38:41], off, off offset:416
	scratch_load_b128 v[143:146], off, off offset:432
	s_mov_b32 s0, exec_lo
	ds_load_b128 v[34:37], v1 offset:1040
	ds_load_b128 v[139:142], v1 offset:1056
	s_wait_loadcnt_dscnt 0x901
	v_mul_f64_e32 v[147:148], v[36:37], v[4:5]
	v_mul_f64_e32 v[4:5], v[34:35], v[4:5]
	s_wait_loadcnt_dscnt 0x800
	v_mul_f64_e32 v[149:150], v[139:140], v[8:9]
	v_mul_f64_e32 v[8:9], v[141:142], v[8:9]
	s_delay_alu instid0(VALU_DEP_4) | instskip(NEXT) | instid1(VALU_DEP_4)
	v_fma_f64 v[147:148], v[34:35], v[2:3], -v[147:148]
	v_fma_f64 v[151:152], v[36:37], v[2:3], v[4:5]
	ds_load_b128 v[2:5], v1 offset:1072
	scratch_load_b128 v[34:37], off, off offset:448
	v_fma_f64 v[149:150], v[141:142], v[6:7], v[149:150]
	v_fma_f64 v[155:156], v[139:140], v[6:7], -v[8:9]
	ds_load_b128 v[6:9], v1 offset:1088
	scratch_load_b128 v[139:142], off, off offset:464
	s_wait_loadcnt_dscnt 0x901
	v_mul_f64_e32 v[153:154], v[2:3], v[12:13]
	v_mul_f64_e32 v[12:13], v[4:5], v[12:13]
	s_wait_loadcnt_dscnt 0x800
	v_mul_f64_e32 v[157:158], v[6:7], v[16:17]
	v_mul_f64_e32 v[16:17], v[8:9], v[16:17]
	v_add_f64_e32 v[147:148], 0, v[147:148]
	v_add_f64_e32 v[151:152], 0, v[151:152]
	v_fma_f64 v[153:154], v[4:5], v[10:11], v[153:154]
	v_fma_f64 v[159:160], v[2:3], v[10:11], -v[12:13]
	ds_load_b128 v[2:5], v1 offset:1104
	scratch_load_b128 v[10:13], off, off offset:480
	v_add_f64_e32 v[147:148], v[147:148], v[155:156]
	v_add_f64_e32 v[149:150], v[151:152], v[149:150]
	v_fma_f64 v[155:156], v[8:9], v[14:15], v[157:158]
	v_fma_f64 v[157:158], v[6:7], v[14:15], -v[16:17]
	ds_load_b128 v[6:9], v1 offset:1120
	scratch_load_b128 v[14:17], off, off offset:496
	s_wait_loadcnt_dscnt 0x901
	v_mul_f64_e32 v[151:152], v[2:3], v[20:21]
	v_mul_f64_e32 v[20:21], v[4:5], v[20:21]
	v_add_f64_e32 v[147:148], v[147:148], v[159:160]
	v_add_f64_e32 v[149:150], v[149:150], v[153:154]
	s_wait_loadcnt_dscnt 0x800
	v_mul_f64_e32 v[153:154], v[6:7], v[24:25]
	v_mul_f64_e32 v[24:25], v[8:9], v[24:25]
	v_fma_f64 v[151:152], v[4:5], v[18:19], v[151:152]
	v_fma_f64 v[159:160], v[2:3], v[18:19], -v[20:21]
	ds_load_b128 v[2:5], v1 offset:1136
	scratch_load_b128 v[18:21], off, off offset:512
	v_add_f64_e32 v[147:148], v[147:148], v[157:158]
	v_add_f64_e32 v[149:150], v[149:150], v[155:156]
	v_fma_f64 v[153:154], v[8:9], v[22:23], v[153:154]
	v_fma_f64 v[157:158], v[6:7], v[22:23], -v[24:25]
	ds_load_b128 v[6:9], v1 offset:1152
	s_wait_loadcnt_dscnt 0x801
	v_mul_f64_e32 v[155:156], v[2:3], v[28:29]
	v_mul_f64_e32 v[28:29], v[4:5], v[28:29]
	scratch_load_b128 v[22:25], off, off offset:528
	v_add_f64_e32 v[147:148], v[147:148], v[159:160]
	v_add_f64_e32 v[149:150], v[149:150], v[151:152]
	s_wait_loadcnt_dscnt 0x800
	v_mul_f64_e32 v[151:152], v[6:7], v[32:33]
	v_mul_f64_e32 v[32:33], v[8:9], v[32:33]
	v_fma_f64 v[155:156], v[4:5], v[26:27], v[155:156]
	v_fma_f64 v[159:160], v[2:3], v[26:27], -v[28:29]
	ds_load_b128 v[2:5], v1 offset:1168
	scratch_load_b128 v[26:29], off, off offset:544
	v_add_f64_e32 v[147:148], v[147:148], v[157:158]
	v_add_f64_e32 v[149:150], v[149:150], v[153:154]
	v_fma_f64 v[151:152], v[8:9], v[30:31], v[151:152]
	v_fma_f64 v[157:158], v[6:7], v[30:31], -v[32:33]
	ds_load_b128 v[6:9], v1 offset:1184
	s_wait_loadcnt_dscnt 0x801
	v_mul_f64_e32 v[153:154], v[2:3], v[40:41]
	v_mul_f64_e32 v[40:41], v[4:5], v[40:41]
	scratch_load_b128 v[30:33], off, off offset:560
	v_add_f64_e32 v[147:148], v[147:148], v[159:160]
	v_add_f64_e32 v[149:150], v[149:150], v[155:156]
	s_wait_loadcnt_dscnt 0x800
	v_mul_f64_e32 v[155:156], v[6:7], v[145:146]
	v_mul_f64_e32 v[145:146], v[8:9], v[145:146]
	v_fma_f64 v[153:154], v[4:5], v[38:39], v[153:154]
	v_fma_f64 v[159:160], v[2:3], v[38:39], -v[40:41]
	ds_load_b128 v[2:5], v1 offset:1200
	scratch_load_b128 v[38:41], off, off offset:576
	v_add_f64_e32 v[147:148], v[147:148], v[157:158]
	v_add_f64_e32 v[149:150], v[149:150], v[151:152]
	v_fma_f64 v[155:156], v[8:9], v[143:144], v[155:156]
	v_fma_f64 v[157:158], v[6:7], v[143:144], -v[145:146]
	ds_load_b128 v[6:9], v1 offset:1216
	scratch_load_b128 v[143:146], off, off offset:592
	s_wait_loadcnt_dscnt 0x901
	v_mul_f64_e32 v[151:152], v[2:3], v[36:37]
	v_mul_f64_e32 v[36:37], v[4:5], v[36:37]
	v_add_f64_e32 v[147:148], v[147:148], v[159:160]
	v_add_f64_e32 v[149:150], v[149:150], v[153:154]
	s_wait_loadcnt_dscnt 0x800
	v_mul_f64_e32 v[153:154], v[6:7], v[141:142]
	v_mul_f64_e32 v[141:142], v[8:9], v[141:142]
	v_fma_f64 v[151:152], v[4:5], v[34:35], v[151:152]
	v_fma_f64 v[159:160], v[2:3], v[34:35], -v[36:37]
	ds_load_b128 v[2:5], v1 offset:1232
	scratch_load_b128 v[34:37], off, off offset:608
	v_add_f64_e32 v[147:148], v[147:148], v[157:158]
	v_add_f64_e32 v[149:150], v[149:150], v[155:156]
	v_fma_f64 v[153:154], v[8:9], v[139:140], v[153:154]
	v_fma_f64 v[157:158], v[6:7], v[139:140], -v[141:142]
	ds_load_b128 v[6:9], v1 offset:1248
	s_wait_loadcnt_dscnt 0x801
	v_mul_f64_e32 v[155:156], v[2:3], v[12:13]
	v_mul_f64_e32 v[12:13], v[4:5], v[12:13]
	scratch_load_b128 v[139:142], off, off offset:624
	v_add_f64_e32 v[147:148], v[147:148], v[159:160]
	v_add_f64_e32 v[149:150], v[149:150], v[151:152]
	s_wait_loadcnt_dscnt 0x800
	v_mul_f64_e32 v[151:152], v[6:7], v[16:17]
	v_mul_f64_e32 v[16:17], v[8:9], v[16:17]
	v_fma_f64 v[155:156], v[4:5], v[10:11], v[155:156]
	v_fma_f64 v[159:160], v[2:3], v[10:11], -v[12:13]
	ds_load_b128 v[2:5], v1 offset:1264
	scratch_load_b128 v[10:13], off, off offset:640
	v_add_f64_e32 v[147:148], v[147:148], v[157:158]
	v_add_f64_e32 v[149:150], v[149:150], v[153:154]
	v_fma_f64 v[151:152], v[8:9], v[14:15], v[151:152]
	v_fma_f64 v[157:158], v[6:7], v[14:15], -v[16:17]
	ds_load_b128 v[6:9], v1 offset:1280
	s_wait_loadcnt_dscnt 0x801
	v_mul_f64_e32 v[153:154], v[2:3], v[20:21]
	v_mul_f64_e32 v[20:21], v[4:5], v[20:21]
	scratch_load_b128 v[14:17], off, off offset:656
	v_add_f64_e32 v[147:148], v[147:148], v[159:160]
	v_add_f64_e32 v[149:150], v[149:150], v[155:156]
	s_wait_loadcnt_dscnt 0x800
	v_mul_f64_e32 v[155:156], v[6:7], v[24:25]
	v_mul_f64_e32 v[24:25], v[8:9], v[24:25]
	v_fma_f64 v[153:154], v[4:5], v[18:19], v[153:154]
	v_fma_f64 v[159:160], v[2:3], v[18:19], -v[20:21]
	ds_load_b128 v[2:5], v1 offset:1296
	scratch_load_b128 v[18:21], off, off offset:672
	v_add_f64_e32 v[147:148], v[147:148], v[157:158]
	v_add_f64_e32 v[149:150], v[149:150], v[151:152]
	v_fma_f64 v[155:156], v[8:9], v[22:23], v[155:156]
	v_fma_f64 v[157:158], v[6:7], v[22:23], -v[24:25]
	ds_load_b128 v[6:9], v1 offset:1312
	s_wait_loadcnt_dscnt 0x801
	v_mul_f64_e32 v[151:152], v[2:3], v[28:29]
	v_mul_f64_e32 v[28:29], v[4:5], v[28:29]
	scratch_load_b128 v[22:25], off, off offset:688
	v_add_f64_e32 v[147:148], v[147:148], v[159:160]
	v_add_f64_e32 v[149:150], v[149:150], v[153:154]
	s_wait_loadcnt_dscnt 0x800
	v_mul_f64_e32 v[153:154], v[6:7], v[32:33]
	v_mul_f64_e32 v[32:33], v[8:9], v[32:33]
	v_fma_f64 v[151:152], v[4:5], v[26:27], v[151:152]
	v_fma_f64 v[159:160], v[2:3], v[26:27], -v[28:29]
	ds_load_b128 v[2:5], v1 offset:1328
	scratch_load_b128 v[26:29], off, off offset:704
	v_add_f64_e32 v[147:148], v[147:148], v[157:158]
	v_add_f64_e32 v[149:150], v[149:150], v[155:156]
	v_fma_f64 v[153:154], v[8:9], v[30:31], v[153:154]
	v_fma_f64 v[157:158], v[6:7], v[30:31], -v[32:33]
	ds_load_b128 v[6:9], v1 offset:1344
	s_wait_loadcnt_dscnt 0x801
	v_mul_f64_e32 v[155:156], v[2:3], v[40:41]
	v_mul_f64_e32 v[40:41], v[4:5], v[40:41]
	scratch_load_b128 v[30:33], off, off offset:720
	v_add_f64_e32 v[147:148], v[147:148], v[159:160]
	v_add_f64_e32 v[149:150], v[149:150], v[151:152]
	s_wait_loadcnt_dscnt 0x800
	v_mul_f64_e32 v[151:152], v[6:7], v[145:146]
	v_mul_f64_e32 v[145:146], v[8:9], v[145:146]
	v_fma_f64 v[155:156], v[4:5], v[38:39], v[155:156]
	v_fma_f64 v[159:160], v[2:3], v[38:39], -v[40:41]
	ds_load_b128 v[2:5], v1 offset:1360
	scratch_load_b128 v[38:41], off, off offset:736
	v_add_f64_e32 v[147:148], v[147:148], v[157:158]
	v_add_f64_e32 v[149:150], v[149:150], v[153:154]
	v_fma_f64 v[151:152], v[8:9], v[143:144], v[151:152]
	v_fma_f64 v[157:158], v[6:7], v[143:144], -v[145:146]
	ds_load_b128 v[6:9], v1 offset:1376
	s_wait_loadcnt_dscnt 0x801
	v_mul_f64_e32 v[153:154], v[2:3], v[36:37]
	v_mul_f64_e32 v[36:37], v[4:5], v[36:37]
	scratch_load_b128 v[143:146], off, off offset:752
	v_add_f64_e32 v[147:148], v[147:148], v[159:160]
	v_add_f64_e32 v[149:150], v[149:150], v[155:156]
	s_wait_loadcnt_dscnt 0x800
	v_mul_f64_e32 v[155:156], v[6:7], v[141:142]
	v_mul_f64_e32 v[141:142], v[8:9], v[141:142]
	v_fma_f64 v[153:154], v[4:5], v[34:35], v[153:154]
	v_fma_f64 v[159:160], v[2:3], v[34:35], -v[36:37]
	ds_load_b128 v[2:5], v1 offset:1392
	scratch_load_b128 v[34:37], off, off offset:768
	v_add_f64_e32 v[147:148], v[147:148], v[157:158]
	v_add_f64_e32 v[149:150], v[149:150], v[151:152]
	v_fma_f64 v[155:156], v[8:9], v[139:140], v[155:156]
	v_fma_f64 v[139:140], v[6:7], v[139:140], -v[141:142]
	ds_load_b128 v[6:9], v1 offset:1408
	s_wait_loadcnt_dscnt 0x801
	v_mul_f64_e32 v[151:152], v[2:3], v[12:13]
	v_mul_f64_e32 v[12:13], v[4:5], v[12:13]
	v_add_f64_e32 v[141:142], v[147:148], v[159:160]
	v_add_f64_e32 v[147:148], v[149:150], v[153:154]
	s_wait_loadcnt_dscnt 0x700
	v_mul_f64_e32 v[149:150], v[6:7], v[16:17]
	v_mul_f64_e32 v[16:17], v[8:9], v[16:17]
	v_fma_f64 v[151:152], v[4:5], v[10:11], v[151:152]
	v_fma_f64 v[10:11], v[2:3], v[10:11], -v[12:13]
	ds_load_b128 v[2:5], v1 offset:1424
	v_add_f64_e32 v[12:13], v[141:142], v[139:140]
	v_add_f64_e32 v[139:140], v[147:148], v[155:156]
	v_fma_f64 v[147:148], v[8:9], v[14:15], v[149:150]
	v_fma_f64 v[14:15], v[6:7], v[14:15], -v[16:17]
	ds_load_b128 v[6:9], v1 offset:1440
	s_wait_loadcnt_dscnt 0x500
	v_mul_f64_e32 v[149:150], v[6:7], v[24:25]
	v_mul_f64_e32 v[24:25], v[8:9], v[24:25]
	v_add_f64_e32 v[16:17], v[12:13], v[10:11]
	v_add_f64_e32 v[139:140], v[139:140], v[151:152]
	scratch_load_b128 v[10:13], off, off offset:272
	v_mul_f64_e32 v[141:142], v[2:3], v[20:21]
	v_mul_f64_e32 v[20:21], v[4:5], v[20:21]
	v_add_f64_e32 v[14:15], v[16:17], v[14:15]
	v_add_f64_e32 v[16:17], v[139:140], v[147:148]
	v_fma_f64 v[139:140], v[8:9], v[22:23], v[149:150]
	v_fma_f64 v[141:142], v[4:5], v[18:19], v[141:142]
	v_fma_f64 v[18:19], v[2:3], v[18:19], -v[20:21]
	ds_load_b128 v[2:5], v1 offset:1456
	v_fma_f64 v[22:23], v[6:7], v[22:23], -v[24:25]
	ds_load_b128 v[6:9], v1 offset:1472
	s_wait_loadcnt_dscnt 0x501
	v_mul_f64_e32 v[20:21], v[2:3], v[28:29]
	v_mul_f64_e32 v[28:29], v[4:5], v[28:29]
	s_wait_loadcnt_dscnt 0x400
	v_mul_f64_e32 v[24:25], v[8:9], v[32:33]
	v_add_f64_e32 v[16:17], v[16:17], v[141:142]
	v_add_f64_e32 v[14:15], v[14:15], v[18:19]
	v_mul_f64_e32 v[18:19], v[6:7], v[32:33]
	v_fma_f64 v[20:21], v[4:5], v[26:27], v[20:21]
	v_fma_f64 v[26:27], v[2:3], v[26:27], -v[28:29]
	ds_load_b128 v[2:5], v1 offset:1488
	v_fma_f64 v[24:25], v[6:7], v[30:31], -v[24:25]
	v_add_f64_e32 v[16:17], v[16:17], v[139:140]
	v_add_f64_e32 v[14:15], v[14:15], v[22:23]
	v_fma_f64 v[18:19], v[8:9], v[30:31], v[18:19]
	ds_load_b128 v[6:9], v1 offset:1504
	s_wait_loadcnt_dscnt 0x301
	v_mul_f64_e32 v[22:23], v[2:3], v[40:41]
	v_mul_f64_e32 v[28:29], v[4:5], v[40:41]
	v_add_f64_e32 v[16:17], v[16:17], v[20:21]
	v_add_f64_e32 v[14:15], v[14:15], v[26:27]
	s_wait_loadcnt_dscnt 0x200
	v_mul_f64_e32 v[20:21], v[6:7], v[145:146]
	v_mul_f64_e32 v[26:27], v[8:9], v[145:146]
	v_fma_f64 v[22:23], v[4:5], v[38:39], v[22:23]
	v_fma_f64 v[28:29], v[2:3], v[38:39], -v[28:29]
	ds_load_b128 v[2:5], v1 offset:1520
	v_add_f64_e32 v[16:17], v[16:17], v[18:19]
	v_add_f64_e32 v[14:15], v[14:15], v[24:25]
	s_wait_loadcnt_dscnt 0x100
	v_mul_f64_e32 v[18:19], v[2:3], v[36:37]
	v_mul_f64_e32 v[24:25], v[4:5], v[36:37]
	v_fma_f64 v[8:9], v[8:9], v[143:144], v[20:21]
	v_fma_f64 v[6:7], v[6:7], v[143:144], -v[26:27]
	v_add_f64_e32 v[16:17], v[16:17], v[22:23]
	v_add_f64_e32 v[14:15], v[14:15], v[28:29]
	v_fma_f64 v[4:5], v[4:5], v[34:35], v[18:19]
	v_fma_f64 v[2:3], v[2:3], v[34:35], -v[24:25]
	s_delay_alu instid0(VALU_DEP_4) | instskip(NEXT) | instid1(VALU_DEP_4)
	v_add_f64_e32 v[8:9], v[16:17], v[8:9]
	v_add_f64_e32 v[6:7], v[14:15], v[6:7]
	s_delay_alu instid0(VALU_DEP_2) | instskip(NEXT) | instid1(VALU_DEP_2)
	v_add_f64_e32 v[4:5], v[8:9], v[4:5]
	v_add_f64_e32 v[2:3], v[6:7], v[2:3]
	s_wait_loadcnt 0x0
	s_delay_alu instid0(VALU_DEP_2) | instskip(NEXT) | instid1(VALU_DEP_2)
	v_add_f64_e64 v[4:5], v[12:13], -v[4:5]
	v_add_f64_e64 v[2:3], v[10:11], -v[2:3]
	scratch_store_b128 off, v[2:5], off offset:272
	v_cmpx_lt_u32_e32 15, v0
	s_cbranch_execz .LBB47_271
; %bb.270:
	scratch_load_b128 v[5:8], off, s42
	v_dual_mov_b32 v2, v1 :: v_dual_mov_b32 v3, v1
	v_mov_b32_e32 v4, v1
	scratch_store_b128 off, v[1:4], off offset:256
	s_wait_loadcnt 0x0
	ds_store_b128 v138, v[5:8]
.LBB47_271:
	s_wait_alu 0xfffe
	s_or_b32 exec_lo, exec_lo, s0
	s_wait_storecnt_dscnt 0x0
	s_barrier_signal -1
	s_barrier_wait -1
	global_inv scope:SCOPE_SE
	s_clause 0x7
	scratch_load_b128 v[2:5], off, off offset:272
	scratch_load_b128 v[6:9], off, off offset:288
	;; [unrolled: 1-line block ×8, first 2 shown]
	ds_load_b128 v[34:37], v1 offset:1024
	ds_load_b128 v[139:142], v1 offset:1040
	s_clause 0x1
	scratch_load_b128 v[38:41], off, off offset:400
	scratch_load_b128 v[143:146], off, off offset:416
	s_mov_b32 s0, exec_lo
	s_wait_loadcnt_dscnt 0x901
	v_mul_f64_e32 v[147:148], v[36:37], v[4:5]
	v_mul_f64_e32 v[4:5], v[34:35], v[4:5]
	s_wait_loadcnt_dscnt 0x800
	v_mul_f64_e32 v[149:150], v[139:140], v[8:9]
	v_mul_f64_e32 v[8:9], v[141:142], v[8:9]
	s_delay_alu instid0(VALU_DEP_4) | instskip(NEXT) | instid1(VALU_DEP_4)
	v_fma_f64 v[147:148], v[34:35], v[2:3], -v[147:148]
	v_fma_f64 v[151:152], v[36:37], v[2:3], v[4:5]
	ds_load_b128 v[2:5], v1 offset:1056
	scratch_load_b128 v[34:37], off, off offset:432
	v_fma_f64 v[149:150], v[141:142], v[6:7], v[149:150]
	v_fma_f64 v[155:156], v[139:140], v[6:7], -v[8:9]
	ds_load_b128 v[6:9], v1 offset:1072
	scratch_load_b128 v[139:142], off, off offset:448
	s_wait_loadcnt_dscnt 0x901
	v_mul_f64_e32 v[153:154], v[2:3], v[12:13]
	v_mul_f64_e32 v[12:13], v[4:5], v[12:13]
	s_wait_loadcnt_dscnt 0x800
	v_mul_f64_e32 v[157:158], v[6:7], v[16:17]
	v_mul_f64_e32 v[16:17], v[8:9], v[16:17]
	v_add_f64_e32 v[147:148], 0, v[147:148]
	v_add_f64_e32 v[151:152], 0, v[151:152]
	v_fma_f64 v[153:154], v[4:5], v[10:11], v[153:154]
	v_fma_f64 v[159:160], v[2:3], v[10:11], -v[12:13]
	ds_load_b128 v[2:5], v1 offset:1088
	scratch_load_b128 v[10:13], off, off offset:464
	v_add_f64_e32 v[147:148], v[147:148], v[155:156]
	v_add_f64_e32 v[149:150], v[151:152], v[149:150]
	v_fma_f64 v[155:156], v[8:9], v[14:15], v[157:158]
	v_fma_f64 v[157:158], v[6:7], v[14:15], -v[16:17]
	ds_load_b128 v[6:9], v1 offset:1104
	scratch_load_b128 v[14:17], off, off offset:480
	s_wait_loadcnt_dscnt 0x901
	v_mul_f64_e32 v[151:152], v[2:3], v[20:21]
	v_mul_f64_e32 v[20:21], v[4:5], v[20:21]
	v_add_f64_e32 v[147:148], v[147:148], v[159:160]
	v_add_f64_e32 v[149:150], v[149:150], v[153:154]
	s_wait_loadcnt_dscnt 0x800
	v_mul_f64_e32 v[153:154], v[6:7], v[24:25]
	v_mul_f64_e32 v[24:25], v[8:9], v[24:25]
	v_fma_f64 v[151:152], v[4:5], v[18:19], v[151:152]
	v_fma_f64 v[159:160], v[2:3], v[18:19], -v[20:21]
	ds_load_b128 v[2:5], v1 offset:1120
	scratch_load_b128 v[18:21], off, off offset:496
	v_add_f64_e32 v[147:148], v[147:148], v[157:158]
	v_add_f64_e32 v[149:150], v[149:150], v[155:156]
	v_fma_f64 v[153:154], v[8:9], v[22:23], v[153:154]
	v_fma_f64 v[157:158], v[6:7], v[22:23], -v[24:25]
	ds_load_b128 v[6:9], v1 offset:1136
	s_wait_loadcnt_dscnt 0x801
	v_mul_f64_e32 v[155:156], v[2:3], v[28:29]
	v_mul_f64_e32 v[28:29], v[4:5], v[28:29]
	scratch_load_b128 v[22:25], off, off offset:512
	v_add_f64_e32 v[147:148], v[147:148], v[159:160]
	v_add_f64_e32 v[149:150], v[149:150], v[151:152]
	s_wait_loadcnt_dscnt 0x800
	v_mul_f64_e32 v[151:152], v[6:7], v[32:33]
	v_mul_f64_e32 v[32:33], v[8:9], v[32:33]
	v_fma_f64 v[155:156], v[4:5], v[26:27], v[155:156]
	v_fma_f64 v[159:160], v[2:3], v[26:27], -v[28:29]
	ds_load_b128 v[2:5], v1 offset:1152
	scratch_load_b128 v[26:29], off, off offset:528
	v_add_f64_e32 v[147:148], v[147:148], v[157:158]
	v_add_f64_e32 v[149:150], v[149:150], v[153:154]
	v_fma_f64 v[151:152], v[8:9], v[30:31], v[151:152]
	v_fma_f64 v[157:158], v[6:7], v[30:31], -v[32:33]
	ds_load_b128 v[6:9], v1 offset:1168
	s_wait_loadcnt_dscnt 0x801
	v_mul_f64_e32 v[153:154], v[2:3], v[40:41]
	v_mul_f64_e32 v[40:41], v[4:5], v[40:41]
	scratch_load_b128 v[30:33], off, off offset:544
	v_add_f64_e32 v[147:148], v[147:148], v[159:160]
	v_add_f64_e32 v[149:150], v[149:150], v[155:156]
	s_wait_loadcnt_dscnt 0x800
	v_mul_f64_e32 v[155:156], v[6:7], v[145:146]
	v_mul_f64_e32 v[145:146], v[8:9], v[145:146]
	v_fma_f64 v[153:154], v[4:5], v[38:39], v[153:154]
	v_fma_f64 v[159:160], v[2:3], v[38:39], -v[40:41]
	ds_load_b128 v[2:5], v1 offset:1184
	scratch_load_b128 v[38:41], off, off offset:560
	v_add_f64_e32 v[147:148], v[147:148], v[157:158]
	v_add_f64_e32 v[149:150], v[149:150], v[151:152]
	v_fma_f64 v[155:156], v[8:9], v[143:144], v[155:156]
	v_fma_f64 v[157:158], v[6:7], v[143:144], -v[145:146]
	ds_load_b128 v[6:9], v1 offset:1200
	scratch_load_b128 v[143:146], off, off offset:576
	s_wait_loadcnt_dscnt 0x901
	v_mul_f64_e32 v[151:152], v[2:3], v[36:37]
	v_mul_f64_e32 v[36:37], v[4:5], v[36:37]
	v_add_f64_e32 v[147:148], v[147:148], v[159:160]
	v_add_f64_e32 v[149:150], v[149:150], v[153:154]
	s_wait_loadcnt_dscnt 0x800
	v_mul_f64_e32 v[153:154], v[6:7], v[141:142]
	v_mul_f64_e32 v[141:142], v[8:9], v[141:142]
	v_fma_f64 v[151:152], v[4:5], v[34:35], v[151:152]
	v_fma_f64 v[159:160], v[2:3], v[34:35], -v[36:37]
	ds_load_b128 v[2:5], v1 offset:1216
	scratch_load_b128 v[34:37], off, off offset:592
	v_add_f64_e32 v[147:148], v[147:148], v[157:158]
	v_add_f64_e32 v[149:150], v[149:150], v[155:156]
	v_fma_f64 v[153:154], v[8:9], v[139:140], v[153:154]
	v_fma_f64 v[157:158], v[6:7], v[139:140], -v[141:142]
	ds_load_b128 v[6:9], v1 offset:1232
	s_wait_loadcnt_dscnt 0x801
	v_mul_f64_e32 v[155:156], v[2:3], v[12:13]
	v_mul_f64_e32 v[12:13], v[4:5], v[12:13]
	scratch_load_b128 v[139:142], off, off offset:608
	v_add_f64_e32 v[147:148], v[147:148], v[159:160]
	v_add_f64_e32 v[149:150], v[149:150], v[151:152]
	s_wait_loadcnt_dscnt 0x800
	v_mul_f64_e32 v[151:152], v[6:7], v[16:17]
	v_mul_f64_e32 v[16:17], v[8:9], v[16:17]
	v_fma_f64 v[155:156], v[4:5], v[10:11], v[155:156]
	v_fma_f64 v[159:160], v[2:3], v[10:11], -v[12:13]
	ds_load_b128 v[2:5], v1 offset:1248
	scratch_load_b128 v[10:13], off, off offset:624
	v_add_f64_e32 v[147:148], v[147:148], v[157:158]
	v_add_f64_e32 v[149:150], v[149:150], v[153:154]
	v_fma_f64 v[151:152], v[8:9], v[14:15], v[151:152]
	v_fma_f64 v[157:158], v[6:7], v[14:15], -v[16:17]
	ds_load_b128 v[6:9], v1 offset:1264
	s_wait_loadcnt_dscnt 0x801
	v_mul_f64_e32 v[153:154], v[2:3], v[20:21]
	v_mul_f64_e32 v[20:21], v[4:5], v[20:21]
	scratch_load_b128 v[14:17], off, off offset:640
	;; [unrolled: 18-line block ×6, first 2 shown]
	v_add_f64_e32 v[147:148], v[147:148], v[159:160]
	v_add_f64_e32 v[149:150], v[149:150], v[153:154]
	s_wait_loadcnt_dscnt 0x800
	v_mul_f64_e32 v[153:154], v[6:7], v[16:17]
	v_mul_f64_e32 v[16:17], v[8:9], v[16:17]
	v_fma_f64 v[151:152], v[4:5], v[10:11], v[151:152]
	v_fma_f64 v[10:11], v[2:3], v[10:11], -v[12:13]
	ds_load_b128 v[2:5], v1 offset:1408
	v_add_f64_e32 v[12:13], v[147:148], v[157:158]
	v_add_f64_e32 v[147:148], v[149:150], v[155:156]
	v_fma_f64 v[153:154], v[8:9], v[14:15], v[153:154]
	v_fma_f64 v[14:15], v[6:7], v[14:15], -v[16:17]
	ds_load_b128 v[6:9], v1 offset:1424
	s_wait_loadcnt_dscnt 0x701
	v_mul_f64_e32 v[149:150], v[2:3], v[20:21]
	v_mul_f64_e32 v[20:21], v[4:5], v[20:21]
	v_add_f64_e32 v[10:11], v[12:13], v[10:11]
	v_add_f64_e32 v[12:13], v[147:148], v[151:152]
	s_delay_alu instid0(VALU_DEP_4) | instskip(NEXT) | instid1(VALU_DEP_4)
	v_fma_f64 v[147:148], v[4:5], v[18:19], v[149:150]
	v_fma_f64 v[18:19], v[2:3], v[18:19], -v[20:21]
	ds_load_b128 v[2:5], v1 offset:1440
	v_add_f64_e32 v[14:15], v[10:11], v[14:15]
	v_add_f64_e32 v[20:21], v[12:13], v[153:154]
	scratch_load_b128 v[10:13], off, off offset:256
	s_wait_loadcnt_dscnt 0x701
	v_mul_f64_e32 v[16:17], v[6:7], v[24:25]
	v_mul_f64_e32 v[24:25], v[8:9], v[24:25]
	v_add_f64_e32 v[14:15], v[14:15], v[18:19]
	v_add_f64_e32 v[18:19], v[20:21], v[147:148]
	s_delay_alu instid0(VALU_DEP_4) | instskip(NEXT) | instid1(VALU_DEP_4)
	v_fma_f64 v[16:17], v[8:9], v[22:23], v[16:17]
	v_fma_f64 v[22:23], v[6:7], v[22:23], -v[24:25]
	ds_load_b128 v[6:9], v1 offset:1456
	s_wait_loadcnt_dscnt 0x601
	v_mul_f64_e32 v[149:150], v[2:3], v[28:29]
	v_mul_f64_e32 v[28:29], v[4:5], v[28:29]
	s_wait_loadcnt_dscnt 0x500
	v_mul_f64_e32 v[20:21], v[6:7], v[32:33]
	v_mul_f64_e32 v[24:25], v[8:9], v[32:33]
	v_add_f64_e32 v[16:17], v[18:19], v[16:17]
	v_add_f64_e32 v[14:15], v[14:15], v[22:23]
	v_fma_f64 v[32:33], v[4:5], v[26:27], v[149:150]
	v_fma_f64 v[26:27], v[2:3], v[26:27], -v[28:29]
	ds_load_b128 v[2:5], v1 offset:1472
	v_fma_f64 v[20:21], v[8:9], v[30:31], v[20:21]
	v_fma_f64 v[24:25], v[6:7], v[30:31], -v[24:25]
	ds_load_b128 v[6:9], v1 offset:1488
	s_wait_loadcnt_dscnt 0x401
	v_mul_f64_e32 v[18:19], v[2:3], v[40:41]
	v_mul_f64_e32 v[22:23], v[4:5], v[40:41]
	v_add_f64_e32 v[16:17], v[16:17], v[32:33]
	v_add_f64_e32 v[14:15], v[14:15], v[26:27]
	s_wait_loadcnt_dscnt 0x300
	v_mul_f64_e32 v[26:27], v[6:7], v[145:146]
	v_mul_f64_e32 v[28:29], v[8:9], v[145:146]
	v_fma_f64 v[18:19], v[4:5], v[38:39], v[18:19]
	v_fma_f64 v[22:23], v[2:3], v[38:39], -v[22:23]
	ds_load_b128 v[2:5], v1 offset:1504
	v_add_f64_e32 v[16:17], v[16:17], v[20:21]
	v_add_f64_e32 v[14:15], v[14:15], v[24:25]
	v_fma_f64 v[26:27], v[8:9], v[143:144], v[26:27]
	v_fma_f64 v[28:29], v[6:7], v[143:144], -v[28:29]
	ds_load_b128 v[6:9], v1 offset:1520
	s_wait_loadcnt_dscnt 0x201
	v_mul_f64_e32 v[20:21], v[2:3], v[36:37]
	v_mul_f64_e32 v[24:25], v[4:5], v[36:37]
	v_add_f64_e32 v[16:17], v[16:17], v[18:19]
	v_add_f64_e32 v[14:15], v[14:15], v[22:23]
	s_wait_loadcnt_dscnt 0x100
	v_mul_f64_e32 v[18:19], v[6:7], v[141:142]
	v_mul_f64_e32 v[22:23], v[8:9], v[141:142]
	v_fma_f64 v[4:5], v[4:5], v[34:35], v[20:21]
	v_fma_f64 v[1:2], v[2:3], v[34:35], -v[24:25]
	v_add_f64_e32 v[16:17], v[16:17], v[26:27]
	v_add_f64_e32 v[14:15], v[14:15], v[28:29]
	v_fma_f64 v[8:9], v[8:9], v[139:140], v[18:19]
	v_fma_f64 v[6:7], v[6:7], v[139:140], -v[22:23]
	s_delay_alu instid0(VALU_DEP_4) | instskip(NEXT) | instid1(VALU_DEP_4)
	v_add_f64_e32 v[3:4], v[16:17], v[4:5]
	v_add_f64_e32 v[1:2], v[14:15], v[1:2]
	s_delay_alu instid0(VALU_DEP_2) | instskip(NEXT) | instid1(VALU_DEP_2)
	v_add_f64_e32 v[3:4], v[3:4], v[8:9]
	v_add_f64_e32 v[1:2], v[1:2], v[6:7]
	s_wait_loadcnt 0x0
	s_delay_alu instid0(VALU_DEP_2) | instskip(NEXT) | instid1(VALU_DEP_2)
	v_add_f64_e64 v[3:4], v[12:13], -v[3:4]
	v_add_f64_e64 v[1:2], v[10:11], -v[1:2]
	scratch_store_b128 off, v[1:4], off offset:256
	v_cmpx_lt_u32_e32 14, v0
	s_cbranch_execz .LBB47_273
; %bb.272:
	scratch_load_b128 v[1:4], off, s47
	v_mov_b32_e32 v5, 0
	s_delay_alu instid0(VALU_DEP_1)
	v_dual_mov_b32 v6, v5 :: v_dual_mov_b32 v7, v5
	v_mov_b32_e32 v8, v5
	scratch_store_b128 off, v[5:8], off offset:240
	s_wait_loadcnt 0x0
	ds_store_b128 v138, v[1:4]
.LBB47_273:
	s_wait_alu 0xfffe
	s_or_b32 exec_lo, exec_lo, s0
	s_wait_storecnt_dscnt 0x0
	s_barrier_signal -1
	s_barrier_wait -1
	global_inv scope:SCOPE_SE
	s_clause 0x7
	scratch_load_b128 v[2:5], off, off offset:256
	scratch_load_b128 v[6:9], off, off offset:272
	;; [unrolled: 1-line block ×8, first 2 shown]
	v_mov_b32_e32 v1, 0
	s_clause 0x1
	scratch_load_b128 v[38:41], off, off offset:384
	scratch_load_b128 v[143:146], off, off offset:400
	s_mov_b32 s0, exec_lo
	ds_load_b128 v[34:37], v1 offset:1008
	ds_load_b128 v[139:142], v1 offset:1024
	s_wait_loadcnt_dscnt 0x901
	v_mul_f64_e32 v[147:148], v[36:37], v[4:5]
	v_mul_f64_e32 v[4:5], v[34:35], v[4:5]
	s_wait_loadcnt_dscnt 0x800
	v_mul_f64_e32 v[149:150], v[139:140], v[8:9]
	v_mul_f64_e32 v[8:9], v[141:142], v[8:9]
	s_delay_alu instid0(VALU_DEP_4) | instskip(NEXT) | instid1(VALU_DEP_4)
	v_fma_f64 v[147:148], v[34:35], v[2:3], -v[147:148]
	v_fma_f64 v[151:152], v[36:37], v[2:3], v[4:5]
	ds_load_b128 v[2:5], v1 offset:1040
	scratch_load_b128 v[34:37], off, off offset:416
	v_fma_f64 v[149:150], v[141:142], v[6:7], v[149:150]
	v_fma_f64 v[155:156], v[139:140], v[6:7], -v[8:9]
	ds_load_b128 v[6:9], v1 offset:1056
	scratch_load_b128 v[139:142], off, off offset:432
	s_wait_loadcnt_dscnt 0x901
	v_mul_f64_e32 v[153:154], v[2:3], v[12:13]
	v_mul_f64_e32 v[12:13], v[4:5], v[12:13]
	s_wait_loadcnt_dscnt 0x800
	v_mul_f64_e32 v[157:158], v[6:7], v[16:17]
	v_mul_f64_e32 v[16:17], v[8:9], v[16:17]
	v_add_f64_e32 v[147:148], 0, v[147:148]
	v_add_f64_e32 v[151:152], 0, v[151:152]
	v_fma_f64 v[153:154], v[4:5], v[10:11], v[153:154]
	v_fma_f64 v[159:160], v[2:3], v[10:11], -v[12:13]
	ds_load_b128 v[2:5], v1 offset:1072
	scratch_load_b128 v[10:13], off, off offset:448
	v_add_f64_e32 v[147:148], v[147:148], v[155:156]
	v_add_f64_e32 v[149:150], v[151:152], v[149:150]
	v_fma_f64 v[155:156], v[8:9], v[14:15], v[157:158]
	v_fma_f64 v[157:158], v[6:7], v[14:15], -v[16:17]
	ds_load_b128 v[6:9], v1 offset:1088
	scratch_load_b128 v[14:17], off, off offset:464
	s_wait_loadcnt_dscnt 0x901
	v_mul_f64_e32 v[151:152], v[2:3], v[20:21]
	v_mul_f64_e32 v[20:21], v[4:5], v[20:21]
	v_add_f64_e32 v[147:148], v[147:148], v[159:160]
	v_add_f64_e32 v[149:150], v[149:150], v[153:154]
	s_wait_loadcnt_dscnt 0x800
	v_mul_f64_e32 v[153:154], v[6:7], v[24:25]
	v_mul_f64_e32 v[24:25], v[8:9], v[24:25]
	v_fma_f64 v[151:152], v[4:5], v[18:19], v[151:152]
	v_fma_f64 v[159:160], v[2:3], v[18:19], -v[20:21]
	ds_load_b128 v[2:5], v1 offset:1104
	scratch_load_b128 v[18:21], off, off offset:480
	v_add_f64_e32 v[147:148], v[147:148], v[157:158]
	v_add_f64_e32 v[149:150], v[149:150], v[155:156]
	v_fma_f64 v[153:154], v[8:9], v[22:23], v[153:154]
	v_fma_f64 v[157:158], v[6:7], v[22:23], -v[24:25]
	ds_load_b128 v[6:9], v1 offset:1120
	s_wait_loadcnt_dscnt 0x801
	v_mul_f64_e32 v[155:156], v[2:3], v[28:29]
	v_mul_f64_e32 v[28:29], v[4:5], v[28:29]
	scratch_load_b128 v[22:25], off, off offset:496
	v_add_f64_e32 v[147:148], v[147:148], v[159:160]
	v_add_f64_e32 v[149:150], v[149:150], v[151:152]
	s_wait_loadcnt_dscnt 0x800
	v_mul_f64_e32 v[151:152], v[6:7], v[32:33]
	v_mul_f64_e32 v[32:33], v[8:9], v[32:33]
	v_fma_f64 v[155:156], v[4:5], v[26:27], v[155:156]
	v_fma_f64 v[159:160], v[2:3], v[26:27], -v[28:29]
	ds_load_b128 v[2:5], v1 offset:1136
	scratch_load_b128 v[26:29], off, off offset:512
	v_add_f64_e32 v[147:148], v[147:148], v[157:158]
	v_add_f64_e32 v[149:150], v[149:150], v[153:154]
	v_fma_f64 v[151:152], v[8:9], v[30:31], v[151:152]
	v_fma_f64 v[157:158], v[6:7], v[30:31], -v[32:33]
	ds_load_b128 v[6:9], v1 offset:1152
	s_wait_loadcnt_dscnt 0x801
	v_mul_f64_e32 v[153:154], v[2:3], v[40:41]
	v_mul_f64_e32 v[40:41], v[4:5], v[40:41]
	scratch_load_b128 v[30:33], off, off offset:528
	v_add_f64_e32 v[147:148], v[147:148], v[159:160]
	v_add_f64_e32 v[149:150], v[149:150], v[155:156]
	s_wait_loadcnt_dscnt 0x800
	v_mul_f64_e32 v[155:156], v[6:7], v[145:146]
	v_mul_f64_e32 v[145:146], v[8:9], v[145:146]
	v_fma_f64 v[153:154], v[4:5], v[38:39], v[153:154]
	v_fma_f64 v[159:160], v[2:3], v[38:39], -v[40:41]
	ds_load_b128 v[2:5], v1 offset:1168
	scratch_load_b128 v[38:41], off, off offset:544
	v_add_f64_e32 v[147:148], v[147:148], v[157:158]
	v_add_f64_e32 v[149:150], v[149:150], v[151:152]
	v_fma_f64 v[155:156], v[8:9], v[143:144], v[155:156]
	v_fma_f64 v[157:158], v[6:7], v[143:144], -v[145:146]
	ds_load_b128 v[6:9], v1 offset:1184
	scratch_load_b128 v[143:146], off, off offset:560
	s_wait_loadcnt_dscnt 0x901
	v_mul_f64_e32 v[151:152], v[2:3], v[36:37]
	v_mul_f64_e32 v[36:37], v[4:5], v[36:37]
	v_add_f64_e32 v[147:148], v[147:148], v[159:160]
	v_add_f64_e32 v[149:150], v[149:150], v[153:154]
	s_wait_loadcnt_dscnt 0x800
	v_mul_f64_e32 v[153:154], v[6:7], v[141:142]
	v_mul_f64_e32 v[141:142], v[8:9], v[141:142]
	v_fma_f64 v[151:152], v[4:5], v[34:35], v[151:152]
	v_fma_f64 v[159:160], v[2:3], v[34:35], -v[36:37]
	ds_load_b128 v[2:5], v1 offset:1200
	scratch_load_b128 v[34:37], off, off offset:576
	v_add_f64_e32 v[147:148], v[147:148], v[157:158]
	v_add_f64_e32 v[149:150], v[149:150], v[155:156]
	v_fma_f64 v[153:154], v[8:9], v[139:140], v[153:154]
	v_fma_f64 v[157:158], v[6:7], v[139:140], -v[141:142]
	ds_load_b128 v[6:9], v1 offset:1216
	s_wait_loadcnt_dscnt 0x801
	v_mul_f64_e32 v[155:156], v[2:3], v[12:13]
	v_mul_f64_e32 v[12:13], v[4:5], v[12:13]
	scratch_load_b128 v[139:142], off, off offset:592
	v_add_f64_e32 v[147:148], v[147:148], v[159:160]
	v_add_f64_e32 v[149:150], v[149:150], v[151:152]
	s_wait_loadcnt_dscnt 0x800
	v_mul_f64_e32 v[151:152], v[6:7], v[16:17]
	v_mul_f64_e32 v[16:17], v[8:9], v[16:17]
	v_fma_f64 v[155:156], v[4:5], v[10:11], v[155:156]
	v_fma_f64 v[159:160], v[2:3], v[10:11], -v[12:13]
	ds_load_b128 v[2:5], v1 offset:1232
	scratch_load_b128 v[10:13], off, off offset:608
	v_add_f64_e32 v[147:148], v[147:148], v[157:158]
	v_add_f64_e32 v[149:150], v[149:150], v[153:154]
	v_fma_f64 v[151:152], v[8:9], v[14:15], v[151:152]
	v_fma_f64 v[157:158], v[6:7], v[14:15], -v[16:17]
	ds_load_b128 v[6:9], v1 offset:1248
	s_wait_loadcnt_dscnt 0x801
	v_mul_f64_e32 v[153:154], v[2:3], v[20:21]
	v_mul_f64_e32 v[20:21], v[4:5], v[20:21]
	scratch_load_b128 v[14:17], off, off offset:624
	;; [unrolled: 18-line block ×6, first 2 shown]
	v_add_f64_e32 v[147:148], v[147:148], v[159:160]
	v_add_f64_e32 v[149:150], v[149:150], v[153:154]
	s_wait_loadcnt_dscnt 0x800
	v_mul_f64_e32 v[153:154], v[6:7], v[16:17]
	v_mul_f64_e32 v[16:17], v[8:9], v[16:17]
	v_fma_f64 v[151:152], v[4:5], v[10:11], v[151:152]
	v_fma_f64 v[159:160], v[2:3], v[10:11], -v[12:13]
	ds_load_b128 v[2:5], v1 offset:1392
	scratch_load_b128 v[10:13], off, off offset:768
	v_add_f64_e32 v[147:148], v[147:148], v[157:158]
	v_add_f64_e32 v[149:150], v[149:150], v[155:156]
	v_fma_f64 v[153:154], v[8:9], v[14:15], v[153:154]
	v_fma_f64 v[14:15], v[6:7], v[14:15], -v[16:17]
	ds_load_b128 v[6:9], v1 offset:1408
	s_wait_loadcnt_dscnt 0x801
	v_mul_f64_e32 v[155:156], v[2:3], v[20:21]
	v_mul_f64_e32 v[20:21], v[4:5], v[20:21]
	v_add_f64_e32 v[16:17], v[147:148], v[159:160]
	v_add_f64_e32 v[147:148], v[149:150], v[151:152]
	s_wait_loadcnt_dscnt 0x700
	v_mul_f64_e32 v[149:150], v[6:7], v[24:25]
	v_mul_f64_e32 v[24:25], v[8:9], v[24:25]
	v_fma_f64 v[151:152], v[4:5], v[18:19], v[155:156]
	v_fma_f64 v[18:19], v[2:3], v[18:19], -v[20:21]
	ds_load_b128 v[2:5], v1 offset:1424
	v_add_f64_e32 v[14:15], v[16:17], v[14:15]
	v_add_f64_e32 v[16:17], v[147:148], v[153:154]
	v_fma_f64 v[147:148], v[8:9], v[22:23], v[149:150]
	v_fma_f64 v[22:23], v[6:7], v[22:23], -v[24:25]
	ds_load_b128 v[6:9], v1 offset:1440
	s_wait_loadcnt_dscnt 0x500
	v_mul_f64_e32 v[149:150], v[6:7], v[32:33]
	v_mul_f64_e32 v[32:33], v[8:9], v[32:33]
	v_add_f64_e32 v[18:19], v[14:15], v[18:19]
	v_add_f64_e32 v[24:25], v[16:17], v[151:152]
	scratch_load_b128 v[14:17], off, off offset:240
	v_mul_f64_e32 v[20:21], v[2:3], v[28:29]
	v_mul_f64_e32 v[28:29], v[4:5], v[28:29]
	v_add_f64_e32 v[18:19], v[18:19], v[22:23]
	v_add_f64_e32 v[22:23], v[24:25], v[147:148]
	s_delay_alu instid0(VALU_DEP_4) | instskip(NEXT) | instid1(VALU_DEP_4)
	v_fma_f64 v[20:21], v[4:5], v[26:27], v[20:21]
	v_fma_f64 v[26:27], v[2:3], v[26:27], -v[28:29]
	ds_load_b128 v[2:5], v1 offset:1456
	s_wait_loadcnt_dscnt 0x500
	v_mul_f64_e32 v[24:25], v[2:3], v[40:41]
	v_mul_f64_e32 v[28:29], v[4:5], v[40:41]
	v_fma_f64 v[40:41], v[8:9], v[30:31], v[149:150]
	v_fma_f64 v[30:31], v[6:7], v[30:31], -v[32:33]
	ds_load_b128 v[6:9], v1 offset:1472
	v_add_f64_e32 v[20:21], v[22:23], v[20:21]
	v_add_f64_e32 v[18:19], v[18:19], v[26:27]
	v_fma_f64 v[24:25], v[4:5], v[38:39], v[24:25]
	v_fma_f64 v[28:29], v[2:3], v[38:39], -v[28:29]
	ds_load_b128 v[2:5], v1 offset:1488
	s_wait_loadcnt_dscnt 0x401
	v_mul_f64_e32 v[22:23], v[6:7], v[145:146]
	v_mul_f64_e32 v[26:27], v[8:9], v[145:146]
	v_add_f64_e32 v[20:21], v[20:21], v[40:41]
	v_add_f64_e32 v[18:19], v[18:19], v[30:31]
	s_wait_loadcnt_dscnt 0x300
	v_mul_f64_e32 v[30:31], v[2:3], v[36:37]
	v_mul_f64_e32 v[32:33], v[4:5], v[36:37]
	v_fma_f64 v[22:23], v[8:9], v[143:144], v[22:23]
	v_fma_f64 v[26:27], v[6:7], v[143:144], -v[26:27]
	ds_load_b128 v[6:9], v1 offset:1504
	v_add_f64_e32 v[20:21], v[20:21], v[24:25]
	v_add_f64_e32 v[18:19], v[18:19], v[28:29]
	v_fma_f64 v[30:31], v[4:5], v[34:35], v[30:31]
	v_fma_f64 v[32:33], v[2:3], v[34:35], -v[32:33]
	ds_load_b128 v[2:5], v1 offset:1520
	s_wait_loadcnt_dscnt 0x201
	v_mul_f64_e32 v[24:25], v[6:7], v[141:142]
	v_mul_f64_e32 v[28:29], v[8:9], v[141:142]
	v_add_f64_e32 v[20:21], v[20:21], v[22:23]
	v_add_f64_e32 v[18:19], v[18:19], v[26:27]
	s_wait_loadcnt_dscnt 0x100
	v_mul_f64_e32 v[22:23], v[2:3], v[12:13]
	v_mul_f64_e32 v[12:13], v[4:5], v[12:13]
	v_fma_f64 v[8:9], v[8:9], v[139:140], v[24:25]
	v_fma_f64 v[6:7], v[6:7], v[139:140], -v[28:29]
	v_add_f64_e32 v[20:21], v[20:21], v[30:31]
	v_add_f64_e32 v[18:19], v[18:19], v[32:33]
	v_fma_f64 v[4:5], v[4:5], v[10:11], v[22:23]
	v_fma_f64 v[2:3], v[2:3], v[10:11], -v[12:13]
	s_delay_alu instid0(VALU_DEP_4) | instskip(NEXT) | instid1(VALU_DEP_4)
	v_add_f64_e32 v[8:9], v[20:21], v[8:9]
	v_add_f64_e32 v[6:7], v[18:19], v[6:7]
	s_delay_alu instid0(VALU_DEP_2) | instskip(NEXT) | instid1(VALU_DEP_2)
	v_add_f64_e32 v[4:5], v[8:9], v[4:5]
	v_add_f64_e32 v[2:3], v[6:7], v[2:3]
	s_wait_loadcnt 0x0
	s_delay_alu instid0(VALU_DEP_2) | instskip(NEXT) | instid1(VALU_DEP_2)
	v_add_f64_e64 v[4:5], v[16:17], -v[4:5]
	v_add_f64_e64 v[2:3], v[14:15], -v[2:3]
	scratch_store_b128 off, v[2:5], off offset:240
	v_cmpx_lt_u32_e32 13, v0
	s_cbranch_execz .LBB47_275
; %bb.274:
	scratch_load_b128 v[5:8], off, s48
	v_dual_mov_b32 v2, v1 :: v_dual_mov_b32 v3, v1
	v_mov_b32_e32 v4, v1
	scratch_store_b128 off, v[1:4], off offset:224
	s_wait_loadcnt 0x0
	ds_store_b128 v138, v[5:8]
.LBB47_275:
	s_wait_alu 0xfffe
	s_or_b32 exec_lo, exec_lo, s0
	s_wait_storecnt_dscnt 0x0
	s_barrier_signal -1
	s_barrier_wait -1
	global_inv scope:SCOPE_SE
	s_clause 0x7
	scratch_load_b128 v[2:5], off, off offset:240
	scratch_load_b128 v[6:9], off, off offset:256
	;; [unrolled: 1-line block ×8, first 2 shown]
	ds_load_b128 v[38:41], v1 offset:992
	ds_load_b128 v[139:142], v1 offset:1008
	s_clause 0x1
	scratch_load_b128 v[34:37], off, off offset:368
	scratch_load_b128 v[143:146], off, off offset:384
	s_mov_b32 s0, exec_lo
	s_wait_loadcnt_dscnt 0x901
	v_mul_f64_e32 v[147:148], v[40:41], v[4:5]
	v_mul_f64_e32 v[4:5], v[38:39], v[4:5]
	s_wait_loadcnt_dscnt 0x800
	v_mul_f64_e32 v[149:150], v[139:140], v[8:9]
	v_mul_f64_e32 v[8:9], v[141:142], v[8:9]
	s_delay_alu instid0(VALU_DEP_4) | instskip(NEXT) | instid1(VALU_DEP_4)
	v_fma_f64 v[147:148], v[38:39], v[2:3], -v[147:148]
	v_fma_f64 v[151:152], v[40:41], v[2:3], v[4:5]
	ds_load_b128 v[2:5], v1 offset:1024
	scratch_load_b128 v[38:41], off, off offset:400
	v_fma_f64 v[149:150], v[141:142], v[6:7], v[149:150]
	v_fma_f64 v[155:156], v[139:140], v[6:7], -v[8:9]
	ds_load_b128 v[6:9], v1 offset:1040
	scratch_load_b128 v[139:142], off, off offset:416
	s_wait_loadcnt_dscnt 0x901
	v_mul_f64_e32 v[153:154], v[2:3], v[12:13]
	v_mul_f64_e32 v[12:13], v[4:5], v[12:13]
	s_wait_loadcnt_dscnt 0x800
	v_mul_f64_e32 v[157:158], v[6:7], v[16:17]
	v_mul_f64_e32 v[16:17], v[8:9], v[16:17]
	v_add_f64_e32 v[147:148], 0, v[147:148]
	v_add_f64_e32 v[151:152], 0, v[151:152]
	v_fma_f64 v[153:154], v[4:5], v[10:11], v[153:154]
	v_fma_f64 v[159:160], v[2:3], v[10:11], -v[12:13]
	ds_load_b128 v[2:5], v1 offset:1056
	scratch_load_b128 v[10:13], off, off offset:432
	v_add_f64_e32 v[147:148], v[147:148], v[155:156]
	v_add_f64_e32 v[149:150], v[151:152], v[149:150]
	v_fma_f64 v[155:156], v[8:9], v[14:15], v[157:158]
	v_fma_f64 v[157:158], v[6:7], v[14:15], -v[16:17]
	ds_load_b128 v[6:9], v1 offset:1072
	scratch_load_b128 v[14:17], off, off offset:448
	s_wait_loadcnt_dscnt 0x901
	v_mul_f64_e32 v[151:152], v[2:3], v[20:21]
	v_mul_f64_e32 v[20:21], v[4:5], v[20:21]
	v_add_f64_e32 v[147:148], v[147:148], v[159:160]
	v_add_f64_e32 v[149:150], v[149:150], v[153:154]
	s_wait_loadcnt_dscnt 0x800
	v_mul_f64_e32 v[153:154], v[6:7], v[24:25]
	v_mul_f64_e32 v[24:25], v[8:9], v[24:25]
	v_fma_f64 v[151:152], v[4:5], v[18:19], v[151:152]
	v_fma_f64 v[159:160], v[2:3], v[18:19], -v[20:21]
	ds_load_b128 v[2:5], v1 offset:1088
	scratch_load_b128 v[18:21], off, off offset:464
	v_add_f64_e32 v[147:148], v[147:148], v[157:158]
	v_add_f64_e32 v[149:150], v[149:150], v[155:156]
	v_fma_f64 v[153:154], v[8:9], v[22:23], v[153:154]
	v_fma_f64 v[157:158], v[6:7], v[22:23], -v[24:25]
	ds_load_b128 v[6:9], v1 offset:1104
	s_wait_loadcnt_dscnt 0x801
	v_mul_f64_e32 v[155:156], v[2:3], v[28:29]
	v_mul_f64_e32 v[28:29], v[4:5], v[28:29]
	scratch_load_b128 v[22:25], off, off offset:480
	v_add_f64_e32 v[147:148], v[147:148], v[159:160]
	v_add_f64_e32 v[149:150], v[149:150], v[151:152]
	s_wait_loadcnt_dscnt 0x800
	v_mul_f64_e32 v[151:152], v[6:7], v[32:33]
	v_mul_f64_e32 v[32:33], v[8:9], v[32:33]
	v_fma_f64 v[155:156], v[4:5], v[26:27], v[155:156]
	v_fma_f64 v[159:160], v[2:3], v[26:27], -v[28:29]
	ds_load_b128 v[2:5], v1 offset:1120
	scratch_load_b128 v[26:29], off, off offset:496
	v_add_f64_e32 v[147:148], v[147:148], v[157:158]
	v_add_f64_e32 v[149:150], v[149:150], v[153:154]
	v_fma_f64 v[151:152], v[8:9], v[30:31], v[151:152]
	v_fma_f64 v[157:158], v[6:7], v[30:31], -v[32:33]
	ds_load_b128 v[6:9], v1 offset:1136
	s_wait_loadcnt_dscnt 0x801
	v_mul_f64_e32 v[153:154], v[2:3], v[36:37]
	v_mul_f64_e32 v[36:37], v[4:5], v[36:37]
	scratch_load_b128 v[30:33], off, off offset:512
	v_add_f64_e32 v[147:148], v[147:148], v[159:160]
	v_add_f64_e32 v[149:150], v[149:150], v[155:156]
	s_wait_loadcnt_dscnt 0x800
	v_mul_f64_e32 v[155:156], v[6:7], v[145:146]
	v_mul_f64_e32 v[145:146], v[8:9], v[145:146]
	v_fma_f64 v[153:154], v[4:5], v[34:35], v[153:154]
	v_fma_f64 v[159:160], v[2:3], v[34:35], -v[36:37]
	ds_load_b128 v[2:5], v1 offset:1152
	scratch_load_b128 v[34:37], off, off offset:528
	v_add_f64_e32 v[147:148], v[147:148], v[157:158]
	v_add_f64_e32 v[149:150], v[149:150], v[151:152]
	v_fma_f64 v[155:156], v[8:9], v[143:144], v[155:156]
	v_fma_f64 v[157:158], v[6:7], v[143:144], -v[145:146]
	ds_load_b128 v[6:9], v1 offset:1168
	scratch_load_b128 v[143:146], off, off offset:544
	s_wait_loadcnt_dscnt 0x901
	v_mul_f64_e32 v[151:152], v[2:3], v[40:41]
	v_mul_f64_e32 v[40:41], v[4:5], v[40:41]
	v_add_f64_e32 v[147:148], v[147:148], v[159:160]
	v_add_f64_e32 v[149:150], v[149:150], v[153:154]
	s_wait_loadcnt_dscnt 0x800
	v_mul_f64_e32 v[153:154], v[6:7], v[141:142]
	v_mul_f64_e32 v[141:142], v[8:9], v[141:142]
	v_fma_f64 v[151:152], v[4:5], v[38:39], v[151:152]
	v_fma_f64 v[159:160], v[2:3], v[38:39], -v[40:41]
	ds_load_b128 v[2:5], v1 offset:1184
	scratch_load_b128 v[38:41], off, off offset:560
	v_add_f64_e32 v[147:148], v[147:148], v[157:158]
	v_add_f64_e32 v[149:150], v[149:150], v[155:156]
	v_fma_f64 v[153:154], v[8:9], v[139:140], v[153:154]
	v_fma_f64 v[157:158], v[6:7], v[139:140], -v[141:142]
	ds_load_b128 v[6:9], v1 offset:1200
	s_wait_loadcnt_dscnt 0x801
	v_mul_f64_e32 v[155:156], v[2:3], v[12:13]
	v_mul_f64_e32 v[12:13], v[4:5], v[12:13]
	scratch_load_b128 v[139:142], off, off offset:576
	v_add_f64_e32 v[147:148], v[147:148], v[159:160]
	v_add_f64_e32 v[149:150], v[149:150], v[151:152]
	s_wait_loadcnt_dscnt 0x800
	v_mul_f64_e32 v[151:152], v[6:7], v[16:17]
	v_mul_f64_e32 v[16:17], v[8:9], v[16:17]
	v_fma_f64 v[155:156], v[4:5], v[10:11], v[155:156]
	v_fma_f64 v[159:160], v[2:3], v[10:11], -v[12:13]
	ds_load_b128 v[2:5], v1 offset:1216
	scratch_load_b128 v[10:13], off, off offset:592
	v_add_f64_e32 v[147:148], v[147:148], v[157:158]
	v_add_f64_e32 v[149:150], v[149:150], v[153:154]
	v_fma_f64 v[151:152], v[8:9], v[14:15], v[151:152]
	v_fma_f64 v[157:158], v[6:7], v[14:15], -v[16:17]
	ds_load_b128 v[6:9], v1 offset:1232
	s_wait_loadcnt_dscnt 0x801
	v_mul_f64_e32 v[153:154], v[2:3], v[20:21]
	v_mul_f64_e32 v[20:21], v[4:5], v[20:21]
	scratch_load_b128 v[14:17], off, off offset:608
	;; [unrolled: 18-line block ×7, first 2 shown]
	v_add_f64_e32 v[147:148], v[147:148], v[159:160]
	v_add_f64_e32 v[149:150], v[149:150], v[151:152]
	s_wait_loadcnt_dscnt 0x800
	v_mul_f64_e32 v[151:152], v[6:7], v[24:25]
	v_mul_f64_e32 v[24:25], v[8:9], v[24:25]
	v_fma_f64 v[155:156], v[4:5], v[18:19], v[155:156]
	v_fma_f64 v[18:19], v[2:3], v[18:19], -v[20:21]
	ds_load_b128 v[2:5], v1 offset:1408
	v_add_f64_e32 v[20:21], v[147:148], v[157:158]
	v_add_f64_e32 v[147:148], v[149:150], v[153:154]
	v_fma_f64 v[151:152], v[8:9], v[22:23], v[151:152]
	v_fma_f64 v[22:23], v[6:7], v[22:23], -v[24:25]
	ds_load_b128 v[6:9], v1 offset:1424
	s_wait_loadcnt_dscnt 0x701
	v_mul_f64_e32 v[149:150], v[2:3], v[28:29]
	v_mul_f64_e32 v[28:29], v[4:5], v[28:29]
	v_add_f64_e32 v[18:19], v[20:21], v[18:19]
	v_add_f64_e32 v[20:21], v[147:148], v[155:156]
	s_delay_alu instid0(VALU_DEP_4) | instskip(NEXT) | instid1(VALU_DEP_4)
	v_fma_f64 v[147:148], v[4:5], v[26:27], v[149:150]
	v_fma_f64 v[26:27], v[2:3], v[26:27], -v[28:29]
	ds_load_b128 v[2:5], v1 offset:1440
	v_add_f64_e32 v[22:23], v[18:19], v[22:23]
	v_add_f64_e32 v[28:29], v[20:21], v[151:152]
	scratch_load_b128 v[18:21], off, off offset:224
	s_wait_loadcnt_dscnt 0x701
	v_mul_f64_e32 v[24:25], v[6:7], v[32:33]
	v_mul_f64_e32 v[32:33], v[8:9], v[32:33]
	v_add_f64_e32 v[22:23], v[22:23], v[26:27]
	v_add_f64_e32 v[26:27], v[28:29], v[147:148]
	s_delay_alu instid0(VALU_DEP_4) | instskip(NEXT) | instid1(VALU_DEP_4)
	v_fma_f64 v[24:25], v[8:9], v[30:31], v[24:25]
	v_fma_f64 v[30:31], v[6:7], v[30:31], -v[32:33]
	ds_load_b128 v[6:9], v1 offset:1456
	s_wait_loadcnt_dscnt 0x601
	v_mul_f64_e32 v[149:150], v[2:3], v[36:37]
	v_mul_f64_e32 v[36:37], v[4:5], v[36:37]
	s_wait_loadcnt_dscnt 0x500
	v_mul_f64_e32 v[28:29], v[6:7], v[145:146]
	v_mul_f64_e32 v[32:33], v[8:9], v[145:146]
	v_add_f64_e32 v[24:25], v[26:27], v[24:25]
	v_add_f64_e32 v[22:23], v[22:23], v[30:31]
	v_fma_f64 v[145:146], v[4:5], v[34:35], v[149:150]
	v_fma_f64 v[34:35], v[2:3], v[34:35], -v[36:37]
	ds_load_b128 v[2:5], v1 offset:1472
	v_fma_f64 v[28:29], v[8:9], v[143:144], v[28:29]
	v_fma_f64 v[32:33], v[6:7], v[143:144], -v[32:33]
	ds_load_b128 v[6:9], v1 offset:1488
	s_wait_loadcnt_dscnt 0x401
	v_mul_f64_e32 v[26:27], v[2:3], v[40:41]
	v_mul_f64_e32 v[30:31], v[4:5], v[40:41]
	v_add_f64_e32 v[24:25], v[24:25], v[145:146]
	v_add_f64_e32 v[22:23], v[22:23], v[34:35]
	s_wait_loadcnt_dscnt 0x300
	v_mul_f64_e32 v[34:35], v[6:7], v[141:142]
	v_mul_f64_e32 v[36:37], v[8:9], v[141:142]
	v_fma_f64 v[26:27], v[4:5], v[38:39], v[26:27]
	v_fma_f64 v[30:31], v[2:3], v[38:39], -v[30:31]
	ds_load_b128 v[2:5], v1 offset:1504
	v_add_f64_e32 v[24:25], v[24:25], v[28:29]
	v_add_f64_e32 v[22:23], v[22:23], v[32:33]
	v_fma_f64 v[32:33], v[8:9], v[139:140], v[34:35]
	v_fma_f64 v[34:35], v[6:7], v[139:140], -v[36:37]
	ds_load_b128 v[6:9], v1 offset:1520
	s_wait_loadcnt_dscnt 0x201
	v_mul_f64_e32 v[28:29], v[2:3], v[12:13]
	v_mul_f64_e32 v[12:13], v[4:5], v[12:13]
	v_add_f64_e32 v[24:25], v[24:25], v[26:27]
	v_add_f64_e32 v[22:23], v[22:23], v[30:31]
	s_wait_loadcnt_dscnt 0x100
	v_mul_f64_e32 v[26:27], v[6:7], v[16:17]
	v_mul_f64_e32 v[16:17], v[8:9], v[16:17]
	v_fma_f64 v[4:5], v[4:5], v[10:11], v[28:29]
	v_fma_f64 v[1:2], v[2:3], v[10:11], -v[12:13]
	v_add_f64_e32 v[12:13], v[24:25], v[32:33]
	v_add_f64_e32 v[10:11], v[22:23], v[34:35]
	v_fma_f64 v[8:9], v[8:9], v[14:15], v[26:27]
	v_fma_f64 v[6:7], v[6:7], v[14:15], -v[16:17]
	s_delay_alu instid0(VALU_DEP_4) | instskip(NEXT) | instid1(VALU_DEP_4)
	v_add_f64_e32 v[3:4], v[12:13], v[4:5]
	v_add_f64_e32 v[1:2], v[10:11], v[1:2]
	s_delay_alu instid0(VALU_DEP_2) | instskip(NEXT) | instid1(VALU_DEP_2)
	v_add_f64_e32 v[3:4], v[3:4], v[8:9]
	v_add_f64_e32 v[1:2], v[1:2], v[6:7]
	s_wait_loadcnt 0x0
	s_delay_alu instid0(VALU_DEP_2) | instskip(NEXT) | instid1(VALU_DEP_2)
	v_add_f64_e64 v[3:4], v[20:21], -v[3:4]
	v_add_f64_e64 v[1:2], v[18:19], -v[1:2]
	scratch_store_b128 off, v[1:4], off offset:224
	v_cmpx_lt_u32_e32 12, v0
	s_cbranch_execz .LBB47_277
; %bb.276:
	scratch_load_b128 v[1:4], off, s49
	v_mov_b32_e32 v5, 0
	s_delay_alu instid0(VALU_DEP_1)
	v_dual_mov_b32 v6, v5 :: v_dual_mov_b32 v7, v5
	v_mov_b32_e32 v8, v5
	scratch_store_b128 off, v[5:8], off offset:208
	s_wait_loadcnt 0x0
	ds_store_b128 v138, v[1:4]
.LBB47_277:
	s_wait_alu 0xfffe
	s_or_b32 exec_lo, exec_lo, s0
	s_wait_storecnt_dscnt 0x0
	s_barrier_signal -1
	s_barrier_wait -1
	global_inv scope:SCOPE_SE
	s_clause 0x7
	scratch_load_b128 v[2:5], off, off offset:224
	scratch_load_b128 v[6:9], off, off offset:240
	;; [unrolled: 1-line block ×8, first 2 shown]
	v_mov_b32_e32 v1, 0
	s_clause 0x1
	scratch_load_b128 v[34:37], off, off offset:352
	scratch_load_b128 v[143:146], off, off offset:368
	s_mov_b32 s0, exec_lo
	ds_load_b128 v[38:41], v1 offset:976
	ds_load_b128 v[139:142], v1 offset:992
	s_wait_loadcnt_dscnt 0x901
	v_mul_f64_e32 v[147:148], v[40:41], v[4:5]
	v_mul_f64_e32 v[4:5], v[38:39], v[4:5]
	s_wait_loadcnt_dscnt 0x800
	v_mul_f64_e32 v[149:150], v[139:140], v[8:9]
	v_mul_f64_e32 v[8:9], v[141:142], v[8:9]
	s_delay_alu instid0(VALU_DEP_4) | instskip(NEXT) | instid1(VALU_DEP_4)
	v_fma_f64 v[147:148], v[38:39], v[2:3], -v[147:148]
	v_fma_f64 v[151:152], v[40:41], v[2:3], v[4:5]
	ds_load_b128 v[2:5], v1 offset:1008
	scratch_load_b128 v[38:41], off, off offset:384
	v_fma_f64 v[149:150], v[141:142], v[6:7], v[149:150]
	v_fma_f64 v[155:156], v[139:140], v[6:7], -v[8:9]
	ds_load_b128 v[6:9], v1 offset:1024
	scratch_load_b128 v[139:142], off, off offset:400
	s_wait_loadcnt_dscnt 0x901
	v_mul_f64_e32 v[153:154], v[2:3], v[12:13]
	v_mul_f64_e32 v[12:13], v[4:5], v[12:13]
	s_wait_loadcnt_dscnt 0x800
	v_mul_f64_e32 v[157:158], v[6:7], v[16:17]
	v_mul_f64_e32 v[16:17], v[8:9], v[16:17]
	v_add_f64_e32 v[147:148], 0, v[147:148]
	v_add_f64_e32 v[151:152], 0, v[151:152]
	v_fma_f64 v[153:154], v[4:5], v[10:11], v[153:154]
	v_fma_f64 v[159:160], v[2:3], v[10:11], -v[12:13]
	ds_load_b128 v[2:5], v1 offset:1040
	scratch_load_b128 v[10:13], off, off offset:416
	v_add_f64_e32 v[147:148], v[147:148], v[155:156]
	v_add_f64_e32 v[149:150], v[151:152], v[149:150]
	v_fma_f64 v[155:156], v[8:9], v[14:15], v[157:158]
	v_fma_f64 v[157:158], v[6:7], v[14:15], -v[16:17]
	ds_load_b128 v[6:9], v1 offset:1056
	scratch_load_b128 v[14:17], off, off offset:432
	s_wait_loadcnt_dscnt 0x901
	v_mul_f64_e32 v[151:152], v[2:3], v[20:21]
	v_mul_f64_e32 v[20:21], v[4:5], v[20:21]
	v_add_f64_e32 v[147:148], v[147:148], v[159:160]
	v_add_f64_e32 v[149:150], v[149:150], v[153:154]
	s_wait_loadcnt_dscnt 0x800
	v_mul_f64_e32 v[153:154], v[6:7], v[24:25]
	v_mul_f64_e32 v[24:25], v[8:9], v[24:25]
	v_fma_f64 v[151:152], v[4:5], v[18:19], v[151:152]
	v_fma_f64 v[159:160], v[2:3], v[18:19], -v[20:21]
	ds_load_b128 v[2:5], v1 offset:1072
	scratch_load_b128 v[18:21], off, off offset:448
	v_add_f64_e32 v[147:148], v[147:148], v[157:158]
	v_add_f64_e32 v[149:150], v[149:150], v[155:156]
	v_fma_f64 v[153:154], v[8:9], v[22:23], v[153:154]
	v_fma_f64 v[157:158], v[6:7], v[22:23], -v[24:25]
	ds_load_b128 v[6:9], v1 offset:1088
	s_wait_loadcnt_dscnt 0x801
	v_mul_f64_e32 v[155:156], v[2:3], v[28:29]
	v_mul_f64_e32 v[28:29], v[4:5], v[28:29]
	scratch_load_b128 v[22:25], off, off offset:464
	v_add_f64_e32 v[147:148], v[147:148], v[159:160]
	v_add_f64_e32 v[149:150], v[149:150], v[151:152]
	s_wait_loadcnt_dscnt 0x800
	v_mul_f64_e32 v[151:152], v[6:7], v[32:33]
	v_mul_f64_e32 v[32:33], v[8:9], v[32:33]
	v_fma_f64 v[155:156], v[4:5], v[26:27], v[155:156]
	v_fma_f64 v[159:160], v[2:3], v[26:27], -v[28:29]
	ds_load_b128 v[2:5], v1 offset:1104
	scratch_load_b128 v[26:29], off, off offset:480
	v_add_f64_e32 v[147:148], v[147:148], v[157:158]
	v_add_f64_e32 v[149:150], v[149:150], v[153:154]
	v_fma_f64 v[151:152], v[8:9], v[30:31], v[151:152]
	v_fma_f64 v[157:158], v[6:7], v[30:31], -v[32:33]
	ds_load_b128 v[6:9], v1 offset:1120
	s_wait_loadcnt_dscnt 0x801
	v_mul_f64_e32 v[153:154], v[2:3], v[36:37]
	v_mul_f64_e32 v[36:37], v[4:5], v[36:37]
	scratch_load_b128 v[30:33], off, off offset:496
	v_add_f64_e32 v[147:148], v[147:148], v[159:160]
	v_add_f64_e32 v[149:150], v[149:150], v[155:156]
	s_wait_loadcnt_dscnt 0x800
	v_mul_f64_e32 v[155:156], v[6:7], v[145:146]
	v_mul_f64_e32 v[145:146], v[8:9], v[145:146]
	v_fma_f64 v[153:154], v[4:5], v[34:35], v[153:154]
	v_fma_f64 v[159:160], v[2:3], v[34:35], -v[36:37]
	ds_load_b128 v[2:5], v1 offset:1136
	scratch_load_b128 v[34:37], off, off offset:512
	v_add_f64_e32 v[147:148], v[147:148], v[157:158]
	v_add_f64_e32 v[149:150], v[149:150], v[151:152]
	v_fma_f64 v[155:156], v[8:9], v[143:144], v[155:156]
	v_fma_f64 v[157:158], v[6:7], v[143:144], -v[145:146]
	ds_load_b128 v[6:9], v1 offset:1152
	scratch_load_b128 v[143:146], off, off offset:528
	s_wait_loadcnt_dscnt 0x901
	v_mul_f64_e32 v[151:152], v[2:3], v[40:41]
	v_mul_f64_e32 v[40:41], v[4:5], v[40:41]
	v_add_f64_e32 v[147:148], v[147:148], v[159:160]
	v_add_f64_e32 v[149:150], v[149:150], v[153:154]
	s_wait_loadcnt_dscnt 0x800
	v_mul_f64_e32 v[153:154], v[6:7], v[141:142]
	v_mul_f64_e32 v[141:142], v[8:9], v[141:142]
	v_fma_f64 v[151:152], v[4:5], v[38:39], v[151:152]
	v_fma_f64 v[159:160], v[2:3], v[38:39], -v[40:41]
	ds_load_b128 v[2:5], v1 offset:1168
	scratch_load_b128 v[38:41], off, off offset:544
	v_add_f64_e32 v[147:148], v[147:148], v[157:158]
	v_add_f64_e32 v[149:150], v[149:150], v[155:156]
	v_fma_f64 v[153:154], v[8:9], v[139:140], v[153:154]
	v_fma_f64 v[157:158], v[6:7], v[139:140], -v[141:142]
	ds_load_b128 v[6:9], v1 offset:1184
	s_wait_loadcnt_dscnt 0x801
	v_mul_f64_e32 v[155:156], v[2:3], v[12:13]
	v_mul_f64_e32 v[12:13], v[4:5], v[12:13]
	scratch_load_b128 v[139:142], off, off offset:560
	v_add_f64_e32 v[147:148], v[147:148], v[159:160]
	v_add_f64_e32 v[149:150], v[149:150], v[151:152]
	s_wait_loadcnt_dscnt 0x800
	v_mul_f64_e32 v[151:152], v[6:7], v[16:17]
	v_mul_f64_e32 v[16:17], v[8:9], v[16:17]
	v_fma_f64 v[155:156], v[4:5], v[10:11], v[155:156]
	v_fma_f64 v[159:160], v[2:3], v[10:11], -v[12:13]
	ds_load_b128 v[2:5], v1 offset:1200
	scratch_load_b128 v[10:13], off, off offset:576
	v_add_f64_e32 v[147:148], v[147:148], v[157:158]
	v_add_f64_e32 v[149:150], v[149:150], v[153:154]
	v_fma_f64 v[151:152], v[8:9], v[14:15], v[151:152]
	v_fma_f64 v[157:158], v[6:7], v[14:15], -v[16:17]
	ds_load_b128 v[6:9], v1 offset:1216
	s_wait_loadcnt_dscnt 0x801
	v_mul_f64_e32 v[153:154], v[2:3], v[20:21]
	v_mul_f64_e32 v[20:21], v[4:5], v[20:21]
	scratch_load_b128 v[14:17], off, off offset:592
	;; [unrolled: 18-line block ×7, first 2 shown]
	v_add_f64_e32 v[147:148], v[147:148], v[159:160]
	v_add_f64_e32 v[149:150], v[149:150], v[151:152]
	s_wait_loadcnt_dscnt 0x800
	v_mul_f64_e32 v[151:152], v[6:7], v[24:25]
	v_mul_f64_e32 v[24:25], v[8:9], v[24:25]
	v_fma_f64 v[155:156], v[4:5], v[18:19], v[155:156]
	v_fma_f64 v[159:160], v[2:3], v[18:19], -v[20:21]
	ds_load_b128 v[2:5], v1 offset:1392
	scratch_load_b128 v[18:21], off, off offset:768
	v_add_f64_e32 v[147:148], v[147:148], v[157:158]
	v_add_f64_e32 v[149:150], v[149:150], v[153:154]
	v_fma_f64 v[151:152], v[8:9], v[22:23], v[151:152]
	v_fma_f64 v[22:23], v[6:7], v[22:23], -v[24:25]
	ds_load_b128 v[6:9], v1 offset:1408
	s_wait_loadcnt_dscnt 0x801
	v_mul_f64_e32 v[153:154], v[2:3], v[28:29]
	v_mul_f64_e32 v[28:29], v[4:5], v[28:29]
	v_add_f64_e32 v[24:25], v[147:148], v[159:160]
	v_add_f64_e32 v[147:148], v[149:150], v[155:156]
	s_wait_loadcnt_dscnt 0x700
	v_mul_f64_e32 v[149:150], v[6:7], v[32:33]
	v_mul_f64_e32 v[32:33], v[8:9], v[32:33]
	v_fma_f64 v[153:154], v[4:5], v[26:27], v[153:154]
	v_fma_f64 v[26:27], v[2:3], v[26:27], -v[28:29]
	ds_load_b128 v[2:5], v1 offset:1424
	v_add_f64_e32 v[22:23], v[24:25], v[22:23]
	v_add_f64_e32 v[24:25], v[147:148], v[151:152]
	v_fma_f64 v[147:148], v[8:9], v[30:31], v[149:150]
	v_fma_f64 v[30:31], v[6:7], v[30:31], -v[32:33]
	ds_load_b128 v[6:9], v1 offset:1440
	s_wait_loadcnt_dscnt 0x500
	v_mul_f64_e32 v[149:150], v[6:7], v[145:146]
	v_mul_f64_e32 v[145:146], v[8:9], v[145:146]
	v_add_f64_e32 v[26:27], v[22:23], v[26:27]
	v_add_f64_e32 v[32:33], v[24:25], v[153:154]
	scratch_load_b128 v[22:25], off, off offset:208
	v_mul_f64_e32 v[28:29], v[2:3], v[36:37]
	v_mul_f64_e32 v[36:37], v[4:5], v[36:37]
	v_add_f64_e32 v[26:27], v[26:27], v[30:31]
	v_add_f64_e32 v[30:31], v[32:33], v[147:148]
	s_delay_alu instid0(VALU_DEP_4) | instskip(NEXT) | instid1(VALU_DEP_4)
	v_fma_f64 v[28:29], v[4:5], v[34:35], v[28:29]
	v_fma_f64 v[34:35], v[2:3], v[34:35], -v[36:37]
	ds_load_b128 v[2:5], v1 offset:1456
	s_wait_loadcnt_dscnt 0x500
	v_mul_f64_e32 v[32:33], v[2:3], v[40:41]
	v_mul_f64_e32 v[36:37], v[4:5], v[40:41]
	v_fma_f64 v[40:41], v[8:9], v[143:144], v[149:150]
	v_fma_f64 v[143:144], v[6:7], v[143:144], -v[145:146]
	ds_load_b128 v[6:9], v1 offset:1472
	v_add_f64_e32 v[28:29], v[30:31], v[28:29]
	v_add_f64_e32 v[26:27], v[26:27], v[34:35]
	v_fma_f64 v[32:33], v[4:5], v[38:39], v[32:33]
	v_fma_f64 v[36:37], v[2:3], v[38:39], -v[36:37]
	ds_load_b128 v[2:5], v1 offset:1488
	s_wait_loadcnt_dscnt 0x401
	v_mul_f64_e32 v[30:31], v[6:7], v[141:142]
	v_mul_f64_e32 v[34:35], v[8:9], v[141:142]
	v_add_f64_e32 v[28:29], v[28:29], v[40:41]
	v_add_f64_e32 v[26:27], v[26:27], v[143:144]
	s_wait_loadcnt_dscnt 0x300
	v_mul_f64_e32 v[38:39], v[2:3], v[12:13]
	v_mul_f64_e32 v[12:13], v[4:5], v[12:13]
	v_fma_f64 v[30:31], v[8:9], v[139:140], v[30:31]
	v_fma_f64 v[34:35], v[6:7], v[139:140], -v[34:35]
	ds_load_b128 v[6:9], v1 offset:1504
	v_add_f64_e32 v[28:29], v[28:29], v[32:33]
	v_add_f64_e32 v[26:27], v[26:27], v[36:37]
	v_fma_f64 v[36:37], v[4:5], v[10:11], v[38:39]
	v_fma_f64 v[10:11], v[2:3], v[10:11], -v[12:13]
	ds_load_b128 v[2:5], v1 offset:1520
	s_wait_loadcnt_dscnt 0x201
	v_mul_f64_e32 v[32:33], v[6:7], v[16:17]
	v_mul_f64_e32 v[16:17], v[8:9], v[16:17]
	v_add_f64_e32 v[12:13], v[26:27], v[34:35]
	v_add_f64_e32 v[26:27], v[28:29], v[30:31]
	s_wait_loadcnt_dscnt 0x100
	v_mul_f64_e32 v[28:29], v[2:3], v[20:21]
	v_mul_f64_e32 v[20:21], v[4:5], v[20:21]
	v_fma_f64 v[8:9], v[8:9], v[14:15], v[32:33]
	v_fma_f64 v[6:7], v[6:7], v[14:15], -v[16:17]
	v_add_f64_e32 v[10:11], v[12:13], v[10:11]
	v_add_f64_e32 v[12:13], v[26:27], v[36:37]
	v_fma_f64 v[4:5], v[4:5], v[18:19], v[28:29]
	v_fma_f64 v[2:3], v[2:3], v[18:19], -v[20:21]
	s_delay_alu instid0(VALU_DEP_4) | instskip(NEXT) | instid1(VALU_DEP_4)
	v_add_f64_e32 v[6:7], v[10:11], v[6:7]
	v_add_f64_e32 v[8:9], v[12:13], v[8:9]
	s_delay_alu instid0(VALU_DEP_2) | instskip(NEXT) | instid1(VALU_DEP_2)
	v_add_f64_e32 v[2:3], v[6:7], v[2:3]
	v_add_f64_e32 v[4:5], v[8:9], v[4:5]
	s_wait_loadcnt 0x0
	s_delay_alu instid0(VALU_DEP_2) | instskip(NEXT) | instid1(VALU_DEP_2)
	v_add_f64_e64 v[2:3], v[22:23], -v[2:3]
	v_add_f64_e64 v[4:5], v[24:25], -v[4:5]
	scratch_store_b128 off, v[2:5], off offset:208
	v_cmpx_lt_u32_e32 11, v0
	s_cbranch_execz .LBB47_279
; %bb.278:
	scratch_load_b128 v[5:8], off, s50
	v_dual_mov_b32 v2, v1 :: v_dual_mov_b32 v3, v1
	v_mov_b32_e32 v4, v1
	scratch_store_b128 off, v[1:4], off offset:192
	s_wait_loadcnt 0x0
	ds_store_b128 v138, v[5:8]
.LBB47_279:
	s_wait_alu 0xfffe
	s_or_b32 exec_lo, exec_lo, s0
	s_wait_storecnt_dscnt 0x0
	s_barrier_signal -1
	s_barrier_wait -1
	global_inv scope:SCOPE_SE
	s_clause 0x7
	scratch_load_b128 v[2:5], off, off offset:208
	scratch_load_b128 v[6:9], off, off offset:224
	;; [unrolled: 1-line block ×8, first 2 shown]
	ds_load_b128 v[38:41], v1 offset:960
	ds_load_b128 v[139:142], v1 offset:976
	s_clause 0x1
	scratch_load_b128 v[34:37], off, off offset:336
	scratch_load_b128 v[143:146], off, off offset:352
	s_mov_b32 s0, exec_lo
	s_wait_loadcnt_dscnt 0x901
	v_mul_f64_e32 v[147:148], v[40:41], v[4:5]
	v_mul_f64_e32 v[4:5], v[38:39], v[4:5]
	s_wait_loadcnt_dscnt 0x800
	v_mul_f64_e32 v[149:150], v[139:140], v[8:9]
	v_mul_f64_e32 v[8:9], v[141:142], v[8:9]
	s_delay_alu instid0(VALU_DEP_4) | instskip(NEXT) | instid1(VALU_DEP_4)
	v_fma_f64 v[147:148], v[38:39], v[2:3], -v[147:148]
	v_fma_f64 v[151:152], v[40:41], v[2:3], v[4:5]
	ds_load_b128 v[2:5], v1 offset:992
	scratch_load_b128 v[38:41], off, off offset:368
	v_fma_f64 v[149:150], v[141:142], v[6:7], v[149:150]
	v_fma_f64 v[155:156], v[139:140], v[6:7], -v[8:9]
	ds_load_b128 v[6:9], v1 offset:1008
	scratch_load_b128 v[139:142], off, off offset:384
	s_wait_loadcnt_dscnt 0x901
	v_mul_f64_e32 v[153:154], v[2:3], v[12:13]
	v_mul_f64_e32 v[12:13], v[4:5], v[12:13]
	s_wait_loadcnt_dscnt 0x800
	v_mul_f64_e32 v[157:158], v[6:7], v[16:17]
	v_mul_f64_e32 v[16:17], v[8:9], v[16:17]
	v_add_f64_e32 v[147:148], 0, v[147:148]
	v_add_f64_e32 v[151:152], 0, v[151:152]
	v_fma_f64 v[153:154], v[4:5], v[10:11], v[153:154]
	v_fma_f64 v[159:160], v[2:3], v[10:11], -v[12:13]
	ds_load_b128 v[2:5], v1 offset:1024
	scratch_load_b128 v[10:13], off, off offset:400
	v_add_f64_e32 v[147:148], v[147:148], v[155:156]
	v_add_f64_e32 v[149:150], v[151:152], v[149:150]
	v_fma_f64 v[155:156], v[8:9], v[14:15], v[157:158]
	v_fma_f64 v[157:158], v[6:7], v[14:15], -v[16:17]
	ds_load_b128 v[6:9], v1 offset:1040
	scratch_load_b128 v[14:17], off, off offset:416
	s_wait_loadcnt_dscnt 0x901
	v_mul_f64_e32 v[151:152], v[2:3], v[20:21]
	v_mul_f64_e32 v[20:21], v[4:5], v[20:21]
	v_add_f64_e32 v[147:148], v[147:148], v[159:160]
	v_add_f64_e32 v[149:150], v[149:150], v[153:154]
	s_wait_loadcnt_dscnt 0x800
	v_mul_f64_e32 v[153:154], v[6:7], v[24:25]
	v_mul_f64_e32 v[24:25], v[8:9], v[24:25]
	v_fma_f64 v[151:152], v[4:5], v[18:19], v[151:152]
	v_fma_f64 v[159:160], v[2:3], v[18:19], -v[20:21]
	ds_load_b128 v[2:5], v1 offset:1056
	scratch_load_b128 v[18:21], off, off offset:432
	v_add_f64_e32 v[147:148], v[147:148], v[157:158]
	v_add_f64_e32 v[149:150], v[149:150], v[155:156]
	v_fma_f64 v[153:154], v[8:9], v[22:23], v[153:154]
	v_fma_f64 v[157:158], v[6:7], v[22:23], -v[24:25]
	ds_load_b128 v[6:9], v1 offset:1072
	s_wait_loadcnt_dscnt 0x801
	v_mul_f64_e32 v[155:156], v[2:3], v[28:29]
	v_mul_f64_e32 v[28:29], v[4:5], v[28:29]
	scratch_load_b128 v[22:25], off, off offset:448
	v_add_f64_e32 v[147:148], v[147:148], v[159:160]
	v_add_f64_e32 v[149:150], v[149:150], v[151:152]
	s_wait_loadcnt_dscnt 0x800
	v_mul_f64_e32 v[151:152], v[6:7], v[32:33]
	v_mul_f64_e32 v[32:33], v[8:9], v[32:33]
	v_fma_f64 v[155:156], v[4:5], v[26:27], v[155:156]
	v_fma_f64 v[159:160], v[2:3], v[26:27], -v[28:29]
	ds_load_b128 v[2:5], v1 offset:1088
	scratch_load_b128 v[26:29], off, off offset:464
	v_add_f64_e32 v[147:148], v[147:148], v[157:158]
	v_add_f64_e32 v[149:150], v[149:150], v[153:154]
	v_fma_f64 v[151:152], v[8:9], v[30:31], v[151:152]
	v_fma_f64 v[157:158], v[6:7], v[30:31], -v[32:33]
	ds_load_b128 v[6:9], v1 offset:1104
	s_wait_loadcnt_dscnt 0x801
	v_mul_f64_e32 v[153:154], v[2:3], v[36:37]
	v_mul_f64_e32 v[36:37], v[4:5], v[36:37]
	scratch_load_b128 v[30:33], off, off offset:480
	v_add_f64_e32 v[147:148], v[147:148], v[159:160]
	v_add_f64_e32 v[149:150], v[149:150], v[155:156]
	s_wait_loadcnt_dscnt 0x800
	v_mul_f64_e32 v[155:156], v[6:7], v[145:146]
	v_mul_f64_e32 v[145:146], v[8:9], v[145:146]
	v_fma_f64 v[153:154], v[4:5], v[34:35], v[153:154]
	v_fma_f64 v[159:160], v[2:3], v[34:35], -v[36:37]
	ds_load_b128 v[2:5], v1 offset:1120
	scratch_load_b128 v[34:37], off, off offset:496
	v_add_f64_e32 v[147:148], v[147:148], v[157:158]
	v_add_f64_e32 v[149:150], v[149:150], v[151:152]
	v_fma_f64 v[155:156], v[8:9], v[143:144], v[155:156]
	v_fma_f64 v[157:158], v[6:7], v[143:144], -v[145:146]
	ds_load_b128 v[6:9], v1 offset:1136
	scratch_load_b128 v[143:146], off, off offset:512
	s_wait_loadcnt_dscnt 0x901
	v_mul_f64_e32 v[151:152], v[2:3], v[40:41]
	v_mul_f64_e32 v[40:41], v[4:5], v[40:41]
	v_add_f64_e32 v[147:148], v[147:148], v[159:160]
	v_add_f64_e32 v[149:150], v[149:150], v[153:154]
	s_wait_loadcnt_dscnt 0x800
	v_mul_f64_e32 v[153:154], v[6:7], v[141:142]
	v_mul_f64_e32 v[141:142], v[8:9], v[141:142]
	v_fma_f64 v[151:152], v[4:5], v[38:39], v[151:152]
	v_fma_f64 v[159:160], v[2:3], v[38:39], -v[40:41]
	ds_load_b128 v[2:5], v1 offset:1152
	scratch_load_b128 v[38:41], off, off offset:528
	v_add_f64_e32 v[147:148], v[147:148], v[157:158]
	v_add_f64_e32 v[149:150], v[149:150], v[155:156]
	v_fma_f64 v[153:154], v[8:9], v[139:140], v[153:154]
	v_fma_f64 v[157:158], v[6:7], v[139:140], -v[141:142]
	ds_load_b128 v[6:9], v1 offset:1168
	s_wait_loadcnt_dscnt 0x801
	v_mul_f64_e32 v[155:156], v[2:3], v[12:13]
	v_mul_f64_e32 v[12:13], v[4:5], v[12:13]
	scratch_load_b128 v[139:142], off, off offset:544
	v_add_f64_e32 v[147:148], v[147:148], v[159:160]
	v_add_f64_e32 v[149:150], v[149:150], v[151:152]
	s_wait_loadcnt_dscnt 0x800
	v_mul_f64_e32 v[151:152], v[6:7], v[16:17]
	v_mul_f64_e32 v[16:17], v[8:9], v[16:17]
	v_fma_f64 v[155:156], v[4:5], v[10:11], v[155:156]
	v_fma_f64 v[159:160], v[2:3], v[10:11], -v[12:13]
	ds_load_b128 v[2:5], v1 offset:1184
	scratch_load_b128 v[10:13], off, off offset:560
	v_add_f64_e32 v[147:148], v[147:148], v[157:158]
	v_add_f64_e32 v[149:150], v[149:150], v[153:154]
	v_fma_f64 v[151:152], v[8:9], v[14:15], v[151:152]
	v_fma_f64 v[157:158], v[6:7], v[14:15], -v[16:17]
	ds_load_b128 v[6:9], v1 offset:1200
	s_wait_loadcnt_dscnt 0x801
	v_mul_f64_e32 v[153:154], v[2:3], v[20:21]
	v_mul_f64_e32 v[20:21], v[4:5], v[20:21]
	scratch_load_b128 v[14:17], off, off offset:576
	;; [unrolled: 18-line block ×8, first 2 shown]
	v_add_f64_e32 v[147:148], v[147:148], v[159:160]
	v_add_f64_e32 v[149:150], v[149:150], v[155:156]
	s_wait_loadcnt_dscnt 0x800
	v_mul_f64_e32 v[155:156], v[6:7], v[32:33]
	v_mul_f64_e32 v[32:33], v[8:9], v[32:33]
	v_fma_f64 v[153:154], v[4:5], v[26:27], v[153:154]
	v_fma_f64 v[26:27], v[2:3], v[26:27], -v[28:29]
	ds_load_b128 v[2:5], v1 offset:1408
	v_add_f64_e32 v[28:29], v[147:148], v[157:158]
	v_add_f64_e32 v[147:148], v[149:150], v[151:152]
	v_fma_f64 v[151:152], v[8:9], v[30:31], v[155:156]
	v_fma_f64 v[30:31], v[6:7], v[30:31], -v[32:33]
	ds_load_b128 v[6:9], v1 offset:1424
	s_wait_loadcnt_dscnt 0x701
	v_mul_f64_e32 v[149:150], v[2:3], v[36:37]
	v_mul_f64_e32 v[36:37], v[4:5], v[36:37]
	v_add_f64_e32 v[26:27], v[28:29], v[26:27]
	v_add_f64_e32 v[28:29], v[147:148], v[153:154]
	s_delay_alu instid0(VALU_DEP_4) | instskip(NEXT) | instid1(VALU_DEP_4)
	v_fma_f64 v[147:148], v[4:5], v[34:35], v[149:150]
	v_fma_f64 v[34:35], v[2:3], v[34:35], -v[36:37]
	ds_load_b128 v[2:5], v1 offset:1440
	v_add_f64_e32 v[30:31], v[26:27], v[30:31]
	v_add_f64_e32 v[36:37], v[28:29], v[151:152]
	scratch_load_b128 v[26:29], off, off offset:192
	s_wait_loadcnt_dscnt 0x701
	v_mul_f64_e32 v[32:33], v[6:7], v[145:146]
	v_mul_f64_e32 v[145:146], v[8:9], v[145:146]
	v_add_f64_e32 v[30:31], v[30:31], v[34:35]
	v_add_f64_e32 v[34:35], v[36:37], v[147:148]
	s_delay_alu instid0(VALU_DEP_4) | instskip(NEXT) | instid1(VALU_DEP_4)
	v_fma_f64 v[32:33], v[8:9], v[143:144], v[32:33]
	v_fma_f64 v[143:144], v[6:7], v[143:144], -v[145:146]
	ds_load_b128 v[6:9], v1 offset:1456
	s_wait_loadcnt_dscnt 0x601
	v_mul_f64_e32 v[149:150], v[2:3], v[40:41]
	v_mul_f64_e32 v[40:41], v[4:5], v[40:41]
	s_wait_loadcnt_dscnt 0x500
	v_mul_f64_e32 v[36:37], v[6:7], v[141:142]
	v_mul_f64_e32 v[141:142], v[8:9], v[141:142]
	v_add_f64_e32 v[32:33], v[34:35], v[32:33]
	v_add_f64_e32 v[30:31], v[30:31], v[143:144]
	v_fma_f64 v[145:146], v[4:5], v[38:39], v[149:150]
	v_fma_f64 v[38:39], v[2:3], v[38:39], -v[40:41]
	ds_load_b128 v[2:5], v1 offset:1472
	v_fma_f64 v[36:37], v[8:9], v[139:140], v[36:37]
	v_fma_f64 v[40:41], v[6:7], v[139:140], -v[141:142]
	ds_load_b128 v[6:9], v1 offset:1488
	s_wait_loadcnt_dscnt 0x401
	v_mul_f64_e32 v[34:35], v[2:3], v[12:13]
	v_mul_f64_e32 v[12:13], v[4:5], v[12:13]
	v_add_f64_e32 v[32:33], v[32:33], v[145:146]
	v_add_f64_e32 v[30:31], v[30:31], v[38:39]
	s_wait_loadcnt_dscnt 0x300
	v_mul_f64_e32 v[38:39], v[6:7], v[16:17]
	v_mul_f64_e32 v[16:17], v[8:9], v[16:17]
	v_fma_f64 v[34:35], v[4:5], v[10:11], v[34:35]
	v_fma_f64 v[10:11], v[2:3], v[10:11], -v[12:13]
	ds_load_b128 v[2:5], v1 offset:1504
	v_add_f64_e32 v[12:13], v[30:31], v[40:41]
	v_add_f64_e32 v[30:31], v[32:33], v[36:37]
	v_fma_f64 v[36:37], v[8:9], v[14:15], v[38:39]
	v_fma_f64 v[14:15], v[6:7], v[14:15], -v[16:17]
	ds_load_b128 v[6:9], v1 offset:1520
	s_wait_loadcnt_dscnt 0x201
	v_mul_f64_e32 v[32:33], v[2:3], v[20:21]
	v_mul_f64_e32 v[20:21], v[4:5], v[20:21]
	s_wait_loadcnt_dscnt 0x100
	v_mul_f64_e32 v[16:17], v[6:7], v[24:25]
	v_mul_f64_e32 v[24:25], v[8:9], v[24:25]
	v_add_f64_e32 v[10:11], v[12:13], v[10:11]
	v_add_f64_e32 v[12:13], v[30:31], v[34:35]
	v_fma_f64 v[4:5], v[4:5], v[18:19], v[32:33]
	v_fma_f64 v[1:2], v[2:3], v[18:19], -v[20:21]
	v_fma_f64 v[8:9], v[8:9], v[22:23], v[16:17]
	v_fma_f64 v[6:7], v[6:7], v[22:23], -v[24:25]
	v_add_f64_e32 v[10:11], v[10:11], v[14:15]
	v_add_f64_e32 v[12:13], v[12:13], v[36:37]
	s_delay_alu instid0(VALU_DEP_2) | instskip(NEXT) | instid1(VALU_DEP_2)
	v_add_f64_e32 v[1:2], v[10:11], v[1:2]
	v_add_f64_e32 v[3:4], v[12:13], v[4:5]
	s_delay_alu instid0(VALU_DEP_2) | instskip(NEXT) | instid1(VALU_DEP_2)
	v_add_f64_e32 v[1:2], v[1:2], v[6:7]
	v_add_f64_e32 v[3:4], v[3:4], v[8:9]
	s_wait_loadcnt 0x0
	s_delay_alu instid0(VALU_DEP_2) | instskip(NEXT) | instid1(VALU_DEP_2)
	v_add_f64_e64 v[1:2], v[26:27], -v[1:2]
	v_add_f64_e64 v[3:4], v[28:29], -v[3:4]
	scratch_store_b128 off, v[1:4], off offset:192
	v_cmpx_lt_u32_e32 10, v0
	s_cbranch_execz .LBB47_281
; %bb.280:
	scratch_load_b128 v[1:4], off, s51
	v_mov_b32_e32 v5, 0
	s_delay_alu instid0(VALU_DEP_1)
	v_dual_mov_b32 v6, v5 :: v_dual_mov_b32 v7, v5
	v_mov_b32_e32 v8, v5
	scratch_store_b128 off, v[5:8], off offset:176
	s_wait_loadcnt 0x0
	ds_store_b128 v138, v[1:4]
.LBB47_281:
	s_wait_alu 0xfffe
	s_or_b32 exec_lo, exec_lo, s0
	s_wait_storecnt_dscnt 0x0
	s_barrier_signal -1
	s_barrier_wait -1
	global_inv scope:SCOPE_SE
	s_clause 0x7
	scratch_load_b128 v[2:5], off, off offset:192
	scratch_load_b128 v[6:9], off, off offset:208
	;; [unrolled: 1-line block ×8, first 2 shown]
	v_mov_b32_e32 v1, 0
	s_clause 0x1
	scratch_load_b128 v[34:37], off, off offset:320
	scratch_load_b128 v[143:146], off, off offset:336
	s_mov_b32 s0, exec_lo
	ds_load_b128 v[38:41], v1 offset:944
	ds_load_b128 v[139:142], v1 offset:960
	s_wait_loadcnt_dscnt 0x901
	v_mul_f64_e32 v[147:148], v[40:41], v[4:5]
	v_mul_f64_e32 v[4:5], v[38:39], v[4:5]
	s_wait_loadcnt_dscnt 0x800
	v_mul_f64_e32 v[149:150], v[139:140], v[8:9]
	v_mul_f64_e32 v[8:9], v[141:142], v[8:9]
	s_delay_alu instid0(VALU_DEP_4) | instskip(NEXT) | instid1(VALU_DEP_4)
	v_fma_f64 v[147:148], v[38:39], v[2:3], -v[147:148]
	v_fma_f64 v[151:152], v[40:41], v[2:3], v[4:5]
	ds_load_b128 v[2:5], v1 offset:976
	scratch_load_b128 v[38:41], off, off offset:352
	v_fma_f64 v[149:150], v[141:142], v[6:7], v[149:150]
	v_fma_f64 v[155:156], v[139:140], v[6:7], -v[8:9]
	ds_load_b128 v[6:9], v1 offset:992
	scratch_load_b128 v[139:142], off, off offset:368
	s_wait_loadcnt_dscnt 0x901
	v_mul_f64_e32 v[153:154], v[2:3], v[12:13]
	v_mul_f64_e32 v[12:13], v[4:5], v[12:13]
	s_wait_loadcnt_dscnt 0x800
	v_mul_f64_e32 v[157:158], v[6:7], v[16:17]
	v_mul_f64_e32 v[16:17], v[8:9], v[16:17]
	v_add_f64_e32 v[147:148], 0, v[147:148]
	v_add_f64_e32 v[151:152], 0, v[151:152]
	v_fma_f64 v[153:154], v[4:5], v[10:11], v[153:154]
	v_fma_f64 v[159:160], v[2:3], v[10:11], -v[12:13]
	ds_load_b128 v[2:5], v1 offset:1008
	scratch_load_b128 v[10:13], off, off offset:384
	v_add_f64_e32 v[147:148], v[147:148], v[155:156]
	v_add_f64_e32 v[149:150], v[151:152], v[149:150]
	v_fma_f64 v[155:156], v[8:9], v[14:15], v[157:158]
	v_fma_f64 v[157:158], v[6:7], v[14:15], -v[16:17]
	ds_load_b128 v[6:9], v1 offset:1024
	scratch_load_b128 v[14:17], off, off offset:400
	s_wait_loadcnt_dscnt 0x901
	v_mul_f64_e32 v[151:152], v[2:3], v[20:21]
	v_mul_f64_e32 v[20:21], v[4:5], v[20:21]
	v_add_f64_e32 v[147:148], v[147:148], v[159:160]
	v_add_f64_e32 v[149:150], v[149:150], v[153:154]
	s_wait_loadcnt_dscnt 0x800
	v_mul_f64_e32 v[153:154], v[6:7], v[24:25]
	v_mul_f64_e32 v[24:25], v[8:9], v[24:25]
	v_fma_f64 v[151:152], v[4:5], v[18:19], v[151:152]
	v_fma_f64 v[159:160], v[2:3], v[18:19], -v[20:21]
	ds_load_b128 v[2:5], v1 offset:1040
	scratch_load_b128 v[18:21], off, off offset:416
	v_add_f64_e32 v[147:148], v[147:148], v[157:158]
	v_add_f64_e32 v[149:150], v[149:150], v[155:156]
	v_fma_f64 v[153:154], v[8:9], v[22:23], v[153:154]
	v_fma_f64 v[157:158], v[6:7], v[22:23], -v[24:25]
	ds_load_b128 v[6:9], v1 offset:1056
	s_wait_loadcnt_dscnt 0x801
	v_mul_f64_e32 v[155:156], v[2:3], v[28:29]
	v_mul_f64_e32 v[28:29], v[4:5], v[28:29]
	scratch_load_b128 v[22:25], off, off offset:432
	v_add_f64_e32 v[147:148], v[147:148], v[159:160]
	v_add_f64_e32 v[149:150], v[149:150], v[151:152]
	s_wait_loadcnt_dscnt 0x800
	v_mul_f64_e32 v[151:152], v[6:7], v[32:33]
	v_mul_f64_e32 v[32:33], v[8:9], v[32:33]
	v_fma_f64 v[155:156], v[4:5], v[26:27], v[155:156]
	v_fma_f64 v[159:160], v[2:3], v[26:27], -v[28:29]
	ds_load_b128 v[2:5], v1 offset:1072
	scratch_load_b128 v[26:29], off, off offset:448
	v_add_f64_e32 v[147:148], v[147:148], v[157:158]
	v_add_f64_e32 v[149:150], v[149:150], v[153:154]
	v_fma_f64 v[151:152], v[8:9], v[30:31], v[151:152]
	v_fma_f64 v[157:158], v[6:7], v[30:31], -v[32:33]
	ds_load_b128 v[6:9], v1 offset:1088
	s_wait_loadcnt_dscnt 0x801
	v_mul_f64_e32 v[153:154], v[2:3], v[36:37]
	v_mul_f64_e32 v[36:37], v[4:5], v[36:37]
	scratch_load_b128 v[30:33], off, off offset:464
	v_add_f64_e32 v[147:148], v[147:148], v[159:160]
	v_add_f64_e32 v[149:150], v[149:150], v[155:156]
	s_wait_loadcnt_dscnt 0x800
	v_mul_f64_e32 v[155:156], v[6:7], v[145:146]
	v_mul_f64_e32 v[145:146], v[8:9], v[145:146]
	v_fma_f64 v[153:154], v[4:5], v[34:35], v[153:154]
	v_fma_f64 v[159:160], v[2:3], v[34:35], -v[36:37]
	ds_load_b128 v[2:5], v1 offset:1104
	scratch_load_b128 v[34:37], off, off offset:480
	v_add_f64_e32 v[147:148], v[147:148], v[157:158]
	v_add_f64_e32 v[149:150], v[149:150], v[151:152]
	v_fma_f64 v[155:156], v[8:9], v[143:144], v[155:156]
	v_fma_f64 v[157:158], v[6:7], v[143:144], -v[145:146]
	ds_load_b128 v[6:9], v1 offset:1120
	scratch_load_b128 v[143:146], off, off offset:496
	s_wait_loadcnt_dscnt 0x901
	v_mul_f64_e32 v[151:152], v[2:3], v[40:41]
	v_mul_f64_e32 v[40:41], v[4:5], v[40:41]
	v_add_f64_e32 v[147:148], v[147:148], v[159:160]
	v_add_f64_e32 v[149:150], v[149:150], v[153:154]
	s_wait_loadcnt_dscnt 0x800
	v_mul_f64_e32 v[153:154], v[6:7], v[141:142]
	v_mul_f64_e32 v[141:142], v[8:9], v[141:142]
	v_fma_f64 v[151:152], v[4:5], v[38:39], v[151:152]
	v_fma_f64 v[159:160], v[2:3], v[38:39], -v[40:41]
	ds_load_b128 v[2:5], v1 offset:1136
	scratch_load_b128 v[38:41], off, off offset:512
	v_add_f64_e32 v[147:148], v[147:148], v[157:158]
	v_add_f64_e32 v[149:150], v[149:150], v[155:156]
	v_fma_f64 v[153:154], v[8:9], v[139:140], v[153:154]
	v_fma_f64 v[157:158], v[6:7], v[139:140], -v[141:142]
	ds_load_b128 v[6:9], v1 offset:1152
	s_wait_loadcnt_dscnt 0x801
	v_mul_f64_e32 v[155:156], v[2:3], v[12:13]
	v_mul_f64_e32 v[12:13], v[4:5], v[12:13]
	scratch_load_b128 v[139:142], off, off offset:528
	v_add_f64_e32 v[147:148], v[147:148], v[159:160]
	v_add_f64_e32 v[149:150], v[149:150], v[151:152]
	s_wait_loadcnt_dscnt 0x800
	v_mul_f64_e32 v[151:152], v[6:7], v[16:17]
	v_mul_f64_e32 v[16:17], v[8:9], v[16:17]
	v_fma_f64 v[155:156], v[4:5], v[10:11], v[155:156]
	v_fma_f64 v[159:160], v[2:3], v[10:11], -v[12:13]
	ds_load_b128 v[2:5], v1 offset:1168
	scratch_load_b128 v[10:13], off, off offset:544
	v_add_f64_e32 v[147:148], v[147:148], v[157:158]
	v_add_f64_e32 v[149:150], v[149:150], v[153:154]
	v_fma_f64 v[151:152], v[8:9], v[14:15], v[151:152]
	v_fma_f64 v[157:158], v[6:7], v[14:15], -v[16:17]
	ds_load_b128 v[6:9], v1 offset:1184
	s_wait_loadcnt_dscnt 0x801
	v_mul_f64_e32 v[153:154], v[2:3], v[20:21]
	v_mul_f64_e32 v[20:21], v[4:5], v[20:21]
	scratch_load_b128 v[14:17], off, off offset:560
	;; [unrolled: 18-line block ×8, first 2 shown]
	v_add_f64_e32 v[147:148], v[147:148], v[159:160]
	v_add_f64_e32 v[149:150], v[149:150], v[155:156]
	s_wait_loadcnt_dscnt 0x800
	v_mul_f64_e32 v[155:156], v[6:7], v[32:33]
	v_mul_f64_e32 v[32:33], v[8:9], v[32:33]
	v_fma_f64 v[153:154], v[4:5], v[26:27], v[153:154]
	v_fma_f64 v[159:160], v[2:3], v[26:27], -v[28:29]
	ds_load_b128 v[2:5], v1 offset:1392
	scratch_load_b128 v[26:29], off, off offset:768
	v_add_f64_e32 v[147:148], v[147:148], v[157:158]
	v_add_f64_e32 v[149:150], v[149:150], v[151:152]
	v_fma_f64 v[155:156], v[8:9], v[30:31], v[155:156]
	v_fma_f64 v[30:31], v[6:7], v[30:31], -v[32:33]
	ds_load_b128 v[6:9], v1 offset:1408
	s_wait_loadcnt_dscnt 0x801
	v_mul_f64_e32 v[151:152], v[2:3], v[36:37]
	v_mul_f64_e32 v[36:37], v[4:5], v[36:37]
	v_add_f64_e32 v[32:33], v[147:148], v[159:160]
	v_add_f64_e32 v[147:148], v[149:150], v[153:154]
	s_wait_loadcnt_dscnt 0x700
	v_mul_f64_e32 v[149:150], v[6:7], v[145:146]
	v_mul_f64_e32 v[145:146], v[8:9], v[145:146]
	v_fma_f64 v[151:152], v[4:5], v[34:35], v[151:152]
	v_fma_f64 v[34:35], v[2:3], v[34:35], -v[36:37]
	ds_load_b128 v[2:5], v1 offset:1424
	v_add_f64_e32 v[30:31], v[32:33], v[30:31]
	v_add_f64_e32 v[32:33], v[147:148], v[155:156]
	v_fma_f64 v[147:148], v[8:9], v[143:144], v[149:150]
	v_fma_f64 v[143:144], v[6:7], v[143:144], -v[145:146]
	ds_load_b128 v[6:9], v1 offset:1440
	s_wait_loadcnt_dscnt 0x500
	v_mul_f64_e32 v[149:150], v[6:7], v[141:142]
	v_mul_f64_e32 v[141:142], v[8:9], v[141:142]
	v_add_f64_e32 v[34:35], v[30:31], v[34:35]
	v_add_f64_e32 v[145:146], v[32:33], v[151:152]
	scratch_load_b128 v[30:33], off, off offset:176
	v_mul_f64_e32 v[36:37], v[2:3], v[40:41]
	v_mul_f64_e32 v[40:41], v[4:5], v[40:41]
	v_add_f64_e32 v[34:35], v[34:35], v[143:144]
	s_delay_alu instid0(VALU_DEP_3) | instskip(NEXT) | instid1(VALU_DEP_3)
	v_fma_f64 v[36:37], v[4:5], v[38:39], v[36:37]
	v_fma_f64 v[38:39], v[2:3], v[38:39], -v[40:41]
	v_add_f64_e32 v[40:41], v[145:146], v[147:148]
	ds_load_b128 v[2:5], v1 offset:1456
	v_fma_f64 v[145:146], v[8:9], v[139:140], v[149:150]
	v_fma_f64 v[139:140], v[6:7], v[139:140], -v[141:142]
	ds_load_b128 v[6:9], v1 offset:1472
	s_wait_loadcnt_dscnt 0x501
	v_mul_f64_e32 v[143:144], v[2:3], v[12:13]
	v_mul_f64_e32 v[12:13], v[4:5], v[12:13]
	v_add_f64_e32 v[34:35], v[34:35], v[38:39]
	v_add_f64_e32 v[36:37], v[40:41], v[36:37]
	s_wait_loadcnt_dscnt 0x400
	v_mul_f64_e32 v[38:39], v[6:7], v[16:17]
	v_mul_f64_e32 v[16:17], v[8:9], v[16:17]
	v_fma_f64 v[40:41], v[4:5], v[10:11], v[143:144]
	v_fma_f64 v[10:11], v[2:3], v[10:11], -v[12:13]
	ds_load_b128 v[2:5], v1 offset:1488
	v_add_f64_e32 v[12:13], v[34:35], v[139:140]
	v_add_f64_e32 v[34:35], v[36:37], v[145:146]
	v_fma_f64 v[38:39], v[8:9], v[14:15], v[38:39]
	v_fma_f64 v[14:15], v[6:7], v[14:15], -v[16:17]
	ds_load_b128 v[6:9], v1 offset:1504
	s_wait_loadcnt_dscnt 0x301
	v_mul_f64_e32 v[36:37], v[2:3], v[20:21]
	v_mul_f64_e32 v[20:21], v[4:5], v[20:21]
	s_wait_loadcnt_dscnt 0x200
	v_mul_f64_e32 v[16:17], v[6:7], v[24:25]
	v_mul_f64_e32 v[24:25], v[8:9], v[24:25]
	v_add_f64_e32 v[10:11], v[12:13], v[10:11]
	v_add_f64_e32 v[12:13], v[34:35], v[40:41]
	v_fma_f64 v[34:35], v[4:5], v[18:19], v[36:37]
	v_fma_f64 v[18:19], v[2:3], v[18:19], -v[20:21]
	ds_load_b128 v[2:5], v1 offset:1520
	v_fma_f64 v[8:9], v[8:9], v[22:23], v[16:17]
	v_fma_f64 v[6:7], v[6:7], v[22:23], -v[24:25]
	s_wait_loadcnt_dscnt 0x100
	v_mul_f64_e32 v[20:21], v[4:5], v[28:29]
	v_add_f64_e32 v[10:11], v[10:11], v[14:15]
	v_add_f64_e32 v[12:13], v[12:13], v[38:39]
	v_mul_f64_e32 v[14:15], v[2:3], v[28:29]
	s_delay_alu instid0(VALU_DEP_4) | instskip(NEXT) | instid1(VALU_DEP_4)
	v_fma_f64 v[2:3], v[2:3], v[26:27], -v[20:21]
	v_add_f64_e32 v[10:11], v[10:11], v[18:19]
	s_delay_alu instid0(VALU_DEP_4) | instskip(NEXT) | instid1(VALU_DEP_4)
	v_add_f64_e32 v[12:13], v[12:13], v[34:35]
	v_fma_f64 v[4:5], v[4:5], v[26:27], v[14:15]
	s_delay_alu instid0(VALU_DEP_3) | instskip(NEXT) | instid1(VALU_DEP_3)
	v_add_f64_e32 v[6:7], v[10:11], v[6:7]
	v_add_f64_e32 v[8:9], v[12:13], v[8:9]
	s_delay_alu instid0(VALU_DEP_2) | instskip(NEXT) | instid1(VALU_DEP_2)
	v_add_f64_e32 v[2:3], v[6:7], v[2:3]
	v_add_f64_e32 v[4:5], v[8:9], v[4:5]
	s_wait_loadcnt 0x0
	s_delay_alu instid0(VALU_DEP_2) | instskip(NEXT) | instid1(VALU_DEP_2)
	v_add_f64_e64 v[2:3], v[30:31], -v[2:3]
	v_add_f64_e64 v[4:5], v[32:33], -v[4:5]
	scratch_store_b128 off, v[2:5], off offset:176
	v_cmpx_lt_u32_e32 9, v0
	s_cbranch_execz .LBB47_283
; %bb.282:
	scratch_load_b128 v[5:8], off, s52
	v_dual_mov_b32 v2, v1 :: v_dual_mov_b32 v3, v1
	v_mov_b32_e32 v4, v1
	scratch_store_b128 off, v[1:4], off offset:160
	s_wait_loadcnt 0x0
	ds_store_b128 v138, v[5:8]
.LBB47_283:
	s_wait_alu 0xfffe
	s_or_b32 exec_lo, exec_lo, s0
	s_wait_storecnt_dscnt 0x0
	s_barrier_signal -1
	s_barrier_wait -1
	global_inv scope:SCOPE_SE
	s_clause 0x7
	scratch_load_b128 v[2:5], off, off offset:176
	scratch_load_b128 v[6:9], off, off offset:192
	;; [unrolled: 1-line block ×8, first 2 shown]
	ds_load_b128 v[38:41], v1 offset:928
	ds_load_b128 v[139:142], v1 offset:944
	s_clause 0x1
	scratch_load_b128 v[34:37], off, off offset:304
	scratch_load_b128 v[143:146], off, off offset:320
	s_mov_b32 s0, exec_lo
	s_wait_loadcnt_dscnt 0x901
	v_mul_f64_e32 v[147:148], v[40:41], v[4:5]
	v_mul_f64_e32 v[4:5], v[38:39], v[4:5]
	s_wait_loadcnt_dscnt 0x800
	v_mul_f64_e32 v[149:150], v[139:140], v[8:9]
	v_mul_f64_e32 v[8:9], v[141:142], v[8:9]
	s_delay_alu instid0(VALU_DEP_4) | instskip(NEXT) | instid1(VALU_DEP_4)
	v_fma_f64 v[147:148], v[38:39], v[2:3], -v[147:148]
	v_fma_f64 v[151:152], v[40:41], v[2:3], v[4:5]
	ds_load_b128 v[2:5], v1 offset:960
	scratch_load_b128 v[38:41], off, off offset:336
	v_fma_f64 v[149:150], v[141:142], v[6:7], v[149:150]
	v_fma_f64 v[155:156], v[139:140], v[6:7], -v[8:9]
	ds_load_b128 v[6:9], v1 offset:976
	scratch_load_b128 v[139:142], off, off offset:352
	s_wait_loadcnt_dscnt 0x901
	v_mul_f64_e32 v[153:154], v[2:3], v[12:13]
	v_mul_f64_e32 v[12:13], v[4:5], v[12:13]
	s_wait_loadcnt_dscnt 0x800
	v_mul_f64_e32 v[157:158], v[6:7], v[16:17]
	v_mul_f64_e32 v[16:17], v[8:9], v[16:17]
	v_add_f64_e32 v[147:148], 0, v[147:148]
	v_add_f64_e32 v[151:152], 0, v[151:152]
	v_fma_f64 v[153:154], v[4:5], v[10:11], v[153:154]
	v_fma_f64 v[159:160], v[2:3], v[10:11], -v[12:13]
	ds_load_b128 v[2:5], v1 offset:992
	scratch_load_b128 v[10:13], off, off offset:368
	v_add_f64_e32 v[147:148], v[147:148], v[155:156]
	v_add_f64_e32 v[149:150], v[151:152], v[149:150]
	v_fma_f64 v[155:156], v[8:9], v[14:15], v[157:158]
	v_fma_f64 v[157:158], v[6:7], v[14:15], -v[16:17]
	ds_load_b128 v[6:9], v1 offset:1008
	scratch_load_b128 v[14:17], off, off offset:384
	s_wait_loadcnt_dscnt 0x901
	v_mul_f64_e32 v[151:152], v[2:3], v[20:21]
	v_mul_f64_e32 v[20:21], v[4:5], v[20:21]
	v_add_f64_e32 v[147:148], v[147:148], v[159:160]
	v_add_f64_e32 v[149:150], v[149:150], v[153:154]
	s_wait_loadcnt_dscnt 0x800
	v_mul_f64_e32 v[153:154], v[6:7], v[24:25]
	v_mul_f64_e32 v[24:25], v[8:9], v[24:25]
	v_fma_f64 v[151:152], v[4:5], v[18:19], v[151:152]
	v_fma_f64 v[159:160], v[2:3], v[18:19], -v[20:21]
	ds_load_b128 v[2:5], v1 offset:1024
	scratch_load_b128 v[18:21], off, off offset:400
	v_add_f64_e32 v[147:148], v[147:148], v[157:158]
	v_add_f64_e32 v[149:150], v[149:150], v[155:156]
	v_fma_f64 v[153:154], v[8:9], v[22:23], v[153:154]
	v_fma_f64 v[157:158], v[6:7], v[22:23], -v[24:25]
	ds_load_b128 v[6:9], v1 offset:1040
	s_wait_loadcnt_dscnt 0x801
	v_mul_f64_e32 v[155:156], v[2:3], v[28:29]
	v_mul_f64_e32 v[28:29], v[4:5], v[28:29]
	scratch_load_b128 v[22:25], off, off offset:416
	v_add_f64_e32 v[147:148], v[147:148], v[159:160]
	v_add_f64_e32 v[149:150], v[149:150], v[151:152]
	s_wait_loadcnt_dscnt 0x800
	v_mul_f64_e32 v[151:152], v[6:7], v[32:33]
	v_mul_f64_e32 v[32:33], v[8:9], v[32:33]
	v_fma_f64 v[155:156], v[4:5], v[26:27], v[155:156]
	v_fma_f64 v[159:160], v[2:3], v[26:27], -v[28:29]
	ds_load_b128 v[2:5], v1 offset:1056
	scratch_load_b128 v[26:29], off, off offset:432
	v_add_f64_e32 v[147:148], v[147:148], v[157:158]
	v_add_f64_e32 v[149:150], v[149:150], v[153:154]
	v_fma_f64 v[151:152], v[8:9], v[30:31], v[151:152]
	v_fma_f64 v[157:158], v[6:7], v[30:31], -v[32:33]
	ds_load_b128 v[6:9], v1 offset:1072
	s_wait_loadcnt_dscnt 0x801
	v_mul_f64_e32 v[153:154], v[2:3], v[36:37]
	v_mul_f64_e32 v[36:37], v[4:5], v[36:37]
	scratch_load_b128 v[30:33], off, off offset:448
	v_add_f64_e32 v[147:148], v[147:148], v[159:160]
	v_add_f64_e32 v[149:150], v[149:150], v[155:156]
	s_wait_loadcnt_dscnt 0x800
	v_mul_f64_e32 v[155:156], v[6:7], v[145:146]
	v_mul_f64_e32 v[145:146], v[8:9], v[145:146]
	v_fma_f64 v[153:154], v[4:5], v[34:35], v[153:154]
	v_fma_f64 v[159:160], v[2:3], v[34:35], -v[36:37]
	ds_load_b128 v[2:5], v1 offset:1088
	scratch_load_b128 v[34:37], off, off offset:464
	v_add_f64_e32 v[147:148], v[147:148], v[157:158]
	v_add_f64_e32 v[149:150], v[149:150], v[151:152]
	v_fma_f64 v[155:156], v[8:9], v[143:144], v[155:156]
	v_fma_f64 v[157:158], v[6:7], v[143:144], -v[145:146]
	ds_load_b128 v[6:9], v1 offset:1104
	scratch_load_b128 v[143:146], off, off offset:480
	s_wait_loadcnt_dscnt 0x901
	v_mul_f64_e32 v[151:152], v[2:3], v[40:41]
	v_mul_f64_e32 v[40:41], v[4:5], v[40:41]
	v_add_f64_e32 v[147:148], v[147:148], v[159:160]
	v_add_f64_e32 v[149:150], v[149:150], v[153:154]
	s_wait_loadcnt_dscnt 0x800
	v_mul_f64_e32 v[153:154], v[6:7], v[141:142]
	v_mul_f64_e32 v[141:142], v[8:9], v[141:142]
	v_fma_f64 v[151:152], v[4:5], v[38:39], v[151:152]
	v_fma_f64 v[159:160], v[2:3], v[38:39], -v[40:41]
	ds_load_b128 v[2:5], v1 offset:1120
	scratch_load_b128 v[38:41], off, off offset:496
	v_add_f64_e32 v[147:148], v[147:148], v[157:158]
	v_add_f64_e32 v[149:150], v[149:150], v[155:156]
	v_fma_f64 v[153:154], v[8:9], v[139:140], v[153:154]
	v_fma_f64 v[157:158], v[6:7], v[139:140], -v[141:142]
	ds_load_b128 v[6:9], v1 offset:1136
	s_wait_loadcnt_dscnt 0x801
	v_mul_f64_e32 v[155:156], v[2:3], v[12:13]
	v_mul_f64_e32 v[12:13], v[4:5], v[12:13]
	scratch_load_b128 v[139:142], off, off offset:512
	v_add_f64_e32 v[147:148], v[147:148], v[159:160]
	v_add_f64_e32 v[149:150], v[149:150], v[151:152]
	s_wait_loadcnt_dscnt 0x800
	v_mul_f64_e32 v[151:152], v[6:7], v[16:17]
	v_mul_f64_e32 v[16:17], v[8:9], v[16:17]
	v_fma_f64 v[155:156], v[4:5], v[10:11], v[155:156]
	v_fma_f64 v[159:160], v[2:3], v[10:11], -v[12:13]
	ds_load_b128 v[2:5], v1 offset:1152
	scratch_load_b128 v[10:13], off, off offset:528
	v_add_f64_e32 v[147:148], v[147:148], v[157:158]
	v_add_f64_e32 v[149:150], v[149:150], v[153:154]
	v_fma_f64 v[151:152], v[8:9], v[14:15], v[151:152]
	v_fma_f64 v[157:158], v[6:7], v[14:15], -v[16:17]
	ds_load_b128 v[6:9], v1 offset:1168
	s_wait_loadcnt_dscnt 0x801
	v_mul_f64_e32 v[153:154], v[2:3], v[20:21]
	v_mul_f64_e32 v[20:21], v[4:5], v[20:21]
	scratch_load_b128 v[14:17], off, off offset:544
	;; [unrolled: 18-line block ×9, first 2 shown]
	v_add_f64_e32 v[147:148], v[147:148], v[159:160]
	v_add_f64_e32 v[149:150], v[149:150], v[153:154]
	s_wait_loadcnt_dscnt 0x800
	v_mul_f64_e32 v[153:154], v[6:7], v[145:146]
	v_mul_f64_e32 v[145:146], v[8:9], v[145:146]
	v_fma_f64 v[151:152], v[4:5], v[34:35], v[151:152]
	v_fma_f64 v[34:35], v[2:3], v[34:35], -v[36:37]
	ds_load_b128 v[2:5], v1 offset:1408
	v_add_f64_e32 v[36:37], v[147:148], v[157:158]
	v_add_f64_e32 v[147:148], v[149:150], v[155:156]
	v_fma_f64 v[153:154], v[8:9], v[143:144], v[153:154]
	v_fma_f64 v[143:144], v[6:7], v[143:144], -v[145:146]
	ds_load_b128 v[6:9], v1 offset:1424
	s_wait_loadcnt_dscnt 0x701
	v_mul_f64_e32 v[149:150], v[2:3], v[40:41]
	v_mul_f64_e32 v[40:41], v[4:5], v[40:41]
	v_add_f64_e32 v[34:35], v[36:37], v[34:35]
	v_add_f64_e32 v[36:37], v[147:148], v[151:152]
	s_delay_alu instid0(VALU_DEP_4) | instskip(NEXT) | instid1(VALU_DEP_4)
	v_fma_f64 v[147:148], v[4:5], v[38:39], v[149:150]
	v_fma_f64 v[38:39], v[2:3], v[38:39], -v[40:41]
	ds_load_b128 v[2:5], v1 offset:1440
	v_add_f64_e32 v[40:41], v[34:35], v[143:144]
	v_add_f64_e32 v[143:144], v[36:37], v[153:154]
	scratch_load_b128 v[34:37], off, off offset:160
	s_wait_loadcnt_dscnt 0x701
	v_mul_f64_e32 v[145:146], v[6:7], v[141:142]
	v_mul_f64_e32 v[141:142], v[8:9], v[141:142]
	v_add_f64_e32 v[38:39], v[40:41], v[38:39]
	v_add_f64_e32 v[40:41], v[143:144], v[147:148]
	s_delay_alu instid0(VALU_DEP_4) | instskip(NEXT) | instid1(VALU_DEP_4)
	v_fma_f64 v[145:146], v[8:9], v[139:140], v[145:146]
	v_fma_f64 v[139:140], v[6:7], v[139:140], -v[141:142]
	ds_load_b128 v[6:9], v1 offset:1456
	s_wait_loadcnt_dscnt 0x601
	v_mul_f64_e32 v[149:150], v[2:3], v[12:13]
	v_mul_f64_e32 v[12:13], v[4:5], v[12:13]
	s_wait_loadcnt_dscnt 0x500
	v_mul_f64_e32 v[141:142], v[6:7], v[16:17]
	v_mul_f64_e32 v[16:17], v[8:9], v[16:17]
	s_delay_alu instid0(VALU_DEP_4) | instskip(NEXT) | instid1(VALU_DEP_4)
	v_fma_f64 v[143:144], v[4:5], v[10:11], v[149:150]
	v_fma_f64 v[10:11], v[2:3], v[10:11], -v[12:13]
	v_add_f64_e32 v[12:13], v[38:39], v[139:140]
	v_add_f64_e32 v[38:39], v[40:41], v[145:146]
	ds_load_b128 v[2:5], v1 offset:1472
	v_fma_f64 v[139:140], v[8:9], v[14:15], v[141:142]
	v_fma_f64 v[14:15], v[6:7], v[14:15], -v[16:17]
	ds_load_b128 v[6:9], v1 offset:1488
	s_wait_loadcnt_dscnt 0x401
	v_mul_f64_e32 v[40:41], v[2:3], v[20:21]
	v_mul_f64_e32 v[20:21], v[4:5], v[20:21]
	v_add_f64_e32 v[10:11], v[12:13], v[10:11]
	v_add_f64_e32 v[12:13], v[38:39], v[143:144]
	s_wait_loadcnt_dscnt 0x300
	v_mul_f64_e32 v[16:17], v[6:7], v[24:25]
	v_mul_f64_e32 v[24:25], v[8:9], v[24:25]
	v_fma_f64 v[38:39], v[4:5], v[18:19], v[40:41]
	v_fma_f64 v[18:19], v[2:3], v[18:19], -v[20:21]
	ds_load_b128 v[2:5], v1 offset:1504
	v_add_f64_e32 v[10:11], v[10:11], v[14:15]
	v_add_f64_e32 v[12:13], v[12:13], v[139:140]
	v_fma_f64 v[16:17], v[8:9], v[22:23], v[16:17]
	v_fma_f64 v[22:23], v[6:7], v[22:23], -v[24:25]
	ds_load_b128 v[6:9], v1 offset:1520
	s_wait_loadcnt_dscnt 0x201
	v_mul_f64_e32 v[14:15], v[2:3], v[28:29]
	v_mul_f64_e32 v[20:21], v[4:5], v[28:29]
	s_wait_loadcnt_dscnt 0x100
	v_mul_f64_e32 v[24:25], v[8:9], v[32:33]
	v_add_f64_e32 v[10:11], v[10:11], v[18:19]
	v_add_f64_e32 v[12:13], v[12:13], v[38:39]
	v_mul_f64_e32 v[18:19], v[6:7], v[32:33]
	v_fma_f64 v[4:5], v[4:5], v[26:27], v[14:15]
	v_fma_f64 v[1:2], v[2:3], v[26:27], -v[20:21]
	v_fma_f64 v[6:7], v[6:7], v[30:31], -v[24:25]
	v_add_f64_e32 v[10:11], v[10:11], v[22:23]
	v_add_f64_e32 v[12:13], v[12:13], v[16:17]
	v_fma_f64 v[8:9], v[8:9], v[30:31], v[18:19]
	s_delay_alu instid0(VALU_DEP_3) | instskip(NEXT) | instid1(VALU_DEP_3)
	v_add_f64_e32 v[1:2], v[10:11], v[1:2]
	v_add_f64_e32 v[3:4], v[12:13], v[4:5]
	s_delay_alu instid0(VALU_DEP_2) | instskip(NEXT) | instid1(VALU_DEP_2)
	v_add_f64_e32 v[1:2], v[1:2], v[6:7]
	v_add_f64_e32 v[3:4], v[3:4], v[8:9]
	s_wait_loadcnt 0x0
	s_delay_alu instid0(VALU_DEP_2) | instskip(NEXT) | instid1(VALU_DEP_2)
	v_add_f64_e64 v[1:2], v[34:35], -v[1:2]
	v_add_f64_e64 v[3:4], v[36:37], -v[3:4]
	scratch_store_b128 off, v[1:4], off offset:160
	v_cmpx_lt_u32_e32 8, v0
	s_cbranch_execz .LBB47_285
; %bb.284:
	scratch_load_b128 v[1:4], off, s53
	v_mov_b32_e32 v5, 0
	s_delay_alu instid0(VALU_DEP_1)
	v_dual_mov_b32 v6, v5 :: v_dual_mov_b32 v7, v5
	v_mov_b32_e32 v8, v5
	scratch_store_b128 off, v[5:8], off offset:144
	s_wait_loadcnt 0x0
	ds_store_b128 v138, v[1:4]
.LBB47_285:
	s_wait_alu 0xfffe
	s_or_b32 exec_lo, exec_lo, s0
	s_wait_storecnt_dscnt 0x0
	s_barrier_signal -1
	s_barrier_wait -1
	global_inv scope:SCOPE_SE
	s_clause 0x7
	scratch_load_b128 v[2:5], off, off offset:160
	scratch_load_b128 v[6:9], off, off offset:176
	;; [unrolled: 1-line block ×8, first 2 shown]
	v_mov_b32_e32 v1, 0
	s_clause 0x1
	scratch_load_b128 v[34:37], off, off offset:288
	scratch_load_b128 v[143:146], off, off offset:304
	s_mov_b32 s0, exec_lo
	ds_load_b128 v[38:41], v1 offset:912
	ds_load_b128 v[139:142], v1 offset:928
	s_wait_loadcnt_dscnt 0x901
	v_mul_f64_e32 v[147:148], v[40:41], v[4:5]
	v_mul_f64_e32 v[4:5], v[38:39], v[4:5]
	s_wait_loadcnt_dscnt 0x800
	v_mul_f64_e32 v[149:150], v[139:140], v[8:9]
	v_mul_f64_e32 v[8:9], v[141:142], v[8:9]
	s_delay_alu instid0(VALU_DEP_4) | instskip(NEXT) | instid1(VALU_DEP_4)
	v_fma_f64 v[147:148], v[38:39], v[2:3], -v[147:148]
	v_fma_f64 v[151:152], v[40:41], v[2:3], v[4:5]
	ds_load_b128 v[2:5], v1 offset:944
	scratch_load_b128 v[38:41], off, off offset:320
	v_fma_f64 v[149:150], v[141:142], v[6:7], v[149:150]
	v_fma_f64 v[155:156], v[139:140], v[6:7], -v[8:9]
	ds_load_b128 v[6:9], v1 offset:960
	scratch_load_b128 v[139:142], off, off offset:336
	s_wait_loadcnt_dscnt 0x901
	v_mul_f64_e32 v[153:154], v[2:3], v[12:13]
	v_mul_f64_e32 v[12:13], v[4:5], v[12:13]
	s_wait_loadcnt_dscnt 0x800
	v_mul_f64_e32 v[157:158], v[6:7], v[16:17]
	v_mul_f64_e32 v[16:17], v[8:9], v[16:17]
	v_add_f64_e32 v[147:148], 0, v[147:148]
	v_add_f64_e32 v[151:152], 0, v[151:152]
	v_fma_f64 v[153:154], v[4:5], v[10:11], v[153:154]
	v_fma_f64 v[159:160], v[2:3], v[10:11], -v[12:13]
	ds_load_b128 v[2:5], v1 offset:976
	scratch_load_b128 v[10:13], off, off offset:352
	v_add_f64_e32 v[147:148], v[147:148], v[155:156]
	v_add_f64_e32 v[149:150], v[151:152], v[149:150]
	v_fma_f64 v[155:156], v[8:9], v[14:15], v[157:158]
	v_fma_f64 v[157:158], v[6:7], v[14:15], -v[16:17]
	ds_load_b128 v[6:9], v1 offset:992
	scratch_load_b128 v[14:17], off, off offset:368
	s_wait_loadcnt_dscnt 0x901
	v_mul_f64_e32 v[151:152], v[2:3], v[20:21]
	v_mul_f64_e32 v[20:21], v[4:5], v[20:21]
	v_add_f64_e32 v[147:148], v[147:148], v[159:160]
	v_add_f64_e32 v[149:150], v[149:150], v[153:154]
	s_wait_loadcnt_dscnt 0x800
	v_mul_f64_e32 v[153:154], v[6:7], v[24:25]
	v_mul_f64_e32 v[24:25], v[8:9], v[24:25]
	v_fma_f64 v[151:152], v[4:5], v[18:19], v[151:152]
	v_fma_f64 v[159:160], v[2:3], v[18:19], -v[20:21]
	ds_load_b128 v[2:5], v1 offset:1008
	scratch_load_b128 v[18:21], off, off offset:384
	v_add_f64_e32 v[147:148], v[147:148], v[157:158]
	v_add_f64_e32 v[149:150], v[149:150], v[155:156]
	v_fma_f64 v[153:154], v[8:9], v[22:23], v[153:154]
	v_fma_f64 v[157:158], v[6:7], v[22:23], -v[24:25]
	ds_load_b128 v[6:9], v1 offset:1024
	s_wait_loadcnt_dscnt 0x801
	v_mul_f64_e32 v[155:156], v[2:3], v[28:29]
	v_mul_f64_e32 v[28:29], v[4:5], v[28:29]
	scratch_load_b128 v[22:25], off, off offset:400
	v_add_f64_e32 v[147:148], v[147:148], v[159:160]
	v_add_f64_e32 v[149:150], v[149:150], v[151:152]
	s_wait_loadcnt_dscnt 0x800
	v_mul_f64_e32 v[151:152], v[6:7], v[32:33]
	v_mul_f64_e32 v[32:33], v[8:9], v[32:33]
	v_fma_f64 v[155:156], v[4:5], v[26:27], v[155:156]
	v_fma_f64 v[159:160], v[2:3], v[26:27], -v[28:29]
	ds_load_b128 v[2:5], v1 offset:1040
	scratch_load_b128 v[26:29], off, off offset:416
	v_add_f64_e32 v[147:148], v[147:148], v[157:158]
	v_add_f64_e32 v[149:150], v[149:150], v[153:154]
	v_fma_f64 v[151:152], v[8:9], v[30:31], v[151:152]
	v_fma_f64 v[157:158], v[6:7], v[30:31], -v[32:33]
	ds_load_b128 v[6:9], v1 offset:1056
	s_wait_loadcnt_dscnt 0x801
	v_mul_f64_e32 v[153:154], v[2:3], v[36:37]
	v_mul_f64_e32 v[36:37], v[4:5], v[36:37]
	scratch_load_b128 v[30:33], off, off offset:432
	v_add_f64_e32 v[147:148], v[147:148], v[159:160]
	v_add_f64_e32 v[149:150], v[149:150], v[155:156]
	s_wait_loadcnt_dscnt 0x800
	v_mul_f64_e32 v[155:156], v[6:7], v[145:146]
	v_mul_f64_e32 v[145:146], v[8:9], v[145:146]
	v_fma_f64 v[153:154], v[4:5], v[34:35], v[153:154]
	v_fma_f64 v[159:160], v[2:3], v[34:35], -v[36:37]
	ds_load_b128 v[2:5], v1 offset:1072
	scratch_load_b128 v[34:37], off, off offset:448
	v_add_f64_e32 v[147:148], v[147:148], v[157:158]
	v_add_f64_e32 v[149:150], v[149:150], v[151:152]
	v_fma_f64 v[155:156], v[8:9], v[143:144], v[155:156]
	v_fma_f64 v[157:158], v[6:7], v[143:144], -v[145:146]
	ds_load_b128 v[6:9], v1 offset:1088
	scratch_load_b128 v[143:146], off, off offset:464
	s_wait_loadcnt_dscnt 0x901
	v_mul_f64_e32 v[151:152], v[2:3], v[40:41]
	v_mul_f64_e32 v[40:41], v[4:5], v[40:41]
	v_add_f64_e32 v[147:148], v[147:148], v[159:160]
	v_add_f64_e32 v[149:150], v[149:150], v[153:154]
	s_wait_loadcnt_dscnt 0x800
	v_mul_f64_e32 v[153:154], v[6:7], v[141:142]
	v_mul_f64_e32 v[141:142], v[8:9], v[141:142]
	v_fma_f64 v[151:152], v[4:5], v[38:39], v[151:152]
	v_fma_f64 v[159:160], v[2:3], v[38:39], -v[40:41]
	ds_load_b128 v[2:5], v1 offset:1104
	scratch_load_b128 v[38:41], off, off offset:480
	v_add_f64_e32 v[147:148], v[147:148], v[157:158]
	v_add_f64_e32 v[149:150], v[149:150], v[155:156]
	v_fma_f64 v[153:154], v[8:9], v[139:140], v[153:154]
	v_fma_f64 v[157:158], v[6:7], v[139:140], -v[141:142]
	ds_load_b128 v[6:9], v1 offset:1120
	s_wait_loadcnt_dscnt 0x801
	v_mul_f64_e32 v[155:156], v[2:3], v[12:13]
	v_mul_f64_e32 v[12:13], v[4:5], v[12:13]
	scratch_load_b128 v[139:142], off, off offset:496
	v_add_f64_e32 v[147:148], v[147:148], v[159:160]
	v_add_f64_e32 v[149:150], v[149:150], v[151:152]
	s_wait_loadcnt_dscnt 0x800
	v_mul_f64_e32 v[151:152], v[6:7], v[16:17]
	v_mul_f64_e32 v[16:17], v[8:9], v[16:17]
	v_fma_f64 v[155:156], v[4:5], v[10:11], v[155:156]
	v_fma_f64 v[159:160], v[2:3], v[10:11], -v[12:13]
	ds_load_b128 v[2:5], v1 offset:1136
	scratch_load_b128 v[10:13], off, off offset:512
	v_add_f64_e32 v[147:148], v[147:148], v[157:158]
	v_add_f64_e32 v[149:150], v[149:150], v[153:154]
	v_fma_f64 v[151:152], v[8:9], v[14:15], v[151:152]
	v_fma_f64 v[157:158], v[6:7], v[14:15], -v[16:17]
	ds_load_b128 v[6:9], v1 offset:1152
	s_wait_loadcnt_dscnt 0x801
	v_mul_f64_e32 v[153:154], v[2:3], v[20:21]
	v_mul_f64_e32 v[20:21], v[4:5], v[20:21]
	scratch_load_b128 v[14:17], off, off offset:528
	;; [unrolled: 18-line block ×9, first 2 shown]
	v_add_f64_e32 v[147:148], v[147:148], v[159:160]
	v_add_f64_e32 v[149:150], v[149:150], v[153:154]
	s_wait_loadcnt_dscnt 0x800
	v_mul_f64_e32 v[153:154], v[6:7], v[145:146]
	v_mul_f64_e32 v[145:146], v[8:9], v[145:146]
	v_fma_f64 v[151:152], v[4:5], v[34:35], v[151:152]
	v_fma_f64 v[159:160], v[2:3], v[34:35], -v[36:37]
	ds_load_b128 v[2:5], v1 offset:1392
	scratch_load_b128 v[34:37], off, off offset:768
	v_add_f64_e32 v[147:148], v[147:148], v[157:158]
	v_add_f64_e32 v[149:150], v[149:150], v[155:156]
	v_fma_f64 v[153:154], v[8:9], v[143:144], v[153:154]
	v_fma_f64 v[143:144], v[6:7], v[143:144], -v[145:146]
	ds_load_b128 v[6:9], v1 offset:1408
	s_wait_loadcnt_dscnt 0x801
	v_mul_f64_e32 v[155:156], v[2:3], v[40:41]
	v_mul_f64_e32 v[40:41], v[4:5], v[40:41]
	v_add_f64_e32 v[145:146], v[147:148], v[159:160]
	v_add_f64_e32 v[147:148], v[149:150], v[151:152]
	s_wait_loadcnt_dscnt 0x700
	v_mul_f64_e32 v[149:150], v[6:7], v[141:142]
	v_mul_f64_e32 v[141:142], v[8:9], v[141:142]
	v_fma_f64 v[151:152], v[4:5], v[38:39], v[155:156]
	v_fma_f64 v[38:39], v[2:3], v[38:39], -v[40:41]
	ds_load_b128 v[2:5], v1 offset:1424
	v_add_f64_e32 v[40:41], v[145:146], v[143:144]
	v_add_f64_e32 v[143:144], v[147:148], v[153:154]
	v_fma_f64 v[147:148], v[8:9], v[139:140], v[149:150]
	v_fma_f64 v[139:140], v[6:7], v[139:140], -v[141:142]
	ds_load_b128 v[6:9], v1 offset:1440
	s_wait_loadcnt_dscnt 0x500
	v_mul_f64_e32 v[149:150], v[6:7], v[16:17]
	v_mul_f64_e32 v[16:17], v[8:9], v[16:17]
	v_add_f64_e32 v[141:142], v[40:41], v[38:39]
	v_add_f64_e32 v[143:144], v[143:144], v[151:152]
	scratch_load_b128 v[38:41], off, off offset:144
	v_mul_f64_e32 v[145:146], v[2:3], v[12:13]
	v_mul_f64_e32 v[12:13], v[4:5], v[12:13]
	s_delay_alu instid0(VALU_DEP_2) | instskip(NEXT) | instid1(VALU_DEP_2)
	v_fma_f64 v[145:146], v[4:5], v[10:11], v[145:146]
	v_fma_f64 v[10:11], v[2:3], v[10:11], -v[12:13]
	v_add_f64_e32 v[12:13], v[141:142], v[139:140]
	v_add_f64_e32 v[139:140], v[143:144], v[147:148]
	ds_load_b128 v[2:5], v1 offset:1456
	v_fma_f64 v[143:144], v[8:9], v[14:15], v[149:150]
	v_fma_f64 v[14:15], v[6:7], v[14:15], -v[16:17]
	ds_load_b128 v[6:9], v1 offset:1472
	s_wait_loadcnt_dscnt 0x501
	v_mul_f64_e32 v[141:142], v[2:3], v[20:21]
	v_mul_f64_e32 v[20:21], v[4:5], v[20:21]
	s_wait_loadcnt_dscnt 0x400
	v_mul_f64_e32 v[16:17], v[6:7], v[24:25]
	v_mul_f64_e32 v[24:25], v[8:9], v[24:25]
	v_add_f64_e32 v[10:11], v[12:13], v[10:11]
	v_add_f64_e32 v[12:13], v[139:140], v[145:146]
	v_fma_f64 v[139:140], v[4:5], v[18:19], v[141:142]
	v_fma_f64 v[18:19], v[2:3], v[18:19], -v[20:21]
	ds_load_b128 v[2:5], v1 offset:1488
	v_fma_f64 v[16:17], v[8:9], v[22:23], v[16:17]
	v_fma_f64 v[22:23], v[6:7], v[22:23], -v[24:25]
	ds_load_b128 v[6:9], v1 offset:1504
	v_add_f64_e32 v[10:11], v[10:11], v[14:15]
	v_add_f64_e32 v[12:13], v[12:13], v[143:144]
	s_wait_loadcnt_dscnt 0x301
	v_mul_f64_e32 v[14:15], v[2:3], v[28:29]
	v_mul_f64_e32 v[20:21], v[4:5], v[28:29]
	s_wait_loadcnt_dscnt 0x200
	v_mul_f64_e32 v[24:25], v[8:9], v[32:33]
	v_add_f64_e32 v[10:11], v[10:11], v[18:19]
	v_add_f64_e32 v[12:13], v[12:13], v[139:140]
	v_mul_f64_e32 v[18:19], v[6:7], v[32:33]
	v_fma_f64 v[14:15], v[4:5], v[26:27], v[14:15]
	v_fma_f64 v[20:21], v[2:3], v[26:27], -v[20:21]
	ds_load_b128 v[2:5], v1 offset:1520
	v_fma_f64 v[6:7], v[6:7], v[30:31], -v[24:25]
	v_add_f64_e32 v[10:11], v[10:11], v[22:23]
	v_add_f64_e32 v[12:13], v[12:13], v[16:17]
	s_wait_loadcnt_dscnt 0x100
	v_mul_f64_e32 v[16:17], v[2:3], v[36:37]
	v_mul_f64_e32 v[22:23], v[4:5], v[36:37]
	v_fma_f64 v[8:9], v[8:9], v[30:31], v[18:19]
	v_add_f64_e32 v[10:11], v[10:11], v[20:21]
	v_add_f64_e32 v[12:13], v[12:13], v[14:15]
	v_fma_f64 v[4:5], v[4:5], v[34:35], v[16:17]
	v_fma_f64 v[2:3], v[2:3], v[34:35], -v[22:23]
	s_delay_alu instid0(VALU_DEP_4) | instskip(NEXT) | instid1(VALU_DEP_4)
	v_add_f64_e32 v[6:7], v[10:11], v[6:7]
	v_add_f64_e32 v[8:9], v[12:13], v[8:9]
	s_delay_alu instid0(VALU_DEP_2) | instskip(NEXT) | instid1(VALU_DEP_2)
	v_add_f64_e32 v[2:3], v[6:7], v[2:3]
	v_add_f64_e32 v[4:5], v[8:9], v[4:5]
	s_wait_loadcnt 0x0
	s_delay_alu instid0(VALU_DEP_2) | instskip(NEXT) | instid1(VALU_DEP_2)
	v_add_f64_e64 v[2:3], v[38:39], -v[2:3]
	v_add_f64_e64 v[4:5], v[40:41], -v[4:5]
	scratch_store_b128 off, v[2:5], off offset:144
	v_cmpx_lt_u32_e32 7, v0
	s_cbranch_execz .LBB47_287
; %bb.286:
	scratch_load_b128 v[5:8], off, s54
	v_dual_mov_b32 v2, v1 :: v_dual_mov_b32 v3, v1
	v_mov_b32_e32 v4, v1
	scratch_store_b128 off, v[1:4], off offset:128
	s_wait_loadcnt 0x0
	ds_store_b128 v138, v[5:8]
.LBB47_287:
	s_wait_alu 0xfffe
	s_or_b32 exec_lo, exec_lo, s0
	s_wait_storecnt_dscnt 0x0
	s_barrier_signal -1
	s_barrier_wait -1
	global_inv scope:SCOPE_SE
	s_clause 0x7
	scratch_load_b128 v[2:5], off, off offset:144
	scratch_load_b128 v[6:9], off, off offset:160
	;; [unrolled: 1-line block ×8, first 2 shown]
	ds_load_b128 v[38:41], v1 offset:896
	ds_load_b128 v[139:142], v1 offset:912
	s_clause 0x1
	scratch_load_b128 v[34:37], off, off offset:272
	scratch_load_b128 v[143:146], off, off offset:288
	s_mov_b32 s0, exec_lo
	s_wait_loadcnt_dscnt 0x901
	v_mul_f64_e32 v[147:148], v[40:41], v[4:5]
	v_mul_f64_e32 v[4:5], v[38:39], v[4:5]
	s_wait_loadcnt_dscnt 0x800
	v_mul_f64_e32 v[149:150], v[139:140], v[8:9]
	v_mul_f64_e32 v[8:9], v[141:142], v[8:9]
	s_delay_alu instid0(VALU_DEP_4) | instskip(NEXT) | instid1(VALU_DEP_4)
	v_fma_f64 v[147:148], v[38:39], v[2:3], -v[147:148]
	v_fma_f64 v[151:152], v[40:41], v[2:3], v[4:5]
	ds_load_b128 v[2:5], v1 offset:928
	scratch_load_b128 v[38:41], off, off offset:304
	v_fma_f64 v[149:150], v[141:142], v[6:7], v[149:150]
	v_fma_f64 v[155:156], v[139:140], v[6:7], -v[8:9]
	ds_load_b128 v[6:9], v1 offset:944
	scratch_load_b128 v[139:142], off, off offset:320
	s_wait_loadcnt_dscnt 0x901
	v_mul_f64_e32 v[153:154], v[2:3], v[12:13]
	v_mul_f64_e32 v[12:13], v[4:5], v[12:13]
	s_wait_loadcnt_dscnt 0x800
	v_mul_f64_e32 v[157:158], v[6:7], v[16:17]
	v_mul_f64_e32 v[16:17], v[8:9], v[16:17]
	v_add_f64_e32 v[147:148], 0, v[147:148]
	v_add_f64_e32 v[151:152], 0, v[151:152]
	v_fma_f64 v[153:154], v[4:5], v[10:11], v[153:154]
	v_fma_f64 v[159:160], v[2:3], v[10:11], -v[12:13]
	ds_load_b128 v[2:5], v1 offset:960
	scratch_load_b128 v[10:13], off, off offset:336
	v_add_f64_e32 v[147:148], v[147:148], v[155:156]
	v_add_f64_e32 v[149:150], v[151:152], v[149:150]
	v_fma_f64 v[155:156], v[8:9], v[14:15], v[157:158]
	v_fma_f64 v[157:158], v[6:7], v[14:15], -v[16:17]
	ds_load_b128 v[6:9], v1 offset:976
	scratch_load_b128 v[14:17], off, off offset:352
	s_wait_loadcnt_dscnt 0x901
	v_mul_f64_e32 v[151:152], v[2:3], v[20:21]
	v_mul_f64_e32 v[20:21], v[4:5], v[20:21]
	v_add_f64_e32 v[147:148], v[147:148], v[159:160]
	v_add_f64_e32 v[149:150], v[149:150], v[153:154]
	s_wait_loadcnt_dscnt 0x800
	v_mul_f64_e32 v[153:154], v[6:7], v[24:25]
	v_mul_f64_e32 v[24:25], v[8:9], v[24:25]
	v_fma_f64 v[151:152], v[4:5], v[18:19], v[151:152]
	v_fma_f64 v[159:160], v[2:3], v[18:19], -v[20:21]
	ds_load_b128 v[2:5], v1 offset:992
	scratch_load_b128 v[18:21], off, off offset:368
	v_add_f64_e32 v[147:148], v[147:148], v[157:158]
	v_add_f64_e32 v[149:150], v[149:150], v[155:156]
	v_fma_f64 v[153:154], v[8:9], v[22:23], v[153:154]
	v_fma_f64 v[157:158], v[6:7], v[22:23], -v[24:25]
	ds_load_b128 v[6:9], v1 offset:1008
	s_wait_loadcnt_dscnt 0x801
	v_mul_f64_e32 v[155:156], v[2:3], v[28:29]
	v_mul_f64_e32 v[28:29], v[4:5], v[28:29]
	scratch_load_b128 v[22:25], off, off offset:384
	v_add_f64_e32 v[147:148], v[147:148], v[159:160]
	v_add_f64_e32 v[149:150], v[149:150], v[151:152]
	s_wait_loadcnt_dscnt 0x800
	v_mul_f64_e32 v[151:152], v[6:7], v[32:33]
	v_mul_f64_e32 v[32:33], v[8:9], v[32:33]
	v_fma_f64 v[155:156], v[4:5], v[26:27], v[155:156]
	v_fma_f64 v[159:160], v[2:3], v[26:27], -v[28:29]
	ds_load_b128 v[2:5], v1 offset:1024
	scratch_load_b128 v[26:29], off, off offset:400
	v_add_f64_e32 v[147:148], v[147:148], v[157:158]
	v_add_f64_e32 v[149:150], v[149:150], v[153:154]
	v_fma_f64 v[151:152], v[8:9], v[30:31], v[151:152]
	v_fma_f64 v[157:158], v[6:7], v[30:31], -v[32:33]
	ds_load_b128 v[6:9], v1 offset:1040
	s_wait_loadcnt_dscnt 0x801
	v_mul_f64_e32 v[153:154], v[2:3], v[36:37]
	v_mul_f64_e32 v[36:37], v[4:5], v[36:37]
	scratch_load_b128 v[30:33], off, off offset:416
	v_add_f64_e32 v[147:148], v[147:148], v[159:160]
	v_add_f64_e32 v[149:150], v[149:150], v[155:156]
	s_wait_loadcnt_dscnt 0x800
	v_mul_f64_e32 v[155:156], v[6:7], v[145:146]
	v_mul_f64_e32 v[145:146], v[8:9], v[145:146]
	v_fma_f64 v[153:154], v[4:5], v[34:35], v[153:154]
	v_fma_f64 v[159:160], v[2:3], v[34:35], -v[36:37]
	ds_load_b128 v[2:5], v1 offset:1056
	scratch_load_b128 v[34:37], off, off offset:432
	v_add_f64_e32 v[147:148], v[147:148], v[157:158]
	v_add_f64_e32 v[149:150], v[149:150], v[151:152]
	v_fma_f64 v[155:156], v[8:9], v[143:144], v[155:156]
	v_fma_f64 v[157:158], v[6:7], v[143:144], -v[145:146]
	ds_load_b128 v[6:9], v1 offset:1072
	scratch_load_b128 v[143:146], off, off offset:448
	s_wait_loadcnt_dscnt 0x901
	v_mul_f64_e32 v[151:152], v[2:3], v[40:41]
	v_mul_f64_e32 v[40:41], v[4:5], v[40:41]
	v_add_f64_e32 v[147:148], v[147:148], v[159:160]
	v_add_f64_e32 v[149:150], v[149:150], v[153:154]
	s_wait_loadcnt_dscnt 0x800
	v_mul_f64_e32 v[153:154], v[6:7], v[141:142]
	v_mul_f64_e32 v[141:142], v[8:9], v[141:142]
	v_fma_f64 v[151:152], v[4:5], v[38:39], v[151:152]
	v_fma_f64 v[159:160], v[2:3], v[38:39], -v[40:41]
	ds_load_b128 v[2:5], v1 offset:1088
	scratch_load_b128 v[38:41], off, off offset:464
	v_add_f64_e32 v[147:148], v[147:148], v[157:158]
	v_add_f64_e32 v[149:150], v[149:150], v[155:156]
	v_fma_f64 v[153:154], v[8:9], v[139:140], v[153:154]
	v_fma_f64 v[157:158], v[6:7], v[139:140], -v[141:142]
	ds_load_b128 v[6:9], v1 offset:1104
	s_wait_loadcnt_dscnt 0x801
	v_mul_f64_e32 v[155:156], v[2:3], v[12:13]
	v_mul_f64_e32 v[12:13], v[4:5], v[12:13]
	scratch_load_b128 v[139:142], off, off offset:480
	v_add_f64_e32 v[147:148], v[147:148], v[159:160]
	v_add_f64_e32 v[149:150], v[149:150], v[151:152]
	s_wait_loadcnt_dscnt 0x800
	v_mul_f64_e32 v[151:152], v[6:7], v[16:17]
	v_mul_f64_e32 v[16:17], v[8:9], v[16:17]
	v_fma_f64 v[155:156], v[4:5], v[10:11], v[155:156]
	v_fma_f64 v[159:160], v[2:3], v[10:11], -v[12:13]
	scratch_load_b128 v[10:13], off, off offset:496
	ds_load_b128 v[2:5], v1 offset:1120
	v_add_f64_e32 v[147:148], v[147:148], v[157:158]
	v_add_f64_e32 v[149:150], v[149:150], v[153:154]
	v_fma_f64 v[151:152], v[8:9], v[14:15], v[151:152]
	v_fma_f64 v[157:158], v[6:7], v[14:15], -v[16:17]
	ds_load_b128 v[6:9], v1 offset:1136
	s_wait_loadcnt_dscnt 0x801
	v_mul_f64_e32 v[153:154], v[2:3], v[20:21]
	v_mul_f64_e32 v[20:21], v[4:5], v[20:21]
	scratch_load_b128 v[14:17], off, off offset:512
	v_add_f64_e32 v[147:148], v[147:148], v[159:160]
	v_add_f64_e32 v[149:150], v[149:150], v[155:156]
	s_wait_loadcnt_dscnt 0x800
	v_mul_f64_e32 v[155:156], v[6:7], v[24:25]
	v_mul_f64_e32 v[24:25], v[8:9], v[24:25]
	v_fma_f64 v[153:154], v[4:5], v[18:19], v[153:154]
	v_fma_f64 v[159:160], v[2:3], v[18:19], -v[20:21]
	ds_load_b128 v[2:5], v1 offset:1152
	scratch_load_b128 v[18:21], off, off offset:528
	v_add_f64_e32 v[147:148], v[147:148], v[157:158]
	v_add_f64_e32 v[149:150], v[149:150], v[151:152]
	v_fma_f64 v[155:156], v[8:9], v[22:23], v[155:156]
	v_fma_f64 v[157:158], v[6:7], v[22:23], -v[24:25]
	ds_load_b128 v[6:9], v1 offset:1168
	s_wait_loadcnt_dscnt 0x801
	v_mul_f64_e32 v[151:152], v[2:3], v[28:29]
	v_mul_f64_e32 v[28:29], v[4:5], v[28:29]
	scratch_load_b128 v[22:25], off, off offset:544
	v_add_f64_e32 v[147:148], v[147:148], v[159:160]
	v_add_f64_e32 v[149:150], v[149:150], v[153:154]
	s_wait_loadcnt_dscnt 0x800
	v_mul_f64_e32 v[153:154], v[6:7], v[32:33]
	v_mul_f64_e32 v[32:33], v[8:9], v[32:33]
	v_fma_f64 v[151:152], v[4:5], v[26:27], v[151:152]
	v_fma_f64 v[159:160], v[2:3], v[26:27], -v[28:29]
	ds_load_b128 v[2:5], v1 offset:1184
	scratch_load_b128 v[26:29], off, off offset:560
	;; [unrolled: 18-line block ×4, first 2 shown]
	v_add_f64_e32 v[147:148], v[147:148], v[157:158]
	v_add_f64_e32 v[149:150], v[149:150], v[151:152]
	v_fma_f64 v[155:156], v[8:9], v[139:140], v[155:156]
	v_fma_f64 v[157:158], v[6:7], v[139:140], -v[141:142]
	ds_load_b128 v[6:9], v1 offset:1264
	s_wait_loadcnt_dscnt 0x801
	v_mul_f64_e32 v[151:152], v[2:3], v[12:13]
	v_mul_f64_e32 v[12:13], v[4:5], v[12:13]
	scratch_load_b128 v[139:142], off, off offset:640
	v_add_f64_e32 v[147:148], v[147:148], v[159:160]
	v_add_f64_e32 v[149:150], v[149:150], v[153:154]
	s_wait_loadcnt_dscnt 0x800
	v_mul_f64_e32 v[153:154], v[6:7], v[16:17]
	v_mul_f64_e32 v[16:17], v[8:9], v[16:17]
	v_fma_f64 v[151:152], v[4:5], v[10:11], v[151:152]
	v_fma_f64 v[159:160], v[2:3], v[10:11], -v[12:13]
	scratch_load_b128 v[10:13], off, off offset:656
	ds_load_b128 v[2:5], v1 offset:1280
	v_add_f64_e32 v[147:148], v[147:148], v[157:158]
	v_add_f64_e32 v[149:150], v[149:150], v[155:156]
	v_fma_f64 v[153:154], v[8:9], v[14:15], v[153:154]
	v_fma_f64 v[157:158], v[6:7], v[14:15], -v[16:17]
	ds_load_b128 v[6:9], v1 offset:1296
	s_wait_loadcnt_dscnt 0x801
	v_mul_f64_e32 v[155:156], v[2:3], v[20:21]
	v_mul_f64_e32 v[20:21], v[4:5], v[20:21]
	scratch_load_b128 v[14:17], off, off offset:672
	v_add_f64_e32 v[147:148], v[147:148], v[159:160]
	v_add_f64_e32 v[149:150], v[149:150], v[151:152]
	s_wait_loadcnt_dscnt 0x800
	v_mul_f64_e32 v[151:152], v[6:7], v[24:25]
	v_mul_f64_e32 v[24:25], v[8:9], v[24:25]
	v_fma_f64 v[155:156], v[4:5], v[18:19], v[155:156]
	v_fma_f64 v[159:160], v[2:3], v[18:19], -v[20:21]
	ds_load_b128 v[2:5], v1 offset:1312
	scratch_load_b128 v[18:21], off, off offset:688
	v_add_f64_e32 v[147:148], v[147:148], v[157:158]
	v_add_f64_e32 v[149:150], v[149:150], v[153:154]
	v_fma_f64 v[151:152], v[8:9], v[22:23], v[151:152]
	v_fma_f64 v[157:158], v[6:7], v[22:23], -v[24:25]
	ds_load_b128 v[6:9], v1 offset:1328
	s_wait_loadcnt_dscnt 0x801
	v_mul_f64_e32 v[153:154], v[2:3], v[28:29]
	v_mul_f64_e32 v[28:29], v[4:5], v[28:29]
	scratch_load_b128 v[22:25], off, off offset:704
	v_add_f64_e32 v[147:148], v[147:148], v[159:160]
	v_add_f64_e32 v[149:150], v[149:150], v[155:156]
	s_wait_loadcnt_dscnt 0x800
	v_mul_f64_e32 v[155:156], v[6:7], v[32:33]
	v_mul_f64_e32 v[32:33], v[8:9], v[32:33]
	v_fma_f64 v[153:154], v[4:5], v[26:27], v[153:154]
	v_fma_f64 v[159:160], v[2:3], v[26:27], -v[28:29]
	ds_load_b128 v[2:5], v1 offset:1344
	scratch_load_b128 v[26:29], off, off offset:720
	;; [unrolled: 18-line block ×3, first 2 shown]
	v_add_f64_e32 v[147:148], v[147:148], v[157:158]
	v_add_f64_e32 v[149:150], v[149:150], v[155:156]
	v_fma_f64 v[153:154], v[8:9], v[143:144], v[153:154]
	v_fma_f64 v[157:158], v[6:7], v[143:144], -v[145:146]
	ds_load_b128 v[6:9], v1 offset:1392
	s_wait_loadcnt_dscnt 0x801
	v_mul_f64_e32 v[155:156], v[2:3], v[40:41]
	v_mul_f64_e32 v[40:41], v[4:5], v[40:41]
	scratch_load_b128 v[143:146], off, off offset:768
	v_add_f64_e32 v[147:148], v[147:148], v[159:160]
	v_add_f64_e32 v[149:150], v[149:150], v[151:152]
	v_fma_f64 v[155:156], v[4:5], v[38:39], v[155:156]
	v_fma_f64 v[38:39], v[2:3], v[38:39], -v[40:41]
	ds_load_b128 v[2:5], v1 offset:1408
	v_add_f64_e32 v[40:41], v[147:148], v[157:158]
	v_add_f64_e32 v[147:148], v[149:150], v[153:154]
	s_wait_loadcnt_dscnt 0x700
	v_mul_f64_e32 v[149:150], v[2:3], v[12:13]
	v_mul_f64_e32 v[12:13], v[4:5], v[12:13]
	s_delay_alu instid0(VALU_DEP_4) | instskip(NEXT) | instid1(VALU_DEP_4)
	v_add_f64_e32 v[38:39], v[40:41], v[38:39]
	v_add_f64_e32 v[40:41], v[147:148], v[155:156]
	s_delay_alu instid0(VALU_DEP_4) | instskip(NEXT) | instid1(VALU_DEP_4)
	v_fma_f64 v[147:148], v[4:5], v[10:11], v[149:150]
	v_fma_f64 v[149:150], v[2:3], v[10:11], -v[12:13]
	scratch_load_b128 v[10:13], off, off offset:128
	v_mul_f64_e32 v[151:152], v[6:7], v[141:142]
	v_mul_f64_e32 v[141:142], v[8:9], v[141:142]
	ds_load_b128 v[2:5], v1 offset:1440
	v_fma_f64 v[151:152], v[8:9], v[139:140], v[151:152]
	v_fma_f64 v[139:140], v[6:7], v[139:140], -v[141:142]
	ds_load_b128 v[6:9], v1 offset:1424
	s_wait_loadcnt_dscnt 0x700
	v_mul_f64_e32 v[141:142], v[6:7], v[16:17]
	v_mul_f64_e32 v[16:17], v[8:9], v[16:17]
	v_add_f64_e32 v[40:41], v[40:41], v[151:152]
	v_add_f64_e32 v[38:39], v[38:39], v[139:140]
	s_wait_loadcnt 0x6
	v_mul_f64_e32 v[139:140], v[2:3], v[20:21]
	v_mul_f64_e32 v[20:21], v[4:5], v[20:21]
	v_fma_f64 v[141:142], v[8:9], v[14:15], v[141:142]
	v_fma_f64 v[14:15], v[6:7], v[14:15], -v[16:17]
	ds_load_b128 v[6:9], v1 offset:1456
	v_add_f64_e32 v[16:17], v[38:39], v[149:150]
	v_add_f64_e32 v[38:39], v[40:41], v[147:148]
	v_fma_f64 v[139:140], v[4:5], v[18:19], v[139:140]
	v_fma_f64 v[18:19], v[2:3], v[18:19], -v[20:21]
	ds_load_b128 v[2:5], v1 offset:1472
	s_wait_loadcnt_dscnt 0x501
	v_mul_f64_e32 v[40:41], v[6:7], v[24:25]
	v_mul_f64_e32 v[24:25], v[8:9], v[24:25]
	s_wait_loadcnt_dscnt 0x400
	v_mul_f64_e32 v[20:21], v[2:3], v[28:29]
	v_mul_f64_e32 v[28:29], v[4:5], v[28:29]
	v_add_f64_e32 v[14:15], v[16:17], v[14:15]
	v_add_f64_e32 v[16:17], v[38:39], v[141:142]
	v_fma_f64 v[38:39], v[8:9], v[22:23], v[40:41]
	v_fma_f64 v[22:23], v[6:7], v[22:23], -v[24:25]
	ds_load_b128 v[6:9], v1 offset:1488
	v_fma_f64 v[20:21], v[4:5], v[26:27], v[20:21]
	v_fma_f64 v[26:27], v[2:3], v[26:27], -v[28:29]
	ds_load_b128 v[2:5], v1 offset:1504
	s_wait_loadcnt_dscnt 0x301
	v_mul_f64_e32 v[24:25], v[8:9], v[32:33]
	v_add_f64_e32 v[14:15], v[14:15], v[18:19]
	v_add_f64_e32 v[16:17], v[16:17], v[139:140]
	v_mul_f64_e32 v[18:19], v[6:7], v[32:33]
	s_wait_loadcnt_dscnt 0x200
	v_mul_f64_e32 v[28:29], v[4:5], v[36:37]
	v_fma_f64 v[24:25], v[6:7], v[30:31], -v[24:25]
	v_add_f64_e32 v[14:15], v[14:15], v[22:23]
	v_add_f64_e32 v[16:17], v[16:17], v[38:39]
	v_mul_f64_e32 v[22:23], v[2:3], v[36:37]
	v_fma_f64 v[18:19], v[8:9], v[30:31], v[18:19]
	ds_load_b128 v[6:9], v1 offset:1520
	v_fma_f64 v[1:2], v[2:3], v[34:35], -v[28:29]
	v_add_f64_e32 v[14:15], v[14:15], v[26:27]
	v_add_f64_e32 v[16:17], v[16:17], v[20:21]
	s_wait_loadcnt_dscnt 0x100
	v_mul_f64_e32 v[20:21], v[6:7], v[145:146]
	v_mul_f64_e32 v[26:27], v[8:9], v[145:146]
	v_fma_f64 v[4:5], v[4:5], v[34:35], v[22:23]
	v_add_f64_e32 v[14:15], v[14:15], v[24:25]
	v_add_f64_e32 v[16:17], v[16:17], v[18:19]
	v_fma_f64 v[8:9], v[8:9], v[143:144], v[20:21]
	v_fma_f64 v[6:7], v[6:7], v[143:144], -v[26:27]
	s_delay_alu instid0(VALU_DEP_4) | instskip(NEXT) | instid1(VALU_DEP_4)
	v_add_f64_e32 v[1:2], v[14:15], v[1:2]
	v_add_f64_e32 v[3:4], v[16:17], v[4:5]
	s_delay_alu instid0(VALU_DEP_2) | instskip(NEXT) | instid1(VALU_DEP_2)
	v_add_f64_e32 v[1:2], v[1:2], v[6:7]
	v_add_f64_e32 v[3:4], v[3:4], v[8:9]
	s_wait_loadcnt 0x0
	s_delay_alu instid0(VALU_DEP_2) | instskip(NEXT) | instid1(VALU_DEP_2)
	v_add_f64_e64 v[1:2], v[10:11], -v[1:2]
	v_add_f64_e64 v[3:4], v[12:13], -v[3:4]
	scratch_store_b128 off, v[1:4], off offset:128
	v_cmpx_lt_u32_e32 6, v0
	s_cbranch_execz .LBB47_289
; %bb.288:
	scratch_load_b128 v[1:4], off, s55
	v_mov_b32_e32 v5, 0
	s_delay_alu instid0(VALU_DEP_1)
	v_dual_mov_b32 v6, v5 :: v_dual_mov_b32 v7, v5
	v_mov_b32_e32 v8, v5
	scratch_store_b128 off, v[5:8], off offset:112
	s_wait_loadcnt 0x0
	ds_store_b128 v138, v[1:4]
.LBB47_289:
	s_wait_alu 0xfffe
	s_or_b32 exec_lo, exec_lo, s0
	s_wait_storecnt_dscnt 0x0
	s_barrier_signal -1
	s_barrier_wait -1
	global_inv scope:SCOPE_SE
	s_clause 0x7
	scratch_load_b128 v[2:5], off, off offset:128
	scratch_load_b128 v[6:9], off, off offset:144
	;; [unrolled: 1-line block ×8, first 2 shown]
	v_mov_b32_e32 v1, 0
	s_clause 0x1
	scratch_load_b128 v[34:37], off, off offset:256
	scratch_load_b128 v[143:146], off, off offset:272
	s_mov_b32 s0, exec_lo
	ds_load_b128 v[38:41], v1 offset:880
	ds_load_b128 v[139:142], v1 offset:896
	s_wait_loadcnt_dscnt 0x901
	v_mul_f64_e32 v[147:148], v[40:41], v[4:5]
	v_mul_f64_e32 v[4:5], v[38:39], v[4:5]
	s_wait_loadcnt_dscnt 0x800
	v_mul_f64_e32 v[149:150], v[139:140], v[8:9]
	v_mul_f64_e32 v[8:9], v[141:142], v[8:9]
	s_delay_alu instid0(VALU_DEP_4) | instskip(NEXT) | instid1(VALU_DEP_4)
	v_fma_f64 v[147:148], v[38:39], v[2:3], -v[147:148]
	v_fma_f64 v[151:152], v[40:41], v[2:3], v[4:5]
	ds_load_b128 v[2:5], v1 offset:912
	scratch_load_b128 v[38:41], off, off offset:288
	v_fma_f64 v[149:150], v[141:142], v[6:7], v[149:150]
	v_fma_f64 v[155:156], v[139:140], v[6:7], -v[8:9]
	ds_load_b128 v[6:9], v1 offset:928
	scratch_load_b128 v[139:142], off, off offset:304
	s_wait_loadcnt_dscnt 0x901
	v_mul_f64_e32 v[153:154], v[2:3], v[12:13]
	v_mul_f64_e32 v[12:13], v[4:5], v[12:13]
	s_wait_loadcnt_dscnt 0x800
	v_mul_f64_e32 v[157:158], v[6:7], v[16:17]
	v_mul_f64_e32 v[16:17], v[8:9], v[16:17]
	v_add_f64_e32 v[147:148], 0, v[147:148]
	v_add_f64_e32 v[151:152], 0, v[151:152]
	v_fma_f64 v[153:154], v[4:5], v[10:11], v[153:154]
	v_fma_f64 v[159:160], v[2:3], v[10:11], -v[12:13]
	ds_load_b128 v[2:5], v1 offset:944
	scratch_load_b128 v[10:13], off, off offset:320
	v_add_f64_e32 v[147:148], v[147:148], v[155:156]
	v_add_f64_e32 v[149:150], v[151:152], v[149:150]
	v_fma_f64 v[155:156], v[8:9], v[14:15], v[157:158]
	v_fma_f64 v[157:158], v[6:7], v[14:15], -v[16:17]
	ds_load_b128 v[6:9], v1 offset:960
	scratch_load_b128 v[14:17], off, off offset:336
	s_wait_loadcnt_dscnt 0x901
	v_mul_f64_e32 v[151:152], v[2:3], v[20:21]
	v_mul_f64_e32 v[20:21], v[4:5], v[20:21]
	v_add_f64_e32 v[147:148], v[147:148], v[159:160]
	v_add_f64_e32 v[149:150], v[149:150], v[153:154]
	s_wait_loadcnt_dscnt 0x800
	v_mul_f64_e32 v[153:154], v[6:7], v[24:25]
	v_mul_f64_e32 v[24:25], v[8:9], v[24:25]
	v_fma_f64 v[151:152], v[4:5], v[18:19], v[151:152]
	v_fma_f64 v[159:160], v[2:3], v[18:19], -v[20:21]
	ds_load_b128 v[2:5], v1 offset:976
	scratch_load_b128 v[18:21], off, off offset:352
	v_add_f64_e32 v[147:148], v[147:148], v[157:158]
	v_add_f64_e32 v[149:150], v[149:150], v[155:156]
	v_fma_f64 v[153:154], v[8:9], v[22:23], v[153:154]
	v_fma_f64 v[157:158], v[6:7], v[22:23], -v[24:25]
	ds_load_b128 v[6:9], v1 offset:992
	s_wait_loadcnt_dscnt 0x801
	v_mul_f64_e32 v[155:156], v[2:3], v[28:29]
	v_mul_f64_e32 v[28:29], v[4:5], v[28:29]
	scratch_load_b128 v[22:25], off, off offset:368
	v_add_f64_e32 v[147:148], v[147:148], v[159:160]
	v_add_f64_e32 v[149:150], v[149:150], v[151:152]
	s_wait_loadcnt_dscnt 0x800
	v_mul_f64_e32 v[151:152], v[6:7], v[32:33]
	v_mul_f64_e32 v[32:33], v[8:9], v[32:33]
	v_fma_f64 v[155:156], v[4:5], v[26:27], v[155:156]
	v_fma_f64 v[159:160], v[2:3], v[26:27], -v[28:29]
	ds_load_b128 v[2:5], v1 offset:1008
	scratch_load_b128 v[26:29], off, off offset:384
	v_add_f64_e32 v[147:148], v[147:148], v[157:158]
	v_add_f64_e32 v[149:150], v[149:150], v[153:154]
	v_fma_f64 v[151:152], v[8:9], v[30:31], v[151:152]
	v_fma_f64 v[157:158], v[6:7], v[30:31], -v[32:33]
	ds_load_b128 v[6:9], v1 offset:1024
	s_wait_loadcnt_dscnt 0x801
	v_mul_f64_e32 v[153:154], v[2:3], v[36:37]
	v_mul_f64_e32 v[36:37], v[4:5], v[36:37]
	scratch_load_b128 v[30:33], off, off offset:400
	v_add_f64_e32 v[147:148], v[147:148], v[159:160]
	v_add_f64_e32 v[149:150], v[149:150], v[155:156]
	s_wait_loadcnt_dscnt 0x800
	v_mul_f64_e32 v[155:156], v[6:7], v[145:146]
	v_mul_f64_e32 v[145:146], v[8:9], v[145:146]
	v_fma_f64 v[153:154], v[4:5], v[34:35], v[153:154]
	v_fma_f64 v[159:160], v[2:3], v[34:35], -v[36:37]
	ds_load_b128 v[2:5], v1 offset:1040
	scratch_load_b128 v[34:37], off, off offset:416
	v_add_f64_e32 v[147:148], v[147:148], v[157:158]
	v_add_f64_e32 v[149:150], v[149:150], v[151:152]
	v_fma_f64 v[155:156], v[8:9], v[143:144], v[155:156]
	v_fma_f64 v[157:158], v[6:7], v[143:144], -v[145:146]
	ds_load_b128 v[6:9], v1 offset:1056
	scratch_load_b128 v[143:146], off, off offset:432
	s_wait_loadcnt_dscnt 0x901
	v_mul_f64_e32 v[151:152], v[2:3], v[40:41]
	v_mul_f64_e32 v[40:41], v[4:5], v[40:41]
	v_add_f64_e32 v[147:148], v[147:148], v[159:160]
	v_add_f64_e32 v[149:150], v[149:150], v[153:154]
	s_wait_loadcnt_dscnt 0x800
	v_mul_f64_e32 v[153:154], v[6:7], v[141:142]
	v_mul_f64_e32 v[141:142], v[8:9], v[141:142]
	v_fma_f64 v[151:152], v[4:5], v[38:39], v[151:152]
	v_fma_f64 v[159:160], v[2:3], v[38:39], -v[40:41]
	ds_load_b128 v[2:5], v1 offset:1072
	scratch_load_b128 v[38:41], off, off offset:448
	v_add_f64_e32 v[147:148], v[147:148], v[157:158]
	v_add_f64_e32 v[149:150], v[149:150], v[155:156]
	v_fma_f64 v[153:154], v[8:9], v[139:140], v[153:154]
	v_fma_f64 v[157:158], v[6:7], v[139:140], -v[141:142]
	ds_load_b128 v[6:9], v1 offset:1088
	s_wait_loadcnt_dscnt 0x801
	v_mul_f64_e32 v[155:156], v[2:3], v[12:13]
	v_mul_f64_e32 v[12:13], v[4:5], v[12:13]
	scratch_load_b128 v[139:142], off, off offset:464
	v_add_f64_e32 v[147:148], v[147:148], v[159:160]
	v_add_f64_e32 v[149:150], v[149:150], v[151:152]
	s_wait_loadcnt_dscnt 0x800
	v_mul_f64_e32 v[151:152], v[6:7], v[16:17]
	v_mul_f64_e32 v[16:17], v[8:9], v[16:17]
	v_fma_f64 v[155:156], v[4:5], v[10:11], v[155:156]
	v_fma_f64 v[159:160], v[2:3], v[10:11], -v[12:13]
	ds_load_b128 v[2:5], v1 offset:1104
	scratch_load_b128 v[10:13], off, off offset:480
	v_add_f64_e32 v[147:148], v[147:148], v[157:158]
	v_add_f64_e32 v[149:150], v[149:150], v[153:154]
	v_fma_f64 v[151:152], v[8:9], v[14:15], v[151:152]
	v_fma_f64 v[157:158], v[6:7], v[14:15], -v[16:17]
	ds_load_b128 v[6:9], v1 offset:1120
	s_wait_loadcnt_dscnt 0x801
	v_mul_f64_e32 v[153:154], v[2:3], v[20:21]
	v_mul_f64_e32 v[20:21], v[4:5], v[20:21]
	scratch_load_b128 v[14:17], off, off offset:496
	;; [unrolled: 18-line block ×10, first 2 shown]
	v_add_f64_e32 v[147:148], v[147:148], v[159:160]
	v_add_f64_e32 v[149:150], v[149:150], v[151:152]
	s_wait_loadcnt_dscnt 0x800
	v_mul_f64_e32 v[151:152], v[6:7], v[141:142]
	v_mul_f64_e32 v[141:142], v[8:9], v[141:142]
	v_fma_f64 v[155:156], v[4:5], v[38:39], v[155:156]
	v_fma_f64 v[159:160], v[2:3], v[38:39], -v[40:41]
	ds_load_b128 v[2:5], v1 offset:1392
	scratch_load_b128 v[38:41], off, off offset:768
	v_add_f64_e32 v[147:148], v[147:148], v[157:158]
	v_add_f64_e32 v[149:150], v[149:150], v[153:154]
	v_fma_f64 v[151:152], v[8:9], v[139:140], v[151:152]
	v_fma_f64 v[139:140], v[6:7], v[139:140], -v[141:142]
	ds_load_b128 v[6:9], v1 offset:1408
	s_wait_loadcnt_dscnt 0x801
	v_mul_f64_e32 v[153:154], v[2:3], v[12:13]
	v_mul_f64_e32 v[12:13], v[4:5], v[12:13]
	v_add_f64_e32 v[141:142], v[147:148], v[159:160]
	v_add_f64_e32 v[147:148], v[149:150], v[155:156]
	s_wait_loadcnt_dscnt 0x700
	v_mul_f64_e32 v[149:150], v[6:7], v[16:17]
	v_mul_f64_e32 v[16:17], v[8:9], v[16:17]
	v_fma_f64 v[153:154], v[4:5], v[10:11], v[153:154]
	v_fma_f64 v[10:11], v[2:3], v[10:11], -v[12:13]
	ds_load_b128 v[2:5], v1 offset:1424
	v_add_f64_e32 v[12:13], v[141:142], v[139:140]
	v_add_f64_e32 v[139:140], v[147:148], v[151:152]
	v_fma_f64 v[147:148], v[8:9], v[14:15], v[149:150]
	v_fma_f64 v[14:15], v[6:7], v[14:15], -v[16:17]
	ds_load_b128 v[6:9], v1 offset:1440
	s_wait_loadcnt_dscnt 0x500
	v_mul_f64_e32 v[149:150], v[6:7], v[24:25]
	v_mul_f64_e32 v[24:25], v[8:9], v[24:25]
	v_add_f64_e32 v[16:17], v[12:13], v[10:11]
	v_add_f64_e32 v[139:140], v[139:140], v[153:154]
	scratch_load_b128 v[10:13], off, off offset:112
	v_mul_f64_e32 v[141:142], v[2:3], v[20:21]
	v_mul_f64_e32 v[20:21], v[4:5], v[20:21]
	v_add_f64_e32 v[14:15], v[16:17], v[14:15]
	v_add_f64_e32 v[16:17], v[139:140], v[147:148]
	v_fma_f64 v[139:140], v[8:9], v[22:23], v[149:150]
	v_fma_f64 v[141:142], v[4:5], v[18:19], v[141:142]
	v_fma_f64 v[18:19], v[2:3], v[18:19], -v[20:21]
	ds_load_b128 v[2:5], v1 offset:1456
	v_fma_f64 v[22:23], v[6:7], v[22:23], -v[24:25]
	ds_load_b128 v[6:9], v1 offset:1472
	s_wait_loadcnt_dscnt 0x501
	v_mul_f64_e32 v[20:21], v[2:3], v[28:29]
	v_mul_f64_e32 v[28:29], v[4:5], v[28:29]
	s_wait_loadcnt_dscnt 0x400
	v_mul_f64_e32 v[24:25], v[8:9], v[32:33]
	v_add_f64_e32 v[16:17], v[16:17], v[141:142]
	v_add_f64_e32 v[14:15], v[14:15], v[18:19]
	v_mul_f64_e32 v[18:19], v[6:7], v[32:33]
	v_fma_f64 v[20:21], v[4:5], v[26:27], v[20:21]
	v_fma_f64 v[26:27], v[2:3], v[26:27], -v[28:29]
	ds_load_b128 v[2:5], v1 offset:1488
	v_fma_f64 v[24:25], v[6:7], v[30:31], -v[24:25]
	v_add_f64_e32 v[16:17], v[16:17], v[139:140]
	v_add_f64_e32 v[14:15], v[14:15], v[22:23]
	v_fma_f64 v[18:19], v[8:9], v[30:31], v[18:19]
	ds_load_b128 v[6:9], v1 offset:1504
	s_wait_loadcnt_dscnt 0x301
	v_mul_f64_e32 v[22:23], v[2:3], v[36:37]
	v_mul_f64_e32 v[28:29], v[4:5], v[36:37]
	v_add_f64_e32 v[16:17], v[16:17], v[20:21]
	v_add_f64_e32 v[14:15], v[14:15], v[26:27]
	s_wait_loadcnt_dscnt 0x200
	v_mul_f64_e32 v[20:21], v[6:7], v[145:146]
	v_mul_f64_e32 v[26:27], v[8:9], v[145:146]
	v_fma_f64 v[22:23], v[4:5], v[34:35], v[22:23]
	v_fma_f64 v[28:29], v[2:3], v[34:35], -v[28:29]
	ds_load_b128 v[2:5], v1 offset:1520
	v_add_f64_e32 v[16:17], v[16:17], v[18:19]
	v_add_f64_e32 v[14:15], v[14:15], v[24:25]
	s_wait_loadcnt_dscnt 0x100
	v_mul_f64_e32 v[18:19], v[2:3], v[40:41]
	v_mul_f64_e32 v[24:25], v[4:5], v[40:41]
	v_fma_f64 v[8:9], v[8:9], v[143:144], v[20:21]
	v_fma_f64 v[6:7], v[6:7], v[143:144], -v[26:27]
	v_add_f64_e32 v[16:17], v[16:17], v[22:23]
	v_add_f64_e32 v[14:15], v[14:15], v[28:29]
	v_fma_f64 v[4:5], v[4:5], v[38:39], v[18:19]
	v_fma_f64 v[2:3], v[2:3], v[38:39], -v[24:25]
	s_delay_alu instid0(VALU_DEP_4) | instskip(NEXT) | instid1(VALU_DEP_4)
	v_add_f64_e32 v[8:9], v[16:17], v[8:9]
	v_add_f64_e32 v[6:7], v[14:15], v[6:7]
	s_delay_alu instid0(VALU_DEP_2) | instskip(NEXT) | instid1(VALU_DEP_2)
	v_add_f64_e32 v[4:5], v[8:9], v[4:5]
	v_add_f64_e32 v[2:3], v[6:7], v[2:3]
	s_wait_loadcnt 0x0
	s_delay_alu instid0(VALU_DEP_2) | instskip(NEXT) | instid1(VALU_DEP_2)
	v_add_f64_e64 v[4:5], v[12:13], -v[4:5]
	v_add_f64_e64 v[2:3], v[10:11], -v[2:3]
	scratch_store_b128 off, v[2:5], off offset:112
	v_cmpx_lt_u32_e32 5, v0
	s_cbranch_execz .LBB47_291
; %bb.290:
	scratch_load_b128 v[5:8], off, s56
	v_dual_mov_b32 v2, v1 :: v_dual_mov_b32 v3, v1
	v_mov_b32_e32 v4, v1
	scratch_store_b128 off, v[1:4], off offset:96
	s_wait_loadcnt 0x0
	ds_store_b128 v138, v[5:8]
.LBB47_291:
	s_wait_alu 0xfffe
	s_or_b32 exec_lo, exec_lo, s0
	s_wait_storecnt_dscnt 0x0
	s_barrier_signal -1
	s_barrier_wait -1
	global_inv scope:SCOPE_SE
	s_clause 0x7
	scratch_load_b128 v[2:5], off, off offset:112
	scratch_load_b128 v[6:9], off, off offset:128
	;; [unrolled: 1-line block ×8, first 2 shown]
	ds_load_b128 v[38:41], v1 offset:864
	ds_load_b128 v[139:142], v1 offset:880
	s_clause 0x1
	scratch_load_b128 v[34:37], off, off offset:240
	scratch_load_b128 v[143:146], off, off offset:256
	s_mov_b32 s0, exec_lo
	s_wait_loadcnt_dscnt 0x901
	v_mul_f64_e32 v[147:148], v[40:41], v[4:5]
	v_mul_f64_e32 v[4:5], v[38:39], v[4:5]
	s_wait_loadcnt_dscnt 0x800
	v_mul_f64_e32 v[149:150], v[139:140], v[8:9]
	v_mul_f64_e32 v[8:9], v[141:142], v[8:9]
	s_delay_alu instid0(VALU_DEP_4) | instskip(NEXT) | instid1(VALU_DEP_4)
	v_fma_f64 v[147:148], v[38:39], v[2:3], -v[147:148]
	v_fma_f64 v[151:152], v[40:41], v[2:3], v[4:5]
	ds_load_b128 v[2:5], v1 offset:896
	scratch_load_b128 v[38:41], off, off offset:272
	v_fma_f64 v[149:150], v[141:142], v[6:7], v[149:150]
	v_fma_f64 v[155:156], v[139:140], v[6:7], -v[8:9]
	ds_load_b128 v[6:9], v1 offset:912
	scratch_load_b128 v[139:142], off, off offset:288
	s_wait_loadcnt_dscnt 0x901
	v_mul_f64_e32 v[153:154], v[2:3], v[12:13]
	v_mul_f64_e32 v[12:13], v[4:5], v[12:13]
	s_wait_loadcnt_dscnt 0x800
	v_mul_f64_e32 v[157:158], v[6:7], v[16:17]
	v_mul_f64_e32 v[16:17], v[8:9], v[16:17]
	v_add_f64_e32 v[147:148], 0, v[147:148]
	v_add_f64_e32 v[151:152], 0, v[151:152]
	v_fma_f64 v[153:154], v[4:5], v[10:11], v[153:154]
	v_fma_f64 v[159:160], v[2:3], v[10:11], -v[12:13]
	ds_load_b128 v[2:5], v1 offset:928
	scratch_load_b128 v[10:13], off, off offset:304
	v_add_f64_e32 v[147:148], v[147:148], v[155:156]
	v_add_f64_e32 v[149:150], v[151:152], v[149:150]
	v_fma_f64 v[155:156], v[8:9], v[14:15], v[157:158]
	v_fma_f64 v[157:158], v[6:7], v[14:15], -v[16:17]
	ds_load_b128 v[6:9], v1 offset:944
	scratch_load_b128 v[14:17], off, off offset:320
	s_wait_loadcnt_dscnt 0x901
	v_mul_f64_e32 v[151:152], v[2:3], v[20:21]
	v_mul_f64_e32 v[20:21], v[4:5], v[20:21]
	v_add_f64_e32 v[147:148], v[147:148], v[159:160]
	v_add_f64_e32 v[149:150], v[149:150], v[153:154]
	s_wait_loadcnt_dscnt 0x800
	v_mul_f64_e32 v[153:154], v[6:7], v[24:25]
	v_mul_f64_e32 v[24:25], v[8:9], v[24:25]
	v_fma_f64 v[151:152], v[4:5], v[18:19], v[151:152]
	v_fma_f64 v[159:160], v[2:3], v[18:19], -v[20:21]
	ds_load_b128 v[2:5], v1 offset:960
	scratch_load_b128 v[18:21], off, off offset:336
	v_add_f64_e32 v[147:148], v[147:148], v[157:158]
	v_add_f64_e32 v[149:150], v[149:150], v[155:156]
	v_fma_f64 v[153:154], v[8:9], v[22:23], v[153:154]
	v_fma_f64 v[157:158], v[6:7], v[22:23], -v[24:25]
	ds_load_b128 v[6:9], v1 offset:976
	s_wait_loadcnt_dscnt 0x801
	v_mul_f64_e32 v[155:156], v[2:3], v[28:29]
	v_mul_f64_e32 v[28:29], v[4:5], v[28:29]
	scratch_load_b128 v[22:25], off, off offset:352
	v_add_f64_e32 v[147:148], v[147:148], v[159:160]
	v_add_f64_e32 v[149:150], v[149:150], v[151:152]
	s_wait_loadcnt_dscnt 0x800
	v_mul_f64_e32 v[151:152], v[6:7], v[32:33]
	v_mul_f64_e32 v[32:33], v[8:9], v[32:33]
	v_fma_f64 v[155:156], v[4:5], v[26:27], v[155:156]
	v_fma_f64 v[159:160], v[2:3], v[26:27], -v[28:29]
	ds_load_b128 v[2:5], v1 offset:992
	scratch_load_b128 v[26:29], off, off offset:368
	v_add_f64_e32 v[147:148], v[147:148], v[157:158]
	v_add_f64_e32 v[149:150], v[149:150], v[153:154]
	v_fma_f64 v[151:152], v[8:9], v[30:31], v[151:152]
	v_fma_f64 v[157:158], v[6:7], v[30:31], -v[32:33]
	ds_load_b128 v[6:9], v1 offset:1008
	s_wait_loadcnt_dscnt 0x801
	v_mul_f64_e32 v[153:154], v[2:3], v[36:37]
	v_mul_f64_e32 v[36:37], v[4:5], v[36:37]
	scratch_load_b128 v[30:33], off, off offset:384
	v_add_f64_e32 v[147:148], v[147:148], v[159:160]
	v_add_f64_e32 v[149:150], v[149:150], v[155:156]
	s_wait_loadcnt_dscnt 0x800
	v_mul_f64_e32 v[155:156], v[6:7], v[145:146]
	v_mul_f64_e32 v[145:146], v[8:9], v[145:146]
	v_fma_f64 v[153:154], v[4:5], v[34:35], v[153:154]
	v_fma_f64 v[159:160], v[2:3], v[34:35], -v[36:37]
	ds_load_b128 v[2:5], v1 offset:1024
	scratch_load_b128 v[34:37], off, off offset:400
	v_add_f64_e32 v[147:148], v[147:148], v[157:158]
	v_add_f64_e32 v[149:150], v[149:150], v[151:152]
	v_fma_f64 v[155:156], v[8:9], v[143:144], v[155:156]
	v_fma_f64 v[157:158], v[6:7], v[143:144], -v[145:146]
	ds_load_b128 v[6:9], v1 offset:1040
	scratch_load_b128 v[143:146], off, off offset:416
	s_wait_loadcnt_dscnt 0x901
	v_mul_f64_e32 v[151:152], v[2:3], v[40:41]
	v_mul_f64_e32 v[40:41], v[4:5], v[40:41]
	v_add_f64_e32 v[147:148], v[147:148], v[159:160]
	v_add_f64_e32 v[149:150], v[149:150], v[153:154]
	s_wait_loadcnt_dscnt 0x800
	v_mul_f64_e32 v[153:154], v[6:7], v[141:142]
	v_mul_f64_e32 v[141:142], v[8:9], v[141:142]
	v_fma_f64 v[151:152], v[4:5], v[38:39], v[151:152]
	v_fma_f64 v[159:160], v[2:3], v[38:39], -v[40:41]
	ds_load_b128 v[2:5], v1 offset:1056
	scratch_load_b128 v[38:41], off, off offset:432
	v_add_f64_e32 v[147:148], v[147:148], v[157:158]
	v_add_f64_e32 v[149:150], v[149:150], v[155:156]
	v_fma_f64 v[153:154], v[8:9], v[139:140], v[153:154]
	v_fma_f64 v[157:158], v[6:7], v[139:140], -v[141:142]
	ds_load_b128 v[6:9], v1 offset:1072
	s_wait_loadcnt_dscnt 0x801
	v_mul_f64_e32 v[155:156], v[2:3], v[12:13]
	v_mul_f64_e32 v[12:13], v[4:5], v[12:13]
	scratch_load_b128 v[139:142], off, off offset:448
	v_add_f64_e32 v[147:148], v[147:148], v[159:160]
	v_add_f64_e32 v[149:150], v[149:150], v[151:152]
	s_wait_loadcnt_dscnt 0x800
	v_mul_f64_e32 v[151:152], v[6:7], v[16:17]
	v_mul_f64_e32 v[16:17], v[8:9], v[16:17]
	v_fma_f64 v[155:156], v[4:5], v[10:11], v[155:156]
	v_fma_f64 v[159:160], v[2:3], v[10:11], -v[12:13]
	ds_load_b128 v[2:5], v1 offset:1088
	scratch_load_b128 v[10:13], off, off offset:464
	v_add_f64_e32 v[147:148], v[147:148], v[157:158]
	v_add_f64_e32 v[149:150], v[149:150], v[153:154]
	v_fma_f64 v[151:152], v[8:9], v[14:15], v[151:152]
	v_fma_f64 v[157:158], v[6:7], v[14:15], -v[16:17]
	ds_load_b128 v[6:9], v1 offset:1104
	s_wait_loadcnt_dscnt 0x801
	v_mul_f64_e32 v[153:154], v[2:3], v[20:21]
	v_mul_f64_e32 v[20:21], v[4:5], v[20:21]
	scratch_load_b128 v[14:17], off, off offset:480
	;; [unrolled: 18-line block ×11, first 2 shown]
	v_add_f64_e32 v[147:148], v[147:148], v[159:160]
	v_add_f64_e32 v[149:150], v[149:150], v[155:156]
	s_wait_loadcnt_dscnt 0x800
	v_mul_f64_e32 v[155:156], v[6:7], v[16:17]
	v_mul_f64_e32 v[16:17], v[8:9], v[16:17]
	v_fma_f64 v[153:154], v[4:5], v[10:11], v[153:154]
	v_fma_f64 v[10:11], v[2:3], v[10:11], -v[12:13]
	ds_load_b128 v[2:5], v1 offset:1408
	v_add_f64_e32 v[12:13], v[147:148], v[157:158]
	v_add_f64_e32 v[147:148], v[149:150], v[151:152]
	v_fma_f64 v[151:152], v[8:9], v[14:15], v[155:156]
	v_fma_f64 v[14:15], v[6:7], v[14:15], -v[16:17]
	ds_load_b128 v[6:9], v1 offset:1424
	s_wait_loadcnt_dscnt 0x701
	v_mul_f64_e32 v[149:150], v[2:3], v[20:21]
	v_mul_f64_e32 v[20:21], v[4:5], v[20:21]
	v_add_f64_e32 v[10:11], v[12:13], v[10:11]
	v_add_f64_e32 v[12:13], v[147:148], v[153:154]
	s_delay_alu instid0(VALU_DEP_4) | instskip(NEXT) | instid1(VALU_DEP_4)
	v_fma_f64 v[147:148], v[4:5], v[18:19], v[149:150]
	v_fma_f64 v[18:19], v[2:3], v[18:19], -v[20:21]
	ds_load_b128 v[2:5], v1 offset:1440
	v_add_f64_e32 v[14:15], v[10:11], v[14:15]
	v_add_f64_e32 v[20:21], v[12:13], v[151:152]
	scratch_load_b128 v[10:13], off, off offset:96
	s_wait_loadcnt_dscnt 0x701
	v_mul_f64_e32 v[16:17], v[6:7], v[24:25]
	v_mul_f64_e32 v[24:25], v[8:9], v[24:25]
	v_add_f64_e32 v[14:15], v[14:15], v[18:19]
	v_add_f64_e32 v[18:19], v[20:21], v[147:148]
	s_delay_alu instid0(VALU_DEP_4) | instskip(NEXT) | instid1(VALU_DEP_4)
	v_fma_f64 v[16:17], v[8:9], v[22:23], v[16:17]
	v_fma_f64 v[22:23], v[6:7], v[22:23], -v[24:25]
	ds_load_b128 v[6:9], v1 offset:1456
	s_wait_loadcnt_dscnt 0x601
	v_mul_f64_e32 v[149:150], v[2:3], v[28:29]
	v_mul_f64_e32 v[28:29], v[4:5], v[28:29]
	s_wait_loadcnt_dscnt 0x500
	v_mul_f64_e32 v[20:21], v[6:7], v[32:33]
	v_mul_f64_e32 v[24:25], v[8:9], v[32:33]
	v_add_f64_e32 v[16:17], v[18:19], v[16:17]
	v_add_f64_e32 v[14:15], v[14:15], v[22:23]
	v_fma_f64 v[32:33], v[4:5], v[26:27], v[149:150]
	v_fma_f64 v[26:27], v[2:3], v[26:27], -v[28:29]
	ds_load_b128 v[2:5], v1 offset:1472
	v_fma_f64 v[20:21], v[8:9], v[30:31], v[20:21]
	v_fma_f64 v[24:25], v[6:7], v[30:31], -v[24:25]
	ds_load_b128 v[6:9], v1 offset:1488
	s_wait_loadcnt_dscnt 0x401
	v_mul_f64_e32 v[18:19], v[2:3], v[36:37]
	v_mul_f64_e32 v[22:23], v[4:5], v[36:37]
	v_add_f64_e32 v[16:17], v[16:17], v[32:33]
	v_add_f64_e32 v[14:15], v[14:15], v[26:27]
	s_wait_loadcnt_dscnt 0x300
	v_mul_f64_e32 v[26:27], v[6:7], v[145:146]
	v_mul_f64_e32 v[28:29], v[8:9], v[145:146]
	v_fma_f64 v[18:19], v[4:5], v[34:35], v[18:19]
	v_fma_f64 v[22:23], v[2:3], v[34:35], -v[22:23]
	ds_load_b128 v[2:5], v1 offset:1504
	v_add_f64_e32 v[16:17], v[16:17], v[20:21]
	v_add_f64_e32 v[14:15], v[14:15], v[24:25]
	v_fma_f64 v[26:27], v[8:9], v[143:144], v[26:27]
	v_fma_f64 v[28:29], v[6:7], v[143:144], -v[28:29]
	ds_load_b128 v[6:9], v1 offset:1520
	s_wait_loadcnt_dscnt 0x201
	v_mul_f64_e32 v[20:21], v[2:3], v[40:41]
	v_mul_f64_e32 v[24:25], v[4:5], v[40:41]
	v_add_f64_e32 v[16:17], v[16:17], v[18:19]
	v_add_f64_e32 v[14:15], v[14:15], v[22:23]
	s_wait_loadcnt_dscnt 0x100
	v_mul_f64_e32 v[18:19], v[6:7], v[141:142]
	v_mul_f64_e32 v[22:23], v[8:9], v[141:142]
	v_fma_f64 v[4:5], v[4:5], v[38:39], v[20:21]
	v_fma_f64 v[1:2], v[2:3], v[38:39], -v[24:25]
	v_add_f64_e32 v[16:17], v[16:17], v[26:27]
	v_add_f64_e32 v[14:15], v[14:15], v[28:29]
	v_fma_f64 v[8:9], v[8:9], v[139:140], v[18:19]
	v_fma_f64 v[6:7], v[6:7], v[139:140], -v[22:23]
	s_delay_alu instid0(VALU_DEP_4) | instskip(NEXT) | instid1(VALU_DEP_4)
	v_add_f64_e32 v[3:4], v[16:17], v[4:5]
	v_add_f64_e32 v[1:2], v[14:15], v[1:2]
	s_delay_alu instid0(VALU_DEP_2) | instskip(NEXT) | instid1(VALU_DEP_2)
	v_add_f64_e32 v[3:4], v[3:4], v[8:9]
	v_add_f64_e32 v[1:2], v[1:2], v[6:7]
	s_wait_loadcnt 0x0
	s_delay_alu instid0(VALU_DEP_2) | instskip(NEXT) | instid1(VALU_DEP_2)
	v_add_f64_e64 v[3:4], v[12:13], -v[3:4]
	v_add_f64_e64 v[1:2], v[10:11], -v[1:2]
	scratch_store_b128 off, v[1:4], off offset:96
	v_cmpx_lt_u32_e32 4, v0
	s_cbranch_execz .LBB47_293
; %bb.292:
	scratch_load_b128 v[1:4], off, s43
	v_mov_b32_e32 v5, 0
	s_delay_alu instid0(VALU_DEP_1)
	v_dual_mov_b32 v6, v5 :: v_dual_mov_b32 v7, v5
	v_mov_b32_e32 v8, v5
	scratch_store_b128 off, v[5:8], off offset:80
	s_wait_loadcnt 0x0
	ds_store_b128 v138, v[1:4]
.LBB47_293:
	s_wait_alu 0xfffe
	s_or_b32 exec_lo, exec_lo, s0
	s_wait_storecnt_dscnt 0x0
	s_barrier_signal -1
	s_barrier_wait -1
	global_inv scope:SCOPE_SE
	s_clause 0x7
	scratch_load_b128 v[2:5], off, off offset:96
	scratch_load_b128 v[6:9], off, off offset:112
	;; [unrolled: 1-line block ×8, first 2 shown]
	v_mov_b32_e32 v1, 0
	s_clause 0x1
	scratch_load_b128 v[34:37], off, off offset:224
	scratch_load_b128 v[143:146], off, off offset:240
	s_mov_b32 s0, exec_lo
	ds_load_b128 v[38:41], v1 offset:848
	ds_load_b128 v[139:142], v1 offset:864
	s_wait_loadcnt_dscnt 0x901
	v_mul_f64_e32 v[147:148], v[40:41], v[4:5]
	v_mul_f64_e32 v[4:5], v[38:39], v[4:5]
	s_wait_loadcnt_dscnt 0x800
	v_mul_f64_e32 v[149:150], v[139:140], v[8:9]
	v_mul_f64_e32 v[8:9], v[141:142], v[8:9]
	s_delay_alu instid0(VALU_DEP_4) | instskip(NEXT) | instid1(VALU_DEP_4)
	v_fma_f64 v[147:148], v[38:39], v[2:3], -v[147:148]
	v_fma_f64 v[151:152], v[40:41], v[2:3], v[4:5]
	ds_load_b128 v[2:5], v1 offset:880
	scratch_load_b128 v[38:41], off, off offset:256
	v_fma_f64 v[149:150], v[141:142], v[6:7], v[149:150]
	v_fma_f64 v[155:156], v[139:140], v[6:7], -v[8:9]
	ds_load_b128 v[6:9], v1 offset:896
	scratch_load_b128 v[139:142], off, off offset:272
	s_wait_loadcnt_dscnt 0x901
	v_mul_f64_e32 v[153:154], v[2:3], v[12:13]
	v_mul_f64_e32 v[12:13], v[4:5], v[12:13]
	s_wait_loadcnt_dscnt 0x800
	v_mul_f64_e32 v[157:158], v[6:7], v[16:17]
	v_mul_f64_e32 v[16:17], v[8:9], v[16:17]
	v_add_f64_e32 v[147:148], 0, v[147:148]
	v_add_f64_e32 v[151:152], 0, v[151:152]
	v_fma_f64 v[153:154], v[4:5], v[10:11], v[153:154]
	v_fma_f64 v[159:160], v[2:3], v[10:11], -v[12:13]
	ds_load_b128 v[2:5], v1 offset:912
	scratch_load_b128 v[10:13], off, off offset:288
	v_add_f64_e32 v[147:148], v[147:148], v[155:156]
	v_add_f64_e32 v[149:150], v[151:152], v[149:150]
	v_fma_f64 v[155:156], v[8:9], v[14:15], v[157:158]
	v_fma_f64 v[157:158], v[6:7], v[14:15], -v[16:17]
	ds_load_b128 v[6:9], v1 offset:928
	scratch_load_b128 v[14:17], off, off offset:304
	s_wait_loadcnt_dscnt 0x901
	v_mul_f64_e32 v[151:152], v[2:3], v[20:21]
	v_mul_f64_e32 v[20:21], v[4:5], v[20:21]
	v_add_f64_e32 v[147:148], v[147:148], v[159:160]
	v_add_f64_e32 v[149:150], v[149:150], v[153:154]
	s_wait_loadcnt_dscnt 0x800
	v_mul_f64_e32 v[153:154], v[6:7], v[24:25]
	v_mul_f64_e32 v[24:25], v[8:9], v[24:25]
	v_fma_f64 v[151:152], v[4:5], v[18:19], v[151:152]
	v_fma_f64 v[159:160], v[2:3], v[18:19], -v[20:21]
	ds_load_b128 v[2:5], v1 offset:944
	scratch_load_b128 v[18:21], off, off offset:320
	v_add_f64_e32 v[147:148], v[147:148], v[157:158]
	v_add_f64_e32 v[149:150], v[149:150], v[155:156]
	v_fma_f64 v[153:154], v[8:9], v[22:23], v[153:154]
	v_fma_f64 v[157:158], v[6:7], v[22:23], -v[24:25]
	ds_load_b128 v[6:9], v1 offset:960
	s_wait_loadcnt_dscnt 0x801
	v_mul_f64_e32 v[155:156], v[2:3], v[28:29]
	v_mul_f64_e32 v[28:29], v[4:5], v[28:29]
	scratch_load_b128 v[22:25], off, off offset:336
	v_add_f64_e32 v[147:148], v[147:148], v[159:160]
	v_add_f64_e32 v[149:150], v[149:150], v[151:152]
	s_wait_loadcnt_dscnt 0x800
	v_mul_f64_e32 v[151:152], v[6:7], v[32:33]
	v_mul_f64_e32 v[32:33], v[8:9], v[32:33]
	v_fma_f64 v[155:156], v[4:5], v[26:27], v[155:156]
	v_fma_f64 v[159:160], v[2:3], v[26:27], -v[28:29]
	ds_load_b128 v[2:5], v1 offset:976
	scratch_load_b128 v[26:29], off, off offset:352
	v_add_f64_e32 v[147:148], v[147:148], v[157:158]
	v_add_f64_e32 v[149:150], v[149:150], v[153:154]
	v_fma_f64 v[151:152], v[8:9], v[30:31], v[151:152]
	v_fma_f64 v[157:158], v[6:7], v[30:31], -v[32:33]
	ds_load_b128 v[6:9], v1 offset:992
	s_wait_loadcnt_dscnt 0x801
	v_mul_f64_e32 v[153:154], v[2:3], v[36:37]
	v_mul_f64_e32 v[36:37], v[4:5], v[36:37]
	scratch_load_b128 v[30:33], off, off offset:368
	v_add_f64_e32 v[147:148], v[147:148], v[159:160]
	v_add_f64_e32 v[149:150], v[149:150], v[155:156]
	s_wait_loadcnt_dscnt 0x800
	v_mul_f64_e32 v[155:156], v[6:7], v[145:146]
	v_mul_f64_e32 v[145:146], v[8:9], v[145:146]
	v_fma_f64 v[153:154], v[4:5], v[34:35], v[153:154]
	v_fma_f64 v[159:160], v[2:3], v[34:35], -v[36:37]
	ds_load_b128 v[2:5], v1 offset:1008
	scratch_load_b128 v[34:37], off, off offset:384
	v_add_f64_e32 v[147:148], v[147:148], v[157:158]
	v_add_f64_e32 v[149:150], v[149:150], v[151:152]
	v_fma_f64 v[155:156], v[8:9], v[143:144], v[155:156]
	v_fma_f64 v[157:158], v[6:7], v[143:144], -v[145:146]
	ds_load_b128 v[6:9], v1 offset:1024
	scratch_load_b128 v[143:146], off, off offset:400
	s_wait_loadcnt_dscnt 0x901
	v_mul_f64_e32 v[151:152], v[2:3], v[40:41]
	v_mul_f64_e32 v[40:41], v[4:5], v[40:41]
	v_add_f64_e32 v[147:148], v[147:148], v[159:160]
	v_add_f64_e32 v[149:150], v[149:150], v[153:154]
	s_wait_loadcnt_dscnt 0x800
	v_mul_f64_e32 v[153:154], v[6:7], v[141:142]
	v_mul_f64_e32 v[141:142], v[8:9], v[141:142]
	v_fma_f64 v[151:152], v[4:5], v[38:39], v[151:152]
	v_fma_f64 v[159:160], v[2:3], v[38:39], -v[40:41]
	ds_load_b128 v[2:5], v1 offset:1040
	scratch_load_b128 v[38:41], off, off offset:416
	v_add_f64_e32 v[147:148], v[147:148], v[157:158]
	v_add_f64_e32 v[149:150], v[149:150], v[155:156]
	v_fma_f64 v[153:154], v[8:9], v[139:140], v[153:154]
	v_fma_f64 v[157:158], v[6:7], v[139:140], -v[141:142]
	ds_load_b128 v[6:9], v1 offset:1056
	s_wait_loadcnt_dscnt 0x801
	v_mul_f64_e32 v[155:156], v[2:3], v[12:13]
	v_mul_f64_e32 v[12:13], v[4:5], v[12:13]
	scratch_load_b128 v[139:142], off, off offset:432
	v_add_f64_e32 v[147:148], v[147:148], v[159:160]
	v_add_f64_e32 v[149:150], v[149:150], v[151:152]
	s_wait_loadcnt_dscnt 0x800
	v_mul_f64_e32 v[151:152], v[6:7], v[16:17]
	v_mul_f64_e32 v[16:17], v[8:9], v[16:17]
	v_fma_f64 v[155:156], v[4:5], v[10:11], v[155:156]
	v_fma_f64 v[159:160], v[2:3], v[10:11], -v[12:13]
	ds_load_b128 v[2:5], v1 offset:1072
	scratch_load_b128 v[10:13], off, off offset:448
	v_add_f64_e32 v[147:148], v[147:148], v[157:158]
	v_add_f64_e32 v[149:150], v[149:150], v[153:154]
	v_fma_f64 v[151:152], v[8:9], v[14:15], v[151:152]
	v_fma_f64 v[157:158], v[6:7], v[14:15], -v[16:17]
	ds_load_b128 v[6:9], v1 offset:1088
	s_wait_loadcnt_dscnt 0x801
	v_mul_f64_e32 v[153:154], v[2:3], v[20:21]
	v_mul_f64_e32 v[20:21], v[4:5], v[20:21]
	scratch_load_b128 v[14:17], off, off offset:464
	;; [unrolled: 18-line block ×11, first 2 shown]
	v_add_f64_e32 v[147:148], v[147:148], v[159:160]
	v_add_f64_e32 v[149:150], v[149:150], v[155:156]
	s_wait_loadcnt_dscnt 0x800
	v_mul_f64_e32 v[155:156], v[6:7], v[16:17]
	v_mul_f64_e32 v[16:17], v[8:9], v[16:17]
	v_fma_f64 v[153:154], v[4:5], v[10:11], v[153:154]
	v_fma_f64 v[159:160], v[2:3], v[10:11], -v[12:13]
	ds_load_b128 v[2:5], v1 offset:1392
	scratch_load_b128 v[10:13], off, off offset:768
	v_add_f64_e32 v[147:148], v[147:148], v[157:158]
	v_add_f64_e32 v[149:150], v[149:150], v[151:152]
	v_fma_f64 v[155:156], v[8:9], v[14:15], v[155:156]
	v_fma_f64 v[14:15], v[6:7], v[14:15], -v[16:17]
	ds_load_b128 v[6:9], v1 offset:1408
	s_wait_loadcnt_dscnt 0x801
	v_mul_f64_e32 v[151:152], v[2:3], v[20:21]
	v_mul_f64_e32 v[20:21], v[4:5], v[20:21]
	v_add_f64_e32 v[16:17], v[147:148], v[159:160]
	v_add_f64_e32 v[147:148], v[149:150], v[153:154]
	s_wait_loadcnt_dscnt 0x700
	v_mul_f64_e32 v[149:150], v[6:7], v[24:25]
	v_mul_f64_e32 v[24:25], v[8:9], v[24:25]
	v_fma_f64 v[151:152], v[4:5], v[18:19], v[151:152]
	v_fma_f64 v[18:19], v[2:3], v[18:19], -v[20:21]
	ds_load_b128 v[2:5], v1 offset:1424
	v_add_f64_e32 v[14:15], v[16:17], v[14:15]
	v_add_f64_e32 v[16:17], v[147:148], v[155:156]
	v_fma_f64 v[147:148], v[8:9], v[22:23], v[149:150]
	v_fma_f64 v[22:23], v[6:7], v[22:23], -v[24:25]
	ds_load_b128 v[6:9], v1 offset:1440
	s_wait_loadcnt_dscnt 0x500
	v_mul_f64_e32 v[149:150], v[6:7], v[32:33]
	v_mul_f64_e32 v[32:33], v[8:9], v[32:33]
	v_add_f64_e32 v[18:19], v[14:15], v[18:19]
	v_add_f64_e32 v[24:25], v[16:17], v[151:152]
	scratch_load_b128 v[14:17], off, off offset:80
	v_mul_f64_e32 v[20:21], v[2:3], v[28:29]
	v_mul_f64_e32 v[28:29], v[4:5], v[28:29]
	v_add_f64_e32 v[18:19], v[18:19], v[22:23]
	v_add_f64_e32 v[22:23], v[24:25], v[147:148]
	s_delay_alu instid0(VALU_DEP_4) | instskip(NEXT) | instid1(VALU_DEP_4)
	v_fma_f64 v[20:21], v[4:5], v[26:27], v[20:21]
	v_fma_f64 v[26:27], v[2:3], v[26:27], -v[28:29]
	ds_load_b128 v[2:5], v1 offset:1456
	s_wait_loadcnt_dscnt 0x500
	v_mul_f64_e32 v[24:25], v[2:3], v[36:37]
	v_mul_f64_e32 v[28:29], v[4:5], v[36:37]
	v_fma_f64 v[36:37], v[8:9], v[30:31], v[149:150]
	v_fma_f64 v[30:31], v[6:7], v[30:31], -v[32:33]
	ds_load_b128 v[6:9], v1 offset:1472
	v_add_f64_e32 v[20:21], v[22:23], v[20:21]
	v_add_f64_e32 v[18:19], v[18:19], v[26:27]
	v_fma_f64 v[24:25], v[4:5], v[34:35], v[24:25]
	v_fma_f64 v[28:29], v[2:3], v[34:35], -v[28:29]
	ds_load_b128 v[2:5], v1 offset:1488
	s_wait_loadcnt_dscnt 0x401
	v_mul_f64_e32 v[22:23], v[6:7], v[145:146]
	v_mul_f64_e32 v[26:27], v[8:9], v[145:146]
	v_add_f64_e32 v[20:21], v[20:21], v[36:37]
	v_add_f64_e32 v[18:19], v[18:19], v[30:31]
	s_wait_loadcnt_dscnt 0x300
	v_mul_f64_e32 v[30:31], v[2:3], v[40:41]
	v_mul_f64_e32 v[32:33], v[4:5], v[40:41]
	v_fma_f64 v[22:23], v[8:9], v[143:144], v[22:23]
	v_fma_f64 v[26:27], v[6:7], v[143:144], -v[26:27]
	ds_load_b128 v[6:9], v1 offset:1504
	v_add_f64_e32 v[20:21], v[20:21], v[24:25]
	v_add_f64_e32 v[18:19], v[18:19], v[28:29]
	v_fma_f64 v[30:31], v[4:5], v[38:39], v[30:31]
	v_fma_f64 v[32:33], v[2:3], v[38:39], -v[32:33]
	ds_load_b128 v[2:5], v1 offset:1520
	s_wait_loadcnt_dscnt 0x201
	v_mul_f64_e32 v[24:25], v[6:7], v[141:142]
	v_mul_f64_e32 v[28:29], v[8:9], v[141:142]
	v_add_f64_e32 v[20:21], v[20:21], v[22:23]
	v_add_f64_e32 v[18:19], v[18:19], v[26:27]
	s_wait_loadcnt_dscnt 0x100
	v_mul_f64_e32 v[22:23], v[2:3], v[12:13]
	v_mul_f64_e32 v[12:13], v[4:5], v[12:13]
	v_fma_f64 v[8:9], v[8:9], v[139:140], v[24:25]
	v_fma_f64 v[6:7], v[6:7], v[139:140], -v[28:29]
	v_add_f64_e32 v[20:21], v[20:21], v[30:31]
	v_add_f64_e32 v[18:19], v[18:19], v[32:33]
	v_fma_f64 v[4:5], v[4:5], v[10:11], v[22:23]
	v_fma_f64 v[2:3], v[2:3], v[10:11], -v[12:13]
	s_delay_alu instid0(VALU_DEP_4) | instskip(NEXT) | instid1(VALU_DEP_4)
	v_add_f64_e32 v[8:9], v[20:21], v[8:9]
	v_add_f64_e32 v[6:7], v[18:19], v[6:7]
	s_delay_alu instid0(VALU_DEP_2) | instskip(NEXT) | instid1(VALU_DEP_2)
	v_add_f64_e32 v[4:5], v[8:9], v[4:5]
	v_add_f64_e32 v[2:3], v[6:7], v[2:3]
	s_wait_loadcnt 0x0
	s_delay_alu instid0(VALU_DEP_2) | instskip(NEXT) | instid1(VALU_DEP_2)
	v_add_f64_e64 v[4:5], v[16:17], -v[4:5]
	v_add_f64_e64 v[2:3], v[14:15], -v[2:3]
	scratch_store_b128 off, v[2:5], off offset:80
	v_cmpx_lt_u32_e32 3, v0
	s_cbranch_execz .LBB47_295
; %bb.294:
	scratch_load_b128 v[5:8], off, s44
	v_dual_mov_b32 v2, v1 :: v_dual_mov_b32 v3, v1
	v_mov_b32_e32 v4, v1
	scratch_store_b128 off, v[1:4], off offset:64
	s_wait_loadcnt 0x0
	ds_store_b128 v138, v[5:8]
.LBB47_295:
	s_wait_alu 0xfffe
	s_or_b32 exec_lo, exec_lo, s0
	s_wait_storecnt_dscnt 0x0
	s_barrier_signal -1
	s_barrier_wait -1
	global_inv scope:SCOPE_SE
	s_clause 0x7
	scratch_load_b128 v[2:5], off, off offset:80
	scratch_load_b128 v[6:9], off, off offset:96
	;; [unrolled: 1-line block ×8, first 2 shown]
	ds_load_b128 v[38:41], v1 offset:832
	ds_load_b128 v[139:142], v1 offset:848
	s_clause 0x1
	scratch_load_b128 v[34:37], off, off offset:208
	scratch_load_b128 v[143:146], off, off offset:224
	s_mov_b32 s0, exec_lo
	s_wait_loadcnt_dscnt 0x901
	v_mul_f64_e32 v[147:148], v[40:41], v[4:5]
	v_mul_f64_e32 v[4:5], v[38:39], v[4:5]
	s_wait_loadcnt_dscnt 0x800
	v_mul_f64_e32 v[149:150], v[139:140], v[8:9]
	v_mul_f64_e32 v[8:9], v[141:142], v[8:9]
	s_delay_alu instid0(VALU_DEP_4) | instskip(NEXT) | instid1(VALU_DEP_4)
	v_fma_f64 v[147:148], v[38:39], v[2:3], -v[147:148]
	v_fma_f64 v[151:152], v[40:41], v[2:3], v[4:5]
	ds_load_b128 v[2:5], v1 offset:864
	scratch_load_b128 v[38:41], off, off offset:240
	v_fma_f64 v[149:150], v[141:142], v[6:7], v[149:150]
	v_fma_f64 v[155:156], v[139:140], v[6:7], -v[8:9]
	ds_load_b128 v[6:9], v1 offset:880
	scratch_load_b128 v[139:142], off, off offset:256
	s_wait_loadcnt_dscnt 0x901
	v_mul_f64_e32 v[153:154], v[2:3], v[12:13]
	v_mul_f64_e32 v[12:13], v[4:5], v[12:13]
	s_wait_loadcnt_dscnt 0x800
	v_mul_f64_e32 v[157:158], v[6:7], v[16:17]
	v_mul_f64_e32 v[16:17], v[8:9], v[16:17]
	v_add_f64_e32 v[147:148], 0, v[147:148]
	v_add_f64_e32 v[151:152], 0, v[151:152]
	v_fma_f64 v[153:154], v[4:5], v[10:11], v[153:154]
	v_fma_f64 v[159:160], v[2:3], v[10:11], -v[12:13]
	ds_load_b128 v[2:5], v1 offset:896
	scratch_load_b128 v[10:13], off, off offset:272
	v_add_f64_e32 v[147:148], v[147:148], v[155:156]
	v_add_f64_e32 v[149:150], v[151:152], v[149:150]
	v_fma_f64 v[155:156], v[8:9], v[14:15], v[157:158]
	v_fma_f64 v[157:158], v[6:7], v[14:15], -v[16:17]
	ds_load_b128 v[6:9], v1 offset:912
	scratch_load_b128 v[14:17], off, off offset:288
	s_wait_loadcnt_dscnt 0x901
	v_mul_f64_e32 v[151:152], v[2:3], v[20:21]
	v_mul_f64_e32 v[20:21], v[4:5], v[20:21]
	v_add_f64_e32 v[147:148], v[147:148], v[159:160]
	v_add_f64_e32 v[149:150], v[149:150], v[153:154]
	s_wait_loadcnt_dscnt 0x800
	v_mul_f64_e32 v[153:154], v[6:7], v[24:25]
	v_mul_f64_e32 v[24:25], v[8:9], v[24:25]
	v_fma_f64 v[151:152], v[4:5], v[18:19], v[151:152]
	v_fma_f64 v[159:160], v[2:3], v[18:19], -v[20:21]
	ds_load_b128 v[2:5], v1 offset:928
	scratch_load_b128 v[18:21], off, off offset:304
	v_add_f64_e32 v[147:148], v[147:148], v[157:158]
	v_add_f64_e32 v[149:150], v[149:150], v[155:156]
	v_fma_f64 v[153:154], v[8:9], v[22:23], v[153:154]
	v_fma_f64 v[157:158], v[6:7], v[22:23], -v[24:25]
	ds_load_b128 v[6:9], v1 offset:944
	s_wait_loadcnt_dscnt 0x801
	v_mul_f64_e32 v[155:156], v[2:3], v[28:29]
	v_mul_f64_e32 v[28:29], v[4:5], v[28:29]
	scratch_load_b128 v[22:25], off, off offset:320
	v_add_f64_e32 v[147:148], v[147:148], v[159:160]
	v_add_f64_e32 v[149:150], v[149:150], v[151:152]
	s_wait_loadcnt_dscnt 0x800
	v_mul_f64_e32 v[151:152], v[6:7], v[32:33]
	v_mul_f64_e32 v[32:33], v[8:9], v[32:33]
	v_fma_f64 v[155:156], v[4:5], v[26:27], v[155:156]
	v_fma_f64 v[159:160], v[2:3], v[26:27], -v[28:29]
	ds_load_b128 v[2:5], v1 offset:960
	scratch_load_b128 v[26:29], off, off offset:336
	v_add_f64_e32 v[147:148], v[147:148], v[157:158]
	v_add_f64_e32 v[149:150], v[149:150], v[153:154]
	v_fma_f64 v[151:152], v[8:9], v[30:31], v[151:152]
	v_fma_f64 v[157:158], v[6:7], v[30:31], -v[32:33]
	ds_load_b128 v[6:9], v1 offset:976
	s_wait_loadcnt_dscnt 0x801
	v_mul_f64_e32 v[153:154], v[2:3], v[36:37]
	v_mul_f64_e32 v[36:37], v[4:5], v[36:37]
	scratch_load_b128 v[30:33], off, off offset:352
	v_add_f64_e32 v[147:148], v[147:148], v[159:160]
	v_add_f64_e32 v[149:150], v[149:150], v[155:156]
	s_wait_loadcnt_dscnt 0x800
	v_mul_f64_e32 v[155:156], v[6:7], v[145:146]
	v_mul_f64_e32 v[145:146], v[8:9], v[145:146]
	v_fma_f64 v[153:154], v[4:5], v[34:35], v[153:154]
	v_fma_f64 v[159:160], v[2:3], v[34:35], -v[36:37]
	ds_load_b128 v[2:5], v1 offset:992
	scratch_load_b128 v[34:37], off, off offset:368
	v_add_f64_e32 v[147:148], v[147:148], v[157:158]
	v_add_f64_e32 v[149:150], v[149:150], v[151:152]
	v_fma_f64 v[155:156], v[8:9], v[143:144], v[155:156]
	v_fma_f64 v[157:158], v[6:7], v[143:144], -v[145:146]
	ds_load_b128 v[6:9], v1 offset:1008
	scratch_load_b128 v[143:146], off, off offset:384
	s_wait_loadcnt_dscnt 0x901
	v_mul_f64_e32 v[151:152], v[2:3], v[40:41]
	v_mul_f64_e32 v[40:41], v[4:5], v[40:41]
	v_add_f64_e32 v[147:148], v[147:148], v[159:160]
	v_add_f64_e32 v[149:150], v[149:150], v[153:154]
	s_wait_loadcnt_dscnt 0x800
	v_mul_f64_e32 v[153:154], v[6:7], v[141:142]
	v_mul_f64_e32 v[141:142], v[8:9], v[141:142]
	v_fma_f64 v[151:152], v[4:5], v[38:39], v[151:152]
	v_fma_f64 v[159:160], v[2:3], v[38:39], -v[40:41]
	ds_load_b128 v[2:5], v1 offset:1024
	scratch_load_b128 v[38:41], off, off offset:400
	v_add_f64_e32 v[147:148], v[147:148], v[157:158]
	v_add_f64_e32 v[149:150], v[149:150], v[155:156]
	v_fma_f64 v[153:154], v[8:9], v[139:140], v[153:154]
	v_fma_f64 v[157:158], v[6:7], v[139:140], -v[141:142]
	ds_load_b128 v[6:9], v1 offset:1040
	s_wait_loadcnt_dscnt 0x801
	v_mul_f64_e32 v[155:156], v[2:3], v[12:13]
	v_mul_f64_e32 v[12:13], v[4:5], v[12:13]
	scratch_load_b128 v[139:142], off, off offset:416
	v_add_f64_e32 v[147:148], v[147:148], v[159:160]
	v_add_f64_e32 v[149:150], v[149:150], v[151:152]
	s_wait_loadcnt_dscnt 0x800
	v_mul_f64_e32 v[151:152], v[6:7], v[16:17]
	v_mul_f64_e32 v[16:17], v[8:9], v[16:17]
	v_fma_f64 v[155:156], v[4:5], v[10:11], v[155:156]
	v_fma_f64 v[159:160], v[2:3], v[10:11], -v[12:13]
	ds_load_b128 v[2:5], v1 offset:1056
	scratch_load_b128 v[10:13], off, off offset:432
	v_add_f64_e32 v[147:148], v[147:148], v[157:158]
	v_add_f64_e32 v[149:150], v[149:150], v[153:154]
	v_fma_f64 v[151:152], v[8:9], v[14:15], v[151:152]
	v_fma_f64 v[157:158], v[6:7], v[14:15], -v[16:17]
	ds_load_b128 v[6:9], v1 offset:1072
	s_wait_loadcnt_dscnt 0x801
	v_mul_f64_e32 v[153:154], v[2:3], v[20:21]
	v_mul_f64_e32 v[20:21], v[4:5], v[20:21]
	scratch_load_b128 v[14:17], off, off offset:448
	;; [unrolled: 18-line block ×12, first 2 shown]
	v_add_f64_e32 v[147:148], v[147:148], v[159:160]
	v_add_f64_e32 v[149:150], v[149:150], v[153:154]
	s_wait_loadcnt_dscnt 0x800
	v_mul_f64_e32 v[153:154], v[6:7], v[24:25]
	v_mul_f64_e32 v[24:25], v[8:9], v[24:25]
	v_fma_f64 v[151:152], v[4:5], v[18:19], v[151:152]
	v_fma_f64 v[18:19], v[2:3], v[18:19], -v[20:21]
	ds_load_b128 v[2:5], v1 offset:1408
	v_add_f64_e32 v[20:21], v[147:148], v[157:158]
	v_add_f64_e32 v[147:148], v[149:150], v[155:156]
	v_fma_f64 v[153:154], v[8:9], v[22:23], v[153:154]
	v_fma_f64 v[22:23], v[6:7], v[22:23], -v[24:25]
	ds_load_b128 v[6:9], v1 offset:1424
	s_wait_loadcnt_dscnt 0x701
	v_mul_f64_e32 v[149:150], v[2:3], v[28:29]
	v_mul_f64_e32 v[28:29], v[4:5], v[28:29]
	v_add_f64_e32 v[18:19], v[20:21], v[18:19]
	v_add_f64_e32 v[20:21], v[147:148], v[151:152]
	s_delay_alu instid0(VALU_DEP_4) | instskip(NEXT) | instid1(VALU_DEP_4)
	v_fma_f64 v[147:148], v[4:5], v[26:27], v[149:150]
	v_fma_f64 v[26:27], v[2:3], v[26:27], -v[28:29]
	ds_load_b128 v[2:5], v1 offset:1440
	v_add_f64_e32 v[22:23], v[18:19], v[22:23]
	v_add_f64_e32 v[28:29], v[20:21], v[153:154]
	scratch_load_b128 v[18:21], off, off offset:64
	s_wait_loadcnt_dscnt 0x701
	v_mul_f64_e32 v[24:25], v[6:7], v[32:33]
	v_mul_f64_e32 v[32:33], v[8:9], v[32:33]
	v_add_f64_e32 v[22:23], v[22:23], v[26:27]
	v_add_f64_e32 v[26:27], v[28:29], v[147:148]
	s_delay_alu instid0(VALU_DEP_4) | instskip(NEXT) | instid1(VALU_DEP_4)
	v_fma_f64 v[24:25], v[8:9], v[30:31], v[24:25]
	v_fma_f64 v[30:31], v[6:7], v[30:31], -v[32:33]
	ds_load_b128 v[6:9], v1 offset:1456
	s_wait_loadcnt_dscnt 0x601
	v_mul_f64_e32 v[149:150], v[2:3], v[36:37]
	v_mul_f64_e32 v[36:37], v[4:5], v[36:37]
	s_wait_loadcnt_dscnt 0x500
	v_mul_f64_e32 v[28:29], v[6:7], v[145:146]
	v_mul_f64_e32 v[32:33], v[8:9], v[145:146]
	v_add_f64_e32 v[24:25], v[26:27], v[24:25]
	v_add_f64_e32 v[22:23], v[22:23], v[30:31]
	v_fma_f64 v[145:146], v[4:5], v[34:35], v[149:150]
	v_fma_f64 v[34:35], v[2:3], v[34:35], -v[36:37]
	ds_load_b128 v[2:5], v1 offset:1472
	v_fma_f64 v[28:29], v[8:9], v[143:144], v[28:29]
	v_fma_f64 v[32:33], v[6:7], v[143:144], -v[32:33]
	ds_load_b128 v[6:9], v1 offset:1488
	s_wait_loadcnt_dscnt 0x401
	v_mul_f64_e32 v[26:27], v[2:3], v[40:41]
	v_mul_f64_e32 v[30:31], v[4:5], v[40:41]
	v_add_f64_e32 v[24:25], v[24:25], v[145:146]
	v_add_f64_e32 v[22:23], v[22:23], v[34:35]
	s_wait_loadcnt_dscnt 0x300
	v_mul_f64_e32 v[34:35], v[6:7], v[141:142]
	v_mul_f64_e32 v[36:37], v[8:9], v[141:142]
	v_fma_f64 v[26:27], v[4:5], v[38:39], v[26:27]
	v_fma_f64 v[30:31], v[2:3], v[38:39], -v[30:31]
	ds_load_b128 v[2:5], v1 offset:1504
	v_add_f64_e32 v[24:25], v[24:25], v[28:29]
	v_add_f64_e32 v[22:23], v[22:23], v[32:33]
	v_fma_f64 v[32:33], v[8:9], v[139:140], v[34:35]
	v_fma_f64 v[34:35], v[6:7], v[139:140], -v[36:37]
	ds_load_b128 v[6:9], v1 offset:1520
	s_wait_loadcnt_dscnt 0x201
	v_mul_f64_e32 v[28:29], v[2:3], v[12:13]
	v_mul_f64_e32 v[12:13], v[4:5], v[12:13]
	v_add_f64_e32 v[24:25], v[24:25], v[26:27]
	v_add_f64_e32 v[22:23], v[22:23], v[30:31]
	s_wait_loadcnt_dscnt 0x100
	v_mul_f64_e32 v[26:27], v[6:7], v[16:17]
	v_mul_f64_e32 v[16:17], v[8:9], v[16:17]
	v_fma_f64 v[4:5], v[4:5], v[10:11], v[28:29]
	v_fma_f64 v[1:2], v[2:3], v[10:11], -v[12:13]
	v_add_f64_e32 v[12:13], v[24:25], v[32:33]
	v_add_f64_e32 v[10:11], v[22:23], v[34:35]
	v_fma_f64 v[8:9], v[8:9], v[14:15], v[26:27]
	v_fma_f64 v[6:7], v[6:7], v[14:15], -v[16:17]
	s_delay_alu instid0(VALU_DEP_4) | instskip(NEXT) | instid1(VALU_DEP_4)
	v_add_f64_e32 v[3:4], v[12:13], v[4:5]
	v_add_f64_e32 v[1:2], v[10:11], v[1:2]
	s_delay_alu instid0(VALU_DEP_2) | instskip(NEXT) | instid1(VALU_DEP_2)
	v_add_f64_e32 v[3:4], v[3:4], v[8:9]
	v_add_f64_e32 v[1:2], v[1:2], v[6:7]
	s_wait_loadcnt 0x0
	s_delay_alu instid0(VALU_DEP_2) | instskip(NEXT) | instid1(VALU_DEP_2)
	v_add_f64_e64 v[3:4], v[20:21], -v[3:4]
	v_add_f64_e64 v[1:2], v[18:19], -v[1:2]
	scratch_store_b128 off, v[1:4], off offset:64
	v_cmpx_lt_u32_e32 2, v0
	s_cbranch_execz .LBB47_297
; %bb.296:
	scratch_load_b128 v[1:4], off, s45
	v_mov_b32_e32 v5, 0
	s_delay_alu instid0(VALU_DEP_1)
	v_dual_mov_b32 v6, v5 :: v_dual_mov_b32 v7, v5
	v_mov_b32_e32 v8, v5
	scratch_store_b128 off, v[5:8], off offset:48
	s_wait_loadcnt 0x0
	ds_store_b128 v138, v[1:4]
.LBB47_297:
	s_wait_alu 0xfffe
	s_or_b32 exec_lo, exec_lo, s0
	s_wait_storecnt_dscnt 0x0
	s_barrier_signal -1
	s_barrier_wait -1
	global_inv scope:SCOPE_SE
	s_clause 0x7
	scratch_load_b128 v[2:5], off, off offset:64
	scratch_load_b128 v[6:9], off, off offset:80
	;; [unrolled: 1-line block ×8, first 2 shown]
	v_mov_b32_e32 v1, 0
	s_clause 0x1
	scratch_load_b128 v[34:37], off, off offset:192
	scratch_load_b128 v[143:146], off, off offset:208
	s_mov_b32 s0, exec_lo
	ds_load_b128 v[38:41], v1 offset:816
	ds_load_b128 v[139:142], v1 offset:832
	s_wait_loadcnt_dscnt 0x901
	v_mul_f64_e32 v[147:148], v[40:41], v[4:5]
	v_mul_f64_e32 v[4:5], v[38:39], v[4:5]
	s_wait_loadcnt_dscnt 0x800
	v_mul_f64_e32 v[149:150], v[139:140], v[8:9]
	v_mul_f64_e32 v[8:9], v[141:142], v[8:9]
	s_delay_alu instid0(VALU_DEP_4) | instskip(NEXT) | instid1(VALU_DEP_4)
	v_fma_f64 v[147:148], v[38:39], v[2:3], -v[147:148]
	v_fma_f64 v[151:152], v[40:41], v[2:3], v[4:5]
	ds_load_b128 v[2:5], v1 offset:848
	scratch_load_b128 v[38:41], off, off offset:224
	v_fma_f64 v[149:150], v[141:142], v[6:7], v[149:150]
	v_fma_f64 v[155:156], v[139:140], v[6:7], -v[8:9]
	ds_load_b128 v[6:9], v1 offset:864
	scratch_load_b128 v[139:142], off, off offset:240
	s_wait_loadcnt_dscnt 0x901
	v_mul_f64_e32 v[153:154], v[2:3], v[12:13]
	v_mul_f64_e32 v[12:13], v[4:5], v[12:13]
	s_wait_loadcnt_dscnt 0x800
	v_mul_f64_e32 v[157:158], v[6:7], v[16:17]
	v_mul_f64_e32 v[16:17], v[8:9], v[16:17]
	v_add_f64_e32 v[147:148], 0, v[147:148]
	v_add_f64_e32 v[151:152], 0, v[151:152]
	v_fma_f64 v[153:154], v[4:5], v[10:11], v[153:154]
	v_fma_f64 v[159:160], v[2:3], v[10:11], -v[12:13]
	ds_load_b128 v[2:5], v1 offset:880
	scratch_load_b128 v[10:13], off, off offset:256
	v_add_f64_e32 v[147:148], v[147:148], v[155:156]
	v_add_f64_e32 v[149:150], v[151:152], v[149:150]
	v_fma_f64 v[155:156], v[8:9], v[14:15], v[157:158]
	v_fma_f64 v[157:158], v[6:7], v[14:15], -v[16:17]
	ds_load_b128 v[6:9], v1 offset:896
	scratch_load_b128 v[14:17], off, off offset:272
	s_wait_loadcnt_dscnt 0x901
	v_mul_f64_e32 v[151:152], v[2:3], v[20:21]
	v_mul_f64_e32 v[20:21], v[4:5], v[20:21]
	v_add_f64_e32 v[147:148], v[147:148], v[159:160]
	v_add_f64_e32 v[149:150], v[149:150], v[153:154]
	s_wait_loadcnt_dscnt 0x800
	v_mul_f64_e32 v[153:154], v[6:7], v[24:25]
	v_mul_f64_e32 v[24:25], v[8:9], v[24:25]
	v_fma_f64 v[151:152], v[4:5], v[18:19], v[151:152]
	v_fma_f64 v[159:160], v[2:3], v[18:19], -v[20:21]
	ds_load_b128 v[2:5], v1 offset:912
	scratch_load_b128 v[18:21], off, off offset:288
	v_add_f64_e32 v[147:148], v[147:148], v[157:158]
	v_add_f64_e32 v[149:150], v[149:150], v[155:156]
	v_fma_f64 v[153:154], v[8:9], v[22:23], v[153:154]
	v_fma_f64 v[157:158], v[6:7], v[22:23], -v[24:25]
	ds_load_b128 v[6:9], v1 offset:928
	s_wait_loadcnt_dscnt 0x801
	v_mul_f64_e32 v[155:156], v[2:3], v[28:29]
	v_mul_f64_e32 v[28:29], v[4:5], v[28:29]
	scratch_load_b128 v[22:25], off, off offset:304
	v_add_f64_e32 v[147:148], v[147:148], v[159:160]
	v_add_f64_e32 v[149:150], v[149:150], v[151:152]
	s_wait_loadcnt_dscnt 0x800
	v_mul_f64_e32 v[151:152], v[6:7], v[32:33]
	v_mul_f64_e32 v[32:33], v[8:9], v[32:33]
	v_fma_f64 v[155:156], v[4:5], v[26:27], v[155:156]
	v_fma_f64 v[159:160], v[2:3], v[26:27], -v[28:29]
	ds_load_b128 v[2:5], v1 offset:944
	scratch_load_b128 v[26:29], off, off offset:320
	v_add_f64_e32 v[147:148], v[147:148], v[157:158]
	v_add_f64_e32 v[149:150], v[149:150], v[153:154]
	v_fma_f64 v[151:152], v[8:9], v[30:31], v[151:152]
	v_fma_f64 v[157:158], v[6:7], v[30:31], -v[32:33]
	ds_load_b128 v[6:9], v1 offset:960
	s_wait_loadcnt_dscnt 0x801
	v_mul_f64_e32 v[153:154], v[2:3], v[36:37]
	v_mul_f64_e32 v[36:37], v[4:5], v[36:37]
	scratch_load_b128 v[30:33], off, off offset:336
	v_add_f64_e32 v[147:148], v[147:148], v[159:160]
	v_add_f64_e32 v[149:150], v[149:150], v[155:156]
	s_wait_loadcnt_dscnt 0x800
	v_mul_f64_e32 v[155:156], v[6:7], v[145:146]
	v_mul_f64_e32 v[145:146], v[8:9], v[145:146]
	v_fma_f64 v[153:154], v[4:5], v[34:35], v[153:154]
	v_fma_f64 v[159:160], v[2:3], v[34:35], -v[36:37]
	ds_load_b128 v[2:5], v1 offset:976
	scratch_load_b128 v[34:37], off, off offset:352
	v_add_f64_e32 v[147:148], v[147:148], v[157:158]
	v_add_f64_e32 v[149:150], v[149:150], v[151:152]
	v_fma_f64 v[155:156], v[8:9], v[143:144], v[155:156]
	v_fma_f64 v[157:158], v[6:7], v[143:144], -v[145:146]
	ds_load_b128 v[6:9], v1 offset:992
	scratch_load_b128 v[143:146], off, off offset:368
	s_wait_loadcnt_dscnt 0x901
	v_mul_f64_e32 v[151:152], v[2:3], v[40:41]
	v_mul_f64_e32 v[40:41], v[4:5], v[40:41]
	v_add_f64_e32 v[147:148], v[147:148], v[159:160]
	v_add_f64_e32 v[149:150], v[149:150], v[153:154]
	s_wait_loadcnt_dscnt 0x800
	v_mul_f64_e32 v[153:154], v[6:7], v[141:142]
	v_mul_f64_e32 v[141:142], v[8:9], v[141:142]
	v_fma_f64 v[151:152], v[4:5], v[38:39], v[151:152]
	v_fma_f64 v[159:160], v[2:3], v[38:39], -v[40:41]
	ds_load_b128 v[2:5], v1 offset:1008
	scratch_load_b128 v[38:41], off, off offset:384
	v_add_f64_e32 v[147:148], v[147:148], v[157:158]
	v_add_f64_e32 v[149:150], v[149:150], v[155:156]
	v_fma_f64 v[153:154], v[8:9], v[139:140], v[153:154]
	v_fma_f64 v[157:158], v[6:7], v[139:140], -v[141:142]
	ds_load_b128 v[6:9], v1 offset:1024
	s_wait_loadcnt_dscnt 0x801
	v_mul_f64_e32 v[155:156], v[2:3], v[12:13]
	v_mul_f64_e32 v[12:13], v[4:5], v[12:13]
	scratch_load_b128 v[139:142], off, off offset:400
	v_add_f64_e32 v[147:148], v[147:148], v[159:160]
	v_add_f64_e32 v[149:150], v[149:150], v[151:152]
	s_wait_loadcnt_dscnt 0x800
	v_mul_f64_e32 v[151:152], v[6:7], v[16:17]
	v_mul_f64_e32 v[16:17], v[8:9], v[16:17]
	v_fma_f64 v[155:156], v[4:5], v[10:11], v[155:156]
	v_fma_f64 v[159:160], v[2:3], v[10:11], -v[12:13]
	ds_load_b128 v[2:5], v1 offset:1040
	scratch_load_b128 v[10:13], off, off offset:416
	v_add_f64_e32 v[147:148], v[147:148], v[157:158]
	v_add_f64_e32 v[149:150], v[149:150], v[153:154]
	v_fma_f64 v[151:152], v[8:9], v[14:15], v[151:152]
	v_fma_f64 v[157:158], v[6:7], v[14:15], -v[16:17]
	ds_load_b128 v[6:9], v1 offset:1056
	s_wait_loadcnt_dscnt 0x801
	v_mul_f64_e32 v[153:154], v[2:3], v[20:21]
	v_mul_f64_e32 v[20:21], v[4:5], v[20:21]
	scratch_load_b128 v[14:17], off, off offset:432
	;; [unrolled: 18-line block ×12, first 2 shown]
	v_add_f64_e32 v[147:148], v[147:148], v[159:160]
	v_add_f64_e32 v[149:150], v[149:150], v[153:154]
	s_wait_loadcnt_dscnt 0x800
	v_mul_f64_e32 v[153:154], v[6:7], v[24:25]
	v_mul_f64_e32 v[24:25], v[8:9], v[24:25]
	v_fma_f64 v[151:152], v[4:5], v[18:19], v[151:152]
	v_fma_f64 v[159:160], v[2:3], v[18:19], -v[20:21]
	ds_load_b128 v[2:5], v1 offset:1392
	scratch_load_b128 v[18:21], off, off offset:768
	v_add_f64_e32 v[147:148], v[147:148], v[157:158]
	v_add_f64_e32 v[149:150], v[149:150], v[155:156]
	v_fma_f64 v[153:154], v[8:9], v[22:23], v[153:154]
	v_fma_f64 v[22:23], v[6:7], v[22:23], -v[24:25]
	ds_load_b128 v[6:9], v1 offset:1408
	s_wait_loadcnt_dscnt 0x801
	v_mul_f64_e32 v[155:156], v[2:3], v[28:29]
	v_mul_f64_e32 v[28:29], v[4:5], v[28:29]
	v_add_f64_e32 v[24:25], v[147:148], v[159:160]
	v_add_f64_e32 v[147:148], v[149:150], v[151:152]
	s_wait_loadcnt_dscnt 0x700
	v_mul_f64_e32 v[149:150], v[6:7], v[32:33]
	v_mul_f64_e32 v[32:33], v[8:9], v[32:33]
	v_fma_f64 v[151:152], v[4:5], v[26:27], v[155:156]
	v_fma_f64 v[26:27], v[2:3], v[26:27], -v[28:29]
	ds_load_b128 v[2:5], v1 offset:1424
	v_add_f64_e32 v[22:23], v[24:25], v[22:23]
	v_add_f64_e32 v[24:25], v[147:148], v[153:154]
	v_fma_f64 v[147:148], v[8:9], v[30:31], v[149:150]
	v_fma_f64 v[30:31], v[6:7], v[30:31], -v[32:33]
	ds_load_b128 v[6:9], v1 offset:1440
	s_wait_loadcnt_dscnt 0x500
	v_mul_f64_e32 v[149:150], v[6:7], v[145:146]
	v_mul_f64_e32 v[145:146], v[8:9], v[145:146]
	v_add_f64_e32 v[26:27], v[22:23], v[26:27]
	v_add_f64_e32 v[32:33], v[24:25], v[151:152]
	scratch_load_b128 v[22:25], off, off offset:48
	v_mul_f64_e32 v[28:29], v[2:3], v[36:37]
	v_mul_f64_e32 v[36:37], v[4:5], v[36:37]
	v_add_f64_e32 v[26:27], v[26:27], v[30:31]
	v_add_f64_e32 v[30:31], v[32:33], v[147:148]
	s_delay_alu instid0(VALU_DEP_4) | instskip(NEXT) | instid1(VALU_DEP_4)
	v_fma_f64 v[28:29], v[4:5], v[34:35], v[28:29]
	v_fma_f64 v[34:35], v[2:3], v[34:35], -v[36:37]
	ds_load_b128 v[2:5], v1 offset:1456
	s_wait_loadcnt_dscnt 0x500
	v_mul_f64_e32 v[32:33], v[2:3], v[40:41]
	v_mul_f64_e32 v[36:37], v[4:5], v[40:41]
	v_fma_f64 v[40:41], v[8:9], v[143:144], v[149:150]
	v_fma_f64 v[143:144], v[6:7], v[143:144], -v[145:146]
	ds_load_b128 v[6:9], v1 offset:1472
	v_add_f64_e32 v[28:29], v[30:31], v[28:29]
	v_add_f64_e32 v[26:27], v[26:27], v[34:35]
	v_fma_f64 v[32:33], v[4:5], v[38:39], v[32:33]
	v_fma_f64 v[36:37], v[2:3], v[38:39], -v[36:37]
	ds_load_b128 v[2:5], v1 offset:1488
	s_wait_loadcnt_dscnt 0x401
	v_mul_f64_e32 v[30:31], v[6:7], v[141:142]
	v_mul_f64_e32 v[34:35], v[8:9], v[141:142]
	v_add_f64_e32 v[28:29], v[28:29], v[40:41]
	v_add_f64_e32 v[26:27], v[26:27], v[143:144]
	s_wait_loadcnt_dscnt 0x300
	v_mul_f64_e32 v[38:39], v[2:3], v[12:13]
	v_mul_f64_e32 v[12:13], v[4:5], v[12:13]
	v_fma_f64 v[30:31], v[8:9], v[139:140], v[30:31]
	v_fma_f64 v[34:35], v[6:7], v[139:140], -v[34:35]
	ds_load_b128 v[6:9], v1 offset:1504
	v_add_f64_e32 v[28:29], v[28:29], v[32:33]
	v_add_f64_e32 v[26:27], v[26:27], v[36:37]
	v_fma_f64 v[36:37], v[4:5], v[10:11], v[38:39]
	v_fma_f64 v[10:11], v[2:3], v[10:11], -v[12:13]
	ds_load_b128 v[2:5], v1 offset:1520
	s_wait_loadcnt_dscnt 0x201
	v_mul_f64_e32 v[32:33], v[6:7], v[16:17]
	v_mul_f64_e32 v[16:17], v[8:9], v[16:17]
	v_add_f64_e32 v[12:13], v[26:27], v[34:35]
	v_add_f64_e32 v[26:27], v[28:29], v[30:31]
	s_wait_loadcnt_dscnt 0x100
	v_mul_f64_e32 v[28:29], v[2:3], v[20:21]
	v_mul_f64_e32 v[20:21], v[4:5], v[20:21]
	v_fma_f64 v[8:9], v[8:9], v[14:15], v[32:33]
	v_fma_f64 v[6:7], v[6:7], v[14:15], -v[16:17]
	v_add_f64_e32 v[10:11], v[12:13], v[10:11]
	v_add_f64_e32 v[12:13], v[26:27], v[36:37]
	v_fma_f64 v[4:5], v[4:5], v[18:19], v[28:29]
	v_fma_f64 v[2:3], v[2:3], v[18:19], -v[20:21]
	s_delay_alu instid0(VALU_DEP_4) | instskip(NEXT) | instid1(VALU_DEP_4)
	v_add_f64_e32 v[6:7], v[10:11], v[6:7]
	v_add_f64_e32 v[8:9], v[12:13], v[8:9]
	s_delay_alu instid0(VALU_DEP_2) | instskip(NEXT) | instid1(VALU_DEP_2)
	v_add_f64_e32 v[2:3], v[6:7], v[2:3]
	v_add_f64_e32 v[4:5], v[8:9], v[4:5]
	s_wait_loadcnt 0x0
	s_delay_alu instid0(VALU_DEP_2) | instskip(NEXT) | instid1(VALU_DEP_2)
	v_add_f64_e64 v[2:3], v[22:23], -v[2:3]
	v_add_f64_e64 v[4:5], v[24:25], -v[4:5]
	scratch_store_b128 off, v[2:5], off offset:48
	v_cmpx_lt_u32_e32 1, v0
	s_cbranch_execz .LBB47_299
; %bb.298:
	scratch_load_b128 v[5:8], off, s46
	v_dual_mov_b32 v2, v1 :: v_dual_mov_b32 v3, v1
	v_mov_b32_e32 v4, v1
	scratch_store_b128 off, v[1:4], off offset:32
	s_wait_loadcnt 0x0
	ds_store_b128 v138, v[5:8]
.LBB47_299:
	s_wait_alu 0xfffe
	s_or_b32 exec_lo, exec_lo, s0
	s_wait_storecnt_dscnt 0x0
	s_barrier_signal -1
	s_barrier_wait -1
	global_inv scope:SCOPE_SE
	s_clause 0x7
	scratch_load_b128 v[2:5], off, off offset:48
	scratch_load_b128 v[6:9], off, off offset:64
	;; [unrolled: 1-line block ×8, first 2 shown]
	ds_load_b128 v[38:41], v1 offset:800
	ds_load_b128 v[139:142], v1 offset:816
	s_clause 0x1
	scratch_load_b128 v[34:37], off, off offset:176
	scratch_load_b128 v[143:146], off, off offset:192
	s_mov_b32 s0, exec_lo
	s_wait_loadcnt_dscnt 0x901
	v_mul_f64_e32 v[147:148], v[40:41], v[4:5]
	v_mul_f64_e32 v[4:5], v[38:39], v[4:5]
	s_wait_loadcnt_dscnt 0x800
	v_mul_f64_e32 v[149:150], v[139:140], v[8:9]
	v_mul_f64_e32 v[8:9], v[141:142], v[8:9]
	s_delay_alu instid0(VALU_DEP_4) | instskip(NEXT) | instid1(VALU_DEP_4)
	v_fma_f64 v[147:148], v[38:39], v[2:3], -v[147:148]
	v_fma_f64 v[151:152], v[40:41], v[2:3], v[4:5]
	ds_load_b128 v[2:5], v1 offset:832
	scratch_load_b128 v[38:41], off, off offset:208
	v_fma_f64 v[149:150], v[141:142], v[6:7], v[149:150]
	v_fma_f64 v[155:156], v[139:140], v[6:7], -v[8:9]
	ds_load_b128 v[6:9], v1 offset:848
	scratch_load_b128 v[139:142], off, off offset:224
	s_wait_loadcnt_dscnt 0x901
	v_mul_f64_e32 v[153:154], v[2:3], v[12:13]
	v_mul_f64_e32 v[12:13], v[4:5], v[12:13]
	s_wait_loadcnt_dscnt 0x800
	v_mul_f64_e32 v[157:158], v[6:7], v[16:17]
	v_mul_f64_e32 v[16:17], v[8:9], v[16:17]
	v_add_f64_e32 v[147:148], 0, v[147:148]
	v_add_f64_e32 v[151:152], 0, v[151:152]
	v_fma_f64 v[153:154], v[4:5], v[10:11], v[153:154]
	v_fma_f64 v[159:160], v[2:3], v[10:11], -v[12:13]
	ds_load_b128 v[2:5], v1 offset:864
	scratch_load_b128 v[10:13], off, off offset:240
	v_add_f64_e32 v[147:148], v[147:148], v[155:156]
	v_add_f64_e32 v[149:150], v[151:152], v[149:150]
	v_fma_f64 v[155:156], v[8:9], v[14:15], v[157:158]
	v_fma_f64 v[157:158], v[6:7], v[14:15], -v[16:17]
	ds_load_b128 v[6:9], v1 offset:880
	scratch_load_b128 v[14:17], off, off offset:256
	s_wait_loadcnt_dscnt 0x901
	v_mul_f64_e32 v[151:152], v[2:3], v[20:21]
	v_mul_f64_e32 v[20:21], v[4:5], v[20:21]
	v_add_f64_e32 v[147:148], v[147:148], v[159:160]
	v_add_f64_e32 v[149:150], v[149:150], v[153:154]
	s_wait_loadcnt_dscnt 0x800
	v_mul_f64_e32 v[153:154], v[6:7], v[24:25]
	v_mul_f64_e32 v[24:25], v[8:9], v[24:25]
	v_fma_f64 v[151:152], v[4:5], v[18:19], v[151:152]
	v_fma_f64 v[159:160], v[2:3], v[18:19], -v[20:21]
	ds_load_b128 v[2:5], v1 offset:896
	scratch_load_b128 v[18:21], off, off offset:272
	v_add_f64_e32 v[147:148], v[147:148], v[157:158]
	v_add_f64_e32 v[149:150], v[149:150], v[155:156]
	v_fma_f64 v[153:154], v[8:9], v[22:23], v[153:154]
	v_fma_f64 v[157:158], v[6:7], v[22:23], -v[24:25]
	ds_load_b128 v[6:9], v1 offset:912
	s_wait_loadcnt_dscnt 0x801
	v_mul_f64_e32 v[155:156], v[2:3], v[28:29]
	v_mul_f64_e32 v[28:29], v[4:5], v[28:29]
	scratch_load_b128 v[22:25], off, off offset:288
	v_add_f64_e32 v[147:148], v[147:148], v[159:160]
	v_add_f64_e32 v[149:150], v[149:150], v[151:152]
	s_wait_loadcnt_dscnt 0x800
	v_mul_f64_e32 v[151:152], v[6:7], v[32:33]
	v_mul_f64_e32 v[32:33], v[8:9], v[32:33]
	v_fma_f64 v[155:156], v[4:5], v[26:27], v[155:156]
	v_fma_f64 v[159:160], v[2:3], v[26:27], -v[28:29]
	ds_load_b128 v[2:5], v1 offset:928
	scratch_load_b128 v[26:29], off, off offset:304
	v_add_f64_e32 v[147:148], v[147:148], v[157:158]
	v_add_f64_e32 v[149:150], v[149:150], v[153:154]
	v_fma_f64 v[151:152], v[8:9], v[30:31], v[151:152]
	v_fma_f64 v[157:158], v[6:7], v[30:31], -v[32:33]
	ds_load_b128 v[6:9], v1 offset:944
	s_wait_loadcnt_dscnt 0x801
	v_mul_f64_e32 v[153:154], v[2:3], v[36:37]
	v_mul_f64_e32 v[36:37], v[4:5], v[36:37]
	scratch_load_b128 v[30:33], off, off offset:320
	v_add_f64_e32 v[147:148], v[147:148], v[159:160]
	v_add_f64_e32 v[149:150], v[149:150], v[155:156]
	s_wait_loadcnt_dscnt 0x800
	v_mul_f64_e32 v[155:156], v[6:7], v[145:146]
	v_mul_f64_e32 v[145:146], v[8:9], v[145:146]
	v_fma_f64 v[153:154], v[4:5], v[34:35], v[153:154]
	v_fma_f64 v[159:160], v[2:3], v[34:35], -v[36:37]
	ds_load_b128 v[2:5], v1 offset:960
	scratch_load_b128 v[34:37], off, off offset:336
	v_add_f64_e32 v[147:148], v[147:148], v[157:158]
	v_add_f64_e32 v[149:150], v[149:150], v[151:152]
	v_fma_f64 v[155:156], v[8:9], v[143:144], v[155:156]
	v_fma_f64 v[157:158], v[6:7], v[143:144], -v[145:146]
	ds_load_b128 v[6:9], v1 offset:976
	scratch_load_b128 v[143:146], off, off offset:352
	s_wait_loadcnt_dscnt 0x901
	v_mul_f64_e32 v[151:152], v[2:3], v[40:41]
	v_mul_f64_e32 v[40:41], v[4:5], v[40:41]
	v_add_f64_e32 v[147:148], v[147:148], v[159:160]
	v_add_f64_e32 v[149:150], v[149:150], v[153:154]
	s_wait_loadcnt_dscnt 0x800
	v_mul_f64_e32 v[153:154], v[6:7], v[141:142]
	v_mul_f64_e32 v[141:142], v[8:9], v[141:142]
	v_fma_f64 v[151:152], v[4:5], v[38:39], v[151:152]
	v_fma_f64 v[159:160], v[2:3], v[38:39], -v[40:41]
	ds_load_b128 v[2:5], v1 offset:992
	scratch_load_b128 v[38:41], off, off offset:368
	v_add_f64_e32 v[147:148], v[147:148], v[157:158]
	v_add_f64_e32 v[149:150], v[149:150], v[155:156]
	v_fma_f64 v[153:154], v[8:9], v[139:140], v[153:154]
	v_fma_f64 v[157:158], v[6:7], v[139:140], -v[141:142]
	ds_load_b128 v[6:9], v1 offset:1008
	s_wait_loadcnt_dscnt 0x801
	v_mul_f64_e32 v[155:156], v[2:3], v[12:13]
	v_mul_f64_e32 v[12:13], v[4:5], v[12:13]
	scratch_load_b128 v[139:142], off, off offset:384
	v_add_f64_e32 v[147:148], v[147:148], v[159:160]
	v_add_f64_e32 v[149:150], v[149:150], v[151:152]
	s_wait_loadcnt_dscnt 0x800
	v_mul_f64_e32 v[151:152], v[6:7], v[16:17]
	v_mul_f64_e32 v[16:17], v[8:9], v[16:17]
	v_fma_f64 v[155:156], v[4:5], v[10:11], v[155:156]
	v_fma_f64 v[159:160], v[2:3], v[10:11], -v[12:13]
	ds_load_b128 v[2:5], v1 offset:1024
	scratch_load_b128 v[10:13], off, off offset:400
	v_add_f64_e32 v[147:148], v[147:148], v[157:158]
	v_add_f64_e32 v[149:150], v[149:150], v[153:154]
	v_fma_f64 v[151:152], v[8:9], v[14:15], v[151:152]
	v_fma_f64 v[157:158], v[6:7], v[14:15], -v[16:17]
	ds_load_b128 v[6:9], v1 offset:1040
	s_wait_loadcnt_dscnt 0x801
	v_mul_f64_e32 v[153:154], v[2:3], v[20:21]
	v_mul_f64_e32 v[20:21], v[4:5], v[20:21]
	scratch_load_b128 v[14:17], off, off offset:416
	;; [unrolled: 18-line block ×13, first 2 shown]
	v_add_f64_e32 v[147:148], v[147:148], v[159:160]
	v_add_f64_e32 v[149:150], v[149:150], v[151:152]
	s_wait_loadcnt_dscnt 0x800
	v_mul_f64_e32 v[151:152], v[6:7], v[32:33]
	v_mul_f64_e32 v[32:33], v[8:9], v[32:33]
	v_fma_f64 v[155:156], v[4:5], v[26:27], v[155:156]
	v_fma_f64 v[26:27], v[2:3], v[26:27], -v[28:29]
	ds_load_b128 v[2:5], v1 offset:1408
	v_add_f64_e32 v[28:29], v[147:148], v[157:158]
	v_add_f64_e32 v[147:148], v[149:150], v[153:154]
	v_fma_f64 v[151:152], v[8:9], v[30:31], v[151:152]
	v_fma_f64 v[30:31], v[6:7], v[30:31], -v[32:33]
	ds_load_b128 v[6:9], v1 offset:1424
	s_wait_loadcnt_dscnt 0x701
	v_mul_f64_e32 v[149:150], v[2:3], v[36:37]
	v_mul_f64_e32 v[36:37], v[4:5], v[36:37]
	v_add_f64_e32 v[26:27], v[28:29], v[26:27]
	v_add_f64_e32 v[28:29], v[147:148], v[155:156]
	s_delay_alu instid0(VALU_DEP_4) | instskip(NEXT) | instid1(VALU_DEP_4)
	v_fma_f64 v[147:148], v[4:5], v[34:35], v[149:150]
	v_fma_f64 v[34:35], v[2:3], v[34:35], -v[36:37]
	ds_load_b128 v[2:5], v1 offset:1440
	v_add_f64_e32 v[30:31], v[26:27], v[30:31]
	v_add_f64_e32 v[36:37], v[28:29], v[151:152]
	scratch_load_b128 v[26:29], off, off offset:32
	s_wait_loadcnt_dscnt 0x701
	v_mul_f64_e32 v[32:33], v[6:7], v[145:146]
	v_mul_f64_e32 v[145:146], v[8:9], v[145:146]
	v_add_f64_e32 v[30:31], v[30:31], v[34:35]
	v_add_f64_e32 v[34:35], v[36:37], v[147:148]
	s_delay_alu instid0(VALU_DEP_4) | instskip(NEXT) | instid1(VALU_DEP_4)
	v_fma_f64 v[32:33], v[8:9], v[143:144], v[32:33]
	v_fma_f64 v[143:144], v[6:7], v[143:144], -v[145:146]
	ds_load_b128 v[6:9], v1 offset:1456
	s_wait_loadcnt_dscnt 0x601
	v_mul_f64_e32 v[149:150], v[2:3], v[40:41]
	v_mul_f64_e32 v[40:41], v[4:5], v[40:41]
	s_wait_loadcnt_dscnt 0x500
	v_mul_f64_e32 v[36:37], v[6:7], v[141:142]
	v_mul_f64_e32 v[141:142], v[8:9], v[141:142]
	v_add_f64_e32 v[32:33], v[34:35], v[32:33]
	v_add_f64_e32 v[30:31], v[30:31], v[143:144]
	v_fma_f64 v[145:146], v[4:5], v[38:39], v[149:150]
	v_fma_f64 v[38:39], v[2:3], v[38:39], -v[40:41]
	ds_load_b128 v[2:5], v1 offset:1472
	v_fma_f64 v[36:37], v[8:9], v[139:140], v[36:37]
	v_fma_f64 v[40:41], v[6:7], v[139:140], -v[141:142]
	ds_load_b128 v[6:9], v1 offset:1488
	s_wait_loadcnt_dscnt 0x401
	v_mul_f64_e32 v[34:35], v[2:3], v[12:13]
	v_mul_f64_e32 v[12:13], v[4:5], v[12:13]
	v_add_f64_e32 v[32:33], v[32:33], v[145:146]
	v_add_f64_e32 v[30:31], v[30:31], v[38:39]
	s_wait_loadcnt_dscnt 0x300
	v_mul_f64_e32 v[38:39], v[6:7], v[16:17]
	v_mul_f64_e32 v[16:17], v[8:9], v[16:17]
	v_fma_f64 v[34:35], v[4:5], v[10:11], v[34:35]
	v_fma_f64 v[10:11], v[2:3], v[10:11], -v[12:13]
	ds_load_b128 v[2:5], v1 offset:1504
	v_add_f64_e32 v[12:13], v[30:31], v[40:41]
	v_add_f64_e32 v[30:31], v[32:33], v[36:37]
	v_fma_f64 v[36:37], v[8:9], v[14:15], v[38:39]
	v_fma_f64 v[14:15], v[6:7], v[14:15], -v[16:17]
	ds_load_b128 v[6:9], v1 offset:1520
	s_wait_loadcnt_dscnt 0x201
	v_mul_f64_e32 v[32:33], v[2:3], v[20:21]
	v_mul_f64_e32 v[20:21], v[4:5], v[20:21]
	s_wait_loadcnt_dscnt 0x100
	v_mul_f64_e32 v[16:17], v[6:7], v[24:25]
	v_mul_f64_e32 v[24:25], v[8:9], v[24:25]
	v_add_f64_e32 v[10:11], v[12:13], v[10:11]
	v_add_f64_e32 v[12:13], v[30:31], v[34:35]
	v_fma_f64 v[4:5], v[4:5], v[18:19], v[32:33]
	v_fma_f64 v[1:2], v[2:3], v[18:19], -v[20:21]
	v_fma_f64 v[8:9], v[8:9], v[22:23], v[16:17]
	v_fma_f64 v[6:7], v[6:7], v[22:23], -v[24:25]
	v_add_f64_e32 v[10:11], v[10:11], v[14:15]
	v_add_f64_e32 v[12:13], v[12:13], v[36:37]
	s_delay_alu instid0(VALU_DEP_2) | instskip(NEXT) | instid1(VALU_DEP_2)
	v_add_f64_e32 v[1:2], v[10:11], v[1:2]
	v_add_f64_e32 v[3:4], v[12:13], v[4:5]
	s_delay_alu instid0(VALU_DEP_2) | instskip(NEXT) | instid1(VALU_DEP_2)
	v_add_f64_e32 v[1:2], v[1:2], v[6:7]
	v_add_f64_e32 v[3:4], v[3:4], v[8:9]
	s_wait_loadcnt 0x0
	s_delay_alu instid0(VALU_DEP_2) | instskip(NEXT) | instid1(VALU_DEP_2)
	v_add_f64_e64 v[1:2], v[26:27], -v[1:2]
	v_add_f64_e64 v[3:4], v[28:29], -v[3:4]
	scratch_store_b128 off, v[1:4], off offset:32
	v_cmpx_ne_u32_e32 0, v0
	s_cbranch_execz .LBB47_301
; %bb.300:
	scratch_load_b128 v[0:3], off, off offset:16
	v_mov_b32_e32 v4, 0
	s_delay_alu instid0(VALU_DEP_1)
	v_dual_mov_b32 v5, v4 :: v_dual_mov_b32 v6, v4
	v_mov_b32_e32 v7, v4
	scratch_store_b128 off, v[4:7], off offset:16
	s_wait_loadcnt 0x0
	ds_store_b128 v138, v[0:3]
.LBB47_301:
	s_wait_alu 0xfffe
	s_or_b32 exec_lo, exec_lo, s0
	s_wait_storecnt_dscnt 0x0
	s_barrier_signal -1
	s_barrier_wait -1
	global_inv scope:SCOPE_SE
	s_clause 0x7
	scratch_load_b128 v[0:3], off, off offset:32
	scratch_load_b128 v[4:7], off, off offset:48
	;; [unrolled: 1-line block ×8, first 2 shown]
	v_mov_b32_e32 v40, 0
	s_and_b32 vcc_lo, exec_lo, s18
	ds_load_b128 v[36:39], v40 offset:784
	s_clause 0x1
	scratch_load_b128 v[32:35], off, off offset:160
	scratch_load_b128 v[138:141], off, off offset:16
	ds_load_b128 v[142:145], v40 offset:800
	scratch_load_b128 v[146:149], off, off offset:176
	s_wait_loadcnt_dscnt 0xa01
	v_mul_f64_e32 v[150:151], v[38:39], v[2:3]
	v_mul_f64_e32 v[2:3], v[36:37], v[2:3]
	s_delay_alu instid0(VALU_DEP_2) | instskip(NEXT) | instid1(VALU_DEP_2)
	v_fma_f64 v[156:157], v[36:37], v[0:1], -v[150:151]
	v_fma_f64 v[158:159], v[38:39], v[0:1], v[2:3]
	ds_load_b128 v[0:3], v40 offset:816
	s_wait_loadcnt_dscnt 0x901
	v_mul_f64_e32 v[154:155], v[142:143], v[6:7]
	v_mul_f64_e32 v[6:7], v[144:145], v[6:7]
	scratch_load_b128 v[36:39], off, off offset:192
	ds_load_b128 v[150:153], v40 offset:832
	s_wait_loadcnt_dscnt 0x901
	v_mul_f64_e32 v[160:161], v[0:1], v[10:11]
	v_mul_f64_e32 v[10:11], v[2:3], v[10:11]
	v_fma_f64 v[144:145], v[144:145], v[4:5], v[154:155]
	v_fma_f64 v[142:143], v[142:143], v[4:5], -v[6:7]
	v_add_f64_e32 v[154:155], 0, v[156:157]
	v_add_f64_e32 v[156:157], 0, v[158:159]
	scratch_load_b128 v[4:7], off, off offset:208
	v_fma_f64 v[160:161], v[2:3], v[8:9], v[160:161]
	v_fma_f64 v[162:163], v[0:1], v[8:9], -v[10:11]
	ds_load_b128 v[0:3], v40 offset:848
	s_wait_loadcnt_dscnt 0x901
	v_mul_f64_e32 v[158:159], v[150:151], v[14:15]
	v_mul_f64_e32 v[14:15], v[152:153], v[14:15]
	scratch_load_b128 v[8:11], off, off offset:224
	v_add_f64_e32 v[154:155], v[154:155], v[142:143]
	v_add_f64_e32 v[156:157], v[156:157], v[144:145]
	s_wait_loadcnt_dscnt 0x900
	v_mul_f64_e32 v[164:165], v[0:1], v[18:19]
	v_mul_f64_e32 v[18:19], v[2:3], v[18:19]
	ds_load_b128 v[142:145], v40 offset:864
	v_fma_f64 v[152:153], v[152:153], v[12:13], v[158:159]
	v_fma_f64 v[150:151], v[150:151], v[12:13], -v[14:15]
	scratch_load_b128 v[12:15], off, off offset:240
	v_add_f64_e32 v[154:155], v[154:155], v[162:163]
	v_add_f64_e32 v[156:157], v[156:157], v[160:161]
	v_fma_f64 v[160:161], v[2:3], v[16:17], v[164:165]
	v_fma_f64 v[162:163], v[0:1], v[16:17], -v[18:19]
	ds_load_b128 v[0:3], v40 offset:880
	s_wait_loadcnt_dscnt 0x901
	v_mul_f64_e32 v[158:159], v[142:143], v[22:23]
	v_mul_f64_e32 v[22:23], v[144:145], v[22:23]
	scratch_load_b128 v[16:19], off, off offset:256
	s_wait_loadcnt_dscnt 0x900
	v_mul_f64_e32 v[164:165], v[0:1], v[26:27]
	v_mul_f64_e32 v[26:27], v[2:3], v[26:27]
	v_add_f64_e32 v[154:155], v[154:155], v[150:151]
	v_add_f64_e32 v[156:157], v[156:157], v[152:153]
	ds_load_b128 v[150:153], v40 offset:896
	v_fma_f64 v[144:145], v[144:145], v[20:21], v[158:159]
	v_fma_f64 v[142:143], v[142:143], v[20:21], -v[22:23]
	scratch_load_b128 v[20:23], off, off offset:272
	v_add_f64_e32 v[154:155], v[154:155], v[162:163]
	v_add_f64_e32 v[156:157], v[156:157], v[160:161]
	v_fma_f64 v[160:161], v[2:3], v[24:25], v[164:165]
	v_fma_f64 v[162:163], v[0:1], v[24:25], -v[26:27]
	ds_load_b128 v[0:3], v40 offset:912
	s_wait_loadcnt_dscnt 0x901
	v_mul_f64_e32 v[158:159], v[150:151], v[30:31]
	v_mul_f64_e32 v[30:31], v[152:153], v[30:31]
	scratch_load_b128 v[24:27], off, off offset:288
	s_wait_loadcnt_dscnt 0x900
	v_mul_f64_e32 v[164:165], v[0:1], v[34:35]
	v_mul_f64_e32 v[34:35], v[2:3], v[34:35]
	v_add_f64_e32 v[154:155], v[154:155], v[142:143]
	v_add_f64_e32 v[156:157], v[156:157], v[144:145]
	ds_load_b128 v[142:145], v40 offset:928
	v_fma_f64 v[152:153], v[152:153], v[28:29], v[158:159]
	v_fma_f64 v[150:151], v[150:151], v[28:29], -v[30:31]
	scratch_load_b128 v[28:31], off, off offset:304
	v_add_f64_e32 v[154:155], v[154:155], v[162:163]
	v_add_f64_e32 v[156:157], v[156:157], v[160:161]
	v_fma_f64 v[162:163], v[2:3], v[32:33], v[164:165]
	v_fma_f64 v[164:165], v[0:1], v[32:33], -v[34:35]
	ds_load_b128 v[0:3], v40 offset:944
	s_wait_loadcnt_dscnt 0x801
	v_mul_f64_e32 v[158:159], v[142:143], v[148:149]
	v_mul_f64_e32 v[160:161], v[144:145], v[148:149]
	scratch_load_b128 v[32:35], off, off offset:320
	v_add_f64_e32 v[154:155], v[154:155], v[150:151]
	v_add_f64_e32 v[152:153], v[156:157], v[152:153]
	ds_load_b128 v[148:151], v40 offset:960
	v_fma_f64 v[158:159], v[144:145], v[146:147], v[158:159]
	v_fma_f64 v[146:147], v[142:143], v[146:147], -v[160:161]
	scratch_load_b128 v[142:145], off, off offset:336
	s_wait_loadcnt_dscnt 0x901
	v_mul_f64_e32 v[156:157], v[0:1], v[38:39]
	v_mul_f64_e32 v[38:39], v[2:3], v[38:39]
	v_add_f64_e32 v[154:155], v[154:155], v[164:165]
	v_add_f64_e32 v[152:153], v[152:153], v[162:163]
	s_delay_alu instid0(VALU_DEP_4) | instskip(NEXT) | instid1(VALU_DEP_4)
	v_fma_f64 v[156:157], v[2:3], v[36:37], v[156:157]
	v_fma_f64 v[162:163], v[0:1], v[36:37], -v[38:39]
	ds_load_b128 v[0:3], v40 offset:976
	s_wait_loadcnt_dscnt 0x801
	v_mul_f64_e32 v[160:161], v[148:149], v[6:7]
	v_mul_f64_e32 v[6:7], v[150:151], v[6:7]
	scratch_load_b128 v[36:39], off, off offset:352
	s_wait_loadcnt_dscnt 0x800
	v_mul_f64_e32 v[164:165], v[0:1], v[10:11]
	v_add_f64_e32 v[146:147], v[154:155], v[146:147]
	v_add_f64_e32 v[158:159], v[152:153], v[158:159]
	v_mul_f64_e32 v[10:11], v[2:3], v[10:11]
	ds_load_b128 v[152:155], v40 offset:992
	v_fma_f64 v[150:151], v[150:151], v[4:5], v[160:161]
	v_fma_f64 v[148:149], v[148:149], v[4:5], -v[6:7]
	scratch_load_b128 v[4:7], off, off offset:368
	v_fma_f64 v[160:161], v[2:3], v[8:9], v[164:165]
	v_add_f64_e32 v[146:147], v[146:147], v[162:163]
	v_add_f64_e32 v[156:157], v[158:159], v[156:157]
	v_fma_f64 v[162:163], v[0:1], v[8:9], -v[10:11]
	ds_load_b128 v[0:3], v40 offset:1008
	s_wait_loadcnt_dscnt 0x801
	v_mul_f64_e32 v[158:159], v[152:153], v[14:15]
	v_mul_f64_e32 v[14:15], v[154:155], v[14:15]
	scratch_load_b128 v[8:11], off, off offset:384
	v_add_f64_e32 v[164:165], v[146:147], v[148:149]
	v_add_f64_e32 v[150:151], v[156:157], v[150:151]
	s_wait_loadcnt_dscnt 0x800
	v_mul_f64_e32 v[156:157], v[0:1], v[18:19]
	v_mul_f64_e32 v[18:19], v[2:3], v[18:19]
	v_fma_f64 v[154:155], v[154:155], v[12:13], v[158:159]
	v_fma_f64 v[152:153], v[152:153], v[12:13], -v[14:15]
	ds_load_b128 v[146:149], v40 offset:1024
	scratch_load_b128 v[12:15], off, off offset:400
	v_add_f64_e32 v[158:159], v[164:165], v[162:163]
	v_add_f64_e32 v[150:151], v[150:151], v[160:161]
	v_fma_f64 v[156:157], v[2:3], v[16:17], v[156:157]
	v_fma_f64 v[162:163], v[0:1], v[16:17], -v[18:19]
	ds_load_b128 v[0:3], v40 offset:1040
	s_wait_loadcnt_dscnt 0x801
	v_mul_f64_e32 v[160:161], v[146:147], v[22:23]
	v_mul_f64_e32 v[22:23], v[148:149], v[22:23]
	scratch_load_b128 v[16:19], off, off offset:416
	s_wait_loadcnt_dscnt 0x800
	v_mul_f64_e32 v[164:165], v[0:1], v[26:27]
	v_mul_f64_e32 v[26:27], v[2:3], v[26:27]
	v_add_f64_e32 v[158:159], v[158:159], v[152:153]
	v_add_f64_e32 v[154:155], v[150:151], v[154:155]
	ds_load_b128 v[150:153], v40 offset:1056
	v_fma_f64 v[148:149], v[148:149], v[20:21], v[160:161]
	v_fma_f64 v[146:147], v[146:147], v[20:21], -v[22:23]
	scratch_load_b128 v[20:23], off, off offset:432
	v_fma_f64 v[160:161], v[2:3], v[24:25], v[164:165]
	v_add_f64_e32 v[158:159], v[158:159], v[162:163]
	v_add_f64_e32 v[154:155], v[154:155], v[156:157]
	v_fma_f64 v[162:163], v[0:1], v[24:25], -v[26:27]
	ds_load_b128 v[0:3], v40 offset:1072
	s_wait_loadcnt_dscnt 0x801
	v_mul_f64_e32 v[156:157], v[150:151], v[30:31]
	v_mul_f64_e32 v[30:31], v[152:153], v[30:31]
	scratch_load_b128 v[24:27], off, off offset:448
	s_wait_loadcnt_dscnt 0x800
	v_mul_f64_e32 v[164:165], v[0:1], v[34:35]
	v_mul_f64_e32 v[34:35], v[2:3], v[34:35]
	v_add_f64_e32 v[158:159], v[158:159], v[146:147]
	v_add_f64_e32 v[154:155], v[154:155], v[148:149]
	ds_load_b128 v[146:149], v40 offset:1088
	v_fma_f64 v[152:153], v[152:153], v[28:29], v[156:157]
	v_fma_f64 v[150:151], v[150:151], v[28:29], -v[30:31]
	scratch_load_b128 v[28:31], off, off offset:464
	v_add_f64_e32 v[156:157], v[158:159], v[162:163]
	v_add_f64_e32 v[154:155], v[154:155], v[160:161]
	v_fma_f64 v[160:161], v[2:3], v[32:33], v[164:165]
	v_fma_f64 v[162:163], v[0:1], v[32:33], -v[34:35]
	ds_load_b128 v[0:3], v40 offset:1104
	s_wait_loadcnt_dscnt 0x801
	v_mul_f64_e32 v[158:159], v[146:147], v[144:145]
	v_mul_f64_e32 v[144:145], v[148:149], v[144:145]
	scratch_load_b128 v[32:35], off, off offset:480
	s_wait_loadcnt_dscnt 0x800
	v_mul_f64_e32 v[164:165], v[0:1], v[38:39]
	v_mul_f64_e32 v[38:39], v[2:3], v[38:39]
	v_add_f64_e32 v[156:157], v[156:157], v[150:151]
	v_add_f64_e32 v[154:155], v[154:155], v[152:153]
	ds_load_b128 v[150:153], v40 offset:1120
	v_fma_f64 v[148:149], v[148:149], v[142:143], v[158:159]
	v_fma_f64 v[146:147], v[146:147], v[142:143], -v[144:145]
	scratch_load_b128 v[142:145], off, off offset:496
	v_add_f64_e32 v[156:157], v[156:157], v[162:163]
	v_add_f64_e32 v[154:155], v[154:155], v[160:161]
	v_fma_f64 v[160:161], v[2:3], v[36:37], v[164:165]
	;; [unrolled: 18-line block ×6, first 2 shown]
	v_fma_f64 v[164:165], v[0:1], v[32:33], -v[34:35]
	ds_load_b128 v[0:3], v40 offset:1264
	s_wait_loadcnt_dscnt 0x801
	v_mul_f64_e32 v[158:159], v[150:151], v[144:145]
	v_mul_f64_e32 v[160:161], v[152:153], v[144:145]
	scratch_load_b128 v[32:35], off, off offset:640
	v_add_f64_e32 v[156:157], v[156:157], v[146:147]
	v_add_f64_e32 v[148:149], v[154:155], v[148:149]
	s_wait_loadcnt_dscnt 0x800
	v_mul_f64_e32 v[154:155], v[0:1], v[38:39]
	v_mul_f64_e32 v[38:39], v[2:3], v[38:39]
	ds_load_b128 v[144:147], v40 offset:1280
	v_fma_f64 v[152:153], v[152:153], v[142:143], v[158:159]
	v_fma_f64 v[142:143], v[150:151], v[142:143], -v[160:161]
	v_add_f64_e32 v[156:157], v[156:157], v[164:165]
	v_add_f64_e32 v[158:159], v[148:149], v[162:163]
	scratch_load_b128 v[148:151], off, off offset:656
	v_fma_f64 v[162:163], v[2:3], v[36:37], v[154:155]
	v_fma_f64 v[164:165], v[0:1], v[36:37], -v[38:39]
	ds_load_b128 v[0:3], v40 offset:1296
	s_wait_loadcnt_dscnt 0x801
	v_mul_f64_e32 v[160:161], v[144:145], v[6:7]
	v_mul_f64_e32 v[6:7], v[146:147], v[6:7]
	scratch_load_b128 v[36:39], off, off offset:672
	v_add_f64_e32 v[142:143], v[156:157], v[142:143]
	v_add_f64_e32 v[156:157], v[158:159], v[152:153]
	s_wait_loadcnt_dscnt 0x800
	v_mul_f64_e32 v[158:159], v[0:1], v[10:11]
	v_mul_f64_e32 v[10:11], v[2:3], v[10:11]
	ds_load_b128 v[152:155], v40 offset:1312
	v_fma_f64 v[146:147], v[146:147], v[4:5], v[160:161]
	v_fma_f64 v[144:145], v[144:145], v[4:5], -v[6:7]
	scratch_load_b128 v[4:7], off, off offset:688
	v_add_f64_e32 v[142:143], v[142:143], v[164:165]
	v_add_f64_e32 v[156:157], v[156:157], v[162:163]
	v_fma_f64 v[158:159], v[2:3], v[8:9], v[158:159]
	v_fma_f64 v[162:163], v[0:1], v[8:9], -v[10:11]
	ds_load_b128 v[0:3], v40 offset:1328
	s_wait_loadcnt_dscnt 0x801
	v_mul_f64_e32 v[160:161], v[152:153], v[14:15]
	v_mul_f64_e32 v[14:15], v[154:155], v[14:15]
	scratch_load_b128 v[8:11], off, off offset:704
	v_add_f64_e32 v[164:165], v[142:143], v[144:145]
	v_add_f64_e32 v[146:147], v[156:157], v[146:147]
	s_wait_loadcnt_dscnt 0x800
	v_mul_f64_e32 v[156:157], v[0:1], v[18:19]
	v_mul_f64_e32 v[18:19], v[2:3], v[18:19]
	ds_load_b128 v[142:145], v40 offset:1344
	v_fma_f64 v[154:155], v[154:155], v[12:13], v[160:161]
	v_fma_f64 v[152:153], v[152:153], v[12:13], -v[14:15]
	scratch_load_b128 v[12:15], off, off offset:720
	v_add_f64_e32 v[160:161], v[164:165], v[162:163]
	v_add_f64_e32 v[146:147], v[146:147], v[158:159]
	v_fma_f64 v[156:157], v[2:3], v[16:17], v[156:157]
	v_fma_f64 v[162:163], v[0:1], v[16:17], -v[18:19]
	ds_load_b128 v[0:3], v40 offset:1360
	s_wait_loadcnt_dscnt 0x801
	v_mul_f64_e32 v[158:159], v[142:143], v[22:23]
	v_mul_f64_e32 v[22:23], v[144:145], v[22:23]
	scratch_load_b128 v[16:19], off, off offset:736
	s_wait_loadcnt_dscnt 0x800
	v_mul_f64_e32 v[164:165], v[0:1], v[26:27]
	v_mul_f64_e32 v[26:27], v[2:3], v[26:27]
	v_add_f64_e32 v[160:161], v[160:161], v[152:153]
	v_add_f64_e32 v[146:147], v[146:147], v[154:155]
	ds_load_b128 v[152:155], v40 offset:1376
	v_fma_f64 v[144:145], v[144:145], v[20:21], v[158:159]
	v_fma_f64 v[142:143], v[142:143], v[20:21], -v[22:23]
	scratch_load_b128 v[20:23], off, off offset:752
	v_add_f64_e32 v[158:159], v[160:161], v[162:163]
	v_add_f64_e32 v[146:147], v[146:147], v[156:157]
	v_fma_f64 v[160:161], v[2:3], v[24:25], v[164:165]
	v_fma_f64 v[162:163], v[0:1], v[24:25], -v[26:27]
	ds_load_b128 v[0:3], v40 offset:1392
	s_wait_loadcnt_dscnt 0x801
	v_mul_f64_e32 v[156:157], v[152:153], v[30:31]
	v_mul_f64_e32 v[30:31], v[154:155], v[30:31]
	scratch_load_b128 v[24:27], off, off offset:768
	s_wait_loadcnt_dscnt 0x800
	v_mul_f64_e32 v[164:165], v[0:1], v[34:35]
	v_mul_f64_e32 v[34:35], v[2:3], v[34:35]
	v_add_f64_e32 v[158:159], v[158:159], v[142:143]
	v_add_f64_e32 v[146:147], v[146:147], v[144:145]
	ds_load_b128 v[142:145], v40 offset:1408
	v_fma_f64 v[154:155], v[154:155], v[28:29], v[156:157]
	v_fma_f64 v[28:29], v[152:153], v[28:29], -v[30:31]
	v_fma_f64 v[156:157], v[2:3], v[32:33], v[164:165]
	v_fma_f64 v[32:33], v[0:1], v[32:33], -v[34:35]
	v_add_f64_e32 v[30:31], v[158:159], v[162:163]
	v_add_f64_e32 v[146:147], v[146:147], v[160:161]
	s_wait_loadcnt_dscnt 0x700
	v_mul_f64_e32 v[152:153], v[142:143], v[150:151]
	v_mul_f64_e32 v[150:151], v[144:145], v[150:151]
	s_delay_alu instid0(VALU_DEP_4) | instskip(NEXT) | instid1(VALU_DEP_4)
	v_add_f64_e32 v[34:35], v[30:31], v[28:29]
	v_add_f64_e32 v[146:147], v[146:147], v[154:155]
	ds_load_b128 v[0:3], v40 offset:1424
	ds_load_b128 v[28:31], v40 offset:1440
	v_fma_f64 v[144:145], v[144:145], v[148:149], v[152:153]
	v_fma_f64 v[142:143], v[142:143], v[148:149], -v[150:151]
	s_wait_loadcnt_dscnt 0x601
	v_mul_f64_e32 v[154:155], v[0:1], v[38:39]
	v_mul_f64_e32 v[38:39], v[2:3], v[38:39]
	v_add_f64_e32 v[32:33], v[34:35], v[32:33]
	v_add_f64_e32 v[34:35], v[146:147], v[156:157]
	s_wait_loadcnt_dscnt 0x500
	v_mul_f64_e32 v[146:147], v[28:29], v[6:7]
	v_mul_f64_e32 v[6:7], v[30:31], v[6:7]
	v_fma_f64 v[148:149], v[2:3], v[36:37], v[154:155]
	v_fma_f64 v[36:37], v[0:1], v[36:37], -v[38:39]
	v_add_f64_e32 v[38:39], v[32:33], v[142:143]
	v_add_f64_e32 v[142:143], v[34:35], v[144:145]
	ds_load_b128 v[0:3], v40 offset:1456
	ds_load_b128 v[32:35], v40 offset:1472
	v_fma_f64 v[30:31], v[30:31], v[4:5], v[146:147]
	v_fma_f64 v[4:5], v[28:29], v[4:5], -v[6:7]
	s_wait_loadcnt_dscnt 0x401
	v_mul_f64_e32 v[144:145], v[0:1], v[10:11]
	v_mul_f64_e32 v[10:11], v[2:3], v[10:11]
	v_add_f64_e32 v[6:7], v[38:39], v[36:37]
	v_add_f64_e32 v[28:29], v[142:143], v[148:149]
	s_wait_loadcnt_dscnt 0x300
	v_mul_f64_e32 v[36:37], v[32:33], v[14:15]
	v_mul_f64_e32 v[14:15], v[34:35], v[14:15]
	v_fma_f64 v[38:39], v[2:3], v[8:9], v[144:145]
	v_fma_f64 v[8:9], v[0:1], v[8:9], -v[10:11]
	v_add_f64_e32 v[10:11], v[6:7], v[4:5]
	v_add_f64_e32 v[28:29], v[28:29], v[30:31]
	ds_load_b128 v[0:3], v40 offset:1488
	ds_load_b128 v[4:7], v40 offset:1504
	v_fma_f64 v[34:35], v[34:35], v[12:13], v[36:37]
	v_fma_f64 v[12:13], v[32:33], v[12:13], -v[14:15]
	s_wait_loadcnt_dscnt 0x201
	v_mul_f64_e32 v[30:31], v[0:1], v[18:19]
	v_mul_f64_e32 v[18:19], v[2:3], v[18:19]
	s_wait_loadcnt_dscnt 0x100
	v_mul_f64_e32 v[14:15], v[4:5], v[22:23]
	v_mul_f64_e32 v[22:23], v[6:7], v[22:23]
	v_add_f64_e32 v[8:9], v[10:11], v[8:9]
	v_add_f64_e32 v[10:11], v[28:29], v[38:39]
	v_fma_f64 v[28:29], v[2:3], v[16:17], v[30:31]
	v_fma_f64 v[16:17], v[0:1], v[16:17], -v[18:19]
	ds_load_b128 v[0:3], v40 offset:1520
	v_fma_f64 v[6:7], v[6:7], v[20:21], v[14:15]
	v_fma_f64 v[4:5], v[4:5], v[20:21], -v[22:23]
	v_add_f64_e32 v[8:9], v[8:9], v[12:13]
	v_add_f64_e32 v[10:11], v[10:11], v[34:35]
	s_wait_loadcnt_dscnt 0x0
	v_mul_f64_e32 v[12:13], v[0:1], v[26:27]
	v_mul_f64_e32 v[18:19], v[2:3], v[26:27]
	s_delay_alu instid0(VALU_DEP_4) | instskip(NEXT) | instid1(VALU_DEP_4)
	v_add_f64_e32 v[8:9], v[8:9], v[16:17]
	v_add_f64_e32 v[10:11], v[10:11], v[28:29]
	s_delay_alu instid0(VALU_DEP_4) | instskip(NEXT) | instid1(VALU_DEP_4)
	v_fma_f64 v[2:3], v[2:3], v[24:25], v[12:13]
	v_fma_f64 v[0:1], v[0:1], v[24:25], -v[18:19]
	s_delay_alu instid0(VALU_DEP_4) | instskip(NEXT) | instid1(VALU_DEP_4)
	v_add_f64_e32 v[4:5], v[8:9], v[4:5]
	v_add_f64_e32 v[6:7], v[10:11], v[6:7]
	s_delay_alu instid0(VALU_DEP_2) | instskip(NEXT) | instid1(VALU_DEP_2)
	v_add_f64_e32 v[0:1], v[4:5], v[0:1]
	v_add_f64_e32 v[2:3], v[6:7], v[2:3]
	s_delay_alu instid0(VALU_DEP_2) | instskip(NEXT) | instid1(VALU_DEP_2)
	v_add_f64_e64 v[0:1], v[138:139], -v[0:1]
	v_add_f64_e64 v[2:3], v[140:141], -v[2:3]
	scratch_store_b128 off, v[0:3], off offset:16
	s_wait_alu 0xfffe
	s_cbranch_vccz .LBB47_396
; %bb.302:
	global_load_b32 v0, v40, s[2:3] offset:184
	s_wait_loadcnt 0x0
	v_cmp_ne_u32_e32 vcc_lo, 47, v0
	s_cbranch_vccz .LBB47_304
; %bb.303:
	v_lshlrev_b32_e32 v0, 4, v0
	s_delay_alu instid0(VALU_DEP_1)
	v_add_nc_u32_e32 v8, 16, v0
	s_clause 0x1
	scratch_load_b128 v[0:3], v8, off offset:-16
	scratch_load_b128 v[4:7], off, s26
	s_wait_loadcnt 0x1
	scratch_store_b128 off, v[0:3], s26
	s_wait_loadcnt 0x0
	scratch_store_b128 v8, v[4:7], off offset:-16
.LBB47_304:
	v_mov_b32_e32 v0, 0
	global_load_b32 v1, v0, s[2:3] offset:180
	s_wait_loadcnt 0x0
	v_cmp_eq_u32_e32 vcc_lo, 46, v1
	s_cbranch_vccnz .LBB47_306
; %bb.305:
	v_lshlrev_b32_e32 v1, 4, v1
	s_delay_alu instid0(VALU_DEP_1)
	v_add_nc_u32_e32 v9, 16, v1
	s_clause 0x1
	scratch_load_b128 v[1:4], v9, off offset:-16
	scratch_load_b128 v[5:8], off, s25
	s_wait_loadcnt 0x1
	scratch_store_b128 off, v[1:4], s25
	s_wait_loadcnt 0x0
	scratch_store_b128 v9, v[5:8], off offset:-16
.LBB47_306:
	global_load_b32 v0, v0, s[2:3] offset:176
	s_wait_loadcnt 0x0
	v_cmp_eq_u32_e32 vcc_lo, 45, v0
	s_cbranch_vccnz .LBB47_308
; %bb.307:
	v_lshlrev_b32_e32 v0, 4, v0
	s_delay_alu instid0(VALU_DEP_1)
	v_add_nc_u32_e32 v8, 16, v0
	s_clause 0x1
	scratch_load_b128 v[0:3], v8, off offset:-16
	scratch_load_b128 v[4:7], off, s30
	s_wait_loadcnt 0x1
	scratch_store_b128 off, v[0:3], s30
	s_wait_loadcnt 0x0
	scratch_store_b128 v8, v[4:7], off offset:-16
.LBB47_308:
	v_mov_b32_e32 v0, 0
	global_load_b32 v1, v0, s[2:3] offset:172
	s_wait_loadcnt 0x0
	v_cmp_eq_u32_e32 vcc_lo, 44, v1
	s_cbranch_vccnz .LBB47_310
; %bb.309:
	v_lshlrev_b32_e32 v1, 4, v1
	s_delay_alu instid0(VALU_DEP_1)
	v_add_nc_u32_e32 v9, 16, v1
	s_clause 0x1
	scratch_load_b128 v[1:4], v9, off offset:-16
	scratch_load_b128 v[5:8], off, s29
	s_wait_loadcnt 0x1
	scratch_store_b128 off, v[1:4], s29
	s_wait_loadcnt 0x0
	scratch_store_b128 v9, v[5:8], off offset:-16
.LBB47_310:
	global_load_b32 v0, v0, s[2:3] offset:168
	s_wait_loadcnt 0x0
	v_cmp_eq_u32_e32 vcc_lo, 43, v0
	s_cbranch_vccnz .LBB47_312
; %bb.311:
	v_lshlrev_b32_e32 v0, 4, v0
	s_delay_alu instid0(VALU_DEP_1)
	v_add_nc_u32_e32 v8, 16, v0
	s_clause 0x1
	scratch_load_b128 v[0:3], v8, off offset:-16
	scratch_load_b128 v[4:7], off, s36
	s_wait_loadcnt 0x1
	scratch_store_b128 off, v[0:3], s36
	s_wait_loadcnt 0x0
	scratch_store_b128 v8, v[4:7], off offset:-16
.LBB47_312:
	;; [unrolled: 33-line block ×22, first 2 shown]
	v_mov_b32_e32 v0, 0
	global_load_b32 v1, v0, s[2:3] offset:4
	s_wait_loadcnt 0x0
	v_cmp_eq_u32_e32 vcc_lo, 2, v1
	s_cbranch_vccnz .LBB47_394
; %bb.393:
	v_lshlrev_b32_e32 v1, 4, v1
	s_delay_alu instid0(VALU_DEP_1)
	v_add_nc_u32_e32 v9, 16, v1
	s_clause 0x1
	scratch_load_b128 v[1:4], v9, off offset:-16
	scratch_load_b128 v[5:8], off, s46
	s_wait_loadcnt 0x1
	scratch_store_b128 off, v[1:4], s46
	s_wait_loadcnt 0x0
	scratch_store_b128 v9, v[5:8], off offset:-16
.LBB47_394:
	global_load_b32 v0, v0, s[2:3]
	s_wait_loadcnt 0x0
	v_cmp_eq_u32_e32 vcc_lo, 1, v0
	s_cbranch_vccnz .LBB47_396
; %bb.395:
	v_lshlrev_b32_e32 v0, 4, v0
	s_delay_alu instid0(VALU_DEP_1)
	v_add_nc_u32_e32 v8, 16, v0
	scratch_load_b128 v[0:3], v8, off offset:-16
	scratch_load_b128 v[4:7], off, off offset:16
	s_wait_loadcnt 0x1
	scratch_store_b128 off, v[0:3], off offset:16
	s_wait_loadcnt 0x0
	scratch_store_b128 v8, v[4:7], off offset:-16
.LBB47_396:
	scratch_load_b128 v[0:3], off, off offset:16
	s_clause 0xf
	scratch_load_b128 v[4:7], off, s46
	scratch_load_b128 v[8:11], off, s45
	;; [unrolled: 1-line block ×16, first 2 shown]
	s_wait_loadcnt 0x10
	global_store_b128 v[42:43], v[0:3], off
	scratch_load_b128 v[0:3], off, s40
	s_wait_loadcnt 0x10
	global_store_b128 v[44:45], v[4:7], off
	s_clause 0x1
	scratch_load_b128 v[4:7], off, s38
	scratch_load_b128 v[40:43], off, s39
	s_wait_loadcnt 0x11
	global_store_b128 v[46:47], v[8:11], off
	scratch_load_b128 v[8:11], off, s37
	s_wait_loadcnt 0x11
	global_store_b128 v[48:49], v[12:15], off
	;; [unrolled: 3-line block ×3, first 2 shown]
	s_clause 0x1
	scratch_load_b128 v[16:19], off, s31
	scratch_load_b128 v[44:47], off, s33
	s_wait_loadcnt 0x12
	global_store_b128 v[52:53], v[20:23], off
	s_clause 0x1
	scratch_load_b128 v[20:23], off, s27
	scratch_load_b128 v[48:51], off, s28
	s_wait_loadcnt 0x13
	global_store_b128 v[54:55], v[24:27], off
	s_wait_loadcnt 0x12
	global_store_b128 v[56:57], v[28:31], off
	s_clause 0x1
	scratch_load_b128 v[24:27], off, s23
	scratch_load_b128 v[28:31], off, s24
	s_wait_loadcnt 0x13
	global_store_b128 v[58:59], v[32:35], off
	s_clause 0x1
	scratch_load_b128 v[32:35], off, s21
	scratch_load_b128 v[52:55], off, s22
	s_wait_loadcnt 0x14
	global_store_b128 v[60:61], v[36:39], off
	s_clause 0x1
	scratch_load_b128 v[36:39], off, s19
	scratch_load_b128 v[56:59], off, s20
	s_wait_loadcnt 0x15
	global_store_b128 v[62:63], v[138:141], off
	s_wait_loadcnt 0x14
	global_store_b128 v[64:65], v[142:145], off
	s_clause 0x1
	scratch_load_b128 v[60:63], off, s14
	scratch_load_b128 v[138:141], off, s15
	s_wait_loadcnt 0x15
	global_store_b128 v[66:67], v[146:149], off
	;; [unrolled: 17-line block ×4, first 2 shown]
	s_clause 0x1
	scratch_load_b128 v[12:15], off, s25
	scratch_load_b128 v[76:79], off, s26
	s_wait_loadcnt 0x19
	global_store_b128 v[84:85], v[16:19], off
	s_wait_loadcnt 0x18
	global_store_b128 v[86:87], v[44:47], off
	;; [unrolled: 2-line block ×25, first 2 shown]
	s_wait_loadcnt 0x0
	s_clause 0x1
	global_store_b128 v[134:135], v[76:79], off
	global_store_b128 v[136:137], v[162:165], off
	s_nop 0
	s_sendmsg sendmsg(MSG_DEALLOC_VGPRS)
	s_endpgm
	.section	.rodata,"a",@progbits
	.p2align	6, 0x0
	.amdhsa_kernel _ZN9rocsolver6v33100L18getri_kernel_smallILi48E19rocblas_complex_numIdEPS3_EEvT1_iilPiilS6_bb
		.amdhsa_group_segment_fixed_size 1544
		.amdhsa_private_segment_fixed_size 800
		.amdhsa_kernarg_size 60
		.amdhsa_user_sgpr_count 2
		.amdhsa_user_sgpr_dispatch_ptr 0
		.amdhsa_user_sgpr_queue_ptr 0
		.amdhsa_user_sgpr_kernarg_segment_ptr 1
		.amdhsa_user_sgpr_dispatch_id 0
		.amdhsa_user_sgpr_private_segment_size 0
		.amdhsa_wavefront_size32 1
		.amdhsa_uses_dynamic_stack 0
		.amdhsa_enable_private_segment 1
		.amdhsa_system_sgpr_workgroup_id_x 1
		.amdhsa_system_sgpr_workgroup_id_y 0
		.amdhsa_system_sgpr_workgroup_id_z 0
		.amdhsa_system_sgpr_workgroup_info 0
		.amdhsa_system_vgpr_workitem_id 0
		.amdhsa_next_free_vgpr 182
		.amdhsa_next_free_sgpr 76
		.amdhsa_reserve_vcc 1
		.amdhsa_float_round_mode_32 0
		.amdhsa_float_round_mode_16_64 0
		.amdhsa_float_denorm_mode_32 3
		.amdhsa_float_denorm_mode_16_64 3
		.amdhsa_fp16_overflow 0
		.amdhsa_workgroup_processor_mode 1
		.amdhsa_memory_ordered 1
		.amdhsa_forward_progress 1
		.amdhsa_inst_pref_size 255
		.amdhsa_round_robin_scheduling 0
		.amdhsa_exception_fp_ieee_invalid_op 0
		.amdhsa_exception_fp_denorm_src 0
		.amdhsa_exception_fp_ieee_div_zero 0
		.amdhsa_exception_fp_ieee_overflow 0
		.amdhsa_exception_fp_ieee_underflow 0
		.amdhsa_exception_fp_ieee_inexact 0
		.amdhsa_exception_int_div_zero 0
	.end_amdhsa_kernel
	.section	.text._ZN9rocsolver6v33100L18getri_kernel_smallILi48E19rocblas_complex_numIdEPS3_EEvT1_iilPiilS6_bb,"axG",@progbits,_ZN9rocsolver6v33100L18getri_kernel_smallILi48E19rocblas_complex_numIdEPS3_EEvT1_iilPiilS6_bb,comdat
.Lfunc_end47:
	.size	_ZN9rocsolver6v33100L18getri_kernel_smallILi48E19rocblas_complex_numIdEPS3_EEvT1_iilPiilS6_bb, .Lfunc_end47-_ZN9rocsolver6v33100L18getri_kernel_smallILi48E19rocblas_complex_numIdEPS3_EEvT1_iilPiilS6_bb
                                        ; -- End function
	.set _ZN9rocsolver6v33100L18getri_kernel_smallILi48E19rocblas_complex_numIdEPS3_EEvT1_iilPiilS6_bb.num_vgpr, 182
	.set _ZN9rocsolver6v33100L18getri_kernel_smallILi48E19rocblas_complex_numIdEPS3_EEvT1_iilPiilS6_bb.num_agpr, 0
	.set _ZN9rocsolver6v33100L18getri_kernel_smallILi48E19rocblas_complex_numIdEPS3_EEvT1_iilPiilS6_bb.numbered_sgpr, 76
	.set _ZN9rocsolver6v33100L18getri_kernel_smallILi48E19rocblas_complex_numIdEPS3_EEvT1_iilPiilS6_bb.num_named_barrier, 0
	.set _ZN9rocsolver6v33100L18getri_kernel_smallILi48E19rocblas_complex_numIdEPS3_EEvT1_iilPiilS6_bb.private_seg_size, 800
	.set _ZN9rocsolver6v33100L18getri_kernel_smallILi48E19rocblas_complex_numIdEPS3_EEvT1_iilPiilS6_bb.uses_vcc, 1
	.set _ZN9rocsolver6v33100L18getri_kernel_smallILi48E19rocblas_complex_numIdEPS3_EEvT1_iilPiilS6_bb.uses_flat_scratch, 1
	.set _ZN9rocsolver6v33100L18getri_kernel_smallILi48E19rocblas_complex_numIdEPS3_EEvT1_iilPiilS6_bb.has_dyn_sized_stack, 0
	.set _ZN9rocsolver6v33100L18getri_kernel_smallILi48E19rocblas_complex_numIdEPS3_EEvT1_iilPiilS6_bb.has_recursion, 0
	.set _ZN9rocsolver6v33100L18getri_kernel_smallILi48E19rocblas_complex_numIdEPS3_EEvT1_iilPiilS6_bb.has_indirect_call, 0
	.section	.AMDGPU.csdata,"",@progbits
; Kernel info:
; codeLenInByte = 95492
; TotalNumSgprs: 78
; NumVgprs: 182
; ScratchSize: 800
; MemoryBound: 0
; FloatMode: 240
; IeeeMode: 1
; LDSByteSize: 1544 bytes/workgroup (compile time only)
; SGPRBlocks: 0
; VGPRBlocks: 22
; NumSGPRsForWavesPerEU: 78
; NumVGPRsForWavesPerEU: 182
; Occupancy: 8
; WaveLimiterHint : 1
; COMPUTE_PGM_RSRC2:SCRATCH_EN: 1
; COMPUTE_PGM_RSRC2:USER_SGPR: 2
; COMPUTE_PGM_RSRC2:TRAP_HANDLER: 0
; COMPUTE_PGM_RSRC2:TGID_X_EN: 1
; COMPUTE_PGM_RSRC2:TGID_Y_EN: 0
; COMPUTE_PGM_RSRC2:TGID_Z_EN: 0
; COMPUTE_PGM_RSRC2:TIDIG_COMP_CNT: 0
	.section	.text._ZN9rocsolver6v33100L18getri_kernel_smallILi49E19rocblas_complex_numIdEPS3_EEvT1_iilPiilS6_bb,"axG",@progbits,_ZN9rocsolver6v33100L18getri_kernel_smallILi49E19rocblas_complex_numIdEPS3_EEvT1_iilPiilS6_bb,comdat
	.globl	_ZN9rocsolver6v33100L18getri_kernel_smallILi49E19rocblas_complex_numIdEPS3_EEvT1_iilPiilS6_bb ; -- Begin function _ZN9rocsolver6v33100L18getri_kernel_smallILi49E19rocblas_complex_numIdEPS3_EEvT1_iilPiilS6_bb
	.p2align	8
	.type	_ZN9rocsolver6v33100L18getri_kernel_smallILi49E19rocblas_complex_numIdEPS3_EEvT1_iilPiilS6_bb,@function
_ZN9rocsolver6v33100L18getri_kernel_smallILi49E19rocblas_complex_numIdEPS3_EEvT1_iilPiilS6_bb: ; @_ZN9rocsolver6v33100L18getri_kernel_smallILi49E19rocblas_complex_numIdEPS3_EEvT1_iilPiilS6_bb
; %bb.0:
	s_mov_b32 s2, exec_lo
	v_cmpx_gt_u32_e32 49, v0
	s_cbranch_execz .LBB48_210
; %bb.1:
	s_clause 0x2
	s_load_b32 s2, s[0:1], 0x38
	s_load_b128 s[12:15], s[0:1], 0x10
	s_load_b128 s[4:7], s[0:1], 0x28
	s_mov_b32 s16, ttmp9
	s_wait_kmcnt 0x0
	s_bitcmp1_b32 s2, 8
	s_cselect_b32 s18, -1, 0
	s_bfe_u32 s2, s2, 0x10008
	s_ashr_i32 s17, ttmp9, 31
	s_cmp_eq_u32 s2, 0
                                        ; implicit-def: $sgpr2_sgpr3
	s_cbranch_scc1 .LBB48_3
; %bb.2:
	s_load_b32 s2, s[0:1], 0x20
	s_mul_u64 s[4:5], s[4:5], s[16:17]
	s_delay_alu instid0(SALU_CYCLE_1) | instskip(NEXT) | instid1(SALU_CYCLE_1)
	s_lshl_b64 s[4:5], s[4:5], 2
	s_add_nc_u64 s[4:5], s[14:15], s[4:5]
	s_wait_kmcnt 0x0
	s_ashr_i32 s3, s2, 31
	s_delay_alu instid0(SALU_CYCLE_1) | instskip(NEXT) | instid1(SALU_CYCLE_1)
	s_lshl_b64 s[2:3], s[2:3], 2
	s_add_nc_u64 s[2:3], s[4:5], s[2:3]
.LBB48_3:
	s_clause 0x1
	s_load_b128 s[8:11], s[0:1], 0x0
	s_load_b32 s58, s[0:1], 0x38
	s_mul_u64 s[0:1], s[12:13], s[16:17]
	v_lshlrev_b32_e32 v15, 4, v0
	s_lshl_b64 s[0:1], s[0:1], 4
	s_movk_i32 s12, 0xd0
	s_movk_i32 s13, 0xe0
	;; [unrolled: 1-line block ×15, first 2 shown]
	s_wait_kmcnt 0x0
	s_ashr_i32 s5, s10, 31
	s_mov_b32 s4, s10
	s_add_nc_u64 s[0:1], s[8:9], s[0:1]
	s_lshl_b64 s[4:5], s[4:5], 4
	v_add3_u32 v5, s11, s11, v0
	s_add_nc_u64 s[0:1], s[0:1], s[4:5]
	s_ashr_i32 s9, s11, 31
	global_load_b128 v[1:4], v15, s[0:1]
	v_add_co_u32 v42, s4, s0, v15
	v_add_nc_u32_e32 v7, s11, v5
	v_ashrrev_i32_e32 v6, 31, v5
	s_mov_b32 s8, s11
	v_add_co_ci_u32_e64 v43, null, s1, 0, s4
	s_delay_alu instid0(VALU_DEP_3)
	v_add_nc_u32_e32 v9, s11, v7
	v_ashrrev_i32_e32 v8, 31, v7
	v_lshlrev_b64_e32 v[5:6], 4, v[5:6]
	s_lshl_b64 s[8:9], s[8:9], 4
	s_movk_i32 s4, 0x70
	v_add_nc_u32_e32 v11, s11, v9
	v_ashrrev_i32_e32 v10, 31, v9
	v_lshlrev_b64_e32 v[7:8], 4, v[7:8]
	v_add_co_u32 v44, vcc_lo, v42, s8
	s_delay_alu instid0(VALU_DEP_4) | instskip(SKIP_3) | instid1(VALU_DEP_4)
	v_add_nc_u32_e32 v13, s11, v11
	v_ashrrev_i32_e32 v12, 31, v11
	v_lshlrev_b64_e32 v[9:10], 4, v[9:10]
	v_add_co_ci_u32_e64 v45, null, s9, v43, vcc_lo
	v_add_nc_u32_e32 v24, s11, v13
	v_ashrrev_i32_e32 v14, 31, v13
	v_add_co_u32 v46, vcc_lo, s0, v5
	v_lshlrev_b64_e32 v[11:12], 4, v[11:12]
	s_delay_alu instid0(VALU_DEP_4) | instskip(SKIP_3) | instid1(VALU_DEP_3)
	v_add_nc_u32_e32 v26, s11, v24
	s_wait_alu 0xfffd
	v_add_co_ci_u32_e64 v47, null, s1, v6, vcc_lo
	v_add_co_u32 v48, vcc_lo, s0, v7
	v_add_nc_u32_e32 v32, s11, v26
	v_lshlrev_b64_e32 v[13:14], 4, v[13:14]
	v_ashrrev_i32_e32 v25, 31, v24
	s_wait_alu 0xfffd
	v_add_co_ci_u32_e64 v49, null, s1, v8, vcc_lo
	v_add_nc_u32_e32 v34, s11, v32
	v_add_co_u32 v60, vcc_lo, s0, v9
	v_ashrrev_i32_e32 v27, 31, v26
	s_wait_alu 0xfffd
	v_add_co_ci_u32_e64 v61, null, s1, v10, vcc_lo
	v_add_co_u32 v54, vcc_lo, s0, v11
	s_wait_alu 0xfffd
	v_add_co_ci_u32_e64 v55, null, s1, v12, vcc_lo
	v_lshlrev_b64_e32 v[24:25], 4, v[24:25]
	v_add_co_u32 v56, vcc_lo, s0, v13
	v_add_nc_u32_e32 v40, s11, v34
	s_wait_alu 0xfffd
	v_add_co_ci_u32_e64 v57, null, s1, v14, vcc_lo
	v_lshlrev_b64_e32 v[13:14], 4, v[26:27]
	v_ashrrev_i32_e32 v33, 31, v32
	v_ashrrev_i32_e32 v35, 31, v34
	v_add_nc_u32_e32 v52, s11, v40
	v_add_co_u32 v50, vcc_lo, s0, v24
	v_ashrrev_i32_e32 v41, 31, v40
	s_wait_alu 0xfffd
	v_add_co_ci_u32_e64 v51, null, s1, v25, vcc_lo
	v_lshlrev_b64_e32 v[32:33], 4, v[32:33]
	v_add_co_u32 v68, vcc_lo, s0, v13
	s_wait_alu 0xfffd
	v_add_co_ci_u32_e64 v69, null, s1, v14, vcc_lo
	v_lshlrev_b64_e32 v[13:14], 4, v[34:35]
	v_add_nc_u32_e32 v58, s11, v52
	v_lshlrev_b64_e32 v[40:41], 4, v[40:41]
	v_ashrrev_i32_e32 v53, 31, v52
	v_add_co_u32 v62, vcc_lo, s0, v32
	s_delay_alu instid0(VALU_DEP_4)
	v_ashrrev_i32_e32 v59, 31, v58
	v_add_nc_u32_e32 v66, s11, v58
	s_wait_alu 0xfffd
	v_add_co_ci_u32_e64 v63, null, s1, v33, vcc_lo
	v_add_co_u32 v64, vcc_lo, s0, v13
	s_wait_alu 0xfffd
	v_add_co_ci_u32_e64 v65, null, s1, v14, vcc_lo
	v_lshlrev_b64_e32 v[13:14], 4, v[52:53]
	v_add_co_u32 v52, vcc_lo, s0, v40
	s_wait_alu 0xfffd
	v_add_co_ci_u32_e64 v53, null, s1, v41, vcc_lo
	v_lshlrev_b64_e32 v[40:41], 4, v[58:59]
	v_add_nc_u32_e32 v58, s11, v66
	v_ashrrev_i32_e32 v67, 31, v66
	v_add_co_u32 v76, vcc_lo, s0, v13
	s_wait_alu 0xfffd
	v_add_co_ci_u32_e64 v77, null, s1, v14, vcc_lo
	v_add_nc_u32_e32 v72, s11, v58
	v_lshlrev_b64_e32 v[13:14], 4, v[66:67]
	v_ashrrev_i32_e32 v59, 31, v58
	v_add_co_u32 v66, vcc_lo, s0, v40
	s_delay_alu instid0(VALU_DEP_4)
	v_ashrrev_i32_e32 v73, 31, v72
	v_add_nc_u32_e32 v74, s11, v72
	s_wait_alu 0xfffd
	v_add_co_ci_u32_e64 v67, null, s1, v41, vcc_lo
	v_lshlrev_b64_e32 v[40:41], 4, v[58:59]
	v_add_co_u32 v70, vcc_lo, s0, v13
	s_wait_alu 0xfffd
	v_add_co_ci_u32_e64 v71, null, s1, v14, vcc_lo
	v_lshlrev_b64_e32 v[13:14], 4, v[72:73]
	v_ashrrev_i32_e32 v75, 31, v74
	v_add_nc_u32_e32 v72, s11, v74
	v_add_co_u32 v58, vcc_lo, s0, v40
	s_wait_alu 0xfffd
	v_add_co_ci_u32_e64 v59, null, s1, v41, vcc_lo
	v_lshlrev_b64_e32 v[40:41], 4, v[74:75]
	v_add_nc_u32_e32 v74, s11, v72
	v_ashrrev_i32_e32 v73, 31, v72
	v_add_co_u32 v80, vcc_lo, s0, v13
	s_wait_alu 0xfffd
	v_add_co_ci_u32_e64 v81, null, s1, v14, vcc_lo
	v_add_nc_u32_e32 v82, s11, v74
	v_lshlrev_b64_e32 v[13:14], 4, v[72:73]
	v_ashrrev_i32_e32 v75, 31, v74
	v_add_co_u32 v78, vcc_lo, s0, v40
	s_delay_alu instid0(VALU_DEP_4)
	v_add_nc_u32_e32 v84, s11, v82
	v_ashrrev_i32_e32 v83, 31, v82
	s_wait_alu 0xfffd
	v_add_co_ci_u32_e64 v79, null, s1, v41, vcc_lo
	v_lshlrev_b64_e32 v[40:41], 4, v[74:75]
	v_add_nc_u32_e32 v86, s11, v84
	v_add_co_u32 v72, vcc_lo, s0, v13
	s_wait_alu 0xfffd
	v_add_co_ci_u32_e64 v73, null, s1, v14, vcc_lo
	s_delay_alu instid0(VALU_DEP_3)
	v_add_nc_u32_e32 v88, s11, v86
	v_lshlrev_b64_e32 v[13:14], 4, v[82:83]
	v_ashrrev_i32_e32 v85, 31, v84
	v_ashrrev_i32_e32 v87, 31, v86
	v_add_co_u32 v74, vcc_lo, s0, v40
	v_add_nc_u32_e32 v90, s11, v88
	s_wait_alu 0xfffd
	v_add_co_ci_u32_e64 v75, null, s1, v41, vcc_lo
	v_lshlrev_b64_e32 v[40:41], 4, v[84:85]
	v_add_co_u32 v82, vcc_lo, s0, v13
	v_add_nc_u32_e32 v92, s11, v90
	s_wait_alu 0xfffd
	v_add_co_ci_u32_e64 v83, null, s1, v14, vcc_lo
	v_lshlrev_b64_e32 v[13:14], 4, v[86:87]
	v_ashrrev_i32_e32 v89, 31, v88
	v_add_nc_u32_e32 v94, s11, v92
	v_ashrrev_i32_e32 v91, 31, v90
	v_add_co_u32 v84, vcc_lo, s0, v40
	s_wait_alu 0xfffd
	v_add_co_ci_u32_e64 v85, null, s1, v41, vcc_lo
	v_add_nc_u32_e32 v96, s11, v94
	v_lshlrev_b64_e32 v[40:41], 4, v[88:89]
	v_add_co_u32 v86, vcc_lo, s0, v13
	s_wait_alu 0xfffd
	v_add_co_ci_u32_e64 v87, null, s1, v14, vcc_lo
	v_add_nc_u32_e32 v98, s11, v96
	v_lshlrev_b64_e32 v[13:14], 4, v[90:91]
	v_ashrrev_i32_e32 v93, 31, v92
	v_ashrrev_i32_e32 v95, 31, v94
	v_add_co_u32 v88, vcc_lo, s0, v40
	v_add_nc_u32_e32 v100, s11, v98
	s_wait_alu 0xfffd
	v_add_co_ci_u32_e64 v89, null, s1, v41, vcc_lo
	v_lshlrev_b64_e32 v[40:41], 4, v[92:93]
	v_add_co_u32 v90, vcc_lo, s0, v13
	v_add_nc_u32_e32 v102, s11, v100
	s_wait_alu 0xfffd
	v_add_co_ci_u32_e64 v91, null, s1, v14, vcc_lo
	v_lshlrev_b64_e32 v[13:14], 4, v[94:95]
	v_ashrrev_i32_e32 v97, 31, v96
	v_add_nc_u32_e32 v104, s11, v102
	v_ashrrev_i32_e32 v99, 31, v98
	v_add_co_u32 v92, vcc_lo, s0, v40
	s_wait_alu 0xfffd
	v_add_co_ci_u32_e64 v93, null, s1, v41, vcc_lo
	v_add_nc_u32_e32 v106, s11, v104
	v_lshlrev_b64_e32 v[40:41], 4, v[96:97]
	v_add_co_u32 v94, vcc_lo, s0, v13
	s_wait_alu 0xfffd
	v_add_co_ci_u32_e64 v95, null, s1, v14, vcc_lo
	;; [unrolled: 25-line block ×3, first 2 shown]
	v_lshlrev_b64_e32 v[13:14], 4, v[106:107]
	v_add_nc_u32_e32 v118, s11, v116
	v_ashrrev_i32_e32 v109, 31, v108
	v_ashrrev_i32_e32 v111, 31, v110
	v_add_co_u32 v104, vcc_lo, s0, v40
	s_delay_alu instid0(VALU_DEP_4)
	v_add_nc_u32_e32 v120, s11, v118
	s_wait_alu 0xfffd
	v_add_co_ci_u32_e64 v105, null, s1, v41, vcc_lo
	v_lshlrev_b64_e32 v[40:41], 4, v[108:109]
	v_add_co_u32 v106, vcc_lo, s0, v13
	s_wait_alu 0xfffd
	v_add_co_ci_u32_e64 v107, null, s1, v14, vcc_lo
	v_lshlrev_b64_e32 v[13:14], 4, v[110:111]
	v_ashrrev_i32_e32 v113, 31, v112
	v_add_nc_u32_e32 v122, s11, v120
	v_ashrrev_i32_e32 v115, 31, v114
	v_add_co_u32 v108, vcc_lo, s0, v40
	s_wait_alu 0xfffd
	v_add_co_ci_u32_e64 v109, null, s1, v41, vcc_lo
	v_lshlrev_b64_e32 v[40:41], 4, v[112:113]
	v_add_co_u32 v110, vcc_lo, s0, v13
	v_add_nc_u32_e32 v124, s11, v122
	s_wait_alu 0xfffd
	v_add_co_ci_u32_e64 v111, null, s1, v14, vcc_lo
	v_lshlrev_b64_e32 v[13:14], 4, v[114:115]
	v_ashrrev_i32_e32 v117, 31, v116
	v_ashrrev_i32_e32 v119, 31, v118
	v_add_co_u32 v112, vcc_lo, s0, v40
	v_add_nc_u32_e32 v126, s11, v124
	s_wait_alu 0xfffd
	v_add_co_ci_u32_e64 v113, null, s1, v41, vcc_lo
	v_lshlrev_b64_e32 v[40:41], 4, v[116:117]
	v_add_co_u32 v114, vcc_lo, s0, v13
	s_wait_alu 0xfffd
	v_add_co_ci_u32_e64 v115, null, s1, v14, vcc_lo
	v_lshlrev_b64_e32 v[13:14], 4, v[118:119]
	v_ashrrev_i32_e32 v121, 31, v120
	v_add_nc_u32_e32 v128, s11, v126
	v_ashrrev_i32_e32 v123, 31, v122
	v_add_co_u32 v116, vcc_lo, s0, v40
	s_wait_alu 0xfffd
	v_add_co_ci_u32_e64 v117, null, s1, v41, vcc_lo
	v_lshlrev_b64_e32 v[40:41], 4, v[120:121]
	v_add_co_u32 v118, vcc_lo, s0, v13
	v_add_nc_u32_e32 v130, s11, v128
	s_wait_alu 0xfffd
	v_add_co_ci_u32_e64 v119, null, s1, v14, vcc_lo
	v_lshlrev_b64_e32 v[13:14], 4, v[122:123]
	v_ashrrev_i32_e32 v125, 31, v124
	v_ashrrev_i32_e32 v127, 31, v126
	v_add_nc_u32_e32 v132, s11, v130
	v_add_co_u32 v120, vcc_lo, s0, v40
	s_wait_alu 0xfffd
	v_add_co_ci_u32_e64 v121, null, s1, v41, vcc_lo
	v_lshlrev_b64_e32 v[40:41], 4, v[124:125]
	v_add_co_u32 v122, vcc_lo, s0, v13
	s_wait_alu 0xfffd
	v_add_co_ci_u32_e64 v123, null, s1, v14, vcc_lo
	v_lshlrev_b64_e32 v[13:14], 4, v[126:127]
	v_add_nc_u32_e32 v134, s11, v132
	v_ashrrev_i32_e32 v129, 31, v128
	v_ashrrev_i32_e32 v131, 31, v130
	v_add_co_u32 v124, vcc_lo, s0, v40
	s_delay_alu instid0(VALU_DEP_4)
	v_add_nc_u32_e32 v136, s11, v134
	s_wait_alu 0xfffd
	v_add_co_ci_u32_e64 v125, null, s1, v41, vcc_lo
	v_lshlrev_b64_e32 v[40:41], 4, v[128:129]
	v_add_co_u32 v126, vcc_lo, s0, v13
	s_wait_alu 0xfffd
	v_add_co_ci_u32_e64 v127, null, s1, v14, vcc_lo
	v_lshlrev_b64_e32 v[13:14], 4, v[130:131]
	v_ashrrev_i32_e32 v133, 31, v132
	s_clause 0xd
	global_load_b128 v[5:8], v[44:45], off
	global_load_b128 v[16:19], v[46:47], off
	;; [unrolled: 1-line block ×14, first 2 shown]
	v_ashrrev_i32_e32 v135, 31, v134
	v_add_co_u32 v128, vcc_lo, s0, v40
	v_ashrrev_i32_e32 v137, 31, v136
	s_wait_alu 0xfffd
	v_add_co_ci_u32_e64 v129, null, s1, v41, vcc_lo
	s_wait_loadcnt 0xe
	scratch_store_b128 off, v[1:4], off offset:16
	v_add_nc_u32_e32 v1, s11, v136
	v_lshlrev_b64_e32 v[40:41], 4, v[132:133]
	v_add_co_u32 v130, vcc_lo, s0, v13
	s_wait_alu 0xfffd
	v_add_co_ci_u32_e64 v131, null, s1, v14, vcc_lo
	v_ashrrev_i32_e32 v2, 31, v1
	v_lshlrev_b64_e32 v[13:14], 4, v[134:135]
	v_lshlrev_b64_e32 v[3:4], 4, v[136:137]
	v_add_co_u32 v132, vcc_lo, s0, v40
	s_delay_alu instid0(VALU_DEP_4)
	v_lshlrev_b64_e32 v[1:2], 4, v[1:2]
	s_wait_alu 0xfffd
	v_add_co_ci_u32_e64 v133, null, s1, v41, vcc_lo
	v_add_co_u32 v134, vcc_lo, s0, v13
	s_wait_alu 0xfffd
	v_add_co_ci_u32_e64 v135, null, s1, v14, vcc_lo
	v_add_co_u32 v136, vcc_lo, s0, v3
	;; [unrolled: 3-line block ×3, first 2 shown]
	global_load_b128 v[164:167], v[58:59], off
	s_wait_alu 0xfffd
	v_add_co_ci_u32_e64 v139, null, s1, v2, vcc_lo
	global_load_b128 v[1:4], v[80:81], off
	s_wait_loadcnt 0xf
	scratch_store_b128 off, v[5:8], off offset:32
	s_wait_loadcnt 0xe
	scratch_store_b128 off, v[16:19], off offset:48
	s_clause 0x1
	global_load_b128 v[5:8], v[78:79], off
	global_load_b128 v[16:19], v[72:73], off
	s_wait_loadcnt 0xf
	scratch_store_b128 off, v[9:12], off offset:64
	s_wait_loadcnt 0xe
	scratch_store_b128 off, v[20:23], off offset:80
	s_clause 0x1
	global_load_b128 v[9:12], v[74:75], off
	;; [unrolled: 7-line block ×7, first 2 shown]
	global_load_b128 v[160:163], v[102:103], off
	s_movk_i32 s0, 0x50
	s_movk_i32 s1, 0x60
	s_movk_i32 s5, 0x80
	s_movk_i32 s8, 0x90
	s_movk_i32 s9, 0xa0
	s_movk_i32 s10, 0xb0
	s_movk_i32 s11, 0xc0
	s_movk_i32 s59, 0x1c0
	s_movk_i32 s60, 0x1d0
	s_movk_i32 s61, 0x1e0
	s_movk_i32 s62, 0x1f0
	s_movk_i32 s63, 0x200
	s_movk_i32 s64, 0x210
	s_movk_i32 s65, 0x220
	s_movk_i32 s66, 0x230
	s_movk_i32 s67, 0x240
	s_movk_i32 s68, 0x250
	s_movk_i32 s69, 0x260
	s_movk_i32 s70, 0x270
	s_movk_i32 s71, 0x280
	s_movk_i32 s72, 0x290
	s_movk_i32 s73, 0x2a0
	s_movk_i32 s74, 0x2b0
	s_movk_i32 s75, 0x2c0
	s_wait_loadcnt 0xf
	scratch_store_b128 off, v[164:167], off offset:256
	global_load_b128 v[164:167], v[104:105], off
	s_movk_i32 s76, 0x2d0
	s_wait_loadcnt 0xf
	scratch_store_b128 off, v[1:4], off offset:272
	global_load_b128 v[1:4], v[106:107], off
	s_wait_loadcnt 0xf
	scratch_store_b128 off, v[5:8], off offset:288
	s_wait_loadcnt 0xe
	scratch_store_b128 off, v[16:19], off offset:304
	s_clause 0x1
	global_load_b128 v[5:8], v[108:109], off
	global_load_b128 v[16:19], v[110:111], off
	s_wait_loadcnt 0xf
	scratch_store_b128 off, v[9:12], off offset:320
	s_wait_loadcnt 0xe
	scratch_store_b128 off, v[20:23], off offset:336
	s_clause 0x1
	global_load_b128 v[9:12], v[112:113], off
	;; [unrolled: 7-line block ×7, first 2 shown]
	global_load_b128 v[160:163], v[134:135], off
	s_movk_i32 s77, 0x2e0
	s_movk_i32 s78, 0x2f0
	;; [unrolled: 1-line block ×3, first 2 shown]
	s_wait_alu 0xfffe
	s_add_co_i32 s57, s0, 16
	s_add_co_i32 s56, s1, 16
	;; [unrolled: 1-line block ×21, first 2 shown]
	s_wait_loadcnt 0xf
	scratch_store_b128 off, v[164:167], off offset:512
	global_load_b128 v[164:167], v[136:137], off
	s_add_co_i32 s31, s28, 16
	s_wait_loadcnt 0xf
	scratch_store_b128 off, v[1:4], off offset:528
	global_load_b128 v[1:4], v[138:139], off
	s_add_co_i32 s30, s29, 16
	s_add_co_i32 s29, s59, 16
	s_add_co_i32 s27, s60, 16
	s_add_co_i32 s28, s61, 16
	s_add_co_i32 s26, s62, 16
	s_add_co_i32 s25, s63, 16
	s_add_co_i32 s24, s64, 16
	s_add_co_i32 s23, s65, 16
	s_add_co_i32 s21, s66, 16
	s_add_co_i32 s22, s67, 16
	s_add_co_i32 s20, s68, 16
	s_add_co_i32 s19, s69, 16
	s_add_co_i32 s15, s70, 16
	s_add_co_i32 s11, s71, 16
	s_add_co_i32 s9, s72, 16
	s_add_co_i32 s10, s73, 16
	s_add_co_i32 s8, s74, 16
	s_add_co_i32 s5, s75, 16
	s_add_co_i32 s4, s76, 16
	s_add_co_i32 s14, s77, 16
	s_add_co_i32 s12, s78, 16
	s_add_co_i32 s13, s79, 16
	s_mov_b32 s43, 32
	s_mov_b32 s41, 48
	;; [unrolled: 1-line block ×3, first 2 shown]
	s_movk_i32 s37, 0x50
	s_bitcmp0_b32 s58, 0
	s_mov_b32 s1, -1
	s_wait_loadcnt 0xf
	scratch_store_b128 off, v[5:8], off offset:544
	s_wait_loadcnt 0xe
	scratch_store_b128 off, v[16:19], off offset:560
	;; [unrolled: 2-line block ×16, first 2 shown]
	s_cbranch_scc1 .LBB48_208
; %bb.4:
	v_cmp_eq_u32_e64 s0, 0, v0
	s_and_saveexec_b32 s1, s0
; %bb.5:
	v_mov_b32_e32 v1, 0
	ds_store_b32 v1, v1 offset:1568
; %bb.6:
	s_wait_alu 0xfffe
	s_or_b32 exec_lo, exec_lo, s1
	s_wait_storecnt_dscnt 0x0
	s_barrier_signal -1
	s_barrier_wait -1
	global_inv scope:SCOPE_SE
	scratch_load_b128 v[1:4], v15, off offset:16
	s_wait_loadcnt 0x0
	v_cmp_eq_f64_e32 vcc_lo, 0, v[1:2]
	v_cmp_eq_f64_e64 s1, 0, v[3:4]
	s_and_b32 s1, vcc_lo, s1
	s_wait_alu 0xfffe
	s_and_saveexec_b32 s58, s1
	s_cbranch_execz .LBB48_10
; %bb.7:
	v_mov_b32_e32 v1, 0
	s_mov_b32 s59, 0
	ds_load_b32 v2, v1 offset:1568
	s_wait_dscnt 0x0
	v_readfirstlane_b32 s1, v2
	v_add_nc_u32_e32 v2, 1, v0
	s_cmp_eq_u32 s1, 0
	s_delay_alu instid0(VALU_DEP_1) | instskip(SKIP_1) | instid1(SALU_CYCLE_1)
	v_cmp_gt_i32_e32 vcc_lo, s1, v2
	s_cselect_b32 s60, -1, 0
	s_or_b32 s60, s60, vcc_lo
	s_delay_alu instid0(SALU_CYCLE_1)
	s_and_b32 exec_lo, exec_lo, s60
	s_cbranch_execz .LBB48_10
; %bb.8:
	v_mov_b32_e32 v3, s1
.LBB48_9:                               ; =>This Inner Loop Header: Depth=1
	ds_cmpstore_rtn_b32 v3, v1, v2, v3 offset:1568
	s_wait_dscnt 0x0
	v_cmp_ne_u32_e32 vcc_lo, 0, v3
	v_cmp_le_i32_e64 s1, v3, v2
	s_and_b32 s1, vcc_lo, s1
	s_wait_alu 0xfffe
	s_and_b32 s1, exec_lo, s1
	s_wait_alu 0xfffe
	s_or_b32 s59, s1, s59
	s_delay_alu instid0(SALU_CYCLE_1)
	s_and_not1_b32 exec_lo, exec_lo, s59
	s_cbranch_execnz .LBB48_9
.LBB48_10:
	s_or_b32 exec_lo, exec_lo, s58
	v_mov_b32_e32 v1, 0
	s_barrier_signal -1
	s_barrier_wait -1
	global_inv scope:SCOPE_SE
	ds_load_b32 v2, v1 offset:1568
	s_and_saveexec_b32 s1, s0
	s_cbranch_execz .LBB48_12
; %bb.11:
	s_lshl_b64 s[58:59], s[16:17], 2
	s_delay_alu instid0(SALU_CYCLE_1)
	s_add_nc_u64 s[58:59], s[6:7], s[58:59]
	s_wait_dscnt 0x0
	global_store_b32 v1, v2, s[58:59]
.LBB48_12:
	s_wait_alu 0xfffe
	s_or_b32 exec_lo, exec_lo, s1
	s_wait_dscnt 0x0
	v_cmp_ne_u32_e32 vcc_lo, 0, v2
	s_mov_b32 s1, 0
	s_cbranch_vccnz .LBB48_208
; %bb.13:
	v_add_nc_u32_e32 v13, 16, v15
                                        ; implicit-def: $vgpr1_vgpr2
                                        ; implicit-def: $vgpr9_vgpr10
	scratch_load_b128 v[5:8], v13, off
	s_wait_loadcnt 0x0
	v_cmp_ngt_f64_e64 s1, |v[5:6]|, |v[7:8]|
	s_wait_alu 0xfffe
	s_and_saveexec_b32 s58, s1
	s_delay_alu instid0(SALU_CYCLE_1)
	s_xor_b32 s1, exec_lo, s58
	s_cbranch_execz .LBB48_15
; %bb.14:
	v_div_scale_f64 v[1:2], null, v[7:8], v[7:8], v[5:6]
	v_div_scale_f64 v[11:12], vcc_lo, v[5:6], v[7:8], v[5:6]
	s_delay_alu instid0(VALU_DEP_2) | instskip(NEXT) | instid1(TRANS32_DEP_1)
	v_rcp_f64_e32 v[3:4], v[1:2]
	v_fma_f64 v[9:10], -v[1:2], v[3:4], 1.0
	s_delay_alu instid0(VALU_DEP_1) | instskip(NEXT) | instid1(VALU_DEP_1)
	v_fma_f64 v[3:4], v[3:4], v[9:10], v[3:4]
	v_fma_f64 v[9:10], -v[1:2], v[3:4], 1.0
	s_delay_alu instid0(VALU_DEP_1) | instskip(NEXT) | instid1(VALU_DEP_1)
	v_fma_f64 v[3:4], v[3:4], v[9:10], v[3:4]
	v_mul_f64_e32 v[9:10], v[11:12], v[3:4]
	s_delay_alu instid0(VALU_DEP_1) | instskip(SKIP_1) | instid1(VALU_DEP_1)
	v_fma_f64 v[1:2], -v[1:2], v[9:10], v[11:12]
	s_wait_alu 0xfffd
	v_div_fmas_f64 v[1:2], v[1:2], v[3:4], v[9:10]
	s_delay_alu instid0(VALU_DEP_1) | instskip(NEXT) | instid1(VALU_DEP_1)
	v_div_fixup_f64 v[1:2], v[1:2], v[7:8], v[5:6]
	v_fma_f64 v[3:4], v[5:6], v[1:2], v[7:8]
	s_delay_alu instid0(VALU_DEP_1) | instskip(SKIP_1) | instid1(VALU_DEP_2)
	v_div_scale_f64 v[5:6], null, v[3:4], v[3:4], 1.0
	v_div_scale_f64 v[11:12], vcc_lo, 1.0, v[3:4], 1.0
	v_rcp_f64_e32 v[7:8], v[5:6]
	s_delay_alu instid0(TRANS32_DEP_1) | instskip(NEXT) | instid1(VALU_DEP_1)
	v_fma_f64 v[9:10], -v[5:6], v[7:8], 1.0
	v_fma_f64 v[7:8], v[7:8], v[9:10], v[7:8]
	s_delay_alu instid0(VALU_DEP_1) | instskip(NEXT) | instid1(VALU_DEP_1)
	v_fma_f64 v[9:10], -v[5:6], v[7:8], 1.0
	v_fma_f64 v[7:8], v[7:8], v[9:10], v[7:8]
	s_delay_alu instid0(VALU_DEP_1) | instskip(NEXT) | instid1(VALU_DEP_1)
	v_mul_f64_e32 v[9:10], v[11:12], v[7:8]
	v_fma_f64 v[5:6], -v[5:6], v[9:10], v[11:12]
	s_wait_alu 0xfffd
	s_delay_alu instid0(VALU_DEP_1) | instskip(NEXT) | instid1(VALU_DEP_1)
	v_div_fmas_f64 v[5:6], v[5:6], v[7:8], v[9:10]
	v_div_fixup_f64 v[3:4], v[5:6], v[3:4], 1.0
                                        ; implicit-def: $vgpr5_vgpr6
	s_delay_alu instid0(VALU_DEP_1) | instskip(SKIP_1) | instid1(VALU_DEP_2)
	v_mul_f64_e32 v[1:2], v[1:2], v[3:4]
	v_xor_b32_e32 v4, 0x80000000, v4
	v_xor_b32_e32 v10, 0x80000000, v2
	s_delay_alu instid0(VALU_DEP_3)
	v_mov_b32_e32 v9, v1
.LBB48_15:
	s_wait_alu 0xfffe
	s_and_not1_saveexec_b32 s1, s1
	s_cbranch_execz .LBB48_17
; %bb.16:
	v_div_scale_f64 v[1:2], null, v[5:6], v[5:6], v[7:8]
	v_div_scale_f64 v[11:12], vcc_lo, v[7:8], v[5:6], v[7:8]
	s_delay_alu instid0(VALU_DEP_2) | instskip(NEXT) | instid1(TRANS32_DEP_1)
	v_rcp_f64_e32 v[3:4], v[1:2]
	v_fma_f64 v[9:10], -v[1:2], v[3:4], 1.0
	s_delay_alu instid0(VALU_DEP_1) | instskip(NEXT) | instid1(VALU_DEP_1)
	v_fma_f64 v[3:4], v[3:4], v[9:10], v[3:4]
	v_fma_f64 v[9:10], -v[1:2], v[3:4], 1.0
	s_delay_alu instid0(VALU_DEP_1) | instskip(NEXT) | instid1(VALU_DEP_1)
	v_fma_f64 v[3:4], v[3:4], v[9:10], v[3:4]
	v_mul_f64_e32 v[9:10], v[11:12], v[3:4]
	s_delay_alu instid0(VALU_DEP_1) | instskip(SKIP_1) | instid1(VALU_DEP_1)
	v_fma_f64 v[1:2], -v[1:2], v[9:10], v[11:12]
	s_wait_alu 0xfffd
	v_div_fmas_f64 v[1:2], v[1:2], v[3:4], v[9:10]
	s_delay_alu instid0(VALU_DEP_1) | instskip(NEXT) | instid1(VALU_DEP_1)
	v_div_fixup_f64 v[3:4], v[1:2], v[5:6], v[7:8]
	v_fma_f64 v[1:2], v[7:8], v[3:4], v[5:6]
	s_delay_alu instid0(VALU_DEP_1) | instskip(NEXT) | instid1(VALU_DEP_1)
	v_div_scale_f64 v[5:6], null, v[1:2], v[1:2], 1.0
	v_rcp_f64_e32 v[7:8], v[5:6]
	s_delay_alu instid0(TRANS32_DEP_1) | instskip(NEXT) | instid1(VALU_DEP_1)
	v_fma_f64 v[9:10], -v[5:6], v[7:8], 1.0
	v_fma_f64 v[7:8], v[7:8], v[9:10], v[7:8]
	s_delay_alu instid0(VALU_DEP_1) | instskip(NEXT) | instid1(VALU_DEP_1)
	v_fma_f64 v[9:10], -v[5:6], v[7:8], 1.0
	v_fma_f64 v[7:8], v[7:8], v[9:10], v[7:8]
	v_div_scale_f64 v[9:10], vcc_lo, 1.0, v[1:2], 1.0
	s_delay_alu instid0(VALU_DEP_1) | instskip(NEXT) | instid1(VALU_DEP_1)
	v_mul_f64_e32 v[11:12], v[9:10], v[7:8]
	v_fma_f64 v[5:6], -v[5:6], v[11:12], v[9:10]
	s_wait_alu 0xfffd
	s_delay_alu instid0(VALU_DEP_1) | instskip(NEXT) | instid1(VALU_DEP_1)
	v_div_fmas_f64 v[5:6], v[5:6], v[7:8], v[11:12]
	v_div_fixup_f64 v[1:2], v[5:6], v[1:2], 1.0
	s_delay_alu instid0(VALU_DEP_1)
	v_mul_f64_e64 v[3:4], v[3:4], -v[1:2]
	v_xor_b32_e32 v10, 0x80000000, v2
	v_mov_b32_e32 v9, v1
.LBB48_17:
	s_wait_alu 0xfffe
	s_or_b32 exec_lo, exec_lo, s1
	scratch_store_b128 v13, v[1:4], off
	scratch_load_b128 v[16:19], off, s43
	v_xor_b32_e32 v12, 0x80000000, v4
	v_mov_b32_e32 v11, v3
	v_add_nc_u32_e32 v5, 0x310, v15
	ds_store_b128 v15, v[9:12]
	s_wait_loadcnt 0x0
	ds_store_b128 v15, v[16:19] offset:784
	s_wait_storecnt_dscnt 0x0
	s_barrier_signal -1
	s_barrier_wait -1
	global_inv scope:SCOPE_SE
	s_and_saveexec_b32 s1, s0
	s_cbranch_execz .LBB48_19
; %bb.18:
	scratch_load_b128 v[1:4], v13, off
	ds_load_b128 v[6:9], v5
	v_mov_b32_e32 v10, 0
	ds_load_b128 v[16:19], v10 offset:16
	s_wait_loadcnt_dscnt 0x1
	v_mul_f64_e32 v[10:11], v[6:7], v[3:4]
	v_mul_f64_e32 v[3:4], v[8:9], v[3:4]
	s_delay_alu instid0(VALU_DEP_2) | instskip(NEXT) | instid1(VALU_DEP_2)
	v_fma_f64 v[8:9], v[8:9], v[1:2], v[10:11]
	v_fma_f64 v[1:2], v[6:7], v[1:2], -v[3:4]
	s_delay_alu instid0(VALU_DEP_2) | instskip(NEXT) | instid1(VALU_DEP_2)
	v_add_f64_e32 v[3:4], 0, v[8:9]
	v_add_f64_e32 v[1:2], 0, v[1:2]
	s_wait_dscnt 0x0
	s_delay_alu instid0(VALU_DEP_2) | instskip(NEXT) | instid1(VALU_DEP_2)
	v_mul_f64_e32 v[6:7], v[3:4], v[18:19]
	v_mul_f64_e32 v[8:9], v[1:2], v[18:19]
	s_delay_alu instid0(VALU_DEP_2) | instskip(NEXT) | instid1(VALU_DEP_2)
	v_fma_f64 v[1:2], v[1:2], v[16:17], -v[6:7]
	v_fma_f64 v[3:4], v[3:4], v[16:17], v[8:9]
	scratch_store_b128 off, v[1:4], off offset:32
.LBB48_19:
	s_wait_alu 0xfffe
	s_or_b32 exec_lo, exec_lo, s1
	s_wait_loadcnt 0x0
	s_wait_storecnt 0x0
	s_barrier_signal -1
	s_barrier_wait -1
	global_inv scope:SCOPE_SE
	scratch_load_b128 v[1:4], off, s41
	s_mov_b32 s1, exec_lo
	s_wait_loadcnt 0x0
	ds_store_b128 v5, v[1:4]
	s_wait_dscnt 0x0
	s_barrier_signal -1
	s_barrier_wait -1
	global_inv scope:SCOPE_SE
	v_cmpx_gt_u32_e32 2, v0
	s_cbranch_execz .LBB48_23
; %bb.20:
	scratch_load_b128 v[1:4], v13, off
	ds_load_b128 v[6:9], v5
	s_wait_loadcnt_dscnt 0x0
	v_mul_f64_e32 v[10:11], v[8:9], v[3:4]
	v_mul_f64_e32 v[3:4], v[6:7], v[3:4]
	s_delay_alu instid0(VALU_DEP_2) | instskip(NEXT) | instid1(VALU_DEP_2)
	v_fma_f64 v[6:7], v[6:7], v[1:2], -v[10:11]
	v_fma_f64 v[3:4], v[8:9], v[1:2], v[3:4]
	s_delay_alu instid0(VALU_DEP_2) | instskip(NEXT) | instid1(VALU_DEP_2)
	v_add_f64_e32 v[1:2], 0, v[6:7]
	v_add_f64_e32 v[3:4], 0, v[3:4]
	s_and_saveexec_b32 s58, s0
	s_cbranch_execz .LBB48_22
; %bb.21:
	scratch_load_b128 v[6:9], off, off offset:32
	v_mov_b32_e32 v10, 0
	ds_load_b128 v[16:19], v10 offset:800
	s_wait_loadcnt_dscnt 0x0
	v_mul_f64_e32 v[10:11], v[16:17], v[8:9]
	v_mul_f64_e32 v[8:9], v[18:19], v[8:9]
	s_delay_alu instid0(VALU_DEP_2) | instskip(NEXT) | instid1(VALU_DEP_2)
	v_fma_f64 v[10:11], v[18:19], v[6:7], v[10:11]
	v_fma_f64 v[6:7], v[16:17], v[6:7], -v[8:9]
	s_delay_alu instid0(VALU_DEP_2) | instskip(NEXT) | instid1(VALU_DEP_2)
	v_add_f64_e32 v[3:4], v[3:4], v[10:11]
	v_add_f64_e32 v[1:2], v[1:2], v[6:7]
.LBB48_22:
	s_or_b32 exec_lo, exec_lo, s58
	v_mov_b32_e32 v6, 0
	ds_load_b128 v[6:9], v6 offset:32
	s_wait_dscnt 0x0
	v_mul_f64_e32 v[10:11], v[3:4], v[8:9]
	v_mul_f64_e32 v[8:9], v[1:2], v[8:9]
	s_delay_alu instid0(VALU_DEP_2) | instskip(NEXT) | instid1(VALU_DEP_2)
	v_fma_f64 v[1:2], v[1:2], v[6:7], -v[10:11]
	v_fma_f64 v[3:4], v[3:4], v[6:7], v[8:9]
	scratch_store_b128 off, v[1:4], off offset:48
.LBB48_23:
	s_wait_alu 0xfffe
	s_or_b32 exec_lo, exec_lo, s1
	s_wait_loadcnt 0x0
	s_wait_storecnt 0x0
	s_barrier_signal -1
	s_barrier_wait -1
	global_inv scope:SCOPE_SE
	scratch_load_b128 v[1:4], off, s39
	v_add_nc_u32_e32 v6, -1, v0
	s_mov_b32 s0, exec_lo
	s_wait_loadcnt 0x0
	ds_store_b128 v5, v[1:4]
	s_wait_dscnt 0x0
	s_barrier_signal -1
	s_barrier_wait -1
	global_inv scope:SCOPE_SE
	v_cmpx_gt_u32_e32 3, v0
	s_cbranch_execz .LBB48_27
; %bb.24:
	v_dual_mov_b32 v1, 0 :: v_dual_add_nc_u32 v8, 0x310, v15
	v_mov_b32_e32 v3, 0
	v_dual_mov_b32 v2, 0 :: v_dual_add_nc_u32 v7, -1, v0
	v_mov_b32_e32 v4, 0
	v_or_b32_e32 v9, 8, v13
	s_mov_b32 s1, 0
.LBB48_25:                              ; =>This Inner Loop Header: Depth=1
	scratch_load_b128 v[16:19], v9, off offset:-8
	ds_load_b128 v[20:23], v8
	v_add_nc_u32_e32 v7, 1, v7
	v_add_nc_u32_e32 v8, 16, v8
	v_add_nc_u32_e32 v9, 16, v9
	s_delay_alu instid0(VALU_DEP_3)
	v_cmp_lt_u32_e32 vcc_lo, 1, v7
	s_wait_alu 0xfffe
	s_or_b32 s1, vcc_lo, s1
	s_wait_loadcnt_dscnt 0x0
	v_mul_f64_e32 v[10:11], v[22:23], v[18:19]
	v_mul_f64_e32 v[18:19], v[20:21], v[18:19]
	s_delay_alu instid0(VALU_DEP_2) | instskip(NEXT) | instid1(VALU_DEP_2)
	v_fma_f64 v[10:11], v[20:21], v[16:17], -v[10:11]
	v_fma_f64 v[16:17], v[22:23], v[16:17], v[18:19]
	s_delay_alu instid0(VALU_DEP_2) | instskip(NEXT) | instid1(VALU_DEP_2)
	v_add_f64_e32 v[3:4], v[3:4], v[10:11]
	v_add_f64_e32 v[1:2], v[1:2], v[16:17]
	s_wait_alu 0xfffe
	s_and_not1_b32 exec_lo, exec_lo, s1
	s_cbranch_execnz .LBB48_25
; %bb.26:
	s_or_b32 exec_lo, exec_lo, s1
	v_mov_b32_e32 v7, 0
	ds_load_b128 v[7:10], v7 offset:48
	s_wait_dscnt 0x0
	v_mul_f64_e32 v[11:12], v[1:2], v[9:10]
	v_mul_f64_e32 v[16:17], v[3:4], v[9:10]
	s_delay_alu instid0(VALU_DEP_2) | instskip(NEXT) | instid1(VALU_DEP_2)
	v_fma_f64 v[9:10], v[3:4], v[7:8], -v[11:12]
	v_fma_f64 v[11:12], v[1:2], v[7:8], v[16:17]
	scratch_store_b128 off, v[9:12], off offset:64
.LBB48_27:
	s_wait_alu 0xfffe
	s_or_b32 exec_lo, exec_lo, s0
	s_wait_loadcnt 0x0
	s_wait_storecnt 0x0
	s_barrier_signal -1
	s_barrier_wait -1
	global_inv scope:SCOPE_SE
	scratch_load_b128 v[1:4], off, s37
	s_mov_b32 s0, exec_lo
	s_wait_loadcnt 0x0
	ds_store_b128 v5, v[1:4]
	s_wait_dscnt 0x0
	s_barrier_signal -1
	s_barrier_wait -1
	global_inv scope:SCOPE_SE
	v_cmpx_gt_u32_e32 4, v0
	s_cbranch_execz .LBB48_31
; %bb.28:
	v_dual_mov_b32 v1, 0 :: v_dual_add_nc_u32 v8, 0x310, v15
	v_mov_b32_e32 v3, 0
	v_dual_mov_b32 v2, 0 :: v_dual_add_nc_u32 v7, -1, v0
	v_mov_b32_e32 v4, 0
	v_or_b32_e32 v9, 8, v13
	s_mov_b32 s1, 0
.LBB48_29:                              ; =>This Inner Loop Header: Depth=1
	scratch_load_b128 v[16:19], v9, off offset:-8
	ds_load_b128 v[20:23], v8
	v_add_nc_u32_e32 v7, 1, v7
	v_add_nc_u32_e32 v8, 16, v8
	v_add_nc_u32_e32 v9, 16, v9
	s_delay_alu instid0(VALU_DEP_3)
	v_cmp_lt_u32_e32 vcc_lo, 2, v7
	s_wait_alu 0xfffe
	s_or_b32 s1, vcc_lo, s1
	s_wait_loadcnt_dscnt 0x0
	v_mul_f64_e32 v[10:11], v[22:23], v[18:19]
	v_mul_f64_e32 v[18:19], v[20:21], v[18:19]
	s_delay_alu instid0(VALU_DEP_2) | instskip(NEXT) | instid1(VALU_DEP_2)
	v_fma_f64 v[10:11], v[20:21], v[16:17], -v[10:11]
	v_fma_f64 v[16:17], v[22:23], v[16:17], v[18:19]
	s_delay_alu instid0(VALU_DEP_2) | instskip(NEXT) | instid1(VALU_DEP_2)
	v_add_f64_e32 v[3:4], v[3:4], v[10:11]
	v_add_f64_e32 v[1:2], v[1:2], v[16:17]
	s_wait_alu 0xfffe
	s_and_not1_b32 exec_lo, exec_lo, s1
	s_cbranch_execnz .LBB48_29
; %bb.30:
	s_or_b32 exec_lo, exec_lo, s1
	v_mov_b32_e32 v7, 0
	ds_load_b128 v[7:10], v7 offset:64
	s_wait_dscnt 0x0
	v_mul_f64_e32 v[11:12], v[1:2], v[9:10]
	v_mul_f64_e32 v[16:17], v[3:4], v[9:10]
	s_delay_alu instid0(VALU_DEP_2) | instskip(NEXT) | instid1(VALU_DEP_2)
	v_fma_f64 v[9:10], v[3:4], v[7:8], -v[11:12]
	v_fma_f64 v[11:12], v[1:2], v[7:8], v[16:17]
	scratch_store_b128 off, v[9:12], off offset:80
.LBB48_31:
	s_wait_alu 0xfffe
	s_or_b32 exec_lo, exec_lo, s0
	s_wait_loadcnt 0x0
	s_wait_storecnt 0x0
	s_barrier_signal -1
	s_barrier_wait -1
	global_inv scope:SCOPE_SE
	scratch_load_b128 v[1:4], off, s57
	;; [unrolled: 58-line block ×19, first 2 shown]
	s_mov_b32 s0, exec_lo
	s_wait_loadcnt 0x0
	ds_store_b128 v5, v[1:4]
	s_wait_dscnt 0x0
	s_barrier_signal -1
	s_barrier_wait -1
	global_inv scope:SCOPE_SE
	v_cmpx_gt_u32_e32 22, v0
	s_cbranch_execz .LBB48_103
; %bb.100:
	v_dual_mov_b32 v1, 0 :: v_dual_add_nc_u32 v8, 0x310, v15
	v_mov_b32_e32 v3, 0
	v_dual_mov_b32 v2, 0 :: v_dual_add_nc_u32 v7, -1, v0
	v_mov_b32_e32 v4, 0
	v_or_b32_e32 v9, 8, v13
	s_mov_b32 s1, 0
.LBB48_101:                             ; =>This Inner Loop Header: Depth=1
	scratch_load_b128 v[16:19], v9, off offset:-8
	ds_load_b128 v[20:23], v8
	v_add_nc_u32_e32 v7, 1, v7
	v_add_nc_u32_e32 v8, 16, v8
	v_add_nc_u32_e32 v9, 16, v9
	s_delay_alu instid0(VALU_DEP_3)
	v_cmp_lt_u32_e32 vcc_lo, 20, v7
	s_wait_alu 0xfffe
	s_or_b32 s1, vcc_lo, s1
	s_wait_loadcnt_dscnt 0x0
	v_mul_f64_e32 v[10:11], v[22:23], v[18:19]
	v_mul_f64_e32 v[18:19], v[20:21], v[18:19]
	s_delay_alu instid0(VALU_DEP_2) | instskip(NEXT) | instid1(VALU_DEP_2)
	v_fma_f64 v[10:11], v[20:21], v[16:17], -v[10:11]
	v_fma_f64 v[16:17], v[22:23], v[16:17], v[18:19]
	s_delay_alu instid0(VALU_DEP_2) | instskip(NEXT) | instid1(VALU_DEP_2)
	v_add_f64_e32 v[3:4], v[3:4], v[10:11]
	v_add_f64_e32 v[1:2], v[1:2], v[16:17]
	s_wait_alu 0xfffe
	s_and_not1_b32 exec_lo, exec_lo, s1
	s_cbranch_execnz .LBB48_101
; %bb.102:
	s_or_b32 exec_lo, exec_lo, s1
	v_mov_b32_e32 v7, 0
	ds_load_b128 v[7:10], v7 offset:352
	s_wait_dscnt 0x0
	v_mul_f64_e32 v[11:12], v[1:2], v[9:10]
	v_mul_f64_e32 v[16:17], v[3:4], v[9:10]
	s_delay_alu instid0(VALU_DEP_2) | instskip(NEXT) | instid1(VALU_DEP_2)
	v_fma_f64 v[9:10], v[3:4], v[7:8], -v[11:12]
	v_fma_f64 v[11:12], v[1:2], v[7:8], v[16:17]
	scratch_store_b128 off, v[9:12], off offset:368
.LBB48_103:
	s_wait_alu 0xfffe
	s_or_b32 exec_lo, exec_lo, s0
	s_wait_loadcnt 0x0
	s_wait_storecnt 0x0
	s_barrier_signal -1
	s_barrier_wait -1
	global_inv scope:SCOPE_SE
	scratch_load_b128 v[1:4], off, s34
	s_mov_b32 s0, exec_lo
	s_wait_loadcnt 0x0
	ds_store_b128 v5, v[1:4]
	s_wait_dscnt 0x0
	s_barrier_signal -1
	s_barrier_wait -1
	global_inv scope:SCOPE_SE
	v_cmpx_gt_u32_e32 23, v0
	s_cbranch_execz .LBB48_107
; %bb.104:
	v_dual_mov_b32 v1, 0 :: v_dual_add_nc_u32 v8, 0x310, v15
	v_mov_b32_e32 v3, 0
	v_dual_mov_b32 v2, 0 :: v_dual_add_nc_u32 v7, -1, v0
	v_mov_b32_e32 v4, 0
	v_or_b32_e32 v9, 8, v13
	s_mov_b32 s1, 0
.LBB48_105:                             ; =>This Inner Loop Header: Depth=1
	scratch_load_b128 v[16:19], v9, off offset:-8
	ds_load_b128 v[20:23], v8
	v_add_nc_u32_e32 v7, 1, v7
	v_add_nc_u32_e32 v8, 16, v8
	v_add_nc_u32_e32 v9, 16, v9
	s_delay_alu instid0(VALU_DEP_3)
	v_cmp_lt_u32_e32 vcc_lo, 21, v7
	s_wait_alu 0xfffe
	s_or_b32 s1, vcc_lo, s1
	s_wait_loadcnt_dscnt 0x0
	v_mul_f64_e32 v[10:11], v[22:23], v[18:19]
	v_mul_f64_e32 v[18:19], v[20:21], v[18:19]
	s_delay_alu instid0(VALU_DEP_2) | instskip(NEXT) | instid1(VALU_DEP_2)
	v_fma_f64 v[10:11], v[20:21], v[16:17], -v[10:11]
	v_fma_f64 v[16:17], v[22:23], v[16:17], v[18:19]
	s_delay_alu instid0(VALU_DEP_2) | instskip(NEXT) | instid1(VALU_DEP_2)
	v_add_f64_e32 v[3:4], v[3:4], v[10:11]
	v_add_f64_e32 v[1:2], v[1:2], v[16:17]
	s_wait_alu 0xfffe
	s_and_not1_b32 exec_lo, exec_lo, s1
	s_cbranch_execnz .LBB48_105
; %bb.106:
	s_or_b32 exec_lo, exec_lo, s1
	v_mov_b32_e32 v7, 0
	ds_load_b128 v[7:10], v7 offset:368
	s_wait_dscnt 0x0
	v_mul_f64_e32 v[11:12], v[1:2], v[9:10]
	v_mul_f64_e32 v[16:17], v[3:4], v[9:10]
	s_delay_alu instid0(VALU_DEP_2) | instskip(NEXT) | instid1(VALU_DEP_2)
	v_fma_f64 v[9:10], v[3:4], v[7:8], -v[11:12]
	v_fma_f64 v[11:12], v[1:2], v[7:8], v[16:17]
	scratch_store_b128 off, v[9:12], off offset:384
.LBB48_107:
	s_wait_alu 0xfffe
	s_or_b32 exec_lo, exec_lo, s0
	s_wait_loadcnt 0x0
	s_wait_storecnt 0x0
	s_barrier_signal -1
	s_barrier_wait -1
	global_inv scope:SCOPE_SE
	scratch_load_b128 v[1:4], off, s35
	;; [unrolled: 58-line block ×26, first 2 shown]
	s_mov_b32 s0, exec_lo
	s_wait_loadcnt 0x0
	ds_store_b128 v5, v[1:4]
	s_wait_dscnt 0x0
	s_barrier_signal -1
	s_barrier_wait -1
	global_inv scope:SCOPE_SE
	v_cmpx_ne_u32_e32 48, v0
	s_cbranch_execz .LBB48_207
; %bb.204:
	v_mov_b32_e32 v1, 0
	v_dual_mov_b32 v2, 0 :: v_dual_mov_b32 v3, 0
	v_mov_b32_e32 v4, 0
	v_or_b32_e32 v7, 8, v13
	s_mov_b32 s1, 0
.LBB48_205:                             ; =>This Inner Loop Header: Depth=1
	scratch_load_b128 v[8:11], v7, off offset:-8
	ds_load_b128 v[12:15], v5
	v_add_nc_u32_e32 v6, 1, v6
	v_add_nc_u32_e32 v5, 16, v5
	;; [unrolled: 1-line block ×3, first 2 shown]
	s_delay_alu instid0(VALU_DEP_3)
	v_cmp_lt_u32_e32 vcc_lo, 46, v6
	s_wait_alu 0xfffe
	s_or_b32 s1, vcc_lo, s1
	s_wait_loadcnt_dscnt 0x0
	v_mul_f64_e32 v[16:17], v[14:15], v[10:11]
	v_mul_f64_e32 v[10:11], v[12:13], v[10:11]
	s_delay_alu instid0(VALU_DEP_2) | instskip(NEXT) | instid1(VALU_DEP_2)
	v_fma_f64 v[12:13], v[12:13], v[8:9], -v[16:17]
	v_fma_f64 v[8:9], v[14:15], v[8:9], v[10:11]
	s_delay_alu instid0(VALU_DEP_2) | instskip(NEXT) | instid1(VALU_DEP_2)
	v_add_f64_e32 v[3:4], v[3:4], v[12:13]
	v_add_f64_e32 v[1:2], v[1:2], v[8:9]
	s_wait_alu 0xfffe
	s_and_not1_b32 exec_lo, exec_lo, s1
	s_cbranch_execnz .LBB48_205
; %bb.206:
	s_or_b32 exec_lo, exec_lo, s1
	v_mov_b32_e32 v5, 0
	ds_load_b128 v[5:8], v5 offset:768
	s_wait_dscnt 0x0
	v_mul_f64_e32 v[9:10], v[1:2], v[7:8]
	v_mul_f64_e32 v[7:8], v[3:4], v[7:8]
	s_delay_alu instid0(VALU_DEP_2) | instskip(NEXT) | instid1(VALU_DEP_2)
	v_fma_f64 v[3:4], v[3:4], v[5:6], -v[9:10]
	v_fma_f64 v[5:6], v[1:2], v[5:6], v[7:8]
	scratch_store_b128 off, v[3:6], off offset:784
.LBB48_207:
	s_wait_alu 0xfffe
	s_or_b32 exec_lo, exec_lo, s0
	s_mov_b32 s1, -1
	s_wait_loadcnt 0x0
	s_wait_storecnt 0x0
	s_barrier_signal -1
	s_barrier_wait -1
	global_inv scope:SCOPE_SE
.LBB48_208:
	s_wait_alu 0xfffe
	s_and_b32 vcc_lo, exec_lo, s1
	s_wait_alu 0xfffe
	s_cbranch_vccz .LBB48_210
; %bb.209:
	v_mov_b32_e32 v1, 0
	s_lshl_b64 s[0:1], s[16:17], 2
	s_wait_alu 0xfffe
	s_add_nc_u64 s[0:1], s[6:7], s[0:1]
	global_load_b32 v1, v1, s[0:1]
	s_wait_loadcnt 0x0
	v_cmp_ne_u32_e32 vcc_lo, 0, v1
	s_cbranch_vccz .LBB48_211
.LBB48_210:
	s_nop 0
	s_sendmsg sendmsg(MSG_DEALLOC_VGPRS)
	s_endpgm
.LBB48_211:
	v_lshl_add_u32 v140, v0, 4, 0x310
	s_mov_b32 s0, exec_lo
	v_cmpx_eq_u32_e32 48, v0
	s_cbranch_execz .LBB48_213
; %bb.212:
	scratch_load_b128 v[1:4], off, s12
	v_mov_b32_e32 v5, 0
	s_delay_alu instid0(VALU_DEP_1)
	v_dual_mov_b32 v6, v5 :: v_dual_mov_b32 v7, v5
	v_mov_b32_e32 v8, v5
	scratch_store_b128 off, v[5:8], off offset:768
	s_wait_loadcnt 0x0
	ds_store_b128 v140, v[1:4]
.LBB48_213:
	s_wait_alu 0xfffe
	s_or_b32 exec_lo, exec_lo, s0
	s_wait_storecnt_dscnt 0x0
	s_barrier_signal -1
	s_barrier_wait -1
	global_inv scope:SCOPE_SE
	s_clause 0x1
	scratch_load_b128 v[2:5], off, off offset:784
	scratch_load_b128 v[6:9], off, off offset:768
	v_mov_b32_e32 v1, 0
	s_mov_b32 s0, exec_lo
	ds_load_b128 v[10:13], v1 offset:1552
	s_wait_loadcnt_dscnt 0x100
	v_mul_f64_e32 v[14:15], v[12:13], v[4:5]
	v_mul_f64_e32 v[4:5], v[10:11], v[4:5]
	s_delay_alu instid0(VALU_DEP_2) | instskip(NEXT) | instid1(VALU_DEP_2)
	v_fma_f64 v[10:11], v[10:11], v[2:3], -v[14:15]
	v_fma_f64 v[2:3], v[12:13], v[2:3], v[4:5]
	s_delay_alu instid0(VALU_DEP_2) | instskip(NEXT) | instid1(VALU_DEP_2)
	v_add_f64_e32 v[4:5], 0, v[10:11]
	v_add_f64_e32 v[10:11], 0, v[2:3]
	s_wait_loadcnt 0x0
	s_delay_alu instid0(VALU_DEP_2) | instskip(NEXT) | instid1(VALU_DEP_2)
	v_add_f64_e64 v[2:3], v[6:7], -v[4:5]
	v_add_f64_e64 v[4:5], v[8:9], -v[10:11]
	scratch_store_b128 off, v[2:5], off offset:768
	v_cmpx_lt_u32_e32 46, v0
	s_cbranch_execz .LBB48_215
; %bb.214:
	scratch_load_b128 v[5:8], off, s14
	v_dual_mov_b32 v2, v1 :: v_dual_mov_b32 v3, v1
	v_mov_b32_e32 v4, v1
	scratch_store_b128 off, v[1:4], off offset:752
	s_wait_loadcnt 0x0
	ds_store_b128 v140, v[5:8]
.LBB48_215:
	s_wait_alu 0xfffe
	s_or_b32 exec_lo, exec_lo, s0
	s_wait_storecnt_dscnt 0x0
	s_barrier_signal -1
	s_barrier_wait -1
	global_inv scope:SCOPE_SE
	s_clause 0x2
	scratch_load_b128 v[2:5], off, off offset:768
	scratch_load_b128 v[6:9], off, off offset:784
	;; [unrolled: 1-line block ×3, first 2 shown]
	ds_load_b128 v[14:17], v1 offset:1536
	ds_load_b128 v[18:21], v1 offset:1552
	s_mov_b32 s0, exec_lo
	s_wait_loadcnt_dscnt 0x201
	v_mul_f64_e32 v[22:23], v[16:17], v[4:5]
	v_mul_f64_e32 v[4:5], v[14:15], v[4:5]
	s_wait_loadcnt_dscnt 0x100
	v_mul_f64_e32 v[24:25], v[18:19], v[8:9]
	v_mul_f64_e32 v[8:9], v[20:21], v[8:9]
	s_delay_alu instid0(VALU_DEP_4) | instskip(NEXT) | instid1(VALU_DEP_4)
	v_fma_f64 v[14:15], v[14:15], v[2:3], -v[22:23]
	v_fma_f64 v[1:2], v[16:17], v[2:3], v[4:5]
	s_delay_alu instid0(VALU_DEP_4) | instskip(NEXT) | instid1(VALU_DEP_4)
	v_fma_f64 v[3:4], v[20:21], v[6:7], v[24:25]
	v_fma_f64 v[5:6], v[18:19], v[6:7], -v[8:9]
	s_delay_alu instid0(VALU_DEP_4) | instskip(NEXT) | instid1(VALU_DEP_4)
	v_add_f64_e32 v[7:8], 0, v[14:15]
	v_add_f64_e32 v[1:2], 0, v[1:2]
	s_delay_alu instid0(VALU_DEP_2) | instskip(NEXT) | instid1(VALU_DEP_2)
	v_add_f64_e32 v[5:6], v[7:8], v[5:6]
	v_add_f64_e32 v[3:4], v[1:2], v[3:4]
	s_wait_loadcnt 0x0
	s_delay_alu instid0(VALU_DEP_2) | instskip(NEXT) | instid1(VALU_DEP_2)
	v_add_f64_e64 v[1:2], v[10:11], -v[5:6]
	v_add_f64_e64 v[3:4], v[12:13], -v[3:4]
	scratch_store_b128 off, v[1:4], off offset:752
	v_cmpx_lt_u32_e32 45, v0
	s_cbranch_execz .LBB48_217
; %bb.216:
	scratch_load_b128 v[1:4], off, s4
	v_mov_b32_e32 v5, 0
	s_delay_alu instid0(VALU_DEP_1)
	v_dual_mov_b32 v6, v5 :: v_dual_mov_b32 v7, v5
	v_mov_b32_e32 v8, v5
	scratch_store_b128 off, v[5:8], off offset:736
	s_wait_loadcnt 0x0
	ds_store_b128 v140, v[1:4]
.LBB48_217:
	s_wait_alu 0xfffe
	s_or_b32 exec_lo, exec_lo, s0
	s_wait_storecnt_dscnt 0x0
	s_barrier_signal -1
	s_barrier_wait -1
	global_inv scope:SCOPE_SE
	s_clause 0x3
	scratch_load_b128 v[2:5], off, off offset:752
	scratch_load_b128 v[6:9], off, off offset:768
	;; [unrolled: 1-line block ×4, first 2 shown]
	v_mov_b32_e32 v1, 0
	ds_load_b128 v[18:21], v1 offset:1520
	ds_load_b128 v[22:25], v1 offset:1536
	s_mov_b32 s0, exec_lo
	s_wait_loadcnt_dscnt 0x301
	v_mul_f64_e32 v[26:27], v[20:21], v[4:5]
	v_mul_f64_e32 v[4:5], v[18:19], v[4:5]
	s_wait_loadcnt_dscnt 0x200
	v_mul_f64_e32 v[28:29], v[22:23], v[8:9]
	v_mul_f64_e32 v[8:9], v[24:25], v[8:9]
	s_delay_alu instid0(VALU_DEP_4) | instskip(NEXT) | instid1(VALU_DEP_4)
	v_fma_f64 v[18:19], v[18:19], v[2:3], -v[26:27]
	v_fma_f64 v[20:21], v[20:21], v[2:3], v[4:5]
	ds_load_b128 v[2:5], v1 offset:1552
	v_fma_f64 v[24:25], v[24:25], v[6:7], v[28:29]
	v_fma_f64 v[6:7], v[22:23], v[6:7], -v[8:9]
	s_wait_loadcnt_dscnt 0x100
	v_mul_f64_e32 v[26:27], v[2:3], v[12:13]
	v_mul_f64_e32 v[12:13], v[4:5], v[12:13]
	v_add_f64_e32 v[8:9], 0, v[18:19]
	v_add_f64_e32 v[18:19], 0, v[20:21]
	s_delay_alu instid0(VALU_DEP_4) | instskip(NEXT) | instid1(VALU_DEP_4)
	v_fma_f64 v[4:5], v[4:5], v[10:11], v[26:27]
	v_fma_f64 v[2:3], v[2:3], v[10:11], -v[12:13]
	s_delay_alu instid0(VALU_DEP_4) | instskip(NEXT) | instid1(VALU_DEP_4)
	v_add_f64_e32 v[6:7], v[8:9], v[6:7]
	v_add_f64_e32 v[8:9], v[18:19], v[24:25]
	s_delay_alu instid0(VALU_DEP_2) | instskip(NEXT) | instid1(VALU_DEP_2)
	v_add_f64_e32 v[2:3], v[6:7], v[2:3]
	v_add_f64_e32 v[4:5], v[8:9], v[4:5]
	s_wait_loadcnt 0x0
	s_delay_alu instid0(VALU_DEP_2) | instskip(NEXT) | instid1(VALU_DEP_2)
	v_add_f64_e64 v[2:3], v[14:15], -v[2:3]
	v_add_f64_e64 v[4:5], v[16:17], -v[4:5]
	scratch_store_b128 off, v[2:5], off offset:736
	v_cmpx_lt_u32_e32 44, v0
	s_cbranch_execz .LBB48_219
; %bb.218:
	scratch_load_b128 v[5:8], off, s5
	v_dual_mov_b32 v2, v1 :: v_dual_mov_b32 v3, v1
	v_mov_b32_e32 v4, v1
	scratch_store_b128 off, v[1:4], off offset:720
	s_wait_loadcnt 0x0
	ds_store_b128 v140, v[5:8]
.LBB48_219:
	s_wait_alu 0xfffe
	s_or_b32 exec_lo, exec_lo, s0
	s_wait_storecnt_dscnt 0x0
	s_barrier_signal -1
	s_barrier_wait -1
	global_inv scope:SCOPE_SE
	s_clause 0x4
	scratch_load_b128 v[2:5], off, off offset:736
	scratch_load_b128 v[6:9], off, off offset:752
	;; [unrolled: 1-line block ×5, first 2 shown]
	ds_load_b128 v[22:25], v1 offset:1504
	ds_load_b128 v[26:29], v1 offset:1520
	s_mov_b32 s0, exec_lo
	s_wait_loadcnt_dscnt 0x401
	v_mul_f64_e32 v[30:31], v[24:25], v[4:5]
	v_mul_f64_e32 v[4:5], v[22:23], v[4:5]
	s_wait_loadcnt_dscnt 0x300
	v_mul_f64_e32 v[32:33], v[26:27], v[8:9]
	v_mul_f64_e32 v[8:9], v[28:29], v[8:9]
	s_delay_alu instid0(VALU_DEP_4) | instskip(NEXT) | instid1(VALU_DEP_4)
	v_fma_f64 v[30:31], v[22:23], v[2:3], -v[30:31]
	v_fma_f64 v[34:35], v[24:25], v[2:3], v[4:5]
	ds_load_b128 v[2:5], v1 offset:1536
	ds_load_b128 v[22:25], v1 offset:1552
	v_fma_f64 v[28:29], v[28:29], v[6:7], v[32:33]
	v_fma_f64 v[6:7], v[26:27], v[6:7], -v[8:9]
	s_wait_loadcnt_dscnt 0x201
	v_mul_f64_e32 v[36:37], v[2:3], v[12:13]
	v_mul_f64_e32 v[12:13], v[4:5], v[12:13]
	v_add_f64_e32 v[8:9], 0, v[30:31]
	v_add_f64_e32 v[26:27], 0, v[34:35]
	s_wait_loadcnt_dscnt 0x100
	v_mul_f64_e32 v[30:31], v[22:23], v[16:17]
	v_mul_f64_e32 v[16:17], v[24:25], v[16:17]
	v_fma_f64 v[4:5], v[4:5], v[10:11], v[36:37]
	v_fma_f64 v[1:2], v[2:3], v[10:11], -v[12:13]
	v_add_f64_e32 v[6:7], v[8:9], v[6:7]
	v_add_f64_e32 v[8:9], v[26:27], v[28:29]
	v_fma_f64 v[10:11], v[24:25], v[14:15], v[30:31]
	v_fma_f64 v[12:13], v[22:23], v[14:15], -v[16:17]
	s_delay_alu instid0(VALU_DEP_4) | instskip(NEXT) | instid1(VALU_DEP_4)
	v_add_f64_e32 v[1:2], v[6:7], v[1:2]
	v_add_f64_e32 v[3:4], v[8:9], v[4:5]
	s_delay_alu instid0(VALU_DEP_2) | instskip(NEXT) | instid1(VALU_DEP_2)
	v_add_f64_e32 v[1:2], v[1:2], v[12:13]
	v_add_f64_e32 v[3:4], v[3:4], v[10:11]
	s_wait_loadcnt 0x0
	s_delay_alu instid0(VALU_DEP_2) | instskip(NEXT) | instid1(VALU_DEP_2)
	v_add_f64_e64 v[1:2], v[18:19], -v[1:2]
	v_add_f64_e64 v[3:4], v[20:21], -v[3:4]
	scratch_store_b128 off, v[1:4], off offset:720
	v_cmpx_lt_u32_e32 43, v0
	s_cbranch_execz .LBB48_221
; %bb.220:
	scratch_load_b128 v[1:4], off, s8
	v_mov_b32_e32 v5, 0
	s_delay_alu instid0(VALU_DEP_1)
	v_dual_mov_b32 v6, v5 :: v_dual_mov_b32 v7, v5
	v_mov_b32_e32 v8, v5
	scratch_store_b128 off, v[5:8], off offset:704
	s_wait_loadcnt 0x0
	ds_store_b128 v140, v[1:4]
.LBB48_221:
	s_wait_alu 0xfffe
	s_or_b32 exec_lo, exec_lo, s0
	s_wait_storecnt_dscnt 0x0
	s_barrier_signal -1
	s_barrier_wait -1
	global_inv scope:SCOPE_SE
	s_clause 0x5
	scratch_load_b128 v[2:5], off, off offset:720
	scratch_load_b128 v[6:9], off, off offset:736
	;; [unrolled: 1-line block ×6, first 2 shown]
	v_mov_b32_e32 v1, 0
	ds_load_b128 v[26:29], v1 offset:1488
	ds_load_b128 v[30:33], v1 offset:1504
	s_mov_b32 s0, exec_lo
	s_wait_loadcnt_dscnt 0x501
	v_mul_f64_e32 v[34:35], v[28:29], v[4:5]
	v_mul_f64_e32 v[4:5], v[26:27], v[4:5]
	s_wait_loadcnt_dscnt 0x400
	v_mul_f64_e32 v[36:37], v[30:31], v[8:9]
	v_mul_f64_e32 v[8:9], v[32:33], v[8:9]
	s_delay_alu instid0(VALU_DEP_4) | instskip(NEXT) | instid1(VALU_DEP_4)
	v_fma_f64 v[34:35], v[26:27], v[2:3], -v[34:35]
	v_fma_f64 v[38:39], v[28:29], v[2:3], v[4:5]
	ds_load_b128 v[2:5], v1 offset:1520
	ds_load_b128 v[26:29], v1 offset:1536
	v_fma_f64 v[32:33], v[32:33], v[6:7], v[36:37]
	v_fma_f64 v[6:7], v[30:31], v[6:7], -v[8:9]
	s_wait_loadcnt_dscnt 0x301
	v_mul_f64_e32 v[40:41], v[2:3], v[12:13]
	v_mul_f64_e32 v[12:13], v[4:5], v[12:13]
	v_add_f64_e32 v[8:9], 0, v[34:35]
	v_add_f64_e32 v[30:31], 0, v[38:39]
	s_wait_loadcnt_dscnt 0x200
	v_mul_f64_e32 v[34:35], v[26:27], v[16:17]
	v_mul_f64_e32 v[16:17], v[28:29], v[16:17]
	v_fma_f64 v[36:37], v[4:5], v[10:11], v[40:41]
	v_fma_f64 v[10:11], v[2:3], v[10:11], -v[12:13]
	ds_load_b128 v[2:5], v1 offset:1552
	v_add_f64_e32 v[6:7], v[8:9], v[6:7]
	v_add_f64_e32 v[8:9], v[30:31], v[32:33]
	v_fma_f64 v[28:29], v[28:29], v[14:15], v[34:35]
	v_fma_f64 v[14:15], v[26:27], v[14:15], -v[16:17]
	s_wait_loadcnt_dscnt 0x100
	v_mul_f64_e32 v[12:13], v[2:3], v[20:21]
	v_mul_f64_e32 v[20:21], v[4:5], v[20:21]
	v_add_f64_e32 v[6:7], v[6:7], v[10:11]
	v_add_f64_e32 v[8:9], v[8:9], v[36:37]
	s_delay_alu instid0(VALU_DEP_4) | instskip(NEXT) | instid1(VALU_DEP_4)
	v_fma_f64 v[4:5], v[4:5], v[18:19], v[12:13]
	v_fma_f64 v[2:3], v[2:3], v[18:19], -v[20:21]
	s_delay_alu instid0(VALU_DEP_4) | instskip(NEXT) | instid1(VALU_DEP_4)
	v_add_f64_e32 v[6:7], v[6:7], v[14:15]
	v_add_f64_e32 v[8:9], v[8:9], v[28:29]
	s_delay_alu instid0(VALU_DEP_2) | instskip(NEXT) | instid1(VALU_DEP_2)
	v_add_f64_e32 v[2:3], v[6:7], v[2:3]
	v_add_f64_e32 v[4:5], v[8:9], v[4:5]
	s_wait_loadcnt 0x0
	s_delay_alu instid0(VALU_DEP_2) | instskip(NEXT) | instid1(VALU_DEP_2)
	v_add_f64_e64 v[2:3], v[22:23], -v[2:3]
	v_add_f64_e64 v[4:5], v[24:25], -v[4:5]
	scratch_store_b128 off, v[2:5], off offset:704
	v_cmpx_lt_u32_e32 42, v0
	s_cbranch_execz .LBB48_223
; %bb.222:
	scratch_load_b128 v[5:8], off, s10
	v_dual_mov_b32 v2, v1 :: v_dual_mov_b32 v3, v1
	v_mov_b32_e32 v4, v1
	scratch_store_b128 off, v[1:4], off offset:688
	s_wait_loadcnt 0x0
	ds_store_b128 v140, v[5:8]
.LBB48_223:
	s_wait_alu 0xfffe
	s_or_b32 exec_lo, exec_lo, s0
	s_wait_storecnt_dscnt 0x0
	s_barrier_signal -1
	s_barrier_wait -1
	global_inv scope:SCOPE_SE
	s_clause 0x5
	scratch_load_b128 v[2:5], off, off offset:704
	scratch_load_b128 v[6:9], off, off offset:720
	;; [unrolled: 1-line block ×6, first 2 shown]
	ds_load_b128 v[26:29], v1 offset:1472
	ds_load_b128 v[34:37], v1 offset:1488
	scratch_load_b128 v[30:33], off, off offset:688
	s_mov_b32 s0, exec_lo
	s_wait_loadcnt_dscnt 0x601
	v_mul_f64_e32 v[38:39], v[28:29], v[4:5]
	v_mul_f64_e32 v[4:5], v[26:27], v[4:5]
	s_wait_loadcnt_dscnt 0x500
	v_mul_f64_e32 v[40:41], v[34:35], v[8:9]
	v_mul_f64_e32 v[8:9], v[36:37], v[8:9]
	s_delay_alu instid0(VALU_DEP_4) | instskip(NEXT) | instid1(VALU_DEP_4)
	v_fma_f64 v[38:39], v[26:27], v[2:3], -v[38:39]
	v_fma_f64 v[141:142], v[28:29], v[2:3], v[4:5]
	ds_load_b128 v[2:5], v1 offset:1504
	ds_load_b128 v[26:29], v1 offset:1520
	v_fma_f64 v[36:37], v[36:37], v[6:7], v[40:41]
	v_fma_f64 v[6:7], v[34:35], v[6:7], -v[8:9]
	s_wait_loadcnt_dscnt 0x401
	v_mul_f64_e32 v[143:144], v[2:3], v[12:13]
	v_mul_f64_e32 v[12:13], v[4:5], v[12:13]
	v_add_f64_e32 v[8:9], 0, v[38:39]
	v_add_f64_e32 v[34:35], 0, v[141:142]
	s_wait_loadcnt_dscnt 0x300
	v_mul_f64_e32 v[38:39], v[26:27], v[16:17]
	v_mul_f64_e32 v[16:17], v[28:29], v[16:17]
	v_fma_f64 v[40:41], v[4:5], v[10:11], v[143:144]
	v_fma_f64 v[10:11], v[2:3], v[10:11], -v[12:13]
	v_add_f64_e32 v[12:13], v[8:9], v[6:7]
	v_add_f64_e32 v[34:35], v[34:35], v[36:37]
	ds_load_b128 v[2:5], v1 offset:1536
	ds_load_b128 v[6:9], v1 offset:1552
	v_fma_f64 v[28:29], v[28:29], v[14:15], v[38:39]
	v_fma_f64 v[14:15], v[26:27], v[14:15], -v[16:17]
	s_wait_loadcnt_dscnt 0x201
	v_mul_f64_e32 v[36:37], v[2:3], v[20:21]
	v_mul_f64_e32 v[20:21], v[4:5], v[20:21]
	s_wait_loadcnt_dscnt 0x100
	v_mul_f64_e32 v[16:17], v[6:7], v[24:25]
	v_mul_f64_e32 v[24:25], v[8:9], v[24:25]
	v_add_f64_e32 v[10:11], v[12:13], v[10:11]
	v_add_f64_e32 v[12:13], v[34:35], v[40:41]
	v_fma_f64 v[4:5], v[4:5], v[18:19], v[36:37]
	v_fma_f64 v[1:2], v[2:3], v[18:19], -v[20:21]
	v_fma_f64 v[8:9], v[8:9], v[22:23], v[16:17]
	v_fma_f64 v[6:7], v[6:7], v[22:23], -v[24:25]
	v_add_f64_e32 v[10:11], v[10:11], v[14:15]
	v_add_f64_e32 v[12:13], v[12:13], v[28:29]
	s_delay_alu instid0(VALU_DEP_2) | instskip(NEXT) | instid1(VALU_DEP_2)
	v_add_f64_e32 v[1:2], v[10:11], v[1:2]
	v_add_f64_e32 v[3:4], v[12:13], v[4:5]
	s_delay_alu instid0(VALU_DEP_2) | instskip(NEXT) | instid1(VALU_DEP_2)
	v_add_f64_e32 v[1:2], v[1:2], v[6:7]
	v_add_f64_e32 v[3:4], v[3:4], v[8:9]
	s_wait_loadcnt 0x0
	s_delay_alu instid0(VALU_DEP_2) | instskip(NEXT) | instid1(VALU_DEP_2)
	v_add_f64_e64 v[1:2], v[30:31], -v[1:2]
	v_add_f64_e64 v[3:4], v[32:33], -v[3:4]
	scratch_store_b128 off, v[1:4], off offset:688
	v_cmpx_lt_u32_e32 41, v0
	s_cbranch_execz .LBB48_225
; %bb.224:
	scratch_load_b128 v[1:4], off, s9
	v_mov_b32_e32 v5, 0
	s_delay_alu instid0(VALU_DEP_1)
	v_dual_mov_b32 v6, v5 :: v_dual_mov_b32 v7, v5
	v_mov_b32_e32 v8, v5
	scratch_store_b128 off, v[5:8], off offset:672
	s_wait_loadcnt 0x0
	ds_store_b128 v140, v[1:4]
.LBB48_225:
	s_wait_alu 0xfffe
	s_or_b32 exec_lo, exec_lo, s0
	s_wait_storecnt_dscnt 0x0
	s_barrier_signal -1
	s_barrier_wait -1
	global_inv scope:SCOPE_SE
	s_clause 0x6
	scratch_load_b128 v[2:5], off, off offset:688
	scratch_load_b128 v[6:9], off, off offset:704
	;; [unrolled: 1-line block ×7, first 2 shown]
	v_mov_b32_e32 v1, 0
	scratch_load_b128 v[34:37], off, off offset:672
	s_mov_b32 s0, exec_lo
	ds_load_b128 v[30:33], v1 offset:1456
	ds_load_b128 v[38:41], v1 offset:1472
	s_wait_loadcnt_dscnt 0x701
	v_mul_f64_e32 v[141:142], v[32:33], v[4:5]
	v_mul_f64_e32 v[4:5], v[30:31], v[4:5]
	s_wait_loadcnt_dscnt 0x600
	v_mul_f64_e32 v[143:144], v[38:39], v[8:9]
	v_mul_f64_e32 v[8:9], v[40:41], v[8:9]
	s_delay_alu instid0(VALU_DEP_4) | instskip(NEXT) | instid1(VALU_DEP_4)
	v_fma_f64 v[141:142], v[30:31], v[2:3], -v[141:142]
	v_fma_f64 v[145:146], v[32:33], v[2:3], v[4:5]
	ds_load_b128 v[2:5], v1 offset:1488
	ds_load_b128 v[30:33], v1 offset:1504
	v_fma_f64 v[40:41], v[40:41], v[6:7], v[143:144]
	v_fma_f64 v[6:7], v[38:39], v[6:7], -v[8:9]
	s_wait_loadcnt_dscnt 0x501
	v_mul_f64_e32 v[147:148], v[2:3], v[12:13]
	v_mul_f64_e32 v[12:13], v[4:5], v[12:13]
	v_add_f64_e32 v[8:9], 0, v[141:142]
	v_add_f64_e32 v[38:39], 0, v[145:146]
	s_wait_loadcnt_dscnt 0x400
	v_mul_f64_e32 v[141:142], v[30:31], v[16:17]
	v_mul_f64_e32 v[16:17], v[32:33], v[16:17]
	v_fma_f64 v[143:144], v[4:5], v[10:11], v[147:148]
	v_fma_f64 v[10:11], v[2:3], v[10:11], -v[12:13]
	v_add_f64_e32 v[12:13], v[8:9], v[6:7]
	v_add_f64_e32 v[38:39], v[38:39], v[40:41]
	ds_load_b128 v[2:5], v1 offset:1520
	ds_load_b128 v[6:9], v1 offset:1536
	v_fma_f64 v[32:33], v[32:33], v[14:15], v[141:142]
	v_fma_f64 v[14:15], v[30:31], v[14:15], -v[16:17]
	s_wait_loadcnt_dscnt 0x301
	v_mul_f64_e32 v[40:41], v[2:3], v[20:21]
	v_mul_f64_e32 v[20:21], v[4:5], v[20:21]
	s_wait_loadcnt_dscnt 0x200
	v_mul_f64_e32 v[16:17], v[6:7], v[24:25]
	v_mul_f64_e32 v[24:25], v[8:9], v[24:25]
	v_add_f64_e32 v[10:11], v[12:13], v[10:11]
	v_add_f64_e32 v[12:13], v[38:39], v[143:144]
	v_fma_f64 v[30:31], v[4:5], v[18:19], v[40:41]
	v_fma_f64 v[18:19], v[2:3], v[18:19], -v[20:21]
	ds_load_b128 v[2:5], v1 offset:1552
	v_fma_f64 v[8:9], v[8:9], v[22:23], v[16:17]
	v_fma_f64 v[6:7], v[6:7], v[22:23], -v[24:25]
	v_add_f64_e32 v[10:11], v[10:11], v[14:15]
	v_add_f64_e32 v[12:13], v[12:13], v[32:33]
	s_wait_loadcnt_dscnt 0x100
	v_mul_f64_e32 v[14:15], v[2:3], v[28:29]
	v_mul_f64_e32 v[20:21], v[4:5], v[28:29]
	s_delay_alu instid0(VALU_DEP_4) | instskip(NEXT) | instid1(VALU_DEP_4)
	v_add_f64_e32 v[10:11], v[10:11], v[18:19]
	v_add_f64_e32 v[12:13], v[12:13], v[30:31]
	s_delay_alu instid0(VALU_DEP_4) | instskip(NEXT) | instid1(VALU_DEP_4)
	v_fma_f64 v[4:5], v[4:5], v[26:27], v[14:15]
	v_fma_f64 v[2:3], v[2:3], v[26:27], -v[20:21]
	s_delay_alu instid0(VALU_DEP_4) | instskip(NEXT) | instid1(VALU_DEP_4)
	v_add_f64_e32 v[6:7], v[10:11], v[6:7]
	v_add_f64_e32 v[8:9], v[12:13], v[8:9]
	s_delay_alu instid0(VALU_DEP_2) | instskip(NEXT) | instid1(VALU_DEP_2)
	v_add_f64_e32 v[2:3], v[6:7], v[2:3]
	v_add_f64_e32 v[4:5], v[8:9], v[4:5]
	s_wait_loadcnt 0x0
	s_delay_alu instid0(VALU_DEP_2) | instskip(NEXT) | instid1(VALU_DEP_2)
	v_add_f64_e64 v[2:3], v[34:35], -v[2:3]
	v_add_f64_e64 v[4:5], v[36:37], -v[4:5]
	scratch_store_b128 off, v[2:5], off offset:672
	v_cmpx_lt_u32_e32 40, v0
	s_cbranch_execz .LBB48_227
; %bb.226:
	scratch_load_b128 v[5:8], off, s11
	v_dual_mov_b32 v2, v1 :: v_dual_mov_b32 v3, v1
	v_mov_b32_e32 v4, v1
	scratch_store_b128 off, v[1:4], off offset:656
	s_wait_loadcnt 0x0
	ds_store_b128 v140, v[5:8]
.LBB48_227:
	s_wait_alu 0xfffe
	s_or_b32 exec_lo, exec_lo, s0
	s_wait_storecnt_dscnt 0x0
	s_barrier_signal -1
	s_barrier_wait -1
	global_inv scope:SCOPE_SE
	s_clause 0x7
	scratch_load_b128 v[2:5], off, off offset:672
	scratch_load_b128 v[6:9], off, off offset:688
	;; [unrolled: 1-line block ×8, first 2 shown]
	ds_load_b128 v[34:37], v1 offset:1440
	ds_load_b128 v[38:41], v1 offset:1456
	scratch_load_b128 v[141:144], off, off offset:656
	s_mov_b32 s0, exec_lo
	s_wait_loadcnt_dscnt 0x801
	v_mul_f64_e32 v[145:146], v[36:37], v[4:5]
	v_mul_f64_e32 v[4:5], v[34:35], v[4:5]
	s_wait_loadcnt_dscnt 0x700
	v_mul_f64_e32 v[147:148], v[38:39], v[8:9]
	v_mul_f64_e32 v[8:9], v[40:41], v[8:9]
	s_delay_alu instid0(VALU_DEP_4) | instskip(NEXT) | instid1(VALU_DEP_4)
	v_fma_f64 v[145:146], v[34:35], v[2:3], -v[145:146]
	v_fma_f64 v[149:150], v[36:37], v[2:3], v[4:5]
	ds_load_b128 v[2:5], v1 offset:1472
	ds_load_b128 v[34:37], v1 offset:1488
	v_fma_f64 v[40:41], v[40:41], v[6:7], v[147:148]
	v_fma_f64 v[6:7], v[38:39], v[6:7], -v[8:9]
	s_wait_loadcnt_dscnt 0x601
	v_mul_f64_e32 v[151:152], v[2:3], v[12:13]
	v_mul_f64_e32 v[12:13], v[4:5], v[12:13]
	v_add_f64_e32 v[8:9], 0, v[145:146]
	v_add_f64_e32 v[38:39], 0, v[149:150]
	s_wait_loadcnt_dscnt 0x500
	v_mul_f64_e32 v[145:146], v[34:35], v[16:17]
	v_mul_f64_e32 v[16:17], v[36:37], v[16:17]
	v_fma_f64 v[147:148], v[4:5], v[10:11], v[151:152]
	v_fma_f64 v[10:11], v[2:3], v[10:11], -v[12:13]
	v_add_f64_e32 v[12:13], v[8:9], v[6:7]
	v_add_f64_e32 v[38:39], v[38:39], v[40:41]
	ds_load_b128 v[2:5], v1 offset:1504
	ds_load_b128 v[6:9], v1 offset:1520
	v_fma_f64 v[36:37], v[36:37], v[14:15], v[145:146]
	v_fma_f64 v[14:15], v[34:35], v[14:15], -v[16:17]
	s_wait_loadcnt_dscnt 0x401
	v_mul_f64_e32 v[40:41], v[2:3], v[20:21]
	v_mul_f64_e32 v[20:21], v[4:5], v[20:21]
	s_wait_loadcnt_dscnt 0x300
	v_mul_f64_e32 v[16:17], v[6:7], v[24:25]
	v_mul_f64_e32 v[24:25], v[8:9], v[24:25]
	v_add_f64_e32 v[10:11], v[12:13], v[10:11]
	v_add_f64_e32 v[12:13], v[38:39], v[147:148]
	v_fma_f64 v[34:35], v[4:5], v[18:19], v[40:41]
	v_fma_f64 v[18:19], v[2:3], v[18:19], -v[20:21]
	v_fma_f64 v[8:9], v[8:9], v[22:23], v[16:17]
	v_fma_f64 v[6:7], v[6:7], v[22:23], -v[24:25]
	v_add_f64_e32 v[14:15], v[10:11], v[14:15]
	v_add_f64_e32 v[20:21], v[12:13], v[36:37]
	ds_load_b128 v[2:5], v1 offset:1536
	ds_load_b128 v[10:13], v1 offset:1552
	s_wait_loadcnt_dscnt 0x201
	v_mul_f64_e32 v[36:37], v[2:3], v[28:29]
	v_mul_f64_e32 v[28:29], v[4:5], v[28:29]
	v_add_f64_e32 v[14:15], v[14:15], v[18:19]
	v_add_f64_e32 v[16:17], v[20:21], v[34:35]
	s_wait_loadcnt_dscnt 0x100
	v_mul_f64_e32 v[18:19], v[10:11], v[32:33]
	v_mul_f64_e32 v[20:21], v[12:13], v[32:33]
	v_fma_f64 v[4:5], v[4:5], v[26:27], v[36:37]
	v_fma_f64 v[1:2], v[2:3], v[26:27], -v[28:29]
	v_add_f64_e32 v[6:7], v[14:15], v[6:7]
	v_add_f64_e32 v[8:9], v[16:17], v[8:9]
	v_fma_f64 v[12:13], v[12:13], v[30:31], v[18:19]
	v_fma_f64 v[10:11], v[10:11], v[30:31], -v[20:21]
	s_delay_alu instid0(VALU_DEP_4) | instskip(NEXT) | instid1(VALU_DEP_4)
	v_add_f64_e32 v[1:2], v[6:7], v[1:2]
	v_add_f64_e32 v[3:4], v[8:9], v[4:5]
	s_delay_alu instid0(VALU_DEP_2) | instskip(NEXT) | instid1(VALU_DEP_2)
	v_add_f64_e32 v[1:2], v[1:2], v[10:11]
	v_add_f64_e32 v[3:4], v[3:4], v[12:13]
	s_wait_loadcnt 0x0
	s_delay_alu instid0(VALU_DEP_2) | instskip(NEXT) | instid1(VALU_DEP_2)
	v_add_f64_e64 v[1:2], v[141:142], -v[1:2]
	v_add_f64_e64 v[3:4], v[143:144], -v[3:4]
	scratch_store_b128 off, v[1:4], off offset:656
	v_cmpx_lt_u32_e32 39, v0
	s_cbranch_execz .LBB48_229
; %bb.228:
	scratch_load_b128 v[1:4], off, s15
	v_mov_b32_e32 v5, 0
	s_delay_alu instid0(VALU_DEP_1)
	v_dual_mov_b32 v6, v5 :: v_dual_mov_b32 v7, v5
	v_mov_b32_e32 v8, v5
	scratch_store_b128 off, v[5:8], off offset:640
	s_wait_loadcnt 0x0
	ds_store_b128 v140, v[1:4]
.LBB48_229:
	s_wait_alu 0xfffe
	s_or_b32 exec_lo, exec_lo, s0
	s_wait_storecnt_dscnt 0x0
	s_barrier_signal -1
	s_barrier_wait -1
	global_inv scope:SCOPE_SE
	s_clause 0x7
	scratch_load_b128 v[2:5], off, off offset:656
	scratch_load_b128 v[6:9], off, off offset:672
	;; [unrolled: 1-line block ×8, first 2 shown]
	v_mov_b32_e32 v1, 0
	s_mov_b32 s0, exec_lo
	ds_load_b128 v[34:37], v1 offset:1424
	s_clause 0x1
	scratch_load_b128 v[38:41], off, off offset:784
	scratch_load_b128 v[141:144], off, off offset:640
	ds_load_b128 v[145:148], v1 offset:1440
	s_wait_loadcnt_dscnt 0x901
	v_mul_f64_e32 v[149:150], v[36:37], v[4:5]
	v_mul_f64_e32 v[4:5], v[34:35], v[4:5]
	s_wait_loadcnt_dscnt 0x800
	v_mul_f64_e32 v[151:152], v[145:146], v[8:9]
	v_mul_f64_e32 v[8:9], v[147:148], v[8:9]
	s_delay_alu instid0(VALU_DEP_4) | instskip(NEXT) | instid1(VALU_DEP_4)
	v_fma_f64 v[149:150], v[34:35], v[2:3], -v[149:150]
	v_fma_f64 v[153:154], v[36:37], v[2:3], v[4:5]
	ds_load_b128 v[2:5], v1 offset:1456
	ds_load_b128 v[34:37], v1 offset:1472
	v_fma_f64 v[147:148], v[147:148], v[6:7], v[151:152]
	v_fma_f64 v[6:7], v[145:146], v[6:7], -v[8:9]
	s_wait_loadcnt_dscnt 0x701
	v_mul_f64_e32 v[155:156], v[2:3], v[12:13]
	v_mul_f64_e32 v[12:13], v[4:5], v[12:13]
	v_add_f64_e32 v[8:9], 0, v[149:150]
	v_add_f64_e32 v[145:146], 0, v[153:154]
	s_wait_loadcnt_dscnt 0x600
	v_mul_f64_e32 v[149:150], v[34:35], v[16:17]
	v_mul_f64_e32 v[16:17], v[36:37], v[16:17]
	v_fma_f64 v[151:152], v[4:5], v[10:11], v[155:156]
	v_fma_f64 v[10:11], v[2:3], v[10:11], -v[12:13]
	v_add_f64_e32 v[12:13], v[8:9], v[6:7]
	v_add_f64_e32 v[145:146], v[145:146], v[147:148]
	ds_load_b128 v[2:5], v1 offset:1488
	ds_load_b128 v[6:9], v1 offset:1504
	v_fma_f64 v[36:37], v[36:37], v[14:15], v[149:150]
	v_fma_f64 v[14:15], v[34:35], v[14:15], -v[16:17]
	s_wait_loadcnt_dscnt 0x501
	v_mul_f64_e32 v[147:148], v[2:3], v[20:21]
	v_mul_f64_e32 v[20:21], v[4:5], v[20:21]
	s_wait_loadcnt_dscnt 0x400
	v_mul_f64_e32 v[16:17], v[6:7], v[24:25]
	v_mul_f64_e32 v[24:25], v[8:9], v[24:25]
	v_add_f64_e32 v[10:11], v[12:13], v[10:11]
	v_add_f64_e32 v[12:13], v[145:146], v[151:152]
	v_fma_f64 v[34:35], v[4:5], v[18:19], v[147:148]
	v_fma_f64 v[18:19], v[2:3], v[18:19], -v[20:21]
	v_fma_f64 v[8:9], v[8:9], v[22:23], v[16:17]
	v_fma_f64 v[6:7], v[6:7], v[22:23], -v[24:25]
	v_add_f64_e32 v[14:15], v[10:11], v[14:15]
	v_add_f64_e32 v[20:21], v[12:13], v[36:37]
	ds_load_b128 v[2:5], v1 offset:1520
	ds_load_b128 v[10:13], v1 offset:1536
	s_wait_loadcnt_dscnt 0x301
	v_mul_f64_e32 v[36:37], v[2:3], v[28:29]
	v_mul_f64_e32 v[28:29], v[4:5], v[28:29]
	v_add_f64_e32 v[14:15], v[14:15], v[18:19]
	v_add_f64_e32 v[16:17], v[20:21], v[34:35]
	s_wait_loadcnt_dscnt 0x200
	v_mul_f64_e32 v[18:19], v[10:11], v[32:33]
	v_mul_f64_e32 v[20:21], v[12:13], v[32:33]
	v_fma_f64 v[22:23], v[4:5], v[26:27], v[36:37]
	v_fma_f64 v[24:25], v[2:3], v[26:27], -v[28:29]
	ds_load_b128 v[2:5], v1 offset:1552
	v_add_f64_e32 v[6:7], v[14:15], v[6:7]
	v_add_f64_e32 v[8:9], v[16:17], v[8:9]
	v_fma_f64 v[12:13], v[12:13], v[30:31], v[18:19]
	v_fma_f64 v[10:11], v[10:11], v[30:31], -v[20:21]
	s_wait_loadcnt_dscnt 0x100
	v_mul_f64_e32 v[14:15], v[2:3], v[40:41]
	v_mul_f64_e32 v[16:17], v[4:5], v[40:41]
	v_add_f64_e32 v[6:7], v[6:7], v[24:25]
	v_add_f64_e32 v[8:9], v[8:9], v[22:23]
	s_delay_alu instid0(VALU_DEP_4) | instskip(NEXT) | instid1(VALU_DEP_4)
	v_fma_f64 v[4:5], v[4:5], v[38:39], v[14:15]
	v_fma_f64 v[2:3], v[2:3], v[38:39], -v[16:17]
	s_delay_alu instid0(VALU_DEP_4) | instskip(NEXT) | instid1(VALU_DEP_4)
	v_add_f64_e32 v[6:7], v[6:7], v[10:11]
	v_add_f64_e32 v[8:9], v[8:9], v[12:13]
	s_delay_alu instid0(VALU_DEP_2) | instskip(NEXT) | instid1(VALU_DEP_2)
	v_add_f64_e32 v[2:3], v[6:7], v[2:3]
	v_add_f64_e32 v[4:5], v[8:9], v[4:5]
	s_wait_loadcnt 0x0
	s_delay_alu instid0(VALU_DEP_2) | instskip(NEXT) | instid1(VALU_DEP_2)
	v_add_f64_e64 v[2:3], v[141:142], -v[2:3]
	v_add_f64_e64 v[4:5], v[143:144], -v[4:5]
	scratch_store_b128 off, v[2:5], off offset:640
	v_cmpx_lt_u32_e32 38, v0
	s_cbranch_execz .LBB48_231
; %bb.230:
	scratch_load_b128 v[5:8], off, s19
	v_dual_mov_b32 v2, v1 :: v_dual_mov_b32 v3, v1
	v_mov_b32_e32 v4, v1
	scratch_store_b128 off, v[1:4], off offset:624
	s_wait_loadcnt 0x0
	ds_store_b128 v140, v[5:8]
.LBB48_231:
	s_wait_alu 0xfffe
	s_or_b32 exec_lo, exec_lo, s0
	s_wait_storecnt_dscnt 0x0
	s_barrier_signal -1
	s_barrier_wait -1
	global_inv scope:SCOPE_SE
	s_clause 0x8
	scratch_load_b128 v[2:5], off, off offset:640
	scratch_load_b128 v[6:9], off, off offset:656
	;; [unrolled: 1-line block ×9, first 2 shown]
	ds_load_b128 v[38:41], v1 offset:1408
	ds_load_b128 v[141:144], v1 offset:1424
	s_clause 0x1
	scratch_load_b128 v[145:148], off, off offset:624
	scratch_load_b128 v[149:152], off, off offset:784
	s_mov_b32 s0, exec_lo
	s_wait_loadcnt_dscnt 0xa01
	v_mul_f64_e32 v[153:154], v[40:41], v[4:5]
	v_mul_f64_e32 v[4:5], v[38:39], v[4:5]
	s_wait_loadcnt_dscnt 0x900
	v_mul_f64_e32 v[155:156], v[141:142], v[8:9]
	v_mul_f64_e32 v[8:9], v[143:144], v[8:9]
	s_delay_alu instid0(VALU_DEP_4) | instskip(NEXT) | instid1(VALU_DEP_4)
	v_fma_f64 v[153:154], v[38:39], v[2:3], -v[153:154]
	v_fma_f64 v[157:158], v[40:41], v[2:3], v[4:5]
	ds_load_b128 v[2:5], v1 offset:1440
	ds_load_b128 v[38:41], v1 offset:1456
	v_fma_f64 v[143:144], v[143:144], v[6:7], v[155:156]
	v_fma_f64 v[6:7], v[141:142], v[6:7], -v[8:9]
	s_wait_loadcnt_dscnt 0x801
	v_mul_f64_e32 v[159:160], v[2:3], v[12:13]
	v_mul_f64_e32 v[12:13], v[4:5], v[12:13]
	v_add_f64_e32 v[8:9], 0, v[153:154]
	v_add_f64_e32 v[141:142], 0, v[157:158]
	s_wait_loadcnt_dscnt 0x700
	v_mul_f64_e32 v[153:154], v[38:39], v[16:17]
	v_mul_f64_e32 v[16:17], v[40:41], v[16:17]
	v_fma_f64 v[155:156], v[4:5], v[10:11], v[159:160]
	v_fma_f64 v[10:11], v[2:3], v[10:11], -v[12:13]
	v_add_f64_e32 v[12:13], v[8:9], v[6:7]
	v_add_f64_e32 v[141:142], v[141:142], v[143:144]
	ds_load_b128 v[2:5], v1 offset:1472
	ds_load_b128 v[6:9], v1 offset:1488
	v_fma_f64 v[40:41], v[40:41], v[14:15], v[153:154]
	v_fma_f64 v[14:15], v[38:39], v[14:15], -v[16:17]
	s_wait_loadcnt_dscnt 0x601
	v_mul_f64_e32 v[143:144], v[2:3], v[20:21]
	v_mul_f64_e32 v[20:21], v[4:5], v[20:21]
	s_wait_loadcnt_dscnt 0x500
	v_mul_f64_e32 v[16:17], v[6:7], v[24:25]
	v_mul_f64_e32 v[24:25], v[8:9], v[24:25]
	v_add_f64_e32 v[10:11], v[12:13], v[10:11]
	v_add_f64_e32 v[12:13], v[141:142], v[155:156]
	v_fma_f64 v[38:39], v[4:5], v[18:19], v[143:144]
	v_fma_f64 v[18:19], v[2:3], v[18:19], -v[20:21]
	v_fma_f64 v[8:9], v[8:9], v[22:23], v[16:17]
	v_fma_f64 v[6:7], v[6:7], v[22:23], -v[24:25]
	v_add_f64_e32 v[14:15], v[10:11], v[14:15]
	v_add_f64_e32 v[20:21], v[12:13], v[40:41]
	ds_load_b128 v[2:5], v1 offset:1504
	ds_load_b128 v[10:13], v1 offset:1520
	s_wait_loadcnt_dscnt 0x401
	v_mul_f64_e32 v[40:41], v[2:3], v[28:29]
	v_mul_f64_e32 v[28:29], v[4:5], v[28:29]
	v_add_f64_e32 v[14:15], v[14:15], v[18:19]
	v_add_f64_e32 v[16:17], v[20:21], v[38:39]
	s_wait_loadcnt_dscnt 0x300
	v_mul_f64_e32 v[18:19], v[10:11], v[32:33]
	v_mul_f64_e32 v[20:21], v[12:13], v[32:33]
	v_fma_f64 v[22:23], v[4:5], v[26:27], v[40:41]
	v_fma_f64 v[24:25], v[2:3], v[26:27], -v[28:29]
	v_add_f64_e32 v[14:15], v[14:15], v[6:7]
	v_add_f64_e32 v[16:17], v[16:17], v[8:9]
	ds_load_b128 v[2:5], v1 offset:1536
	ds_load_b128 v[6:9], v1 offset:1552
	v_fma_f64 v[12:13], v[12:13], v[30:31], v[18:19]
	v_fma_f64 v[10:11], v[10:11], v[30:31], -v[20:21]
	s_wait_loadcnt_dscnt 0x201
	v_mul_f64_e32 v[26:27], v[2:3], v[36:37]
	v_mul_f64_e32 v[28:29], v[4:5], v[36:37]
	s_wait_loadcnt_dscnt 0x0
	v_mul_f64_e32 v[18:19], v[6:7], v[151:152]
	v_mul_f64_e32 v[20:21], v[8:9], v[151:152]
	v_add_f64_e32 v[14:15], v[14:15], v[24:25]
	v_add_f64_e32 v[16:17], v[16:17], v[22:23]
	v_fma_f64 v[4:5], v[4:5], v[34:35], v[26:27]
	v_fma_f64 v[1:2], v[2:3], v[34:35], -v[28:29]
	v_fma_f64 v[8:9], v[8:9], v[149:150], v[18:19]
	v_fma_f64 v[6:7], v[6:7], v[149:150], -v[20:21]
	v_add_f64_e32 v[10:11], v[14:15], v[10:11]
	v_add_f64_e32 v[12:13], v[16:17], v[12:13]
	s_delay_alu instid0(VALU_DEP_2) | instskip(NEXT) | instid1(VALU_DEP_2)
	v_add_f64_e32 v[1:2], v[10:11], v[1:2]
	v_add_f64_e32 v[3:4], v[12:13], v[4:5]
	s_delay_alu instid0(VALU_DEP_2) | instskip(NEXT) | instid1(VALU_DEP_2)
	;; [unrolled: 3-line block ×3, first 2 shown]
	v_add_f64_e64 v[1:2], v[145:146], -v[1:2]
	v_add_f64_e64 v[3:4], v[147:148], -v[3:4]
	scratch_store_b128 off, v[1:4], off offset:624
	v_cmpx_lt_u32_e32 37, v0
	s_cbranch_execz .LBB48_233
; %bb.232:
	scratch_load_b128 v[1:4], off, s20
	v_mov_b32_e32 v5, 0
	s_delay_alu instid0(VALU_DEP_1)
	v_dual_mov_b32 v6, v5 :: v_dual_mov_b32 v7, v5
	v_mov_b32_e32 v8, v5
	scratch_store_b128 off, v[5:8], off offset:608
	s_wait_loadcnt 0x0
	ds_store_b128 v140, v[1:4]
.LBB48_233:
	s_wait_alu 0xfffe
	s_or_b32 exec_lo, exec_lo, s0
	s_wait_storecnt_dscnt 0x0
	s_barrier_signal -1
	s_barrier_wait -1
	global_inv scope:SCOPE_SE
	s_clause 0x7
	scratch_load_b128 v[2:5], off, off offset:624
	scratch_load_b128 v[6:9], off, off offset:640
	;; [unrolled: 1-line block ×8, first 2 shown]
	v_mov_b32_e32 v1, 0
	s_mov_b32 s0, exec_lo
	ds_load_b128 v[34:37], v1 offset:1392
	s_clause 0x1
	scratch_load_b128 v[38:41], off, off offset:752
	scratch_load_b128 v[141:144], off, off offset:608
	ds_load_b128 v[145:148], v1 offset:1408
	scratch_load_b128 v[149:152], off, off offset:768
	s_wait_loadcnt_dscnt 0xa01
	v_mul_f64_e32 v[153:154], v[36:37], v[4:5]
	v_mul_f64_e32 v[4:5], v[34:35], v[4:5]
	s_delay_alu instid0(VALU_DEP_2) | instskip(NEXT) | instid1(VALU_DEP_2)
	v_fma_f64 v[159:160], v[34:35], v[2:3], -v[153:154]
	v_fma_f64 v[161:162], v[36:37], v[2:3], v[4:5]
	ds_load_b128 v[2:5], v1 offset:1424
	s_wait_loadcnt_dscnt 0x901
	v_mul_f64_e32 v[157:158], v[145:146], v[8:9]
	v_mul_f64_e32 v[8:9], v[147:148], v[8:9]
	scratch_load_b128 v[34:37], off, off offset:784
	ds_load_b128 v[153:156], v1 offset:1440
	s_wait_loadcnt_dscnt 0x901
	v_mul_f64_e32 v[163:164], v[2:3], v[12:13]
	v_mul_f64_e32 v[12:13], v[4:5], v[12:13]
	v_fma_f64 v[147:148], v[147:148], v[6:7], v[157:158]
	v_fma_f64 v[6:7], v[145:146], v[6:7], -v[8:9]
	v_add_f64_e32 v[8:9], 0, v[159:160]
	v_add_f64_e32 v[145:146], 0, v[161:162]
	s_wait_loadcnt_dscnt 0x800
	v_mul_f64_e32 v[157:158], v[153:154], v[16:17]
	v_mul_f64_e32 v[16:17], v[155:156], v[16:17]
	v_fma_f64 v[159:160], v[4:5], v[10:11], v[163:164]
	v_fma_f64 v[10:11], v[2:3], v[10:11], -v[12:13]
	v_add_f64_e32 v[12:13], v[8:9], v[6:7]
	v_add_f64_e32 v[145:146], v[145:146], v[147:148]
	ds_load_b128 v[2:5], v1 offset:1456
	ds_load_b128 v[6:9], v1 offset:1472
	v_fma_f64 v[155:156], v[155:156], v[14:15], v[157:158]
	v_fma_f64 v[14:15], v[153:154], v[14:15], -v[16:17]
	s_wait_loadcnt_dscnt 0x701
	v_mul_f64_e32 v[147:148], v[2:3], v[20:21]
	v_mul_f64_e32 v[20:21], v[4:5], v[20:21]
	s_wait_loadcnt_dscnt 0x600
	v_mul_f64_e32 v[16:17], v[6:7], v[24:25]
	v_mul_f64_e32 v[24:25], v[8:9], v[24:25]
	v_add_f64_e32 v[10:11], v[12:13], v[10:11]
	v_add_f64_e32 v[12:13], v[145:146], v[159:160]
	v_fma_f64 v[145:146], v[4:5], v[18:19], v[147:148]
	v_fma_f64 v[18:19], v[2:3], v[18:19], -v[20:21]
	v_fma_f64 v[8:9], v[8:9], v[22:23], v[16:17]
	v_fma_f64 v[6:7], v[6:7], v[22:23], -v[24:25]
	v_add_f64_e32 v[14:15], v[10:11], v[14:15]
	v_add_f64_e32 v[20:21], v[12:13], v[155:156]
	ds_load_b128 v[2:5], v1 offset:1488
	ds_load_b128 v[10:13], v1 offset:1504
	s_wait_loadcnt_dscnt 0x501
	v_mul_f64_e32 v[147:148], v[2:3], v[28:29]
	v_mul_f64_e32 v[28:29], v[4:5], v[28:29]
	v_add_f64_e32 v[14:15], v[14:15], v[18:19]
	v_add_f64_e32 v[16:17], v[20:21], v[145:146]
	s_wait_loadcnt_dscnt 0x400
	v_mul_f64_e32 v[18:19], v[10:11], v[32:33]
	v_mul_f64_e32 v[20:21], v[12:13], v[32:33]
	v_fma_f64 v[22:23], v[4:5], v[26:27], v[147:148]
	v_fma_f64 v[24:25], v[2:3], v[26:27], -v[28:29]
	v_add_f64_e32 v[14:15], v[14:15], v[6:7]
	v_add_f64_e32 v[16:17], v[16:17], v[8:9]
	ds_load_b128 v[2:5], v1 offset:1520
	ds_load_b128 v[6:9], v1 offset:1536
	v_fma_f64 v[12:13], v[12:13], v[30:31], v[18:19]
	v_fma_f64 v[10:11], v[10:11], v[30:31], -v[20:21]
	s_wait_loadcnt_dscnt 0x301
	v_mul_f64_e32 v[26:27], v[2:3], v[40:41]
	v_mul_f64_e32 v[28:29], v[4:5], v[40:41]
	s_wait_loadcnt_dscnt 0x100
	v_mul_f64_e32 v[18:19], v[6:7], v[151:152]
	v_mul_f64_e32 v[20:21], v[8:9], v[151:152]
	v_add_f64_e32 v[14:15], v[14:15], v[24:25]
	v_add_f64_e32 v[16:17], v[16:17], v[22:23]
	v_fma_f64 v[22:23], v[4:5], v[38:39], v[26:27]
	v_fma_f64 v[24:25], v[2:3], v[38:39], -v[28:29]
	ds_load_b128 v[2:5], v1 offset:1552
	v_fma_f64 v[8:9], v[8:9], v[149:150], v[18:19]
	v_fma_f64 v[6:7], v[6:7], v[149:150], -v[20:21]
	v_add_f64_e32 v[10:11], v[14:15], v[10:11]
	v_add_f64_e32 v[12:13], v[16:17], v[12:13]
	s_wait_loadcnt_dscnt 0x0
	v_mul_f64_e32 v[14:15], v[2:3], v[36:37]
	v_mul_f64_e32 v[16:17], v[4:5], v[36:37]
	s_delay_alu instid0(VALU_DEP_4) | instskip(NEXT) | instid1(VALU_DEP_4)
	v_add_f64_e32 v[10:11], v[10:11], v[24:25]
	v_add_f64_e32 v[12:13], v[12:13], v[22:23]
	s_delay_alu instid0(VALU_DEP_4) | instskip(NEXT) | instid1(VALU_DEP_4)
	v_fma_f64 v[4:5], v[4:5], v[34:35], v[14:15]
	v_fma_f64 v[2:3], v[2:3], v[34:35], -v[16:17]
	s_delay_alu instid0(VALU_DEP_4) | instskip(NEXT) | instid1(VALU_DEP_4)
	v_add_f64_e32 v[6:7], v[10:11], v[6:7]
	v_add_f64_e32 v[8:9], v[12:13], v[8:9]
	s_delay_alu instid0(VALU_DEP_2) | instskip(NEXT) | instid1(VALU_DEP_2)
	v_add_f64_e32 v[2:3], v[6:7], v[2:3]
	v_add_f64_e32 v[4:5], v[8:9], v[4:5]
	s_delay_alu instid0(VALU_DEP_2) | instskip(NEXT) | instid1(VALU_DEP_2)
	v_add_f64_e64 v[2:3], v[141:142], -v[2:3]
	v_add_f64_e64 v[4:5], v[143:144], -v[4:5]
	scratch_store_b128 off, v[2:5], off offset:608
	v_cmpx_lt_u32_e32 36, v0
	s_cbranch_execz .LBB48_235
; %bb.234:
	scratch_load_b128 v[5:8], off, s22
	v_dual_mov_b32 v2, v1 :: v_dual_mov_b32 v3, v1
	v_mov_b32_e32 v4, v1
	scratch_store_b128 off, v[1:4], off offset:592
	s_wait_loadcnt 0x0
	ds_store_b128 v140, v[5:8]
.LBB48_235:
	s_wait_alu 0xfffe
	s_or_b32 exec_lo, exec_lo, s0
	s_wait_storecnt_dscnt 0x0
	s_barrier_signal -1
	s_barrier_wait -1
	global_inv scope:SCOPE_SE
	s_clause 0x8
	scratch_load_b128 v[2:5], off, off offset:608
	scratch_load_b128 v[6:9], off, off offset:624
	;; [unrolled: 1-line block ×9, first 2 shown]
	ds_load_b128 v[38:41], v1 offset:1376
	ds_load_b128 v[141:144], v1 offset:1392
	s_clause 0x1
	scratch_load_b128 v[145:148], off, off offset:592
	scratch_load_b128 v[149:152], off, off offset:752
	s_mov_b32 s0, exec_lo
	s_wait_loadcnt_dscnt 0xa01
	v_mul_f64_e32 v[153:154], v[40:41], v[4:5]
	v_mul_f64_e32 v[4:5], v[38:39], v[4:5]
	s_wait_loadcnt_dscnt 0x900
	v_mul_f64_e32 v[157:158], v[141:142], v[8:9]
	v_mul_f64_e32 v[8:9], v[143:144], v[8:9]
	s_delay_alu instid0(VALU_DEP_4) | instskip(NEXT) | instid1(VALU_DEP_4)
	v_fma_f64 v[159:160], v[38:39], v[2:3], -v[153:154]
	v_fma_f64 v[161:162], v[40:41], v[2:3], v[4:5]
	ds_load_b128 v[2:5], v1 offset:1408
	ds_load_b128 v[153:156], v1 offset:1424
	scratch_load_b128 v[38:41], off, off offset:768
	v_fma_f64 v[143:144], v[143:144], v[6:7], v[157:158]
	v_fma_f64 v[141:142], v[141:142], v[6:7], -v[8:9]
	scratch_load_b128 v[6:9], off, off offset:784
	s_wait_loadcnt_dscnt 0xa01
	v_mul_f64_e32 v[163:164], v[2:3], v[12:13]
	v_mul_f64_e32 v[12:13], v[4:5], v[12:13]
	v_add_f64_e32 v[157:158], 0, v[159:160]
	v_add_f64_e32 v[159:160], 0, v[161:162]
	s_wait_loadcnt_dscnt 0x900
	v_mul_f64_e32 v[161:162], v[153:154], v[16:17]
	v_mul_f64_e32 v[16:17], v[155:156], v[16:17]
	v_fma_f64 v[163:164], v[4:5], v[10:11], v[163:164]
	v_fma_f64 v[165:166], v[2:3], v[10:11], -v[12:13]
	ds_load_b128 v[2:5], v1 offset:1440
	ds_load_b128 v[10:13], v1 offset:1456
	v_add_f64_e32 v[141:142], v[157:158], v[141:142]
	v_add_f64_e32 v[143:144], v[159:160], v[143:144]
	v_fma_f64 v[155:156], v[155:156], v[14:15], v[161:162]
	v_fma_f64 v[14:15], v[153:154], v[14:15], -v[16:17]
	s_wait_loadcnt_dscnt 0x801
	v_mul_f64_e32 v[157:158], v[2:3], v[20:21]
	v_mul_f64_e32 v[20:21], v[4:5], v[20:21]
	v_add_f64_e32 v[16:17], v[141:142], v[165:166]
	v_add_f64_e32 v[141:142], v[143:144], v[163:164]
	s_wait_loadcnt_dscnt 0x700
	v_mul_f64_e32 v[143:144], v[10:11], v[24:25]
	v_mul_f64_e32 v[24:25], v[12:13], v[24:25]
	v_fma_f64 v[153:154], v[4:5], v[18:19], v[157:158]
	v_fma_f64 v[18:19], v[2:3], v[18:19], -v[20:21]
	v_add_f64_e32 v[20:21], v[16:17], v[14:15]
	v_add_f64_e32 v[141:142], v[141:142], v[155:156]
	ds_load_b128 v[2:5], v1 offset:1472
	ds_load_b128 v[14:17], v1 offset:1488
	v_fma_f64 v[12:13], v[12:13], v[22:23], v[143:144]
	v_fma_f64 v[10:11], v[10:11], v[22:23], -v[24:25]
	s_wait_loadcnt_dscnt 0x601
	v_mul_f64_e32 v[155:156], v[2:3], v[28:29]
	v_mul_f64_e32 v[28:29], v[4:5], v[28:29]
	s_wait_loadcnt_dscnt 0x500
	v_mul_f64_e32 v[22:23], v[14:15], v[32:33]
	v_mul_f64_e32 v[24:25], v[16:17], v[32:33]
	v_add_f64_e32 v[18:19], v[20:21], v[18:19]
	v_add_f64_e32 v[20:21], v[141:142], v[153:154]
	v_fma_f64 v[32:33], v[4:5], v[26:27], v[155:156]
	v_fma_f64 v[26:27], v[2:3], v[26:27], -v[28:29]
	v_fma_f64 v[16:17], v[16:17], v[30:31], v[22:23]
	v_fma_f64 v[14:15], v[14:15], v[30:31], -v[24:25]
	v_add_f64_e32 v[18:19], v[18:19], v[10:11]
	v_add_f64_e32 v[20:21], v[20:21], v[12:13]
	ds_load_b128 v[2:5], v1 offset:1504
	ds_load_b128 v[10:13], v1 offset:1520
	s_wait_loadcnt_dscnt 0x401
	v_mul_f64_e32 v[28:29], v[2:3], v[36:37]
	v_mul_f64_e32 v[36:37], v[4:5], v[36:37]
	s_wait_loadcnt_dscnt 0x200
	v_mul_f64_e32 v[22:23], v[10:11], v[151:152]
	v_mul_f64_e32 v[24:25], v[12:13], v[151:152]
	v_add_f64_e32 v[18:19], v[18:19], v[26:27]
	v_add_f64_e32 v[20:21], v[20:21], v[32:33]
	v_fma_f64 v[26:27], v[4:5], v[34:35], v[28:29]
	v_fma_f64 v[28:29], v[2:3], v[34:35], -v[36:37]
	v_fma_f64 v[12:13], v[12:13], v[149:150], v[22:23]
	v_fma_f64 v[10:11], v[10:11], v[149:150], -v[24:25]
	v_add_f64_e32 v[18:19], v[18:19], v[14:15]
	v_add_f64_e32 v[20:21], v[20:21], v[16:17]
	ds_load_b128 v[2:5], v1 offset:1536
	ds_load_b128 v[14:17], v1 offset:1552
	s_wait_loadcnt_dscnt 0x101
	v_mul_f64_e32 v[30:31], v[2:3], v[40:41]
	v_mul_f64_e32 v[32:33], v[4:5], v[40:41]
	s_wait_loadcnt_dscnt 0x0
	v_mul_f64_e32 v[22:23], v[14:15], v[8:9]
	v_mul_f64_e32 v[8:9], v[16:17], v[8:9]
	v_add_f64_e32 v[18:19], v[18:19], v[28:29]
	v_add_f64_e32 v[20:21], v[20:21], v[26:27]
	v_fma_f64 v[4:5], v[4:5], v[38:39], v[30:31]
	v_fma_f64 v[1:2], v[2:3], v[38:39], -v[32:33]
	v_fma_f64 v[16:17], v[16:17], v[6:7], v[22:23]
	v_fma_f64 v[6:7], v[14:15], v[6:7], -v[8:9]
	v_add_f64_e32 v[10:11], v[18:19], v[10:11]
	v_add_f64_e32 v[12:13], v[20:21], v[12:13]
	s_delay_alu instid0(VALU_DEP_2) | instskip(NEXT) | instid1(VALU_DEP_2)
	v_add_f64_e32 v[1:2], v[10:11], v[1:2]
	v_add_f64_e32 v[3:4], v[12:13], v[4:5]
	s_delay_alu instid0(VALU_DEP_2) | instskip(NEXT) | instid1(VALU_DEP_2)
	;; [unrolled: 3-line block ×3, first 2 shown]
	v_add_f64_e64 v[1:2], v[145:146], -v[1:2]
	v_add_f64_e64 v[3:4], v[147:148], -v[3:4]
	scratch_store_b128 off, v[1:4], off offset:592
	v_cmpx_lt_u32_e32 35, v0
	s_cbranch_execz .LBB48_237
; %bb.236:
	scratch_load_b128 v[1:4], off, s21
	v_mov_b32_e32 v5, 0
	s_delay_alu instid0(VALU_DEP_1)
	v_dual_mov_b32 v6, v5 :: v_dual_mov_b32 v7, v5
	v_mov_b32_e32 v8, v5
	scratch_store_b128 off, v[5:8], off offset:576
	s_wait_loadcnt 0x0
	ds_store_b128 v140, v[1:4]
.LBB48_237:
	s_wait_alu 0xfffe
	s_or_b32 exec_lo, exec_lo, s0
	s_wait_storecnt_dscnt 0x0
	s_barrier_signal -1
	s_barrier_wait -1
	global_inv scope:SCOPE_SE
	s_clause 0x7
	scratch_load_b128 v[2:5], off, off offset:592
	scratch_load_b128 v[6:9], off, off offset:608
	;; [unrolled: 1-line block ×8, first 2 shown]
	v_mov_b32_e32 v1, 0
	s_clause 0x1
	scratch_load_b128 v[38:41], off, off offset:720
	scratch_load_b128 v[145:148], off, off offset:736
	s_mov_b32 s0, exec_lo
	ds_load_b128 v[34:37], v1 offset:1360
	ds_load_b128 v[141:144], v1 offset:1376
	s_wait_loadcnt_dscnt 0x901
	v_mul_f64_e32 v[149:150], v[36:37], v[4:5]
	v_mul_f64_e32 v[4:5], v[34:35], v[4:5]
	s_wait_loadcnt_dscnt 0x800
	v_mul_f64_e32 v[151:152], v[141:142], v[8:9]
	v_mul_f64_e32 v[8:9], v[143:144], v[8:9]
	s_delay_alu instid0(VALU_DEP_4) | instskip(NEXT) | instid1(VALU_DEP_4)
	v_fma_f64 v[149:150], v[34:35], v[2:3], -v[149:150]
	v_fma_f64 v[153:154], v[36:37], v[2:3], v[4:5]
	ds_load_b128 v[2:5], v1 offset:1392
	scratch_load_b128 v[34:37], off, off offset:752
	v_fma_f64 v[151:152], v[143:144], v[6:7], v[151:152]
	v_fma_f64 v[157:158], v[141:142], v[6:7], -v[8:9]
	ds_load_b128 v[6:9], v1 offset:1408
	scratch_load_b128 v[141:144], off, off offset:768
	s_wait_loadcnt_dscnt 0x901
	v_mul_f64_e32 v[155:156], v[2:3], v[12:13]
	v_mul_f64_e32 v[12:13], v[4:5], v[12:13]
	s_wait_loadcnt_dscnt 0x800
	v_mul_f64_e32 v[159:160], v[6:7], v[16:17]
	v_mul_f64_e32 v[16:17], v[8:9], v[16:17]
	v_add_f64_e32 v[149:150], 0, v[149:150]
	v_add_f64_e32 v[153:154], 0, v[153:154]
	v_fma_f64 v[155:156], v[4:5], v[10:11], v[155:156]
	v_fma_f64 v[161:162], v[2:3], v[10:11], -v[12:13]
	ds_load_b128 v[2:5], v1 offset:1424
	scratch_load_b128 v[10:13], off, off offset:784
	v_add_f64_e32 v[149:150], v[149:150], v[157:158]
	v_add_f64_e32 v[151:152], v[153:154], v[151:152]
	v_fma_f64 v[157:158], v[8:9], v[14:15], v[159:160]
	v_fma_f64 v[14:15], v[6:7], v[14:15], -v[16:17]
	ds_load_b128 v[6:9], v1 offset:1440
	s_wait_loadcnt_dscnt 0x801
	v_mul_f64_e32 v[153:154], v[2:3], v[20:21]
	v_mul_f64_e32 v[20:21], v[4:5], v[20:21]
	v_add_f64_e32 v[16:17], v[149:150], v[161:162]
	v_add_f64_e32 v[149:150], v[151:152], v[155:156]
	s_wait_loadcnt_dscnt 0x700
	v_mul_f64_e32 v[151:152], v[6:7], v[24:25]
	v_mul_f64_e32 v[24:25], v[8:9], v[24:25]
	v_fma_f64 v[153:154], v[4:5], v[18:19], v[153:154]
	v_fma_f64 v[18:19], v[2:3], v[18:19], -v[20:21]
	ds_load_b128 v[2:5], v1 offset:1456
	v_add_f64_e32 v[14:15], v[16:17], v[14:15]
	v_add_f64_e32 v[16:17], v[149:150], v[157:158]
	v_fma_f64 v[149:150], v[8:9], v[22:23], v[151:152]
	v_fma_f64 v[22:23], v[6:7], v[22:23], -v[24:25]
	ds_load_b128 v[6:9], v1 offset:1472
	s_wait_loadcnt_dscnt 0x601
	v_mul_f64_e32 v[20:21], v[2:3], v[28:29]
	v_mul_f64_e32 v[28:29], v[4:5], v[28:29]
	s_wait_loadcnt_dscnt 0x500
	v_mul_f64_e32 v[151:152], v[6:7], v[32:33]
	v_mul_f64_e32 v[32:33], v[8:9], v[32:33]
	v_add_f64_e32 v[18:19], v[14:15], v[18:19]
	v_add_f64_e32 v[24:25], v[16:17], v[153:154]
	scratch_load_b128 v[14:17], off, off offset:576
	v_fma_f64 v[20:21], v[4:5], v[26:27], v[20:21]
	v_fma_f64 v[26:27], v[2:3], v[26:27], -v[28:29]
	ds_load_b128 v[2:5], v1 offset:1488
	s_wait_loadcnt_dscnt 0x500
	v_mul_f64_e32 v[28:29], v[4:5], v[40:41]
	v_add_f64_e32 v[18:19], v[18:19], v[22:23]
	v_add_f64_e32 v[22:23], v[24:25], v[149:150]
	v_mul_f64_e32 v[24:25], v[2:3], v[40:41]
	v_fma_f64 v[40:41], v[8:9], v[30:31], v[151:152]
	v_fma_f64 v[30:31], v[6:7], v[30:31], -v[32:33]
	ds_load_b128 v[6:9], v1 offset:1504
	v_fma_f64 v[28:29], v[2:3], v[38:39], -v[28:29]
	v_add_f64_e32 v[18:19], v[18:19], v[26:27]
	v_add_f64_e32 v[20:21], v[22:23], v[20:21]
	v_fma_f64 v[24:25], v[4:5], v[38:39], v[24:25]
	ds_load_b128 v[2:5], v1 offset:1520
	s_wait_loadcnt_dscnt 0x401
	v_mul_f64_e32 v[22:23], v[6:7], v[147:148]
	v_mul_f64_e32 v[26:27], v[8:9], v[147:148]
	v_add_f64_e32 v[18:19], v[18:19], v[30:31]
	v_add_f64_e32 v[20:21], v[20:21], v[40:41]
	s_delay_alu instid0(VALU_DEP_4) | instskip(NEXT) | instid1(VALU_DEP_4)
	v_fma_f64 v[22:23], v[8:9], v[145:146], v[22:23]
	v_fma_f64 v[26:27], v[6:7], v[145:146], -v[26:27]
	ds_load_b128 v[6:9], v1 offset:1536
	s_wait_loadcnt_dscnt 0x301
	v_mul_f64_e32 v[30:31], v[2:3], v[36:37]
	v_mul_f64_e32 v[32:33], v[4:5], v[36:37]
	v_add_f64_e32 v[18:19], v[18:19], v[28:29]
	v_add_f64_e32 v[20:21], v[20:21], v[24:25]
	s_delay_alu instid0(VALU_DEP_4) | instskip(NEXT) | instid1(VALU_DEP_4)
	v_fma_f64 v[30:31], v[4:5], v[34:35], v[30:31]
	v_fma_f64 v[32:33], v[2:3], v[34:35], -v[32:33]
	ds_load_b128 v[2:5], v1 offset:1552
	s_wait_loadcnt_dscnt 0x201
	v_mul_f64_e32 v[24:25], v[6:7], v[143:144]
	v_mul_f64_e32 v[28:29], v[8:9], v[143:144]
	v_add_f64_e32 v[18:19], v[18:19], v[26:27]
	v_add_f64_e32 v[20:21], v[20:21], v[22:23]
	s_wait_loadcnt_dscnt 0x100
	v_mul_f64_e32 v[22:23], v[2:3], v[12:13]
	v_mul_f64_e32 v[12:13], v[4:5], v[12:13]
	v_fma_f64 v[8:9], v[8:9], v[141:142], v[24:25]
	v_fma_f64 v[6:7], v[6:7], v[141:142], -v[28:29]
	v_add_f64_e32 v[18:19], v[18:19], v[32:33]
	v_add_f64_e32 v[20:21], v[20:21], v[30:31]
	v_fma_f64 v[4:5], v[4:5], v[10:11], v[22:23]
	v_fma_f64 v[2:3], v[2:3], v[10:11], -v[12:13]
	s_delay_alu instid0(VALU_DEP_4) | instskip(NEXT) | instid1(VALU_DEP_4)
	v_add_f64_e32 v[6:7], v[18:19], v[6:7]
	v_add_f64_e32 v[8:9], v[20:21], v[8:9]
	s_delay_alu instid0(VALU_DEP_2) | instskip(NEXT) | instid1(VALU_DEP_2)
	v_add_f64_e32 v[2:3], v[6:7], v[2:3]
	v_add_f64_e32 v[4:5], v[8:9], v[4:5]
	s_wait_loadcnt 0x0
	s_delay_alu instid0(VALU_DEP_2) | instskip(NEXT) | instid1(VALU_DEP_2)
	v_add_f64_e64 v[2:3], v[14:15], -v[2:3]
	v_add_f64_e64 v[4:5], v[16:17], -v[4:5]
	scratch_store_b128 off, v[2:5], off offset:576
	v_cmpx_lt_u32_e32 34, v0
	s_cbranch_execz .LBB48_239
; %bb.238:
	scratch_load_b128 v[5:8], off, s23
	v_dual_mov_b32 v2, v1 :: v_dual_mov_b32 v3, v1
	v_mov_b32_e32 v4, v1
	scratch_store_b128 off, v[1:4], off offset:560
	s_wait_loadcnt 0x0
	ds_store_b128 v140, v[5:8]
.LBB48_239:
	s_wait_alu 0xfffe
	s_or_b32 exec_lo, exec_lo, s0
	s_wait_storecnt_dscnt 0x0
	s_barrier_signal -1
	s_barrier_wait -1
	global_inv scope:SCOPE_SE
	s_clause 0x7
	scratch_load_b128 v[2:5], off, off offset:576
	scratch_load_b128 v[6:9], off, off offset:592
	;; [unrolled: 1-line block ×8, first 2 shown]
	ds_load_b128 v[34:37], v1 offset:1344
	ds_load_b128 v[141:144], v1 offset:1360
	s_clause 0x1
	scratch_load_b128 v[38:41], off, off offset:704
	scratch_load_b128 v[145:148], off, off offset:720
	s_mov_b32 s0, exec_lo
	s_wait_loadcnt_dscnt 0x901
	v_mul_f64_e32 v[149:150], v[36:37], v[4:5]
	v_mul_f64_e32 v[4:5], v[34:35], v[4:5]
	s_wait_loadcnt_dscnt 0x800
	v_mul_f64_e32 v[151:152], v[141:142], v[8:9]
	v_mul_f64_e32 v[8:9], v[143:144], v[8:9]
	s_delay_alu instid0(VALU_DEP_4) | instskip(NEXT) | instid1(VALU_DEP_4)
	v_fma_f64 v[149:150], v[34:35], v[2:3], -v[149:150]
	v_fma_f64 v[153:154], v[36:37], v[2:3], v[4:5]
	ds_load_b128 v[2:5], v1 offset:1376
	scratch_load_b128 v[34:37], off, off offset:736
	v_fma_f64 v[151:152], v[143:144], v[6:7], v[151:152]
	v_fma_f64 v[157:158], v[141:142], v[6:7], -v[8:9]
	ds_load_b128 v[6:9], v1 offset:1392
	scratch_load_b128 v[141:144], off, off offset:752
	s_wait_loadcnt_dscnt 0x901
	v_mul_f64_e32 v[155:156], v[2:3], v[12:13]
	v_mul_f64_e32 v[12:13], v[4:5], v[12:13]
	s_wait_loadcnt_dscnt 0x800
	v_mul_f64_e32 v[159:160], v[6:7], v[16:17]
	v_mul_f64_e32 v[16:17], v[8:9], v[16:17]
	v_add_f64_e32 v[149:150], 0, v[149:150]
	v_add_f64_e32 v[153:154], 0, v[153:154]
	v_fma_f64 v[155:156], v[4:5], v[10:11], v[155:156]
	v_fma_f64 v[161:162], v[2:3], v[10:11], -v[12:13]
	ds_load_b128 v[2:5], v1 offset:1408
	scratch_load_b128 v[10:13], off, off offset:768
	v_add_f64_e32 v[149:150], v[149:150], v[157:158]
	v_add_f64_e32 v[151:152], v[153:154], v[151:152]
	v_fma_f64 v[157:158], v[8:9], v[14:15], v[159:160]
	v_fma_f64 v[159:160], v[6:7], v[14:15], -v[16:17]
	ds_load_b128 v[6:9], v1 offset:1424
	scratch_load_b128 v[14:17], off, off offset:784
	s_wait_loadcnt_dscnt 0x901
	v_mul_f64_e32 v[153:154], v[2:3], v[20:21]
	v_mul_f64_e32 v[20:21], v[4:5], v[20:21]
	v_add_f64_e32 v[149:150], v[149:150], v[161:162]
	v_add_f64_e32 v[151:152], v[151:152], v[155:156]
	s_wait_loadcnt_dscnt 0x800
	v_mul_f64_e32 v[155:156], v[6:7], v[24:25]
	v_mul_f64_e32 v[24:25], v[8:9], v[24:25]
	v_fma_f64 v[153:154], v[4:5], v[18:19], v[153:154]
	v_fma_f64 v[18:19], v[2:3], v[18:19], -v[20:21]
	ds_load_b128 v[2:5], v1 offset:1440
	v_add_f64_e32 v[20:21], v[149:150], v[159:160]
	v_add_f64_e32 v[149:150], v[151:152], v[157:158]
	v_fma_f64 v[155:156], v[8:9], v[22:23], v[155:156]
	v_fma_f64 v[22:23], v[6:7], v[22:23], -v[24:25]
	ds_load_b128 v[6:9], v1 offset:1456
	s_wait_loadcnt_dscnt 0x701
	v_mul_f64_e32 v[151:152], v[2:3], v[28:29]
	v_mul_f64_e32 v[28:29], v[4:5], v[28:29]
	s_wait_loadcnt_dscnt 0x600
	v_mul_f64_e32 v[24:25], v[6:7], v[32:33]
	v_mul_f64_e32 v[32:33], v[8:9], v[32:33]
	v_add_f64_e32 v[18:19], v[20:21], v[18:19]
	v_add_f64_e32 v[20:21], v[149:150], v[153:154]
	v_fma_f64 v[149:150], v[4:5], v[26:27], v[151:152]
	v_fma_f64 v[26:27], v[2:3], v[26:27], -v[28:29]
	ds_load_b128 v[2:5], v1 offset:1472
	v_fma_f64 v[24:25], v[8:9], v[30:31], v[24:25]
	v_fma_f64 v[30:31], v[6:7], v[30:31], -v[32:33]
	ds_load_b128 v[6:9], v1 offset:1488
	v_add_f64_e32 v[22:23], v[18:19], v[22:23]
	v_add_f64_e32 v[28:29], v[20:21], v[155:156]
	scratch_load_b128 v[18:21], off, off offset:560
	s_wait_loadcnt_dscnt 0x601
	v_mul_f64_e32 v[151:152], v[2:3], v[40:41]
	v_mul_f64_e32 v[40:41], v[4:5], v[40:41]
	s_wait_loadcnt_dscnt 0x500
	v_mul_f64_e32 v[32:33], v[8:9], v[147:148]
	v_add_f64_e32 v[22:23], v[22:23], v[26:27]
	v_add_f64_e32 v[26:27], v[28:29], v[149:150]
	v_mul_f64_e32 v[28:29], v[6:7], v[147:148]
	v_fma_f64 v[147:148], v[4:5], v[38:39], v[151:152]
	v_fma_f64 v[38:39], v[2:3], v[38:39], -v[40:41]
	ds_load_b128 v[2:5], v1 offset:1504
	v_fma_f64 v[32:33], v[6:7], v[145:146], -v[32:33]
	v_add_f64_e32 v[22:23], v[22:23], v[30:31]
	v_add_f64_e32 v[24:25], v[26:27], v[24:25]
	v_fma_f64 v[28:29], v[8:9], v[145:146], v[28:29]
	ds_load_b128 v[6:9], v1 offset:1520
	s_wait_loadcnt_dscnt 0x401
	v_mul_f64_e32 v[26:27], v[2:3], v[36:37]
	v_mul_f64_e32 v[30:31], v[4:5], v[36:37]
	s_wait_loadcnt_dscnt 0x300
	v_mul_f64_e32 v[36:37], v[6:7], v[143:144]
	v_add_f64_e32 v[22:23], v[22:23], v[38:39]
	v_add_f64_e32 v[24:25], v[24:25], v[147:148]
	v_mul_f64_e32 v[38:39], v[8:9], v[143:144]
	v_fma_f64 v[26:27], v[4:5], v[34:35], v[26:27]
	v_fma_f64 v[30:31], v[2:3], v[34:35], -v[30:31]
	ds_load_b128 v[2:5], v1 offset:1536
	v_add_f64_e32 v[22:23], v[22:23], v[32:33]
	v_add_f64_e32 v[24:25], v[24:25], v[28:29]
	v_fma_f64 v[32:33], v[8:9], v[141:142], v[36:37]
	v_fma_f64 v[34:35], v[6:7], v[141:142], -v[38:39]
	ds_load_b128 v[6:9], v1 offset:1552
	s_wait_loadcnt_dscnt 0x201
	v_mul_f64_e32 v[28:29], v[2:3], v[12:13]
	v_mul_f64_e32 v[12:13], v[4:5], v[12:13]
	v_add_f64_e32 v[22:23], v[22:23], v[30:31]
	v_add_f64_e32 v[24:25], v[24:25], v[26:27]
	s_wait_loadcnt_dscnt 0x100
	v_mul_f64_e32 v[26:27], v[6:7], v[16:17]
	v_mul_f64_e32 v[16:17], v[8:9], v[16:17]
	v_fma_f64 v[4:5], v[4:5], v[10:11], v[28:29]
	v_fma_f64 v[1:2], v[2:3], v[10:11], -v[12:13]
	v_add_f64_e32 v[10:11], v[22:23], v[34:35]
	v_add_f64_e32 v[12:13], v[24:25], v[32:33]
	v_fma_f64 v[8:9], v[8:9], v[14:15], v[26:27]
	v_fma_f64 v[6:7], v[6:7], v[14:15], -v[16:17]
	s_delay_alu instid0(VALU_DEP_4) | instskip(NEXT) | instid1(VALU_DEP_4)
	v_add_f64_e32 v[1:2], v[10:11], v[1:2]
	v_add_f64_e32 v[3:4], v[12:13], v[4:5]
	s_delay_alu instid0(VALU_DEP_2) | instskip(NEXT) | instid1(VALU_DEP_2)
	v_add_f64_e32 v[1:2], v[1:2], v[6:7]
	v_add_f64_e32 v[3:4], v[3:4], v[8:9]
	s_wait_loadcnt 0x0
	s_delay_alu instid0(VALU_DEP_2) | instskip(NEXT) | instid1(VALU_DEP_2)
	v_add_f64_e64 v[1:2], v[18:19], -v[1:2]
	v_add_f64_e64 v[3:4], v[20:21], -v[3:4]
	scratch_store_b128 off, v[1:4], off offset:560
	v_cmpx_lt_u32_e32 33, v0
	s_cbranch_execz .LBB48_241
; %bb.240:
	scratch_load_b128 v[1:4], off, s24
	v_mov_b32_e32 v5, 0
	s_delay_alu instid0(VALU_DEP_1)
	v_dual_mov_b32 v6, v5 :: v_dual_mov_b32 v7, v5
	v_mov_b32_e32 v8, v5
	scratch_store_b128 off, v[5:8], off offset:544
	s_wait_loadcnt 0x0
	ds_store_b128 v140, v[1:4]
.LBB48_241:
	s_wait_alu 0xfffe
	s_or_b32 exec_lo, exec_lo, s0
	s_wait_storecnt_dscnt 0x0
	s_barrier_signal -1
	s_barrier_wait -1
	global_inv scope:SCOPE_SE
	s_clause 0x7
	scratch_load_b128 v[2:5], off, off offset:560
	scratch_load_b128 v[6:9], off, off offset:576
	;; [unrolled: 1-line block ×8, first 2 shown]
	v_mov_b32_e32 v1, 0
	s_clause 0x1
	scratch_load_b128 v[38:41], off, off offset:688
	scratch_load_b128 v[145:148], off, off offset:704
	s_mov_b32 s0, exec_lo
	ds_load_b128 v[34:37], v1 offset:1328
	ds_load_b128 v[141:144], v1 offset:1344
	s_wait_loadcnt_dscnt 0x901
	v_mul_f64_e32 v[149:150], v[36:37], v[4:5]
	v_mul_f64_e32 v[4:5], v[34:35], v[4:5]
	s_wait_loadcnt_dscnt 0x800
	v_mul_f64_e32 v[151:152], v[141:142], v[8:9]
	v_mul_f64_e32 v[8:9], v[143:144], v[8:9]
	s_delay_alu instid0(VALU_DEP_4) | instskip(NEXT) | instid1(VALU_DEP_4)
	v_fma_f64 v[149:150], v[34:35], v[2:3], -v[149:150]
	v_fma_f64 v[153:154], v[36:37], v[2:3], v[4:5]
	ds_load_b128 v[2:5], v1 offset:1360
	scratch_load_b128 v[34:37], off, off offset:720
	v_fma_f64 v[151:152], v[143:144], v[6:7], v[151:152]
	v_fma_f64 v[157:158], v[141:142], v[6:7], -v[8:9]
	ds_load_b128 v[6:9], v1 offset:1376
	scratch_load_b128 v[141:144], off, off offset:736
	s_wait_loadcnt_dscnt 0x901
	v_mul_f64_e32 v[155:156], v[2:3], v[12:13]
	v_mul_f64_e32 v[12:13], v[4:5], v[12:13]
	s_wait_loadcnt_dscnt 0x800
	v_mul_f64_e32 v[159:160], v[6:7], v[16:17]
	v_mul_f64_e32 v[16:17], v[8:9], v[16:17]
	v_add_f64_e32 v[149:150], 0, v[149:150]
	v_add_f64_e32 v[153:154], 0, v[153:154]
	v_fma_f64 v[155:156], v[4:5], v[10:11], v[155:156]
	v_fma_f64 v[161:162], v[2:3], v[10:11], -v[12:13]
	ds_load_b128 v[2:5], v1 offset:1392
	scratch_load_b128 v[10:13], off, off offset:752
	v_add_f64_e32 v[149:150], v[149:150], v[157:158]
	v_add_f64_e32 v[151:152], v[153:154], v[151:152]
	v_fma_f64 v[157:158], v[8:9], v[14:15], v[159:160]
	v_fma_f64 v[159:160], v[6:7], v[14:15], -v[16:17]
	ds_load_b128 v[6:9], v1 offset:1408
	scratch_load_b128 v[14:17], off, off offset:768
	s_wait_loadcnt_dscnt 0x901
	v_mul_f64_e32 v[153:154], v[2:3], v[20:21]
	v_mul_f64_e32 v[20:21], v[4:5], v[20:21]
	v_add_f64_e32 v[149:150], v[149:150], v[161:162]
	v_add_f64_e32 v[151:152], v[151:152], v[155:156]
	s_wait_loadcnt_dscnt 0x800
	v_mul_f64_e32 v[155:156], v[6:7], v[24:25]
	v_mul_f64_e32 v[24:25], v[8:9], v[24:25]
	v_fma_f64 v[153:154], v[4:5], v[18:19], v[153:154]
	v_fma_f64 v[161:162], v[2:3], v[18:19], -v[20:21]
	ds_load_b128 v[2:5], v1 offset:1424
	scratch_load_b128 v[18:21], off, off offset:784
	v_add_f64_e32 v[149:150], v[149:150], v[159:160]
	v_add_f64_e32 v[151:152], v[151:152], v[157:158]
	v_fma_f64 v[155:156], v[8:9], v[22:23], v[155:156]
	v_fma_f64 v[22:23], v[6:7], v[22:23], -v[24:25]
	ds_load_b128 v[6:9], v1 offset:1440
	s_wait_loadcnt_dscnt 0x801
	v_mul_f64_e32 v[157:158], v[2:3], v[28:29]
	v_mul_f64_e32 v[28:29], v[4:5], v[28:29]
	v_add_f64_e32 v[24:25], v[149:150], v[161:162]
	v_add_f64_e32 v[149:150], v[151:152], v[153:154]
	s_wait_loadcnt_dscnt 0x700
	v_mul_f64_e32 v[151:152], v[6:7], v[32:33]
	v_mul_f64_e32 v[32:33], v[8:9], v[32:33]
	v_fma_f64 v[153:154], v[4:5], v[26:27], v[157:158]
	v_fma_f64 v[26:27], v[2:3], v[26:27], -v[28:29]
	ds_load_b128 v[2:5], v1 offset:1456
	v_add_f64_e32 v[22:23], v[24:25], v[22:23]
	v_add_f64_e32 v[24:25], v[149:150], v[155:156]
	v_fma_f64 v[149:150], v[8:9], v[30:31], v[151:152]
	v_fma_f64 v[30:31], v[6:7], v[30:31], -v[32:33]
	ds_load_b128 v[6:9], v1 offset:1472
	s_wait_loadcnt_dscnt 0x500
	v_mul_f64_e32 v[151:152], v[6:7], v[147:148]
	v_mul_f64_e32 v[147:148], v[8:9], v[147:148]
	v_add_f64_e32 v[26:27], v[22:23], v[26:27]
	v_add_f64_e32 v[32:33], v[24:25], v[153:154]
	scratch_load_b128 v[22:25], off, off offset:544
	v_mul_f64_e32 v[28:29], v[2:3], v[40:41]
	v_mul_f64_e32 v[40:41], v[4:5], v[40:41]
	v_add_f64_e32 v[26:27], v[26:27], v[30:31]
	v_add_f64_e32 v[30:31], v[32:33], v[149:150]
	s_delay_alu instid0(VALU_DEP_4) | instskip(NEXT) | instid1(VALU_DEP_4)
	v_fma_f64 v[28:29], v[4:5], v[38:39], v[28:29]
	v_fma_f64 v[38:39], v[2:3], v[38:39], -v[40:41]
	ds_load_b128 v[2:5], v1 offset:1488
	v_fma_f64 v[40:41], v[8:9], v[145:146], v[151:152]
	v_fma_f64 v[145:146], v[6:7], v[145:146], -v[147:148]
	ds_load_b128 v[6:9], v1 offset:1504
	s_wait_loadcnt_dscnt 0x501
	v_mul_f64_e32 v[32:33], v[2:3], v[36:37]
	v_mul_f64_e32 v[36:37], v[4:5], v[36:37]
	v_add_f64_e32 v[28:29], v[30:31], v[28:29]
	v_add_f64_e32 v[26:27], v[26:27], v[38:39]
	s_wait_loadcnt_dscnt 0x400
	v_mul_f64_e32 v[30:31], v[6:7], v[143:144]
	v_mul_f64_e32 v[38:39], v[8:9], v[143:144]
	v_fma_f64 v[32:33], v[4:5], v[34:35], v[32:33]
	v_fma_f64 v[34:35], v[2:3], v[34:35], -v[36:37]
	ds_load_b128 v[2:5], v1 offset:1520
	v_add_f64_e32 v[28:29], v[28:29], v[40:41]
	v_add_f64_e32 v[26:27], v[26:27], v[145:146]
	v_fma_f64 v[30:31], v[8:9], v[141:142], v[30:31]
	v_fma_f64 v[38:39], v[6:7], v[141:142], -v[38:39]
	ds_load_b128 v[6:9], v1 offset:1536
	s_wait_loadcnt_dscnt 0x301
	v_mul_f64_e32 v[36:37], v[2:3], v[12:13]
	v_mul_f64_e32 v[12:13], v[4:5], v[12:13]
	v_add_f64_e32 v[28:29], v[28:29], v[32:33]
	v_add_f64_e32 v[26:27], v[26:27], v[34:35]
	s_wait_loadcnt_dscnt 0x200
	v_mul_f64_e32 v[32:33], v[6:7], v[16:17]
	v_mul_f64_e32 v[16:17], v[8:9], v[16:17]
	v_fma_f64 v[34:35], v[4:5], v[10:11], v[36:37]
	v_fma_f64 v[10:11], v[2:3], v[10:11], -v[12:13]
	ds_load_b128 v[2:5], v1 offset:1552
	v_add_f64_e32 v[12:13], v[26:27], v[38:39]
	v_add_f64_e32 v[26:27], v[28:29], v[30:31]
	s_wait_loadcnt_dscnt 0x100
	v_mul_f64_e32 v[28:29], v[2:3], v[20:21]
	v_mul_f64_e32 v[20:21], v[4:5], v[20:21]
	v_fma_f64 v[8:9], v[8:9], v[14:15], v[32:33]
	v_fma_f64 v[6:7], v[6:7], v[14:15], -v[16:17]
	v_add_f64_e32 v[10:11], v[12:13], v[10:11]
	v_add_f64_e32 v[12:13], v[26:27], v[34:35]
	v_fma_f64 v[4:5], v[4:5], v[18:19], v[28:29]
	v_fma_f64 v[2:3], v[2:3], v[18:19], -v[20:21]
	s_delay_alu instid0(VALU_DEP_4) | instskip(NEXT) | instid1(VALU_DEP_4)
	v_add_f64_e32 v[6:7], v[10:11], v[6:7]
	v_add_f64_e32 v[8:9], v[12:13], v[8:9]
	s_delay_alu instid0(VALU_DEP_2) | instskip(NEXT) | instid1(VALU_DEP_2)
	v_add_f64_e32 v[2:3], v[6:7], v[2:3]
	v_add_f64_e32 v[4:5], v[8:9], v[4:5]
	s_wait_loadcnt 0x0
	s_delay_alu instid0(VALU_DEP_2) | instskip(NEXT) | instid1(VALU_DEP_2)
	v_add_f64_e64 v[2:3], v[22:23], -v[2:3]
	v_add_f64_e64 v[4:5], v[24:25], -v[4:5]
	scratch_store_b128 off, v[2:5], off offset:544
	v_cmpx_lt_u32_e32 32, v0
	s_cbranch_execz .LBB48_243
; %bb.242:
	scratch_load_b128 v[5:8], off, s25
	v_dual_mov_b32 v2, v1 :: v_dual_mov_b32 v3, v1
	v_mov_b32_e32 v4, v1
	scratch_store_b128 off, v[1:4], off offset:528
	s_wait_loadcnt 0x0
	ds_store_b128 v140, v[5:8]
.LBB48_243:
	s_wait_alu 0xfffe
	s_or_b32 exec_lo, exec_lo, s0
	s_wait_storecnt_dscnt 0x0
	s_barrier_signal -1
	s_barrier_wait -1
	global_inv scope:SCOPE_SE
	s_clause 0x7
	scratch_load_b128 v[2:5], off, off offset:544
	scratch_load_b128 v[6:9], off, off offset:560
	scratch_load_b128 v[10:13], off, off offset:576
	scratch_load_b128 v[14:17], off, off offset:592
	scratch_load_b128 v[18:21], off, off offset:608
	scratch_load_b128 v[22:25], off, off offset:624
	scratch_load_b128 v[26:29], off, off offset:640
	scratch_load_b128 v[30:33], off, off offset:656
	ds_load_b128 v[34:37], v1 offset:1312
	ds_load_b128 v[141:144], v1 offset:1328
	s_clause 0x1
	scratch_load_b128 v[38:41], off, off offset:672
	scratch_load_b128 v[145:148], off, off offset:688
	s_mov_b32 s0, exec_lo
	s_wait_loadcnt_dscnt 0x901
	v_mul_f64_e32 v[149:150], v[36:37], v[4:5]
	v_mul_f64_e32 v[4:5], v[34:35], v[4:5]
	s_wait_loadcnt_dscnt 0x800
	v_mul_f64_e32 v[151:152], v[141:142], v[8:9]
	v_mul_f64_e32 v[8:9], v[143:144], v[8:9]
	s_delay_alu instid0(VALU_DEP_4) | instskip(NEXT) | instid1(VALU_DEP_4)
	v_fma_f64 v[149:150], v[34:35], v[2:3], -v[149:150]
	v_fma_f64 v[153:154], v[36:37], v[2:3], v[4:5]
	ds_load_b128 v[2:5], v1 offset:1344
	scratch_load_b128 v[34:37], off, off offset:704
	v_fma_f64 v[151:152], v[143:144], v[6:7], v[151:152]
	v_fma_f64 v[157:158], v[141:142], v[6:7], -v[8:9]
	ds_load_b128 v[6:9], v1 offset:1360
	scratch_load_b128 v[141:144], off, off offset:720
	s_wait_loadcnt_dscnt 0x901
	v_mul_f64_e32 v[155:156], v[2:3], v[12:13]
	v_mul_f64_e32 v[12:13], v[4:5], v[12:13]
	s_wait_loadcnt_dscnt 0x800
	v_mul_f64_e32 v[159:160], v[6:7], v[16:17]
	v_mul_f64_e32 v[16:17], v[8:9], v[16:17]
	v_add_f64_e32 v[149:150], 0, v[149:150]
	v_add_f64_e32 v[153:154], 0, v[153:154]
	v_fma_f64 v[155:156], v[4:5], v[10:11], v[155:156]
	v_fma_f64 v[161:162], v[2:3], v[10:11], -v[12:13]
	ds_load_b128 v[2:5], v1 offset:1376
	scratch_load_b128 v[10:13], off, off offset:736
	v_add_f64_e32 v[149:150], v[149:150], v[157:158]
	v_add_f64_e32 v[151:152], v[153:154], v[151:152]
	v_fma_f64 v[157:158], v[8:9], v[14:15], v[159:160]
	v_fma_f64 v[159:160], v[6:7], v[14:15], -v[16:17]
	ds_load_b128 v[6:9], v1 offset:1392
	scratch_load_b128 v[14:17], off, off offset:752
	s_wait_loadcnt_dscnt 0x901
	v_mul_f64_e32 v[153:154], v[2:3], v[20:21]
	v_mul_f64_e32 v[20:21], v[4:5], v[20:21]
	v_add_f64_e32 v[149:150], v[149:150], v[161:162]
	v_add_f64_e32 v[151:152], v[151:152], v[155:156]
	s_wait_loadcnt_dscnt 0x800
	v_mul_f64_e32 v[155:156], v[6:7], v[24:25]
	v_mul_f64_e32 v[24:25], v[8:9], v[24:25]
	v_fma_f64 v[153:154], v[4:5], v[18:19], v[153:154]
	v_fma_f64 v[161:162], v[2:3], v[18:19], -v[20:21]
	ds_load_b128 v[2:5], v1 offset:1408
	scratch_load_b128 v[18:21], off, off offset:768
	v_add_f64_e32 v[149:150], v[149:150], v[159:160]
	v_add_f64_e32 v[151:152], v[151:152], v[157:158]
	v_fma_f64 v[155:156], v[8:9], v[22:23], v[155:156]
	v_fma_f64 v[159:160], v[6:7], v[22:23], -v[24:25]
	ds_load_b128 v[6:9], v1 offset:1424
	s_wait_loadcnt_dscnt 0x801
	v_mul_f64_e32 v[157:158], v[2:3], v[28:29]
	v_mul_f64_e32 v[28:29], v[4:5], v[28:29]
	scratch_load_b128 v[22:25], off, off offset:784
	v_add_f64_e32 v[149:150], v[149:150], v[161:162]
	v_add_f64_e32 v[151:152], v[151:152], v[153:154]
	s_wait_loadcnt_dscnt 0x800
	v_mul_f64_e32 v[153:154], v[6:7], v[32:33]
	v_mul_f64_e32 v[32:33], v[8:9], v[32:33]
	v_fma_f64 v[157:158], v[4:5], v[26:27], v[157:158]
	v_fma_f64 v[26:27], v[2:3], v[26:27], -v[28:29]
	ds_load_b128 v[2:5], v1 offset:1440
	v_add_f64_e32 v[28:29], v[149:150], v[159:160]
	v_add_f64_e32 v[149:150], v[151:152], v[155:156]
	v_fma_f64 v[153:154], v[8:9], v[30:31], v[153:154]
	v_fma_f64 v[30:31], v[6:7], v[30:31], -v[32:33]
	ds_load_b128 v[6:9], v1 offset:1456
	s_wait_loadcnt_dscnt 0x701
	v_mul_f64_e32 v[151:152], v[2:3], v[40:41]
	v_mul_f64_e32 v[40:41], v[4:5], v[40:41]
	v_add_f64_e32 v[26:27], v[28:29], v[26:27]
	v_add_f64_e32 v[28:29], v[149:150], v[157:158]
	s_delay_alu instid0(VALU_DEP_4) | instskip(NEXT) | instid1(VALU_DEP_4)
	v_fma_f64 v[149:150], v[4:5], v[38:39], v[151:152]
	v_fma_f64 v[38:39], v[2:3], v[38:39], -v[40:41]
	ds_load_b128 v[2:5], v1 offset:1472
	v_add_f64_e32 v[30:31], v[26:27], v[30:31]
	v_add_f64_e32 v[40:41], v[28:29], v[153:154]
	scratch_load_b128 v[26:29], off, off offset:528
	s_wait_loadcnt_dscnt 0x701
	v_mul_f64_e32 v[32:33], v[6:7], v[147:148]
	v_mul_f64_e32 v[147:148], v[8:9], v[147:148]
	v_add_f64_e32 v[30:31], v[30:31], v[38:39]
	v_add_f64_e32 v[38:39], v[40:41], v[149:150]
	s_delay_alu instid0(VALU_DEP_4) | instskip(NEXT) | instid1(VALU_DEP_4)
	v_fma_f64 v[32:33], v[8:9], v[145:146], v[32:33]
	v_fma_f64 v[145:146], v[6:7], v[145:146], -v[147:148]
	ds_load_b128 v[6:9], v1 offset:1488
	s_wait_loadcnt_dscnt 0x601
	v_mul_f64_e32 v[151:152], v[2:3], v[36:37]
	v_mul_f64_e32 v[36:37], v[4:5], v[36:37]
	s_wait_loadcnt_dscnt 0x500
	v_mul_f64_e32 v[40:41], v[6:7], v[143:144]
	v_mul_f64_e32 v[143:144], v[8:9], v[143:144]
	v_add_f64_e32 v[32:33], v[38:39], v[32:33]
	v_add_f64_e32 v[30:31], v[30:31], v[145:146]
	v_fma_f64 v[147:148], v[4:5], v[34:35], v[151:152]
	v_fma_f64 v[34:35], v[2:3], v[34:35], -v[36:37]
	ds_load_b128 v[2:5], v1 offset:1504
	v_fma_f64 v[38:39], v[8:9], v[141:142], v[40:41]
	v_fma_f64 v[40:41], v[6:7], v[141:142], -v[143:144]
	ds_load_b128 v[6:9], v1 offset:1520
	s_wait_loadcnt_dscnt 0x401
	v_mul_f64_e32 v[36:37], v[2:3], v[12:13]
	v_mul_f64_e32 v[12:13], v[4:5], v[12:13]
	v_add_f64_e32 v[32:33], v[32:33], v[147:148]
	v_add_f64_e32 v[30:31], v[30:31], v[34:35]
	s_wait_loadcnt_dscnt 0x300
	v_mul_f64_e32 v[34:35], v[6:7], v[16:17]
	v_mul_f64_e32 v[16:17], v[8:9], v[16:17]
	v_fma_f64 v[36:37], v[4:5], v[10:11], v[36:37]
	v_fma_f64 v[10:11], v[2:3], v[10:11], -v[12:13]
	ds_load_b128 v[2:5], v1 offset:1536
	v_add_f64_e32 v[12:13], v[30:31], v[40:41]
	v_add_f64_e32 v[30:31], v[32:33], v[38:39]
	v_fma_f64 v[34:35], v[8:9], v[14:15], v[34:35]
	v_fma_f64 v[14:15], v[6:7], v[14:15], -v[16:17]
	ds_load_b128 v[6:9], v1 offset:1552
	s_wait_loadcnt_dscnt 0x201
	v_mul_f64_e32 v[32:33], v[2:3], v[20:21]
	v_mul_f64_e32 v[20:21], v[4:5], v[20:21]
	s_wait_loadcnt_dscnt 0x100
	v_mul_f64_e32 v[16:17], v[6:7], v[24:25]
	v_mul_f64_e32 v[24:25], v[8:9], v[24:25]
	v_add_f64_e32 v[10:11], v[12:13], v[10:11]
	v_add_f64_e32 v[12:13], v[30:31], v[36:37]
	v_fma_f64 v[4:5], v[4:5], v[18:19], v[32:33]
	v_fma_f64 v[1:2], v[2:3], v[18:19], -v[20:21]
	v_fma_f64 v[8:9], v[8:9], v[22:23], v[16:17]
	v_fma_f64 v[6:7], v[6:7], v[22:23], -v[24:25]
	v_add_f64_e32 v[10:11], v[10:11], v[14:15]
	v_add_f64_e32 v[12:13], v[12:13], v[34:35]
	s_delay_alu instid0(VALU_DEP_2) | instskip(NEXT) | instid1(VALU_DEP_2)
	v_add_f64_e32 v[1:2], v[10:11], v[1:2]
	v_add_f64_e32 v[3:4], v[12:13], v[4:5]
	s_delay_alu instid0(VALU_DEP_2) | instskip(NEXT) | instid1(VALU_DEP_2)
	v_add_f64_e32 v[1:2], v[1:2], v[6:7]
	v_add_f64_e32 v[3:4], v[3:4], v[8:9]
	s_wait_loadcnt 0x0
	s_delay_alu instid0(VALU_DEP_2) | instskip(NEXT) | instid1(VALU_DEP_2)
	v_add_f64_e64 v[1:2], v[26:27], -v[1:2]
	v_add_f64_e64 v[3:4], v[28:29], -v[3:4]
	scratch_store_b128 off, v[1:4], off offset:528
	v_cmpx_lt_u32_e32 31, v0
	s_cbranch_execz .LBB48_245
; %bb.244:
	scratch_load_b128 v[1:4], off, s26
	v_mov_b32_e32 v5, 0
	s_delay_alu instid0(VALU_DEP_1)
	v_dual_mov_b32 v6, v5 :: v_dual_mov_b32 v7, v5
	v_mov_b32_e32 v8, v5
	scratch_store_b128 off, v[5:8], off offset:512
	s_wait_loadcnt 0x0
	ds_store_b128 v140, v[1:4]
.LBB48_245:
	s_wait_alu 0xfffe
	s_or_b32 exec_lo, exec_lo, s0
	s_wait_storecnt_dscnt 0x0
	s_barrier_signal -1
	s_barrier_wait -1
	global_inv scope:SCOPE_SE
	s_clause 0x7
	scratch_load_b128 v[2:5], off, off offset:528
	scratch_load_b128 v[6:9], off, off offset:544
	;; [unrolled: 1-line block ×8, first 2 shown]
	v_mov_b32_e32 v1, 0
	s_clause 0x1
	scratch_load_b128 v[38:41], off, off offset:656
	scratch_load_b128 v[145:148], off, off offset:672
	s_mov_b32 s0, exec_lo
	ds_load_b128 v[34:37], v1 offset:1296
	ds_load_b128 v[141:144], v1 offset:1312
	s_wait_loadcnt_dscnt 0x901
	v_mul_f64_e32 v[149:150], v[36:37], v[4:5]
	v_mul_f64_e32 v[4:5], v[34:35], v[4:5]
	s_wait_loadcnt_dscnt 0x800
	v_mul_f64_e32 v[151:152], v[141:142], v[8:9]
	v_mul_f64_e32 v[8:9], v[143:144], v[8:9]
	s_delay_alu instid0(VALU_DEP_4) | instskip(NEXT) | instid1(VALU_DEP_4)
	v_fma_f64 v[149:150], v[34:35], v[2:3], -v[149:150]
	v_fma_f64 v[153:154], v[36:37], v[2:3], v[4:5]
	ds_load_b128 v[2:5], v1 offset:1328
	scratch_load_b128 v[34:37], off, off offset:688
	v_fma_f64 v[151:152], v[143:144], v[6:7], v[151:152]
	v_fma_f64 v[157:158], v[141:142], v[6:7], -v[8:9]
	ds_load_b128 v[6:9], v1 offset:1344
	scratch_load_b128 v[141:144], off, off offset:704
	s_wait_loadcnt_dscnt 0x901
	v_mul_f64_e32 v[155:156], v[2:3], v[12:13]
	v_mul_f64_e32 v[12:13], v[4:5], v[12:13]
	s_wait_loadcnt_dscnt 0x800
	v_mul_f64_e32 v[159:160], v[6:7], v[16:17]
	v_mul_f64_e32 v[16:17], v[8:9], v[16:17]
	v_add_f64_e32 v[149:150], 0, v[149:150]
	v_add_f64_e32 v[153:154], 0, v[153:154]
	v_fma_f64 v[155:156], v[4:5], v[10:11], v[155:156]
	v_fma_f64 v[161:162], v[2:3], v[10:11], -v[12:13]
	ds_load_b128 v[2:5], v1 offset:1360
	scratch_load_b128 v[10:13], off, off offset:720
	v_add_f64_e32 v[149:150], v[149:150], v[157:158]
	v_add_f64_e32 v[151:152], v[153:154], v[151:152]
	v_fma_f64 v[157:158], v[8:9], v[14:15], v[159:160]
	v_fma_f64 v[159:160], v[6:7], v[14:15], -v[16:17]
	ds_load_b128 v[6:9], v1 offset:1376
	scratch_load_b128 v[14:17], off, off offset:736
	s_wait_loadcnt_dscnt 0x901
	v_mul_f64_e32 v[153:154], v[2:3], v[20:21]
	v_mul_f64_e32 v[20:21], v[4:5], v[20:21]
	v_add_f64_e32 v[149:150], v[149:150], v[161:162]
	v_add_f64_e32 v[151:152], v[151:152], v[155:156]
	s_wait_loadcnt_dscnt 0x800
	v_mul_f64_e32 v[155:156], v[6:7], v[24:25]
	v_mul_f64_e32 v[24:25], v[8:9], v[24:25]
	v_fma_f64 v[153:154], v[4:5], v[18:19], v[153:154]
	v_fma_f64 v[161:162], v[2:3], v[18:19], -v[20:21]
	ds_load_b128 v[2:5], v1 offset:1392
	scratch_load_b128 v[18:21], off, off offset:752
	v_add_f64_e32 v[149:150], v[149:150], v[159:160]
	v_add_f64_e32 v[151:152], v[151:152], v[157:158]
	v_fma_f64 v[155:156], v[8:9], v[22:23], v[155:156]
	v_fma_f64 v[159:160], v[6:7], v[22:23], -v[24:25]
	ds_load_b128 v[6:9], v1 offset:1408
	s_wait_loadcnt_dscnt 0x801
	v_mul_f64_e32 v[157:158], v[2:3], v[28:29]
	v_mul_f64_e32 v[28:29], v[4:5], v[28:29]
	scratch_load_b128 v[22:25], off, off offset:768
	v_add_f64_e32 v[149:150], v[149:150], v[161:162]
	v_add_f64_e32 v[151:152], v[151:152], v[153:154]
	s_wait_loadcnt_dscnt 0x800
	v_mul_f64_e32 v[153:154], v[6:7], v[32:33]
	v_mul_f64_e32 v[32:33], v[8:9], v[32:33]
	v_fma_f64 v[157:158], v[4:5], v[26:27], v[157:158]
	v_fma_f64 v[161:162], v[2:3], v[26:27], -v[28:29]
	ds_load_b128 v[2:5], v1 offset:1424
	scratch_load_b128 v[26:29], off, off offset:784
	v_add_f64_e32 v[149:150], v[149:150], v[159:160]
	v_add_f64_e32 v[151:152], v[151:152], v[155:156]
	v_fma_f64 v[153:154], v[8:9], v[30:31], v[153:154]
	v_fma_f64 v[30:31], v[6:7], v[30:31], -v[32:33]
	ds_load_b128 v[6:9], v1 offset:1440
	s_wait_loadcnt_dscnt 0x801
	v_mul_f64_e32 v[155:156], v[2:3], v[40:41]
	v_mul_f64_e32 v[40:41], v[4:5], v[40:41]
	v_add_f64_e32 v[32:33], v[149:150], v[161:162]
	v_add_f64_e32 v[149:150], v[151:152], v[157:158]
	s_wait_loadcnt_dscnt 0x700
	v_mul_f64_e32 v[151:152], v[6:7], v[147:148]
	v_mul_f64_e32 v[147:148], v[8:9], v[147:148]
	v_fma_f64 v[155:156], v[4:5], v[38:39], v[155:156]
	v_fma_f64 v[38:39], v[2:3], v[38:39], -v[40:41]
	ds_load_b128 v[2:5], v1 offset:1456
	v_add_f64_e32 v[30:31], v[32:33], v[30:31]
	v_add_f64_e32 v[32:33], v[149:150], v[153:154]
	v_fma_f64 v[149:150], v[8:9], v[145:146], v[151:152]
	v_fma_f64 v[145:146], v[6:7], v[145:146], -v[147:148]
	ds_load_b128 v[6:9], v1 offset:1472
	s_wait_loadcnt_dscnt 0x500
	v_mul_f64_e32 v[151:152], v[6:7], v[143:144]
	v_mul_f64_e32 v[143:144], v[8:9], v[143:144]
	v_add_f64_e32 v[38:39], v[30:31], v[38:39]
	v_add_f64_e32 v[147:148], v[32:33], v[155:156]
	scratch_load_b128 v[30:33], off, off offset:512
	v_mul_f64_e32 v[40:41], v[2:3], v[36:37]
	v_mul_f64_e32 v[36:37], v[4:5], v[36:37]
	s_delay_alu instid0(VALU_DEP_2) | instskip(NEXT) | instid1(VALU_DEP_2)
	v_fma_f64 v[40:41], v[4:5], v[34:35], v[40:41]
	v_fma_f64 v[34:35], v[2:3], v[34:35], -v[36:37]
	v_add_f64_e32 v[36:37], v[38:39], v[145:146]
	v_add_f64_e32 v[38:39], v[147:148], v[149:150]
	ds_load_b128 v[2:5], v1 offset:1488
	v_fma_f64 v[147:148], v[8:9], v[141:142], v[151:152]
	v_fma_f64 v[141:142], v[6:7], v[141:142], -v[143:144]
	ds_load_b128 v[6:9], v1 offset:1504
	s_wait_loadcnt_dscnt 0x501
	v_mul_f64_e32 v[145:146], v[2:3], v[12:13]
	v_mul_f64_e32 v[12:13], v[4:5], v[12:13]
	v_add_f64_e32 v[34:35], v[36:37], v[34:35]
	v_add_f64_e32 v[36:37], v[38:39], v[40:41]
	s_wait_loadcnt_dscnt 0x400
	v_mul_f64_e32 v[38:39], v[6:7], v[16:17]
	v_mul_f64_e32 v[16:17], v[8:9], v[16:17]
	v_fma_f64 v[40:41], v[4:5], v[10:11], v[145:146]
	v_fma_f64 v[10:11], v[2:3], v[10:11], -v[12:13]
	ds_load_b128 v[2:5], v1 offset:1520
	v_add_f64_e32 v[12:13], v[34:35], v[141:142]
	v_add_f64_e32 v[34:35], v[36:37], v[147:148]
	v_fma_f64 v[38:39], v[8:9], v[14:15], v[38:39]
	v_fma_f64 v[14:15], v[6:7], v[14:15], -v[16:17]
	ds_load_b128 v[6:9], v1 offset:1536
	s_wait_loadcnt_dscnt 0x301
	v_mul_f64_e32 v[36:37], v[2:3], v[20:21]
	v_mul_f64_e32 v[20:21], v[4:5], v[20:21]
	s_wait_loadcnt_dscnt 0x200
	v_mul_f64_e32 v[16:17], v[6:7], v[24:25]
	v_mul_f64_e32 v[24:25], v[8:9], v[24:25]
	v_add_f64_e32 v[10:11], v[12:13], v[10:11]
	v_add_f64_e32 v[12:13], v[34:35], v[40:41]
	v_fma_f64 v[34:35], v[4:5], v[18:19], v[36:37]
	v_fma_f64 v[18:19], v[2:3], v[18:19], -v[20:21]
	ds_load_b128 v[2:5], v1 offset:1552
	v_fma_f64 v[8:9], v[8:9], v[22:23], v[16:17]
	v_fma_f64 v[6:7], v[6:7], v[22:23], -v[24:25]
	s_wait_loadcnt_dscnt 0x100
	v_mul_f64_e32 v[20:21], v[4:5], v[28:29]
	v_add_f64_e32 v[10:11], v[10:11], v[14:15]
	v_add_f64_e32 v[12:13], v[12:13], v[38:39]
	v_mul_f64_e32 v[14:15], v[2:3], v[28:29]
	s_delay_alu instid0(VALU_DEP_4) | instskip(NEXT) | instid1(VALU_DEP_4)
	v_fma_f64 v[2:3], v[2:3], v[26:27], -v[20:21]
	v_add_f64_e32 v[10:11], v[10:11], v[18:19]
	s_delay_alu instid0(VALU_DEP_4) | instskip(NEXT) | instid1(VALU_DEP_4)
	v_add_f64_e32 v[12:13], v[12:13], v[34:35]
	v_fma_f64 v[4:5], v[4:5], v[26:27], v[14:15]
	s_delay_alu instid0(VALU_DEP_3) | instskip(NEXT) | instid1(VALU_DEP_3)
	v_add_f64_e32 v[6:7], v[10:11], v[6:7]
	v_add_f64_e32 v[8:9], v[12:13], v[8:9]
	s_delay_alu instid0(VALU_DEP_2) | instskip(NEXT) | instid1(VALU_DEP_2)
	v_add_f64_e32 v[2:3], v[6:7], v[2:3]
	v_add_f64_e32 v[4:5], v[8:9], v[4:5]
	s_wait_loadcnt 0x0
	s_delay_alu instid0(VALU_DEP_2) | instskip(NEXT) | instid1(VALU_DEP_2)
	v_add_f64_e64 v[2:3], v[30:31], -v[2:3]
	v_add_f64_e64 v[4:5], v[32:33], -v[4:5]
	scratch_store_b128 off, v[2:5], off offset:512
	v_cmpx_lt_u32_e32 30, v0
	s_cbranch_execz .LBB48_247
; %bb.246:
	scratch_load_b128 v[5:8], off, s28
	v_dual_mov_b32 v2, v1 :: v_dual_mov_b32 v3, v1
	v_mov_b32_e32 v4, v1
	scratch_store_b128 off, v[1:4], off offset:496
	s_wait_loadcnt 0x0
	ds_store_b128 v140, v[5:8]
.LBB48_247:
	s_wait_alu 0xfffe
	s_or_b32 exec_lo, exec_lo, s0
	s_wait_storecnt_dscnt 0x0
	s_barrier_signal -1
	s_barrier_wait -1
	global_inv scope:SCOPE_SE
	s_clause 0x7
	scratch_load_b128 v[2:5], off, off offset:512
	scratch_load_b128 v[6:9], off, off offset:528
	;; [unrolled: 1-line block ×8, first 2 shown]
	ds_load_b128 v[34:37], v1 offset:1280
	ds_load_b128 v[141:144], v1 offset:1296
	s_clause 0x1
	scratch_load_b128 v[38:41], off, off offset:640
	scratch_load_b128 v[145:148], off, off offset:656
	s_mov_b32 s0, exec_lo
	s_wait_loadcnt_dscnt 0x901
	v_mul_f64_e32 v[149:150], v[36:37], v[4:5]
	v_mul_f64_e32 v[4:5], v[34:35], v[4:5]
	s_wait_loadcnt_dscnt 0x800
	v_mul_f64_e32 v[151:152], v[141:142], v[8:9]
	v_mul_f64_e32 v[8:9], v[143:144], v[8:9]
	s_delay_alu instid0(VALU_DEP_4) | instskip(NEXT) | instid1(VALU_DEP_4)
	v_fma_f64 v[149:150], v[34:35], v[2:3], -v[149:150]
	v_fma_f64 v[153:154], v[36:37], v[2:3], v[4:5]
	scratch_load_b128 v[34:37], off, off offset:672
	ds_load_b128 v[2:5], v1 offset:1312
	v_fma_f64 v[151:152], v[143:144], v[6:7], v[151:152]
	v_fma_f64 v[157:158], v[141:142], v[6:7], -v[8:9]
	ds_load_b128 v[6:9], v1 offset:1328
	scratch_load_b128 v[141:144], off, off offset:688
	s_wait_loadcnt_dscnt 0x901
	v_mul_f64_e32 v[155:156], v[2:3], v[12:13]
	v_mul_f64_e32 v[12:13], v[4:5], v[12:13]
	s_wait_loadcnt_dscnt 0x800
	v_mul_f64_e32 v[159:160], v[6:7], v[16:17]
	v_mul_f64_e32 v[16:17], v[8:9], v[16:17]
	v_add_f64_e32 v[149:150], 0, v[149:150]
	v_add_f64_e32 v[153:154], 0, v[153:154]
	v_fma_f64 v[155:156], v[4:5], v[10:11], v[155:156]
	v_fma_f64 v[161:162], v[2:3], v[10:11], -v[12:13]
	ds_load_b128 v[2:5], v1 offset:1344
	scratch_load_b128 v[10:13], off, off offset:704
	v_add_f64_e32 v[149:150], v[149:150], v[157:158]
	v_add_f64_e32 v[151:152], v[153:154], v[151:152]
	v_fma_f64 v[157:158], v[8:9], v[14:15], v[159:160]
	v_fma_f64 v[159:160], v[6:7], v[14:15], -v[16:17]
	ds_load_b128 v[6:9], v1 offset:1360
	scratch_load_b128 v[14:17], off, off offset:720
	s_wait_loadcnt_dscnt 0x901
	v_mul_f64_e32 v[153:154], v[2:3], v[20:21]
	v_mul_f64_e32 v[20:21], v[4:5], v[20:21]
	v_add_f64_e32 v[149:150], v[149:150], v[161:162]
	v_add_f64_e32 v[151:152], v[151:152], v[155:156]
	s_wait_loadcnt_dscnt 0x800
	v_mul_f64_e32 v[155:156], v[6:7], v[24:25]
	v_mul_f64_e32 v[24:25], v[8:9], v[24:25]
	v_fma_f64 v[153:154], v[4:5], v[18:19], v[153:154]
	v_fma_f64 v[161:162], v[2:3], v[18:19], -v[20:21]
	ds_load_b128 v[2:5], v1 offset:1376
	scratch_load_b128 v[18:21], off, off offset:736
	v_add_f64_e32 v[149:150], v[149:150], v[159:160]
	v_add_f64_e32 v[151:152], v[151:152], v[157:158]
	v_fma_f64 v[155:156], v[8:9], v[22:23], v[155:156]
	v_fma_f64 v[159:160], v[6:7], v[22:23], -v[24:25]
	ds_load_b128 v[6:9], v1 offset:1392
	s_wait_loadcnt_dscnt 0x801
	v_mul_f64_e32 v[157:158], v[2:3], v[28:29]
	v_mul_f64_e32 v[28:29], v[4:5], v[28:29]
	scratch_load_b128 v[22:25], off, off offset:752
	v_add_f64_e32 v[149:150], v[149:150], v[161:162]
	v_add_f64_e32 v[151:152], v[151:152], v[153:154]
	s_wait_loadcnt_dscnt 0x800
	v_mul_f64_e32 v[153:154], v[6:7], v[32:33]
	v_mul_f64_e32 v[32:33], v[8:9], v[32:33]
	v_fma_f64 v[157:158], v[4:5], v[26:27], v[157:158]
	v_fma_f64 v[161:162], v[2:3], v[26:27], -v[28:29]
	ds_load_b128 v[2:5], v1 offset:1408
	scratch_load_b128 v[26:29], off, off offset:768
	v_add_f64_e32 v[149:150], v[149:150], v[159:160]
	v_add_f64_e32 v[151:152], v[151:152], v[155:156]
	v_fma_f64 v[153:154], v[8:9], v[30:31], v[153:154]
	v_fma_f64 v[159:160], v[6:7], v[30:31], -v[32:33]
	ds_load_b128 v[6:9], v1 offset:1424
	s_wait_loadcnt_dscnt 0x801
	v_mul_f64_e32 v[155:156], v[2:3], v[40:41]
	v_mul_f64_e32 v[40:41], v[4:5], v[40:41]
	scratch_load_b128 v[30:33], off, off offset:784
	v_add_f64_e32 v[149:150], v[149:150], v[161:162]
	v_add_f64_e32 v[151:152], v[151:152], v[157:158]
	v_fma_f64 v[155:156], v[4:5], v[38:39], v[155:156]
	v_fma_f64 v[38:39], v[2:3], v[38:39], -v[40:41]
	ds_load_b128 v[2:5], v1 offset:1440
	v_add_f64_e32 v[40:41], v[149:150], v[159:160]
	v_add_f64_e32 v[149:150], v[151:152], v[153:154]
	s_wait_loadcnt_dscnt 0x700
	v_mul_f64_e32 v[151:152], v[2:3], v[36:37]
	v_mul_f64_e32 v[36:37], v[4:5], v[36:37]
	s_delay_alu instid0(VALU_DEP_4) | instskip(NEXT) | instid1(VALU_DEP_4)
	v_add_f64_e32 v[38:39], v[40:41], v[38:39]
	v_add_f64_e32 v[40:41], v[149:150], v[155:156]
	s_delay_alu instid0(VALU_DEP_4) | instskip(NEXT) | instid1(VALU_DEP_4)
	v_fma_f64 v[149:150], v[4:5], v[34:35], v[151:152]
	v_fma_f64 v[151:152], v[2:3], v[34:35], -v[36:37]
	scratch_load_b128 v[34:37], off, off offset:496
	v_mul_f64_e32 v[157:158], v[6:7], v[147:148]
	v_mul_f64_e32 v[147:148], v[8:9], v[147:148]
	ds_load_b128 v[2:5], v1 offset:1472
	v_fma_f64 v[153:154], v[8:9], v[145:146], v[157:158]
	v_fma_f64 v[145:146], v[6:7], v[145:146], -v[147:148]
	ds_load_b128 v[6:9], v1 offset:1456
	s_wait_loadcnt_dscnt 0x700
	v_mul_f64_e32 v[147:148], v[6:7], v[143:144]
	v_mul_f64_e32 v[143:144], v[8:9], v[143:144]
	v_add_f64_e32 v[40:41], v[40:41], v[153:154]
	v_add_f64_e32 v[38:39], v[38:39], v[145:146]
	s_wait_loadcnt 0x6
	v_mul_f64_e32 v[145:146], v[2:3], v[12:13]
	v_mul_f64_e32 v[12:13], v[4:5], v[12:13]
	v_fma_f64 v[147:148], v[8:9], v[141:142], v[147:148]
	v_fma_f64 v[141:142], v[6:7], v[141:142], -v[143:144]
	ds_load_b128 v[6:9], v1 offset:1488
	v_add_f64_e32 v[40:41], v[40:41], v[149:150]
	v_add_f64_e32 v[38:39], v[38:39], v[151:152]
	v_fma_f64 v[145:146], v[4:5], v[10:11], v[145:146]
	v_fma_f64 v[10:11], v[2:3], v[10:11], -v[12:13]
	ds_load_b128 v[2:5], v1 offset:1504
	s_wait_loadcnt_dscnt 0x501
	v_mul_f64_e32 v[143:144], v[6:7], v[16:17]
	v_mul_f64_e32 v[16:17], v[8:9], v[16:17]
	v_add_f64_e32 v[12:13], v[38:39], v[141:142]
	v_add_f64_e32 v[38:39], v[40:41], v[147:148]
	s_wait_loadcnt_dscnt 0x400
	v_mul_f64_e32 v[40:41], v[2:3], v[20:21]
	v_mul_f64_e32 v[20:21], v[4:5], v[20:21]
	v_fma_f64 v[141:142], v[8:9], v[14:15], v[143:144]
	v_fma_f64 v[14:15], v[6:7], v[14:15], -v[16:17]
	ds_load_b128 v[6:9], v1 offset:1520
	v_add_f64_e32 v[10:11], v[12:13], v[10:11]
	v_add_f64_e32 v[12:13], v[38:39], v[145:146]
	v_fma_f64 v[38:39], v[4:5], v[18:19], v[40:41]
	v_fma_f64 v[18:19], v[2:3], v[18:19], -v[20:21]
	ds_load_b128 v[2:5], v1 offset:1536
	s_wait_loadcnt_dscnt 0x301
	v_mul_f64_e32 v[16:17], v[6:7], v[24:25]
	v_mul_f64_e32 v[24:25], v[8:9], v[24:25]
	s_wait_loadcnt_dscnt 0x200
	v_mul_f64_e32 v[20:21], v[4:5], v[28:29]
	v_add_f64_e32 v[10:11], v[10:11], v[14:15]
	v_add_f64_e32 v[12:13], v[12:13], v[141:142]
	v_mul_f64_e32 v[14:15], v[2:3], v[28:29]
	v_fma_f64 v[16:17], v[8:9], v[22:23], v[16:17]
	v_fma_f64 v[22:23], v[6:7], v[22:23], -v[24:25]
	ds_load_b128 v[6:9], v1 offset:1552
	v_fma_f64 v[1:2], v[2:3], v[26:27], -v[20:21]
	s_wait_loadcnt_dscnt 0x100
	v_mul_f64_e32 v[24:25], v[8:9], v[32:33]
	v_add_f64_e32 v[10:11], v[10:11], v[18:19]
	v_add_f64_e32 v[12:13], v[12:13], v[38:39]
	v_mul_f64_e32 v[18:19], v[6:7], v[32:33]
	v_fma_f64 v[4:5], v[4:5], v[26:27], v[14:15]
	v_fma_f64 v[6:7], v[6:7], v[30:31], -v[24:25]
	v_add_f64_e32 v[10:11], v[10:11], v[22:23]
	v_add_f64_e32 v[12:13], v[12:13], v[16:17]
	v_fma_f64 v[8:9], v[8:9], v[30:31], v[18:19]
	s_delay_alu instid0(VALU_DEP_3) | instskip(NEXT) | instid1(VALU_DEP_3)
	v_add_f64_e32 v[1:2], v[10:11], v[1:2]
	v_add_f64_e32 v[3:4], v[12:13], v[4:5]
	s_delay_alu instid0(VALU_DEP_2) | instskip(NEXT) | instid1(VALU_DEP_2)
	v_add_f64_e32 v[1:2], v[1:2], v[6:7]
	v_add_f64_e32 v[3:4], v[3:4], v[8:9]
	s_wait_loadcnt 0x0
	s_delay_alu instid0(VALU_DEP_2) | instskip(NEXT) | instid1(VALU_DEP_2)
	v_add_f64_e64 v[1:2], v[34:35], -v[1:2]
	v_add_f64_e64 v[3:4], v[36:37], -v[3:4]
	scratch_store_b128 off, v[1:4], off offset:496
	v_cmpx_lt_u32_e32 29, v0
	s_cbranch_execz .LBB48_249
; %bb.248:
	scratch_load_b128 v[1:4], off, s27
	v_mov_b32_e32 v5, 0
	s_delay_alu instid0(VALU_DEP_1)
	v_dual_mov_b32 v6, v5 :: v_dual_mov_b32 v7, v5
	v_mov_b32_e32 v8, v5
	scratch_store_b128 off, v[5:8], off offset:480
	s_wait_loadcnt 0x0
	ds_store_b128 v140, v[1:4]
.LBB48_249:
	s_wait_alu 0xfffe
	s_or_b32 exec_lo, exec_lo, s0
	s_wait_storecnt_dscnt 0x0
	s_barrier_signal -1
	s_barrier_wait -1
	global_inv scope:SCOPE_SE
	s_clause 0x7
	scratch_load_b128 v[2:5], off, off offset:496
	scratch_load_b128 v[6:9], off, off offset:512
	scratch_load_b128 v[10:13], off, off offset:528
	scratch_load_b128 v[14:17], off, off offset:544
	scratch_load_b128 v[18:21], off, off offset:560
	scratch_load_b128 v[22:25], off, off offset:576
	scratch_load_b128 v[26:29], off, off offset:592
	scratch_load_b128 v[30:33], off, off offset:608
	v_mov_b32_e32 v1, 0
	s_clause 0x1
	scratch_load_b128 v[38:41], off, off offset:624
	scratch_load_b128 v[145:148], off, off offset:640
	s_mov_b32 s0, exec_lo
	ds_load_b128 v[34:37], v1 offset:1264
	ds_load_b128 v[141:144], v1 offset:1280
	s_wait_loadcnt_dscnt 0x901
	v_mul_f64_e32 v[149:150], v[36:37], v[4:5]
	v_mul_f64_e32 v[4:5], v[34:35], v[4:5]
	s_wait_loadcnt_dscnt 0x800
	v_mul_f64_e32 v[151:152], v[141:142], v[8:9]
	v_mul_f64_e32 v[8:9], v[143:144], v[8:9]
	s_delay_alu instid0(VALU_DEP_4) | instskip(NEXT) | instid1(VALU_DEP_4)
	v_fma_f64 v[149:150], v[34:35], v[2:3], -v[149:150]
	v_fma_f64 v[153:154], v[36:37], v[2:3], v[4:5]
	ds_load_b128 v[2:5], v1 offset:1296
	scratch_load_b128 v[34:37], off, off offset:656
	v_fma_f64 v[151:152], v[143:144], v[6:7], v[151:152]
	v_fma_f64 v[157:158], v[141:142], v[6:7], -v[8:9]
	ds_load_b128 v[6:9], v1 offset:1312
	scratch_load_b128 v[141:144], off, off offset:672
	s_wait_loadcnt_dscnt 0x901
	v_mul_f64_e32 v[155:156], v[2:3], v[12:13]
	v_mul_f64_e32 v[12:13], v[4:5], v[12:13]
	s_wait_loadcnt_dscnt 0x800
	v_mul_f64_e32 v[159:160], v[6:7], v[16:17]
	v_mul_f64_e32 v[16:17], v[8:9], v[16:17]
	v_add_f64_e32 v[149:150], 0, v[149:150]
	v_add_f64_e32 v[153:154], 0, v[153:154]
	v_fma_f64 v[155:156], v[4:5], v[10:11], v[155:156]
	v_fma_f64 v[161:162], v[2:3], v[10:11], -v[12:13]
	ds_load_b128 v[2:5], v1 offset:1328
	scratch_load_b128 v[10:13], off, off offset:688
	v_add_f64_e32 v[149:150], v[149:150], v[157:158]
	v_add_f64_e32 v[151:152], v[153:154], v[151:152]
	v_fma_f64 v[157:158], v[8:9], v[14:15], v[159:160]
	v_fma_f64 v[159:160], v[6:7], v[14:15], -v[16:17]
	ds_load_b128 v[6:9], v1 offset:1344
	scratch_load_b128 v[14:17], off, off offset:704
	s_wait_loadcnt_dscnt 0x901
	v_mul_f64_e32 v[153:154], v[2:3], v[20:21]
	v_mul_f64_e32 v[20:21], v[4:5], v[20:21]
	v_add_f64_e32 v[149:150], v[149:150], v[161:162]
	v_add_f64_e32 v[151:152], v[151:152], v[155:156]
	s_wait_loadcnt_dscnt 0x800
	v_mul_f64_e32 v[155:156], v[6:7], v[24:25]
	v_mul_f64_e32 v[24:25], v[8:9], v[24:25]
	v_fma_f64 v[153:154], v[4:5], v[18:19], v[153:154]
	v_fma_f64 v[161:162], v[2:3], v[18:19], -v[20:21]
	ds_load_b128 v[2:5], v1 offset:1360
	scratch_load_b128 v[18:21], off, off offset:720
	v_add_f64_e32 v[149:150], v[149:150], v[159:160]
	v_add_f64_e32 v[151:152], v[151:152], v[157:158]
	v_fma_f64 v[155:156], v[8:9], v[22:23], v[155:156]
	v_fma_f64 v[159:160], v[6:7], v[22:23], -v[24:25]
	ds_load_b128 v[6:9], v1 offset:1376
	s_wait_loadcnt_dscnt 0x801
	v_mul_f64_e32 v[157:158], v[2:3], v[28:29]
	v_mul_f64_e32 v[28:29], v[4:5], v[28:29]
	scratch_load_b128 v[22:25], off, off offset:736
	v_add_f64_e32 v[149:150], v[149:150], v[161:162]
	v_add_f64_e32 v[151:152], v[151:152], v[153:154]
	s_wait_loadcnt_dscnt 0x800
	v_mul_f64_e32 v[153:154], v[6:7], v[32:33]
	v_mul_f64_e32 v[32:33], v[8:9], v[32:33]
	v_fma_f64 v[157:158], v[4:5], v[26:27], v[157:158]
	v_fma_f64 v[161:162], v[2:3], v[26:27], -v[28:29]
	ds_load_b128 v[2:5], v1 offset:1392
	scratch_load_b128 v[26:29], off, off offset:752
	v_add_f64_e32 v[149:150], v[149:150], v[159:160]
	v_add_f64_e32 v[151:152], v[151:152], v[155:156]
	v_fma_f64 v[153:154], v[8:9], v[30:31], v[153:154]
	v_fma_f64 v[159:160], v[6:7], v[30:31], -v[32:33]
	ds_load_b128 v[6:9], v1 offset:1408
	s_wait_loadcnt_dscnt 0x801
	v_mul_f64_e32 v[155:156], v[2:3], v[40:41]
	v_mul_f64_e32 v[40:41], v[4:5], v[40:41]
	scratch_load_b128 v[30:33], off, off offset:768
	v_add_f64_e32 v[149:150], v[149:150], v[161:162]
	v_add_f64_e32 v[151:152], v[151:152], v[157:158]
	s_wait_loadcnt_dscnt 0x800
	v_mul_f64_e32 v[157:158], v[6:7], v[147:148]
	v_mul_f64_e32 v[147:148], v[8:9], v[147:148]
	v_fma_f64 v[155:156], v[4:5], v[38:39], v[155:156]
	v_fma_f64 v[161:162], v[2:3], v[38:39], -v[40:41]
	ds_load_b128 v[2:5], v1 offset:1424
	scratch_load_b128 v[38:41], off, off offset:784
	v_add_f64_e32 v[149:150], v[149:150], v[159:160]
	v_add_f64_e32 v[151:152], v[151:152], v[153:154]
	v_fma_f64 v[157:158], v[8:9], v[145:146], v[157:158]
	v_fma_f64 v[145:146], v[6:7], v[145:146], -v[147:148]
	ds_load_b128 v[6:9], v1 offset:1440
	s_wait_loadcnt_dscnt 0x801
	v_mul_f64_e32 v[153:154], v[2:3], v[36:37]
	v_mul_f64_e32 v[36:37], v[4:5], v[36:37]
	v_add_f64_e32 v[147:148], v[149:150], v[161:162]
	v_add_f64_e32 v[149:150], v[151:152], v[155:156]
	s_wait_loadcnt_dscnt 0x700
	v_mul_f64_e32 v[151:152], v[6:7], v[143:144]
	v_mul_f64_e32 v[143:144], v[8:9], v[143:144]
	v_fma_f64 v[153:154], v[4:5], v[34:35], v[153:154]
	v_fma_f64 v[34:35], v[2:3], v[34:35], -v[36:37]
	ds_load_b128 v[2:5], v1 offset:1456
	v_add_f64_e32 v[36:37], v[147:148], v[145:146]
	v_add_f64_e32 v[145:146], v[149:150], v[157:158]
	v_fma_f64 v[149:150], v[8:9], v[141:142], v[151:152]
	v_fma_f64 v[141:142], v[6:7], v[141:142], -v[143:144]
	ds_load_b128 v[6:9], v1 offset:1472
	s_wait_loadcnt_dscnt 0x500
	v_mul_f64_e32 v[151:152], v[6:7], v[16:17]
	v_mul_f64_e32 v[16:17], v[8:9], v[16:17]
	v_add_f64_e32 v[143:144], v[36:37], v[34:35]
	v_add_f64_e32 v[145:146], v[145:146], v[153:154]
	scratch_load_b128 v[34:37], off, off offset:480
	v_mul_f64_e32 v[147:148], v[2:3], v[12:13]
	v_mul_f64_e32 v[12:13], v[4:5], v[12:13]
	s_delay_alu instid0(VALU_DEP_2) | instskip(NEXT) | instid1(VALU_DEP_2)
	v_fma_f64 v[147:148], v[4:5], v[10:11], v[147:148]
	v_fma_f64 v[10:11], v[2:3], v[10:11], -v[12:13]
	v_add_f64_e32 v[12:13], v[143:144], v[141:142]
	v_add_f64_e32 v[141:142], v[145:146], v[149:150]
	ds_load_b128 v[2:5], v1 offset:1488
	v_fma_f64 v[145:146], v[8:9], v[14:15], v[151:152]
	v_fma_f64 v[14:15], v[6:7], v[14:15], -v[16:17]
	ds_load_b128 v[6:9], v1 offset:1504
	s_wait_loadcnt_dscnt 0x501
	v_mul_f64_e32 v[143:144], v[2:3], v[20:21]
	v_mul_f64_e32 v[20:21], v[4:5], v[20:21]
	s_wait_loadcnt_dscnt 0x400
	v_mul_f64_e32 v[16:17], v[6:7], v[24:25]
	v_mul_f64_e32 v[24:25], v[8:9], v[24:25]
	v_add_f64_e32 v[10:11], v[12:13], v[10:11]
	v_add_f64_e32 v[12:13], v[141:142], v[147:148]
	v_fma_f64 v[141:142], v[4:5], v[18:19], v[143:144]
	v_fma_f64 v[18:19], v[2:3], v[18:19], -v[20:21]
	ds_load_b128 v[2:5], v1 offset:1520
	v_fma_f64 v[16:17], v[8:9], v[22:23], v[16:17]
	v_fma_f64 v[22:23], v[6:7], v[22:23], -v[24:25]
	ds_load_b128 v[6:9], v1 offset:1536
	v_add_f64_e32 v[10:11], v[10:11], v[14:15]
	v_add_f64_e32 v[12:13], v[12:13], v[145:146]
	s_wait_loadcnt_dscnt 0x301
	v_mul_f64_e32 v[14:15], v[2:3], v[28:29]
	v_mul_f64_e32 v[20:21], v[4:5], v[28:29]
	s_wait_loadcnt_dscnt 0x200
	v_mul_f64_e32 v[24:25], v[8:9], v[32:33]
	v_add_f64_e32 v[10:11], v[10:11], v[18:19]
	v_add_f64_e32 v[12:13], v[12:13], v[141:142]
	v_mul_f64_e32 v[18:19], v[6:7], v[32:33]
	v_fma_f64 v[14:15], v[4:5], v[26:27], v[14:15]
	v_fma_f64 v[20:21], v[2:3], v[26:27], -v[20:21]
	ds_load_b128 v[2:5], v1 offset:1552
	v_fma_f64 v[6:7], v[6:7], v[30:31], -v[24:25]
	v_add_f64_e32 v[10:11], v[10:11], v[22:23]
	v_add_f64_e32 v[12:13], v[12:13], v[16:17]
	s_wait_loadcnt_dscnt 0x100
	v_mul_f64_e32 v[16:17], v[2:3], v[40:41]
	v_mul_f64_e32 v[22:23], v[4:5], v[40:41]
	v_fma_f64 v[8:9], v[8:9], v[30:31], v[18:19]
	v_add_f64_e32 v[10:11], v[10:11], v[20:21]
	v_add_f64_e32 v[12:13], v[12:13], v[14:15]
	v_fma_f64 v[4:5], v[4:5], v[38:39], v[16:17]
	v_fma_f64 v[2:3], v[2:3], v[38:39], -v[22:23]
	s_delay_alu instid0(VALU_DEP_4) | instskip(NEXT) | instid1(VALU_DEP_4)
	v_add_f64_e32 v[6:7], v[10:11], v[6:7]
	v_add_f64_e32 v[8:9], v[12:13], v[8:9]
	s_delay_alu instid0(VALU_DEP_2) | instskip(NEXT) | instid1(VALU_DEP_2)
	v_add_f64_e32 v[2:3], v[6:7], v[2:3]
	v_add_f64_e32 v[4:5], v[8:9], v[4:5]
	s_wait_loadcnt 0x0
	s_delay_alu instid0(VALU_DEP_2) | instskip(NEXT) | instid1(VALU_DEP_2)
	v_add_f64_e64 v[2:3], v[34:35], -v[2:3]
	v_add_f64_e64 v[4:5], v[36:37], -v[4:5]
	scratch_store_b128 off, v[2:5], off offset:480
	v_cmpx_lt_u32_e32 28, v0
	s_cbranch_execz .LBB48_251
; %bb.250:
	scratch_load_b128 v[5:8], off, s29
	v_dual_mov_b32 v2, v1 :: v_dual_mov_b32 v3, v1
	v_mov_b32_e32 v4, v1
	scratch_store_b128 off, v[1:4], off offset:464
	s_wait_loadcnt 0x0
	ds_store_b128 v140, v[5:8]
.LBB48_251:
	s_wait_alu 0xfffe
	s_or_b32 exec_lo, exec_lo, s0
	s_wait_storecnt_dscnt 0x0
	s_barrier_signal -1
	s_barrier_wait -1
	global_inv scope:SCOPE_SE
	s_clause 0x7
	scratch_load_b128 v[2:5], off, off offset:480
	scratch_load_b128 v[6:9], off, off offset:496
	;; [unrolled: 1-line block ×8, first 2 shown]
	ds_load_b128 v[34:37], v1 offset:1248
	ds_load_b128 v[141:144], v1 offset:1264
	s_clause 0x1
	scratch_load_b128 v[38:41], off, off offset:608
	scratch_load_b128 v[145:148], off, off offset:624
	s_mov_b32 s0, exec_lo
	s_wait_loadcnt_dscnt 0x901
	v_mul_f64_e32 v[149:150], v[36:37], v[4:5]
	v_mul_f64_e32 v[4:5], v[34:35], v[4:5]
	s_wait_loadcnt_dscnt 0x800
	v_mul_f64_e32 v[151:152], v[141:142], v[8:9]
	v_mul_f64_e32 v[8:9], v[143:144], v[8:9]
	s_delay_alu instid0(VALU_DEP_4) | instskip(NEXT) | instid1(VALU_DEP_4)
	v_fma_f64 v[149:150], v[34:35], v[2:3], -v[149:150]
	v_fma_f64 v[153:154], v[36:37], v[2:3], v[4:5]
	ds_load_b128 v[2:5], v1 offset:1280
	scratch_load_b128 v[34:37], off, off offset:640
	v_fma_f64 v[151:152], v[143:144], v[6:7], v[151:152]
	v_fma_f64 v[157:158], v[141:142], v[6:7], -v[8:9]
	ds_load_b128 v[6:9], v1 offset:1296
	scratch_load_b128 v[141:144], off, off offset:656
	s_wait_loadcnt_dscnt 0x901
	v_mul_f64_e32 v[155:156], v[2:3], v[12:13]
	v_mul_f64_e32 v[12:13], v[4:5], v[12:13]
	s_wait_loadcnt_dscnt 0x800
	v_mul_f64_e32 v[159:160], v[6:7], v[16:17]
	v_mul_f64_e32 v[16:17], v[8:9], v[16:17]
	v_add_f64_e32 v[149:150], 0, v[149:150]
	v_add_f64_e32 v[153:154], 0, v[153:154]
	v_fma_f64 v[155:156], v[4:5], v[10:11], v[155:156]
	v_fma_f64 v[161:162], v[2:3], v[10:11], -v[12:13]
	scratch_load_b128 v[10:13], off, off offset:672
	ds_load_b128 v[2:5], v1 offset:1312
	v_add_f64_e32 v[149:150], v[149:150], v[157:158]
	v_add_f64_e32 v[151:152], v[153:154], v[151:152]
	v_fma_f64 v[157:158], v[8:9], v[14:15], v[159:160]
	v_fma_f64 v[159:160], v[6:7], v[14:15], -v[16:17]
	ds_load_b128 v[6:9], v1 offset:1328
	scratch_load_b128 v[14:17], off, off offset:688
	s_wait_loadcnt_dscnt 0x901
	v_mul_f64_e32 v[153:154], v[2:3], v[20:21]
	v_mul_f64_e32 v[20:21], v[4:5], v[20:21]
	v_add_f64_e32 v[149:150], v[149:150], v[161:162]
	v_add_f64_e32 v[151:152], v[151:152], v[155:156]
	s_wait_loadcnt_dscnt 0x800
	v_mul_f64_e32 v[155:156], v[6:7], v[24:25]
	v_mul_f64_e32 v[24:25], v[8:9], v[24:25]
	v_fma_f64 v[153:154], v[4:5], v[18:19], v[153:154]
	v_fma_f64 v[161:162], v[2:3], v[18:19], -v[20:21]
	ds_load_b128 v[2:5], v1 offset:1344
	scratch_load_b128 v[18:21], off, off offset:704
	v_add_f64_e32 v[149:150], v[149:150], v[159:160]
	v_add_f64_e32 v[151:152], v[151:152], v[157:158]
	v_fma_f64 v[155:156], v[8:9], v[22:23], v[155:156]
	v_fma_f64 v[159:160], v[6:7], v[22:23], -v[24:25]
	ds_load_b128 v[6:9], v1 offset:1360
	s_wait_loadcnt_dscnt 0x801
	v_mul_f64_e32 v[157:158], v[2:3], v[28:29]
	v_mul_f64_e32 v[28:29], v[4:5], v[28:29]
	scratch_load_b128 v[22:25], off, off offset:720
	v_add_f64_e32 v[149:150], v[149:150], v[161:162]
	v_add_f64_e32 v[151:152], v[151:152], v[153:154]
	s_wait_loadcnt_dscnt 0x800
	v_mul_f64_e32 v[153:154], v[6:7], v[32:33]
	v_mul_f64_e32 v[32:33], v[8:9], v[32:33]
	v_fma_f64 v[157:158], v[4:5], v[26:27], v[157:158]
	v_fma_f64 v[161:162], v[2:3], v[26:27], -v[28:29]
	ds_load_b128 v[2:5], v1 offset:1376
	scratch_load_b128 v[26:29], off, off offset:736
	v_add_f64_e32 v[149:150], v[149:150], v[159:160]
	v_add_f64_e32 v[151:152], v[151:152], v[155:156]
	v_fma_f64 v[153:154], v[8:9], v[30:31], v[153:154]
	v_fma_f64 v[159:160], v[6:7], v[30:31], -v[32:33]
	ds_load_b128 v[6:9], v1 offset:1392
	s_wait_loadcnt_dscnt 0x801
	v_mul_f64_e32 v[155:156], v[2:3], v[40:41]
	v_mul_f64_e32 v[40:41], v[4:5], v[40:41]
	scratch_load_b128 v[30:33], off, off offset:752
	v_add_f64_e32 v[149:150], v[149:150], v[161:162]
	v_add_f64_e32 v[151:152], v[151:152], v[157:158]
	s_wait_loadcnt_dscnt 0x800
	v_mul_f64_e32 v[157:158], v[6:7], v[147:148]
	v_mul_f64_e32 v[147:148], v[8:9], v[147:148]
	v_fma_f64 v[155:156], v[4:5], v[38:39], v[155:156]
	v_fma_f64 v[161:162], v[2:3], v[38:39], -v[40:41]
	ds_load_b128 v[2:5], v1 offset:1408
	scratch_load_b128 v[38:41], off, off offset:768
	v_add_f64_e32 v[149:150], v[149:150], v[159:160]
	v_add_f64_e32 v[151:152], v[151:152], v[153:154]
	v_fma_f64 v[157:158], v[8:9], v[145:146], v[157:158]
	v_fma_f64 v[159:160], v[6:7], v[145:146], -v[147:148]
	ds_load_b128 v[6:9], v1 offset:1424
	scratch_load_b128 v[145:148], off, off offset:784
	s_wait_loadcnt_dscnt 0x901
	v_mul_f64_e32 v[153:154], v[2:3], v[36:37]
	v_mul_f64_e32 v[36:37], v[4:5], v[36:37]
	v_add_f64_e32 v[149:150], v[149:150], v[161:162]
	v_add_f64_e32 v[151:152], v[151:152], v[155:156]
	s_delay_alu instid0(VALU_DEP_4) | instskip(NEXT) | instid1(VALU_DEP_4)
	v_fma_f64 v[153:154], v[4:5], v[34:35], v[153:154]
	v_fma_f64 v[34:35], v[2:3], v[34:35], -v[36:37]
	ds_load_b128 v[2:5], v1 offset:1440
	v_add_f64_e32 v[36:37], v[149:150], v[159:160]
	v_add_f64_e32 v[149:150], v[151:152], v[157:158]
	s_wait_loadcnt_dscnt 0x700
	v_mul_f64_e32 v[151:152], v[2:3], v[12:13]
	v_mul_f64_e32 v[12:13], v[4:5], v[12:13]
	s_delay_alu instid0(VALU_DEP_4) | instskip(NEXT) | instid1(VALU_DEP_4)
	v_add_f64_e32 v[34:35], v[36:37], v[34:35]
	v_add_f64_e32 v[36:37], v[149:150], v[153:154]
	s_delay_alu instid0(VALU_DEP_4) | instskip(NEXT) | instid1(VALU_DEP_4)
	v_fma_f64 v[149:150], v[4:5], v[10:11], v[151:152]
	v_fma_f64 v[151:152], v[2:3], v[10:11], -v[12:13]
	scratch_load_b128 v[10:13], off, off offset:464
	v_mul_f64_e32 v[155:156], v[6:7], v[143:144]
	v_mul_f64_e32 v[143:144], v[8:9], v[143:144]
	ds_load_b128 v[2:5], v1 offset:1472
	v_fma_f64 v[155:156], v[8:9], v[141:142], v[155:156]
	v_fma_f64 v[141:142], v[6:7], v[141:142], -v[143:144]
	ds_load_b128 v[6:9], v1 offset:1456
	s_wait_loadcnt_dscnt 0x700
	v_mul_f64_e32 v[143:144], v[6:7], v[16:17]
	v_mul_f64_e32 v[16:17], v[8:9], v[16:17]
	v_add_f64_e32 v[36:37], v[36:37], v[155:156]
	v_add_f64_e32 v[34:35], v[34:35], v[141:142]
	s_wait_loadcnt 0x6
	v_mul_f64_e32 v[141:142], v[2:3], v[20:21]
	v_mul_f64_e32 v[20:21], v[4:5], v[20:21]
	v_fma_f64 v[143:144], v[8:9], v[14:15], v[143:144]
	v_fma_f64 v[14:15], v[6:7], v[14:15], -v[16:17]
	ds_load_b128 v[6:9], v1 offset:1488
	v_add_f64_e32 v[16:17], v[34:35], v[151:152]
	v_add_f64_e32 v[34:35], v[36:37], v[149:150]
	v_fma_f64 v[141:142], v[4:5], v[18:19], v[141:142]
	v_fma_f64 v[18:19], v[2:3], v[18:19], -v[20:21]
	ds_load_b128 v[2:5], v1 offset:1504
	s_wait_loadcnt_dscnt 0x501
	v_mul_f64_e32 v[36:37], v[6:7], v[24:25]
	v_mul_f64_e32 v[24:25], v[8:9], v[24:25]
	s_wait_loadcnt_dscnt 0x400
	v_mul_f64_e32 v[20:21], v[2:3], v[28:29]
	v_mul_f64_e32 v[28:29], v[4:5], v[28:29]
	v_add_f64_e32 v[14:15], v[16:17], v[14:15]
	v_add_f64_e32 v[16:17], v[34:35], v[143:144]
	v_fma_f64 v[34:35], v[8:9], v[22:23], v[36:37]
	v_fma_f64 v[22:23], v[6:7], v[22:23], -v[24:25]
	ds_load_b128 v[6:9], v1 offset:1520
	v_fma_f64 v[20:21], v[4:5], v[26:27], v[20:21]
	v_fma_f64 v[26:27], v[2:3], v[26:27], -v[28:29]
	ds_load_b128 v[2:5], v1 offset:1536
	s_wait_loadcnt_dscnt 0x301
	v_mul_f64_e32 v[24:25], v[8:9], v[32:33]
	v_add_f64_e32 v[14:15], v[14:15], v[18:19]
	v_add_f64_e32 v[16:17], v[16:17], v[141:142]
	v_mul_f64_e32 v[18:19], v[6:7], v[32:33]
	s_wait_loadcnt_dscnt 0x200
	v_mul_f64_e32 v[28:29], v[4:5], v[40:41]
	v_fma_f64 v[24:25], v[6:7], v[30:31], -v[24:25]
	v_add_f64_e32 v[14:15], v[14:15], v[22:23]
	v_add_f64_e32 v[16:17], v[16:17], v[34:35]
	v_mul_f64_e32 v[22:23], v[2:3], v[40:41]
	v_fma_f64 v[18:19], v[8:9], v[30:31], v[18:19]
	ds_load_b128 v[6:9], v1 offset:1552
	v_fma_f64 v[1:2], v[2:3], v[38:39], -v[28:29]
	v_add_f64_e32 v[14:15], v[14:15], v[26:27]
	v_add_f64_e32 v[16:17], v[16:17], v[20:21]
	s_wait_loadcnt_dscnt 0x100
	v_mul_f64_e32 v[20:21], v[6:7], v[147:148]
	v_mul_f64_e32 v[26:27], v[8:9], v[147:148]
	v_fma_f64 v[4:5], v[4:5], v[38:39], v[22:23]
	v_add_f64_e32 v[14:15], v[14:15], v[24:25]
	v_add_f64_e32 v[16:17], v[16:17], v[18:19]
	v_fma_f64 v[8:9], v[8:9], v[145:146], v[20:21]
	v_fma_f64 v[6:7], v[6:7], v[145:146], -v[26:27]
	s_delay_alu instid0(VALU_DEP_4) | instskip(NEXT) | instid1(VALU_DEP_4)
	v_add_f64_e32 v[1:2], v[14:15], v[1:2]
	v_add_f64_e32 v[3:4], v[16:17], v[4:5]
	s_delay_alu instid0(VALU_DEP_2) | instskip(NEXT) | instid1(VALU_DEP_2)
	v_add_f64_e32 v[1:2], v[1:2], v[6:7]
	v_add_f64_e32 v[3:4], v[3:4], v[8:9]
	s_wait_loadcnt 0x0
	s_delay_alu instid0(VALU_DEP_2) | instskip(NEXT) | instid1(VALU_DEP_2)
	v_add_f64_e64 v[1:2], v[10:11], -v[1:2]
	v_add_f64_e64 v[3:4], v[12:13], -v[3:4]
	scratch_store_b128 off, v[1:4], off offset:464
	v_cmpx_lt_u32_e32 27, v0
	s_cbranch_execz .LBB48_253
; %bb.252:
	scratch_load_b128 v[1:4], off, s30
	v_mov_b32_e32 v5, 0
	s_delay_alu instid0(VALU_DEP_1)
	v_dual_mov_b32 v6, v5 :: v_dual_mov_b32 v7, v5
	v_mov_b32_e32 v8, v5
	scratch_store_b128 off, v[5:8], off offset:448
	s_wait_loadcnt 0x0
	ds_store_b128 v140, v[1:4]
.LBB48_253:
	s_wait_alu 0xfffe
	s_or_b32 exec_lo, exec_lo, s0
	s_wait_storecnt_dscnt 0x0
	s_barrier_signal -1
	s_barrier_wait -1
	global_inv scope:SCOPE_SE
	s_clause 0x7
	scratch_load_b128 v[2:5], off, off offset:464
	scratch_load_b128 v[6:9], off, off offset:480
	;; [unrolled: 1-line block ×8, first 2 shown]
	v_mov_b32_e32 v1, 0
	s_clause 0x1
	scratch_load_b128 v[38:41], off, off offset:592
	scratch_load_b128 v[145:148], off, off offset:608
	s_mov_b32 s0, exec_lo
	ds_load_b128 v[34:37], v1 offset:1232
	ds_load_b128 v[141:144], v1 offset:1248
	s_wait_loadcnt_dscnt 0x901
	v_mul_f64_e32 v[149:150], v[36:37], v[4:5]
	v_mul_f64_e32 v[4:5], v[34:35], v[4:5]
	s_wait_loadcnt_dscnt 0x800
	v_mul_f64_e32 v[151:152], v[141:142], v[8:9]
	v_mul_f64_e32 v[8:9], v[143:144], v[8:9]
	s_delay_alu instid0(VALU_DEP_4) | instskip(NEXT) | instid1(VALU_DEP_4)
	v_fma_f64 v[149:150], v[34:35], v[2:3], -v[149:150]
	v_fma_f64 v[153:154], v[36:37], v[2:3], v[4:5]
	ds_load_b128 v[2:5], v1 offset:1264
	scratch_load_b128 v[34:37], off, off offset:624
	v_fma_f64 v[151:152], v[143:144], v[6:7], v[151:152]
	v_fma_f64 v[157:158], v[141:142], v[6:7], -v[8:9]
	ds_load_b128 v[6:9], v1 offset:1280
	scratch_load_b128 v[141:144], off, off offset:640
	s_wait_loadcnt_dscnt 0x901
	v_mul_f64_e32 v[155:156], v[2:3], v[12:13]
	v_mul_f64_e32 v[12:13], v[4:5], v[12:13]
	s_wait_loadcnt_dscnt 0x800
	v_mul_f64_e32 v[159:160], v[6:7], v[16:17]
	v_mul_f64_e32 v[16:17], v[8:9], v[16:17]
	v_add_f64_e32 v[149:150], 0, v[149:150]
	v_add_f64_e32 v[153:154], 0, v[153:154]
	v_fma_f64 v[155:156], v[4:5], v[10:11], v[155:156]
	v_fma_f64 v[161:162], v[2:3], v[10:11], -v[12:13]
	ds_load_b128 v[2:5], v1 offset:1296
	scratch_load_b128 v[10:13], off, off offset:656
	v_add_f64_e32 v[149:150], v[149:150], v[157:158]
	v_add_f64_e32 v[151:152], v[153:154], v[151:152]
	v_fma_f64 v[157:158], v[8:9], v[14:15], v[159:160]
	v_fma_f64 v[159:160], v[6:7], v[14:15], -v[16:17]
	ds_load_b128 v[6:9], v1 offset:1312
	scratch_load_b128 v[14:17], off, off offset:672
	s_wait_loadcnt_dscnt 0x901
	v_mul_f64_e32 v[153:154], v[2:3], v[20:21]
	v_mul_f64_e32 v[20:21], v[4:5], v[20:21]
	v_add_f64_e32 v[149:150], v[149:150], v[161:162]
	v_add_f64_e32 v[151:152], v[151:152], v[155:156]
	s_wait_loadcnt_dscnt 0x800
	v_mul_f64_e32 v[155:156], v[6:7], v[24:25]
	v_mul_f64_e32 v[24:25], v[8:9], v[24:25]
	v_fma_f64 v[153:154], v[4:5], v[18:19], v[153:154]
	v_fma_f64 v[161:162], v[2:3], v[18:19], -v[20:21]
	ds_load_b128 v[2:5], v1 offset:1328
	scratch_load_b128 v[18:21], off, off offset:688
	v_add_f64_e32 v[149:150], v[149:150], v[159:160]
	v_add_f64_e32 v[151:152], v[151:152], v[157:158]
	v_fma_f64 v[155:156], v[8:9], v[22:23], v[155:156]
	v_fma_f64 v[159:160], v[6:7], v[22:23], -v[24:25]
	ds_load_b128 v[6:9], v1 offset:1344
	s_wait_loadcnt_dscnt 0x801
	v_mul_f64_e32 v[157:158], v[2:3], v[28:29]
	v_mul_f64_e32 v[28:29], v[4:5], v[28:29]
	scratch_load_b128 v[22:25], off, off offset:704
	v_add_f64_e32 v[149:150], v[149:150], v[161:162]
	v_add_f64_e32 v[151:152], v[151:152], v[153:154]
	s_wait_loadcnt_dscnt 0x800
	v_mul_f64_e32 v[153:154], v[6:7], v[32:33]
	v_mul_f64_e32 v[32:33], v[8:9], v[32:33]
	v_fma_f64 v[157:158], v[4:5], v[26:27], v[157:158]
	v_fma_f64 v[161:162], v[2:3], v[26:27], -v[28:29]
	ds_load_b128 v[2:5], v1 offset:1360
	scratch_load_b128 v[26:29], off, off offset:720
	v_add_f64_e32 v[149:150], v[149:150], v[159:160]
	v_add_f64_e32 v[151:152], v[151:152], v[155:156]
	v_fma_f64 v[153:154], v[8:9], v[30:31], v[153:154]
	v_fma_f64 v[159:160], v[6:7], v[30:31], -v[32:33]
	ds_load_b128 v[6:9], v1 offset:1376
	s_wait_loadcnt_dscnt 0x801
	v_mul_f64_e32 v[155:156], v[2:3], v[40:41]
	v_mul_f64_e32 v[40:41], v[4:5], v[40:41]
	scratch_load_b128 v[30:33], off, off offset:736
	v_add_f64_e32 v[149:150], v[149:150], v[161:162]
	v_add_f64_e32 v[151:152], v[151:152], v[157:158]
	s_wait_loadcnt_dscnt 0x800
	v_mul_f64_e32 v[157:158], v[6:7], v[147:148]
	v_mul_f64_e32 v[147:148], v[8:9], v[147:148]
	v_fma_f64 v[155:156], v[4:5], v[38:39], v[155:156]
	v_fma_f64 v[161:162], v[2:3], v[38:39], -v[40:41]
	ds_load_b128 v[2:5], v1 offset:1392
	scratch_load_b128 v[38:41], off, off offset:752
	v_add_f64_e32 v[149:150], v[149:150], v[159:160]
	v_add_f64_e32 v[151:152], v[151:152], v[153:154]
	v_fma_f64 v[157:158], v[8:9], v[145:146], v[157:158]
	v_fma_f64 v[159:160], v[6:7], v[145:146], -v[147:148]
	ds_load_b128 v[6:9], v1 offset:1408
	scratch_load_b128 v[145:148], off, off offset:768
	s_wait_loadcnt_dscnt 0x901
	v_mul_f64_e32 v[153:154], v[2:3], v[36:37]
	v_mul_f64_e32 v[36:37], v[4:5], v[36:37]
	v_add_f64_e32 v[149:150], v[149:150], v[161:162]
	v_add_f64_e32 v[151:152], v[151:152], v[155:156]
	s_wait_loadcnt_dscnt 0x800
	v_mul_f64_e32 v[155:156], v[6:7], v[143:144]
	v_mul_f64_e32 v[143:144], v[8:9], v[143:144]
	v_fma_f64 v[153:154], v[4:5], v[34:35], v[153:154]
	v_fma_f64 v[161:162], v[2:3], v[34:35], -v[36:37]
	ds_load_b128 v[2:5], v1 offset:1424
	scratch_load_b128 v[34:37], off, off offset:784
	v_add_f64_e32 v[149:150], v[149:150], v[159:160]
	v_add_f64_e32 v[151:152], v[151:152], v[157:158]
	v_fma_f64 v[155:156], v[8:9], v[141:142], v[155:156]
	v_fma_f64 v[141:142], v[6:7], v[141:142], -v[143:144]
	ds_load_b128 v[6:9], v1 offset:1440
	s_wait_loadcnt_dscnt 0x801
	v_mul_f64_e32 v[157:158], v[2:3], v[12:13]
	v_mul_f64_e32 v[12:13], v[4:5], v[12:13]
	v_add_f64_e32 v[143:144], v[149:150], v[161:162]
	v_add_f64_e32 v[149:150], v[151:152], v[153:154]
	s_wait_loadcnt_dscnt 0x700
	v_mul_f64_e32 v[151:152], v[6:7], v[16:17]
	v_mul_f64_e32 v[16:17], v[8:9], v[16:17]
	v_fma_f64 v[153:154], v[4:5], v[10:11], v[157:158]
	v_fma_f64 v[10:11], v[2:3], v[10:11], -v[12:13]
	ds_load_b128 v[2:5], v1 offset:1456
	v_add_f64_e32 v[12:13], v[143:144], v[141:142]
	v_add_f64_e32 v[141:142], v[149:150], v[155:156]
	v_fma_f64 v[149:150], v[8:9], v[14:15], v[151:152]
	v_fma_f64 v[14:15], v[6:7], v[14:15], -v[16:17]
	ds_load_b128 v[6:9], v1 offset:1472
	s_wait_loadcnt_dscnt 0x500
	v_mul_f64_e32 v[151:152], v[6:7], v[24:25]
	v_mul_f64_e32 v[24:25], v[8:9], v[24:25]
	v_add_f64_e32 v[16:17], v[12:13], v[10:11]
	v_add_f64_e32 v[141:142], v[141:142], v[153:154]
	scratch_load_b128 v[10:13], off, off offset:448
	v_mul_f64_e32 v[143:144], v[2:3], v[20:21]
	v_mul_f64_e32 v[20:21], v[4:5], v[20:21]
	v_add_f64_e32 v[14:15], v[16:17], v[14:15]
	v_add_f64_e32 v[16:17], v[141:142], v[149:150]
	v_fma_f64 v[141:142], v[8:9], v[22:23], v[151:152]
	v_fma_f64 v[143:144], v[4:5], v[18:19], v[143:144]
	v_fma_f64 v[18:19], v[2:3], v[18:19], -v[20:21]
	ds_load_b128 v[2:5], v1 offset:1488
	v_fma_f64 v[22:23], v[6:7], v[22:23], -v[24:25]
	ds_load_b128 v[6:9], v1 offset:1504
	s_wait_loadcnt_dscnt 0x501
	v_mul_f64_e32 v[20:21], v[2:3], v[28:29]
	v_mul_f64_e32 v[28:29], v[4:5], v[28:29]
	s_wait_loadcnt_dscnt 0x400
	v_mul_f64_e32 v[24:25], v[8:9], v[32:33]
	v_add_f64_e32 v[16:17], v[16:17], v[143:144]
	v_add_f64_e32 v[14:15], v[14:15], v[18:19]
	v_mul_f64_e32 v[18:19], v[6:7], v[32:33]
	v_fma_f64 v[20:21], v[4:5], v[26:27], v[20:21]
	v_fma_f64 v[26:27], v[2:3], v[26:27], -v[28:29]
	ds_load_b128 v[2:5], v1 offset:1520
	v_fma_f64 v[24:25], v[6:7], v[30:31], -v[24:25]
	v_add_f64_e32 v[16:17], v[16:17], v[141:142]
	v_add_f64_e32 v[14:15], v[14:15], v[22:23]
	v_fma_f64 v[18:19], v[8:9], v[30:31], v[18:19]
	ds_load_b128 v[6:9], v1 offset:1536
	s_wait_loadcnt_dscnt 0x301
	v_mul_f64_e32 v[22:23], v[2:3], v[40:41]
	v_mul_f64_e32 v[28:29], v[4:5], v[40:41]
	v_add_f64_e32 v[16:17], v[16:17], v[20:21]
	v_add_f64_e32 v[14:15], v[14:15], v[26:27]
	s_wait_loadcnt_dscnt 0x200
	v_mul_f64_e32 v[20:21], v[6:7], v[147:148]
	v_mul_f64_e32 v[26:27], v[8:9], v[147:148]
	v_fma_f64 v[22:23], v[4:5], v[38:39], v[22:23]
	v_fma_f64 v[28:29], v[2:3], v[38:39], -v[28:29]
	ds_load_b128 v[2:5], v1 offset:1552
	v_add_f64_e32 v[16:17], v[16:17], v[18:19]
	v_add_f64_e32 v[14:15], v[14:15], v[24:25]
	s_wait_loadcnt_dscnt 0x100
	v_mul_f64_e32 v[18:19], v[2:3], v[36:37]
	v_mul_f64_e32 v[24:25], v[4:5], v[36:37]
	v_fma_f64 v[8:9], v[8:9], v[145:146], v[20:21]
	v_fma_f64 v[6:7], v[6:7], v[145:146], -v[26:27]
	v_add_f64_e32 v[16:17], v[16:17], v[22:23]
	v_add_f64_e32 v[14:15], v[14:15], v[28:29]
	v_fma_f64 v[4:5], v[4:5], v[34:35], v[18:19]
	v_fma_f64 v[2:3], v[2:3], v[34:35], -v[24:25]
	s_delay_alu instid0(VALU_DEP_4) | instskip(NEXT) | instid1(VALU_DEP_4)
	v_add_f64_e32 v[8:9], v[16:17], v[8:9]
	v_add_f64_e32 v[6:7], v[14:15], v[6:7]
	s_delay_alu instid0(VALU_DEP_2) | instskip(NEXT) | instid1(VALU_DEP_2)
	v_add_f64_e32 v[4:5], v[8:9], v[4:5]
	v_add_f64_e32 v[2:3], v[6:7], v[2:3]
	s_wait_loadcnt 0x0
	s_delay_alu instid0(VALU_DEP_2) | instskip(NEXT) | instid1(VALU_DEP_2)
	v_add_f64_e64 v[4:5], v[12:13], -v[4:5]
	v_add_f64_e64 v[2:3], v[10:11], -v[2:3]
	scratch_store_b128 off, v[2:5], off offset:448
	v_cmpx_lt_u32_e32 26, v0
	s_cbranch_execz .LBB48_255
; %bb.254:
	scratch_load_b128 v[5:8], off, s31
	v_dual_mov_b32 v2, v1 :: v_dual_mov_b32 v3, v1
	v_mov_b32_e32 v4, v1
	scratch_store_b128 off, v[1:4], off offset:432
	s_wait_loadcnt 0x0
	ds_store_b128 v140, v[5:8]
.LBB48_255:
	s_wait_alu 0xfffe
	s_or_b32 exec_lo, exec_lo, s0
	s_wait_storecnt_dscnt 0x0
	s_barrier_signal -1
	s_barrier_wait -1
	global_inv scope:SCOPE_SE
	s_clause 0x7
	scratch_load_b128 v[2:5], off, off offset:448
	scratch_load_b128 v[6:9], off, off offset:464
	;; [unrolled: 1-line block ×8, first 2 shown]
	ds_load_b128 v[34:37], v1 offset:1216
	ds_load_b128 v[141:144], v1 offset:1232
	s_clause 0x1
	scratch_load_b128 v[38:41], off, off offset:576
	scratch_load_b128 v[145:148], off, off offset:592
	s_mov_b32 s0, exec_lo
	s_wait_loadcnt_dscnt 0x901
	v_mul_f64_e32 v[149:150], v[36:37], v[4:5]
	v_mul_f64_e32 v[4:5], v[34:35], v[4:5]
	s_wait_loadcnt_dscnt 0x800
	v_mul_f64_e32 v[151:152], v[141:142], v[8:9]
	v_mul_f64_e32 v[8:9], v[143:144], v[8:9]
	s_delay_alu instid0(VALU_DEP_4) | instskip(NEXT) | instid1(VALU_DEP_4)
	v_fma_f64 v[149:150], v[34:35], v[2:3], -v[149:150]
	v_fma_f64 v[153:154], v[36:37], v[2:3], v[4:5]
	ds_load_b128 v[2:5], v1 offset:1248
	scratch_load_b128 v[34:37], off, off offset:608
	v_fma_f64 v[151:152], v[143:144], v[6:7], v[151:152]
	v_fma_f64 v[157:158], v[141:142], v[6:7], -v[8:9]
	ds_load_b128 v[6:9], v1 offset:1264
	scratch_load_b128 v[141:144], off, off offset:624
	s_wait_loadcnt_dscnt 0x901
	v_mul_f64_e32 v[155:156], v[2:3], v[12:13]
	v_mul_f64_e32 v[12:13], v[4:5], v[12:13]
	s_wait_loadcnt_dscnt 0x800
	v_mul_f64_e32 v[159:160], v[6:7], v[16:17]
	v_mul_f64_e32 v[16:17], v[8:9], v[16:17]
	v_add_f64_e32 v[149:150], 0, v[149:150]
	v_add_f64_e32 v[153:154], 0, v[153:154]
	v_fma_f64 v[155:156], v[4:5], v[10:11], v[155:156]
	v_fma_f64 v[161:162], v[2:3], v[10:11], -v[12:13]
	ds_load_b128 v[2:5], v1 offset:1280
	scratch_load_b128 v[10:13], off, off offset:640
	v_add_f64_e32 v[149:150], v[149:150], v[157:158]
	v_add_f64_e32 v[151:152], v[153:154], v[151:152]
	v_fma_f64 v[157:158], v[8:9], v[14:15], v[159:160]
	v_fma_f64 v[159:160], v[6:7], v[14:15], -v[16:17]
	ds_load_b128 v[6:9], v1 offset:1296
	scratch_load_b128 v[14:17], off, off offset:656
	s_wait_loadcnt_dscnt 0x901
	v_mul_f64_e32 v[153:154], v[2:3], v[20:21]
	v_mul_f64_e32 v[20:21], v[4:5], v[20:21]
	v_add_f64_e32 v[149:150], v[149:150], v[161:162]
	v_add_f64_e32 v[151:152], v[151:152], v[155:156]
	s_wait_loadcnt_dscnt 0x800
	v_mul_f64_e32 v[155:156], v[6:7], v[24:25]
	v_mul_f64_e32 v[24:25], v[8:9], v[24:25]
	v_fma_f64 v[153:154], v[4:5], v[18:19], v[153:154]
	v_fma_f64 v[161:162], v[2:3], v[18:19], -v[20:21]
	ds_load_b128 v[2:5], v1 offset:1312
	scratch_load_b128 v[18:21], off, off offset:672
	v_add_f64_e32 v[149:150], v[149:150], v[159:160]
	v_add_f64_e32 v[151:152], v[151:152], v[157:158]
	v_fma_f64 v[155:156], v[8:9], v[22:23], v[155:156]
	v_fma_f64 v[159:160], v[6:7], v[22:23], -v[24:25]
	ds_load_b128 v[6:9], v1 offset:1328
	s_wait_loadcnt_dscnt 0x801
	v_mul_f64_e32 v[157:158], v[2:3], v[28:29]
	v_mul_f64_e32 v[28:29], v[4:5], v[28:29]
	scratch_load_b128 v[22:25], off, off offset:688
	v_add_f64_e32 v[149:150], v[149:150], v[161:162]
	v_add_f64_e32 v[151:152], v[151:152], v[153:154]
	s_wait_loadcnt_dscnt 0x800
	v_mul_f64_e32 v[153:154], v[6:7], v[32:33]
	v_mul_f64_e32 v[32:33], v[8:9], v[32:33]
	v_fma_f64 v[157:158], v[4:5], v[26:27], v[157:158]
	v_fma_f64 v[161:162], v[2:3], v[26:27], -v[28:29]
	ds_load_b128 v[2:5], v1 offset:1344
	scratch_load_b128 v[26:29], off, off offset:704
	v_add_f64_e32 v[149:150], v[149:150], v[159:160]
	v_add_f64_e32 v[151:152], v[151:152], v[155:156]
	v_fma_f64 v[153:154], v[8:9], v[30:31], v[153:154]
	v_fma_f64 v[159:160], v[6:7], v[30:31], -v[32:33]
	ds_load_b128 v[6:9], v1 offset:1360
	s_wait_loadcnt_dscnt 0x801
	v_mul_f64_e32 v[155:156], v[2:3], v[40:41]
	v_mul_f64_e32 v[40:41], v[4:5], v[40:41]
	scratch_load_b128 v[30:33], off, off offset:720
	v_add_f64_e32 v[149:150], v[149:150], v[161:162]
	v_add_f64_e32 v[151:152], v[151:152], v[157:158]
	s_wait_loadcnt_dscnt 0x800
	v_mul_f64_e32 v[157:158], v[6:7], v[147:148]
	v_mul_f64_e32 v[147:148], v[8:9], v[147:148]
	v_fma_f64 v[155:156], v[4:5], v[38:39], v[155:156]
	v_fma_f64 v[161:162], v[2:3], v[38:39], -v[40:41]
	ds_load_b128 v[2:5], v1 offset:1376
	scratch_load_b128 v[38:41], off, off offset:736
	v_add_f64_e32 v[149:150], v[149:150], v[159:160]
	v_add_f64_e32 v[151:152], v[151:152], v[153:154]
	v_fma_f64 v[157:158], v[8:9], v[145:146], v[157:158]
	v_fma_f64 v[159:160], v[6:7], v[145:146], -v[147:148]
	ds_load_b128 v[6:9], v1 offset:1392
	scratch_load_b128 v[145:148], off, off offset:752
	s_wait_loadcnt_dscnt 0x901
	v_mul_f64_e32 v[153:154], v[2:3], v[36:37]
	v_mul_f64_e32 v[36:37], v[4:5], v[36:37]
	v_add_f64_e32 v[149:150], v[149:150], v[161:162]
	v_add_f64_e32 v[151:152], v[151:152], v[155:156]
	s_wait_loadcnt_dscnt 0x800
	v_mul_f64_e32 v[155:156], v[6:7], v[143:144]
	v_mul_f64_e32 v[143:144], v[8:9], v[143:144]
	v_fma_f64 v[153:154], v[4:5], v[34:35], v[153:154]
	v_fma_f64 v[161:162], v[2:3], v[34:35], -v[36:37]
	ds_load_b128 v[2:5], v1 offset:1408
	scratch_load_b128 v[34:37], off, off offset:768
	v_add_f64_e32 v[149:150], v[149:150], v[159:160]
	v_add_f64_e32 v[151:152], v[151:152], v[157:158]
	v_fma_f64 v[155:156], v[8:9], v[141:142], v[155:156]
	v_fma_f64 v[159:160], v[6:7], v[141:142], -v[143:144]
	ds_load_b128 v[6:9], v1 offset:1424
	s_wait_loadcnt_dscnt 0x801
	v_mul_f64_e32 v[157:158], v[2:3], v[12:13]
	v_mul_f64_e32 v[12:13], v[4:5], v[12:13]
	scratch_load_b128 v[141:144], off, off offset:784
	v_add_f64_e32 v[149:150], v[149:150], v[161:162]
	v_add_f64_e32 v[151:152], v[151:152], v[153:154]
	s_wait_loadcnt_dscnt 0x800
	v_mul_f64_e32 v[153:154], v[6:7], v[16:17]
	v_mul_f64_e32 v[16:17], v[8:9], v[16:17]
	v_fma_f64 v[157:158], v[4:5], v[10:11], v[157:158]
	v_fma_f64 v[10:11], v[2:3], v[10:11], -v[12:13]
	ds_load_b128 v[2:5], v1 offset:1440
	v_add_f64_e32 v[12:13], v[149:150], v[159:160]
	v_add_f64_e32 v[149:150], v[151:152], v[155:156]
	v_fma_f64 v[153:154], v[8:9], v[14:15], v[153:154]
	v_fma_f64 v[14:15], v[6:7], v[14:15], -v[16:17]
	ds_load_b128 v[6:9], v1 offset:1456
	s_wait_loadcnt_dscnt 0x701
	v_mul_f64_e32 v[151:152], v[2:3], v[20:21]
	v_mul_f64_e32 v[20:21], v[4:5], v[20:21]
	v_add_f64_e32 v[10:11], v[12:13], v[10:11]
	v_add_f64_e32 v[12:13], v[149:150], v[157:158]
	s_delay_alu instid0(VALU_DEP_4) | instskip(NEXT) | instid1(VALU_DEP_4)
	v_fma_f64 v[149:150], v[4:5], v[18:19], v[151:152]
	v_fma_f64 v[18:19], v[2:3], v[18:19], -v[20:21]
	ds_load_b128 v[2:5], v1 offset:1472
	v_add_f64_e32 v[14:15], v[10:11], v[14:15]
	v_add_f64_e32 v[20:21], v[12:13], v[153:154]
	scratch_load_b128 v[10:13], off, off offset:432
	s_wait_loadcnt_dscnt 0x701
	v_mul_f64_e32 v[16:17], v[6:7], v[24:25]
	v_mul_f64_e32 v[24:25], v[8:9], v[24:25]
	v_add_f64_e32 v[14:15], v[14:15], v[18:19]
	v_add_f64_e32 v[18:19], v[20:21], v[149:150]
	s_delay_alu instid0(VALU_DEP_4) | instskip(NEXT) | instid1(VALU_DEP_4)
	v_fma_f64 v[16:17], v[8:9], v[22:23], v[16:17]
	v_fma_f64 v[22:23], v[6:7], v[22:23], -v[24:25]
	ds_load_b128 v[6:9], v1 offset:1488
	s_wait_loadcnt_dscnt 0x601
	v_mul_f64_e32 v[151:152], v[2:3], v[28:29]
	v_mul_f64_e32 v[28:29], v[4:5], v[28:29]
	s_wait_loadcnt_dscnt 0x500
	v_mul_f64_e32 v[20:21], v[6:7], v[32:33]
	v_mul_f64_e32 v[24:25], v[8:9], v[32:33]
	v_add_f64_e32 v[16:17], v[18:19], v[16:17]
	v_add_f64_e32 v[14:15], v[14:15], v[22:23]
	v_fma_f64 v[32:33], v[4:5], v[26:27], v[151:152]
	v_fma_f64 v[26:27], v[2:3], v[26:27], -v[28:29]
	ds_load_b128 v[2:5], v1 offset:1504
	v_fma_f64 v[20:21], v[8:9], v[30:31], v[20:21]
	v_fma_f64 v[24:25], v[6:7], v[30:31], -v[24:25]
	ds_load_b128 v[6:9], v1 offset:1520
	s_wait_loadcnt_dscnt 0x401
	v_mul_f64_e32 v[18:19], v[2:3], v[40:41]
	v_mul_f64_e32 v[22:23], v[4:5], v[40:41]
	v_add_f64_e32 v[16:17], v[16:17], v[32:33]
	v_add_f64_e32 v[14:15], v[14:15], v[26:27]
	s_wait_loadcnt_dscnt 0x300
	v_mul_f64_e32 v[26:27], v[6:7], v[147:148]
	v_mul_f64_e32 v[28:29], v[8:9], v[147:148]
	v_fma_f64 v[18:19], v[4:5], v[38:39], v[18:19]
	v_fma_f64 v[22:23], v[2:3], v[38:39], -v[22:23]
	ds_load_b128 v[2:5], v1 offset:1536
	v_add_f64_e32 v[16:17], v[16:17], v[20:21]
	v_add_f64_e32 v[14:15], v[14:15], v[24:25]
	v_fma_f64 v[26:27], v[8:9], v[145:146], v[26:27]
	v_fma_f64 v[28:29], v[6:7], v[145:146], -v[28:29]
	ds_load_b128 v[6:9], v1 offset:1552
	s_wait_loadcnt_dscnt 0x201
	v_mul_f64_e32 v[20:21], v[2:3], v[36:37]
	v_mul_f64_e32 v[24:25], v[4:5], v[36:37]
	v_add_f64_e32 v[16:17], v[16:17], v[18:19]
	v_add_f64_e32 v[14:15], v[14:15], v[22:23]
	s_wait_loadcnt_dscnt 0x100
	v_mul_f64_e32 v[18:19], v[6:7], v[143:144]
	v_mul_f64_e32 v[22:23], v[8:9], v[143:144]
	v_fma_f64 v[4:5], v[4:5], v[34:35], v[20:21]
	v_fma_f64 v[1:2], v[2:3], v[34:35], -v[24:25]
	v_add_f64_e32 v[16:17], v[16:17], v[26:27]
	v_add_f64_e32 v[14:15], v[14:15], v[28:29]
	v_fma_f64 v[8:9], v[8:9], v[141:142], v[18:19]
	v_fma_f64 v[6:7], v[6:7], v[141:142], -v[22:23]
	s_delay_alu instid0(VALU_DEP_4) | instskip(NEXT) | instid1(VALU_DEP_4)
	v_add_f64_e32 v[3:4], v[16:17], v[4:5]
	v_add_f64_e32 v[1:2], v[14:15], v[1:2]
	s_delay_alu instid0(VALU_DEP_2) | instskip(NEXT) | instid1(VALU_DEP_2)
	v_add_f64_e32 v[3:4], v[3:4], v[8:9]
	v_add_f64_e32 v[1:2], v[1:2], v[6:7]
	s_wait_loadcnt 0x0
	s_delay_alu instid0(VALU_DEP_2) | instskip(NEXT) | instid1(VALU_DEP_2)
	v_add_f64_e64 v[3:4], v[12:13], -v[3:4]
	v_add_f64_e64 v[1:2], v[10:11], -v[1:2]
	scratch_store_b128 off, v[1:4], off offset:432
	v_cmpx_lt_u32_e32 25, v0
	s_cbranch_execz .LBB48_257
; %bb.256:
	scratch_load_b128 v[1:4], off, s33
	v_mov_b32_e32 v5, 0
	s_delay_alu instid0(VALU_DEP_1)
	v_dual_mov_b32 v6, v5 :: v_dual_mov_b32 v7, v5
	v_mov_b32_e32 v8, v5
	scratch_store_b128 off, v[5:8], off offset:416
	s_wait_loadcnt 0x0
	ds_store_b128 v140, v[1:4]
.LBB48_257:
	s_wait_alu 0xfffe
	s_or_b32 exec_lo, exec_lo, s0
	s_wait_storecnt_dscnt 0x0
	s_barrier_signal -1
	s_barrier_wait -1
	global_inv scope:SCOPE_SE
	s_clause 0x7
	scratch_load_b128 v[2:5], off, off offset:432
	scratch_load_b128 v[6:9], off, off offset:448
	;; [unrolled: 1-line block ×8, first 2 shown]
	v_mov_b32_e32 v1, 0
	s_clause 0x1
	scratch_load_b128 v[38:41], off, off offset:560
	scratch_load_b128 v[145:148], off, off offset:576
	s_mov_b32 s0, exec_lo
	ds_load_b128 v[34:37], v1 offset:1200
	ds_load_b128 v[141:144], v1 offset:1216
	s_wait_loadcnt_dscnt 0x901
	v_mul_f64_e32 v[149:150], v[36:37], v[4:5]
	v_mul_f64_e32 v[4:5], v[34:35], v[4:5]
	s_wait_loadcnt_dscnt 0x800
	v_mul_f64_e32 v[151:152], v[141:142], v[8:9]
	v_mul_f64_e32 v[8:9], v[143:144], v[8:9]
	s_delay_alu instid0(VALU_DEP_4) | instskip(NEXT) | instid1(VALU_DEP_4)
	v_fma_f64 v[149:150], v[34:35], v[2:3], -v[149:150]
	v_fma_f64 v[153:154], v[36:37], v[2:3], v[4:5]
	ds_load_b128 v[2:5], v1 offset:1232
	scratch_load_b128 v[34:37], off, off offset:592
	v_fma_f64 v[151:152], v[143:144], v[6:7], v[151:152]
	v_fma_f64 v[157:158], v[141:142], v[6:7], -v[8:9]
	ds_load_b128 v[6:9], v1 offset:1248
	scratch_load_b128 v[141:144], off, off offset:608
	s_wait_loadcnt_dscnt 0x901
	v_mul_f64_e32 v[155:156], v[2:3], v[12:13]
	v_mul_f64_e32 v[12:13], v[4:5], v[12:13]
	s_wait_loadcnt_dscnt 0x800
	v_mul_f64_e32 v[159:160], v[6:7], v[16:17]
	v_mul_f64_e32 v[16:17], v[8:9], v[16:17]
	v_add_f64_e32 v[149:150], 0, v[149:150]
	v_add_f64_e32 v[153:154], 0, v[153:154]
	v_fma_f64 v[155:156], v[4:5], v[10:11], v[155:156]
	v_fma_f64 v[161:162], v[2:3], v[10:11], -v[12:13]
	ds_load_b128 v[2:5], v1 offset:1264
	scratch_load_b128 v[10:13], off, off offset:624
	v_add_f64_e32 v[149:150], v[149:150], v[157:158]
	v_add_f64_e32 v[151:152], v[153:154], v[151:152]
	v_fma_f64 v[157:158], v[8:9], v[14:15], v[159:160]
	v_fma_f64 v[159:160], v[6:7], v[14:15], -v[16:17]
	ds_load_b128 v[6:9], v1 offset:1280
	scratch_load_b128 v[14:17], off, off offset:640
	s_wait_loadcnt_dscnt 0x901
	v_mul_f64_e32 v[153:154], v[2:3], v[20:21]
	v_mul_f64_e32 v[20:21], v[4:5], v[20:21]
	v_add_f64_e32 v[149:150], v[149:150], v[161:162]
	v_add_f64_e32 v[151:152], v[151:152], v[155:156]
	s_wait_loadcnt_dscnt 0x800
	v_mul_f64_e32 v[155:156], v[6:7], v[24:25]
	v_mul_f64_e32 v[24:25], v[8:9], v[24:25]
	v_fma_f64 v[153:154], v[4:5], v[18:19], v[153:154]
	v_fma_f64 v[161:162], v[2:3], v[18:19], -v[20:21]
	ds_load_b128 v[2:5], v1 offset:1296
	scratch_load_b128 v[18:21], off, off offset:656
	v_add_f64_e32 v[149:150], v[149:150], v[159:160]
	v_add_f64_e32 v[151:152], v[151:152], v[157:158]
	v_fma_f64 v[155:156], v[8:9], v[22:23], v[155:156]
	v_fma_f64 v[159:160], v[6:7], v[22:23], -v[24:25]
	ds_load_b128 v[6:9], v1 offset:1312
	s_wait_loadcnt_dscnt 0x801
	v_mul_f64_e32 v[157:158], v[2:3], v[28:29]
	v_mul_f64_e32 v[28:29], v[4:5], v[28:29]
	scratch_load_b128 v[22:25], off, off offset:672
	v_add_f64_e32 v[149:150], v[149:150], v[161:162]
	v_add_f64_e32 v[151:152], v[151:152], v[153:154]
	s_wait_loadcnt_dscnt 0x800
	v_mul_f64_e32 v[153:154], v[6:7], v[32:33]
	v_mul_f64_e32 v[32:33], v[8:9], v[32:33]
	v_fma_f64 v[157:158], v[4:5], v[26:27], v[157:158]
	v_fma_f64 v[161:162], v[2:3], v[26:27], -v[28:29]
	ds_load_b128 v[2:5], v1 offset:1328
	scratch_load_b128 v[26:29], off, off offset:688
	v_add_f64_e32 v[149:150], v[149:150], v[159:160]
	v_add_f64_e32 v[151:152], v[151:152], v[155:156]
	v_fma_f64 v[153:154], v[8:9], v[30:31], v[153:154]
	v_fma_f64 v[159:160], v[6:7], v[30:31], -v[32:33]
	ds_load_b128 v[6:9], v1 offset:1344
	s_wait_loadcnt_dscnt 0x801
	v_mul_f64_e32 v[155:156], v[2:3], v[40:41]
	v_mul_f64_e32 v[40:41], v[4:5], v[40:41]
	scratch_load_b128 v[30:33], off, off offset:704
	v_add_f64_e32 v[149:150], v[149:150], v[161:162]
	v_add_f64_e32 v[151:152], v[151:152], v[157:158]
	s_wait_loadcnt_dscnt 0x800
	v_mul_f64_e32 v[157:158], v[6:7], v[147:148]
	v_mul_f64_e32 v[147:148], v[8:9], v[147:148]
	v_fma_f64 v[155:156], v[4:5], v[38:39], v[155:156]
	v_fma_f64 v[161:162], v[2:3], v[38:39], -v[40:41]
	ds_load_b128 v[2:5], v1 offset:1360
	scratch_load_b128 v[38:41], off, off offset:720
	v_add_f64_e32 v[149:150], v[149:150], v[159:160]
	v_add_f64_e32 v[151:152], v[151:152], v[153:154]
	v_fma_f64 v[157:158], v[8:9], v[145:146], v[157:158]
	v_fma_f64 v[159:160], v[6:7], v[145:146], -v[147:148]
	ds_load_b128 v[6:9], v1 offset:1376
	scratch_load_b128 v[145:148], off, off offset:736
	s_wait_loadcnt_dscnt 0x901
	v_mul_f64_e32 v[153:154], v[2:3], v[36:37]
	v_mul_f64_e32 v[36:37], v[4:5], v[36:37]
	v_add_f64_e32 v[149:150], v[149:150], v[161:162]
	v_add_f64_e32 v[151:152], v[151:152], v[155:156]
	s_wait_loadcnt_dscnt 0x800
	v_mul_f64_e32 v[155:156], v[6:7], v[143:144]
	v_mul_f64_e32 v[143:144], v[8:9], v[143:144]
	v_fma_f64 v[153:154], v[4:5], v[34:35], v[153:154]
	v_fma_f64 v[161:162], v[2:3], v[34:35], -v[36:37]
	ds_load_b128 v[2:5], v1 offset:1392
	scratch_load_b128 v[34:37], off, off offset:752
	v_add_f64_e32 v[149:150], v[149:150], v[159:160]
	v_add_f64_e32 v[151:152], v[151:152], v[157:158]
	v_fma_f64 v[155:156], v[8:9], v[141:142], v[155:156]
	v_fma_f64 v[159:160], v[6:7], v[141:142], -v[143:144]
	ds_load_b128 v[6:9], v1 offset:1408
	s_wait_loadcnt_dscnt 0x801
	v_mul_f64_e32 v[157:158], v[2:3], v[12:13]
	v_mul_f64_e32 v[12:13], v[4:5], v[12:13]
	scratch_load_b128 v[141:144], off, off offset:768
	v_add_f64_e32 v[149:150], v[149:150], v[161:162]
	v_add_f64_e32 v[151:152], v[151:152], v[153:154]
	s_wait_loadcnt_dscnt 0x800
	v_mul_f64_e32 v[153:154], v[6:7], v[16:17]
	v_mul_f64_e32 v[16:17], v[8:9], v[16:17]
	v_fma_f64 v[157:158], v[4:5], v[10:11], v[157:158]
	v_fma_f64 v[161:162], v[2:3], v[10:11], -v[12:13]
	ds_load_b128 v[2:5], v1 offset:1424
	scratch_load_b128 v[10:13], off, off offset:784
	v_add_f64_e32 v[149:150], v[149:150], v[159:160]
	v_add_f64_e32 v[151:152], v[151:152], v[155:156]
	v_fma_f64 v[153:154], v[8:9], v[14:15], v[153:154]
	v_fma_f64 v[14:15], v[6:7], v[14:15], -v[16:17]
	ds_load_b128 v[6:9], v1 offset:1440
	s_wait_loadcnt_dscnt 0x801
	v_mul_f64_e32 v[155:156], v[2:3], v[20:21]
	v_mul_f64_e32 v[20:21], v[4:5], v[20:21]
	v_add_f64_e32 v[16:17], v[149:150], v[161:162]
	v_add_f64_e32 v[149:150], v[151:152], v[157:158]
	s_wait_loadcnt_dscnt 0x700
	v_mul_f64_e32 v[151:152], v[6:7], v[24:25]
	v_mul_f64_e32 v[24:25], v[8:9], v[24:25]
	v_fma_f64 v[155:156], v[4:5], v[18:19], v[155:156]
	v_fma_f64 v[18:19], v[2:3], v[18:19], -v[20:21]
	ds_load_b128 v[2:5], v1 offset:1456
	v_add_f64_e32 v[14:15], v[16:17], v[14:15]
	v_add_f64_e32 v[16:17], v[149:150], v[153:154]
	v_fma_f64 v[149:150], v[8:9], v[22:23], v[151:152]
	v_fma_f64 v[22:23], v[6:7], v[22:23], -v[24:25]
	ds_load_b128 v[6:9], v1 offset:1472
	s_wait_loadcnt_dscnt 0x500
	v_mul_f64_e32 v[151:152], v[6:7], v[32:33]
	v_mul_f64_e32 v[32:33], v[8:9], v[32:33]
	v_add_f64_e32 v[18:19], v[14:15], v[18:19]
	v_add_f64_e32 v[24:25], v[16:17], v[155:156]
	scratch_load_b128 v[14:17], off, off offset:416
	v_mul_f64_e32 v[20:21], v[2:3], v[28:29]
	v_mul_f64_e32 v[28:29], v[4:5], v[28:29]
	v_add_f64_e32 v[18:19], v[18:19], v[22:23]
	v_add_f64_e32 v[22:23], v[24:25], v[149:150]
	s_delay_alu instid0(VALU_DEP_4) | instskip(NEXT) | instid1(VALU_DEP_4)
	v_fma_f64 v[20:21], v[4:5], v[26:27], v[20:21]
	v_fma_f64 v[26:27], v[2:3], v[26:27], -v[28:29]
	ds_load_b128 v[2:5], v1 offset:1488
	s_wait_loadcnt_dscnt 0x500
	v_mul_f64_e32 v[24:25], v[2:3], v[40:41]
	v_mul_f64_e32 v[28:29], v[4:5], v[40:41]
	v_fma_f64 v[40:41], v[8:9], v[30:31], v[151:152]
	v_fma_f64 v[30:31], v[6:7], v[30:31], -v[32:33]
	ds_load_b128 v[6:9], v1 offset:1504
	v_add_f64_e32 v[20:21], v[22:23], v[20:21]
	v_add_f64_e32 v[18:19], v[18:19], v[26:27]
	v_fma_f64 v[24:25], v[4:5], v[38:39], v[24:25]
	v_fma_f64 v[28:29], v[2:3], v[38:39], -v[28:29]
	ds_load_b128 v[2:5], v1 offset:1520
	s_wait_loadcnt_dscnt 0x401
	v_mul_f64_e32 v[22:23], v[6:7], v[147:148]
	v_mul_f64_e32 v[26:27], v[8:9], v[147:148]
	v_add_f64_e32 v[20:21], v[20:21], v[40:41]
	v_add_f64_e32 v[18:19], v[18:19], v[30:31]
	s_wait_loadcnt_dscnt 0x300
	v_mul_f64_e32 v[30:31], v[2:3], v[36:37]
	v_mul_f64_e32 v[32:33], v[4:5], v[36:37]
	v_fma_f64 v[22:23], v[8:9], v[145:146], v[22:23]
	v_fma_f64 v[26:27], v[6:7], v[145:146], -v[26:27]
	ds_load_b128 v[6:9], v1 offset:1536
	v_add_f64_e32 v[20:21], v[20:21], v[24:25]
	v_add_f64_e32 v[18:19], v[18:19], v[28:29]
	v_fma_f64 v[30:31], v[4:5], v[34:35], v[30:31]
	v_fma_f64 v[32:33], v[2:3], v[34:35], -v[32:33]
	ds_load_b128 v[2:5], v1 offset:1552
	s_wait_loadcnt_dscnt 0x201
	v_mul_f64_e32 v[24:25], v[6:7], v[143:144]
	v_mul_f64_e32 v[28:29], v[8:9], v[143:144]
	v_add_f64_e32 v[20:21], v[20:21], v[22:23]
	v_add_f64_e32 v[18:19], v[18:19], v[26:27]
	s_wait_loadcnt_dscnt 0x100
	v_mul_f64_e32 v[22:23], v[2:3], v[12:13]
	v_mul_f64_e32 v[12:13], v[4:5], v[12:13]
	v_fma_f64 v[8:9], v[8:9], v[141:142], v[24:25]
	v_fma_f64 v[6:7], v[6:7], v[141:142], -v[28:29]
	v_add_f64_e32 v[20:21], v[20:21], v[30:31]
	v_add_f64_e32 v[18:19], v[18:19], v[32:33]
	v_fma_f64 v[4:5], v[4:5], v[10:11], v[22:23]
	v_fma_f64 v[2:3], v[2:3], v[10:11], -v[12:13]
	s_delay_alu instid0(VALU_DEP_4) | instskip(NEXT) | instid1(VALU_DEP_4)
	v_add_f64_e32 v[8:9], v[20:21], v[8:9]
	v_add_f64_e32 v[6:7], v[18:19], v[6:7]
	s_delay_alu instid0(VALU_DEP_2) | instskip(NEXT) | instid1(VALU_DEP_2)
	v_add_f64_e32 v[4:5], v[8:9], v[4:5]
	v_add_f64_e32 v[2:3], v[6:7], v[2:3]
	s_wait_loadcnt 0x0
	s_delay_alu instid0(VALU_DEP_2) | instskip(NEXT) | instid1(VALU_DEP_2)
	v_add_f64_e64 v[4:5], v[16:17], -v[4:5]
	v_add_f64_e64 v[2:3], v[14:15], -v[2:3]
	scratch_store_b128 off, v[2:5], off offset:416
	v_cmpx_lt_u32_e32 24, v0
	s_cbranch_execz .LBB48_259
; %bb.258:
	scratch_load_b128 v[5:8], off, s35
	v_dual_mov_b32 v2, v1 :: v_dual_mov_b32 v3, v1
	v_mov_b32_e32 v4, v1
	scratch_store_b128 off, v[1:4], off offset:400
	s_wait_loadcnt 0x0
	ds_store_b128 v140, v[5:8]
.LBB48_259:
	s_wait_alu 0xfffe
	s_or_b32 exec_lo, exec_lo, s0
	s_wait_storecnt_dscnt 0x0
	s_barrier_signal -1
	s_barrier_wait -1
	global_inv scope:SCOPE_SE
	s_clause 0x7
	scratch_load_b128 v[2:5], off, off offset:416
	scratch_load_b128 v[6:9], off, off offset:432
	;; [unrolled: 1-line block ×8, first 2 shown]
	ds_load_b128 v[34:37], v1 offset:1184
	ds_load_b128 v[141:144], v1 offset:1200
	s_clause 0x1
	scratch_load_b128 v[38:41], off, off offset:544
	scratch_load_b128 v[145:148], off, off offset:560
	s_mov_b32 s0, exec_lo
	s_wait_loadcnt_dscnt 0x901
	v_mul_f64_e32 v[149:150], v[36:37], v[4:5]
	v_mul_f64_e32 v[4:5], v[34:35], v[4:5]
	s_wait_loadcnt_dscnt 0x800
	v_mul_f64_e32 v[151:152], v[141:142], v[8:9]
	v_mul_f64_e32 v[8:9], v[143:144], v[8:9]
	s_delay_alu instid0(VALU_DEP_4) | instskip(NEXT) | instid1(VALU_DEP_4)
	v_fma_f64 v[149:150], v[34:35], v[2:3], -v[149:150]
	v_fma_f64 v[153:154], v[36:37], v[2:3], v[4:5]
	ds_load_b128 v[2:5], v1 offset:1216
	scratch_load_b128 v[34:37], off, off offset:576
	v_fma_f64 v[151:152], v[143:144], v[6:7], v[151:152]
	v_fma_f64 v[157:158], v[141:142], v[6:7], -v[8:9]
	ds_load_b128 v[6:9], v1 offset:1232
	scratch_load_b128 v[141:144], off, off offset:592
	s_wait_loadcnt_dscnt 0x901
	v_mul_f64_e32 v[155:156], v[2:3], v[12:13]
	v_mul_f64_e32 v[12:13], v[4:5], v[12:13]
	s_wait_loadcnt_dscnt 0x800
	v_mul_f64_e32 v[159:160], v[6:7], v[16:17]
	v_mul_f64_e32 v[16:17], v[8:9], v[16:17]
	v_add_f64_e32 v[149:150], 0, v[149:150]
	v_add_f64_e32 v[153:154], 0, v[153:154]
	v_fma_f64 v[155:156], v[4:5], v[10:11], v[155:156]
	v_fma_f64 v[161:162], v[2:3], v[10:11], -v[12:13]
	ds_load_b128 v[2:5], v1 offset:1248
	scratch_load_b128 v[10:13], off, off offset:608
	v_add_f64_e32 v[149:150], v[149:150], v[157:158]
	v_add_f64_e32 v[151:152], v[153:154], v[151:152]
	v_fma_f64 v[157:158], v[8:9], v[14:15], v[159:160]
	v_fma_f64 v[159:160], v[6:7], v[14:15], -v[16:17]
	ds_load_b128 v[6:9], v1 offset:1264
	scratch_load_b128 v[14:17], off, off offset:624
	s_wait_loadcnt_dscnt 0x901
	v_mul_f64_e32 v[153:154], v[2:3], v[20:21]
	v_mul_f64_e32 v[20:21], v[4:5], v[20:21]
	v_add_f64_e32 v[149:150], v[149:150], v[161:162]
	v_add_f64_e32 v[151:152], v[151:152], v[155:156]
	s_wait_loadcnt_dscnt 0x800
	v_mul_f64_e32 v[155:156], v[6:7], v[24:25]
	v_mul_f64_e32 v[24:25], v[8:9], v[24:25]
	v_fma_f64 v[153:154], v[4:5], v[18:19], v[153:154]
	v_fma_f64 v[161:162], v[2:3], v[18:19], -v[20:21]
	ds_load_b128 v[2:5], v1 offset:1280
	scratch_load_b128 v[18:21], off, off offset:640
	v_add_f64_e32 v[149:150], v[149:150], v[159:160]
	v_add_f64_e32 v[151:152], v[151:152], v[157:158]
	v_fma_f64 v[155:156], v[8:9], v[22:23], v[155:156]
	v_fma_f64 v[159:160], v[6:7], v[22:23], -v[24:25]
	ds_load_b128 v[6:9], v1 offset:1296
	s_wait_loadcnt_dscnt 0x801
	v_mul_f64_e32 v[157:158], v[2:3], v[28:29]
	v_mul_f64_e32 v[28:29], v[4:5], v[28:29]
	scratch_load_b128 v[22:25], off, off offset:656
	v_add_f64_e32 v[149:150], v[149:150], v[161:162]
	v_add_f64_e32 v[151:152], v[151:152], v[153:154]
	s_wait_loadcnt_dscnt 0x800
	v_mul_f64_e32 v[153:154], v[6:7], v[32:33]
	v_mul_f64_e32 v[32:33], v[8:9], v[32:33]
	v_fma_f64 v[157:158], v[4:5], v[26:27], v[157:158]
	v_fma_f64 v[161:162], v[2:3], v[26:27], -v[28:29]
	ds_load_b128 v[2:5], v1 offset:1312
	scratch_load_b128 v[26:29], off, off offset:672
	v_add_f64_e32 v[149:150], v[149:150], v[159:160]
	v_add_f64_e32 v[151:152], v[151:152], v[155:156]
	v_fma_f64 v[153:154], v[8:9], v[30:31], v[153:154]
	v_fma_f64 v[159:160], v[6:7], v[30:31], -v[32:33]
	ds_load_b128 v[6:9], v1 offset:1328
	s_wait_loadcnt_dscnt 0x801
	v_mul_f64_e32 v[155:156], v[2:3], v[40:41]
	v_mul_f64_e32 v[40:41], v[4:5], v[40:41]
	scratch_load_b128 v[30:33], off, off offset:688
	v_add_f64_e32 v[149:150], v[149:150], v[161:162]
	v_add_f64_e32 v[151:152], v[151:152], v[157:158]
	s_wait_loadcnt_dscnt 0x800
	v_mul_f64_e32 v[157:158], v[6:7], v[147:148]
	v_mul_f64_e32 v[147:148], v[8:9], v[147:148]
	v_fma_f64 v[155:156], v[4:5], v[38:39], v[155:156]
	v_fma_f64 v[161:162], v[2:3], v[38:39], -v[40:41]
	ds_load_b128 v[2:5], v1 offset:1344
	scratch_load_b128 v[38:41], off, off offset:704
	v_add_f64_e32 v[149:150], v[149:150], v[159:160]
	v_add_f64_e32 v[151:152], v[151:152], v[153:154]
	v_fma_f64 v[157:158], v[8:9], v[145:146], v[157:158]
	v_fma_f64 v[159:160], v[6:7], v[145:146], -v[147:148]
	ds_load_b128 v[6:9], v1 offset:1360
	scratch_load_b128 v[145:148], off, off offset:720
	s_wait_loadcnt_dscnt 0x901
	v_mul_f64_e32 v[153:154], v[2:3], v[36:37]
	v_mul_f64_e32 v[36:37], v[4:5], v[36:37]
	v_add_f64_e32 v[149:150], v[149:150], v[161:162]
	v_add_f64_e32 v[151:152], v[151:152], v[155:156]
	s_wait_loadcnt_dscnt 0x800
	v_mul_f64_e32 v[155:156], v[6:7], v[143:144]
	v_mul_f64_e32 v[143:144], v[8:9], v[143:144]
	v_fma_f64 v[153:154], v[4:5], v[34:35], v[153:154]
	v_fma_f64 v[161:162], v[2:3], v[34:35], -v[36:37]
	ds_load_b128 v[2:5], v1 offset:1376
	scratch_load_b128 v[34:37], off, off offset:736
	v_add_f64_e32 v[149:150], v[149:150], v[159:160]
	v_add_f64_e32 v[151:152], v[151:152], v[157:158]
	v_fma_f64 v[155:156], v[8:9], v[141:142], v[155:156]
	v_fma_f64 v[159:160], v[6:7], v[141:142], -v[143:144]
	ds_load_b128 v[6:9], v1 offset:1392
	s_wait_loadcnt_dscnt 0x801
	v_mul_f64_e32 v[157:158], v[2:3], v[12:13]
	v_mul_f64_e32 v[12:13], v[4:5], v[12:13]
	scratch_load_b128 v[141:144], off, off offset:752
	v_add_f64_e32 v[149:150], v[149:150], v[161:162]
	v_add_f64_e32 v[151:152], v[151:152], v[153:154]
	s_wait_loadcnt_dscnt 0x800
	v_mul_f64_e32 v[153:154], v[6:7], v[16:17]
	v_mul_f64_e32 v[16:17], v[8:9], v[16:17]
	v_fma_f64 v[157:158], v[4:5], v[10:11], v[157:158]
	v_fma_f64 v[161:162], v[2:3], v[10:11], -v[12:13]
	ds_load_b128 v[2:5], v1 offset:1408
	scratch_load_b128 v[10:13], off, off offset:768
	v_add_f64_e32 v[149:150], v[149:150], v[159:160]
	v_add_f64_e32 v[151:152], v[151:152], v[155:156]
	v_fma_f64 v[153:154], v[8:9], v[14:15], v[153:154]
	v_fma_f64 v[159:160], v[6:7], v[14:15], -v[16:17]
	ds_load_b128 v[6:9], v1 offset:1424
	s_wait_loadcnt_dscnt 0x801
	v_mul_f64_e32 v[155:156], v[2:3], v[20:21]
	v_mul_f64_e32 v[20:21], v[4:5], v[20:21]
	scratch_load_b128 v[14:17], off, off offset:784
	v_add_f64_e32 v[149:150], v[149:150], v[161:162]
	v_add_f64_e32 v[151:152], v[151:152], v[157:158]
	s_wait_loadcnt_dscnt 0x800
	v_mul_f64_e32 v[157:158], v[6:7], v[24:25]
	v_mul_f64_e32 v[24:25], v[8:9], v[24:25]
	v_fma_f64 v[155:156], v[4:5], v[18:19], v[155:156]
	v_fma_f64 v[18:19], v[2:3], v[18:19], -v[20:21]
	ds_load_b128 v[2:5], v1 offset:1440
	v_add_f64_e32 v[20:21], v[149:150], v[159:160]
	v_add_f64_e32 v[149:150], v[151:152], v[153:154]
	v_fma_f64 v[153:154], v[8:9], v[22:23], v[157:158]
	v_fma_f64 v[22:23], v[6:7], v[22:23], -v[24:25]
	ds_load_b128 v[6:9], v1 offset:1456
	s_wait_loadcnt_dscnt 0x701
	v_mul_f64_e32 v[151:152], v[2:3], v[28:29]
	v_mul_f64_e32 v[28:29], v[4:5], v[28:29]
	v_add_f64_e32 v[18:19], v[20:21], v[18:19]
	v_add_f64_e32 v[20:21], v[149:150], v[155:156]
	s_delay_alu instid0(VALU_DEP_4) | instskip(NEXT) | instid1(VALU_DEP_4)
	v_fma_f64 v[149:150], v[4:5], v[26:27], v[151:152]
	v_fma_f64 v[26:27], v[2:3], v[26:27], -v[28:29]
	ds_load_b128 v[2:5], v1 offset:1472
	v_add_f64_e32 v[22:23], v[18:19], v[22:23]
	v_add_f64_e32 v[28:29], v[20:21], v[153:154]
	scratch_load_b128 v[18:21], off, off offset:400
	s_wait_loadcnt_dscnt 0x701
	v_mul_f64_e32 v[24:25], v[6:7], v[32:33]
	v_mul_f64_e32 v[32:33], v[8:9], v[32:33]
	v_add_f64_e32 v[22:23], v[22:23], v[26:27]
	v_add_f64_e32 v[26:27], v[28:29], v[149:150]
	s_delay_alu instid0(VALU_DEP_4) | instskip(NEXT) | instid1(VALU_DEP_4)
	v_fma_f64 v[24:25], v[8:9], v[30:31], v[24:25]
	v_fma_f64 v[30:31], v[6:7], v[30:31], -v[32:33]
	ds_load_b128 v[6:9], v1 offset:1488
	s_wait_loadcnt_dscnt 0x601
	v_mul_f64_e32 v[151:152], v[2:3], v[40:41]
	v_mul_f64_e32 v[40:41], v[4:5], v[40:41]
	s_wait_loadcnt_dscnt 0x500
	v_mul_f64_e32 v[28:29], v[6:7], v[147:148]
	v_mul_f64_e32 v[32:33], v[8:9], v[147:148]
	v_add_f64_e32 v[24:25], v[26:27], v[24:25]
	v_add_f64_e32 v[22:23], v[22:23], v[30:31]
	v_fma_f64 v[147:148], v[4:5], v[38:39], v[151:152]
	v_fma_f64 v[38:39], v[2:3], v[38:39], -v[40:41]
	ds_load_b128 v[2:5], v1 offset:1504
	v_fma_f64 v[28:29], v[8:9], v[145:146], v[28:29]
	v_fma_f64 v[32:33], v[6:7], v[145:146], -v[32:33]
	ds_load_b128 v[6:9], v1 offset:1520
	s_wait_loadcnt_dscnt 0x401
	v_mul_f64_e32 v[26:27], v[2:3], v[36:37]
	v_mul_f64_e32 v[30:31], v[4:5], v[36:37]
	v_add_f64_e32 v[24:25], v[24:25], v[147:148]
	v_add_f64_e32 v[22:23], v[22:23], v[38:39]
	s_wait_loadcnt_dscnt 0x300
	v_mul_f64_e32 v[36:37], v[6:7], v[143:144]
	v_mul_f64_e32 v[38:39], v[8:9], v[143:144]
	v_fma_f64 v[26:27], v[4:5], v[34:35], v[26:27]
	v_fma_f64 v[30:31], v[2:3], v[34:35], -v[30:31]
	ds_load_b128 v[2:5], v1 offset:1536
	v_add_f64_e32 v[24:25], v[24:25], v[28:29]
	v_add_f64_e32 v[22:23], v[22:23], v[32:33]
	v_fma_f64 v[32:33], v[8:9], v[141:142], v[36:37]
	v_fma_f64 v[34:35], v[6:7], v[141:142], -v[38:39]
	ds_load_b128 v[6:9], v1 offset:1552
	s_wait_loadcnt_dscnt 0x201
	v_mul_f64_e32 v[28:29], v[2:3], v[12:13]
	v_mul_f64_e32 v[12:13], v[4:5], v[12:13]
	v_add_f64_e32 v[24:25], v[24:25], v[26:27]
	v_add_f64_e32 v[22:23], v[22:23], v[30:31]
	s_wait_loadcnt_dscnt 0x100
	v_mul_f64_e32 v[26:27], v[6:7], v[16:17]
	v_mul_f64_e32 v[16:17], v[8:9], v[16:17]
	v_fma_f64 v[4:5], v[4:5], v[10:11], v[28:29]
	v_fma_f64 v[1:2], v[2:3], v[10:11], -v[12:13]
	v_add_f64_e32 v[12:13], v[24:25], v[32:33]
	v_add_f64_e32 v[10:11], v[22:23], v[34:35]
	v_fma_f64 v[8:9], v[8:9], v[14:15], v[26:27]
	v_fma_f64 v[6:7], v[6:7], v[14:15], -v[16:17]
	s_delay_alu instid0(VALU_DEP_4) | instskip(NEXT) | instid1(VALU_DEP_4)
	v_add_f64_e32 v[3:4], v[12:13], v[4:5]
	v_add_f64_e32 v[1:2], v[10:11], v[1:2]
	s_delay_alu instid0(VALU_DEP_2) | instskip(NEXT) | instid1(VALU_DEP_2)
	v_add_f64_e32 v[3:4], v[3:4], v[8:9]
	v_add_f64_e32 v[1:2], v[1:2], v[6:7]
	s_wait_loadcnt 0x0
	s_delay_alu instid0(VALU_DEP_2) | instskip(NEXT) | instid1(VALU_DEP_2)
	v_add_f64_e64 v[3:4], v[20:21], -v[3:4]
	v_add_f64_e64 v[1:2], v[18:19], -v[1:2]
	scratch_store_b128 off, v[1:4], off offset:400
	v_cmpx_lt_u32_e32 23, v0
	s_cbranch_execz .LBB48_261
; %bb.260:
	scratch_load_b128 v[1:4], off, s34
	v_mov_b32_e32 v5, 0
	s_delay_alu instid0(VALU_DEP_1)
	v_dual_mov_b32 v6, v5 :: v_dual_mov_b32 v7, v5
	v_mov_b32_e32 v8, v5
	scratch_store_b128 off, v[5:8], off offset:384
	s_wait_loadcnt 0x0
	ds_store_b128 v140, v[1:4]
.LBB48_261:
	s_wait_alu 0xfffe
	s_or_b32 exec_lo, exec_lo, s0
	s_wait_storecnt_dscnt 0x0
	s_barrier_signal -1
	s_barrier_wait -1
	global_inv scope:SCOPE_SE
	s_clause 0x7
	scratch_load_b128 v[2:5], off, off offset:400
	scratch_load_b128 v[6:9], off, off offset:416
	;; [unrolled: 1-line block ×8, first 2 shown]
	v_mov_b32_e32 v1, 0
	s_clause 0x1
	scratch_load_b128 v[38:41], off, off offset:528
	scratch_load_b128 v[145:148], off, off offset:544
	s_mov_b32 s0, exec_lo
	ds_load_b128 v[34:37], v1 offset:1168
	ds_load_b128 v[141:144], v1 offset:1184
	s_wait_loadcnt_dscnt 0x901
	v_mul_f64_e32 v[149:150], v[36:37], v[4:5]
	v_mul_f64_e32 v[4:5], v[34:35], v[4:5]
	s_wait_loadcnt_dscnt 0x800
	v_mul_f64_e32 v[151:152], v[141:142], v[8:9]
	v_mul_f64_e32 v[8:9], v[143:144], v[8:9]
	s_delay_alu instid0(VALU_DEP_4) | instskip(NEXT) | instid1(VALU_DEP_4)
	v_fma_f64 v[149:150], v[34:35], v[2:3], -v[149:150]
	v_fma_f64 v[153:154], v[36:37], v[2:3], v[4:5]
	ds_load_b128 v[2:5], v1 offset:1200
	scratch_load_b128 v[34:37], off, off offset:560
	v_fma_f64 v[151:152], v[143:144], v[6:7], v[151:152]
	v_fma_f64 v[157:158], v[141:142], v[6:7], -v[8:9]
	ds_load_b128 v[6:9], v1 offset:1216
	scratch_load_b128 v[141:144], off, off offset:576
	s_wait_loadcnt_dscnt 0x901
	v_mul_f64_e32 v[155:156], v[2:3], v[12:13]
	v_mul_f64_e32 v[12:13], v[4:5], v[12:13]
	s_wait_loadcnt_dscnt 0x800
	v_mul_f64_e32 v[159:160], v[6:7], v[16:17]
	v_mul_f64_e32 v[16:17], v[8:9], v[16:17]
	v_add_f64_e32 v[149:150], 0, v[149:150]
	v_add_f64_e32 v[153:154], 0, v[153:154]
	v_fma_f64 v[155:156], v[4:5], v[10:11], v[155:156]
	v_fma_f64 v[161:162], v[2:3], v[10:11], -v[12:13]
	ds_load_b128 v[2:5], v1 offset:1232
	scratch_load_b128 v[10:13], off, off offset:592
	v_add_f64_e32 v[149:150], v[149:150], v[157:158]
	v_add_f64_e32 v[151:152], v[153:154], v[151:152]
	v_fma_f64 v[157:158], v[8:9], v[14:15], v[159:160]
	v_fma_f64 v[159:160], v[6:7], v[14:15], -v[16:17]
	ds_load_b128 v[6:9], v1 offset:1248
	scratch_load_b128 v[14:17], off, off offset:608
	s_wait_loadcnt_dscnt 0x901
	v_mul_f64_e32 v[153:154], v[2:3], v[20:21]
	v_mul_f64_e32 v[20:21], v[4:5], v[20:21]
	v_add_f64_e32 v[149:150], v[149:150], v[161:162]
	v_add_f64_e32 v[151:152], v[151:152], v[155:156]
	s_wait_loadcnt_dscnt 0x800
	v_mul_f64_e32 v[155:156], v[6:7], v[24:25]
	v_mul_f64_e32 v[24:25], v[8:9], v[24:25]
	v_fma_f64 v[153:154], v[4:5], v[18:19], v[153:154]
	v_fma_f64 v[161:162], v[2:3], v[18:19], -v[20:21]
	ds_load_b128 v[2:5], v1 offset:1264
	scratch_load_b128 v[18:21], off, off offset:624
	v_add_f64_e32 v[149:150], v[149:150], v[159:160]
	v_add_f64_e32 v[151:152], v[151:152], v[157:158]
	v_fma_f64 v[155:156], v[8:9], v[22:23], v[155:156]
	v_fma_f64 v[159:160], v[6:7], v[22:23], -v[24:25]
	ds_load_b128 v[6:9], v1 offset:1280
	s_wait_loadcnt_dscnt 0x801
	v_mul_f64_e32 v[157:158], v[2:3], v[28:29]
	v_mul_f64_e32 v[28:29], v[4:5], v[28:29]
	scratch_load_b128 v[22:25], off, off offset:640
	v_add_f64_e32 v[149:150], v[149:150], v[161:162]
	v_add_f64_e32 v[151:152], v[151:152], v[153:154]
	s_wait_loadcnt_dscnt 0x800
	v_mul_f64_e32 v[153:154], v[6:7], v[32:33]
	v_mul_f64_e32 v[32:33], v[8:9], v[32:33]
	v_fma_f64 v[157:158], v[4:5], v[26:27], v[157:158]
	v_fma_f64 v[161:162], v[2:3], v[26:27], -v[28:29]
	ds_load_b128 v[2:5], v1 offset:1296
	scratch_load_b128 v[26:29], off, off offset:656
	v_add_f64_e32 v[149:150], v[149:150], v[159:160]
	v_add_f64_e32 v[151:152], v[151:152], v[155:156]
	v_fma_f64 v[153:154], v[8:9], v[30:31], v[153:154]
	v_fma_f64 v[159:160], v[6:7], v[30:31], -v[32:33]
	ds_load_b128 v[6:9], v1 offset:1312
	s_wait_loadcnt_dscnt 0x801
	v_mul_f64_e32 v[155:156], v[2:3], v[40:41]
	v_mul_f64_e32 v[40:41], v[4:5], v[40:41]
	scratch_load_b128 v[30:33], off, off offset:672
	v_add_f64_e32 v[149:150], v[149:150], v[161:162]
	v_add_f64_e32 v[151:152], v[151:152], v[157:158]
	s_wait_loadcnt_dscnt 0x800
	v_mul_f64_e32 v[157:158], v[6:7], v[147:148]
	v_mul_f64_e32 v[147:148], v[8:9], v[147:148]
	v_fma_f64 v[155:156], v[4:5], v[38:39], v[155:156]
	v_fma_f64 v[161:162], v[2:3], v[38:39], -v[40:41]
	ds_load_b128 v[2:5], v1 offset:1328
	scratch_load_b128 v[38:41], off, off offset:688
	v_add_f64_e32 v[149:150], v[149:150], v[159:160]
	v_add_f64_e32 v[151:152], v[151:152], v[153:154]
	v_fma_f64 v[157:158], v[8:9], v[145:146], v[157:158]
	v_fma_f64 v[159:160], v[6:7], v[145:146], -v[147:148]
	ds_load_b128 v[6:9], v1 offset:1344
	scratch_load_b128 v[145:148], off, off offset:704
	s_wait_loadcnt_dscnt 0x901
	v_mul_f64_e32 v[153:154], v[2:3], v[36:37]
	v_mul_f64_e32 v[36:37], v[4:5], v[36:37]
	v_add_f64_e32 v[149:150], v[149:150], v[161:162]
	v_add_f64_e32 v[151:152], v[151:152], v[155:156]
	s_wait_loadcnt_dscnt 0x800
	v_mul_f64_e32 v[155:156], v[6:7], v[143:144]
	v_mul_f64_e32 v[143:144], v[8:9], v[143:144]
	v_fma_f64 v[153:154], v[4:5], v[34:35], v[153:154]
	v_fma_f64 v[161:162], v[2:3], v[34:35], -v[36:37]
	ds_load_b128 v[2:5], v1 offset:1360
	scratch_load_b128 v[34:37], off, off offset:720
	v_add_f64_e32 v[149:150], v[149:150], v[159:160]
	v_add_f64_e32 v[151:152], v[151:152], v[157:158]
	v_fma_f64 v[155:156], v[8:9], v[141:142], v[155:156]
	v_fma_f64 v[159:160], v[6:7], v[141:142], -v[143:144]
	ds_load_b128 v[6:9], v1 offset:1376
	s_wait_loadcnt_dscnt 0x801
	v_mul_f64_e32 v[157:158], v[2:3], v[12:13]
	v_mul_f64_e32 v[12:13], v[4:5], v[12:13]
	scratch_load_b128 v[141:144], off, off offset:736
	v_add_f64_e32 v[149:150], v[149:150], v[161:162]
	v_add_f64_e32 v[151:152], v[151:152], v[153:154]
	s_wait_loadcnt_dscnt 0x800
	v_mul_f64_e32 v[153:154], v[6:7], v[16:17]
	v_mul_f64_e32 v[16:17], v[8:9], v[16:17]
	v_fma_f64 v[157:158], v[4:5], v[10:11], v[157:158]
	v_fma_f64 v[161:162], v[2:3], v[10:11], -v[12:13]
	ds_load_b128 v[2:5], v1 offset:1392
	scratch_load_b128 v[10:13], off, off offset:752
	v_add_f64_e32 v[149:150], v[149:150], v[159:160]
	v_add_f64_e32 v[151:152], v[151:152], v[155:156]
	v_fma_f64 v[153:154], v[8:9], v[14:15], v[153:154]
	v_fma_f64 v[159:160], v[6:7], v[14:15], -v[16:17]
	ds_load_b128 v[6:9], v1 offset:1408
	s_wait_loadcnt_dscnt 0x801
	v_mul_f64_e32 v[155:156], v[2:3], v[20:21]
	v_mul_f64_e32 v[20:21], v[4:5], v[20:21]
	scratch_load_b128 v[14:17], off, off offset:768
	v_add_f64_e32 v[149:150], v[149:150], v[161:162]
	v_add_f64_e32 v[151:152], v[151:152], v[157:158]
	s_wait_loadcnt_dscnt 0x800
	v_mul_f64_e32 v[157:158], v[6:7], v[24:25]
	v_mul_f64_e32 v[24:25], v[8:9], v[24:25]
	v_fma_f64 v[155:156], v[4:5], v[18:19], v[155:156]
	v_fma_f64 v[161:162], v[2:3], v[18:19], -v[20:21]
	ds_load_b128 v[2:5], v1 offset:1424
	scratch_load_b128 v[18:21], off, off offset:784
	v_add_f64_e32 v[149:150], v[149:150], v[159:160]
	v_add_f64_e32 v[151:152], v[151:152], v[153:154]
	v_fma_f64 v[157:158], v[8:9], v[22:23], v[157:158]
	v_fma_f64 v[22:23], v[6:7], v[22:23], -v[24:25]
	ds_load_b128 v[6:9], v1 offset:1440
	s_wait_loadcnt_dscnt 0x801
	v_mul_f64_e32 v[153:154], v[2:3], v[28:29]
	v_mul_f64_e32 v[28:29], v[4:5], v[28:29]
	v_add_f64_e32 v[24:25], v[149:150], v[161:162]
	v_add_f64_e32 v[149:150], v[151:152], v[155:156]
	s_wait_loadcnt_dscnt 0x700
	v_mul_f64_e32 v[151:152], v[6:7], v[32:33]
	v_mul_f64_e32 v[32:33], v[8:9], v[32:33]
	v_fma_f64 v[153:154], v[4:5], v[26:27], v[153:154]
	v_fma_f64 v[26:27], v[2:3], v[26:27], -v[28:29]
	ds_load_b128 v[2:5], v1 offset:1456
	v_add_f64_e32 v[22:23], v[24:25], v[22:23]
	v_add_f64_e32 v[24:25], v[149:150], v[157:158]
	v_fma_f64 v[149:150], v[8:9], v[30:31], v[151:152]
	v_fma_f64 v[30:31], v[6:7], v[30:31], -v[32:33]
	ds_load_b128 v[6:9], v1 offset:1472
	s_wait_loadcnt_dscnt 0x500
	v_mul_f64_e32 v[151:152], v[6:7], v[147:148]
	v_mul_f64_e32 v[147:148], v[8:9], v[147:148]
	v_add_f64_e32 v[26:27], v[22:23], v[26:27]
	v_add_f64_e32 v[32:33], v[24:25], v[153:154]
	scratch_load_b128 v[22:25], off, off offset:384
	v_mul_f64_e32 v[28:29], v[2:3], v[40:41]
	v_mul_f64_e32 v[40:41], v[4:5], v[40:41]
	v_add_f64_e32 v[26:27], v[26:27], v[30:31]
	v_add_f64_e32 v[30:31], v[32:33], v[149:150]
	s_delay_alu instid0(VALU_DEP_4) | instskip(NEXT) | instid1(VALU_DEP_4)
	v_fma_f64 v[28:29], v[4:5], v[38:39], v[28:29]
	v_fma_f64 v[38:39], v[2:3], v[38:39], -v[40:41]
	ds_load_b128 v[2:5], v1 offset:1488
	v_fma_f64 v[40:41], v[8:9], v[145:146], v[151:152]
	v_fma_f64 v[145:146], v[6:7], v[145:146], -v[147:148]
	ds_load_b128 v[6:9], v1 offset:1504
	s_wait_loadcnt_dscnt 0x501
	v_mul_f64_e32 v[32:33], v[2:3], v[36:37]
	v_mul_f64_e32 v[36:37], v[4:5], v[36:37]
	v_add_f64_e32 v[28:29], v[30:31], v[28:29]
	v_add_f64_e32 v[26:27], v[26:27], v[38:39]
	s_wait_loadcnt_dscnt 0x400
	v_mul_f64_e32 v[30:31], v[6:7], v[143:144]
	v_mul_f64_e32 v[38:39], v[8:9], v[143:144]
	v_fma_f64 v[32:33], v[4:5], v[34:35], v[32:33]
	v_fma_f64 v[34:35], v[2:3], v[34:35], -v[36:37]
	ds_load_b128 v[2:5], v1 offset:1520
	v_add_f64_e32 v[28:29], v[28:29], v[40:41]
	v_add_f64_e32 v[26:27], v[26:27], v[145:146]
	v_fma_f64 v[30:31], v[8:9], v[141:142], v[30:31]
	v_fma_f64 v[38:39], v[6:7], v[141:142], -v[38:39]
	ds_load_b128 v[6:9], v1 offset:1536
	s_wait_loadcnt_dscnt 0x301
	v_mul_f64_e32 v[36:37], v[2:3], v[12:13]
	v_mul_f64_e32 v[12:13], v[4:5], v[12:13]
	v_add_f64_e32 v[28:29], v[28:29], v[32:33]
	v_add_f64_e32 v[26:27], v[26:27], v[34:35]
	s_wait_loadcnt_dscnt 0x200
	v_mul_f64_e32 v[32:33], v[6:7], v[16:17]
	v_mul_f64_e32 v[16:17], v[8:9], v[16:17]
	v_fma_f64 v[34:35], v[4:5], v[10:11], v[36:37]
	v_fma_f64 v[10:11], v[2:3], v[10:11], -v[12:13]
	ds_load_b128 v[2:5], v1 offset:1552
	v_add_f64_e32 v[12:13], v[26:27], v[38:39]
	v_add_f64_e32 v[26:27], v[28:29], v[30:31]
	s_wait_loadcnt_dscnt 0x100
	v_mul_f64_e32 v[28:29], v[2:3], v[20:21]
	v_mul_f64_e32 v[20:21], v[4:5], v[20:21]
	v_fma_f64 v[8:9], v[8:9], v[14:15], v[32:33]
	v_fma_f64 v[6:7], v[6:7], v[14:15], -v[16:17]
	v_add_f64_e32 v[10:11], v[12:13], v[10:11]
	v_add_f64_e32 v[12:13], v[26:27], v[34:35]
	v_fma_f64 v[4:5], v[4:5], v[18:19], v[28:29]
	v_fma_f64 v[2:3], v[2:3], v[18:19], -v[20:21]
	s_delay_alu instid0(VALU_DEP_4) | instskip(NEXT) | instid1(VALU_DEP_4)
	v_add_f64_e32 v[6:7], v[10:11], v[6:7]
	v_add_f64_e32 v[8:9], v[12:13], v[8:9]
	s_delay_alu instid0(VALU_DEP_2) | instskip(NEXT) | instid1(VALU_DEP_2)
	v_add_f64_e32 v[2:3], v[6:7], v[2:3]
	v_add_f64_e32 v[4:5], v[8:9], v[4:5]
	s_wait_loadcnt 0x0
	s_delay_alu instid0(VALU_DEP_2) | instskip(NEXT) | instid1(VALU_DEP_2)
	v_add_f64_e64 v[2:3], v[22:23], -v[2:3]
	v_add_f64_e64 v[4:5], v[24:25], -v[4:5]
	scratch_store_b128 off, v[2:5], off offset:384
	v_cmpx_lt_u32_e32 22, v0
	s_cbranch_execz .LBB48_263
; %bb.262:
	scratch_load_b128 v[5:8], off, s36
	v_dual_mov_b32 v2, v1 :: v_dual_mov_b32 v3, v1
	v_mov_b32_e32 v4, v1
	scratch_store_b128 off, v[1:4], off offset:368
	s_wait_loadcnt 0x0
	ds_store_b128 v140, v[5:8]
.LBB48_263:
	s_wait_alu 0xfffe
	s_or_b32 exec_lo, exec_lo, s0
	s_wait_storecnt_dscnt 0x0
	s_barrier_signal -1
	s_barrier_wait -1
	global_inv scope:SCOPE_SE
	s_clause 0x7
	scratch_load_b128 v[2:5], off, off offset:384
	scratch_load_b128 v[6:9], off, off offset:400
	;; [unrolled: 1-line block ×8, first 2 shown]
	ds_load_b128 v[34:37], v1 offset:1152
	ds_load_b128 v[141:144], v1 offset:1168
	s_clause 0x1
	scratch_load_b128 v[38:41], off, off offset:512
	scratch_load_b128 v[145:148], off, off offset:528
	s_mov_b32 s0, exec_lo
	s_wait_loadcnt_dscnt 0x901
	v_mul_f64_e32 v[149:150], v[36:37], v[4:5]
	v_mul_f64_e32 v[4:5], v[34:35], v[4:5]
	s_wait_loadcnt_dscnt 0x800
	v_mul_f64_e32 v[151:152], v[141:142], v[8:9]
	v_mul_f64_e32 v[8:9], v[143:144], v[8:9]
	s_delay_alu instid0(VALU_DEP_4) | instskip(NEXT) | instid1(VALU_DEP_4)
	v_fma_f64 v[149:150], v[34:35], v[2:3], -v[149:150]
	v_fma_f64 v[153:154], v[36:37], v[2:3], v[4:5]
	ds_load_b128 v[2:5], v1 offset:1184
	scratch_load_b128 v[34:37], off, off offset:544
	v_fma_f64 v[151:152], v[143:144], v[6:7], v[151:152]
	v_fma_f64 v[157:158], v[141:142], v[6:7], -v[8:9]
	ds_load_b128 v[6:9], v1 offset:1200
	scratch_load_b128 v[141:144], off, off offset:560
	s_wait_loadcnt_dscnt 0x901
	v_mul_f64_e32 v[155:156], v[2:3], v[12:13]
	v_mul_f64_e32 v[12:13], v[4:5], v[12:13]
	s_wait_loadcnt_dscnt 0x800
	v_mul_f64_e32 v[159:160], v[6:7], v[16:17]
	v_mul_f64_e32 v[16:17], v[8:9], v[16:17]
	v_add_f64_e32 v[149:150], 0, v[149:150]
	v_add_f64_e32 v[153:154], 0, v[153:154]
	v_fma_f64 v[155:156], v[4:5], v[10:11], v[155:156]
	v_fma_f64 v[161:162], v[2:3], v[10:11], -v[12:13]
	ds_load_b128 v[2:5], v1 offset:1216
	scratch_load_b128 v[10:13], off, off offset:576
	v_add_f64_e32 v[149:150], v[149:150], v[157:158]
	v_add_f64_e32 v[151:152], v[153:154], v[151:152]
	v_fma_f64 v[157:158], v[8:9], v[14:15], v[159:160]
	v_fma_f64 v[159:160], v[6:7], v[14:15], -v[16:17]
	ds_load_b128 v[6:9], v1 offset:1232
	scratch_load_b128 v[14:17], off, off offset:592
	s_wait_loadcnt_dscnt 0x901
	v_mul_f64_e32 v[153:154], v[2:3], v[20:21]
	v_mul_f64_e32 v[20:21], v[4:5], v[20:21]
	v_add_f64_e32 v[149:150], v[149:150], v[161:162]
	v_add_f64_e32 v[151:152], v[151:152], v[155:156]
	s_wait_loadcnt_dscnt 0x800
	v_mul_f64_e32 v[155:156], v[6:7], v[24:25]
	v_mul_f64_e32 v[24:25], v[8:9], v[24:25]
	v_fma_f64 v[153:154], v[4:5], v[18:19], v[153:154]
	v_fma_f64 v[161:162], v[2:3], v[18:19], -v[20:21]
	ds_load_b128 v[2:5], v1 offset:1248
	scratch_load_b128 v[18:21], off, off offset:608
	v_add_f64_e32 v[149:150], v[149:150], v[159:160]
	v_add_f64_e32 v[151:152], v[151:152], v[157:158]
	v_fma_f64 v[155:156], v[8:9], v[22:23], v[155:156]
	v_fma_f64 v[159:160], v[6:7], v[22:23], -v[24:25]
	ds_load_b128 v[6:9], v1 offset:1264
	s_wait_loadcnt_dscnt 0x801
	v_mul_f64_e32 v[157:158], v[2:3], v[28:29]
	v_mul_f64_e32 v[28:29], v[4:5], v[28:29]
	scratch_load_b128 v[22:25], off, off offset:624
	v_add_f64_e32 v[149:150], v[149:150], v[161:162]
	v_add_f64_e32 v[151:152], v[151:152], v[153:154]
	s_wait_loadcnt_dscnt 0x800
	v_mul_f64_e32 v[153:154], v[6:7], v[32:33]
	v_mul_f64_e32 v[32:33], v[8:9], v[32:33]
	v_fma_f64 v[157:158], v[4:5], v[26:27], v[157:158]
	v_fma_f64 v[161:162], v[2:3], v[26:27], -v[28:29]
	ds_load_b128 v[2:5], v1 offset:1280
	scratch_load_b128 v[26:29], off, off offset:640
	v_add_f64_e32 v[149:150], v[149:150], v[159:160]
	v_add_f64_e32 v[151:152], v[151:152], v[155:156]
	v_fma_f64 v[153:154], v[8:9], v[30:31], v[153:154]
	v_fma_f64 v[159:160], v[6:7], v[30:31], -v[32:33]
	ds_load_b128 v[6:9], v1 offset:1296
	s_wait_loadcnt_dscnt 0x801
	v_mul_f64_e32 v[155:156], v[2:3], v[40:41]
	v_mul_f64_e32 v[40:41], v[4:5], v[40:41]
	scratch_load_b128 v[30:33], off, off offset:656
	v_add_f64_e32 v[149:150], v[149:150], v[161:162]
	v_add_f64_e32 v[151:152], v[151:152], v[157:158]
	s_wait_loadcnt_dscnt 0x800
	v_mul_f64_e32 v[157:158], v[6:7], v[147:148]
	v_mul_f64_e32 v[147:148], v[8:9], v[147:148]
	v_fma_f64 v[155:156], v[4:5], v[38:39], v[155:156]
	v_fma_f64 v[161:162], v[2:3], v[38:39], -v[40:41]
	ds_load_b128 v[2:5], v1 offset:1312
	scratch_load_b128 v[38:41], off, off offset:672
	v_add_f64_e32 v[149:150], v[149:150], v[159:160]
	v_add_f64_e32 v[151:152], v[151:152], v[153:154]
	v_fma_f64 v[157:158], v[8:9], v[145:146], v[157:158]
	v_fma_f64 v[159:160], v[6:7], v[145:146], -v[147:148]
	ds_load_b128 v[6:9], v1 offset:1328
	scratch_load_b128 v[145:148], off, off offset:688
	s_wait_loadcnt_dscnt 0x901
	v_mul_f64_e32 v[153:154], v[2:3], v[36:37]
	v_mul_f64_e32 v[36:37], v[4:5], v[36:37]
	v_add_f64_e32 v[149:150], v[149:150], v[161:162]
	v_add_f64_e32 v[151:152], v[151:152], v[155:156]
	s_wait_loadcnt_dscnt 0x800
	v_mul_f64_e32 v[155:156], v[6:7], v[143:144]
	v_mul_f64_e32 v[143:144], v[8:9], v[143:144]
	v_fma_f64 v[153:154], v[4:5], v[34:35], v[153:154]
	v_fma_f64 v[161:162], v[2:3], v[34:35], -v[36:37]
	ds_load_b128 v[2:5], v1 offset:1344
	scratch_load_b128 v[34:37], off, off offset:704
	v_add_f64_e32 v[149:150], v[149:150], v[159:160]
	v_add_f64_e32 v[151:152], v[151:152], v[157:158]
	v_fma_f64 v[155:156], v[8:9], v[141:142], v[155:156]
	v_fma_f64 v[159:160], v[6:7], v[141:142], -v[143:144]
	ds_load_b128 v[6:9], v1 offset:1360
	s_wait_loadcnt_dscnt 0x801
	v_mul_f64_e32 v[157:158], v[2:3], v[12:13]
	v_mul_f64_e32 v[12:13], v[4:5], v[12:13]
	scratch_load_b128 v[141:144], off, off offset:720
	v_add_f64_e32 v[149:150], v[149:150], v[161:162]
	v_add_f64_e32 v[151:152], v[151:152], v[153:154]
	s_wait_loadcnt_dscnt 0x800
	v_mul_f64_e32 v[153:154], v[6:7], v[16:17]
	v_mul_f64_e32 v[16:17], v[8:9], v[16:17]
	v_fma_f64 v[157:158], v[4:5], v[10:11], v[157:158]
	v_fma_f64 v[161:162], v[2:3], v[10:11], -v[12:13]
	ds_load_b128 v[2:5], v1 offset:1376
	scratch_load_b128 v[10:13], off, off offset:736
	v_add_f64_e32 v[149:150], v[149:150], v[159:160]
	v_add_f64_e32 v[151:152], v[151:152], v[155:156]
	v_fma_f64 v[153:154], v[8:9], v[14:15], v[153:154]
	v_fma_f64 v[159:160], v[6:7], v[14:15], -v[16:17]
	ds_load_b128 v[6:9], v1 offset:1392
	s_wait_loadcnt_dscnt 0x801
	v_mul_f64_e32 v[155:156], v[2:3], v[20:21]
	v_mul_f64_e32 v[20:21], v[4:5], v[20:21]
	scratch_load_b128 v[14:17], off, off offset:752
	;; [unrolled: 18-line block ×3, first 2 shown]
	v_add_f64_e32 v[149:150], v[149:150], v[161:162]
	v_add_f64_e32 v[151:152], v[151:152], v[155:156]
	s_wait_loadcnt_dscnt 0x800
	v_mul_f64_e32 v[155:156], v[6:7], v[32:33]
	v_mul_f64_e32 v[32:33], v[8:9], v[32:33]
	v_fma_f64 v[153:154], v[4:5], v[26:27], v[153:154]
	v_fma_f64 v[26:27], v[2:3], v[26:27], -v[28:29]
	ds_load_b128 v[2:5], v1 offset:1440
	v_add_f64_e32 v[28:29], v[149:150], v[159:160]
	v_add_f64_e32 v[149:150], v[151:152], v[157:158]
	v_fma_f64 v[155:156], v[8:9], v[30:31], v[155:156]
	v_fma_f64 v[30:31], v[6:7], v[30:31], -v[32:33]
	ds_load_b128 v[6:9], v1 offset:1456
	s_wait_loadcnt_dscnt 0x701
	v_mul_f64_e32 v[151:152], v[2:3], v[40:41]
	v_mul_f64_e32 v[40:41], v[4:5], v[40:41]
	v_add_f64_e32 v[26:27], v[28:29], v[26:27]
	v_add_f64_e32 v[28:29], v[149:150], v[153:154]
	s_delay_alu instid0(VALU_DEP_4) | instskip(NEXT) | instid1(VALU_DEP_4)
	v_fma_f64 v[149:150], v[4:5], v[38:39], v[151:152]
	v_fma_f64 v[38:39], v[2:3], v[38:39], -v[40:41]
	ds_load_b128 v[2:5], v1 offset:1472
	v_add_f64_e32 v[30:31], v[26:27], v[30:31]
	v_add_f64_e32 v[40:41], v[28:29], v[155:156]
	scratch_load_b128 v[26:29], off, off offset:368
	s_wait_loadcnt_dscnt 0x701
	v_mul_f64_e32 v[32:33], v[6:7], v[147:148]
	v_mul_f64_e32 v[147:148], v[8:9], v[147:148]
	v_add_f64_e32 v[30:31], v[30:31], v[38:39]
	v_add_f64_e32 v[38:39], v[40:41], v[149:150]
	s_delay_alu instid0(VALU_DEP_4) | instskip(NEXT) | instid1(VALU_DEP_4)
	v_fma_f64 v[32:33], v[8:9], v[145:146], v[32:33]
	v_fma_f64 v[145:146], v[6:7], v[145:146], -v[147:148]
	ds_load_b128 v[6:9], v1 offset:1488
	s_wait_loadcnt_dscnt 0x601
	v_mul_f64_e32 v[151:152], v[2:3], v[36:37]
	v_mul_f64_e32 v[36:37], v[4:5], v[36:37]
	s_wait_loadcnt_dscnt 0x500
	v_mul_f64_e32 v[40:41], v[6:7], v[143:144]
	v_mul_f64_e32 v[143:144], v[8:9], v[143:144]
	v_add_f64_e32 v[32:33], v[38:39], v[32:33]
	v_add_f64_e32 v[30:31], v[30:31], v[145:146]
	v_fma_f64 v[147:148], v[4:5], v[34:35], v[151:152]
	v_fma_f64 v[34:35], v[2:3], v[34:35], -v[36:37]
	ds_load_b128 v[2:5], v1 offset:1504
	v_fma_f64 v[38:39], v[8:9], v[141:142], v[40:41]
	v_fma_f64 v[40:41], v[6:7], v[141:142], -v[143:144]
	ds_load_b128 v[6:9], v1 offset:1520
	s_wait_loadcnt_dscnt 0x401
	v_mul_f64_e32 v[36:37], v[2:3], v[12:13]
	v_mul_f64_e32 v[12:13], v[4:5], v[12:13]
	v_add_f64_e32 v[32:33], v[32:33], v[147:148]
	v_add_f64_e32 v[30:31], v[30:31], v[34:35]
	s_wait_loadcnt_dscnt 0x300
	v_mul_f64_e32 v[34:35], v[6:7], v[16:17]
	v_mul_f64_e32 v[16:17], v[8:9], v[16:17]
	v_fma_f64 v[36:37], v[4:5], v[10:11], v[36:37]
	v_fma_f64 v[10:11], v[2:3], v[10:11], -v[12:13]
	ds_load_b128 v[2:5], v1 offset:1536
	v_add_f64_e32 v[12:13], v[30:31], v[40:41]
	v_add_f64_e32 v[30:31], v[32:33], v[38:39]
	v_fma_f64 v[34:35], v[8:9], v[14:15], v[34:35]
	v_fma_f64 v[14:15], v[6:7], v[14:15], -v[16:17]
	ds_load_b128 v[6:9], v1 offset:1552
	s_wait_loadcnt_dscnt 0x201
	v_mul_f64_e32 v[32:33], v[2:3], v[20:21]
	v_mul_f64_e32 v[20:21], v[4:5], v[20:21]
	s_wait_loadcnt_dscnt 0x100
	v_mul_f64_e32 v[16:17], v[6:7], v[24:25]
	v_mul_f64_e32 v[24:25], v[8:9], v[24:25]
	v_add_f64_e32 v[10:11], v[12:13], v[10:11]
	v_add_f64_e32 v[12:13], v[30:31], v[36:37]
	v_fma_f64 v[4:5], v[4:5], v[18:19], v[32:33]
	v_fma_f64 v[1:2], v[2:3], v[18:19], -v[20:21]
	v_fma_f64 v[8:9], v[8:9], v[22:23], v[16:17]
	v_fma_f64 v[6:7], v[6:7], v[22:23], -v[24:25]
	v_add_f64_e32 v[10:11], v[10:11], v[14:15]
	v_add_f64_e32 v[12:13], v[12:13], v[34:35]
	s_delay_alu instid0(VALU_DEP_2) | instskip(NEXT) | instid1(VALU_DEP_2)
	v_add_f64_e32 v[1:2], v[10:11], v[1:2]
	v_add_f64_e32 v[3:4], v[12:13], v[4:5]
	s_delay_alu instid0(VALU_DEP_2) | instskip(NEXT) | instid1(VALU_DEP_2)
	v_add_f64_e32 v[1:2], v[1:2], v[6:7]
	v_add_f64_e32 v[3:4], v[3:4], v[8:9]
	s_wait_loadcnt 0x0
	s_delay_alu instid0(VALU_DEP_2) | instskip(NEXT) | instid1(VALU_DEP_2)
	v_add_f64_e64 v[1:2], v[26:27], -v[1:2]
	v_add_f64_e64 v[3:4], v[28:29], -v[3:4]
	scratch_store_b128 off, v[1:4], off offset:368
	v_cmpx_lt_u32_e32 21, v0
	s_cbranch_execz .LBB48_265
; %bb.264:
	scratch_load_b128 v[1:4], off, s38
	v_mov_b32_e32 v5, 0
	s_delay_alu instid0(VALU_DEP_1)
	v_dual_mov_b32 v6, v5 :: v_dual_mov_b32 v7, v5
	v_mov_b32_e32 v8, v5
	scratch_store_b128 off, v[5:8], off offset:352
	s_wait_loadcnt 0x0
	ds_store_b128 v140, v[1:4]
.LBB48_265:
	s_wait_alu 0xfffe
	s_or_b32 exec_lo, exec_lo, s0
	s_wait_storecnt_dscnt 0x0
	s_barrier_signal -1
	s_barrier_wait -1
	global_inv scope:SCOPE_SE
	s_clause 0x7
	scratch_load_b128 v[2:5], off, off offset:368
	scratch_load_b128 v[6:9], off, off offset:384
	;; [unrolled: 1-line block ×8, first 2 shown]
	v_mov_b32_e32 v1, 0
	s_clause 0x1
	scratch_load_b128 v[38:41], off, off offset:496
	scratch_load_b128 v[145:148], off, off offset:512
	s_mov_b32 s0, exec_lo
	ds_load_b128 v[34:37], v1 offset:1136
	ds_load_b128 v[141:144], v1 offset:1152
	s_wait_loadcnt_dscnt 0x901
	v_mul_f64_e32 v[149:150], v[36:37], v[4:5]
	v_mul_f64_e32 v[4:5], v[34:35], v[4:5]
	s_wait_loadcnt_dscnt 0x800
	v_mul_f64_e32 v[151:152], v[141:142], v[8:9]
	v_mul_f64_e32 v[8:9], v[143:144], v[8:9]
	s_delay_alu instid0(VALU_DEP_4) | instskip(NEXT) | instid1(VALU_DEP_4)
	v_fma_f64 v[149:150], v[34:35], v[2:3], -v[149:150]
	v_fma_f64 v[153:154], v[36:37], v[2:3], v[4:5]
	ds_load_b128 v[2:5], v1 offset:1168
	scratch_load_b128 v[34:37], off, off offset:528
	v_fma_f64 v[151:152], v[143:144], v[6:7], v[151:152]
	v_fma_f64 v[157:158], v[141:142], v[6:7], -v[8:9]
	ds_load_b128 v[6:9], v1 offset:1184
	scratch_load_b128 v[141:144], off, off offset:544
	s_wait_loadcnt_dscnt 0x901
	v_mul_f64_e32 v[155:156], v[2:3], v[12:13]
	v_mul_f64_e32 v[12:13], v[4:5], v[12:13]
	s_wait_loadcnt_dscnt 0x800
	v_mul_f64_e32 v[159:160], v[6:7], v[16:17]
	v_mul_f64_e32 v[16:17], v[8:9], v[16:17]
	v_add_f64_e32 v[149:150], 0, v[149:150]
	v_add_f64_e32 v[153:154], 0, v[153:154]
	v_fma_f64 v[155:156], v[4:5], v[10:11], v[155:156]
	v_fma_f64 v[161:162], v[2:3], v[10:11], -v[12:13]
	ds_load_b128 v[2:5], v1 offset:1200
	scratch_load_b128 v[10:13], off, off offset:560
	v_add_f64_e32 v[149:150], v[149:150], v[157:158]
	v_add_f64_e32 v[151:152], v[153:154], v[151:152]
	v_fma_f64 v[157:158], v[8:9], v[14:15], v[159:160]
	v_fma_f64 v[159:160], v[6:7], v[14:15], -v[16:17]
	ds_load_b128 v[6:9], v1 offset:1216
	scratch_load_b128 v[14:17], off, off offset:576
	s_wait_loadcnt_dscnt 0x901
	v_mul_f64_e32 v[153:154], v[2:3], v[20:21]
	v_mul_f64_e32 v[20:21], v[4:5], v[20:21]
	v_add_f64_e32 v[149:150], v[149:150], v[161:162]
	v_add_f64_e32 v[151:152], v[151:152], v[155:156]
	s_wait_loadcnt_dscnt 0x800
	v_mul_f64_e32 v[155:156], v[6:7], v[24:25]
	v_mul_f64_e32 v[24:25], v[8:9], v[24:25]
	v_fma_f64 v[153:154], v[4:5], v[18:19], v[153:154]
	v_fma_f64 v[161:162], v[2:3], v[18:19], -v[20:21]
	ds_load_b128 v[2:5], v1 offset:1232
	scratch_load_b128 v[18:21], off, off offset:592
	v_add_f64_e32 v[149:150], v[149:150], v[159:160]
	v_add_f64_e32 v[151:152], v[151:152], v[157:158]
	v_fma_f64 v[155:156], v[8:9], v[22:23], v[155:156]
	v_fma_f64 v[159:160], v[6:7], v[22:23], -v[24:25]
	ds_load_b128 v[6:9], v1 offset:1248
	s_wait_loadcnt_dscnt 0x801
	v_mul_f64_e32 v[157:158], v[2:3], v[28:29]
	v_mul_f64_e32 v[28:29], v[4:5], v[28:29]
	scratch_load_b128 v[22:25], off, off offset:608
	v_add_f64_e32 v[149:150], v[149:150], v[161:162]
	v_add_f64_e32 v[151:152], v[151:152], v[153:154]
	s_wait_loadcnt_dscnt 0x800
	v_mul_f64_e32 v[153:154], v[6:7], v[32:33]
	v_mul_f64_e32 v[32:33], v[8:9], v[32:33]
	v_fma_f64 v[157:158], v[4:5], v[26:27], v[157:158]
	v_fma_f64 v[161:162], v[2:3], v[26:27], -v[28:29]
	ds_load_b128 v[2:5], v1 offset:1264
	scratch_load_b128 v[26:29], off, off offset:624
	v_add_f64_e32 v[149:150], v[149:150], v[159:160]
	v_add_f64_e32 v[151:152], v[151:152], v[155:156]
	v_fma_f64 v[153:154], v[8:9], v[30:31], v[153:154]
	v_fma_f64 v[159:160], v[6:7], v[30:31], -v[32:33]
	ds_load_b128 v[6:9], v1 offset:1280
	s_wait_loadcnt_dscnt 0x801
	v_mul_f64_e32 v[155:156], v[2:3], v[40:41]
	v_mul_f64_e32 v[40:41], v[4:5], v[40:41]
	scratch_load_b128 v[30:33], off, off offset:640
	v_add_f64_e32 v[149:150], v[149:150], v[161:162]
	v_add_f64_e32 v[151:152], v[151:152], v[157:158]
	s_wait_loadcnt_dscnt 0x800
	v_mul_f64_e32 v[157:158], v[6:7], v[147:148]
	v_mul_f64_e32 v[147:148], v[8:9], v[147:148]
	v_fma_f64 v[155:156], v[4:5], v[38:39], v[155:156]
	v_fma_f64 v[161:162], v[2:3], v[38:39], -v[40:41]
	ds_load_b128 v[2:5], v1 offset:1296
	scratch_load_b128 v[38:41], off, off offset:656
	v_add_f64_e32 v[149:150], v[149:150], v[159:160]
	v_add_f64_e32 v[151:152], v[151:152], v[153:154]
	v_fma_f64 v[157:158], v[8:9], v[145:146], v[157:158]
	v_fma_f64 v[159:160], v[6:7], v[145:146], -v[147:148]
	ds_load_b128 v[6:9], v1 offset:1312
	scratch_load_b128 v[145:148], off, off offset:672
	s_wait_loadcnt_dscnt 0x901
	v_mul_f64_e32 v[153:154], v[2:3], v[36:37]
	v_mul_f64_e32 v[36:37], v[4:5], v[36:37]
	v_add_f64_e32 v[149:150], v[149:150], v[161:162]
	v_add_f64_e32 v[151:152], v[151:152], v[155:156]
	s_wait_loadcnt_dscnt 0x800
	v_mul_f64_e32 v[155:156], v[6:7], v[143:144]
	v_mul_f64_e32 v[143:144], v[8:9], v[143:144]
	v_fma_f64 v[153:154], v[4:5], v[34:35], v[153:154]
	v_fma_f64 v[161:162], v[2:3], v[34:35], -v[36:37]
	ds_load_b128 v[2:5], v1 offset:1328
	scratch_load_b128 v[34:37], off, off offset:688
	v_add_f64_e32 v[149:150], v[149:150], v[159:160]
	v_add_f64_e32 v[151:152], v[151:152], v[157:158]
	v_fma_f64 v[155:156], v[8:9], v[141:142], v[155:156]
	v_fma_f64 v[159:160], v[6:7], v[141:142], -v[143:144]
	ds_load_b128 v[6:9], v1 offset:1344
	s_wait_loadcnt_dscnt 0x801
	v_mul_f64_e32 v[157:158], v[2:3], v[12:13]
	v_mul_f64_e32 v[12:13], v[4:5], v[12:13]
	scratch_load_b128 v[141:144], off, off offset:704
	v_add_f64_e32 v[149:150], v[149:150], v[161:162]
	v_add_f64_e32 v[151:152], v[151:152], v[153:154]
	s_wait_loadcnt_dscnt 0x800
	v_mul_f64_e32 v[153:154], v[6:7], v[16:17]
	v_mul_f64_e32 v[16:17], v[8:9], v[16:17]
	v_fma_f64 v[157:158], v[4:5], v[10:11], v[157:158]
	v_fma_f64 v[161:162], v[2:3], v[10:11], -v[12:13]
	ds_load_b128 v[2:5], v1 offset:1360
	scratch_load_b128 v[10:13], off, off offset:720
	v_add_f64_e32 v[149:150], v[149:150], v[159:160]
	v_add_f64_e32 v[151:152], v[151:152], v[155:156]
	v_fma_f64 v[153:154], v[8:9], v[14:15], v[153:154]
	v_fma_f64 v[159:160], v[6:7], v[14:15], -v[16:17]
	ds_load_b128 v[6:9], v1 offset:1376
	s_wait_loadcnt_dscnt 0x801
	v_mul_f64_e32 v[155:156], v[2:3], v[20:21]
	v_mul_f64_e32 v[20:21], v[4:5], v[20:21]
	scratch_load_b128 v[14:17], off, off offset:736
	;; [unrolled: 18-line block ×3, first 2 shown]
	v_add_f64_e32 v[149:150], v[149:150], v[161:162]
	v_add_f64_e32 v[151:152], v[151:152], v[155:156]
	s_wait_loadcnt_dscnt 0x800
	v_mul_f64_e32 v[155:156], v[6:7], v[32:33]
	v_mul_f64_e32 v[32:33], v[8:9], v[32:33]
	v_fma_f64 v[153:154], v[4:5], v[26:27], v[153:154]
	v_fma_f64 v[161:162], v[2:3], v[26:27], -v[28:29]
	ds_load_b128 v[2:5], v1 offset:1424
	scratch_load_b128 v[26:29], off, off offset:784
	v_add_f64_e32 v[149:150], v[149:150], v[159:160]
	v_add_f64_e32 v[151:152], v[151:152], v[157:158]
	v_fma_f64 v[155:156], v[8:9], v[30:31], v[155:156]
	v_fma_f64 v[30:31], v[6:7], v[30:31], -v[32:33]
	ds_load_b128 v[6:9], v1 offset:1440
	s_wait_loadcnt_dscnt 0x801
	v_mul_f64_e32 v[157:158], v[2:3], v[40:41]
	v_mul_f64_e32 v[40:41], v[4:5], v[40:41]
	v_add_f64_e32 v[32:33], v[149:150], v[161:162]
	v_add_f64_e32 v[149:150], v[151:152], v[153:154]
	s_wait_loadcnt_dscnt 0x700
	v_mul_f64_e32 v[151:152], v[6:7], v[147:148]
	v_mul_f64_e32 v[147:148], v[8:9], v[147:148]
	v_fma_f64 v[153:154], v[4:5], v[38:39], v[157:158]
	v_fma_f64 v[38:39], v[2:3], v[38:39], -v[40:41]
	ds_load_b128 v[2:5], v1 offset:1456
	v_add_f64_e32 v[30:31], v[32:33], v[30:31]
	v_add_f64_e32 v[32:33], v[149:150], v[155:156]
	v_fma_f64 v[149:150], v[8:9], v[145:146], v[151:152]
	v_fma_f64 v[145:146], v[6:7], v[145:146], -v[147:148]
	ds_load_b128 v[6:9], v1 offset:1472
	s_wait_loadcnt_dscnt 0x500
	v_mul_f64_e32 v[151:152], v[6:7], v[143:144]
	v_mul_f64_e32 v[143:144], v[8:9], v[143:144]
	v_add_f64_e32 v[38:39], v[30:31], v[38:39]
	v_add_f64_e32 v[147:148], v[32:33], v[153:154]
	scratch_load_b128 v[30:33], off, off offset:352
	v_mul_f64_e32 v[40:41], v[2:3], v[36:37]
	v_mul_f64_e32 v[36:37], v[4:5], v[36:37]
	s_delay_alu instid0(VALU_DEP_2) | instskip(NEXT) | instid1(VALU_DEP_2)
	v_fma_f64 v[40:41], v[4:5], v[34:35], v[40:41]
	v_fma_f64 v[34:35], v[2:3], v[34:35], -v[36:37]
	v_add_f64_e32 v[36:37], v[38:39], v[145:146]
	v_add_f64_e32 v[38:39], v[147:148], v[149:150]
	ds_load_b128 v[2:5], v1 offset:1488
	v_fma_f64 v[147:148], v[8:9], v[141:142], v[151:152]
	v_fma_f64 v[141:142], v[6:7], v[141:142], -v[143:144]
	ds_load_b128 v[6:9], v1 offset:1504
	s_wait_loadcnt_dscnt 0x501
	v_mul_f64_e32 v[145:146], v[2:3], v[12:13]
	v_mul_f64_e32 v[12:13], v[4:5], v[12:13]
	v_add_f64_e32 v[34:35], v[36:37], v[34:35]
	v_add_f64_e32 v[36:37], v[38:39], v[40:41]
	s_wait_loadcnt_dscnt 0x400
	v_mul_f64_e32 v[38:39], v[6:7], v[16:17]
	v_mul_f64_e32 v[16:17], v[8:9], v[16:17]
	v_fma_f64 v[40:41], v[4:5], v[10:11], v[145:146]
	v_fma_f64 v[10:11], v[2:3], v[10:11], -v[12:13]
	ds_load_b128 v[2:5], v1 offset:1520
	v_add_f64_e32 v[12:13], v[34:35], v[141:142]
	v_add_f64_e32 v[34:35], v[36:37], v[147:148]
	v_fma_f64 v[38:39], v[8:9], v[14:15], v[38:39]
	v_fma_f64 v[14:15], v[6:7], v[14:15], -v[16:17]
	ds_load_b128 v[6:9], v1 offset:1536
	s_wait_loadcnt_dscnt 0x301
	v_mul_f64_e32 v[36:37], v[2:3], v[20:21]
	v_mul_f64_e32 v[20:21], v[4:5], v[20:21]
	s_wait_loadcnt_dscnt 0x200
	v_mul_f64_e32 v[16:17], v[6:7], v[24:25]
	v_mul_f64_e32 v[24:25], v[8:9], v[24:25]
	v_add_f64_e32 v[10:11], v[12:13], v[10:11]
	v_add_f64_e32 v[12:13], v[34:35], v[40:41]
	v_fma_f64 v[34:35], v[4:5], v[18:19], v[36:37]
	v_fma_f64 v[18:19], v[2:3], v[18:19], -v[20:21]
	ds_load_b128 v[2:5], v1 offset:1552
	v_fma_f64 v[8:9], v[8:9], v[22:23], v[16:17]
	v_fma_f64 v[6:7], v[6:7], v[22:23], -v[24:25]
	s_wait_loadcnt_dscnt 0x100
	v_mul_f64_e32 v[20:21], v[4:5], v[28:29]
	v_add_f64_e32 v[10:11], v[10:11], v[14:15]
	v_add_f64_e32 v[12:13], v[12:13], v[38:39]
	v_mul_f64_e32 v[14:15], v[2:3], v[28:29]
	s_delay_alu instid0(VALU_DEP_4) | instskip(NEXT) | instid1(VALU_DEP_4)
	v_fma_f64 v[2:3], v[2:3], v[26:27], -v[20:21]
	v_add_f64_e32 v[10:11], v[10:11], v[18:19]
	s_delay_alu instid0(VALU_DEP_4) | instskip(NEXT) | instid1(VALU_DEP_4)
	v_add_f64_e32 v[12:13], v[12:13], v[34:35]
	v_fma_f64 v[4:5], v[4:5], v[26:27], v[14:15]
	s_delay_alu instid0(VALU_DEP_3) | instskip(NEXT) | instid1(VALU_DEP_3)
	v_add_f64_e32 v[6:7], v[10:11], v[6:7]
	v_add_f64_e32 v[8:9], v[12:13], v[8:9]
	s_delay_alu instid0(VALU_DEP_2) | instskip(NEXT) | instid1(VALU_DEP_2)
	v_add_f64_e32 v[2:3], v[6:7], v[2:3]
	v_add_f64_e32 v[4:5], v[8:9], v[4:5]
	s_wait_loadcnt 0x0
	s_delay_alu instid0(VALU_DEP_2) | instskip(NEXT) | instid1(VALU_DEP_2)
	v_add_f64_e64 v[2:3], v[30:31], -v[2:3]
	v_add_f64_e64 v[4:5], v[32:33], -v[4:5]
	scratch_store_b128 off, v[2:5], off offset:352
	v_cmpx_lt_u32_e32 20, v0
	s_cbranch_execz .LBB48_267
; %bb.266:
	scratch_load_b128 v[5:8], off, s40
	v_dual_mov_b32 v2, v1 :: v_dual_mov_b32 v3, v1
	v_mov_b32_e32 v4, v1
	scratch_store_b128 off, v[1:4], off offset:336
	s_wait_loadcnt 0x0
	ds_store_b128 v140, v[5:8]
.LBB48_267:
	s_wait_alu 0xfffe
	s_or_b32 exec_lo, exec_lo, s0
	s_wait_storecnt_dscnt 0x0
	s_barrier_signal -1
	s_barrier_wait -1
	global_inv scope:SCOPE_SE
	s_clause 0x7
	scratch_load_b128 v[2:5], off, off offset:352
	scratch_load_b128 v[6:9], off, off offset:368
	;; [unrolled: 1-line block ×8, first 2 shown]
	ds_load_b128 v[34:37], v1 offset:1120
	ds_load_b128 v[141:144], v1 offset:1136
	s_clause 0x1
	scratch_load_b128 v[38:41], off, off offset:480
	scratch_load_b128 v[145:148], off, off offset:496
	s_mov_b32 s0, exec_lo
	s_wait_loadcnt_dscnt 0x901
	v_mul_f64_e32 v[149:150], v[36:37], v[4:5]
	v_mul_f64_e32 v[4:5], v[34:35], v[4:5]
	s_wait_loadcnt_dscnt 0x800
	v_mul_f64_e32 v[151:152], v[141:142], v[8:9]
	v_mul_f64_e32 v[8:9], v[143:144], v[8:9]
	s_delay_alu instid0(VALU_DEP_4) | instskip(NEXT) | instid1(VALU_DEP_4)
	v_fma_f64 v[149:150], v[34:35], v[2:3], -v[149:150]
	v_fma_f64 v[153:154], v[36:37], v[2:3], v[4:5]
	scratch_load_b128 v[34:37], off, off offset:512
	ds_load_b128 v[2:5], v1 offset:1152
	v_fma_f64 v[151:152], v[143:144], v[6:7], v[151:152]
	v_fma_f64 v[157:158], v[141:142], v[6:7], -v[8:9]
	ds_load_b128 v[6:9], v1 offset:1168
	scratch_load_b128 v[141:144], off, off offset:528
	s_wait_loadcnt_dscnt 0x901
	v_mul_f64_e32 v[155:156], v[2:3], v[12:13]
	v_mul_f64_e32 v[12:13], v[4:5], v[12:13]
	s_wait_loadcnt_dscnt 0x800
	v_mul_f64_e32 v[159:160], v[6:7], v[16:17]
	v_mul_f64_e32 v[16:17], v[8:9], v[16:17]
	v_add_f64_e32 v[149:150], 0, v[149:150]
	v_add_f64_e32 v[153:154], 0, v[153:154]
	v_fma_f64 v[155:156], v[4:5], v[10:11], v[155:156]
	v_fma_f64 v[161:162], v[2:3], v[10:11], -v[12:13]
	ds_load_b128 v[2:5], v1 offset:1184
	scratch_load_b128 v[10:13], off, off offset:544
	v_add_f64_e32 v[149:150], v[149:150], v[157:158]
	v_add_f64_e32 v[151:152], v[153:154], v[151:152]
	v_fma_f64 v[157:158], v[8:9], v[14:15], v[159:160]
	v_fma_f64 v[159:160], v[6:7], v[14:15], -v[16:17]
	ds_load_b128 v[6:9], v1 offset:1200
	scratch_load_b128 v[14:17], off, off offset:560
	s_wait_loadcnt_dscnt 0x901
	v_mul_f64_e32 v[153:154], v[2:3], v[20:21]
	v_mul_f64_e32 v[20:21], v[4:5], v[20:21]
	v_add_f64_e32 v[149:150], v[149:150], v[161:162]
	v_add_f64_e32 v[151:152], v[151:152], v[155:156]
	s_wait_loadcnt_dscnt 0x800
	v_mul_f64_e32 v[155:156], v[6:7], v[24:25]
	v_mul_f64_e32 v[24:25], v[8:9], v[24:25]
	v_fma_f64 v[153:154], v[4:5], v[18:19], v[153:154]
	v_fma_f64 v[161:162], v[2:3], v[18:19], -v[20:21]
	ds_load_b128 v[2:5], v1 offset:1216
	scratch_load_b128 v[18:21], off, off offset:576
	v_add_f64_e32 v[149:150], v[149:150], v[159:160]
	v_add_f64_e32 v[151:152], v[151:152], v[157:158]
	v_fma_f64 v[155:156], v[8:9], v[22:23], v[155:156]
	v_fma_f64 v[159:160], v[6:7], v[22:23], -v[24:25]
	ds_load_b128 v[6:9], v1 offset:1232
	s_wait_loadcnt_dscnt 0x801
	v_mul_f64_e32 v[157:158], v[2:3], v[28:29]
	v_mul_f64_e32 v[28:29], v[4:5], v[28:29]
	scratch_load_b128 v[22:25], off, off offset:592
	v_add_f64_e32 v[149:150], v[149:150], v[161:162]
	v_add_f64_e32 v[151:152], v[151:152], v[153:154]
	s_wait_loadcnt_dscnt 0x800
	v_mul_f64_e32 v[153:154], v[6:7], v[32:33]
	v_mul_f64_e32 v[32:33], v[8:9], v[32:33]
	v_fma_f64 v[157:158], v[4:5], v[26:27], v[157:158]
	v_fma_f64 v[161:162], v[2:3], v[26:27], -v[28:29]
	ds_load_b128 v[2:5], v1 offset:1248
	scratch_load_b128 v[26:29], off, off offset:608
	v_add_f64_e32 v[149:150], v[149:150], v[159:160]
	v_add_f64_e32 v[151:152], v[151:152], v[155:156]
	v_fma_f64 v[153:154], v[8:9], v[30:31], v[153:154]
	v_fma_f64 v[159:160], v[6:7], v[30:31], -v[32:33]
	ds_load_b128 v[6:9], v1 offset:1264
	s_wait_loadcnt_dscnt 0x801
	v_mul_f64_e32 v[155:156], v[2:3], v[40:41]
	v_mul_f64_e32 v[40:41], v[4:5], v[40:41]
	scratch_load_b128 v[30:33], off, off offset:624
	v_add_f64_e32 v[149:150], v[149:150], v[161:162]
	v_add_f64_e32 v[151:152], v[151:152], v[157:158]
	s_wait_loadcnt_dscnt 0x800
	v_mul_f64_e32 v[157:158], v[6:7], v[147:148]
	v_mul_f64_e32 v[147:148], v[8:9], v[147:148]
	v_fma_f64 v[155:156], v[4:5], v[38:39], v[155:156]
	v_fma_f64 v[161:162], v[2:3], v[38:39], -v[40:41]
	ds_load_b128 v[2:5], v1 offset:1280
	scratch_load_b128 v[38:41], off, off offset:640
	v_add_f64_e32 v[149:150], v[149:150], v[159:160]
	v_add_f64_e32 v[151:152], v[151:152], v[153:154]
	v_fma_f64 v[157:158], v[8:9], v[145:146], v[157:158]
	v_fma_f64 v[159:160], v[6:7], v[145:146], -v[147:148]
	ds_load_b128 v[6:9], v1 offset:1296
	scratch_load_b128 v[145:148], off, off offset:656
	s_wait_loadcnt_dscnt 0x901
	v_mul_f64_e32 v[153:154], v[2:3], v[36:37]
	v_mul_f64_e32 v[36:37], v[4:5], v[36:37]
	v_add_f64_e32 v[149:150], v[149:150], v[161:162]
	v_add_f64_e32 v[151:152], v[151:152], v[155:156]
	s_wait_loadcnt_dscnt 0x800
	v_mul_f64_e32 v[155:156], v[6:7], v[143:144]
	v_mul_f64_e32 v[143:144], v[8:9], v[143:144]
	v_fma_f64 v[153:154], v[4:5], v[34:35], v[153:154]
	v_fma_f64 v[161:162], v[2:3], v[34:35], -v[36:37]
	scratch_load_b128 v[34:37], off, off offset:672
	ds_load_b128 v[2:5], v1 offset:1312
	v_add_f64_e32 v[149:150], v[149:150], v[159:160]
	v_add_f64_e32 v[151:152], v[151:152], v[157:158]
	v_fma_f64 v[155:156], v[8:9], v[141:142], v[155:156]
	v_fma_f64 v[159:160], v[6:7], v[141:142], -v[143:144]
	ds_load_b128 v[6:9], v1 offset:1328
	s_wait_loadcnt_dscnt 0x801
	v_mul_f64_e32 v[157:158], v[2:3], v[12:13]
	v_mul_f64_e32 v[12:13], v[4:5], v[12:13]
	scratch_load_b128 v[141:144], off, off offset:688
	v_add_f64_e32 v[149:150], v[149:150], v[161:162]
	v_add_f64_e32 v[151:152], v[151:152], v[153:154]
	s_wait_loadcnt_dscnt 0x800
	v_mul_f64_e32 v[153:154], v[6:7], v[16:17]
	v_mul_f64_e32 v[16:17], v[8:9], v[16:17]
	v_fma_f64 v[157:158], v[4:5], v[10:11], v[157:158]
	v_fma_f64 v[161:162], v[2:3], v[10:11], -v[12:13]
	ds_load_b128 v[2:5], v1 offset:1344
	scratch_load_b128 v[10:13], off, off offset:704
	v_add_f64_e32 v[149:150], v[149:150], v[159:160]
	v_add_f64_e32 v[151:152], v[151:152], v[155:156]
	v_fma_f64 v[153:154], v[8:9], v[14:15], v[153:154]
	v_fma_f64 v[159:160], v[6:7], v[14:15], -v[16:17]
	ds_load_b128 v[6:9], v1 offset:1360
	s_wait_loadcnt_dscnt 0x801
	v_mul_f64_e32 v[155:156], v[2:3], v[20:21]
	v_mul_f64_e32 v[20:21], v[4:5], v[20:21]
	scratch_load_b128 v[14:17], off, off offset:720
	v_add_f64_e32 v[149:150], v[149:150], v[161:162]
	v_add_f64_e32 v[151:152], v[151:152], v[157:158]
	s_wait_loadcnt_dscnt 0x800
	v_mul_f64_e32 v[157:158], v[6:7], v[24:25]
	v_mul_f64_e32 v[24:25], v[8:9], v[24:25]
	v_fma_f64 v[155:156], v[4:5], v[18:19], v[155:156]
	v_fma_f64 v[161:162], v[2:3], v[18:19], -v[20:21]
	ds_load_b128 v[2:5], v1 offset:1376
	scratch_load_b128 v[18:21], off, off offset:736
	;; [unrolled: 18-line block ×3, first 2 shown]
	v_add_f64_e32 v[149:150], v[149:150], v[159:160]
	v_add_f64_e32 v[151:152], v[151:152], v[157:158]
	v_fma_f64 v[155:156], v[8:9], v[30:31], v[155:156]
	v_fma_f64 v[159:160], v[6:7], v[30:31], -v[32:33]
	ds_load_b128 v[6:9], v1 offset:1424
	s_wait_loadcnt_dscnt 0x801
	v_mul_f64_e32 v[157:158], v[2:3], v[40:41]
	v_mul_f64_e32 v[40:41], v[4:5], v[40:41]
	scratch_load_b128 v[30:33], off, off offset:784
	v_add_f64_e32 v[149:150], v[149:150], v[161:162]
	v_add_f64_e32 v[151:152], v[151:152], v[153:154]
	v_fma_f64 v[157:158], v[4:5], v[38:39], v[157:158]
	v_fma_f64 v[38:39], v[2:3], v[38:39], -v[40:41]
	ds_load_b128 v[2:5], v1 offset:1440
	v_add_f64_e32 v[40:41], v[149:150], v[159:160]
	v_add_f64_e32 v[149:150], v[151:152], v[155:156]
	s_wait_loadcnt_dscnt 0x700
	v_mul_f64_e32 v[151:152], v[2:3], v[36:37]
	v_mul_f64_e32 v[36:37], v[4:5], v[36:37]
	s_delay_alu instid0(VALU_DEP_4) | instskip(NEXT) | instid1(VALU_DEP_4)
	v_add_f64_e32 v[38:39], v[40:41], v[38:39]
	v_add_f64_e32 v[40:41], v[149:150], v[157:158]
	s_delay_alu instid0(VALU_DEP_4) | instskip(NEXT) | instid1(VALU_DEP_4)
	v_fma_f64 v[149:150], v[4:5], v[34:35], v[151:152]
	v_fma_f64 v[151:152], v[2:3], v[34:35], -v[36:37]
	scratch_load_b128 v[34:37], off, off offset:336
	v_mul_f64_e32 v[153:154], v[6:7], v[147:148]
	v_mul_f64_e32 v[147:148], v[8:9], v[147:148]
	ds_load_b128 v[2:5], v1 offset:1472
	v_fma_f64 v[153:154], v[8:9], v[145:146], v[153:154]
	v_fma_f64 v[145:146], v[6:7], v[145:146], -v[147:148]
	ds_load_b128 v[6:9], v1 offset:1456
	s_wait_loadcnt_dscnt 0x700
	v_mul_f64_e32 v[147:148], v[6:7], v[143:144]
	v_mul_f64_e32 v[143:144], v[8:9], v[143:144]
	v_add_f64_e32 v[40:41], v[40:41], v[153:154]
	v_add_f64_e32 v[38:39], v[38:39], v[145:146]
	s_wait_loadcnt 0x6
	v_mul_f64_e32 v[145:146], v[2:3], v[12:13]
	v_mul_f64_e32 v[12:13], v[4:5], v[12:13]
	v_fma_f64 v[147:148], v[8:9], v[141:142], v[147:148]
	v_fma_f64 v[141:142], v[6:7], v[141:142], -v[143:144]
	ds_load_b128 v[6:9], v1 offset:1488
	v_add_f64_e32 v[40:41], v[40:41], v[149:150]
	v_add_f64_e32 v[38:39], v[38:39], v[151:152]
	v_fma_f64 v[145:146], v[4:5], v[10:11], v[145:146]
	v_fma_f64 v[10:11], v[2:3], v[10:11], -v[12:13]
	ds_load_b128 v[2:5], v1 offset:1504
	s_wait_loadcnt_dscnt 0x501
	v_mul_f64_e32 v[143:144], v[6:7], v[16:17]
	v_mul_f64_e32 v[16:17], v[8:9], v[16:17]
	v_add_f64_e32 v[12:13], v[38:39], v[141:142]
	v_add_f64_e32 v[38:39], v[40:41], v[147:148]
	s_wait_loadcnt_dscnt 0x400
	v_mul_f64_e32 v[40:41], v[2:3], v[20:21]
	v_mul_f64_e32 v[20:21], v[4:5], v[20:21]
	v_fma_f64 v[141:142], v[8:9], v[14:15], v[143:144]
	v_fma_f64 v[14:15], v[6:7], v[14:15], -v[16:17]
	ds_load_b128 v[6:9], v1 offset:1520
	v_add_f64_e32 v[10:11], v[12:13], v[10:11]
	v_add_f64_e32 v[12:13], v[38:39], v[145:146]
	v_fma_f64 v[38:39], v[4:5], v[18:19], v[40:41]
	v_fma_f64 v[18:19], v[2:3], v[18:19], -v[20:21]
	ds_load_b128 v[2:5], v1 offset:1536
	s_wait_loadcnt_dscnt 0x301
	v_mul_f64_e32 v[16:17], v[6:7], v[24:25]
	v_mul_f64_e32 v[24:25], v[8:9], v[24:25]
	s_wait_loadcnt_dscnt 0x200
	v_mul_f64_e32 v[20:21], v[4:5], v[28:29]
	v_add_f64_e32 v[10:11], v[10:11], v[14:15]
	v_add_f64_e32 v[12:13], v[12:13], v[141:142]
	v_mul_f64_e32 v[14:15], v[2:3], v[28:29]
	v_fma_f64 v[16:17], v[8:9], v[22:23], v[16:17]
	v_fma_f64 v[22:23], v[6:7], v[22:23], -v[24:25]
	ds_load_b128 v[6:9], v1 offset:1552
	v_fma_f64 v[1:2], v[2:3], v[26:27], -v[20:21]
	s_wait_loadcnt_dscnt 0x100
	v_mul_f64_e32 v[24:25], v[8:9], v[32:33]
	v_add_f64_e32 v[10:11], v[10:11], v[18:19]
	v_add_f64_e32 v[12:13], v[12:13], v[38:39]
	v_mul_f64_e32 v[18:19], v[6:7], v[32:33]
	v_fma_f64 v[4:5], v[4:5], v[26:27], v[14:15]
	v_fma_f64 v[6:7], v[6:7], v[30:31], -v[24:25]
	v_add_f64_e32 v[10:11], v[10:11], v[22:23]
	v_add_f64_e32 v[12:13], v[12:13], v[16:17]
	v_fma_f64 v[8:9], v[8:9], v[30:31], v[18:19]
	s_delay_alu instid0(VALU_DEP_3) | instskip(NEXT) | instid1(VALU_DEP_3)
	v_add_f64_e32 v[1:2], v[10:11], v[1:2]
	v_add_f64_e32 v[3:4], v[12:13], v[4:5]
	s_delay_alu instid0(VALU_DEP_2) | instskip(NEXT) | instid1(VALU_DEP_2)
	v_add_f64_e32 v[1:2], v[1:2], v[6:7]
	v_add_f64_e32 v[3:4], v[3:4], v[8:9]
	s_wait_loadcnt 0x0
	s_delay_alu instid0(VALU_DEP_2) | instskip(NEXT) | instid1(VALU_DEP_2)
	v_add_f64_e64 v[1:2], v[34:35], -v[1:2]
	v_add_f64_e64 v[3:4], v[36:37], -v[3:4]
	scratch_store_b128 off, v[1:4], off offset:336
	v_cmpx_lt_u32_e32 19, v0
	s_cbranch_execz .LBB48_269
; %bb.268:
	scratch_load_b128 v[1:4], off, s42
	v_mov_b32_e32 v5, 0
	s_delay_alu instid0(VALU_DEP_1)
	v_dual_mov_b32 v6, v5 :: v_dual_mov_b32 v7, v5
	v_mov_b32_e32 v8, v5
	scratch_store_b128 off, v[5:8], off offset:320
	s_wait_loadcnt 0x0
	ds_store_b128 v140, v[1:4]
.LBB48_269:
	s_wait_alu 0xfffe
	s_or_b32 exec_lo, exec_lo, s0
	s_wait_storecnt_dscnt 0x0
	s_barrier_signal -1
	s_barrier_wait -1
	global_inv scope:SCOPE_SE
	s_clause 0x7
	scratch_load_b128 v[2:5], off, off offset:336
	scratch_load_b128 v[6:9], off, off offset:352
	;; [unrolled: 1-line block ×8, first 2 shown]
	v_mov_b32_e32 v1, 0
	s_clause 0x1
	scratch_load_b128 v[38:41], off, off offset:464
	scratch_load_b128 v[145:148], off, off offset:480
	s_mov_b32 s0, exec_lo
	ds_load_b128 v[34:37], v1 offset:1104
	ds_load_b128 v[141:144], v1 offset:1120
	s_wait_loadcnt_dscnt 0x901
	v_mul_f64_e32 v[149:150], v[36:37], v[4:5]
	v_mul_f64_e32 v[4:5], v[34:35], v[4:5]
	s_wait_loadcnt_dscnt 0x800
	v_mul_f64_e32 v[151:152], v[141:142], v[8:9]
	v_mul_f64_e32 v[8:9], v[143:144], v[8:9]
	s_delay_alu instid0(VALU_DEP_4) | instskip(NEXT) | instid1(VALU_DEP_4)
	v_fma_f64 v[149:150], v[34:35], v[2:3], -v[149:150]
	v_fma_f64 v[153:154], v[36:37], v[2:3], v[4:5]
	ds_load_b128 v[2:5], v1 offset:1136
	scratch_load_b128 v[34:37], off, off offset:496
	v_fma_f64 v[151:152], v[143:144], v[6:7], v[151:152]
	v_fma_f64 v[157:158], v[141:142], v[6:7], -v[8:9]
	ds_load_b128 v[6:9], v1 offset:1152
	scratch_load_b128 v[141:144], off, off offset:512
	s_wait_loadcnt_dscnt 0x901
	v_mul_f64_e32 v[155:156], v[2:3], v[12:13]
	v_mul_f64_e32 v[12:13], v[4:5], v[12:13]
	s_wait_loadcnt_dscnt 0x800
	v_mul_f64_e32 v[159:160], v[6:7], v[16:17]
	v_mul_f64_e32 v[16:17], v[8:9], v[16:17]
	v_add_f64_e32 v[149:150], 0, v[149:150]
	v_add_f64_e32 v[153:154], 0, v[153:154]
	v_fma_f64 v[155:156], v[4:5], v[10:11], v[155:156]
	v_fma_f64 v[161:162], v[2:3], v[10:11], -v[12:13]
	ds_load_b128 v[2:5], v1 offset:1168
	scratch_load_b128 v[10:13], off, off offset:528
	v_add_f64_e32 v[149:150], v[149:150], v[157:158]
	v_add_f64_e32 v[151:152], v[153:154], v[151:152]
	v_fma_f64 v[157:158], v[8:9], v[14:15], v[159:160]
	v_fma_f64 v[159:160], v[6:7], v[14:15], -v[16:17]
	ds_load_b128 v[6:9], v1 offset:1184
	scratch_load_b128 v[14:17], off, off offset:544
	s_wait_loadcnt_dscnt 0x901
	v_mul_f64_e32 v[153:154], v[2:3], v[20:21]
	v_mul_f64_e32 v[20:21], v[4:5], v[20:21]
	v_add_f64_e32 v[149:150], v[149:150], v[161:162]
	v_add_f64_e32 v[151:152], v[151:152], v[155:156]
	s_wait_loadcnt_dscnt 0x800
	v_mul_f64_e32 v[155:156], v[6:7], v[24:25]
	v_mul_f64_e32 v[24:25], v[8:9], v[24:25]
	v_fma_f64 v[153:154], v[4:5], v[18:19], v[153:154]
	v_fma_f64 v[161:162], v[2:3], v[18:19], -v[20:21]
	ds_load_b128 v[2:5], v1 offset:1200
	scratch_load_b128 v[18:21], off, off offset:560
	v_add_f64_e32 v[149:150], v[149:150], v[159:160]
	v_add_f64_e32 v[151:152], v[151:152], v[157:158]
	v_fma_f64 v[155:156], v[8:9], v[22:23], v[155:156]
	v_fma_f64 v[159:160], v[6:7], v[22:23], -v[24:25]
	ds_load_b128 v[6:9], v1 offset:1216
	s_wait_loadcnt_dscnt 0x801
	v_mul_f64_e32 v[157:158], v[2:3], v[28:29]
	v_mul_f64_e32 v[28:29], v[4:5], v[28:29]
	scratch_load_b128 v[22:25], off, off offset:576
	v_add_f64_e32 v[149:150], v[149:150], v[161:162]
	v_add_f64_e32 v[151:152], v[151:152], v[153:154]
	s_wait_loadcnt_dscnt 0x800
	v_mul_f64_e32 v[153:154], v[6:7], v[32:33]
	v_mul_f64_e32 v[32:33], v[8:9], v[32:33]
	v_fma_f64 v[157:158], v[4:5], v[26:27], v[157:158]
	v_fma_f64 v[161:162], v[2:3], v[26:27], -v[28:29]
	ds_load_b128 v[2:5], v1 offset:1232
	scratch_load_b128 v[26:29], off, off offset:592
	v_add_f64_e32 v[149:150], v[149:150], v[159:160]
	v_add_f64_e32 v[151:152], v[151:152], v[155:156]
	v_fma_f64 v[153:154], v[8:9], v[30:31], v[153:154]
	v_fma_f64 v[159:160], v[6:7], v[30:31], -v[32:33]
	ds_load_b128 v[6:9], v1 offset:1248
	s_wait_loadcnt_dscnt 0x801
	v_mul_f64_e32 v[155:156], v[2:3], v[40:41]
	v_mul_f64_e32 v[40:41], v[4:5], v[40:41]
	scratch_load_b128 v[30:33], off, off offset:608
	v_add_f64_e32 v[149:150], v[149:150], v[161:162]
	v_add_f64_e32 v[151:152], v[151:152], v[157:158]
	s_wait_loadcnt_dscnt 0x800
	v_mul_f64_e32 v[157:158], v[6:7], v[147:148]
	v_mul_f64_e32 v[147:148], v[8:9], v[147:148]
	v_fma_f64 v[155:156], v[4:5], v[38:39], v[155:156]
	v_fma_f64 v[161:162], v[2:3], v[38:39], -v[40:41]
	ds_load_b128 v[2:5], v1 offset:1264
	scratch_load_b128 v[38:41], off, off offset:624
	v_add_f64_e32 v[149:150], v[149:150], v[159:160]
	v_add_f64_e32 v[151:152], v[151:152], v[153:154]
	v_fma_f64 v[157:158], v[8:9], v[145:146], v[157:158]
	v_fma_f64 v[159:160], v[6:7], v[145:146], -v[147:148]
	ds_load_b128 v[6:9], v1 offset:1280
	scratch_load_b128 v[145:148], off, off offset:640
	s_wait_loadcnt_dscnt 0x901
	v_mul_f64_e32 v[153:154], v[2:3], v[36:37]
	v_mul_f64_e32 v[36:37], v[4:5], v[36:37]
	v_add_f64_e32 v[149:150], v[149:150], v[161:162]
	v_add_f64_e32 v[151:152], v[151:152], v[155:156]
	s_wait_loadcnt_dscnt 0x800
	v_mul_f64_e32 v[155:156], v[6:7], v[143:144]
	v_mul_f64_e32 v[143:144], v[8:9], v[143:144]
	v_fma_f64 v[153:154], v[4:5], v[34:35], v[153:154]
	v_fma_f64 v[161:162], v[2:3], v[34:35], -v[36:37]
	ds_load_b128 v[2:5], v1 offset:1296
	scratch_load_b128 v[34:37], off, off offset:656
	v_add_f64_e32 v[149:150], v[149:150], v[159:160]
	v_add_f64_e32 v[151:152], v[151:152], v[157:158]
	v_fma_f64 v[155:156], v[8:9], v[141:142], v[155:156]
	v_fma_f64 v[159:160], v[6:7], v[141:142], -v[143:144]
	ds_load_b128 v[6:9], v1 offset:1312
	s_wait_loadcnt_dscnt 0x801
	v_mul_f64_e32 v[157:158], v[2:3], v[12:13]
	v_mul_f64_e32 v[12:13], v[4:5], v[12:13]
	scratch_load_b128 v[141:144], off, off offset:672
	v_add_f64_e32 v[149:150], v[149:150], v[161:162]
	v_add_f64_e32 v[151:152], v[151:152], v[153:154]
	s_wait_loadcnt_dscnt 0x800
	v_mul_f64_e32 v[153:154], v[6:7], v[16:17]
	v_mul_f64_e32 v[16:17], v[8:9], v[16:17]
	v_fma_f64 v[157:158], v[4:5], v[10:11], v[157:158]
	v_fma_f64 v[161:162], v[2:3], v[10:11], -v[12:13]
	ds_load_b128 v[2:5], v1 offset:1328
	scratch_load_b128 v[10:13], off, off offset:688
	v_add_f64_e32 v[149:150], v[149:150], v[159:160]
	v_add_f64_e32 v[151:152], v[151:152], v[155:156]
	v_fma_f64 v[153:154], v[8:9], v[14:15], v[153:154]
	v_fma_f64 v[159:160], v[6:7], v[14:15], -v[16:17]
	ds_load_b128 v[6:9], v1 offset:1344
	s_wait_loadcnt_dscnt 0x801
	v_mul_f64_e32 v[155:156], v[2:3], v[20:21]
	v_mul_f64_e32 v[20:21], v[4:5], v[20:21]
	scratch_load_b128 v[14:17], off, off offset:704
	;; [unrolled: 18-line block ×4, first 2 shown]
	v_add_f64_e32 v[149:150], v[149:150], v[161:162]
	v_add_f64_e32 v[151:152], v[151:152], v[153:154]
	s_wait_loadcnt_dscnt 0x800
	v_mul_f64_e32 v[153:154], v[6:7], v[147:148]
	v_mul_f64_e32 v[147:148], v[8:9], v[147:148]
	v_fma_f64 v[157:158], v[4:5], v[38:39], v[157:158]
	v_fma_f64 v[161:162], v[2:3], v[38:39], -v[40:41]
	ds_load_b128 v[2:5], v1 offset:1424
	scratch_load_b128 v[38:41], off, off offset:784
	v_add_f64_e32 v[149:150], v[149:150], v[159:160]
	v_add_f64_e32 v[151:152], v[151:152], v[155:156]
	v_fma_f64 v[153:154], v[8:9], v[145:146], v[153:154]
	v_fma_f64 v[145:146], v[6:7], v[145:146], -v[147:148]
	ds_load_b128 v[6:9], v1 offset:1440
	s_wait_loadcnt_dscnt 0x801
	v_mul_f64_e32 v[155:156], v[2:3], v[36:37]
	v_mul_f64_e32 v[36:37], v[4:5], v[36:37]
	v_add_f64_e32 v[147:148], v[149:150], v[161:162]
	v_add_f64_e32 v[149:150], v[151:152], v[157:158]
	s_wait_loadcnt_dscnt 0x700
	v_mul_f64_e32 v[151:152], v[6:7], v[143:144]
	v_mul_f64_e32 v[143:144], v[8:9], v[143:144]
	v_fma_f64 v[155:156], v[4:5], v[34:35], v[155:156]
	v_fma_f64 v[34:35], v[2:3], v[34:35], -v[36:37]
	ds_load_b128 v[2:5], v1 offset:1456
	v_add_f64_e32 v[36:37], v[147:148], v[145:146]
	v_add_f64_e32 v[145:146], v[149:150], v[153:154]
	v_fma_f64 v[149:150], v[8:9], v[141:142], v[151:152]
	v_fma_f64 v[141:142], v[6:7], v[141:142], -v[143:144]
	ds_load_b128 v[6:9], v1 offset:1472
	s_wait_loadcnt_dscnt 0x500
	v_mul_f64_e32 v[151:152], v[6:7], v[16:17]
	v_mul_f64_e32 v[16:17], v[8:9], v[16:17]
	v_add_f64_e32 v[143:144], v[36:37], v[34:35]
	v_add_f64_e32 v[145:146], v[145:146], v[155:156]
	scratch_load_b128 v[34:37], off, off offset:320
	v_mul_f64_e32 v[147:148], v[2:3], v[12:13]
	v_mul_f64_e32 v[12:13], v[4:5], v[12:13]
	s_delay_alu instid0(VALU_DEP_2) | instskip(NEXT) | instid1(VALU_DEP_2)
	v_fma_f64 v[147:148], v[4:5], v[10:11], v[147:148]
	v_fma_f64 v[10:11], v[2:3], v[10:11], -v[12:13]
	v_add_f64_e32 v[12:13], v[143:144], v[141:142]
	v_add_f64_e32 v[141:142], v[145:146], v[149:150]
	ds_load_b128 v[2:5], v1 offset:1488
	v_fma_f64 v[145:146], v[8:9], v[14:15], v[151:152]
	v_fma_f64 v[14:15], v[6:7], v[14:15], -v[16:17]
	ds_load_b128 v[6:9], v1 offset:1504
	s_wait_loadcnt_dscnt 0x501
	v_mul_f64_e32 v[143:144], v[2:3], v[20:21]
	v_mul_f64_e32 v[20:21], v[4:5], v[20:21]
	s_wait_loadcnt_dscnt 0x400
	v_mul_f64_e32 v[16:17], v[6:7], v[24:25]
	v_mul_f64_e32 v[24:25], v[8:9], v[24:25]
	v_add_f64_e32 v[10:11], v[12:13], v[10:11]
	v_add_f64_e32 v[12:13], v[141:142], v[147:148]
	v_fma_f64 v[141:142], v[4:5], v[18:19], v[143:144]
	v_fma_f64 v[18:19], v[2:3], v[18:19], -v[20:21]
	ds_load_b128 v[2:5], v1 offset:1520
	v_fma_f64 v[16:17], v[8:9], v[22:23], v[16:17]
	v_fma_f64 v[22:23], v[6:7], v[22:23], -v[24:25]
	ds_load_b128 v[6:9], v1 offset:1536
	v_add_f64_e32 v[10:11], v[10:11], v[14:15]
	v_add_f64_e32 v[12:13], v[12:13], v[145:146]
	s_wait_loadcnt_dscnt 0x301
	v_mul_f64_e32 v[14:15], v[2:3], v[28:29]
	v_mul_f64_e32 v[20:21], v[4:5], v[28:29]
	s_wait_loadcnt_dscnt 0x200
	v_mul_f64_e32 v[24:25], v[8:9], v[32:33]
	v_add_f64_e32 v[10:11], v[10:11], v[18:19]
	v_add_f64_e32 v[12:13], v[12:13], v[141:142]
	v_mul_f64_e32 v[18:19], v[6:7], v[32:33]
	v_fma_f64 v[14:15], v[4:5], v[26:27], v[14:15]
	v_fma_f64 v[20:21], v[2:3], v[26:27], -v[20:21]
	ds_load_b128 v[2:5], v1 offset:1552
	v_fma_f64 v[6:7], v[6:7], v[30:31], -v[24:25]
	v_add_f64_e32 v[10:11], v[10:11], v[22:23]
	v_add_f64_e32 v[12:13], v[12:13], v[16:17]
	s_wait_loadcnt_dscnt 0x100
	v_mul_f64_e32 v[16:17], v[2:3], v[40:41]
	v_mul_f64_e32 v[22:23], v[4:5], v[40:41]
	v_fma_f64 v[8:9], v[8:9], v[30:31], v[18:19]
	v_add_f64_e32 v[10:11], v[10:11], v[20:21]
	v_add_f64_e32 v[12:13], v[12:13], v[14:15]
	v_fma_f64 v[4:5], v[4:5], v[38:39], v[16:17]
	v_fma_f64 v[2:3], v[2:3], v[38:39], -v[22:23]
	s_delay_alu instid0(VALU_DEP_4) | instskip(NEXT) | instid1(VALU_DEP_4)
	v_add_f64_e32 v[6:7], v[10:11], v[6:7]
	v_add_f64_e32 v[8:9], v[12:13], v[8:9]
	s_delay_alu instid0(VALU_DEP_2) | instskip(NEXT) | instid1(VALU_DEP_2)
	v_add_f64_e32 v[2:3], v[6:7], v[2:3]
	v_add_f64_e32 v[4:5], v[8:9], v[4:5]
	s_wait_loadcnt 0x0
	s_delay_alu instid0(VALU_DEP_2) | instskip(NEXT) | instid1(VALU_DEP_2)
	v_add_f64_e64 v[2:3], v[34:35], -v[2:3]
	v_add_f64_e64 v[4:5], v[36:37], -v[4:5]
	scratch_store_b128 off, v[2:5], off offset:320
	v_cmpx_lt_u32_e32 18, v0
	s_cbranch_execz .LBB48_271
; %bb.270:
	scratch_load_b128 v[5:8], off, s44
	v_dual_mov_b32 v2, v1 :: v_dual_mov_b32 v3, v1
	v_mov_b32_e32 v4, v1
	scratch_store_b128 off, v[1:4], off offset:304
	s_wait_loadcnt 0x0
	ds_store_b128 v140, v[5:8]
.LBB48_271:
	s_wait_alu 0xfffe
	s_or_b32 exec_lo, exec_lo, s0
	s_wait_storecnt_dscnt 0x0
	s_barrier_signal -1
	s_barrier_wait -1
	global_inv scope:SCOPE_SE
	s_clause 0x7
	scratch_load_b128 v[2:5], off, off offset:320
	scratch_load_b128 v[6:9], off, off offset:336
	;; [unrolled: 1-line block ×8, first 2 shown]
	ds_load_b128 v[34:37], v1 offset:1088
	ds_load_b128 v[141:144], v1 offset:1104
	s_clause 0x1
	scratch_load_b128 v[38:41], off, off offset:448
	scratch_load_b128 v[145:148], off, off offset:464
	s_mov_b32 s0, exec_lo
	s_wait_loadcnt_dscnt 0x901
	v_mul_f64_e32 v[149:150], v[36:37], v[4:5]
	v_mul_f64_e32 v[4:5], v[34:35], v[4:5]
	s_wait_loadcnt_dscnt 0x800
	v_mul_f64_e32 v[151:152], v[141:142], v[8:9]
	v_mul_f64_e32 v[8:9], v[143:144], v[8:9]
	s_delay_alu instid0(VALU_DEP_4) | instskip(NEXT) | instid1(VALU_DEP_4)
	v_fma_f64 v[149:150], v[34:35], v[2:3], -v[149:150]
	v_fma_f64 v[153:154], v[36:37], v[2:3], v[4:5]
	ds_load_b128 v[2:5], v1 offset:1120
	scratch_load_b128 v[34:37], off, off offset:480
	v_fma_f64 v[151:152], v[143:144], v[6:7], v[151:152]
	v_fma_f64 v[157:158], v[141:142], v[6:7], -v[8:9]
	ds_load_b128 v[6:9], v1 offset:1136
	scratch_load_b128 v[141:144], off, off offset:496
	s_wait_loadcnt_dscnt 0x901
	v_mul_f64_e32 v[155:156], v[2:3], v[12:13]
	v_mul_f64_e32 v[12:13], v[4:5], v[12:13]
	s_wait_loadcnt_dscnt 0x800
	v_mul_f64_e32 v[159:160], v[6:7], v[16:17]
	v_mul_f64_e32 v[16:17], v[8:9], v[16:17]
	v_add_f64_e32 v[149:150], 0, v[149:150]
	v_add_f64_e32 v[153:154], 0, v[153:154]
	v_fma_f64 v[155:156], v[4:5], v[10:11], v[155:156]
	v_fma_f64 v[161:162], v[2:3], v[10:11], -v[12:13]
	scratch_load_b128 v[10:13], off, off offset:512
	ds_load_b128 v[2:5], v1 offset:1152
	v_add_f64_e32 v[149:150], v[149:150], v[157:158]
	v_add_f64_e32 v[151:152], v[153:154], v[151:152]
	v_fma_f64 v[157:158], v[8:9], v[14:15], v[159:160]
	v_fma_f64 v[159:160], v[6:7], v[14:15], -v[16:17]
	ds_load_b128 v[6:9], v1 offset:1168
	scratch_load_b128 v[14:17], off, off offset:528
	s_wait_loadcnt_dscnt 0x901
	v_mul_f64_e32 v[153:154], v[2:3], v[20:21]
	v_mul_f64_e32 v[20:21], v[4:5], v[20:21]
	v_add_f64_e32 v[149:150], v[149:150], v[161:162]
	v_add_f64_e32 v[151:152], v[151:152], v[155:156]
	s_wait_loadcnt_dscnt 0x800
	v_mul_f64_e32 v[155:156], v[6:7], v[24:25]
	v_mul_f64_e32 v[24:25], v[8:9], v[24:25]
	v_fma_f64 v[153:154], v[4:5], v[18:19], v[153:154]
	v_fma_f64 v[161:162], v[2:3], v[18:19], -v[20:21]
	ds_load_b128 v[2:5], v1 offset:1184
	scratch_load_b128 v[18:21], off, off offset:544
	v_add_f64_e32 v[149:150], v[149:150], v[159:160]
	v_add_f64_e32 v[151:152], v[151:152], v[157:158]
	v_fma_f64 v[155:156], v[8:9], v[22:23], v[155:156]
	v_fma_f64 v[159:160], v[6:7], v[22:23], -v[24:25]
	ds_load_b128 v[6:9], v1 offset:1200
	s_wait_loadcnt_dscnt 0x801
	v_mul_f64_e32 v[157:158], v[2:3], v[28:29]
	v_mul_f64_e32 v[28:29], v[4:5], v[28:29]
	scratch_load_b128 v[22:25], off, off offset:560
	v_add_f64_e32 v[149:150], v[149:150], v[161:162]
	v_add_f64_e32 v[151:152], v[151:152], v[153:154]
	s_wait_loadcnt_dscnt 0x800
	v_mul_f64_e32 v[153:154], v[6:7], v[32:33]
	v_mul_f64_e32 v[32:33], v[8:9], v[32:33]
	v_fma_f64 v[157:158], v[4:5], v[26:27], v[157:158]
	v_fma_f64 v[161:162], v[2:3], v[26:27], -v[28:29]
	ds_load_b128 v[2:5], v1 offset:1216
	scratch_load_b128 v[26:29], off, off offset:576
	v_add_f64_e32 v[149:150], v[149:150], v[159:160]
	v_add_f64_e32 v[151:152], v[151:152], v[155:156]
	v_fma_f64 v[153:154], v[8:9], v[30:31], v[153:154]
	v_fma_f64 v[159:160], v[6:7], v[30:31], -v[32:33]
	ds_load_b128 v[6:9], v1 offset:1232
	s_wait_loadcnt_dscnt 0x801
	v_mul_f64_e32 v[155:156], v[2:3], v[40:41]
	v_mul_f64_e32 v[40:41], v[4:5], v[40:41]
	scratch_load_b128 v[30:33], off, off offset:592
	v_add_f64_e32 v[149:150], v[149:150], v[161:162]
	v_add_f64_e32 v[151:152], v[151:152], v[157:158]
	s_wait_loadcnt_dscnt 0x800
	v_mul_f64_e32 v[157:158], v[6:7], v[147:148]
	v_mul_f64_e32 v[147:148], v[8:9], v[147:148]
	v_fma_f64 v[155:156], v[4:5], v[38:39], v[155:156]
	v_fma_f64 v[161:162], v[2:3], v[38:39], -v[40:41]
	ds_load_b128 v[2:5], v1 offset:1248
	scratch_load_b128 v[38:41], off, off offset:608
	v_add_f64_e32 v[149:150], v[149:150], v[159:160]
	v_add_f64_e32 v[151:152], v[151:152], v[153:154]
	v_fma_f64 v[157:158], v[8:9], v[145:146], v[157:158]
	v_fma_f64 v[159:160], v[6:7], v[145:146], -v[147:148]
	ds_load_b128 v[6:9], v1 offset:1264
	scratch_load_b128 v[145:148], off, off offset:624
	s_wait_loadcnt_dscnt 0x901
	v_mul_f64_e32 v[153:154], v[2:3], v[36:37]
	v_mul_f64_e32 v[36:37], v[4:5], v[36:37]
	v_add_f64_e32 v[149:150], v[149:150], v[161:162]
	v_add_f64_e32 v[151:152], v[151:152], v[155:156]
	s_wait_loadcnt_dscnt 0x800
	v_mul_f64_e32 v[155:156], v[6:7], v[143:144]
	v_mul_f64_e32 v[143:144], v[8:9], v[143:144]
	v_fma_f64 v[153:154], v[4:5], v[34:35], v[153:154]
	v_fma_f64 v[161:162], v[2:3], v[34:35], -v[36:37]
	ds_load_b128 v[2:5], v1 offset:1280
	scratch_load_b128 v[34:37], off, off offset:640
	v_add_f64_e32 v[149:150], v[149:150], v[159:160]
	v_add_f64_e32 v[151:152], v[151:152], v[157:158]
	v_fma_f64 v[155:156], v[8:9], v[141:142], v[155:156]
	v_fma_f64 v[159:160], v[6:7], v[141:142], -v[143:144]
	ds_load_b128 v[6:9], v1 offset:1296
	s_wait_loadcnt_dscnt 0x801
	v_mul_f64_e32 v[157:158], v[2:3], v[12:13]
	v_mul_f64_e32 v[12:13], v[4:5], v[12:13]
	scratch_load_b128 v[141:144], off, off offset:656
	v_add_f64_e32 v[149:150], v[149:150], v[161:162]
	v_add_f64_e32 v[151:152], v[151:152], v[153:154]
	s_wait_loadcnt_dscnt 0x800
	v_mul_f64_e32 v[153:154], v[6:7], v[16:17]
	v_mul_f64_e32 v[16:17], v[8:9], v[16:17]
	v_fma_f64 v[157:158], v[4:5], v[10:11], v[157:158]
	v_fma_f64 v[161:162], v[2:3], v[10:11], -v[12:13]
	scratch_load_b128 v[10:13], off, off offset:672
	ds_load_b128 v[2:5], v1 offset:1312
	v_add_f64_e32 v[149:150], v[149:150], v[159:160]
	v_add_f64_e32 v[151:152], v[151:152], v[155:156]
	v_fma_f64 v[153:154], v[8:9], v[14:15], v[153:154]
	v_fma_f64 v[159:160], v[6:7], v[14:15], -v[16:17]
	ds_load_b128 v[6:9], v1 offset:1328
	s_wait_loadcnt_dscnt 0x801
	v_mul_f64_e32 v[155:156], v[2:3], v[20:21]
	v_mul_f64_e32 v[20:21], v[4:5], v[20:21]
	scratch_load_b128 v[14:17], off, off offset:688
	v_add_f64_e32 v[149:150], v[149:150], v[161:162]
	v_add_f64_e32 v[151:152], v[151:152], v[157:158]
	s_wait_loadcnt_dscnt 0x800
	v_mul_f64_e32 v[157:158], v[6:7], v[24:25]
	v_mul_f64_e32 v[24:25], v[8:9], v[24:25]
	v_fma_f64 v[155:156], v[4:5], v[18:19], v[155:156]
	v_fma_f64 v[161:162], v[2:3], v[18:19], -v[20:21]
	ds_load_b128 v[2:5], v1 offset:1344
	scratch_load_b128 v[18:21], off, off offset:704
	v_add_f64_e32 v[149:150], v[149:150], v[159:160]
	v_add_f64_e32 v[151:152], v[151:152], v[153:154]
	v_fma_f64 v[157:158], v[8:9], v[22:23], v[157:158]
	v_fma_f64 v[159:160], v[6:7], v[22:23], -v[24:25]
	ds_load_b128 v[6:9], v1 offset:1360
	s_wait_loadcnt_dscnt 0x801
	v_mul_f64_e32 v[153:154], v[2:3], v[28:29]
	v_mul_f64_e32 v[28:29], v[4:5], v[28:29]
	scratch_load_b128 v[22:25], off, off offset:720
	v_add_f64_e32 v[149:150], v[149:150], v[161:162]
	v_add_f64_e32 v[151:152], v[151:152], v[155:156]
	s_wait_loadcnt_dscnt 0x800
	v_mul_f64_e32 v[155:156], v[6:7], v[32:33]
	v_mul_f64_e32 v[32:33], v[8:9], v[32:33]
	v_fma_f64 v[153:154], v[4:5], v[26:27], v[153:154]
	v_fma_f64 v[161:162], v[2:3], v[26:27], -v[28:29]
	ds_load_b128 v[2:5], v1 offset:1376
	scratch_load_b128 v[26:29], off, off offset:736
	;; [unrolled: 18-line block ×3, first 2 shown]
	v_add_f64_e32 v[149:150], v[149:150], v[159:160]
	v_add_f64_e32 v[151:152], v[151:152], v[155:156]
	v_fma_f64 v[153:154], v[8:9], v[145:146], v[153:154]
	v_fma_f64 v[159:160], v[6:7], v[145:146], -v[147:148]
	ds_load_b128 v[6:9], v1 offset:1424
	s_wait_loadcnt_dscnt 0x801
	v_mul_f64_e32 v[155:156], v[2:3], v[36:37]
	v_mul_f64_e32 v[36:37], v[4:5], v[36:37]
	scratch_load_b128 v[145:148], off, off offset:784
	v_add_f64_e32 v[149:150], v[149:150], v[161:162]
	v_add_f64_e32 v[151:152], v[151:152], v[157:158]
	v_fma_f64 v[155:156], v[4:5], v[34:35], v[155:156]
	v_fma_f64 v[34:35], v[2:3], v[34:35], -v[36:37]
	ds_load_b128 v[2:5], v1 offset:1440
	v_add_f64_e32 v[36:37], v[149:150], v[159:160]
	v_add_f64_e32 v[149:150], v[151:152], v[153:154]
	s_wait_loadcnt_dscnt 0x700
	v_mul_f64_e32 v[151:152], v[2:3], v[12:13]
	v_mul_f64_e32 v[12:13], v[4:5], v[12:13]
	s_delay_alu instid0(VALU_DEP_4) | instskip(NEXT) | instid1(VALU_DEP_4)
	v_add_f64_e32 v[34:35], v[36:37], v[34:35]
	v_add_f64_e32 v[36:37], v[149:150], v[155:156]
	s_delay_alu instid0(VALU_DEP_4) | instskip(NEXT) | instid1(VALU_DEP_4)
	v_fma_f64 v[149:150], v[4:5], v[10:11], v[151:152]
	v_fma_f64 v[151:152], v[2:3], v[10:11], -v[12:13]
	scratch_load_b128 v[10:13], off, off offset:304
	v_mul_f64_e32 v[157:158], v[6:7], v[143:144]
	v_mul_f64_e32 v[143:144], v[8:9], v[143:144]
	ds_load_b128 v[2:5], v1 offset:1472
	v_fma_f64 v[153:154], v[8:9], v[141:142], v[157:158]
	v_fma_f64 v[141:142], v[6:7], v[141:142], -v[143:144]
	ds_load_b128 v[6:9], v1 offset:1456
	s_wait_loadcnt_dscnt 0x700
	v_mul_f64_e32 v[143:144], v[6:7], v[16:17]
	v_mul_f64_e32 v[16:17], v[8:9], v[16:17]
	v_add_f64_e32 v[36:37], v[36:37], v[153:154]
	v_add_f64_e32 v[34:35], v[34:35], v[141:142]
	s_wait_loadcnt 0x6
	v_mul_f64_e32 v[141:142], v[2:3], v[20:21]
	v_mul_f64_e32 v[20:21], v[4:5], v[20:21]
	v_fma_f64 v[143:144], v[8:9], v[14:15], v[143:144]
	v_fma_f64 v[14:15], v[6:7], v[14:15], -v[16:17]
	ds_load_b128 v[6:9], v1 offset:1488
	v_add_f64_e32 v[16:17], v[34:35], v[151:152]
	v_add_f64_e32 v[34:35], v[36:37], v[149:150]
	v_fma_f64 v[141:142], v[4:5], v[18:19], v[141:142]
	v_fma_f64 v[18:19], v[2:3], v[18:19], -v[20:21]
	ds_load_b128 v[2:5], v1 offset:1504
	s_wait_loadcnt_dscnt 0x501
	v_mul_f64_e32 v[36:37], v[6:7], v[24:25]
	v_mul_f64_e32 v[24:25], v[8:9], v[24:25]
	s_wait_loadcnt_dscnt 0x400
	v_mul_f64_e32 v[20:21], v[2:3], v[28:29]
	v_mul_f64_e32 v[28:29], v[4:5], v[28:29]
	v_add_f64_e32 v[14:15], v[16:17], v[14:15]
	v_add_f64_e32 v[16:17], v[34:35], v[143:144]
	v_fma_f64 v[34:35], v[8:9], v[22:23], v[36:37]
	v_fma_f64 v[22:23], v[6:7], v[22:23], -v[24:25]
	ds_load_b128 v[6:9], v1 offset:1520
	v_fma_f64 v[20:21], v[4:5], v[26:27], v[20:21]
	v_fma_f64 v[26:27], v[2:3], v[26:27], -v[28:29]
	ds_load_b128 v[2:5], v1 offset:1536
	s_wait_loadcnt_dscnt 0x301
	v_mul_f64_e32 v[24:25], v[8:9], v[32:33]
	v_add_f64_e32 v[14:15], v[14:15], v[18:19]
	v_add_f64_e32 v[16:17], v[16:17], v[141:142]
	v_mul_f64_e32 v[18:19], v[6:7], v[32:33]
	s_wait_loadcnt_dscnt 0x200
	v_mul_f64_e32 v[28:29], v[4:5], v[40:41]
	v_fma_f64 v[24:25], v[6:7], v[30:31], -v[24:25]
	v_add_f64_e32 v[14:15], v[14:15], v[22:23]
	v_add_f64_e32 v[16:17], v[16:17], v[34:35]
	v_mul_f64_e32 v[22:23], v[2:3], v[40:41]
	v_fma_f64 v[18:19], v[8:9], v[30:31], v[18:19]
	ds_load_b128 v[6:9], v1 offset:1552
	v_fma_f64 v[1:2], v[2:3], v[38:39], -v[28:29]
	v_add_f64_e32 v[14:15], v[14:15], v[26:27]
	v_add_f64_e32 v[16:17], v[16:17], v[20:21]
	s_wait_loadcnt_dscnt 0x100
	v_mul_f64_e32 v[20:21], v[6:7], v[147:148]
	v_mul_f64_e32 v[26:27], v[8:9], v[147:148]
	v_fma_f64 v[4:5], v[4:5], v[38:39], v[22:23]
	v_add_f64_e32 v[14:15], v[14:15], v[24:25]
	v_add_f64_e32 v[16:17], v[16:17], v[18:19]
	v_fma_f64 v[8:9], v[8:9], v[145:146], v[20:21]
	v_fma_f64 v[6:7], v[6:7], v[145:146], -v[26:27]
	s_delay_alu instid0(VALU_DEP_4) | instskip(NEXT) | instid1(VALU_DEP_4)
	v_add_f64_e32 v[1:2], v[14:15], v[1:2]
	v_add_f64_e32 v[3:4], v[16:17], v[4:5]
	s_delay_alu instid0(VALU_DEP_2) | instskip(NEXT) | instid1(VALU_DEP_2)
	v_add_f64_e32 v[1:2], v[1:2], v[6:7]
	v_add_f64_e32 v[3:4], v[3:4], v[8:9]
	s_wait_loadcnt 0x0
	s_delay_alu instid0(VALU_DEP_2) | instskip(NEXT) | instid1(VALU_DEP_2)
	v_add_f64_e64 v[1:2], v[10:11], -v[1:2]
	v_add_f64_e64 v[3:4], v[12:13], -v[3:4]
	scratch_store_b128 off, v[1:4], off offset:304
	v_cmpx_lt_u32_e32 17, v0
	s_cbranch_execz .LBB48_273
; %bb.272:
	scratch_load_b128 v[1:4], off, s45
	v_mov_b32_e32 v5, 0
	s_delay_alu instid0(VALU_DEP_1)
	v_dual_mov_b32 v6, v5 :: v_dual_mov_b32 v7, v5
	v_mov_b32_e32 v8, v5
	scratch_store_b128 off, v[5:8], off offset:288
	s_wait_loadcnt 0x0
	ds_store_b128 v140, v[1:4]
.LBB48_273:
	s_wait_alu 0xfffe
	s_or_b32 exec_lo, exec_lo, s0
	s_wait_storecnt_dscnt 0x0
	s_barrier_signal -1
	s_barrier_wait -1
	global_inv scope:SCOPE_SE
	s_clause 0x7
	scratch_load_b128 v[2:5], off, off offset:304
	scratch_load_b128 v[6:9], off, off offset:320
	;; [unrolled: 1-line block ×8, first 2 shown]
	v_mov_b32_e32 v1, 0
	s_clause 0x1
	scratch_load_b128 v[38:41], off, off offset:432
	scratch_load_b128 v[145:148], off, off offset:448
	s_mov_b32 s0, exec_lo
	ds_load_b128 v[34:37], v1 offset:1072
	ds_load_b128 v[141:144], v1 offset:1088
	s_wait_loadcnt_dscnt 0x901
	v_mul_f64_e32 v[149:150], v[36:37], v[4:5]
	v_mul_f64_e32 v[4:5], v[34:35], v[4:5]
	s_wait_loadcnt_dscnt 0x800
	v_mul_f64_e32 v[151:152], v[141:142], v[8:9]
	v_mul_f64_e32 v[8:9], v[143:144], v[8:9]
	s_delay_alu instid0(VALU_DEP_4) | instskip(NEXT) | instid1(VALU_DEP_4)
	v_fma_f64 v[149:150], v[34:35], v[2:3], -v[149:150]
	v_fma_f64 v[153:154], v[36:37], v[2:3], v[4:5]
	ds_load_b128 v[2:5], v1 offset:1104
	scratch_load_b128 v[34:37], off, off offset:464
	v_fma_f64 v[151:152], v[143:144], v[6:7], v[151:152]
	v_fma_f64 v[157:158], v[141:142], v[6:7], -v[8:9]
	ds_load_b128 v[6:9], v1 offset:1120
	scratch_load_b128 v[141:144], off, off offset:480
	s_wait_loadcnt_dscnt 0x901
	v_mul_f64_e32 v[155:156], v[2:3], v[12:13]
	v_mul_f64_e32 v[12:13], v[4:5], v[12:13]
	s_wait_loadcnt_dscnt 0x800
	v_mul_f64_e32 v[159:160], v[6:7], v[16:17]
	v_mul_f64_e32 v[16:17], v[8:9], v[16:17]
	v_add_f64_e32 v[149:150], 0, v[149:150]
	v_add_f64_e32 v[153:154], 0, v[153:154]
	v_fma_f64 v[155:156], v[4:5], v[10:11], v[155:156]
	v_fma_f64 v[161:162], v[2:3], v[10:11], -v[12:13]
	ds_load_b128 v[2:5], v1 offset:1136
	scratch_load_b128 v[10:13], off, off offset:496
	v_add_f64_e32 v[149:150], v[149:150], v[157:158]
	v_add_f64_e32 v[151:152], v[153:154], v[151:152]
	v_fma_f64 v[157:158], v[8:9], v[14:15], v[159:160]
	v_fma_f64 v[159:160], v[6:7], v[14:15], -v[16:17]
	ds_load_b128 v[6:9], v1 offset:1152
	scratch_load_b128 v[14:17], off, off offset:512
	s_wait_loadcnt_dscnt 0x901
	v_mul_f64_e32 v[153:154], v[2:3], v[20:21]
	v_mul_f64_e32 v[20:21], v[4:5], v[20:21]
	v_add_f64_e32 v[149:150], v[149:150], v[161:162]
	v_add_f64_e32 v[151:152], v[151:152], v[155:156]
	s_wait_loadcnt_dscnt 0x800
	v_mul_f64_e32 v[155:156], v[6:7], v[24:25]
	v_mul_f64_e32 v[24:25], v[8:9], v[24:25]
	v_fma_f64 v[153:154], v[4:5], v[18:19], v[153:154]
	v_fma_f64 v[161:162], v[2:3], v[18:19], -v[20:21]
	ds_load_b128 v[2:5], v1 offset:1168
	scratch_load_b128 v[18:21], off, off offset:528
	v_add_f64_e32 v[149:150], v[149:150], v[159:160]
	v_add_f64_e32 v[151:152], v[151:152], v[157:158]
	v_fma_f64 v[155:156], v[8:9], v[22:23], v[155:156]
	v_fma_f64 v[159:160], v[6:7], v[22:23], -v[24:25]
	ds_load_b128 v[6:9], v1 offset:1184
	s_wait_loadcnt_dscnt 0x801
	v_mul_f64_e32 v[157:158], v[2:3], v[28:29]
	v_mul_f64_e32 v[28:29], v[4:5], v[28:29]
	scratch_load_b128 v[22:25], off, off offset:544
	v_add_f64_e32 v[149:150], v[149:150], v[161:162]
	v_add_f64_e32 v[151:152], v[151:152], v[153:154]
	s_wait_loadcnt_dscnt 0x800
	v_mul_f64_e32 v[153:154], v[6:7], v[32:33]
	v_mul_f64_e32 v[32:33], v[8:9], v[32:33]
	v_fma_f64 v[157:158], v[4:5], v[26:27], v[157:158]
	v_fma_f64 v[161:162], v[2:3], v[26:27], -v[28:29]
	ds_load_b128 v[2:5], v1 offset:1200
	scratch_load_b128 v[26:29], off, off offset:560
	v_add_f64_e32 v[149:150], v[149:150], v[159:160]
	v_add_f64_e32 v[151:152], v[151:152], v[155:156]
	v_fma_f64 v[153:154], v[8:9], v[30:31], v[153:154]
	v_fma_f64 v[159:160], v[6:7], v[30:31], -v[32:33]
	ds_load_b128 v[6:9], v1 offset:1216
	s_wait_loadcnt_dscnt 0x801
	v_mul_f64_e32 v[155:156], v[2:3], v[40:41]
	v_mul_f64_e32 v[40:41], v[4:5], v[40:41]
	scratch_load_b128 v[30:33], off, off offset:576
	v_add_f64_e32 v[149:150], v[149:150], v[161:162]
	v_add_f64_e32 v[151:152], v[151:152], v[157:158]
	s_wait_loadcnt_dscnt 0x800
	v_mul_f64_e32 v[157:158], v[6:7], v[147:148]
	v_mul_f64_e32 v[147:148], v[8:9], v[147:148]
	v_fma_f64 v[155:156], v[4:5], v[38:39], v[155:156]
	v_fma_f64 v[161:162], v[2:3], v[38:39], -v[40:41]
	ds_load_b128 v[2:5], v1 offset:1232
	scratch_load_b128 v[38:41], off, off offset:592
	v_add_f64_e32 v[149:150], v[149:150], v[159:160]
	v_add_f64_e32 v[151:152], v[151:152], v[153:154]
	v_fma_f64 v[157:158], v[8:9], v[145:146], v[157:158]
	v_fma_f64 v[159:160], v[6:7], v[145:146], -v[147:148]
	ds_load_b128 v[6:9], v1 offset:1248
	scratch_load_b128 v[145:148], off, off offset:608
	s_wait_loadcnt_dscnt 0x901
	v_mul_f64_e32 v[153:154], v[2:3], v[36:37]
	v_mul_f64_e32 v[36:37], v[4:5], v[36:37]
	v_add_f64_e32 v[149:150], v[149:150], v[161:162]
	v_add_f64_e32 v[151:152], v[151:152], v[155:156]
	s_wait_loadcnt_dscnt 0x800
	v_mul_f64_e32 v[155:156], v[6:7], v[143:144]
	v_mul_f64_e32 v[143:144], v[8:9], v[143:144]
	v_fma_f64 v[153:154], v[4:5], v[34:35], v[153:154]
	v_fma_f64 v[161:162], v[2:3], v[34:35], -v[36:37]
	ds_load_b128 v[2:5], v1 offset:1264
	scratch_load_b128 v[34:37], off, off offset:624
	v_add_f64_e32 v[149:150], v[149:150], v[159:160]
	v_add_f64_e32 v[151:152], v[151:152], v[157:158]
	v_fma_f64 v[155:156], v[8:9], v[141:142], v[155:156]
	v_fma_f64 v[159:160], v[6:7], v[141:142], -v[143:144]
	ds_load_b128 v[6:9], v1 offset:1280
	s_wait_loadcnt_dscnt 0x801
	v_mul_f64_e32 v[157:158], v[2:3], v[12:13]
	v_mul_f64_e32 v[12:13], v[4:5], v[12:13]
	scratch_load_b128 v[141:144], off, off offset:640
	v_add_f64_e32 v[149:150], v[149:150], v[161:162]
	v_add_f64_e32 v[151:152], v[151:152], v[153:154]
	s_wait_loadcnt_dscnt 0x800
	v_mul_f64_e32 v[153:154], v[6:7], v[16:17]
	v_mul_f64_e32 v[16:17], v[8:9], v[16:17]
	v_fma_f64 v[157:158], v[4:5], v[10:11], v[157:158]
	v_fma_f64 v[161:162], v[2:3], v[10:11], -v[12:13]
	ds_load_b128 v[2:5], v1 offset:1296
	scratch_load_b128 v[10:13], off, off offset:656
	v_add_f64_e32 v[149:150], v[149:150], v[159:160]
	v_add_f64_e32 v[151:152], v[151:152], v[155:156]
	v_fma_f64 v[153:154], v[8:9], v[14:15], v[153:154]
	v_fma_f64 v[159:160], v[6:7], v[14:15], -v[16:17]
	ds_load_b128 v[6:9], v1 offset:1312
	s_wait_loadcnt_dscnt 0x801
	v_mul_f64_e32 v[155:156], v[2:3], v[20:21]
	v_mul_f64_e32 v[20:21], v[4:5], v[20:21]
	scratch_load_b128 v[14:17], off, off offset:672
	;; [unrolled: 18-line block ×5, first 2 shown]
	v_add_f64_e32 v[149:150], v[149:150], v[161:162]
	v_add_f64_e32 v[151:152], v[151:152], v[157:158]
	s_wait_loadcnt_dscnt 0x800
	v_mul_f64_e32 v[157:158], v[6:7], v[143:144]
	v_mul_f64_e32 v[143:144], v[8:9], v[143:144]
	v_fma_f64 v[155:156], v[4:5], v[34:35], v[155:156]
	v_fma_f64 v[161:162], v[2:3], v[34:35], -v[36:37]
	ds_load_b128 v[2:5], v1 offset:1424
	scratch_load_b128 v[34:37], off, off offset:784
	v_add_f64_e32 v[149:150], v[149:150], v[159:160]
	v_add_f64_e32 v[151:152], v[151:152], v[153:154]
	v_fma_f64 v[157:158], v[8:9], v[141:142], v[157:158]
	v_fma_f64 v[141:142], v[6:7], v[141:142], -v[143:144]
	ds_load_b128 v[6:9], v1 offset:1440
	s_wait_loadcnt_dscnt 0x801
	v_mul_f64_e32 v[153:154], v[2:3], v[12:13]
	v_mul_f64_e32 v[12:13], v[4:5], v[12:13]
	v_add_f64_e32 v[143:144], v[149:150], v[161:162]
	v_add_f64_e32 v[149:150], v[151:152], v[155:156]
	s_wait_loadcnt_dscnt 0x700
	v_mul_f64_e32 v[151:152], v[6:7], v[16:17]
	v_mul_f64_e32 v[16:17], v[8:9], v[16:17]
	v_fma_f64 v[153:154], v[4:5], v[10:11], v[153:154]
	v_fma_f64 v[10:11], v[2:3], v[10:11], -v[12:13]
	ds_load_b128 v[2:5], v1 offset:1456
	v_add_f64_e32 v[12:13], v[143:144], v[141:142]
	v_add_f64_e32 v[141:142], v[149:150], v[157:158]
	v_fma_f64 v[149:150], v[8:9], v[14:15], v[151:152]
	v_fma_f64 v[14:15], v[6:7], v[14:15], -v[16:17]
	ds_load_b128 v[6:9], v1 offset:1472
	s_wait_loadcnt_dscnt 0x500
	v_mul_f64_e32 v[151:152], v[6:7], v[24:25]
	v_mul_f64_e32 v[24:25], v[8:9], v[24:25]
	v_add_f64_e32 v[16:17], v[12:13], v[10:11]
	v_add_f64_e32 v[141:142], v[141:142], v[153:154]
	scratch_load_b128 v[10:13], off, off offset:288
	v_mul_f64_e32 v[143:144], v[2:3], v[20:21]
	v_mul_f64_e32 v[20:21], v[4:5], v[20:21]
	v_add_f64_e32 v[14:15], v[16:17], v[14:15]
	v_add_f64_e32 v[16:17], v[141:142], v[149:150]
	v_fma_f64 v[141:142], v[8:9], v[22:23], v[151:152]
	v_fma_f64 v[143:144], v[4:5], v[18:19], v[143:144]
	v_fma_f64 v[18:19], v[2:3], v[18:19], -v[20:21]
	ds_load_b128 v[2:5], v1 offset:1488
	v_fma_f64 v[22:23], v[6:7], v[22:23], -v[24:25]
	ds_load_b128 v[6:9], v1 offset:1504
	s_wait_loadcnt_dscnt 0x501
	v_mul_f64_e32 v[20:21], v[2:3], v[28:29]
	v_mul_f64_e32 v[28:29], v[4:5], v[28:29]
	s_wait_loadcnt_dscnt 0x400
	v_mul_f64_e32 v[24:25], v[8:9], v[32:33]
	v_add_f64_e32 v[16:17], v[16:17], v[143:144]
	v_add_f64_e32 v[14:15], v[14:15], v[18:19]
	v_mul_f64_e32 v[18:19], v[6:7], v[32:33]
	v_fma_f64 v[20:21], v[4:5], v[26:27], v[20:21]
	v_fma_f64 v[26:27], v[2:3], v[26:27], -v[28:29]
	ds_load_b128 v[2:5], v1 offset:1520
	v_fma_f64 v[24:25], v[6:7], v[30:31], -v[24:25]
	v_add_f64_e32 v[16:17], v[16:17], v[141:142]
	v_add_f64_e32 v[14:15], v[14:15], v[22:23]
	v_fma_f64 v[18:19], v[8:9], v[30:31], v[18:19]
	ds_load_b128 v[6:9], v1 offset:1536
	s_wait_loadcnt_dscnt 0x301
	v_mul_f64_e32 v[22:23], v[2:3], v[40:41]
	v_mul_f64_e32 v[28:29], v[4:5], v[40:41]
	v_add_f64_e32 v[16:17], v[16:17], v[20:21]
	v_add_f64_e32 v[14:15], v[14:15], v[26:27]
	s_wait_loadcnt_dscnt 0x200
	v_mul_f64_e32 v[20:21], v[6:7], v[147:148]
	v_mul_f64_e32 v[26:27], v[8:9], v[147:148]
	v_fma_f64 v[22:23], v[4:5], v[38:39], v[22:23]
	v_fma_f64 v[28:29], v[2:3], v[38:39], -v[28:29]
	ds_load_b128 v[2:5], v1 offset:1552
	v_add_f64_e32 v[16:17], v[16:17], v[18:19]
	v_add_f64_e32 v[14:15], v[14:15], v[24:25]
	s_wait_loadcnt_dscnt 0x100
	v_mul_f64_e32 v[18:19], v[2:3], v[36:37]
	v_mul_f64_e32 v[24:25], v[4:5], v[36:37]
	v_fma_f64 v[8:9], v[8:9], v[145:146], v[20:21]
	v_fma_f64 v[6:7], v[6:7], v[145:146], -v[26:27]
	v_add_f64_e32 v[16:17], v[16:17], v[22:23]
	v_add_f64_e32 v[14:15], v[14:15], v[28:29]
	v_fma_f64 v[4:5], v[4:5], v[34:35], v[18:19]
	v_fma_f64 v[2:3], v[2:3], v[34:35], -v[24:25]
	s_delay_alu instid0(VALU_DEP_4) | instskip(NEXT) | instid1(VALU_DEP_4)
	v_add_f64_e32 v[8:9], v[16:17], v[8:9]
	v_add_f64_e32 v[6:7], v[14:15], v[6:7]
	s_delay_alu instid0(VALU_DEP_2) | instskip(NEXT) | instid1(VALU_DEP_2)
	v_add_f64_e32 v[4:5], v[8:9], v[4:5]
	v_add_f64_e32 v[2:3], v[6:7], v[2:3]
	s_wait_loadcnt 0x0
	s_delay_alu instid0(VALU_DEP_2) | instskip(NEXT) | instid1(VALU_DEP_2)
	v_add_f64_e64 v[4:5], v[12:13], -v[4:5]
	v_add_f64_e64 v[2:3], v[10:11], -v[2:3]
	scratch_store_b128 off, v[2:5], off offset:288
	v_cmpx_lt_u32_e32 16, v0
	s_cbranch_execz .LBB48_275
; %bb.274:
	scratch_load_b128 v[5:8], off, s46
	v_dual_mov_b32 v2, v1 :: v_dual_mov_b32 v3, v1
	v_mov_b32_e32 v4, v1
	scratch_store_b128 off, v[1:4], off offset:272
	s_wait_loadcnt 0x0
	ds_store_b128 v140, v[5:8]
.LBB48_275:
	s_wait_alu 0xfffe
	s_or_b32 exec_lo, exec_lo, s0
	s_wait_storecnt_dscnt 0x0
	s_barrier_signal -1
	s_barrier_wait -1
	global_inv scope:SCOPE_SE
	s_clause 0x7
	scratch_load_b128 v[2:5], off, off offset:288
	scratch_load_b128 v[6:9], off, off offset:304
	;; [unrolled: 1-line block ×8, first 2 shown]
	ds_load_b128 v[34:37], v1 offset:1056
	ds_load_b128 v[141:144], v1 offset:1072
	s_clause 0x1
	scratch_load_b128 v[38:41], off, off offset:416
	scratch_load_b128 v[145:148], off, off offset:432
	s_mov_b32 s0, exec_lo
	s_wait_loadcnt_dscnt 0x901
	v_mul_f64_e32 v[149:150], v[36:37], v[4:5]
	v_mul_f64_e32 v[4:5], v[34:35], v[4:5]
	s_wait_loadcnt_dscnt 0x800
	v_mul_f64_e32 v[151:152], v[141:142], v[8:9]
	v_mul_f64_e32 v[8:9], v[143:144], v[8:9]
	s_delay_alu instid0(VALU_DEP_4) | instskip(NEXT) | instid1(VALU_DEP_4)
	v_fma_f64 v[149:150], v[34:35], v[2:3], -v[149:150]
	v_fma_f64 v[153:154], v[36:37], v[2:3], v[4:5]
	ds_load_b128 v[2:5], v1 offset:1088
	scratch_load_b128 v[34:37], off, off offset:448
	v_fma_f64 v[151:152], v[143:144], v[6:7], v[151:152]
	v_fma_f64 v[157:158], v[141:142], v[6:7], -v[8:9]
	ds_load_b128 v[6:9], v1 offset:1104
	scratch_load_b128 v[141:144], off, off offset:464
	s_wait_loadcnt_dscnt 0x901
	v_mul_f64_e32 v[155:156], v[2:3], v[12:13]
	v_mul_f64_e32 v[12:13], v[4:5], v[12:13]
	s_wait_loadcnt_dscnt 0x800
	v_mul_f64_e32 v[159:160], v[6:7], v[16:17]
	v_mul_f64_e32 v[16:17], v[8:9], v[16:17]
	v_add_f64_e32 v[149:150], 0, v[149:150]
	v_add_f64_e32 v[153:154], 0, v[153:154]
	v_fma_f64 v[155:156], v[4:5], v[10:11], v[155:156]
	v_fma_f64 v[161:162], v[2:3], v[10:11], -v[12:13]
	ds_load_b128 v[2:5], v1 offset:1120
	scratch_load_b128 v[10:13], off, off offset:480
	v_add_f64_e32 v[149:150], v[149:150], v[157:158]
	v_add_f64_e32 v[151:152], v[153:154], v[151:152]
	v_fma_f64 v[157:158], v[8:9], v[14:15], v[159:160]
	v_fma_f64 v[159:160], v[6:7], v[14:15], -v[16:17]
	ds_load_b128 v[6:9], v1 offset:1136
	scratch_load_b128 v[14:17], off, off offset:496
	s_wait_loadcnt_dscnt 0x901
	v_mul_f64_e32 v[153:154], v[2:3], v[20:21]
	v_mul_f64_e32 v[20:21], v[4:5], v[20:21]
	v_add_f64_e32 v[149:150], v[149:150], v[161:162]
	v_add_f64_e32 v[151:152], v[151:152], v[155:156]
	s_wait_loadcnt_dscnt 0x800
	v_mul_f64_e32 v[155:156], v[6:7], v[24:25]
	v_mul_f64_e32 v[24:25], v[8:9], v[24:25]
	v_fma_f64 v[153:154], v[4:5], v[18:19], v[153:154]
	v_fma_f64 v[161:162], v[2:3], v[18:19], -v[20:21]
	ds_load_b128 v[2:5], v1 offset:1152
	scratch_load_b128 v[18:21], off, off offset:512
	v_add_f64_e32 v[149:150], v[149:150], v[159:160]
	v_add_f64_e32 v[151:152], v[151:152], v[157:158]
	v_fma_f64 v[155:156], v[8:9], v[22:23], v[155:156]
	v_fma_f64 v[159:160], v[6:7], v[22:23], -v[24:25]
	ds_load_b128 v[6:9], v1 offset:1168
	s_wait_loadcnt_dscnt 0x801
	v_mul_f64_e32 v[157:158], v[2:3], v[28:29]
	v_mul_f64_e32 v[28:29], v[4:5], v[28:29]
	scratch_load_b128 v[22:25], off, off offset:528
	v_add_f64_e32 v[149:150], v[149:150], v[161:162]
	v_add_f64_e32 v[151:152], v[151:152], v[153:154]
	s_wait_loadcnt_dscnt 0x800
	v_mul_f64_e32 v[153:154], v[6:7], v[32:33]
	v_mul_f64_e32 v[32:33], v[8:9], v[32:33]
	v_fma_f64 v[157:158], v[4:5], v[26:27], v[157:158]
	v_fma_f64 v[161:162], v[2:3], v[26:27], -v[28:29]
	ds_load_b128 v[2:5], v1 offset:1184
	scratch_load_b128 v[26:29], off, off offset:544
	v_add_f64_e32 v[149:150], v[149:150], v[159:160]
	v_add_f64_e32 v[151:152], v[151:152], v[155:156]
	v_fma_f64 v[153:154], v[8:9], v[30:31], v[153:154]
	v_fma_f64 v[159:160], v[6:7], v[30:31], -v[32:33]
	ds_load_b128 v[6:9], v1 offset:1200
	s_wait_loadcnt_dscnt 0x801
	v_mul_f64_e32 v[155:156], v[2:3], v[40:41]
	v_mul_f64_e32 v[40:41], v[4:5], v[40:41]
	scratch_load_b128 v[30:33], off, off offset:560
	v_add_f64_e32 v[149:150], v[149:150], v[161:162]
	v_add_f64_e32 v[151:152], v[151:152], v[157:158]
	s_wait_loadcnt_dscnt 0x800
	v_mul_f64_e32 v[157:158], v[6:7], v[147:148]
	v_mul_f64_e32 v[147:148], v[8:9], v[147:148]
	v_fma_f64 v[155:156], v[4:5], v[38:39], v[155:156]
	v_fma_f64 v[161:162], v[2:3], v[38:39], -v[40:41]
	ds_load_b128 v[2:5], v1 offset:1216
	scratch_load_b128 v[38:41], off, off offset:576
	v_add_f64_e32 v[149:150], v[149:150], v[159:160]
	v_add_f64_e32 v[151:152], v[151:152], v[153:154]
	v_fma_f64 v[157:158], v[8:9], v[145:146], v[157:158]
	v_fma_f64 v[159:160], v[6:7], v[145:146], -v[147:148]
	ds_load_b128 v[6:9], v1 offset:1232
	scratch_load_b128 v[145:148], off, off offset:592
	s_wait_loadcnt_dscnt 0x901
	v_mul_f64_e32 v[153:154], v[2:3], v[36:37]
	v_mul_f64_e32 v[36:37], v[4:5], v[36:37]
	v_add_f64_e32 v[149:150], v[149:150], v[161:162]
	v_add_f64_e32 v[151:152], v[151:152], v[155:156]
	s_wait_loadcnt_dscnt 0x800
	v_mul_f64_e32 v[155:156], v[6:7], v[143:144]
	v_mul_f64_e32 v[143:144], v[8:9], v[143:144]
	v_fma_f64 v[153:154], v[4:5], v[34:35], v[153:154]
	v_fma_f64 v[161:162], v[2:3], v[34:35], -v[36:37]
	ds_load_b128 v[2:5], v1 offset:1248
	scratch_load_b128 v[34:37], off, off offset:608
	v_add_f64_e32 v[149:150], v[149:150], v[159:160]
	v_add_f64_e32 v[151:152], v[151:152], v[157:158]
	v_fma_f64 v[155:156], v[8:9], v[141:142], v[155:156]
	v_fma_f64 v[159:160], v[6:7], v[141:142], -v[143:144]
	ds_load_b128 v[6:9], v1 offset:1264
	s_wait_loadcnt_dscnt 0x801
	v_mul_f64_e32 v[157:158], v[2:3], v[12:13]
	v_mul_f64_e32 v[12:13], v[4:5], v[12:13]
	scratch_load_b128 v[141:144], off, off offset:624
	v_add_f64_e32 v[149:150], v[149:150], v[161:162]
	v_add_f64_e32 v[151:152], v[151:152], v[153:154]
	s_wait_loadcnt_dscnt 0x800
	v_mul_f64_e32 v[153:154], v[6:7], v[16:17]
	v_mul_f64_e32 v[16:17], v[8:9], v[16:17]
	v_fma_f64 v[157:158], v[4:5], v[10:11], v[157:158]
	v_fma_f64 v[161:162], v[2:3], v[10:11], -v[12:13]
	ds_load_b128 v[2:5], v1 offset:1280
	scratch_load_b128 v[10:13], off, off offset:640
	v_add_f64_e32 v[149:150], v[149:150], v[159:160]
	v_add_f64_e32 v[151:152], v[151:152], v[155:156]
	v_fma_f64 v[153:154], v[8:9], v[14:15], v[153:154]
	v_fma_f64 v[159:160], v[6:7], v[14:15], -v[16:17]
	ds_load_b128 v[6:9], v1 offset:1296
	s_wait_loadcnt_dscnt 0x801
	v_mul_f64_e32 v[155:156], v[2:3], v[20:21]
	v_mul_f64_e32 v[20:21], v[4:5], v[20:21]
	scratch_load_b128 v[14:17], off, off offset:656
	;; [unrolled: 18-line block ×6, first 2 shown]
	v_add_f64_e32 v[149:150], v[149:150], v[161:162]
	v_add_f64_e32 v[151:152], v[151:152], v[155:156]
	s_wait_loadcnt_dscnt 0x800
	v_mul_f64_e32 v[155:156], v[6:7], v[16:17]
	v_mul_f64_e32 v[16:17], v[8:9], v[16:17]
	v_fma_f64 v[153:154], v[4:5], v[10:11], v[153:154]
	v_fma_f64 v[10:11], v[2:3], v[10:11], -v[12:13]
	ds_load_b128 v[2:5], v1 offset:1440
	v_add_f64_e32 v[12:13], v[149:150], v[159:160]
	v_add_f64_e32 v[149:150], v[151:152], v[157:158]
	v_fma_f64 v[155:156], v[8:9], v[14:15], v[155:156]
	v_fma_f64 v[14:15], v[6:7], v[14:15], -v[16:17]
	ds_load_b128 v[6:9], v1 offset:1456
	s_wait_loadcnt_dscnt 0x701
	v_mul_f64_e32 v[151:152], v[2:3], v[20:21]
	v_mul_f64_e32 v[20:21], v[4:5], v[20:21]
	v_add_f64_e32 v[10:11], v[12:13], v[10:11]
	v_add_f64_e32 v[12:13], v[149:150], v[153:154]
	s_delay_alu instid0(VALU_DEP_4) | instskip(NEXT) | instid1(VALU_DEP_4)
	v_fma_f64 v[149:150], v[4:5], v[18:19], v[151:152]
	v_fma_f64 v[18:19], v[2:3], v[18:19], -v[20:21]
	ds_load_b128 v[2:5], v1 offset:1472
	v_add_f64_e32 v[14:15], v[10:11], v[14:15]
	v_add_f64_e32 v[20:21], v[12:13], v[155:156]
	scratch_load_b128 v[10:13], off, off offset:272
	s_wait_loadcnt_dscnt 0x701
	v_mul_f64_e32 v[16:17], v[6:7], v[24:25]
	v_mul_f64_e32 v[24:25], v[8:9], v[24:25]
	v_add_f64_e32 v[14:15], v[14:15], v[18:19]
	v_add_f64_e32 v[18:19], v[20:21], v[149:150]
	s_delay_alu instid0(VALU_DEP_4) | instskip(NEXT) | instid1(VALU_DEP_4)
	v_fma_f64 v[16:17], v[8:9], v[22:23], v[16:17]
	v_fma_f64 v[22:23], v[6:7], v[22:23], -v[24:25]
	ds_load_b128 v[6:9], v1 offset:1488
	s_wait_loadcnt_dscnt 0x601
	v_mul_f64_e32 v[151:152], v[2:3], v[28:29]
	v_mul_f64_e32 v[28:29], v[4:5], v[28:29]
	s_wait_loadcnt_dscnt 0x500
	v_mul_f64_e32 v[20:21], v[6:7], v[32:33]
	v_mul_f64_e32 v[24:25], v[8:9], v[32:33]
	v_add_f64_e32 v[16:17], v[18:19], v[16:17]
	v_add_f64_e32 v[14:15], v[14:15], v[22:23]
	v_fma_f64 v[32:33], v[4:5], v[26:27], v[151:152]
	v_fma_f64 v[26:27], v[2:3], v[26:27], -v[28:29]
	ds_load_b128 v[2:5], v1 offset:1504
	v_fma_f64 v[20:21], v[8:9], v[30:31], v[20:21]
	v_fma_f64 v[24:25], v[6:7], v[30:31], -v[24:25]
	ds_load_b128 v[6:9], v1 offset:1520
	s_wait_loadcnt_dscnt 0x401
	v_mul_f64_e32 v[18:19], v[2:3], v[40:41]
	v_mul_f64_e32 v[22:23], v[4:5], v[40:41]
	v_add_f64_e32 v[16:17], v[16:17], v[32:33]
	v_add_f64_e32 v[14:15], v[14:15], v[26:27]
	s_wait_loadcnt_dscnt 0x300
	v_mul_f64_e32 v[26:27], v[6:7], v[147:148]
	v_mul_f64_e32 v[28:29], v[8:9], v[147:148]
	v_fma_f64 v[18:19], v[4:5], v[38:39], v[18:19]
	v_fma_f64 v[22:23], v[2:3], v[38:39], -v[22:23]
	ds_load_b128 v[2:5], v1 offset:1536
	v_add_f64_e32 v[16:17], v[16:17], v[20:21]
	v_add_f64_e32 v[14:15], v[14:15], v[24:25]
	v_fma_f64 v[26:27], v[8:9], v[145:146], v[26:27]
	v_fma_f64 v[28:29], v[6:7], v[145:146], -v[28:29]
	ds_load_b128 v[6:9], v1 offset:1552
	s_wait_loadcnt_dscnt 0x201
	v_mul_f64_e32 v[20:21], v[2:3], v[36:37]
	v_mul_f64_e32 v[24:25], v[4:5], v[36:37]
	v_add_f64_e32 v[16:17], v[16:17], v[18:19]
	v_add_f64_e32 v[14:15], v[14:15], v[22:23]
	s_wait_loadcnt_dscnt 0x100
	v_mul_f64_e32 v[18:19], v[6:7], v[143:144]
	v_mul_f64_e32 v[22:23], v[8:9], v[143:144]
	v_fma_f64 v[4:5], v[4:5], v[34:35], v[20:21]
	v_fma_f64 v[1:2], v[2:3], v[34:35], -v[24:25]
	v_add_f64_e32 v[16:17], v[16:17], v[26:27]
	v_add_f64_e32 v[14:15], v[14:15], v[28:29]
	v_fma_f64 v[8:9], v[8:9], v[141:142], v[18:19]
	v_fma_f64 v[6:7], v[6:7], v[141:142], -v[22:23]
	s_delay_alu instid0(VALU_DEP_4) | instskip(NEXT) | instid1(VALU_DEP_4)
	v_add_f64_e32 v[3:4], v[16:17], v[4:5]
	v_add_f64_e32 v[1:2], v[14:15], v[1:2]
	s_delay_alu instid0(VALU_DEP_2) | instskip(NEXT) | instid1(VALU_DEP_2)
	v_add_f64_e32 v[3:4], v[3:4], v[8:9]
	v_add_f64_e32 v[1:2], v[1:2], v[6:7]
	s_wait_loadcnt 0x0
	s_delay_alu instid0(VALU_DEP_2) | instskip(NEXT) | instid1(VALU_DEP_2)
	v_add_f64_e64 v[3:4], v[12:13], -v[3:4]
	v_add_f64_e64 v[1:2], v[10:11], -v[1:2]
	scratch_store_b128 off, v[1:4], off offset:272
	v_cmpx_lt_u32_e32 15, v0
	s_cbranch_execz .LBB48_277
; %bb.276:
	scratch_load_b128 v[1:4], off, s47
	v_mov_b32_e32 v5, 0
	s_delay_alu instid0(VALU_DEP_1)
	v_dual_mov_b32 v6, v5 :: v_dual_mov_b32 v7, v5
	v_mov_b32_e32 v8, v5
	scratch_store_b128 off, v[5:8], off offset:256
	s_wait_loadcnt 0x0
	ds_store_b128 v140, v[1:4]
.LBB48_277:
	s_wait_alu 0xfffe
	s_or_b32 exec_lo, exec_lo, s0
	s_wait_storecnt_dscnt 0x0
	s_barrier_signal -1
	s_barrier_wait -1
	global_inv scope:SCOPE_SE
	s_clause 0x7
	scratch_load_b128 v[2:5], off, off offset:272
	scratch_load_b128 v[6:9], off, off offset:288
	;; [unrolled: 1-line block ×8, first 2 shown]
	v_mov_b32_e32 v1, 0
	s_clause 0x1
	scratch_load_b128 v[38:41], off, off offset:400
	scratch_load_b128 v[145:148], off, off offset:416
	s_mov_b32 s0, exec_lo
	ds_load_b128 v[34:37], v1 offset:1040
	ds_load_b128 v[141:144], v1 offset:1056
	s_wait_loadcnt_dscnt 0x901
	v_mul_f64_e32 v[149:150], v[36:37], v[4:5]
	v_mul_f64_e32 v[4:5], v[34:35], v[4:5]
	s_wait_loadcnt_dscnt 0x800
	v_mul_f64_e32 v[151:152], v[141:142], v[8:9]
	v_mul_f64_e32 v[8:9], v[143:144], v[8:9]
	s_delay_alu instid0(VALU_DEP_4) | instskip(NEXT) | instid1(VALU_DEP_4)
	v_fma_f64 v[149:150], v[34:35], v[2:3], -v[149:150]
	v_fma_f64 v[153:154], v[36:37], v[2:3], v[4:5]
	ds_load_b128 v[2:5], v1 offset:1072
	scratch_load_b128 v[34:37], off, off offset:432
	v_fma_f64 v[151:152], v[143:144], v[6:7], v[151:152]
	v_fma_f64 v[157:158], v[141:142], v[6:7], -v[8:9]
	ds_load_b128 v[6:9], v1 offset:1088
	scratch_load_b128 v[141:144], off, off offset:448
	s_wait_loadcnt_dscnt 0x901
	v_mul_f64_e32 v[155:156], v[2:3], v[12:13]
	v_mul_f64_e32 v[12:13], v[4:5], v[12:13]
	s_wait_loadcnt_dscnt 0x800
	v_mul_f64_e32 v[159:160], v[6:7], v[16:17]
	v_mul_f64_e32 v[16:17], v[8:9], v[16:17]
	v_add_f64_e32 v[149:150], 0, v[149:150]
	v_add_f64_e32 v[153:154], 0, v[153:154]
	v_fma_f64 v[155:156], v[4:5], v[10:11], v[155:156]
	v_fma_f64 v[161:162], v[2:3], v[10:11], -v[12:13]
	ds_load_b128 v[2:5], v1 offset:1104
	scratch_load_b128 v[10:13], off, off offset:464
	v_add_f64_e32 v[149:150], v[149:150], v[157:158]
	v_add_f64_e32 v[151:152], v[153:154], v[151:152]
	v_fma_f64 v[157:158], v[8:9], v[14:15], v[159:160]
	v_fma_f64 v[159:160], v[6:7], v[14:15], -v[16:17]
	ds_load_b128 v[6:9], v1 offset:1120
	scratch_load_b128 v[14:17], off, off offset:480
	s_wait_loadcnt_dscnt 0x901
	v_mul_f64_e32 v[153:154], v[2:3], v[20:21]
	v_mul_f64_e32 v[20:21], v[4:5], v[20:21]
	v_add_f64_e32 v[149:150], v[149:150], v[161:162]
	v_add_f64_e32 v[151:152], v[151:152], v[155:156]
	s_wait_loadcnt_dscnt 0x800
	v_mul_f64_e32 v[155:156], v[6:7], v[24:25]
	v_mul_f64_e32 v[24:25], v[8:9], v[24:25]
	v_fma_f64 v[153:154], v[4:5], v[18:19], v[153:154]
	v_fma_f64 v[161:162], v[2:3], v[18:19], -v[20:21]
	ds_load_b128 v[2:5], v1 offset:1136
	scratch_load_b128 v[18:21], off, off offset:496
	v_add_f64_e32 v[149:150], v[149:150], v[159:160]
	v_add_f64_e32 v[151:152], v[151:152], v[157:158]
	v_fma_f64 v[155:156], v[8:9], v[22:23], v[155:156]
	v_fma_f64 v[159:160], v[6:7], v[22:23], -v[24:25]
	ds_load_b128 v[6:9], v1 offset:1152
	s_wait_loadcnt_dscnt 0x801
	v_mul_f64_e32 v[157:158], v[2:3], v[28:29]
	v_mul_f64_e32 v[28:29], v[4:5], v[28:29]
	scratch_load_b128 v[22:25], off, off offset:512
	v_add_f64_e32 v[149:150], v[149:150], v[161:162]
	v_add_f64_e32 v[151:152], v[151:152], v[153:154]
	s_wait_loadcnt_dscnt 0x800
	v_mul_f64_e32 v[153:154], v[6:7], v[32:33]
	v_mul_f64_e32 v[32:33], v[8:9], v[32:33]
	v_fma_f64 v[157:158], v[4:5], v[26:27], v[157:158]
	v_fma_f64 v[161:162], v[2:3], v[26:27], -v[28:29]
	ds_load_b128 v[2:5], v1 offset:1168
	scratch_load_b128 v[26:29], off, off offset:528
	v_add_f64_e32 v[149:150], v[149:150], v[159:160]
	v_add_f64_e32 v[151:152], v[151:152], v[155:156]
	v_fma_f64 v[153:154], v[8:9], v[30:31], v[153:154]
	v_fma_f64 v[159:160], v[6:7], v[30:31], -v[32:33]
	ds_load_b128 v[6:9], v1 offset:1184
	s_wait_loadcnt_dscnt 0x801
	v_mul_f64_e32 v[155:156], v[2:3], v[40:41]
	v_mul_f64_e32 v[40:41], v[4:5], v[40:41]
	scratch_load_b128 v[30:33], off, off offset:544
	v_add_f64_e32 v[149:150], v[149:150], v[161:162]
	v_add_f64_e32 v[151:152], v[151:152], v[157:158]
	s_wait_loadcnt_dscnt 0x800
	v_mul_f64_e32 v[157:158], v[6:7], v[147:148]
	v_mul_f64_e32 v[147:148], v[8:9], v[147:148]
	v_fma_f64 v[155:156], v[4:5], v[38:39], v[155:156]
	v_fma_f64 v[161:162], v[2:3], v[38:39], -v[40:41]
	ds_load_b128 v[2:5], v1 offset:1200
	scratch_load_b128 v[38:41], off, off offset:560
	v_add_f64_e32 v[149:150], v[149:150], v[159:160]
	v_add_f64_e32 v[151:152], v[151:152], v[153:154]
	v_fma_f64 v[157:158], v[8:9], v[145:146], v[157:158]
	v_fma_f64 v[159:160], v[6:7], v[145:146], -v[147:148]
	ds_load_b128 v[6:9], v1 offset:1216
	scratch_load_b128 v[145:148], off, off offset:576
	s_wait_loadcnt_dscnt 0x901
	v_mul_f64_e32 v[153:154], v[2:3], v[36:37]
	v_mul_f64_e32 v[36:37], v[4:5], v[36:37]
	v_add_f64_e32 v[149:150], v[149:150], v[161:162]
	v_add_f64_e32 v[151:152], v[151:152], v[155:156]
	s_wait_loadcnt_dscnt 0x800
	v_mul_f64_e32 v[155:156], v[6:7], v[143:144]
	v_mul_f64_e32 v[143:144], v[8:9], v[143:144]
	v_fma_f64 v[153:154], v[4:5], v[34:35], v[153:154]
	v_fma_f64 v[161:162], v[2:3], v[34:35], -v[36:37]
	ds_load_b128 v[2:5], v1 offset:1232
	scratch_load_b128 v[34:37], off, off offset:592
	v_add_f64_e32 v[149:150], v[149:150], v[159:160]
	v_add_f64_e32 v[151:152], v[151:152], v[157:158]
	v_fma_f64 v[155:156], v[8:9], v[141:142], v[155:156]
	v_fma_f64 v[159:160], v[6:7], v[141:142], -v[143:144]
	ds_load_b128 v[6:9], v1 offset:1248
	s_wait_loadcnt_dscnt 0x801
	v_mul_f64_e32 v[157:158], v[2:3], v[12:13]
	v_mul_f64_e32 v[12:13], v[4:5], v[12:13]
	scratch_load_b128 v[141:144], off, off offset:608
	v_add_f64_e32 v[149:150], v[149:150], v[161:162]
	v_add_f64_e32 v[151:152], v[151:152], v[153:154]
	s_wait_loadcnt_dscnt 0x800
	v_mul_f64_e32 v[153:154], v[6:7], v[16:17]
	v_mul_f64_e32 v[16:17], v[8:9], v[16:17]
	v_fma_f64 v[157:158], v[4:5], v[10:11], v[157:158]
	v_fma_f64 v[161:162], v[2:3], v[10:11], -v[12:13]
	ds_load_b128 v[2:5], v1 offset:1264
	scratch_load_b128 v[10:13], off, off offset:624
	v_add_f64_e32 v[149:150], v[149:150], v[159:160]
	v_add_f64_e32 v[151:152], v[151:152], v[155:156]
	v_fma_f64 v[153:154], v[8:9], v[14:15], v[153:154]
	v_fma_f64 v[159:160], v[6:7], v[14:15], -v[16:17]
	ds_load_b128 v[6:9], v1 offset:1280
	s_wait_loadcnt_dscnt 0x801
	v_mul_f64_e32 v[155:156], v[2:3], v[20:21]
	v_mul_f64_e32 v[20:21], v[4:5], v[20:21]
	scratch_load_b128 v[14:17], off, off offset:640
	;; [unrolled: 18-line block ×6, first 2 shown]
	v_add_f64_e32 v[149:150], v[149:150], v[161:162]
	v_add_f64_e32 v[151:152], v[151:152], v[155:156]
	s_wait_loadcnt_dscnt 0x800
	v_mul_f64_e32 v[155:156], v[6:7], v[16:17]
	v_mul_f64_e32 v[16:17], v[8:9], v[16:17]
	v_fma_f64 v[153:154], v[4:5], v[10:11], v[153:154]
	v_fma_f64 v[161:162], v[2:3], v[10:11], -v[12:13]
	ds_load_b128 v[2:5], v1 offset:1424
	scratch_load_b128 v[10:13], off, off offset:784
	v_add_f64_e32 v[149:150], v[149:150], v[159:160]
	v_add_f64_e32 v[151:152], v[151:152], v[157:158]
	v_fma_f64 v[155:156], v[8:9], v[14:15], v[155:156]
	v_fma_f64 v[14:15], v[6:7], v[14:15], -v[16:17]
	ds_load_b128 v[6:9], v1 offset:1440
	s_wait_loadcnt_dscnt 0x801
	v_mul_f64_e32 v[157:158], v[2:3], v[20:21]
	v_mul_f64_e32 v[20:21], v[4:5], v[20:21]
	v_add_f64_e32 v[16:17], v[149:150], v[161:162]
	v_add_f64_e32 v[149:150], v[151:152], v[153:154]
	s_wait_loadcnt_dscnt 0x700
	v_mul_f64_e32 v[151:152], v[6:7], v[24:25]
	v_mul_f64_e32 v[24:25], v[8:9], v[24:25]
	v_fma_f64 v[153:154], v[4:5], v[18:19], v[157:158]
	v_fma_f64 v[18:19], v[2:3], v[18:19], -v[20:21]
	ds_load_b128 v[2:5], v1 offset:1456
	v_add_f64_e32 v[14:15], v[16:17], v[14:15]
	v_add_f64_e32 v[16:17], v[149:150], v[155:156]
	v_fma_f64 v[149:150], v[8:9], v[22:23], v[151:152]
	v_fma_f64 v[22:23], v[6:7], v[22:23], -v[24:25]
	ds_load_b128 v[6:9], v1 offset:1472
	s_wait_loadcnt_dscnt 0x500
	v_mul_f64_e32 v[151:152], v[6:7], v[32:33]
	v_mul_f64_e32 v[32:33], v[8:9], v[32:33]
	v_add_f64_e32 v[18:19], v[14:15], v[18:19]
	v_add_f64_e32 v[24:25], v[16:17], v[153:154]
	scratch_load_b128 v[14:17], off, off offset:256
	v_mul_f64_e32 v[20:21], v[2:3], v[28:29]
	v_mul_f64_e32 v[28:29], v[4:5], v[28:29]
	v_add_f64_e32 v[18:19], v[18:19], v[22:23]
	v_add_f64_e32 v[22:23], v[24:25], v[149:150]
	s_delay_alu instid0(VALU_DEP_4) | instskip(NEXT) | instid1(VALU_DEP_4)
	v_fma_f64 v[20:21], v[4:5], v[26:27], v[20:21]
	v_fma_f64 v[26:27], v[2:3], v[26:27], -v[28:29]
	ds_load_b128 v[2:5], v1 offset:1488
	s_wait_loadcnt_dscnt 0x500
	v_mul_f64_e32 v[24:25], v[2:3], v[40:41]
	v_mul_f64_e32 v[28:29], v[4:5], v[40:41]
	v_fma_f64 v[40:41], v[8:9], v[30:31], v[151:152]
	v_fma_f64 v[30:31], v[6:7], v[30:31], -v[32:33]
	ds_load_b128 v[6:9], v1 offset:1504
	v_add_f64_e32 v[20:21], v[22:23], v[20:21]
	v_add_f64_e32 v[18:19], v[18:19], v[26:27]
	v_fma_f64 v[24:25], v[4:5], v[38:39], v[24:25]
	v_fma_f64 v[28:29], v[2:3], v[38:39], -v[28:29]
	ds_load_b128 v[2:5], v1 offset:1520
	s_wait_loadcnt_dscnt 0x401
	v_mul_f64_e32 v[22:23], v[6:7], v[147:148]
	v_mul_f64_e32 v[26:27], v[8:9], v[147:148]
	v_add_f64_e32 v[20:21], v[20:21], v[40:41]
	v_add_f64_e32 v[18:19], v[18:19], v[30:31]
	s_wait_loadcnt_dscnt 0x300
	v_mul_f64_e32 v[30:31], v[2:3], v[36:37]
	v_mul_f64_e32 v[32:33], v[4:5], v[36:37]
	v_fma_f64 v[22:23], v[8:9], v[145:146], v[22:23]
	v_fma_f64 v[26:27], v[6:7], v[145:146], -v[26:27]
	ds_load_b128 v[6:9], v1 offset:1536
	v_add_f64_e32 v[20:21], v[20:21], v[24:25]
	v_add_f64_e32 v[18:19], v[18:19], v[28:29]
	v_fma_f64 v[30:31], v[4:5], v[34:35], v[30:31]
	v_fma_f64 v[32:33], v[2:3], v[34:35], -v[32:33]
	ds_load_b128 v[2:5], v1 offset:1552
	s_wait_loadcnt_dscnt 0x201
	v_mul_f64_e32 v[24:25], v[6:7], v[143:144]
	v_mul_f64_e32 v[28:29], v[8:9], v[143:144]
	v_add_f64_e32 v[20:21], v[20:21], v[22:23]
	v_add_f64_e32 v[18:19], v[18:19], v[26:27]
	s_wait_loadcnt_dscnt 0x100
	v_mul_f64_e32 v[22:23], v[2:3], v[12:13]
	v_mul_f64_e32 v[12:13], v[4:5], v[12:13]
	v_fma_f64 v[8:9], v[8:9], v[141:142], v[24:25]
	v_fma_f64 v[6:7], v[6:7], v[141:142], -v[28:29]
	v_add_f64_e32 v[20:21], v[20:21], v[30:31]
	v_add_f64_e32 v[18:19], v[18:19], v[32:33]
	v_fma_f64 v[4:5], v[4:5], v[10:11], v[22:23]
	v_fma_f64 v[2:3], v[2:3], v[10:11], -v[12:13]
	s_delay_alu instid0(VALU_DEP_4) | instskip(NEXT) | instid1(VALU_DEP_4)
	v_add_f64_e32 v[8:9], v[20:21], v[8:9]
	v_add_f64_e32 v[6:7], v[18:19], v[6:7]
	s_delay_alu instid0(VALU_DEP_2) | instskip(NEXT) | instid1(VALU_DEP_2)
	v_add_f64_e32 v[4:5], v[8:9], v[4:5]
	v_add_f64_e32 v[2:3], v[6:7], v[2:3]
	s_wait_loadcnt 0x0
	s_delay_alu instid0(VALU_DEP_2) | instskip(NEXT) | instid1(VALU_DEP_2)
	v_add_f64_e64 v[4:5], v[16:17], -v[4:5]
	v_add_f64_e64 v[2:3], v[14:15], -v[2:3]
	scratch_store_b128 off, v[2:5], off offset:256
	v_cmpx_lt_u32_e32 14, v0
	s_cbranch_execz .LBB48_279
; %bb.278:
	scratch_load_b128 v[5:8], off, s48
	v_dual_mov_b32 v2, v1 :: v_dual_mov_b32 v3, v1
	v_mov_b32_e32 v4, v1
	scratch_store_b128 off, v[1:4], off offset:240
	s_wait_loadcnt 0x0
	ds_store_b128 v140, v[5:8]
.LBB48_279:
	s_wait_alu 0xfffe
	s_or_b32 exec_lo, exec_lo, s0
	s_wait_storecnt_dscnt 0x0
	s_barrier_signal -1
	s_barrier_wait -1
	global_inv scope:SCOPE_SE
	s_clause 0x7
	scratch_load_b128 v[2:5], off, off offset:256
	scratch_load_b128 v[6:9], off, off offset:272
	;; [unrolled: 1-line block ×8, first 2 shown]
	ds_load_b128 v[38:41], v1 offset:1024
	ds_load_b128 v[141:144], v1 offset:1040
	s_clause 0x1
	scratch_load_b128 v[34:37], off, off offset:384
	scratch_load_b128 v[145:148], off, off offset:400
	s_mov_b32 s0, exec_lo
	s_wait_loadcnt_dscnt 0x901
	v_mul_f64_e32 v[149:150], v[40:41], v[4:5]
	v_mul_f64_e32 v[4:5], v[38:39], v[4:5]
	s_wait_loadcnt_dscnt 0x800
	v_mul_f64_e32 v[151:152], v[141:142], v[8:9]
	v_mul_f64_e32 v[8:9], v[143:144], v[8:9]
	s_delay_alu instid0(VALU_DEP_4) | instskip(NEXT) | instid1(VALU_DEP_4)
	v_fma_f64 v[149:150], v[38:39], v[2:3], -v[149:150]
	v_fma_f64 v[153:154], v[40:41], v[2:3], v[4:5]
	ds_load_b128 v[2:5], v1 offset:1056
	scratch_load_b128 v[38:41], off, off offset:416
	v_fma_f64 v[151:152], v[143:144], v[6:7], v[151:152]
	v_fma_f64 v[157:158], v[141:142], v[6:7], -v[8:9]
	ds_load_b128 v[6:9], v1 offset:1072
	scratch_load_b128 v[141:144], off, off offset:432
	s_wait_loadcnt_dscnt 0x901
	v_mul_f64_e32 v[155:156], v[2:3], v[12:13]
	v_mul_f64_e32 v[12:13], v[4:5], v[12:13]
	s_wait_loadcnt_dscnt 0x800
	v_mul_f64_e32 v[159:160], v[6:7], v[16:17]
	v_mul_f64_e32 v[16:17], v[8:9], v[16:17]
	v_add_f64_e32 v[149:150], 0, v[149:150]
	v_add_f64_e32 v[153:154], 0, v[153:154]
	v_fma_f64 v[155:156], v[4:5], v[10:11], v[155:156]
	v_fma_f64 v[161:162], v[2:3], v[10:11], -v[12:13]
	ds_load_b128 v[2:5], v1 offset:1088
	scratch_load_b128 v[10:13], off, off offset:448
	v_add_f64_e32 v[149:150], v[149:150], v[157:158]
	v_add_f64_e32 v[151:152], v[153:154], v[151:152]
	v_fma_f64 v[157:158], v[8:9], v[14:15], v[159:160]
	v_fma_f64 v[159:160], v[6:7], v[14:15], -v[16:17]
	ds_load_b128 v[6:9], v1 offset:1104
	scratch_load_b128 v[14:17], off, off offset:464
	s_wait_loadcnt_dscnt 0x901
	v_mul_f64_e32 v[153:154], v[2:3], v[20:21]
	v_mul_f64_e32 v[20:21], v[4:5], v[20:21]
	v_add_f64_e32 v[149:150], v[149:150], v[161:162]
	v_add_f64_e32 v[151:152], v[151:152], v[155:156]
	s_wait_loadcnt_dscnt 0x800
	v_mul_f64_e32 v[155:156], v[6:7], v[24:25]
	v_mul_f64_e32 v[24:25], v[8:9], v[24:25]
	v_fma_f64 v[153:154], v[4:5], v[18:19], v[153:154]
	v_fma_f64 v[161:162], v[2:3], v[18:19], -v[20:21]
	ds_load_b128 v[2:5], v1 offset:1120
	scratch_load_b128 v[18:21], off, off offset:480
	v_add_f64_e32 v[149:150], v[149:150], v[159:160]
	v_add_f64_e32 v[151:152], v[151:152], v[157:158]
	v_fma_f64 v[155:156], v[8:9], v[22:23], v[155:156]
	v_fma_f64 v[159:160], v[6:7], v[22:23], -v[24:25]
	ds_load_b128 v[6:9], v1 offset:1136
	s_wait_loadcnt_dscnt 0x801
	v_mul_f64_e32 v[157:158], v[2:3], v[28:29]
	v_mul_f64_e32 v[28:29], v[4:5], v[28:29]
	scratch_load_b128 v[22:25], off, off offset:496
	v_add_f64_e32 v[149:150], v[149:150], v[161:162]
	v_add_f64_e32 v[151:152], v[151:152], v[153:154]
	s_wait_loadcnt_dscnt 0x800
	v_mul_f64_e32 v[153:154], v[6:7], v[32:33]
	v_mul_f64_e32 v[32:33], v[8:9], v[32:33]
	v_fma_f64 v[157:158], v[4:5], v[26:27], v[157:158]
	v_fma_f64 v[161:162], v[2:3], v[26:27], -v[28:29]
	ds_load_b128 v[2:5], v1 offset:1152
	scratch_load_b128 v[26:29], off, off offset:512
	v_add_f64_e32 v[149:150], v[149:150], v[159:160]
	v_add_f64_e32 v[151:152], v[151:152], v[155:156]
	v_fma_f64 v[153:154], v[8:9], v[30:31], v[153:154]
	v_fma_f64 v[159:160], v[6:7], v[30:31], -v[32:33]
	ds_load_b128 v[6:9], v1 offset:1168
	s_wait_loadcnt_dscnt 0x801
	v_mul_f64_e32 v[155:156], v[2:3], v[36:37]
	v_mul_f64_e32 v[36:37], v[4:5], v[36:37]
	scratch_load_b128 v[30:33], off, off offset:528
	v_add_f64_e32 v[149:150], v[149:150], v[161:162]
	v_add_f64_e32 v[151:152], v[151:152], v[157:158]
	s_wait_loadcnt_dscnt 0x800
	v_mul_f64_e32 v[157:158], v[6:7], v[147:148]
	v_mul_f64_e32 v[147:148], v[8:9], v[147:148]
	v_fma_f64 v[155:156], v[4:5], v[34:35], v[155:156]
	v_fma_f64 v[161:162], v[2:3], v[34:35], -v[36:37]
	ds_load_b128 v[2:5], v1 offset:1184
	scratch_load_b128 v[34:37], off, off offset:544
	v_add_f64_e32 v[149:150], v[149:150], v[159:160]
	v_add_f64_e32 v[151:152], v[151:152], v[153:154]
	v_fma_f64 v[157:158], v[8:9], v[145:146], v[157:158]
	v_fma_f64 v[159:160], v[6:7], v[145:146], -v[147:148]
	ds_load_b128 v[6:9], v1 offset:1200
	scratch_load_b128 v[145:148], off, off offset:560
	s_wait_loadcnt_dscnt 0x901
	v_mul_f64_e32 v[153:154], v[2:3], v[40:41]
	v_mul_f64_e32 v[40:41], v[4:5], v[40:41]
	v_add_f64_e32 v[149:150], v[149:150], v[161:162]
	v_add_f64_e32 v[151:152], v[151:152], v[155:156]
	s_wait_loadcnt_dscnt 0x800
	v_mul_f64_e32 v[155:156], v[6:7], v[143:144]
	v_mul_f64_e32 v[143:144], v[8:9], v[143:144]
	v_fma_f64 v[153:154], v[4:5], v[38:39], v[153:154]
	v_fma_f64 v[161:162], v[2:3], v[38:39], -v[40:41]
	ds_load_b128 v[2:5], v1 offset:1216
	scratch_load_b128 v[38:41], off, off offset:576
	v_add_f64_e32 v[149:150], v[149:150], v[159:160]
	v_add_f64_e32 v[151:152], v[151:152], v[157:158]
	v_fma_f64 v[155:156], v[8:9], v[141:142], v[155:156]
	v_fma_f64 v[159:160], v[6:7], v[141:142], -v[143:144]
	ds_load_b128 v[6:9], v1 offset:1232
	s_wait_loadcnt_dscnt 0x801
	v_mul_f64_e32 v[157:158], v[2:3], v[12:13]
	v_mul_f64_e32 v[12:13], v[4:5], v[12:13]
	scratch_load_b128 v[141:144], off, off offset:592
	v_add_f64_e32 v[149:150], v[149:150], v[161:162]
	v_add_f64_e32 v[151:152], v[151:152], v[153:154]
	s_wait_loadcnt_dscnt 0x800
	v_mul_f64_e32 v[153:154], v[6:7], v[16:17]
	v_mul_f64_e32 v[16:17], v[8:9], v[16:17]
	v_fma_f64 v[157:158], v[4:5], v[10:11], v[157:158]
	v_fma_f64 v[161:162], v[2:3], v[10:11], -v[12:13]
	ds_load_b128 v[2:5], v1 offset:1248
	scratch_load_b128 v[10:13], off, off offset:608
	v_add_f64_e32 v[149:150], v[149:150], v[159:160]
	v_add_f64_e32 v[151:152], v[151:152], v[155:156]
	v_fma_f64 v[153:154], v[8:9], v[14:15], v[153:154]
	v_fma_f64 v[159:160], v[6:7], v[14:15], -v[16:17]
	ds_load_b128 v[6:9], v1 offset:1264
	s_wait_loadcnt_dscnt 0x801
	v_mul_f64_e32 v[155:156], v[2:3], v[20:21]
	v_mul_f64_e32 v[20:21], v[4:5], v[20:21]
	scratch_load_b128 v[14:17], off, off offset:624
	;; [unrolled: 18-line block ×7, first 2 shown]
	v_add_f64_e32 v[149:150], v[149:150], v[161:162]
	v_add_f64_e32 v[151:152], v[151:152], v[153:154]
	s_wait_loadcnt_dscnt 0x800
	v_mul_f64_e32 v[153:154], v[6:7], v[24:25]
	v_mul_f64_e32 v[24:25], v[8:9], v[24:25]
	v_fma_f64 v[157:158], v[4:5], v[18:19], v[157:158]
	v_fma_f64 v[18:19], v[2:3], v[18:19], -v[20:21]
	ds_load_b128 v[2:5], v1 offset:1440
	v_add_f64_e32 v[20:21], v[149:150], v[159:160]
	v_add_f64_e32 v[149:150], v[151:152], v[155:156]
	v_fma_f64 v[153:154], v[8:9], v[22:23], v[153:154]
	v_fma_f64 v[22:23], v[6:7], v[22:23], -v[24:25]
	ds_load_b128 v[6:9], v1 offset:1456
	s_wait_loadcnt_dscnt 0x701
	v_mul_f64_e32 v[151:152], v[2:3], v[28:29]
	v_mul_f64_e32 v[28:29], v[4:5], v[28:29]
	v_add_f64_e32 v[18:19], v[20:21], v[18:19]
	v_add_f64_e32 v[20:21], v[149:150], v[157:158]
	s_delay_alu instid0(VALU_DEP_4) | instskip(NEXT) | instid1(VALU_DEP_4)
	v_fma_f64 v[149:150], v[4:5], v[26:27], v[151:152]
	v_fma_f64 v[26:27], v[2:3], v[26:27], -v[28:29]
	ds_load_b128 v[2:5], v1 offset:1472
	v_add_f64_e32 v[22:23], v[18:19], v[22:23]
	v_add_f64_e32 v[28:29], v[20:21], v[153:154]
	scratch_load_b128 v[18:21], off, off offset:240
	s_wait_loadcnt_dscnt 0x701
	v_mul_f64_e32 v[24:25], v[6:7], v[32:33]
	v_mul_f64_e32 v[32:33], v[8:9], v[32:33]
	v_add_f64_e32 v[22:23], v[22:23], v[26:27]
	v_add_f64_e32 v[26:27], v[28:29], v[149:150]
	s_delay_alu instid0(VALU_DEP_4) | instskip(NEXT) | instid1(VALU_DEP_4)
	v_fma_f64 v[24:25], v[8:9], v[30:31], v[24:25]
	v_fma_f64 v[30:31], v[6:7], v[30:31], -v[32:33]
	ds_load_b128 v[6:9], v1 offset:1488
	s_wait_loadcnt_dscnt 0x601
	v_mul_f64_e32 v[151:152], v[2:3], v[36:37]
	v_mul_f64_e32 v[36:37], v[4:5], v[36:37]
	s_wait_loadcnt_dscnt 0x500
	v_mul_f64_e32 v[28:29], v[6:7], v[147:148]
	v_mul_f64_e32 v[32:33], v[8:9], v[147:148]
	v_add_f64_e32 v[24:25], v[26:27], v[24:25]
	v_add_f64_e32 v[22:23], v[22:23], v[30:31]
	v_fma_f64 v[147:148], v[4:5], v[34:35], v[151:152]
	v_fma_f64 v[34:35], v[2:3], v[34:35], -v[36:37]
	ds_load_b128 v[2:5], v1 offset:1504
	v_fma_f64 v[28:29], v[8:9], v[145:146], v[28:29]
	v_fma_f64 v[32:33], v[6:7], v[145:146], -v[32:33]
	ds_load_b128 v[6:9], v1 offset:1520
	s_wait_loadcnt_dscnt 0x401
	v_mul_f64_e32 v[26:27], v[2:3], v[40:41]
	v_mul_f64_e32 v[30:31], v[4:5], v[40:41]
	v_add_f64_e32 v[24:25], v[24:25], v[147:148]
	v_add_f64_e32 v[22:23], v[22:23], v[34:35]
	s_wait_loadcnt_dscnt 0x300
	v_mul_f64_e32 v[34:35], v[6:7], v[143:144]
	v_mul_f64_e32 v[36:37], v[8:9], v[143:144]
	v_fma_f64 v[26:27], v[4:5], v[38:39], v[26:27]
	v_fma_f64 v[30:31], v[2:3], v[38:39], -v[30:31]
	ds_load_b128 v[2:5], v1 offset:1536
	v_add_f64_e32 v[24:25], v[24:25], v[28:29]
	v_add_f64_e32 v[22:23], v[22:23], v[32:33]
	v_fma_f64 v[32:33], v[8:9], v[141:142], v[34:35]
	v_fma_f64 v[34:35], v[6:7], v[141:142], -v[36:37]
	ds_load_b128 v[6:9], v1 offset:1552
	s_wait_loadcnt_dscnt 0x201
	v_mul_f64_e32 v[28:29], v[2:3], v[12:13]
	v_mul_f64_e32 v[12:13], v[4:5], v[12:13]
	v_add_f64_e32 v[24:25], v[24:25], v[26:27]
	v_add_f64_e32 v[22:23], v[22:23], v[30:31]
	s_wait_loadcnt_dscnt 0x100
	v_mul_f64_e32 v[26:27], v[6:7], v[16:17]
	v_mul_f64_e32 v[16:17], v[8:9], v[16:17]
	v_fma_f64 v[4:5], v[4:5], v[10:11], v[28:29]
	v_fma_f64 v[1:2], v[2:3], v[10:11], -v[12:13]
	v_add_f64_e32 v[12:13], v[24:25], v[32:33]
	v_add_f64_e32 v[10:11], v[22:23], v[34:35]
	v_fma_f64 v[8:9], v[8:9], v[14:15], v[26:27]
	v_fma_f64 v[6:7], v[6:7], v[14:15], -v[16:17]
	s_delay_alu instid0(VALU_DEP_4) | instskip(NEXT) | instid1(VALU_DEP_4)
	v_add_f64_e32 v[3:4], v[12:13], v[4:5]
	v_add_f64_e32 v[1:2], v[10:11], v[1:2]
	s_delay_alu instid0(VALU_DEP_2) | instskip(NEXT) | instid1(VALU_DEP_2)
	v_add_f64_e32 v[3:4], v[3:4], v[8:9]
	v_add_f64_e32 v[1:2], v[1:2], v[6:7]
	s_wait_loadcnt 0x0
	s_delay_alu instid0(VALU_DEP_2) | instskip(NEXT) | instid1(VALU_DEP_2)
	v_add_f64_e64 v[3:4], v[20:21], -v[3:4]
	v_add_f64_e64 v[1:2], v[18:19], -v[1:2]
	scratch_store_b128 off, v[1:4], off offset:240
	v_cmpx_lt_u32_e32 13, v0
	s_cbranch_execz .LBB48_281
; %bb.280:
	scratch_load_b128 v[1:4], off, s49
	v_mov_b32_e32 v5, 0
	s_delay_alu instid0(VALU_DEP_1)
	v_dual_mov_b32 v6, v5 :: v_dual_mov_b32 v7, v5
	v_mov_b32_e32 v8, v5
	scratch_store_b128 off, v[5:8], off offset:224
	s_wait_loadcnt 0x0
	ds_store_b128 v140, v[1:4]
.LBB48_281:
	s_wait_alu 0xfffe
	s_or_b32 exec_lo, exec_lo, s0
	s_wait_storecnt_dscnt 0x0
	s_barrier_signal -1
	s_barrier_wait -1
	global_inv scope:SCOPE_SE
	s_clause 0x7
	scratch_load_b128 v[2:5], off, off offset:240
	scratch_load_b128 v[6:9], off, off offset:256
	;; [unrolled: 1-line block ×8, first 2 shown]
	v_mov_b32_e32 v1, 0
	s_clause 0x1
	scratch_load_b128 v[34:37], off, off offset:368
	scratch_load_b128 v[145:148], off, off offset:384
	s_mov_b32 s0, exec_lo
	ds_load_b128 v[38:41], v1 offset:1008
	ds_load_b128 v[141:144], v1 offset:1024
	s_wait_loadcnt_dscnt 0x901
	v_mul_f64_e32 v[149:150], v[40:41], v[4:5]
	v_mul_f64_e32 v[4:5], v[38:39], v[4:5]
	s_wait_loadcnt_dscnt 0x800
	v_mul_f64_e32 v[151:152], v[141:142], v[8:9]
	v_mul_f64_e32 v[8:9], v[143:144], v[8:9]
	s_delay_alu instid0(VALU_DEP_4) | instskip(NEXT) | instid1(VALU_DEP_4)
	v_fma_f64 v[149:150], v[38:39], v[2:3], -v[149:150]
	v_fma_f64 v[153:154], v[40:41], v[2:3], v[4:5]
	ds_load_b128 v[2:5], v1 offset:1040
	scratch_load_b128 v[38:41], off, off offset:400
	v_fma_f64 v[151:152], v[143:144], v[6:7], v[151:152]
	v_fma_f64 v[157:158], v[141:142], v[6:7], -v[8:9]
	ds_load_b128 v[6:9], v1 offset:1056
	scratch_load_b128 v[141:144], off, off offset:416
	s_wait_loadcnt_dscnt 0x901
	v_mul_f64_e32 v[155:156], v[2:3], v[12:13]
	v_mul_f64_e32 v[12:13], v[4:5], v[12:13]
	s_wait_loadcnt_dscnt 0x800
	v_mul_f64_e32 v[159:160], v[6:7], v[16:17]
	v_mul_f64_e32 v[16:17], v[8:9], v[16:17]
	v_add_f64_e32 v[149:150], 0, v[149:150]
	v_add_f64_e32 v[153:154], 0, v[153:154]
	v_fma_f64 v[155:156], v[4:5], v[10:11], v[155:156]
	v_fma_f64 v[161:162], v[2:3], v[10:11], -v[12:13]
	ds_load_b128 v[2:5], v1 offset:1072
	scratch_load_b128 v[10:13], off, off offset:432
	v_add_f64_e32 v[149:150], v[149:150], v[157:158]
	v_add_f64_e32 v[151:152], v[153:154], v[151:152]
	v_fma_f64 v[157:158], v[8:9], v[14:15], v[159:160]
	v_fma_f64 v[159:160], v[6:7], v[14:15], -v[16:17]
	ds_load_b128 v[6:9], v1 offset:1088
	scratch_load_b128 v[14:17], off, off offset:448
	s_wait_loadcnt_dscnt 0x901
	v_mul_f64_e32 v[153:154], v[2:3], v[20:21]
	v_mul_f64_e32 v[20:21], v[4:5], v[20:21]
	v_add_f64_e32 v[149:150], v[149:150], v[161:162]
	v_add_f64_e32 v[151:152], v[151:152], v[155:156]
	s_wait_loadcnt_dscnt 0x800
	v_mul_f64_e32 v[155:156], v[6:7], v[24:25]
	v_mul_f64_e32 v[24:25], v[8:9], v[24:25]
	v_fma_f64 v[153:154], v[4:5], v[18:19], v[153:154]
	v_fma_f64 v[161:162], v[2:3], v[18:19], -v[20:21]
	ds_load_b128 v[2:5], v1 offset:1104
	scratch_load_b128 v[18:21], off, off offset:464
	v_add_f64_e32 v[149:150], v[149:150], v[159:160]
	v_add_f64_e32 v[151:152], v[151:152], v[157:158]
	v_fma_f64 v[155:156], v[8:9], v[22:23], v[155:156]
	v_fma_f64 v[159:160], v[6:7], v[22:23], -v[24:25]
	ds_load_b128 v[6:9], v1 offset:1120
	s_wait_loadcnt_dscnt 0x801
	v_mul_f64_e32 v[157:158], v[2:3], v[28:29]
	v_mul_f64_e32 v[28:29], v[4:5], v[28:29]
	scratch_load_b128 v[22:25], off, off offset:480
	v_add_f64_e32 v[149:150], v[149:150], v[161:162]
	v_add_f64_e32 v[151:152], v[151:152], v[153:154]
	s_wait_loadcnt_dscnt 0x800
	v_mul_f64_e32 v[153:154], v[6:7], v[32:33]
	v_mul_f64_e32 v[32:33], v[8:9], v[32:33]
	v_fma_f64 v[157:158], v[4:5], v[26:27], v[157:158]
	v_fma_f64 v[161:162], v[2:3], v[26:27], -v[28:29]
	ds_load_b128 v[2:5], v1 offset:1136
	scratch_load_b128 v[26:29], off, off offset:496
	v_add_f64_e32 v[149:150], v[149:150], v[159:160]
	v_add_f64_e32 v[151:152], v[151:152], v[155:156]
	v_fma_f64 v[153:154], v[8:9], v[30:31], v[153:154]
	v_fma_f64 v[159:160], v[6:7], v[30:31], -v[32:33]
	ds_load_b128 v[6:9], v1 offset:1152
	s_wait_loadcnt_dscnt 0x801
	v_mul_f64_e32 v[155:156], v[2:3], v[36:37]
	v_mul_f64_e32 v[36:37], v[4:5], v[36:37]
	scratch_load_b128 v[30:33], off, off offset:512
	v_add_f64_e32 v[149:150], v[149:150], v[161:162]
	v_add_f64_e32 v[151:152], v[151:152], v[157:158]
	s_wait_loadcnt_dscnt 0x800
	v_mul_f64_e32 v[157:158], v[6:7], v[147:148]
	v_mul_f64_e32 v[147:148], v[8:9], v[147:148]
	v_fma_f64 v[155:156], v[4:5], v[34:35], v[155:156]
	v_fma_f64 v[161:162], v[2:3], v[34:35], -v[36:37]
	ds_load_b128 v[2:5], v1 offset:1168
	scratch_load_b128 v[34:37], off, off offset:528
	v_add_f64_e32 v[149:150], v[149:150], v[159:160]
	v_add_f64_e32 v[151:152], v[151:152], v[153:154]
	v_fma_f64 v[157:158], v[8:9], v[145:146], v[157:158]
	v_fma_f64 v[159:160], v[6:7], v[145:146], -v[147:148]
	ds_load_b128 v[6:9], v1 offset:1184
	scratch_load_b128 v[145:148], off, off offset:544
	s_wait_loadcnt_dscnt 0x901
	v_mul_f64_e32 v[153:154], v[2:3], v[40:41]
	v_mul_f64_e32 v[40:41], v[4:5], v[40:41]
	v_add_f64_e32 v[149:150], v[149:150], v[161:162]
	v_add_f64_e32 v[151:152], v[151:152], v[155:156]
	s_wait_loadcnt_dscnt 0x800
	v_mul_f64_e32 v[155:156], v[6:7], v[143:144]
	v_mul_f64_e32 v[143:144], v[8:9], v[143:144]
	v_fma_f64 v[153:154], v[4:5], v[38:39], v[153:154]
	v_fma_f64 v[161:162], v[2:3], v[38:39], -v[40:41]
	ds_load_b128 v[2:5], v1 offset:1200
	scratch_load_b128 v[38:41], off, off offset:560
	v_add_f64_e32 v[149:150], v[149:150], v[159:160]
	v_add_f64_e32 v[151:152], v[151:152], v[157:158]
	v_fma_f64 v[155:156], v[8:9], v[141:142], v[155:156]
	v_fma_f64 v[159:160], v[6:7], v[141:142], -v[143:144]
	ds_load_b128 v[6:9], v1 offset:1216
	s_wait_loadcnt_dscnt 0x801
	v_mul_f64_e32 v[157:158], v[2:3], v[12:13]
	v_mul_f64_e32 v[12:13], v[4:5], v[12:13]
	scratch_load_b128 v[141:144], off, off offset:576
	v_add_f64_e32 v[149:150], v[149:150], v[161:162]
	v_add_f64_e32 v[151:152], v[151:152], v[153:154]
	s_wait_loadcnt_dscnt 0x800
	v_mul_f64_e32 v[153:154], v[6:7], v[16:17]
	v_mul_f64_e32 v[16:17], v[8:9], v[16:17]
	v_fma_f64 v[157:158], v[4:5], v[10:11], v[157:158]
	v_fma_f64 v[161:162], v[2:3], v[10:11], -v[12:13]
	ds_load_b128 v[2:5], v1 offset:1232
	scratch_load_b128 v[10:13], off, off offset:592
	v_add_f64_e32 v[149:150], v[149:150], v[159:160]
	v_add_f64_e32 v[151:152], v[151:152], v[155:156]
	v_fma_f64 v[153:154], v[8:9], v[14:15], v[153:154]
	v_fma_f64 v[159:160], v[6:7], v[14:15], -v[16:17]
	ds_load_b128 v[6:9], v1 offset:1248
	s_wait_loadcnt_dscnt 0x801
	v_mul_f64_e32 v[155:156], v[2:3], v[20:21]
	v_mul_f64_e32 v[20:21], v[4:5], v[20:21]
	scratch_load_b128 v[14:17], off, off offset:608
	;; [unrolled: 18-line block ×7, first 2 shown]
	v_add_f64_e32 v[149:150], v[149:150], v[161:162]
	v_add_f64_e32 v[151:152], v[151:152], v[153:154]
	s_wait_loadcnt_dscnt 0x800
	v_mul_f64_e32 v[153:154], v[6:7], v[24:25]
	v_mul_f64_e32 v[24:25], v[8:9], v[24:25]
	v_fma_f64 v[157:158], v[4:5], v[18:19], v[157:158]
	v_fma_f64 v[161:162], v[2:3], v[18:19], -v[20:21]
	ds_load_b128 v[2:5], v1 offset:1424
	scratch_load_b128 v[18:21], off, off offset:784
	v_add_f64_e32 v[149:150], v[149:150], v[159:160]
	v_add_f64_e32 v[151:152], v[151:152], v[155:156]
	v_fma_f64 v[153:154], v[8:9], v[22:23], v[153:154]
	v_fma_f64 v[22:23], v[6:7], v[22:23], -v[24:25]
	ds_load_b128 v[6:9], v1 offset:1440
	s_wait_loadcnt_dscnt 0x801
	v_mul_f64_e32 v[155:156], v[2:3], v[28:29]
	v_mul_f64_e32 v[28:29], v[4:5], v[28:29]
	v_add_f64_e32 v[24:25], v[149:150], v[161:162]
	v_add_f64_e32 v[149:150], v[151:152], v[157:158]
	s_wait_loadcnt_dscnt 0x700
	v_mul_f64_e32 v[151:152], v[6:7], v[32:33]
	v_mul_f64_e32 v[32:33], v[8:9], v[32:33]
	v_fma_f64 v[155:156], v[4:5], v[26:27], v[155:156]
	v_fma_f64 v[26:27], v[2:3], v[26:27], -v[28:29]
	ds_load_b128 v[2:5], v1 offset:1456
	v_add_f64_e32 v[22:23], v[24:25], v[22:23]
	v_add_f64_e32 v[24:25], v[149:150], v[153:154]
	v_fma_f64 v[149:150], v[8:9], v[30:31], v[151:152]
	v_fma_f64 v[30:31], v[6:7], v[30:31], -v[32:33]
	ds_load_b128 v[6:9], v1 offset:1472
	s_wait_loadcnt_dscnt 0x500
	v_mul_f64_e32 v[151:152], v[6:7], v[147:148]
	v_mul_f64_e32 v[147:148], v[8:9], v[147:148]
	v_add_f64_e32 v[26:27], v[22:23], v[26:27]
	v_add_f64_e32 v[32:33], v[24:25], v[155:156]
	scratch_load_b128 v[22:25], off, off offset:224
	v_mul_f64_e32 v[28:29], v[2:3], v[36:37]
	v_mul_f64_e32 v[36:37], v[4:5], v[36:37]
	v_add_f64_e32 v[26:27], v[26:27], v[30:31]
	v_add_f64_e32 v[30:31], v[32:33], v[149:150]
	s_delay_alu instid0(VALU_DEP_4) | instskip(NEXT) | instid1(VALU_DEP_4)
	v_fma_f64 v[28:29], v[4:5], v[34:35], v[28:29]
	v_fma_f64 v[34:35], v[2:3], v[34:35], -v[36:37]
	ds_load_b128 v[2:5], v1 offset:1488
	s_wait_loadcnt_dscnt 0x500
	v_mul_f64_e32 v[32:33], v[2:3], v[40:41]
	v_mul_f64_e32 v[36:37], v[4:5], v[40:41]
	v_fma_f64 v[40:41], v[8:9], v[145:146], v[151:152]
	v_fma_f64 v[145:146], v[6:7], v[145:146], -v[147:148]
	ds_load_b128 v[6:9], v1 offset:1504
	v_add_f64_e32 v[28:29], v[30:31], v[28:29]
	v_add_f64_e32 v[26:27], v[26:27], v[34:35]
	v_fma_f64 v[32:33], v[4:5], v[38:39], v[32:33]
	v_fma_f64 v[36:37], v[2:3], v[38:39], -v[36:37]
	ds_load_b128 v[2:5], v1 offset:1520
	s_wait_loadcnt_dscnt 0x401
	v_mul_f64_e32 v[30:31], v[6:7], v[143:144]
	v_mul_f64_e32 v[34:35], v[8:9], v[143:144]
	v_add_f64_e32 v[28:29], v[28:29], v[40:41]
	v_add_f64_e32 v[26:27], v[26:27], v[145:146]
	s_wait_loadcnt_dscnt 0x300
	v_mul_f64_e32 v[38:39], v[2:3], v[12:13]
	v_mul_f64_e32 v[12:13], v[4:5], v[12:13]
	v_fma_f64 v[30:31], v[8:9], v[141:142], v[30:31]
	v_fma_f64 v[34:35], v[6:7], v[141:142], -v[34:35]
	ds_load_b128 v[6:9], v1 offset:1536
	v_add_f64_e32 v[28:29], v[28:29], v[32:33]
	v_add_f64_e32 v[26:27], v[26:27], v[36:37]
	v_fma_f64 v[36:37], v[4:5], v[10:11], v[38:39]
	v_fma_f64 v[10:11], v[2:3], v[10:11], -v[12:13]
	ds_load_b128 v[2:5], v1 offset:1552
	s_wait_loadcnt_dscnt 0x201
	v_mul_f64_e32 v[32:33], v[6:7], v[16:17]
	v_mul_f64_e32 v[16:17], v[8:9], v[16:17]
	v_add_f64_e32 v[12:13], v[26:27], v[34:35]
	v_add_f64_e32 v[26:27], v[28:29], v[30:31]
	s_wait_loadcnt_dscnt 0x100
	v_mul_f64_e32 v[28:29], v[2:3], v[20:21]
	v_mul_f64_e32 v[20:21], v[4:5], v[20:21]
	v_fma_f64 v[8:9], v[8:9], v[14:15], v[32:33]
	v_fma_f64 v[6:7], v[6:7], v[14:15], -v[16:17]
	v_add_f64_e32 v[10:11], v[12:13], v[10:11]
	v_add_f64_e32 v[12:13], v[26:27], v[36:37]
	v_fma_f64 v[4:5], v[4:5], v[18:19], v[28:29]
	v_fma_f64 v[2:3], v[2:3], v[18:19], -v[20:21]
	s_delay_alu instid0(VALU_DEP_4) | instskip(NEXT) | instid1(VALU_DEP_4)
	v_add_f64_e32 v[6:7], v[10:11], v[6:7]
	v_add_f64_e32 v[8:9], v[12:13], v[8:9]
	s_delay_alu instid0(VALU_DEP_2) | instskip(NEXT) | instid1(VALU_DEP_2)
	v_add_f64_e32 v[2:3], v[6:7], v[2:3]
	v_add_f64_e32 v[4:5], v[8:9], v[4:5]
	s_wait_loadcnt 0x0
	s_delay_alu instid0(VALU_DEP_2) | instskip(NEXT) | instid1(VALU_DEP_2)
	v_add_f64_e64 v[2:3], v[22:23], -v[2:3]
	v_add_f64_e64 v[4:5], v[24:25], -v[4:5]
	scratch_store_b128 off, v[2:5], off offset:224
	v_cmpx_lt_u32_e32 12, v0
	s_cbranch_execz .LBB48_283
; %bb.282:
	scratch_load_b128 v[5:8], off, s50
	v_dual_mov_b32 v2, v1 :: v_dual_mov_b32 v3, v1
	v_mov_b32_e32 v4, v1
	scratch_store_b128 off, v[1:4], off offset:208
	s_wait_loadcnt 0x0
	ds_store_b128 v140, v[5:8]
.LBB48_283:
	s_wait_alu 0xfffe
	s_or_b32 exec_lo, exec_lo, s0
	s_wait_storecnt_dscnt 0x0
	s_barrier_signal -1
	s_barrier_wait -1
	global_inv scope:SCOPE_SE
	s_clause 0x7
	scratch_load_b128 v[2:5], off, off offset:224
	scratch_load_b128 v[6:9], off, off offset:240
	;; [unrolled: 1-line block ×8, first 2 shown]
	ds_load_b128 v[38:41], v1 offset:992
	ds_load_b128 v[141:144], v1 offset:1008
	s_clause 0x1
	scratch_load_b128 v[34:37], off, off offset:352
	scratch_load_b128 v[145:148], off, off offset:368
	s_mov_b32 s0, exec_lo
	s_wait_loadcnt_dscnt 0x901
	v_mul_f64_e32 v[149:150], v[40:41], v[4:5]
	v_mul_f64_e32 v[4:5], v[38:39], v[4:5]
	s_wait_loadcnt_dscnt 0x800
	v_mul_f64_e32 v[151:152], v[141:142], v[8:9]
	v_mul_f64_e32 v[8:9], v[143:144], v[8:9]
	s_delay_alu instid0(VALU_DEP_4) | instskip(NEXT) | instid1(VALU_DEP_4)
	v_fma_f64 v[149:150], v[38:39], v[2:3], -v[149:150]
	v_fma_f64 v[153:154], v[40:41], v[2:3], v[4:5]
	ds_load_b128 v[2:5], v1 offset:1024
	scratch_load_b128 v[38:41], off, off offset:384
	v_fma_f64 v[151:152], v[143:144], v[6:7], v[151:152]
	v_fma_f64 v[157:158], v[141:142], v[6:7], -v[8:9]
	ds_load_b128 v[6:9], v1 offset:1040
	scratch_load_b128 v[141:144], off, off offset:400
	s_wait_loadcnt_dscnt 0x901
	v_mul_f64_e32 v[155:156], v[2:3], v[12:13]
	v_mul_f64_e32 v[12:13], v[4:5], v[12:13]
	s_wait_loadcnt_dscnt 0x800
	v_mul_f64_e32 v[159:160], v[6:7], v[16:17]
	v_mul_f64_e32 v[16:17], v[8:9], v[16:17]
	v_add_f64_e32 v[149:150], 0, v[149:150]
	v_add_f64_e32 v[153:154], 0, v[153:154]
	v_fma_f64 v[155:156], v[4:5], v[10:11], v[155:156]
	v_fma_f64 v[161:162], v[2:3], v[10:11], -v[12:13]
	ds_load_b128 v[2:5], v1 offset:1056
	scratch_load_b128 v[10:13], off, off offset:416
	v_add_f64_e32 v[149:150], v[149:150], v[157:158]
	v_add_f64_e32 v[151:152], v[153:154], v[151:152]
	v_fma_f64 v[157:158], v[8:9], v[14:15], v[159:160]
	v_fma_f64 v[159:160], v[6:7], v[14:15], -v[16:17]
	ds_load_b128 v[6:9], v1 offset:1072
	scratch_load_b128 v[14:17], off, off offset:432
	s_wait_loadcnt_dscnt 0x901
	v_mul_f64_e32 v[153:154], v[2:3], v[20:21]
	v_mul_f64_e32 v[20:21], v[4:5], v[20:21]
	v_add_f64_e32 v[149:150], v[149:150], v[161:162]
	v_add_f64_e32 v[151:152], v[151:152], v[155:156]
	s_wait_loadcnt_dscnt 0x800
	v_mul_f64_e32 v[155:156], v[6:7], v[24:25]
	v_mul_f64_e32 v[24:25], v[8:9], v[24:25]
	v_fma_f64 v[153:154], v[4:5], v[18:19], v[153:154]
	v_fma_f64 v[161:162], v[2:3], v[18:19], -v[20:21]
	ds_load_b128 v[2:5], v1 offset:1088
	scratch_load_b128 v[18:21], off, off offset:448
	v_add_f64_e32 v[149:150], v[149:150], v[159:160]
	v_add_f64_e32 v[151:152], v[151:152], v[157:158]
	v_fma_f64 v[155:156], v[8:9], v[22:23], v[155:156]
	v_fma_f64 v[159:160], v[6:7], v[22:23], -v[24:25]
	ds_load_b128 v[6:9], v1 offset:1104
	s_wait_loadcnt_dscnt 0x801
	v_mul_f64_e32 v[157:158], v[2:3], v[28:29]
	v_mul_f64_e32 v[28:29], v[4:5], v[28:29]
	scratch_load_b128 v[22:25], off, off offset:464
	v_add_f64_e32 v[149:150], v[149:150], v[161:162]
	v_add_f64_e32 v[151:152], v[151:152], v[153:154]
	s_wait_loadcnt_dscnt 0x800
	v_mul_f64_e32 v[153:154], v[6:7], v[32:33]
	v_mul_f64_e32 v[32:33], v[8:9], v[32:33]
	v_fma_f64 v[157:158], v[4:5], v[26:27], v[157:158]
	v_fma_f64 v[161:162], v[2:3], v[26:27], -v[28:29]
	ds_load_b128 v[2:5], v1 offset:1120
	scratch_load_b128 v[26:29], off, off offset:480
	v_add_f64_e32 v[149:150], v[149:150], v[159:160]
	v_add_f64_e32 v[151:152], v[151:152], v[155:156]
	v_fma_f64 v[153:154], v[8:9], v[30:31], v[153:154]
	v_fma_f64 v[159:160], v[6:7], v[30:31], -v[32:33]
	ds_load_b128 v[6:9], v1 offset:1136
	s_wait_loadcnt_dscnt 0x801
	v_mul_f64_e32 v[155:156], v[2:3], v[36:37]
	v_mul_f64_e32 v[36:37], v[4:5], v[36:37]
	scratch_load_b128 v[30:33], off, off offset:496
	v_add_f64_e32 v[149:150], v[149:150], v[161:162]
	v_add_f64_e32 v[151:152], v[151:152], v[157:158]
	s_wait_loadcnt_dscnt 0x800
	v_mul_f64_e32 v[157:158], v[6:7], v[147:148]
	v_mul_f64_e32 v[147:148], v[8:9], v[147:148]
	v_fma_f64 v[155:156], v[4:5], v[34:35], v[155:156]
	v_fma_f64 v[161:162], v[2:3], v[34:35], -v[36:37]
	ds_load_b128 v[2:5], v1 offset:1152
	scratch_load_b128 v[34:37], off, off offset:512
	v_add_f64_e32 v[149:150], v[149:150], v[159:160]
	v_add_f64_e32 v[151:152], v[151:152], v[153:154]
	v_fma_f64 v[157:158], v[8:9], v[145:146], v[157:158]
	v_fma_f64 v[159:160], v[6:7], v[145:146], -v[147:148]
	ds_load_b128 v[6:9], v1 offset:1168
	scratch_load_b128 v[145:148], off, off offset:528
	s_wait_loadcnt_dscnt 0x901
	v_mul_f64_e32 v[153:154], v[2:3], v[40:41]
	v_mul_f64_e32 v[40:41], v[4:5], v[40:41]
	v_add_f64_e32 v[149:150], v[149:150], v[161:162]
	v_add_f64_e32 v[151:152], v[151:152], v[155:156]
	s_wait_loadcnt_dscnt 0x800
	v_mul_f64_e32 v[155:156], v[6:7], v[143:144]
	v_mul_f64_e32 v[143:144], v[8:9], v[143:144]
	v_fma_f64 v[153:154], v[4:5], v[38:39], v[153:154]
	v_fma_f64 v[161:162], v[2:3], v[38:39], -v[40:41]
	ds_load_b128 v[2:5], v1 offset:1184
	scratch_load_b128 v[38:41], off, off offset:544
	v_add_f64_e32 v[149:150], v[149:150], v[159:160]
	v_add_f64_e32 v[151:152], v[151:152], v[157:158]
	v_fma_f64 v[155:156], v[8:9], v[141:142], v[155:156]
	v_fma_f64 v[159:160], v[6:7], v[141:142], -v[143:144]
	ds_load_b128 v[6:9], v1 offset:1200
	s_wait_loadcnt_dscnt 0x801
	v_mul_f64_e32 v[157:158], v[2:3], v[12:13]
	v_mul_f64_e32 v[12:13], v[4:5], v[12:13]
	scratch_load_b128 v[141:144], off, off offset:560
	v_add_f64_e32 v[149:150], v[149:150], v[161:162]
	v_add_f64_e32 v[151:152], v[151:152], v[153:154]
	s_wait_loadcnt_dscnt 0x800
	v_mul_f64_e32 v[153:154], v[6:7], v[16:17]
	v_mul_f64_e32 v[16:17], v[8:9], v[16:17]
	v_fma_f64 v[157:158], v[4:5], v[10:11], v[157:158]
	v_fma_f64 v[161:162], v[2:3], v[10:11], -v[12:13]
	ds_load_b128 v[2:5], v1 offset:1216
	scratch_load_b128 v[10:13], off, off offset:576
	v_add_f64_e32 v[149:150], v[149:150], v[159:160]
	v_add_f64_e32 v[151:152], v[151:152], v[155:156]
	v_fma_f64 v[153:154], v[8:9], v[14:15], v[153:154]
	v_fma_f64 v[159:160], v[6:7], v[14:15], -v[16:17]
	ds_load_b128 v[6:9], v1 offset:1232
	s_wait_loadcnt_dscnt 0x801
	v_mul_f64_e32 v[155:156], v[2:3], v[20:21]
	v_mul_f64_e32 v[20:21], v[4:5], v[20:21]
	scratch_load_b128 v[14:17], off, off offset:592
	;; [unrolled: 18-line block ×8, first 2 shown]
	v_add_f64_e32 v[149:150], v[149:150], v[161:162]
	v_add_f64_e32 v[151:152], v[151:152], v[157:158]
	s_wait_loadcnt_dscnt 0x800
	v_mul_f64_e32 v[157:158], v[6:7], v[32:33]
	v_mul_f64_e32 v[32:33], v[8:9], v[32:33]
	v_fma_f64 v[155:156], v[4:5], v[26:27], v[155:156]
	v_fma_f64 v[26:27], v[2:3], v[26:27], -v[28:29]
	ds_load_b128 v[2:5], v1 offset:1440
	v_add_f64_e32 v[28:29], v[149:150], v[159:160]
	v_add_f64_e32 v[149:150], v[151:152], v[153:154]
	v_fma_f64 v[153:154], v[8:9], v[30:31], v[157:158]
	v_fma_f64 v[30:31], v[6:7], v[30:31], -v[32:33]
	ds_load_b128 v[6:9], v1 offset:1456
	s_wait_loadcnt_dscnt 0x701
	v_mul_f64_e32 v[151:152], v[2:3], v[36:37]
	v_mul_f64_e32 v[36:37], v[4:5], v[36:37]
	v_add_f64_e32 v[26:27], v[28:29], v[26:27]
	v_add_f64_e32 v[28:29], v[149:150], v[155:156]
	s_delay_alu instid0(VALU_DEP_4) | instskip(NEXT) | instid1(VALU_DEP_4)
	v_fma_f64 v[149:150], v[4:5], v[34:35], v[151:152]
	v_fma_f64 v[34:35], v[2:3], v[34:35], -v[36:37]
	ds_load_b128 v[2:5], v1 offset:1472
	v_add_f64_e32 v[30:31], v[26:27], v[30:31]
	v_add_f64_e32 v[36:37], v[28:29], v[153:154]
	scratch_load_b128 v[26:29], off, off offset:208
	s_wait_loadcnt_dscnt 0x701
	v_mul_f64_e32 v[32:33], v[6:7], v[147:148]
	v_mul_f64_e32 v[147:148], v[8:9], v[147:148]
	v_add_f64_e32 v[30:31], v[30:31], v[34:35]
	v_add_f64_e32 v[34:35], v[36:37], v[149:150]
	s_delay_alu instid0(VALU_DEP_4) | instskip(NEXT) | instid1(VALU_DEP_4)
	v_fma_f64 v[32:33], v[8:9], v[145:146], v[32:33]
	v_fma_f64 v[145:146], v[6:7], v[145:146], -v[147:148]
	ds_load_b128 v[6:9], v1 offset:1488
	s_wait_loadcnt_dscnt 0x601
	v_mul_f64_e32 v[151:152], v[2:3], v[40:41]
	v_mul_f64_e32 v[40:41], v[4:5], v[40:41]
	s_wait_loadcnt_dscnt 0x500
	v_mul_f64_e32 v[36:37], v[6:7], v[143:144]
	v_mul_f64_e32 v[143:144], v[8:9], v[143:144]
	v_add_f64_e32 v[32:33], v[34:35], v[32:33]
	v_add_f64_e32 v[30:31], v[30:31], v[145:146]
	v_fma_f64 v[147:148], v[4:5], v[38:39], v[151:152]
	v_fma_f64 v[38:39], v[2:3], v[38:39], -v[40:41]
	ds_load_b128 v[2:5], v1 offset:1504
	v_fma_f64 v[36:37], v[8:9], v[141:142], v[36:37]
	v_fma_f64 v[40:41], v[6:7], v[141:142], -v[143:144]
	ds_load_b128 v[6:9], v1 offset:1520
	s_wait_loadcnt_dscnt 0x401
	v_mul_f64_e32 v[34:35], v[2:3], v[12:13]
	v_mul_f64_e32 v[12:13], v[4:5], v[12:13]
	v_add_f64_e32 v[32:33], v[32:33], v[147:148]
	v_add_f64_e32 v[30:31], v[30:31], v[38:39]
	s_wait_loadcnt_dscnt 0x300
	v_mul_f64_e32 v[38:39], v[6:7], v[16:17]
	v_mul_f64_e32 v[16:17], v[8:9], v[16:17]
	v_fma_f64 v[34:35], v[4:5], v[10:11], v[34:35]
	v_fma_f64 v[10:11], v[2:3], v[10:11], -v[12:13]
	ds_load_b128 v[2:5], v1 offset:1536
	v_add_f64_e32 v[12:13], v[30:31], v[40:41]
	v_add_f64_e32 v[30:31], v[32:33], v[36:37]
	v_fma_f64 v[36:37], v[8:9], v[14:15], v[38:39]
	v_fma_f64 v[14:15], v[6:7], v[14:15], -v[16:17]
	ds_load_b128 v[6:9], v1 offset:1552
	s_wait_loadcnt_dscnt 0x201
	v_mul_f64_e32 v[32:33], v[2:3], v[20:21]
	v_mul_f64_e32 v[20:21], v[4:5], v[20:21]
	s_wait_loadcnt_dscnt 0x100
	v_mul_f64_e32 v[16:17], v[6:7], v[24:25]
	v_mul_f64_e32 v[24:25], v[8:9], v[24:25]
	v_add_f64_e32 v[10:11], v[12:13], v[10:11]
	v_add_f64_e32 v[12:13], v[30:31], v[34:35]
	v_fma_f64 v[4:5], v[4:5], v[18:19], v[32:33]
	v_fma_f64 v[1:2], v[2:3], v[18:19], -v[20:21]
	v_fma_f64 v[8:9], v[8:9], v[22:23], v[16:17]
	v_fma_f64 v[6:7], v[6:7], v[22:23], -v[24:25]
	v_add_f64_e32 v[10:11], v[10:11], v[14:15]
	v_add_f64_e32 v[12:13], v[12:13], v[36:37]
	s_delay_alu instid0(VALU_DEP_2) | instskip(NEXT) | instid1(VALU_DEP_2)
	v_add_f64_e32 v[1:2], v[10:11], v[1:2]
	v_add_f64_e32 v[3:4], v[12:13], v[4:5]
	s_delay_alu instid0(VALU_DEP_2) | instskip(NEXT) | instid1(VALU_DEP_2)
	v_add_f64_e32 v[1:2], v[1:2], v[6:7]
	v_add_f64_e32 v[3:4], v[3:4], v[8:9]
	s_wait_loadcnt 0x0
	s_delay_alu instid0(VALU_DEP_2) | instskip(NEXT) | instid1(VALU_DEP_2)
	v_add_f64_e64 v[1:2], v[26:27], -v[1:2]
	v_add_f64_e64 v[3:4], v[28:29], -v[3:4]
	scratch_store_b128 off, v[1:4], off offset:208
	v_cmpx_lt_u32_e32 11, v0
	s_cbranch_execz .LBB48_285
; %bb.284:
	scratch_load_b128 v[1:4], off, s51
	v_mov_b32_e32 v5, 0
	s_delay_alu instid0(VALU_DEP_1)
	v_dual_mov_b32 v6, v5 :: v_dual_mov_b32 v7, v5
	v_mov_b32_e32 v8, v5
	scratch_store_b128 off, v[5:8], off offset:192
	s_wait_loadcnt 0x0
	ds_store_b128 v140, v[1:4]
.LBB48_285:
	s_wait_alu 0xfffe
	s_or_b32 exec_lo, exec_lo, s0
	s_wait_storecnt_dscnt 0x0
	s_barrier_signal -1
	s_barrier_wait -1
	global_inv scope:SCOPE_SE
	s_clause 0x7
	scratch_load_b128 v[2:5], off, off offset:208
	scratch_load_b128 v[6:9], off, off offset:224
	;; [unrolled: 1-line block ×8, first 2 shown]
	v_mov_b32_e32 v1, 0
	s_clause 0x1
	scratch_load_b128 v[34:37], off, off offset:336
	scratch_load_b128 v[145:148], off, off offset:352
	s_mov_b32 s0, exec_lo
	ds_load_b128 v[38:41], v1 offset:976
	ds_load_b128 v[141:144], v1 offset:992
	s_wait_loadcnt_dscnt 0x901
	v_mul_f64_e32 v[149:150], v[40:41], v[4:5]
	v_mul_f64_e32 v[4:5], v[38:39], v[4:5]
	s_wait_loadcnt_dscnt 0x800
	v_mul_f64_e32 v[151:152], v[141:142], v[8:9]
	v_mul_f64_e32 v[8:9], v[143:144], v[8:9]
	s_delay_alu instid0(VALU_DEP_4) | instskip(NEXT) | instid1(VALU_DEP_4)
	v_fma_f64 v[149:150], v[38:39], v[2:3], -v[149:150]
	v_fma_f64 v[153:154], v[40:41], v[2:3], v[4:5]
	ds_load_b128 v[2:5], v1 offset:1008
	scratch_load_b128 v[38:41], off, off offset:368
	v_fma_f64 v[151:152], v[143:144], v[6:7], v[151:152]
	v_fma_f64 v[157:158], v[141:142], v[6:7], -v[8:9]
	ds_load_b128 v[6:9], v1 offset:1024
	scratch_load_b128 v[141:144], off, off offset:384
	s_wait_loadcnt_dscnt 0x901
	v_mul_f64_e32 v[155:156], v[2:3], v[12:13]
	v_mul_f64_e32 v[12:13], v[4:5], v[12:13]
	s_wait_loadcnt_dscnt 0x800
	v_mul_f64_e32 v[159:160], v[6:7], v[16:17]
	v_mul_f64_e32 v[16:17], v[8:9], v[16:17]
	v_add_f64_e32 v[149:150], 0, v[149:150]
	v_add_f64_e32 v[153:154], 0, v[153:154]
	v_fma_f64 v[155:156], v[4:5], v[10:11], v[155:156]
	v_fma_f64 v[161:162], v[2:3], v[10:11], -v[12:13]
	ds_load_b128 v[2:5], v1 offset:1040
	scratch_load_b128 v[10:13], off, off offset:400
	v_add_f64_e32 v[149:150], v[149:150], v[157:158]
	v_add_f64_e32 v[151:152], v[153:154], v[151:152]
	v_fma_f64 v[157:158], v[8:9], v[14:15], v[159:160]
	v_fma_f64 v[159:160], v[6:7], v[14:15], -v[16:17]
	ds_load_b128 v[6:9], v1 offset:1056
	scratch_load_b128 v[14:17], off, off offset:416
	s_wait_loadcnt_dscnt 0x901
	v_mul_f64_e32 v[153:154], v[2:3], v[20:21]
	v_mul_f64_e32 v[20:21], v[4:5], v[20:21]
	v_add_f64_e32 v[149:150], v[149:150], v[161:162]
	v_add_f64_e32 v[151:152], v[151:152], v[155:156]
	s_wait_loadcnt_dscnt 0x800
	v_mul_f64_e32 v[155:156], v[6:7], v[24:25]
	v_mul_f64_e32 v[24:25], v[8:9], v[24:25]
	v_fma_f64 v[153:154], v[4:5], v[18:19], v[153:154]
	v_fma_f64 v[161:162], v[2:3], v[18:19], -v[20:21]
	ds_load_b128 v[2:5], v1 offset:1072
	scratch_load_b128 v[18:21], off, off offset:432
	v_add_f64_e32 v[149:150], v[149:150], v[159:160]
	v_add_f64_e32 v[151:152], v[151:152], v[157:158]
	v_fma_f64 v[155:156], v[8:9], v[22:23], v[155:156]
	v_fma_f64 v[159:160], v[6:7], v[22:23], -v[24:25]
	ds_load_b128 v[6:9], v1 offset:1088
	s_wait_loadcnt_dscnt 0x801
	v_mul_f64_e32 v[157:158], v[2:3], v[28:29]
	v_mul_f64_e32 v[28:29], v[4:5], v[28:29]
	scratch_load_b128 v[22:25], off, off offset:448
	v_add_f64_e32 v[149:150], v[149:150], v[161:162]
	v_add_f64_e32 v[151:152], v[151:152], v[153:154]
	s_wait_loadcnt_dscnt 0x800
	v_mul_f64_e32 v[153:154], v[6:7], v[32:33]
	v_mul_f64_e32 v[32:33], v[8:9], v[32:33]
	v_fma_f64 v[157:158], v[4:5], v[26:27], v[157:158]
	v_fma_f64 v[161:162], v[2:3], v[26:27], -v[28:29]
	ds_load_b128 v[2:5], v1 offset:1104
	scratch_load_b128 v[26:29], off, off offset:464
	v_add_f64_e32 v[149:150], v[149:150], v[159:160]
	v_add_f64_e32 v[151:152], v[151:152], v[155:156]
	v_fma_f64 v[153:154], v[8:9], v[30:31], v[153:154]
	v_fma_f64 v[159:160], v[6:7], v[30:31], -v[32:33]
	ds_load_b128 v[6:9], v1 offset:1120
	s_wait_loadcnt_dscnt 0x801
	v_mul_f64_e32 v[155:156], v[2:3], v[36:37]
	v_mul_f64_e32 v[36:37], v[4:5], v[36:37]
	scratch_load_b128 v[30:33], off, off offset:480
	v_add_f64_e32 v[149:150], v[149:150], v[161:162]
	v_add_f64_e32 v[151:152], v[151:152], v[157:158]
	s_wait_loadcnt_dscnt 0x800
	v_mul_f64_e32 v[157:158], v[6:7], v[147:148]
	v_mul_f64_e32 v[147:148], v[8:9], v[147:148]
	v_fma_f64 v[155:156], v[4:5], v[34:35], v[155:156]
	v_fma_f64 v[161:162], v[2:3], v[34:35], -v[36:37]
	ds_load_b128 v[2:5], v1 offset:1136
	scratch_load_b128 v[34:37], off, off offset:496
	v_add_f64_e32 v[149:150], v[149:150], v[159:160]
	v_add_f64_e32 v[151:152], v[151:152], v[153:154]
	v_fma_f64 v[157:158], v[8:9], v[145:146], v[157:158]
	v_fma_f64 v[159:160], v[6:7], v[145:146], -v[147:148]
	ds_load_b128 v[6:9], v1 offset:1152
	scratch_load_b128 v[145:148], off, off offset:512
	s_wait_loadcnt_dscnt 0x901
	v_mul_f64_e32 v[153:154], v[2:3], v[40:41]
	v_mul_f64_e32 v[40:41], v[4:5], v[40:41]
	v_add_f64_e32 v[149:150], v[149:150], v[161:162]
	v_add_f64_e32 v[151:152], v[151:152], v[155:156]
	s_wait_loadcnt_dscnt 0x800
	v_mul_f64_e32 v[155:156], v[6:7], v[143:144]
	v_mul_f64_e32 v[143:144], v[8:9], v[143:144]
	v_fma_f64 v[153:154], v[4:5], v[38:39], v[153:154]
	v_fma_f64 v[161:162], v[2:3], v[38:39], -v[40:41]
	ds_load_b128 v[2:5], v1 offset:1168
	scratch_load_b128 v[38:41], off, off offset:528
	v_add_f64_e32 v[149:150], v[149:150], v[159:160]
	v_add_f64_e32 v[151:152], v[151:152], v[157:158]
	v_fma_f64 v[155:156], v[8:9], v[141:142], v[155:156]
	v_fma_f64 v[159:160], v[6:7], v[141:142], -v[143:144]
	ds_load_b128 v[6:9], v1 offset:1184
	s_wait_loadcnt_dscnt 0x801
	v_mul_f64_e32 v[157:158], v[2:3], v[12:13]
	v_mul_f64_e32 v[12:13], v[4:5], v[12:13]
	scratch_load_b128 v[141:144], off, off offset:544
	v_add_f64_e32 v[149:150], v[149:150], v[161:162]
	v_add_f64_e32 v[151:152], v[151:152], v[153:154]
	s_wait_loadcnt_dscnt 0x800
	v_mul_f64_e32 v[153:154], v[6:7], v[16:17]
	v_mul_f64_e32 v[16:17], v[8:9], v[16:17]
	v_fma_f64 v[157:158], v[4:5], v[10:11], v[157:158]
	v_fma_f64 v[161:162], v[2:3], v[10:11], -v[12:13]
	ds_load_b128 v[2:5], v1 offset:1200
	scratch_load_b128 v[10:13], off, off offset:560
	v_add_f64_e32 v[149:150], v[149:150], v[159:160]
	v_add_f64_e32 v[151:152], v[151:152], v[155:156]
	v_fma_f64 v[153:154], v[8:9], v[14:15], v[153:154]
	v_fma_f64 v[159:160], v[6:7], v[14:15], -v[16:17]
	ds_load_b128 v[6:9], v1 offset:1216
	s_wait_loadcnt_dscnt 0x801
	v_mul_f64_e32 v[155:156], v[2:3], v[20:21]
	v_mul_f64_e32 v[20:21], v[4:5], v[20:21]
	scratch_load_b128 v[14:17], off, off offset:576
	;; [unrolled: 18-line block ×8, first 2 shown]
	v_add_f64_e32 v[149:150], v[149:150], v[161:162]
	v_add_f64_e32 v[151:152], v[151:152], v[157:158]
	s_wait_loadcnt_dscnt 0x800
	v_mul_f64_e32 v[157:158], v[6:7], v[32:33]
	v_mul_f64_e32 v[32:33], v[8:9], v[32:33]
	v_fma_f64 v[155:156], v[4:5], v[26:27], v[155:156]
	v_fma_f64 v[161:162], v[2:3], v[26:27], -v[28:29]
	ds_load_b128 v[2:5], v1 offset:1424
	scratch_load_b128 v[26:29], off, off offset:784
	v_add_f64_e32 v[149:150], v[149:150], v[159:160]
	v_add_f64_e32 v[151:152], v[151:152], v[153:154]
	v_fma_f64 v[157:158], v[8:9], v[30:31], v[157:158]
	v_fma_f64 v[30:31], v[6:7], v[30:31], -v[32:33]
	ds_load_b128 v[6:9], v1 offset:1440
	s_wait_loadcnt_dscnt 0x801
	v_mul_f64_e32 v[153:154], v[2:3], v[36:37]
	v_mul_f64_e32 v[36:37], v[4:5], v[36:37]
	v_add_f64_e32 v[32:33], v[149:150], v[161:162]
	v_add_f64_e32 v[149:150], v[151:152], v[155:156]
	s_wait_loadcnt_dscnt 0x700
	v_mul_f64_e32 v[151:152], v[6:7], v[147:148]
	v_mul_f64_e32 v[147:148], v[8:9], v[147:148]
	v_fma_f64 v[153:154], v[4:5], v[34:35], v[153:154]
	v_fma_f64 v[34:35], v[2:3], v[34:35], -v[36:37]
	ds_load_b128 v[2:5], v1 offset:1456
	v_add_f64_e32 v[30:31], v[32:33], v[30:31]
	v_add_f64_e32 v[32:33], v[149:150], v[157:158]
	v_fma_f64 v[149:150], v[8:9], v[145:146], v[151:152]
	v_fma_f64 v[145:146], v[6:7], v[145:146], -v[147:148]
	ds_load_b128 v[6:9], v1 offset:1472
	s_wait_loadcnt_dscnt 0x500
	v_mul_f64_e32 v[151:152], v[6:7], v[143:144]
	v_mul_f64_e32 v[143:144], v[8:9], v[143:144]
	v_add_f64_e32 v[34:35], v[30:31], v[34:35]
	v_add_f64_e32 v[147:148], v[32:33], v[153:154]
	scratch_load_b128 v[30:33], off, off offset:192
	v_mul_f64_e32 v[36:37], v[2:3], v[40:41]
	v_mul_f64_e32 v[40:41], v[4:5], v[40:41]
	v_add_f64_e32 v[34:35], v[34:35], v[145:146]
	s_delay_alu instid0(VALU_DEP_3) | instskip(NEXT) | instid1(VALU_DEP_3)
	v_fma_f64 v[36:37], v[4:5], v[38:39], v[36:37]
	v_fma_f64 v[38:39], v[2:3], v[38:39], -v[40:41]
	v_add_f64_e32 v[40:41], v[147:148], v[149:150]
	ds_load_b128 v[2:5], v1 offset:1488
	v_fma_f64 v[147:148], v[8:9], v[141:142], v[151:152]
	v_fma_f64 v[141:142], v[6:7], v[141:142], -v[143:144]
	ds_load_b128 v[6:9], v1 offset:1504
	s_wait_loadcnt_dscnt 0x501
	v_mul_f64_e32 v[145:146], v[2:3], v[12:13]
	v_mul_f64_e32 v[12:13], v[4:5], v[12:13]
	v_add_f64_e32 v[34:35], v[34:35], v[38:39]
	v_add_f64_e32 v[36:37], v[40:41], v[36:37]
	s_wait_loadcnt_dscnt 0x400
	v_mul_f64_e32 v[38:39], v[6:7], v[16:17]
	v_mul_f64_e32 v[16:17], v[8:9], v[16:17]
	v_fma_f64 v[40:41], v[4:5], v[10:11], v[145:146]
	v_fma_f64 v[10:11], v[2:3], v[10:11], -v[12:13]
	ds_load_b128 v[2:5], v1 offset:1520
	v_add_f64_e32 v[12:13], v[34:35], v[141:142]
	v_add_f64_e32 v[34:35], v[36:37], v[147:148]
	v_fma_f64 v[38:39], v[8:9], v[14:15], v[38:39]
	v_fma_f64 v[14:15], v[6:7], v[14:15], -v[16:17]
	ds_load_b128 v[6:9], v1 offset:1536
	s_wait_loadcnt_dscnt 0x301
	v_mul_f64_e32 v[36:37], v[2:3], v[20:21]
	v_mul_f64_e32 v[20:21], v[4:5], v[20:21]
	s_wait_loadcnt_dscnt 0x200
	v_mul_f64_e32 v[16:17], v[6:7], v[24:25]
	v_mul_f64_e32 v[24:25], v[8:9], v[24:25]
	v_add_f64_e32 v[10:11], v[12:13], v[10:11]
	v_add_f64_e32 v[12:13], v[34:35], v[40:41]
	v_fma_f64 v[34:35], v[4:5], v[18:19], v[36:37]
	v_fma_f64 v[18:19], v[2:3], v[18:19], -v[20:21]
	ds_load_b128 v[2:5], v1 offset:1552
	v_fma_f64 v[8:9], v[8:9], v[22:23], v[16:17]
	v_fma_f64 v[6:7], v[6:7], v[22:23], -v[24:25]
	s_wait_loadcnt_dscnt 0x100
	v_mul_f64_e32 v[20:21], v[4:5], v[28:29]
	v_add_f64_e32 v[10:11], v[10:11], v[14:15]
	v_add_f64_e32 v[12:13], v[12:13], v[38:39]
	v_mul_f64_e32 v[14:15], v[2:3], v[28:29]
	s_delay_alu instid0(VALU_DEP_4) | instskip(NEXT) | instid1(VALU_DEP_4)
	v_fma_f64 v[2:3], v[2:3], v[26:27], -v[20:21]
	v_add_f64_e32 v[10:11], v[10:11], v[18:19]
	s_delay_alu instid0(VALU_DEP_4) | instskip(NEXT) | instid1(VALU_DEP_4)
	v_add_f64_e32 v[12:13], v[12:13], v[34:35]
	v_fma_f64 v[4:5], v[4:5], v[26:27], v[14:15]
	s_delay_alu instid0(VALU_DEP_3) | instskip(NEXT) | instid1(VALU_DEP_3)
	v_add_f64_e32 v[6:7], v[10:11], v[6:7]
	v_add_f64_e32 v[8:9], v[12:13], v[8:9]
	s_delay_alu instid0(VALU_DEP_2) | instskip(NEXT) | instid1(VALU_DEP_2)
	v_add_f64_e32 v[2:3], v[6:7], v[2:3]
	v_add_f64_e32 v[4:5], v[8:9], v[4:5]
	s_wait_loadcnt 0x0
	s_delay_alu instid0(VALU_DEP_2) | instskip(NEXT) | instid1(VALU_DEP_2)
	v_add_f64_e64 v[2:3], v[30:31], -v[2:3]
	v_add_f64_e64 v[4:5], v[32:33], -v[4:5]
	scratch_store_b128 off, v[2:5], off offset:192
	v_cmpx_lt_u32_e32 10, v0
	s_cbranch_execz .LBB48_287
; %bb.286:
	scratch_load_b128 v[5:8], off, s52
	v_dual_mov_b32 v2, v1 :: v_dual_mov_b32 v3, v1
	v_mov_b32_e32 v4, v1
	scratch_store_b128 off, v[1:4], off offset:176
	s_wait_loadcnt 0x0
	ds_store_b128 v140, v[5:8]
.LBB48_287:
	s_wait_alu 0xfffe
	s_or_b32 exec_lo, exec_lo, s0
	s_wait_storecnt_dscnt 0x0
	s_barrier_signal -1
	s_barrier_wait -1
	global_inv scope:SCOPE_SE
	s_clause 0x7
	scratch_load_b128 v[2:5], off, off offset:192
	scratch_load_b128 v[6:9], off, off offset:208
	;; [unrolled: 1-line block ×8, first 2 shown]
	ds_load_b128 v[38:41], v1 offset:960
	ds_load_b128 v[141:144], v1 offset:976
	s_clause 0x1
	scratch_load_b128 v[34:37], off, off offset:320
	scratch_load_b128 v[145:148], off, off offset:336
	s_mov_b32 s0, exec_lo
	s_wait_loadcnt_dscnt 0x901
	v_mul_f64_e32 v[149:150], v[40:41], v[4:5]
	v_mul_f64_e32 v[4:5], v[38:39], v[4:5]
	s_wait_loadcnt_dscnt 0x800
	v_mul_f64_e32 v[151:152], v[141:142], v[8:9]
	v_mul_f64_e32 v[8:9], v[143:144], v[8:9]
	s_delay_alu instid0(VALU_DEP_4) | instskip(NEXT) | instid1(VALU_DEP_4)
	v_fma_f64 v[149:150], v[38:39], v[2:3], -v[149:150]
	v_fma_f64 v[153:154], v[40:41], v[2:3], v[4:5]
	ds_load_b128 v[2:5], v1 offset:992
	scratch_load_b128 v[38:41], off, off offset:352
	v_fma_f64 v[151:152], v[143:144], v[6:7], v[151:152]
	v_fma_f64 v[157:158], v[141:142], v[6:7], -v[8:9]
	ds_load_b128 v[6:9], v1 offset:1008
	scratch_load_b128 v[141:144], off, off offset:368
	s_wait_loadcnt_dscnt 0x901
	v_mul_f64_e32 v[155:156], v[2:3], v[12:13]
	v_mul_f64_e32 v[12:13], v[4:5], v[12:13]
	s_wait_loadcnt_dscnt 0x800
	v_mul_f64_e32 v[159:160], v[6:7], v[16:17]
	v_mul_f64_e32 v[16:17], v[8:9], v[16:17]
	v_add_f64_e32 v[149:150], 0, v[149:150]
	v_add_f64_e32 v[153:154], 0, v[153:154]
	v_fma_f64 v[155:156], v[4:5], v[10:11], v[155:156]
	v_fma_f64 v[161:162], v[2:3], v[10:11], -v[12:13]
	ds_load_b128 v[2:5], v1 offset:1024
	scratch_load_b128 v[10:13], off, off offset:384
	v_add_f64_e32 v[149:150], v[149:150], v[157:158]
	v_add_f64_e32 v[151:152], v[153:154], v[151:152]
	v_fma_f64 v[157:158], v[8:9], v[14:15], v[159:160]
	v_fma_f64 v[159:160], v[6:7], v[14:15], -v[16:17]
	ds_load_b128 v[6:9], v1 offset:1040
	scratch_load_b128 v[14:17], off, off offset:400
	s_wait_loadcnt_dscnt 0x901
	v_mul_f64_e32 v[153:154], v[2:3], v[20:21]
	v_mul_f64_e32 v[20:21], v[4:5], v[20:21]
	v_add_f64_e32 v[149:150], v[149:150], v[161:162]
	v_add_f64_e32 v[151:152], v[151:152], v[155:156]
	s_wait_loadcnt_dscnt 0x800
	v_mul_f64_e32 v[155:156], v[6:7], v[24:25]
	v_mul_f64_e32 v[24:25], v[8:9], v[24:25]
	v_fma_f64 v[153:154], v[4:5], v[18:19], v[153:154]
	v_fma_f64 v[161:162], v[2:3], v[18:19], -v[20:21]
	ds_load_b128 v[2:5], v1 offset:1056
	scratch_load_b128 v[18:21], off, off offset:416
	v_add_f64_e32 v[149:150], v[149:150], v[159:160]
	v_add_f64_e32 v[151:152], v[151:152], v[157:158]
	v_fma_f64 v[155:156], v[8:9], v[22:23], v[155:156]
	v_fma_f64 v[159:160], v[6:7], v[22:23], -v[24:25]
	ds_load_b128 v[6:9], v1 offset:1072
	s_wait_loadcnt_dscnt 0x801
	v_mul_f64_e32 v[157:158], v[2:3], v[28:29]
	v_mul_f64_e32 v[28:29], v[4:5], v[28:29]
	scratch_load_b128 v[22:25], off, off offset:432
	v_add_f64_e32 v[149:150], v[149:150], v[161:162]
	v_add_f64_e32 v[151:152], v[151:152], v[153:154]
	s_wait_loadcnt_dscnt 0x800
	v_mul_f64_e32 v[153:154], v[6:7], v[32:33]
	v_mul_f64_e32 v[32:33], v[8:9], v[32:33]
	v_fma_f64 v[157:158], v[4:5], v[26:27], v[157:158]
	v_fma_f64 v[161:162], v[2:3], v[26:27], -v[28:29]
	ds_load_b128 v[2:5], v1 offset:1088
	scratch_load_b128 v[26:29], off, off offset:448
	v_add_f64_e32 v[149:150], v[149:150], v[159:160]
	v_add_f64_e32 v[151:152], v[151:152], v[155:156]
	v_fma_f64 v[153:154], v[8:9], v[30:31], v[153:154]
	v_fma_f64 v[159:160], v[6:7], v[30:31], -v[32:33]
	ds_load_b128 v[6:9], v1 offset:1104
	s_wait_loadcnt_dscnt 0x801
	v_mul_f64_e32 v[155:156], v[2:3], v[36:37]
	v_mul_f64_e32 v[36:37], v[4:5], v[36:37]
	scratch_load_b128 v[30:33], off, off offset:464
	v_add_f64_e32 v[149:150], v[149:150], v[161:162]
	v_add_f64_e32 v[151:152], v[151:152], v[157:158]
	s_wait_loadcnt_dscnt 0x800
	v_mul_f64_e32 v[157:158], v[6:7], v[147:148]
	v_mul_f64_e32 v[147:148], v[8:9], v[147:148]
	v_fma_f64 v[155:156], v[4:5], v[34:35], v[155:156]
	v_fma_f64 v[161:162], v[2:3], v[34:35], -v[36:37]
	ds_load_b128 v[2:5], v1 offset:1120
	scratch_load_b128 v[34:37], off, off offset:480
	v_add_f64_e32 v[149:150], v[149:150], v[159:160]
	v_add_f64_e32 v[151:152], v[151:152], v[153:154]
	v_fma_f64 v[157:158], v[8:9], v[145:146], v[157:158]
	v_fma_f64 v[159:160], v[6:7], v[145:146], -v[147:148]
	ds_load_b128 v[6:9], v1 offset:1136
	scratch_load_b128 v[145:148], off, off offset:496
	s_wait_loadcnt_dscnt 0x901
	v_mul_f64_e32 v[153:154], v[2:3], v[40:41]
	v_mul_f64_e32 v[40:41], v[4:5], v[40:41]
	v_add_f64_e32 v[149:150], v[149:150], v[161:162]
	v_add_f64_e32 v[151:152], v[151:152], v[155:156]
	s_wait_loadcnt_dscnt 0x800
	v_mul_f64_e32 v[155:156], v[6:7], v[143:144]
	v_mul_f64_e32 v[143:144], v[8:9], v[143:144]
	v_fma_f64 v[153:154], v[4:5], v[38:39], v[153:154]
	v_fma_f64 v[161:162], v[2:3], v[38:39], -v[40:41]
	ds_load_b128 v[2:5], v1 offset:1152
	scratch_load_b128 v[38:41], off, off offset:512
	v_add_f64_e32 v[149:150], v[149:150], v[159:160]
	v_add_f64_e32 v[151:152], v[151:152], v[157:158]
	v_fma_f64 v[155:156], v[8:9], v[141:142], v[155:156]
	v_fma_f64 v[159:160], v[6:7], v[141:142], -v[143:144]
	ds_load_b128 v[6:9], v1 offset:1168
	s_wait_loadcnt_dscnt 0x801
	v_mul_f64_e32 v[157:158], v[2:3], v[12:13]
	v_mul_f64_e32 v[12:13], v[4:5], v[12:13]
	scratch_load_b128 v[141:144], off, off offset:528
	v_add_f64_e32 v[149:150], v[149:150], v[161:162]
	v_add_f64_e32 v[151:152], v[151:152], v[153:154]
	s_wait_loadcnt_dscnt 0x800
	v_mul_f64_e32 v[153:154], v[6:7], v[16:17]
	v_mul_f64_e32 v[16:17], v[8:9], v[16:17]
	v_fma_f64 v[157:158], v[4:5], v[10:11], v[157:158]
	v_fma_f64 v[161:162], v[2:3], v[10:11], -v[12:13]
	ds_load_b128 v[2:5], v1 offset:1184
	scratch_load_b128 v[10:13], off, off offset:544
	v_add_f64_e32 v[149:150], v[149:150], v[159:160]
	v_add_f64_e32 v[151:152], v[151:152], v[155:156]
	v_fma_f64 v[153:154], v[8:9], v[14:15], v[153:154]
	v_fma_f64 v[159:160], v[6:7], v[14:15], -v[16:17]
	ds_load_b128 v[6:9], v1 offset:1200
	s_wait_loadcnt_dscnt 0x801
	v_mul_f64_e32 v[155:156], v[2:3], v[20:21]
	v_mul_f64_e32 v[20:21], v[4:5], v[20:21]
	scratch_load_b128 v[14:17], off, off offset:560
	;; [unrolled: 18-line block ×9, first 2 shown]
	v_add_f64_e32 v[149:150], v[149:150], v[161:162]
	v_add_f64_e32 v[151:152], v[151:152], v[155:156]
	s_wait_loadcnt_dscnt 0x800
	v_mul_f64_e32 v[155:156], v[6:7], v[147:148]
	v_mul_f64_e32 v[147:148], v[8:9], v[147:148]
	v_fma_f64 v[153:154], v[4:5], v[34:35], v[153:154]
	v_fma_f64 v[34:35], v[2:3], v[34:35], -v[36:37]
	ds_load_b128 v[2:5], v1 offset:1440
	v_add_f64_e32 v[36:37], v[149:150], v[159:160]
	v_add_f64_e32 v[149:150], v[151:152], v[157:158]
	v_fma_f64 v[155:156], v[8:9], v[145:146], v[155:156]
	v_fma_f64 v[145:146], v[6:7], v[145:146], -v[147:148]
	ds_load_b128 v[6:9], v1 offset:1456
	s_wait_loadcnt_dscnt 0x701
	v_mul_f64_e32 v[151:152], v[2:3], v[40:41]
	v_mul_f64_e32 v[40:41], v[4:5], v[40:41]
	v_add_f64_e32 v[34:35], v[36:37], v[34:35]
	v_add_f64_e32 v[36:37], v[149:150], v[153:154]
	s_delay_alu instid0(VALU_DEP_4) | instskip(NEXT) | instid1(VALU_DEP_4)
	v_fma_f64 v[149:150], v[4:5], v[38:39], v[151:152]
	v_fma_f64 v[38:39], v[2:3], v[38:39], -v[40:41]
	ds_load_b128 v[2:5], v1 offset:1472
	v_add_f64_e32 v[40:41], v[34:35], v[145:146]
	v_add_f64_e32 v[145:146], v[36:37], v[155:156]
	scratch_load_b128 v[34:37], off, off offset:176
	s_wait_loadcnt_dscnt 0x701
	v_mul_f64_e32 v[147:148], v[6:7], v[143:144]
	v_mul_f64_e32 v[143:144], v[8:9], v[143:144]
	v_add_f64_e32 v[38:39], v[40:41], v[38:39]
	v_add_f64_e32 v[40:41], v[145:146], v[149:150]
	s_delay_alu instid0(VALU_DEP_4) | instskip(NEXT) | instid1(VALU_DEP_4)
	v_fma_f64 v[147:148], v[8:9], v[141:142], v[147:148]
	v_fma_f64 v[141:142], v[6:7], v[141:142], -v[143:144]
	ds_load_b128 v[6:9], v1 offset:1488
	s_wait_loadcnt_dscnt 0x601
	v_mul_f64_e32 v[151:152], v[2:3], v[12:13]
	v_mul_f64_e32 v[12:13], v[4:5], v[12:13]
	s_wait_loadcnt_dscnt 0x500
	v_mul_f64_e32 v[143:144], v[6:7], v[16:17]
	v_mul_f64_e32 v[16:17], v[8:9], v[16:17]
	s_delay_alu instid0(VALU_DEP_4) | instskip(NEXT) | instid1(VALU_DEP_4)
	v_fma_f64 v[145:146], v[4:5], v[10:11], v[151:152]
	v_fma_f64 v[10:11], v[2:3], v[10:11], -v[12:13]
	v_add_f64_e32 v[12:13], v[38:39], v[141:142]
	v_add_f64_e32 v[38:39], v[40:41], v[147:148]
	ds_load_b128 v[2:5], v1 offset:1504
	v_fma_f64 v[141:142], v[8:9], v[14:15], v[143:144]
	v_fma_f64 v[14:15], v[6:7], v[14:15], -v[16:17]
	ds_load_b128 v[6:9], v1 offset:1520
	s_wait_loadcnt_dscnt 0x401
	v_mul_f64_e32 v[40:41], v[2:3], v[20:21]
	v_mul_f64_e32 v[20:21], v[4:5], v[20:21]
	v_add_f64_e32 v[10:11], v[12:13], v[10:11]
	v_add_f64_e32 v[12:13], v[38:39], v[145:146]
	s_wait_loadcnt_dscnt 0x300
	v_mul_f64_e32 v[16:17], v[6:7], v[24:25]
	v_mul_f64_e32 v[24:25], v[8:9], v[24:25]
	v_fma_f64 v[38:39], v[4:5], v[18:19], v[40:41]
	v_fma_f64 v[18:19], v[2:3], v[18:19], -v[20:21]
	ds_load_b128 v[2:5], v1 offset:1536
	v_add_f64_e32 v[10:11], v[10:11], v[14:15]
	v_add_f64_e32 v[12:13], v[12:13], v[141:142]
	v_fma_f64 v[16:17], v[8:9], v[22:23], v[16:17]
	v_fma_f64 v[22:23], v[6:7], v[22:23], -v[24:25]
	ds_load_b128 v[6:9], v1 offset:1552
	s_wait_loadcnt_dscnt 0x201
	v_mul_f64_e32 v[14:15], v[2:3], v[28:29]
	v_mul_f64_e32 v[20:21], v[4:5], v[28:29]
	s_wait_loadcnt_dscnt 0x100
	v_mul_f64_e32 v[24:25], v[8:9], v[32:33]
	v_add_f64_e32 v[10:11], v[10:11], v[18:19]
	v_add_f64_e32 v[12:13], v[12:13], v[38:39]
	v_mul_f64_e32 v[18:19], v[6:7], v[32:33]
	v_fma_f64 v[4:5], v[4:5], v[26:27], v[14:15]
	v_fma_f64 v[1:2], v[2:3], v[26:27], -v[20:21]
	v_fma_f64 v[6:7], v[6:7], v[30:31], -v[24:25]
	v_add_f64_e32 v[10:11], v[10:11], v[22:23]
	v_add_f64_e32 v[12:13], v[12:13], v[16:17]
	v_fma_f64 v[8:9], v[8:9], v[30:31], v[18:19]
	s_delay_alu instid0(VALU_DEP_3) | instskip(NEXT) | instid1(VALU_DEP_3)
	v_add_f64_e32 v[1:2], v[10:11], v[1:2]
	v_add_f64_e32 v[3:4], v[12:13], v[4:5]
	s_delay_alu instid0(VALU_DEP_2) | instskip(NEXT) | instid1(VALU_DEP_2)
	v_add_f64_e32 v[1:2], v[1:2], v[6:7]
	v_add_f64_e32 v[3:4], v[3:4], v[8:9]
	s_wait_loadcnt 0x0
	s_delay_alu instid0(VALU_DEP_2) | instskip(NEXT) | instid1(VALU_DEP_2)
	v_add_f64_e64 v[1:2], v[34:35], -v[1:2]
	v_add_f64_e64 v[3:4], v[36:37], -v[3:4]
	scratch_store_b128 off, v[1:4], off offset:176
	v_cmpx_lt_u32_e32 9, v0
	s_cbranch_execz .LBB48_289
; %bb.288:
	scratch_load_b128 v[1:4], off, s53
	v_mov_b32_e32 v5, 0
	s_delay_alu instid0(VALU_DEP_1)
	v_dual_mov_b32 v6, v5 :: v_dual_mov_b32 v7, v5
	v_mov_b32_e32 v8, v5
	scratch_store_b128 off, v[5:8], off offset:160
	s_wait_loadcnt 0x0
	ds_store_b128 v140, v[1:4]
.LBB48_289:
	s_wait_alu 0xfffe
	s_or_b32 exec_lo, exec_lo, s0
	s_wait_storecnt_dscnt 0x0
	s_barrier_signal -1
	s_barrier_wait -1
	global_inv scope:SCOPE_SE
	s_clause 0x7
	scratch_load_b128 v[2:5], off, off offset:176
	scratch_load_b128 v[6:9], off, off offset:192
	;; [unrolled: 1-line block ×8, first 2 shown]
	v_mov_b32_e32 v1, 0
	s_clause 0x1
	scratch_load_b128 v[34:37], off, off offset:304
	scratch_load_b128 v[145:148], off, off offset:320
	s_mov_b32 s0, exec_lo
	ds_load_b128 v[38:41], v1 offset:944
	ds_load_b128 v[141:144], v1 offset:960
	s_wait_loadcnt_dscnt 0x901
	v_mul_f64_e32 v[149:150], v[40:41], v[4:5]
	v_mul_f64_e32 v[4:5], v[38:39], v[4:5]
	s_wait_loadcnt_dscnt 0x800
	v_mul_f64_e32 v[151:152], v[141:142], v[8:9]
	v_mul_f64_e32 v[8:9], v[143:144], v[8:9]
	s_delay_alu instid0(VALU_DEP_4) | instskip(NEXT) | instid1(VALU_DEP_4)
	v_fma_f64 v[149:150], v[38:39], v[2:3], -v[149:150]
	v_fma_f64 v[153:154], v[40:41], v[2:3], v[4:5]
	ds_load_b128 v[2:5], v1 offset:976
	scratch_load_b128 v[38:41], off, off offset:336
	v_fma_f64 v[151:152], v[143:144], v[6:7], v[151:152]
	v_fma_f64 v[157:158], v[141:142], v[6:7], -v[8:9]
	ds_load_b128 v[6:9], v1 offset:992
	scratch_load_b128 v[141:144], off, off offset:352
	s_wait_loadcnt_dscnt 0x901
	v_mul_f64_e32 v[155:156], v[2:3], v[12:13]
	v_mul_f64_e32 v[12:13], v[4:5], v[12:13]
	s_wait_loadcnt_dscnt 0x800
	v_mul_f64_e32 v[159:160], v[6:7], v[16:17]
	v_mul_f64_e32 v[16:17], v[8:9], v[16:17]
	v_add_f64_e32 v[149:150], 0, v[149:150]
	v_add_f64_e32 v[153:154], 0, v[153:154]
	v_fma_f64 v[155:156], v[4:5], v[10:11], v[155:156]
	v_fma_f64 v[161:162], v[2:3], v[10:11], -v[12:13]
	ds_load_b128 v[2:5], v1 offset:1008
	scratch_load_b128 v[10:13], off, off offset:368
	v_add_f64_e32 v[149:150], v[149:150], v[157:158]
	v_add_f64_e32 v[151:152], v[153:154], v[151:152]
	v_fma_f64 v[157:158], v[8:9], v[14:15], v[159:160]
	v_fma_f64 v[159:160], v[6:7], v[14:15], -v[16:17]
	ds_load_b128 v[6:9], v1 offset:1024
	scratch_load_b128 v[14:17], off, off offset:384
	s_wait_loadcnt_dscnt 0x901
	v_mul_f64_e32 v[153:154], v[2:3], v[20:21]
	v_mul_f64_e32 v[20:21], v[4:5], v[20:21]
	v_add_f64_e32 v[149:150], v[149:150], v[161:162]
	v_add_f64_e32 v[151:152], v[151:152], v[155:156]
	s_wait_loadcnt_dscnt 0x800
	v_mul_f64_e32 v[155:156], v[6:7], v[24:25]
	v_mul_f64_e32 v[24:25], v[8:9], v[24:25]
	v_fma_f64 v[153:154], v[4:5], v[18:19], v[153:154]
	v_fma_f64 v[161:162], v[2:3], v[18:19], -v[20:21]
	ds_load_b128 v[2:5], v1 offset:1040
	scratch_load_b128 v[18:21], off, off offset:400
	v_add_f64_e32 v[149:150], v[149:150], v[159:160]
	v_add_f64_e32 v[151:152], v[151:152], v[157:158]
	v_fma_f64 v[155:156], v[8:9], v[22:23], v[155:156]
	v_fma_f64 v[159:160], v[6:7], v[22:23], -v[24:25]
	ds_load_b128 v[6:9], v1 offset:1056
	s_wait_loadcnt_dscnt 0x801
	v_mul_f64_e32 v[157:158], v[2:3], v[28:29]
	v_mul_f64_e32 v[28:29], v[4:5], v[28:29]
	scratch_load_b128 v[22:25], off, off offset:416
	v_add_f64_e32 v[149:150], v[149:150], v[161:162]
	v_add_f64_e32 v[151:152], v[151:152], v[153:154]
	s_wait_loadcnt_dscnt 0x800
	v_mul_f64_e32 v[153:154], v[6:7], v[32:33]
	v_mul_f64_e32 v[32:33], v[8:9], v[32:33]
	v_fma_f64 v[157:158], v[4:5], v[26:27], v[157:158]
	v_fma_f64 v[161:162], v[2:3], v[26:27], -v[28:29]
	ds_load_b128 v[2:5], v1 offset:1072
	scratch_load_b128 v[26:29], off, off offset:432
	v_add_f64_e32 v[149:150], v[149:150], v[159:160]
	v_add_f64_e32 v[151:152], v[151:152], v[155:156]
	v_fma_f64 v[153:154], v[8:9], v[30:31], v[153:154]
	v_fma_f64 v[159:160], v[6:7], v[30:31], -v[32:33]
	ds_load_b128 v[6:9], v1 offset:1088
	s_wait_loadcnt_dscnt 0x801
	v_mul_f64_e32 v[155:156], v[2:3], v[36:37]
	v_mul_f64_e32 v[36:37], v[4:5], v[36:37]
	scratch_load_b128 v[30:33], off, off offset:448
	v_add_f64_e32 v[149:150], v[149:150], v[161:162]
	v_add_f64_e32 v[151:152], v[151:152], v[157:158]
	s_wait_loadcnt_dscnt 0x800
	v_mul_f64_e32 v[157:158], v[6:7], v[147:148]
	v_mul_f64_e32 v[147:148], v[8:9], v[147:148]
	v_fma_f64 v[155:156], v[4:5], v[34:35], v[155:156]
	v_fma_f64 v[161:162], v[2:3], v[34:35], -v[36:37]
	ds_load_b128 v[2:5], v1 offset:1104
	scratch_load_b128 v[34:37], off, off offset:464
	v_add_f64_e32 v[149:150], v[149:150], v[159:160]
	v_add_f64_e32 v[151:152], v[151:152], v[153:154]
	v_fma_f64 v[157:158], v[8:9], v[145:146], v[157:158]
	v_fma_f64 v[159:160], v[6:7], v[145:146], -v[147:148]
	ds_load_b128 v[6:9], v1 offset:1120
	scratch_load_b128 v[145:148], off, off offset:480
	s_wait_loadcnt_dscnt 0x901
	v_mul_f64_e32 v[153:154], v[2:3], v[40:41]
	v_mul_f64_e32 v[40:41], v[4:5], v[40:41]
	v_add_f64_e32 v[149:150], v[149:150], v[161:162]
	v_add_f64_e32 v[151:152], v[151:152], v[155:156]
	s_wait_loadcnt_dscnt 0x800
	v_mul_f64_e32 v[155:156], v[6:7], v[143:144]
	v_mul_f64_e32 v[143:144], v[8:9], v[143:144]
	v_fma_f64 v[153:154], v[4:5], v[38:39], v[153:154]
	v_fma_f64 v[161:162], v[2:3], v[38:39], -v[40:41]
	ds_load_b128 v[2:5], v1 offset:1136
	scratch_load_b128 v[38:41], off, off offset:496
	v_add_f64_e32 v[149:150], v[149:150], v[159:160]
	v_add_f64_e32 v[151:152], v[151:152], v[157:158]
	v_fma_f64 v[155:156], v[8:9], v[141:142], v[155:156]
	v_fma_f64 v[159:160], v[6:7], v[141:142], -v[143:144]
	ds_load_b128 v[6:9], v1 offset:1152
	s_wait_loadcnt_dscnt 0x801
	v_mul_f64_e32 v[157:158], v[2:3], v[12:13]
	v_mul_f64_e32 v[12:13], v[4:5], v[12:13]
	scratch_load_b128 v[141:144], off, off offset:512
	v_add_f64_e32 v[149:150], v[149:150], v[161:162]
	v_add_f64_e32 v[151:152], v[151:152], v[153:154]
	s_wait_loadcnt_dscnt 0x800
	v_mul_f64_e32 v[153:154], v[6:7], v[16:17]
	v_mul_f64_e32 v[16:17], v[8:9], v[16:17]
	v_fma_f64 v[157:158], v[4:5], v[10:11], v[157:158]
	v_fma_f64 v[161:162], v[2:3], v[10:11], -v[12:13]
	ds_load_b128 v[2:5], v1 offset:1168
	scratch_load_b128 v[10:13], off, off offset:528
	v_add_f64_e32 v[149:150], v[149:150], v[159:160]
	v_add_f64_e32 v[151:152], v[151:152], v[155:156]
	v_fma_f64 v[153:154], v[8:9], v[14:15], v[153:154]
	v_fma_f64 v[159:160], v[6:7], v[14:15], -v[16:17]
	ds_load_b128 v[6:9], v1 offset:1184
	s_wait_loadcnt_dscnt 0x801
	v_mul_f64_e32 v[155:156], v[2:3], v[20:21]
	v_mul_f64_e32 v[20:21], v[4:5], v[20:21]
	scratch_load_b128 v[14:17], off, off offset:544
	;; [unrolled: 18-line block ×9, first 2 shown]
	v_add_f64_e32 v[149:150], v[149:150], v[161:162]
	v_add_f64_e32 v[151:152], v[151:152], v[155:156]
	s_wait_loadcnt_dscnt 0x800
	v_mul_f64_e32 v[155:156], v[6:7], v[147:148]
	v_mul_f64_e32 v[147:148], v[8:9], v[147:148]
	v_fma_f64 v[153:154], v[4:5], v[34:35], v[153:154]
	v_fma_f64 v[161:162], v[2:3], v[34:35], -v[36:37]
	ds_load_b128 v[2:5], v1 offset:1424
	scratch_load_b128 v[34:37], off, off offset:784
	v_add_f64_e32 v[149:150], v[149:150], v[159:160]
	v_add_f64_e32 v[151:152], v[151:152], v[157:158]
	v_fma_f64 v[155:156], v[8:9], v[145:146], v[155:156]
	v_fma_f64 v[145:146], v[6:7], v[145:146], -v[147:148]
	ds_load_b128 v[6:9], v1 offset:1440
	s_wait_loadcnt_dscnt 0x801
	v_mul_f64_e32 v[157:158], v[2:3], v[40:41]
	v_mul_f64_e32 v[40:41], v[4:5], v[40:41]
	v_add_f64_e32 v[147:148], v[149:150], v[161:162]
	v_add_f64_e32 v[149:150], v[151:152], v[153:154]
	s_wait_loadcnt_dscnt 0x700
	v_mul_f64_e32 v[151:152], v[6:7], v[143:144]
	v_mul_f64_e32 v[143:144], v[8:9], v[143:144]
	v_fma_f64 v[153:154], v[4:5], v[38:39], v[157:158]
	v_fma_f64 v[38:39], v[2:3], v[38:39], -v[40:41]
	ds_load_b128 v[2:5], v1 offset:1456
	v_add_f64_e32 v[40:41], v[147:148], v[145:146]
	v_add_f64_e32 v[145:146], v[149:150], v[155:156]
	v_fma_f64 v[149:150], v[8:9], v[141:142], v[151:152]
	v_fma_f64 v[141:142], v[6:7], v[141:142], -v[143:144]
	ds_load_b128 v[6:9], v1 offset:1472
	s_wait_loadcnt_dscnt 0x500
	v_mul_f64_e32 v[151:152], v[6:7], v[16:17]
	v_mul_f64_e32 v[16:17], v[8:9], v[16:17]
	v_add_f64_e32 v[143:144], v[40:41], v[38:39]
	v_add_f64_e32 v[145:146], v[145:146], v[153:154]
	scratch_load_b128 v[38:41], off, off offset:160
	v_mul_f64_e32 v[147:148], v[2:3], v[12:13]
	v_mul_f64_e32 v[12:13], v[4:5], v[12:13]
	s_delay_alu instid0(VALU_DEP_2) | instskip(NEXT) | instid1(VALU_DEP_2)
	v_fma_f64 v[147:148], v[4:5], v[10:11], v[147:148]
	v_fma_f64 v[10:11], v[2:3], v[10:11], -v[12:13]
	v_add_f64_e32 v[12:13], v[143:144], v[141:142]
	v_add_f64_e32 v[141:142], v[145:146], v[149:150]
	ds_load_b128 v[2:5], v1 offset:1488
	v_fma_f64 v[145:146], v[8:9], v[14:15], v[151:152]
	v_fma_f64 v[14:15], v[6:7], v[14:15], -v[16:17]
	ds_load_b128 v[6:9], v1 offset:1504
	s_wait_loadcnt_dscnt 0x501
	v_mul_f64_e32 v[143:144], v[2:3], v[20:21]
	v_mul_f64_e32 v[20:21], v[4:5], v[20:21]
	s_wait_loadcnt_dscnt 0x400
	v_mul_f64_e32 v[16:17], v[6:7], v[24:25]
	v_mul_f64_e32 v[24:25], v[8:9], v[24:25]
	v_add_f64_e32 v[10:11], v[12:13], v[10:11]
	v_add_f64_e32 v[12:13], v[141:142], v[147:148]
	v_fma_f64 v[141:142], v[4:5], v[18:19], v[143:144]
	v_fma_f64 v[18:19], v[2:3], v[18:19], -v[20:21]
	ds_load_b128 v[2:5], v1 offset:1520
	v_fma_f64 v[16:17], v[8:9], v[22:23], v[16:17]
	v_fma_f64 v[22:23], v[6:7], v[22:23], -v[24:25]
	ds_load_b128 v[6:9], v1 offset:1536
	v_add_f64_e32 v[10:11], v[10:11], v[14:15]
	v_add_f64_e32 v[12:13], v[12:13], v[145:146]
	s_wait_loadcnt_dscnt 0x301
	v_mul_f64_e32 v[14:15], v[2:3], v[28:29]
	v_mul_f64_e32 v[20:21], v[4:5], v[28:29]
	s_wait_loadcnt_dscnt 0x200
	v_mul_f64_e32 v[24:25], v[8:9], v[32:33]
	v_add_f64_e32 v[10:11], v[10:11], v[18:19]
	v_add_f64_e32 v[12:13], v[12:13], v[141:142]
	v_mul_f64_e32 v[18:19], v[6:7], v[32:33]
	v_fma_f64 v[14:15], v[4:5], v[26:27], v[14:15]
	v_fma_f64 v[20:21], v[2:3], v[26:27], -v[20:21]
	ds_load_b128 v[2:5], v1 offset:1552
	v_fma_f64 v[6:7], v[6:7], v[30:31], -v[24:25]
	v_add_f64_e32 v[10:11], v[10:11], v[22:23]
	v_add_f64_e32 v[12:13], v[12:13], v[16:17]
	s_wait_loadcnt_dscnt 0x100
	v_mul_f64_e32 v[16:17], v[2:3], v[36:37]
	v_mul_f64_e32 v[22:23], v[4:5], v[36:37]
	v_fma_f64 v[8:9], v[8:9], v[30:31], v[18:19]
	v_add_f64_e32 v[10:11], v[10:11], v[20:21]
	v_add_f64_e32 v[12:13], v[12:13], v[14:15]
	v_fma_f64 v[4:5], v[4:5], v[34:35], v[16:17]
	v_fma_f64 v[2:3], v[2:3], v[34:35], -v[22:23]
	s_delay_alu instid0(VALU_DEP_4) | instskip(NEXT) | instid1(VALU_DEP_4)
	v_add_f64_e32 v[6:7], v[10:11], v[6:7]
	v_add_f64_e32 v[8:9], v[12:13], v[8:9]
	s_delay_alu instid0(VALU_DEP_2) | instskip(NEXT) | instid1(VALU_DEP_2)
	v_add_f64_e32 v[2:3], v[6:7], v[2:3]
	v_add_f64_e32 v[4:5], v[8:9], v[4:5]
	s_wait_loadcnt 0x0
	s_delay_alu instid0(VALU_DEP_2) | instskip(NEXT) | instid1(VALU_DEP_2)
	v_add_f64_e64 v[2:3], v[38:39], -v[2:3]
	v_add_f64_e64 v[4:5], v[40:41], -v[4:5]
	scratch_store_b128 off, v[2:5], off offset:160
	v_cmpx_lt_u32_e32 8, v0
	s_cbranch_execz .LBB48_291
; %bb.290:
	scratch_load_b128 v[5:8], off, s54
	v_dual_mov_b32 v2, v1 :: v_dual_mov_b32 v3, v1
	v_mov_b32_e32 v4, v1
	scratch_store_b128 off, v[1:4], off offset:144
	s_wait_loadcnt 0x0
	ds_store_b128 v140, v[5:8]
.LBB48_291:
	s_wait_alu 0xfffe
	s_or_b32 exec_lo, exec_lo, s0
	s_wait_storecnt_dscnt 0x0
	s_barrier_signal -1
	s_barrier_wait -1
	global_inv scope:SCOPE_SE
	s_clause 0x7
	scratch_load_b128 v[2:5], off, off offset:160
	scratch_load_b128 v[6:9], off, off offset:176
	;; [unrolled: 1-line block ×8, first 2 shown]
	ds_load_b128 v[38:41], v1 offset:928
	ds_load_b128 v[141:144], v1 offset:944
	s_clause 0x1
	scratch_load_b128 v[34:37], off, off offset:288
	scratch_load_b128 v[145:148], off, off offset:304
	s_mov_b32 s0, exec_lo
	s_wait_loadcnt_dscnt 0x901
	v_mul_f64_e32 v[149:150], v[40:41], v[4:5]
	v_mul_f64_e32 v[4:5], v[38:39], v[4:5]
	s_wait_loadcnt_dscnt 0x800
	v_mul_f64_e32 v[151:152], v[141:142], v[8:9]
	v_mul_f64_e32 v[8:9], v[143:144], v[8:9]
	s_delay_alu instid0(VALU_DEP_4) | instskip(NEXT) | instid1(VALU_DEP_4)
	v_fma_f64 v[149:150], v[38:39], v[2:3], -v[149:150]
	v_fma_f64 v[153:154], v[40:41], v[2:3], v[4:5]
	ds_load_b128 v[2:5], v1 offset:960
	scratch_load_b128 v[38:41], off, off offset:320
	v_fma_f64 v[151:152], v[143:144], v[6:7], v[151:152]
	v_fma_f64 v[157:158], v[141:142], v[6:7], -v[8:9]
	ds_load_b128 v[6:9], v1 offset:976
	scratch_load_b128 v[141:144], off, off offset:336
	s_wait_loadcnt_dscnt 0x901
	v_mul_f64_e32 v[155:156], v[2:3], v[12:13]
	v_mul_f64_e32 v[12:13], v[4:5], v[12:13]
	s_wait_loadcnt_dscnt 0x800
	v_mul_f64_e32 v[159:160], v[6:7], v[16:17]
	v_mul_f64_e32 v[16:17], v[8:9], v[16:17]
	v_add_f64_e32 v[149:150], 0, v[149:150]
	v_add_f64_e32 v[153:154], 0, v[153:154]
	v_fma_f64 v[155:156], v[4:5], v[10:11], v[155:156]
	v_fma_f64 v[161:162], v[2:3], v[10:11], -v[12:13]
	ds_load_b128 v[2:5], v1 offset:992
	scratch_load_b128 v[10:13], off, off offset:352
	v_add_f64_e32 v[149:150], v[149:150], v[157:158]
	v_add_f64_e32 v[151:152], v[153:154], v[151:152]
	v_fma_f64 v[157:158], v[8:9], v[14:15], v[159:160]
	v_fma_f64 v[159:160], v[6:7], v[14:15], -v[16:17]
	ds_load_b128 v[6:9], v1 offset:1008
	scratch_load_b128 v[14:17], off, off offset:368
	s_wait_loadcnt_dscnt 0x901
	v_mul_f64_e32 v[153:154], v[2:3], v[20:21]
	v_mul_f64_e32 v[20:21], v[4:5], v[20:21]
	v_add_f64_e32 v[149:150], v[149:150], v[161:162]
	v_add_f64_e32 v[151:152], v[151:152], v[155:156]
	s_wait_loadcnt_dscnt 0x800
	v_mul_f64_e32 v[155:156], v[6:7], v[24:25]
	v_mul_f64_e32 v[24:25], v[8:9], v[24:25]
	v_fma_f64 v[153:154], v[4:5], v[18:19], v[153:154]
	v_fma_f64 v[161:162], v[2:3], v[18:19], -v[20:21]
	ds_load_b128 v[2:5], v1 offset:1024
	scratch_load_b128 v[18:21], off, off offset:384
	v_add_f64_e32 v[149:150], v[149:150], v[159:160]
	v_add_f64_e32 v[151:152], v[151:152], v[157:158]
	v_fma_f64 v[155:156], v[8:9], v[22:23], v[155:156]
	v_fma_f64 v[159:160], v[6:7], v[22:23], -v[24:25]
	ds_load_b128 v[6:9], v1 offset:1040
	s_wait_loadcnt_dscnt 0x801
	v_mul_f64_e32 v[157:158], v[2:3], v[28:29]
	v_mul_f64_e32 v[28:29], v[4:5], v[28:29]
	scratch_load_b128 v[22:25], off, off offset:400
	v_add_f64_e32 v[149:150], v[149:150], v[161:162]
	v_add_f64_e32 v[151:152], v[151:152], v[153:154]
	s_wait_loadcnt_dscnt 0x800
	v_mul_f64_e32 v[153:154], v[6:7], v[32:33]
	v_mul_f64_e32 v[32:33], v[8:9], v[32:33]
	v_fma_f64 v[157:158], v[4:5], v[26:27], v[157:158]
	v_fma_f64 v[161:162], v[2:3], v[26:27], -v[28:29]
	ds_load_b128 v[2:5], v1 offset:1056
	scratch_load_b128 v[26:29], off, off offset:416
	v_add_f64_e32 v[149:150], v[149:150], v[159:160]
	v_add_f64_e32 v[151:152], v[151:152], v[155:156]
	v_fma_f64 v[153:154], v[8:9], v[30:31], v[153:154]
	v_fma_f64 v[159:160], v[6:7], v[30:31], -v[32:33]
	ds_load_b128 v[6:9], v1 offset:1072
	s_wait_loadcnt_dscnt 0x801
	v_mul_f64_e32 v[155:156], v[2:3], v[36:37]
	v_mul_f64_e32 v[36:37], v[4:5], v[36:37]
	scratch_load_b128 v[30:33], off, off offset:432
	v_add_f64_e32 v[149:150], v[149:150], v[161:162]
	v_add_f64_e32 v[151:152], v[151:152], v[157:158]
	s_wait_loadcnt_dscnt 0x800
	v_mul_f64_e32 v[157:158], v[6:7], v[147:148]
	v_mul_f64_e32 v[147:148], v[8:9], v[147:148]
	v_fma_f64 v[155:156], v[4:5], v[34:35], v[155:156]
	v_fma_f64 v[161:162], v[2:3], v[34:35], -v[36:37]
	ds_load_b128 v[2:5], v1 offset:1088
	scratch_load_b128 v[34:37], off, off offset:448
	v_add_f64_e32 v[149:150], v[149:150], v[159:160]
	v_add_f64_e32 v[151:152], v[151:152], v[153:154]
	v_fma_f64 v[157:158], v[8:9], v[145:146], v[157:158]
	v_fma_f64 v[159:160], v[6:7], v[145:146], -v[147:148]
	ds_load_b128 v[6:9], v1 offset:1104
	scratch_load_b128 v[145:148], off, off offset:464
	s_wait_loadcnt_dscnt 0x901
	v_mul_f64_e32 v[153:154], v[2:3], v[40:41]
	v_mul_f64_e32 v[40:41], v[4:5], v[40:41]
	v_add_f64_e32 v[149:150], v[149:150], v[161:162]
	v_add_f64_e32 v[151:152], v[151:152], v[155:156]
	s_wait_loadcnt_dscnt 0x800
	v_mul_f64_e32 v[155:156], v[6:7], v[143:144]
	v_mul_f64_e32 v[143:144], v[8:9], v[143:144]
	v_fma_f64 v[153:154], v[4:5], v[38:39], v[153:154]
	v_fma_f64 v[161:162], v[2:3], v[38:39], -v[40:41]
	ds_load_b128 v[2:5], v1 offset:1120
	scratch_load_b128 v[38:41], off, off offset:480
	v_add_f64_e32 v[149:150], v[149:150], v[159:160]
	v_add_f64_e32 v[151:152], v[151:152], v[157:158]
	v_fma_f64 v[155:156], v[8:9], v[141:142], v[155:156]
	v_fma_f64 v[159:160], v[6:7], v[141:142], -v[143:144]
	ds_load_b128 v[6:9], v1 offset:1136
	s_wait_loadcnt_dscnt 0x801
	v_mul_f64_e32 v[157:158], v[2:3], v[12:13]
	v_mul_f64_e32 v[12:13], v[4:5], v[12:13]
	scratch_load_b128 v[141:144], off, off offset:496
	v_add_f64_e32 v[149:150], v[149:150], v[161:162]
	v_add_f64_e32 v[151:152], v[151:152], v[153:154]
	s_wait_loadcnt_dscnt 0x800
	v_mul_f64_e32 v[153:154], v[6:7], v[16:17]
	v_mul_f64_e32 v[16:17], v[8:9], v[16:17]
	v_fma_f64 v[157:158], v[4:5], v[10:11], v[157:158]
	v_fma_f64 v[161:162], v[2:3], v[10:11], -v[12:13]
	scratch_load_b128 v[10:13], off, off offset:512
	ds_load_b128 v[2:5], v1 offset:1152
	v_add_f64_e32 v[149:150], v[149:150], v[159:160]
	v_add_f64_e32 v[151:152], v[151:152], v[155:156]
	v_fma_f64 v[153:154], v[8:9], v[14:15], v[153:154]
	v_fma_f64 v[159:160], v[6:7], v[14:15], -v[16:17]
	ds_load_b128 v[6:9], v1 offset:1168
	s_wait_loadcnt_dscnt 0x801
	v_mul_f64_e32 v[155:156], v[2:3], v[20:21]
	v_mul_f64_e32 v[20:21], v[4:5], v[20:21]
	scratch_load_b128 v[14:17], off, off offset:528
	v_add_f64_e32 v[149:150], v[149:150], v[161:162]
	v_add_f64_e32 v[151:152], v[151:152], v[157:158]
	s_wait_loadcnt_dscnt 0x800
	v_mul_f64_e32 v[157:158], v[6:7], v[24:25]
	v_mul_f64_e32 v[24:25], v[8:9], v[24:25]
	v_fma_f64 v[155:156], v[4:5], v[18:19], v[155:156]
	v_fma_f64 v[161:162], v[2:3], v[18:19], -v[20:21]
	ds_load_b128 v[2:5], v1 offset:1184
	scratch_load_b128 v[18:21], off, off offset:544
	v_add_f64_e32 v[149:150], v[149:150], v[159:160]
	v_add_f64_e32 v[151:152], v[151:152], v[153:154]
	v_fma_f64 v[157:158], v[8:9], v[22:23], v[157:158]
	v_fma_f64 v[159:160], v[6:7], v[22:23], -v[24:25]
	ds_load_b128 v[6:9], v1 offset:1200
	s_wait_loadcnt_dscnt 0x801
	v_mul_f64_e32 v[153:154], v[2:3], v[28:29]
	v_mul_f64_e32 v[28:29], v[4:5], v[28:29]
	scratch_load_b128 v[22:25], off, off offset:560
	v_add_f64_e32 v[149:150], v[149:150], v[161:162]
	v_add_f64_e32 v[151:152], v[151:152], v[155:156]
	s_wait_loadcnt_dscnt 0x800
	v_mul_f64_e32 v[155:156], v[6:7], v[32:33]
	v_mul_f64_e32 v[32:33], v[8:9], v[32:33]
	v_fma_f64 v[153:154], v[4:5], v[26:27], v[153:154]
	v_fma_f64 v[161:162], v[2:3], v[26:27], -v[28:29]
	ds_load_b128 v[2:5], v1 offset:1216
	scratch_load_b128 v[26:29], off, off offset:576
	;; [unrolled: 18-line block ×4, first 2 shown]
	v_add_f64_e32 v[149:150], v[149:150], v[159:160]
	v_add_f64_e32 v[151:152], v[151:152], v[153:154]
	v_fma_f64 v[157:158], v[8:9], v[141:142], v[157:158]
	v_fma_f64 v[159:160], v[6:7], v[141:142], -v[143:144]
	ds_load_b128 v[6:9], v1 offset:1296
	s_wait_loadcnt_dscnt 0x801
	v_mul_f64_e32 v[153:154], v[2:3], v[12:13]
	v_mul_f64_e32 v[12:13], v[4:5], v[12:13]
	scratch_load_b128 v[141:144], off, off offset:656
	v_add_f64_e32 v[149:150], v[149:150], v[161:162]
	v_add_f64_e32 v[151:152], v[151:152], v[155:156]
	s_wait_loadcnt_dscnt 0x800
	v_mul_f64_e32 v[155:156], v[6:7], v[16:17]
	v_mul_f64_e32 v[16:17], v[8:9], v[16:17]
	v_fma_f64 v[153:154], v[4:5], v[10:11], v[153:154]
	v_fma_f64 v[161:162], v[2:3], v[10:11], -v[12:13]
	scratch_load_b128 v[10:13], off, off offset:672
	ds_load_b128 v[2:5], v1 offset:1312
	v_add_f64_e32 v[149:150], v[149:150], v[159:160]
	v_add_f64_e32 v[151:152], v[151:152], v[157:158]
	v_fma_f64 v[155:156], v[8:9], v[14:15], v[155:156]
	v_fma_f64 v[159:160], v[6:7], v[14:15], -v[16:17]
	ds_load_b128 v[6:9], v1 offset:1328
	s_wait_loadcnt_dscnt 0x801
	v_mul_f64_e32 v[157:158], v[2:3], v[20:21]
	v_mul_f64_e32 v[20:21], v[4:5], v[20:21]
	scratch_load_b128 v[14:17], off, off offset:688
	v_add_f64_e32 v[149:150], v[149:150], v[161:162]
	v_add_f64_e32 v[151:152], v[151:152], v[153:154]
	s_wait_loadcnt_dscnt 0x800
	v_mul_f64_e32 v[153:154], v[6:7], v[24:25]
	v_mul_f64_e32 v[24:25], v[8:9], v[24:25]
	v_fma_f64 v[157:158], v[4:5], v[18:19], v[157:158]
	v_fma_f64 v[161:162], v[2:3], v[18:19], -v[20:21]
	ds_load_b128 v[2:5], v1 offset:1344
	scratch_load_b128 v[18:21], off, off offset:704
	v_add_f64_e32 v[149:150], v[149:150], v[159:160]
	v_add_f64_e32 v[151:152], v[151:152], v[155:156]
	v_fma_f64 v[153:154], v[8:9], v[22:23], v[153:154]
	v_fma_f64 v[159:160], v[6:7], v[22:23], -v[24:25]
	ds_load_b128 v[6:9], v1 offset:1360
	s_wait_loadcnt_dscnt 0x801
	v_mul_f64_e32 v[155:156], v[2:3], v[28:29]
	v_mul_f64_e32 v[28:29], v[4:5], v[28:29]
	scratch_load_b128 v[22:25], off, off offset:720
	v_add_f64_e32 v[149:150], v[149:150], v[161:162]
	v_add_f64_e32 v[151:152], v[151:152], v[157:158]
	s_wait_loadcnt_dscnt 0x800
	v_mul_f64_e32 v[157:158], v[6:7], v[32:33]
	v_mul_f64_e32 v[32:33], v[8:9], v[32:33]
	v_fma_f64 v[155:156], v[4:5], v[26:27], v[155:156]
	v_fma_f64 v[161:162], v[2:3], v[26:27], -v[28:29]
	ds_load_b128 v[2:5], v1 offset:1376
	scratch_load_b128 v[26:29], off, off offset:736
	;; [unrolled: 18-line block ×3, first 2 shown]
	v_add_f64_e32 v[149:150], v[149:150], v[159:160]
	v_add_f64_e32 v[151:152], v[151:152], v[157:158]
	v_fma_f64 v[155:156], v[8:9], v[145:146], v[155:156]
	v_fma_f64 v[159:160], v[6:7], v[145:146], -v[147:148]
	ds_load_b128 v[6:9], v1 offset:1424
	s_wait_loadcnt_dscnt 0x801
	v_mul_f64_e32 v[157:158], v[2:3], v[40:41]
	v_mul_f64_e32 v[40:41], v[4:5], v[40:41]
	scratch_load_b128 v[145:148], off, off offset:784
	v_add_f64_e32 v[149:150], v[149:150], v[161:162]
	v_add_f64_e32 v[151:152], v[151:152], v[153:154]
	v_fma_f64 v[157:158], v[4:5], v[38:39], v[157:158]
	v_fma_f64 v[38:39], v[2:3], v[38:39], -v[40:41]
	ds_load_b128 v[2:5], v1 offset:1440
	v_add_f64_e32 v[40:41], v[149:150], v[159:160]
	v_add_f64_e32 v[149:150], v[151:152], v[155:156]
	s_wait_loadcnt_dscnt 0x700
	v_mul_f64_e32 v[151:152], v[2:3], v[12:13]
	v_mul_f64_e32 v[12:13], v[4:5], v[12:13]
	s_delay_alu instid0(VALU_DEP_4) | instskip(NEXT) | instid1(VALU_DEP_4)
	v_add_f64_e32 v[38:39], v[40:41], v[38:39]
	v_add_f64_e32 v[40:41], v[149:150], v[157:158]
	s_delay_alu instid0(VALU_DEP_4) | instskip(NEXT) | instid1(VALU_DEP_4)
	v_fma_f64 v[149:150], v[4:5], v[10:11], v[151:152]
	v_fma_f64 v[151:152], v[2:3], v[10:11], -v[12:13]
	scratch_load_b128 v[10:13], off, off offset:144
	v_mul_f64_e32 v[153:154], v[6:7], v[143:144]
	v_mul_f64_e32 v[143:144], v[8:9], v[143:144]
	ds_load_b128 v[2:5], v1 offset:1472
	v_fma_f64 v[153:154], v[8:9], v[141:142], v[153:154]
	v_fma_f64 v[141:142], v[6:7], v[141:142], -v[143:144]
	ds_load_b128 v[6:9], v1 offset:1456
	s_wait_loadcnt_dscnt 0x700
	v_mul_f64_e32 v[143:144], v[6:7], v[16:17]
	v_mul_f64_e32 v[16:17], v[8:9], v[16:17]
	v_add_f64_e32 v[40:41], v[40:41], v[153:154]
	v_add_f64_e32 v[38:39], v[38:39], v[141:142]
	s_wait_loadcnt 0x6
	v_mul_f64_e32 v[141:142], v[2:3], v[20:21]
	v_mul_f64_e32 v[20:21], v[4:5], v[20:21]
	v_fma_f64 v[143:144], v[8:9], v[14:15], v[143:144]
	v_fma_f64 v[14:15], v[6:7], v[14:15], -v[16:17]
	ds_load_b128 v[6:9], v1 offset:1488
	v_add_f64_e32 v[16:17], v[38:39], v[151:152]
	v_add_f64_e32 v[38:39], v[40:41], v[149:150]
	v_fma_f64 v[141:142], v[4:5], v[18:19], v[141:142]
	v_fma_f64 v[18:19], v[2:3], v[18:19], -v[20:21]
	ds_load_b128 v[2:5], v1 offset:1504
	s_wait_loadcnt_dscnt 0x501
	v_mul_f64_e32 v[40:41], v[6:7], v[24:25]
	v_mul_f64_e32 v[24:25], v[8:9], v[24:25]
	s_wait_loadcnt_dscnt 0x400
	v_mul_f64_e32 v[20:21], v[2:3], v[28:29]
	v_mul_f64_e32 v[28:29], v[4:5], v[28:29]
	v_add_f64_e32 v[14:15], v[16:17], v[14:15]
	v_add_f64_e32 v[16:17], v[38:39], v[143:144]
	v_fma_f64 v[38:39], v[8:9], v[22:23], v[40:41]
	v_fma_f64 v[22:23], v[6:7], v[22:23], -v[24:25]
	ds_load_b128 v[6:9], v1 offset:1520
	v_fma_f64 v[20:21], v[4:5], v[26:27], v[20:21]
	v_fma_f64 v[26:27], v[2:3], v[26:27], -v[28:29]
	ds_load_b128 v[2:5], v1 offset:1536
	s_wait_loadcnt_dscnt 0x301
	v_mul_f64_e32 v[24:25], v[8:9], v[32:33]
	v_add_f64_e32 v[14:15], v[14:15], v[18:19]
	v_add_f64_e32 v[16:17], v[16:17], v[141:142]
	v_mul_f64_e32 v[18:19], v[6:7], v[32:33]
	s_wait_loadcnt_dscnt 0x200
	v_mul_f64_e32 v[28:29], v[4:5], v[36:37]
	v_fma_f64 v[24:25], v[6:7], v[30:31], -v[24:25]
	v_add_f64_e32 v[14:15], v[14:15], v[22:23]
	v_add_f64_e32 v[16:17], v[16:17], v[38:39]
	v_mul_f64_e32 v[22:23], v[2:3], v[36:37]
	v_fma_f64 v[18:19], v[8:9], v[30:31], v[18:19]
	ds_load_b128 v[6:9], v1 offset:1552
	v_fma_f64 v[1:2], v[2:3], v[34:35], -v[28:29]
	v_add_f64_e32 v[14:15], v[14:15], v[26:27]
	v_add_f64_e32 v[16:17], v[16:17], v[20:21]
	s_wait_loadcnt_dscnt 0x100
	v_mul_f64_e32 v[20:21], v[6:7], v[147:148]
	v_mul_f64_e32 v[26:27], v[8:9], v[147:148]
	v_fma_f64 v[4:5], v[4:5], v[34:35], v[22:23]
	v_add_f64_e32 v[14:15], v[14:15], v[24:25]
	v_add_f64_e32 v[16:17], v[16:17], v[18:19]
	v_fma_f64 v[8:9], v[8:9], v[145:146], v[20:21]
	v_fma_f64 v[6:7], v[6:7], v[145:146], -v[26:27]
	s_delay_alu instid0(VALU_DEP_4) | instskip(NEXT) | instid1(VALU_DEP_4)
	v_add_f64_e32 v[1:2], v[14:15], v[1:2]
	v_add_f64_e32 v[3:4], v[16:17], v[4:5]
	s_delay_alu instid0(VALU_DEP_2) | instskip(NEXT) | instid1(VALU_DEP_2)
	v_add_f64_e32 v[1:2], v[1:2], v[6:7]
	v_add_f64_e32 v[3:4], v[3:4], v[8:9]
	s_wait_loadcnt 0x0
	s_delay_alu instid0(VALU_DEP_2) | instskip(NEXT) | instid1(VALU_DEP_2)
	v_add_f64_e64 v[1:2], v[10:11], -v[1:2]
	v_add_f64_e64 v[3:4], v[12:13], -v[3:4]
	scratch_store_b128 off, v[1:4], off offset:144
	v_cmpx_lt_u32_e32 7, v0
	s_cbranch_execz .LBB48_293
; %bb.292:
	scratch_load_b128 v[1:4], off, s55
	v_mov_b32_e32 v5, 0
	s_delay_alu instid0(VALU_DEP_1)
	v_dual_mov_b32 v6, v5 :: v_dual_mov_b32 v7, v5
	v_mov_b32_e32 v8, v5
	scratch_store_b128 off, v[5:8], off offset:128
	s_wait_loadcnt 0x0
	ds_store_b128 v140, v[1:4]
.LBB48_293:
	s_wait_alu 0xfffe
	s_or_b32 exec_lo, exec_lo, s0
	s_wait_storecnt_dscnt 0x0
	s_barrier_signal -1
	s_barrier_wait -1
	global_inv scope:SCOPE_SE
	s_clause 0x7
	scratch_load_b128 v[2:5], off, off offset:144
	scratch_load_b128 v[6:9], off, off offset:160
	;; [unrolled: 1-line block ×8, first 2 shown]
	v_mov_b32_e32 v1, 0
	s_clause 0x1
	scratch_load_b128 v[34:37], off, off offset:272
	scratch_load_b128 v[145:148], off, off offset:288
	s_mov_b32 s0, exec_lo
	ds_load_b128 v[38:41], v1 offset:912
	ds_load_b128 v[141:144], v1 offset:928
	s_wait_loadcnt_dscnt 0x901
	v_mul_f64_e32 v[149:150], v[40:41], v[4:5]
	v_mul_f64_e32 v[4:5], v[38:39], v[4:5]
	s_wait_loadcnt_dscnt 0x800
	v_mul_f64_e32 v[151:152], v[141:142], v[8:9]
	v_mul_f64_e32 v[8:9], v[143:144], v[8:9]
	s_delay_alu instid0(VALU_DEP_4) | instskip(NEXT) | instid1(VALU_DEP_4)
	v_fma_f64 v[149:150], v[38:39], v[2:3], -v[149:150]
	v_fma_f64 v[153:154], v[40:41], v[2:3], v[4:5]
	ds_load_b128 v[2:5], v1 offset:944
	scratch_load_b128 v[38:41], off, off offset:304
	v_fma_f64 v[151:152], v[143:144], v[6:7], v[151:152]
	v_fma_f64 v[157:158], v[141:142], v[6:7], -v[8:9]
	ds_load_b128 v[6:9], v1 offset:960
	scratch_load_b128 v[141:144], off, off offset:320
	s_wait_loadcnt_dscnt 0x901
	v_mul_f64_e32 v[155:156], v[2:3], v[12:13]
	v_mul_f64_e32 v[12:13], v[4:5], v[12:13]
	s_wait_loadcnt_dscnt 0x800
	v_mul_f64_e32 v[159:160], v[6:7], v[16:17]
	v_mul_f64_e32 v[16:17], v[8:9], v[16:17]
	v_add_f64_e32 v[149:150], 0, v[149:150]
	v_add_f64_e32 v[153:154], 0, v[153:154]
	v_fma_f64 v[155:156], v[4:5], v[10:11], v[155:156]
	v_fma_f64 v[161:162], v[2:3], v[10:11], -v[12:13]
	ds_load_b128 v[2:5], v1 offset:976
	scratch_load_b128 v[10:13], off, off offset:336
	v_add_f64_e32 v[149:150], v[149:150], v[157:158]
	v_add_f64_e32 v[151:152], v[153:154], v[151:152]
	v_fma_f64 v[157:158], v[8:9], v[14:15], v[159:160]
	v_fma_f64 v[159:160], v[6:7], v[14:15], -v[16:17]
	ds_load_b128 v[6:9], v1 offset:992
	scratch_load_b128 v[14:17], off, off offset:352
	s_wait_loadcnt_dscnt 0x901
	v_mul_f64_e32 v[153:154], v[2:3], v[20:21]
	v_mul_f64_e32 v[20:21], v[4:5], v[20:21]
	v_add_f64_e32 v[149:150], v[149:150], v[161:162]
	v_add_f64_e32 v[151:152], v[151:152], v[155:156]
	s_wait_loadcnt_dscnt 0x800
	v_mul_f64_e32 v[155:156], v[6:7], v[24:25]
	v_mul_f64_e32 v[24:25], v[8:9], v[24:25]
	v_fma_f64 v[153:154], v[4:5], v[18:19], v[153:154]
	v_fma_f64 v[161:162], v[2:3], v[18:19], -v[20:21]
	ds_load_b128 v[2:5], v1 offset:1008
	scratch_load_b128 v[18:21], off, off offset:368
	v_add_f64_e32 v[149:150], v[149:150], v[159:160]
	v_add_f64_e32 v[151:152], v[151:152], v[157:158]
	v_fma_f64 v[155:156], v[8:9], v[22:23], v[155:156]
	v_fma_f64 v[159:160], v[6:7], v[22:23], -v[24:25]
	ds_load_b128 v[6:9], v1 offset:1024
	s_wait_loadcnt_dscnt 0x801
	v_mul_f64_e32 v[157:158], v[2:3], v[28:29]
	v_mul_f64_e32 v[28:29], v[4:5], v[28:29]
	scratch_load_b128 v[22:25], off, off offset:384
	v_add_f64_e32 v[149:150], v[149:150], v[161:162]
	v_add_f64_e32 v[151:152], v[151:152], v[153:154]
	s_wait_loadcnt_dscnt 0x800
	v_mul_f64_e32 v[153:154], v[6:7], v[32:33]
	v_mul_f64_e32 v[32:33], v[8:9], v[32:33]
	v_fma_f64 v[157:158], v[4:5], v[26:27], v[157:158]
	v_fma_f64 v[161:162], v[2:3], v[26:27], -v[28:29]
	ds_load_b128 v[2:5], v1 offset:1040
	scratch_load_b128 v[26:29], off, off offset:400
	v_add_f64_e32 v[149:150], v[149:150], v[159:160]
	v_add_f64_e32 v[151:152], v[151:152], v[155:156]
	v_fma_f64 v[153:154], v[8:9], v[30:31], v[153:154]
	v_fma_f64 v[159:160], v[6:7], v[30:31], -v[32:33]
	ds_load_b128 v[6:9], v1 offset:1056
	s_wait_loadcnt_dscnt 0x801
	v_mul_f64_e32 v[155:156], v[2:3], v[36:37]
	v_mul_f64_e32 v[36:37], v[4:5], v[36:37]
	scratch_load_b128 v[30:33], off, off offset:416
	v_add_f64_e32 v[149:150], v[149:150], v[161:162]
	v_add_f64_e32 v[151:152], v[151:152], v[157:158]
	s_wait_loadcnt_dscnt 0x800
	v_mul_f64_e32 v[157:158], v[6:7], v[147:148]
	v_mul_f64_e32 v[147:148], v[8:9], v[147:148]
	v_fma_f64 v[155:156], v[4:5], v[34:35], v[155:156]
	v_fma_f64 v[161:162], v[2:3], v[34:35], -v[36:37]
	ds_load_b128 v[2:5], v1 offset:1072
	scratch_load_b128 v[34:37], off, off offset:432
	v_add_f64_e32 v[149:150], v[149:150], v[159:160]
	v_add_f64_e32 v[151:152], v[151:152], v[153:154]
	v_fma_f64 v[157:158], v[8:9], v[145:146], v[157:158]
	v_fma_f64 v[159:160], v[6:7], v[145:146], -v[147:148]
	ds_load_b128 v[6:9], v1 offset:1088
	scratch_load_b128 v[145:148], off, off offset:448
	s_wait_loadcnt_dscnt 0x901
	v_mul_f64_e32 v[153:154], v[2:3], v[40:41]
	v_mul_f64_e32 v[40:41], v[4:5], v[40:41]
	v_add_f64_e32 v[149:150], v[149:150], v[161:162]
	v_add_f64_e32 v[151:152], v[151:152], v[155:156]
	s_wait_loadcnt_dscnt 0x800
	v_mul_f64_e32 v[155:156], v[6:7], v[143:144]
	v_mul_f64_e32 v[143:144], v[8:9], v[143:144]
	v_fma_f64 v[153:154], v[4:5], v[38:39], v[153:154]
	v_fma_f64 v[161:162], v[2:3], v[38:39], -v[40:41]
	ds_load_b128 v[2:5], v1 offset:1104
	scratch_load_b128 v[38:41], off, off offset:464
	v_add_f64_e32 v[149:150], v[149:150], v[159:160]
	v_add_f64_e32 v[151:152], v[151:152], v[157:158]
	v_fma_f64 v[155:156], v[8:9], v[141:142], v[155:156]
	v_fma_f64 v[159:160], v[6:7], v[141:142], -v[143:144]
	ds_load_b128 v[6:9], v1 offset:1120
	s_wait_loadcnt_dscnt 0x801
	v_mul_f64_e32 v[157:158], v[2:3], v[12:13]
	v_mul_f64_e32 v[12:13], v[4:5], v[12:13]
	scratch_load_b128 v[141:144], off, off offset:480
	v_add_f64_e32 v[149:150], v[149:150], v[161:162]
	v_add_f64_e32 v[151:152], v[151:152], v[153:154]
	s_wait_loadcnt_dscnt 0x800
	v_mul_f64_e32 v[153:154], v[6:7], v[16:17]
	v_mul_f64_e32 v[16:17], v[8:9], v[16:17]
	v_fma_f64 v[157:158], v[4:5], v[10:11], v[157:158]
	v_fma_f64 v[161:162], v[2:3], v[10:11], -v[12:13]
	ds_load_b128 v[2:5], v1 offset:1136
	scratch_load_b128 v[10:13], off, off offset:496
	v_add_f64_e32 v[149:150], v[149:150], v[159:160]
	v_add_f64_e32 v[151:152], v[151:152], v[155:156]
	v_fma_f64 v[153:154], v[8:9], v[14:15], v[153:154]
	v_fma_f64 v[159:160], v[6:7], v[14:15], -v[16:17]
	ds_load_b128 v[6:9], v1 offset:1152
	s_wait_loadcnt_dscnt 0x801
	v_mul_f64_e32 v[155:156], v[2:3], v[20:21]
	v_mul_f64_e32 v[20:21], v[4:5], v[20:21]
	scratch_load_b128 v[14:17], off, off offset:512
	;; [unrolled: 18-line block ×10, first 2 shown]
	v_add_f64_e32 v[149:150], v[149:150], v[161:162]
	v_add_f64_e32 v[151:152], v[151:152], v[153:154]
	s_wait_loadcnt_dscnt 0x800
	v_mul_f64_e32 v[153:154], v[6:7], v[143:144]
	v_mul_f64_e32 v[143:144], v[8:9], v[143:144]
	v_fma_f64 v[157:158], v[4:5], v[38:39], v[157:158]
	v_fma_f64 v[161:162], v[2:3], v[38:39], -v[40:41]
	ds_load_b128 v[2:5], v1 offset:1424
	scratch_load_b128 v[38:41], off, off offset:784
	v_add_f64_e32 v[149:150], v[149:150], v[159:160]
	v_add_f64_e32 v[151:152], v[151:152], v[155:156]
	v_fma_f64 v[153:154], v[8:9], v[141:142], v[153:154]
	v_fma_f64 v[141:142], v[6:7], v[141:142], -v[143:144]
	ds_load_b128 v[6:9], v1 offset:1440
	s_wait_loadcnt_dscnt 0x801
	v_mul_f64_e32 v[155:156], v[2:3], v[12:13]
	v_mul_f64_e32 v[12:13], v[4:5], v[12:13]
	v_add_f64_e32 v[143:144], v[149:150], v[161:162]
	v_add_f64_e32 v[149:150], v[151:152], v[157:158]
	s_wait_loadcnt_dscnt 0x700
	v_mul_f64_e32 v[151:152], v[6:7], v[16:17]
	v_mul_f64_e32 v[16:17], v[8:9], v[16:17]
	v_fma_f64 v[155:156], v[4:5], v[10:11], v[155:156]
	v_fma_f64 v[10:11], v[2:3], v[10:11], -v[12:13]
	ds_load_b128 v[2:5], v1 offset:1456
	v_add_f64_e32 v[12:13], v[143:144], v[141:142]
	v_add_f64_e32 v[141:142], v[149:150], v[153:154]
	v_fma_f64 v[149:150], v[8:9], v[14:15], v[151:152]
	v_fma_f64 v[14:15], v[6:7], v[14:15], -v[16:17]
	ds_load_b128 v[6:9], v1 offset:1472
	s_wait_loadcnt_dscnt 0x500
	v_mul_f64_e32 v[151:152], v[6:7], v[24:25]
	v_mul_f64_e32 v[24:25], v[8:9], v[24:25]
	v_add_f64_e32 v[16:17], v[12:13], v[10:11]
	v_add_f64_e32 v[141:142], v[141:142], v[155:156]
	scratch_load_b128 v[10:13], off, off offset:128
	v_mul_f64_e32 v[143:144], v[2:3], v[20:21]
	v_mul_f64_e32 v[20:21], v[4:5], v[20:21]
	v_add_f64_e32 v[14:15], v[16:17], v[14:15]
	v_add_f64_e32 v[16:17], v[141:142], v[149:150]
	v_fma_f64 v[141:142], v[8:9], v[22:23], v[151:152]
	v_fma_f64 v[143:144], v[4:5], v[18:19], v[143:144]
	v_fma_f64 v[18:19], v[2:3], v[18:19], -v[20:21]
	ds_load_b128 v[2:5], v1 offset:1488
	v_fma_f64 v[22:23], v[6:7], v[22:23], -v[24:25]
	ds_load_b128 v[6:9], v1 offset:1504
	s_wait_loadcnt_dscnt 0x501
	v_mul_f64_e32 v[20:21], v[2:3], v[28:29]
	v_mul_f64_e32 v[28:29], v[4:5], v[28:29]
	s_wait_loadcnt_dscnt 0x400
	v_mul_f64_e32 v[24:25], v[8:9], v[32:33]
	v_add_f64_e32 v[16:17], v[16:17], v[143:144]
	v_add_f64_e32 v[14:15], v[14:15], v[18:19]
	v_mul_f64_e32 v[18:19], v[6:7], v[32:33]
	v_fma_f64 v[20:21], v[4:5], v[26:27], v[20:21]
	v_fma_f64 v[26:27], v[2:3], v[26:27], -v[28:29]
	ds_load_b128 v[2:5], v1 offset:1520
	v_fma_f64 v[24:25], v[6:7], v[30:31], -v[24:25]
	v_add_f64_e32 v[16:17], v[16:17], v[141:142]
	v_add_f64_e32 v[14:15], v[14:15], v[22:23]
	v_fma_f64 v[18:19], v[8:9], v[30:31], v[18:19]
	ds_load_b128 v[6:9], v1 offset:1536
	s_wait_loadcnt_dscnt 0x301
	v_mul_f64_e32 v[22:23], v[2:3], v[36:37]
	v_mul_f64_e32 v[28:29], v[4:5], v[36:37]
	v_add_f64_e32 v[16:17], v[16:17], v[20:21]
	v_add_f64_e32 v[14:15], v[14:15], v[26:27]
	s_wait_loadcnt_dscnt 0x200
	v_mul_f64_e32 v[20:21], v[6:7], v[147:148]
	v_mul_f64_e32 v[26:27], v[8:9], v[147:148]
	v_fma_f64 v[22:23], v[4:5], v[34:35], v[22:23]
	v_fma_f64 v[28:29], v[2:3], v[34:35], -v[28:29]
	ds_load_b128 v[2:5], v1 offset:1552
	v_add_f64_e32 v[16:17], v[16:17], v[18:19]
	v_add_f64_e32 v[14:15], v[14:15], v[24:25]
	s_wait_loadcnt_dscnt 0x100
	v_mul_f64_e32 v[18:19], v[2:3], v[40:41]
	v_mul_f64_e32 v[24:25], v[4:5], v[40:41]
	v_fma_f64 v[8:9], v[8:9], v[145:146], v[20:21]
	v_fma_f64 v[6:7], v[6:7], v[145:146], -v[26:27]
	v_add_f64_e32 v[16:17], v[16:17], v[22:23]
	v_add_f64_e32 v[14:15], v[14:15], v[28:29]
	v_fma_f64 v[4:5], v[4:5], v[38:39], v[18:19]
	v_fma_f64 v[2:3], v[2:3], v[38:39], -v[24:25]
	s_delay_alu instid0(VALU_DEP_4) | instskip(NEXT) | instid1(VALU_DEP_4)
	v_add_f64_e32 v[8:9], v[16:17], v[8:9]
	v_add_f64_e32 v[6:7], v[14:15], v[6:7]
	s_delay_alu instid0(VALU_DEP_2) | instskip(NEXT) | instid1(VALU_DEP_2)
	v_add_f64_e32 v[4:5], v[8:9], v[4:5]
	v_add_f64_e32 v[2:3], v[6:7], v[2:3]
	s_wait_loadcnt 0x0
	s_delay_alu instid0(VALU_DEP_2) | instskip(NEXT) | instid1(VALU_DEP_2)
	v_add_f64_e64 v[4:5], v[12:13], -v[4:5]
	v_add_f64_e64 v[2:3], v[10:11], -v[2:3]
	scratch_store_b128 off, v[2:5], off offset:128
	v_cmpx_lt_u32_e32 6, v0
	s_cbranch_execz .LBB48_295
; %bb.294:
	scratch_load_b128 v[5:8], off, s56
	v_dual_mov_b32 v2, v1 :: v_dual_mov_b32 v3, v1
	v_mov_b32_e32 v4, v1
	scratch_store_b128 off, v[1:4], off offset:112
	s_wait_loadcnt 0x0
	ds_store_b128 v140, v[5:8]
.LBB48_295:
	s_wait_alu 0xfffe
	s_or_b32 exec_lo, exec_lo, s0
	s_wait_storecnt_dscnt 0x0
	s_barrier_signal -1
	s_barrier_wait -1
	global_inv scope:SCOPE_SE
	s_clause 0x7
	scratch_load_b128 v[2:5], off, off offset:128
	scratch_load_b128 v[6:9], off, off offset:144
	scratch_load_b128 v[10:13], off, off offset:160
	scratch_load_b128 v[14:17], off, off offset:176
	scratch_load_b128 v[18:21], off, off offset:192
	scratch_load_b128 v[22:25], off, off offset:208
	scratch_load_b128 v[26:29], off, off offset:224
	scratch_load_b128 v[30:33], off, off offset:240
	ds_load_b128 v[38:41], v1 offset:896
	ds_load_b128 v[141:144], v1 offset:912
	s_clause 0x1
	scratch_load_b128 v[34:37], off, off offset:256
	scratch_load_b128 v[145:148], off, off offset:272
	s_mov_b32 s0, exec_lo
	s_wait_loadcnt_dscnt 0x901
	v_mul_f64_e32 v[149:150], v[40:41], v[4:5]
	v_mul_f64_e32 v[4:5], v[38:39], v[4:5]
	s_wait_loadcnt_dscnt 0x800
	v_mul_f64_e32 v[151:152], v[141:142], v[8:9]
	v_mul_f64_e32 v[8:9], v[143:144], v[8:9]
	s_delay_alu instid0(VALU_DEP_4) | instskip(NEXT) | instid1(VALU_DEP_4)
	v_fma_f64 v[149:150], v[38:39], v[2:3], -v[149:150]
	v_fma_f64 v[153:154], v[40:41], v[2:3], v[4:5]
	ds_load_b128 v[2:5], v1 offset:928
	scratch_load_b128 v[38:41], off, off offset:288
	v_fma_f64 v[151:152], v[143:144], v[6:7], v[151:152]
	v_fma_f64 v[157:158], v[141:142], v[6:7], -v[8:9]
	ds_load_b128 v[6:9], v1 offset:944
	scratch_load_b128 v[141:144], off, off offset:304
	s_wait_loadcnt_dscnt 0x901
	v_mul_f64_e32 v[155:156], v[2:3], v[12:13]
	v_mul_f64_e32 v[12:13], v[4:5], v[12:13]
	s_wait_loadcnt_dscnt 0x800
	v_mul_f64_e32 v[159:160], v[6:7], v[16:17]
	v_mul_f64_e32 v[16:17], v[8:9], v[16:17]
	v_add_f64_e32 v[149:150], 0, v[149:150]
	v_add_f64_e32 v[153:154], 0, v[153:154]
	v_fma_f64 v[155:156], v[4:5], v[10:11], v[155:156]
	v_fma_f64 v[161:162], v[2:3], v[10:11], -v[12:13]
	ds_load_b128 v[2:5], v1 offset:960
	scratch_load_b128 v[10:13], off, off offset:320
	v_add_f64_e32 v[149:150], v[149:150], v[157:158]
	v_add_f64_e32 v[151:152], v[153:154], v[151:152]
	v_fma_f64 v[157:158], v[8:9], v[14:15], v[159:160]
	v_fma_f64 v[159:160], v[6:7], v[14:15], -v[16:17]
	ds_load_b128 v[6:9], v1 offset:976
	scratch_load_b128 v[14:17], off, off offset:336
	s_wait_loadcnt_dscnt 0x901
	v_mul_f64_e32 v[153:154], v[2:3], v[20:21]
	v_mul_f64_e32 v[20:21], v[4:5], v[20:21]
	v_add_f64_e32 v[149:150], v[149:150], v[161:162]
	v_add_f64_e32 v[151:152], v[151:152], v[155:156]
	s_wait_loadcnt_dscnt 0x800
	v_mul_f64_e32 v[155:156], v[6:7], v[24:25]
	v_mul_f64_e32 v[24:25], v[8:9], v[24:25]
	v_fma_f64 v[153:154], v[4:5], v[18:19], v[153:154]
	v_fma_f64 v[161:162], v[2:3], v[18:19], -v[20:21]
	ds_load_b128 v[2:5], v1 offset:992
	scratch_load_b128 v[18:21], off, off offset:352
	v_add_f64_e32 v[149:150], v[149:150], v[159:160]
	v_add_f64_e32 v[151:152], v[151:152], v[157:158]
	v_fma_f64 v[155:156], v[8:9], v[22:23], v[155:156]
	v_fma_f64 v[159:160], v[6:7], v[22:23], -v[24:25]
	ds_load_b128 v[6:9], v1 offset:1008
	s_wait_loadcnt_dscnt 0x801
	v_mul_f64_e32 v[157:158], v[2:3], v[28:29]
	v_mul_f64_e32 v[28:29], v[4:5], v[28:29]
	scratch_load_b128 v[22:25], off, off offset:368
	v_add_f64_e32 v[149:150], v[149:150], v[161:162]
	v_add_f64_e32 v[151:152], v[151:152], v[153:154]
	s_wait_loadcnt_dscnt 0x800
	v_mul_f64_e32 v[153:154], v[6:7], v[32:33]
	v_mul_f64_e32 v[32:33], v[8:9], v[32:33]
	v_fma_f64 v[157:158], v[4:5], v[26:27], v[157:158]
	v_fma_f64 v[161:162], v[2:3], v[26:27], -v[28:29]
	ds_load_b128 v[2:5], v1 offset:1024
	scratch_load_b128 v[26:29], off, off offset:384
	v_add_f64_e32 v[149:150], v[149:150], v[159:160]
	v_add_f64_e32 v[151:152], v[151:152], v[155:156]
	v_fma_f64 v[153:154], v[8:9], v[30:31], v[153:154]
	v_fma_f64 v[159:160], v[6:7], v[30:31], -v[32:33]
	ds_load_b128 v[6:9], v1 offset:1040
	s_wait_loadcnt_dscnt 0x801
	v_mul_f64_e32 v[155:156], v[2:3], v[36:37]
	v_mul_f64_e32 v[36:37], v[4:5], v[36:37]
	scratch_load_b128 v[30:33], off, off offset:400
	v_add_f64_e32 v[149:150], v[149:150], v[161:162]
	v_add_f64_e32 v[151:152], v[151:152], v[157:158]
	s_wait_loadcnt_dscnt 0x800
	v_mul_f64_e32 v[157:158], v[6:7], v[147:148]
	v_mul_f64_e32 v[147:148], v[8:9], v[147:148]
	v_fma_f64 v[155:156], v[4:5], v[34:35], v[155:156]
	v_fma_f64 v[161:162], v[2:3], v[34:35], -v[36:37]
	ds_load_b128 v[2:5], v1 offset:1056
	scratch_load_b128 v[34:37], off, off offset:416
	v_add_f64_e32 v[149:150], v[149:150], v[159:160]
	v_add_f64_e32 v[151:152], v[151:152], v[153:154]
	v_fma_f64 v[157:158], v[8:9], v[145:146], v[157:158]
	v_fma_f64 v[159:160], v[6:7], v[145:146], -v[147:148]
	ds_load_b128 v[6:9], v1 offset:1072
	scratch_load_b128 v[145:148], off, off offset:432
	s_wait_loadcnt_dscnt 0x901
	v_mul_f64_e32 v[153:154], v[2:3], v[40:41]
	v_mul_f64_e32 v[40:41], v[4:5], v[40:41]
	v_add_f64_e32 v[149:150], v[149:150], v[161:162]
	v_add_f64_e32 v[151:152], v[151:152], v[155:156]
	s_wait_loadcnt_dscnt 0x800
	v_mul_f64_e32 v[155:156], v[6:7], v[143:144]
	v_mul_f64_e32 v[143:144], v[8:9], v[143:144]
	v_fma_f64 v[153:154], v[4:5], v[38:39], v[153:154]
	v_fma_f64 v[161:162], v[2:3], v[38:39], -v[40:41]
	ds_load_b128 v[2:5], v1 offset:1088
	scratch_load_b128 v[38:41], off, off offset:448
	v_add_f64_e32 v[149:150], v[149:150], v[159:160]
	v_add_f64_e32 v[151:152], v[151:152], v[157:158]
	v_fma_f64 v[155:156], v[8:9], v[141:142], v[155:156]
	v_fma_f64 v[159:160], v[6:7], v[141:142], -v[143:144]
	ds_load_b128 v[6:9], v1 offset:1104
	s_wait_loadcnt_dscnt 0x801
	v_mul_f64_e32 v[157:158], v[2:3], v[12:13]
	v_mul_f64_e32 v[12:13], v[4:5], v[12:13]
	scratch_load_b128 v[141:144], off, off offset:464
	v_add_f64_e32 v[149:150], v[149:150], v[161:162]
	v_add_f64_e32 v[151:152], v[151:152], v[153:154]
	s_wait_loadcnt_dscnt 0x800
	v_mul_f64_e32 v[153:154], v[6:7], v[16:17]
	v_mul_f64_e32 v[16:17], v[8:9], v[16:17]
	v_fma_f64 v[157:158], v[4:5], v[10:11], v[157:158]
	v_fma_f64 v[161:162], v[2:3], v[10:11], -v[12:13]
	ds_load_b128 v[2:5], v1 offset:1120
	scratch_load_b128 v[10:13], off, off offset:480
	v_add_f64_e32 v[149:150], v[149:150], v[159:160]
	v_add_f64_e32 v[151:152], v[151:152], v[155:156]
	v_fma_f64 v[153:154], v[8:9], v[14:15], v[153:154]
	v_fma_f64 v[159:160], v[6:7], v[14:15], -v[16:17]
	ds_load_b128 v[6:9], v1 offset:1136
	s_wait_loadcnt_dscnt 0x801
	v_mul_f64_e32 v[155:156], v[2:3], v[20:21]
	v_mul_f64_e32 v[20:21], v[4:5], v[20:21]
	scratch_load_b128 v[14:17], off, off offset:496
	;; [unrolled: 18-line block ×11, first 2 shown]
	v_add_f64_e32 v[149:150], v[149:150], v[161:162]
	v_add_f64_e32 v[151:152], v[151:152], v[157:158]
	s_wait_loadcnt_dscnt 0x800
	v_mul_f64_e32 v[157:158], v[6:7], v[16:17]
	v_mul_f64_e32 v[16:17], v[8:9], v[16:17]
	v_fma_f64 v[155:156], v[4:5], v[10:11], v[155:156]
	v_fma_f64 v[10:11], v[2:3], v[10:11], -v[12:13]
	ds_load_b128 v[2:5], v1 offset:1440
	v_add_f64_e32 v[12:13], v[149:150], v[159:160]
	v_add_f64_e32 v[149:150], v[151:152], v[153:154]
	v_fma_f64 v[153:154], v[8:9], v[14:15], v[157:158]
	v_fma_f64 v[14:15], v[6:7], v[14:15], -v[16:17]
	ds_load_b128 v[6:9], v1 offset:1456
	s_wait_loadcnt_dscnt 0x701
	v_mul_f64_e32 v[151:152], v[2:3], v[20:21]
	v_mul_f64_e32 v[20:21], v[4:5], v[20:21]
	v_add_f64_e32 v[10:11], v[12:13], v[10:11]
	v_add_f64_e32 v[12:13], v[149:150], v[155:156]
	s_delay_alu instid0(VALU_DEP_4) | instskip(NEXT) | instid1(VALU_DEP_4)
	v_fma_f64 v[149:150], v[4:5], v[18:19], v[151:152]
	v_fma_f64 v[18:19], v[2:3], v[18:19], -v[20:21]
	ds_load_b128 v[2:5], v1 offset:1472
	v_add_f64_e32 v[14:15], v[10:11], v[14:15]
	v_add_f64_e32 v[20:21], v[12:13], v[153:154]
	scratch_load_b128 v[10:13], off, off offset:112
	s_wait_loadcnt_dscnt 0x701
	v_mul_f64_e32 v[16:17], v[6:7], v[24:25]
	v_mul_f64_e32 v[24:25], v[8:9], v[24:25]
	v_add_f64_e32 v[14:15], v[14:15], v[18:19]
	v_add_f64_e32 v[18:19], v[20:21], v[149:150]
	s_delay_alu instid0(VALU_DEP_4) | instskip(NEXT) | instid1(VALU_DEP_4)
	v_fma_f64 v[16:17], v[8:9], v[22:23], v[16:17]
	v_fma_f64 v[22:23], v[6:7], v[22:23], -v[24:25]
	ds_load_b128 v[6:9], v1 offset:1488
	s_wait_loadcnt_dscnt 0x601
	v_mul_f64_e32 v[151:152], v[2:3], v[28:29]
	v_mul_f64_e32 v[28:29], v[4:5], v[28:29]
	s_wait_loadcnt_dscnt 0x500
	v_mul_f64_e32 v[20:21], v[6:7], v[32:33]
	v_mul_f64_e32 v[24:25], v[8:9], v[32:33]
	v_add_f64_e32 v[16:17], v[18:19], v[16:17]
	v_add_f64_e32 v[14:15], v[14:15], v[22:23]
	v_fma_f64 v[32:33], v[4:5], v[26:27], v[151:152]
	v_fma_f64 v[26:27], v[2:3], v[26:27], -v[28:29]
	ds_load_b128 v[2:5], v1 offset:1504
	v_fma_f64 v[20:21], v[8:9], v[30:31], v[20:21]
	v_fma_f64 v[24:25], v[6:7], v[30:31], -v[24:25]
	ds_load_b128 v[6:9], v1 offset:1520
	s_wait_loadcnt_dscnt 0x401
	v_mul_f64_e32 v[18:19], v[2:3], v[36:37]
	v_mul_f64_e32 v[22:23], v[4:5], v[36:37]
	v_add_f64_e32 v[16:17], v[16:17], v[32:33]
	v_add_f64_e32 v[14:15], v[14:15], v[26:27]
	s_wait_loadcnt_dscnt 0x300
	v_mul_f64_e32 v[26:27], v[6:7], v[147:148]
	v_mul_f64_e32 v[28:29], v[8:9], v[147:148]
	v_fma_f64 v[18:19], v[4:5], v[34:35], v[18:19]
	v_fma_f64 v[22:23], v[2:3], v[34:35], -v[22:23]
	ds_load_b128 v[2:5], v1 offset:1536
	v_add_f64_e32 v[16:17], v[16:17], v[20:21]
	v_add_f64_e32 v[14:15], v[14:15], v[24:25]
	v_fma_f64 v[26:27], v[8:9], v[145:146], v[26:27]
	v_fma_f64 v[28:29], v[6:7], v[145:146], -v[28:29]
	ds_load_b128 v[6:9], v1 offset:1552
	s_wait_loadcnt_dscnt 0x201
	v_mul_f64_e32 v[20:21], v[2:3], v[40:41]
	v_mul_f64_e32 v[24:25], v[4:5], v[40:41]
	v_add_f64_e32 v[16:17], v[16:17], v[18:19]
	v_add_f64_e32 v[14:15], v[14:15], v[22:23]
	s_wait_loadcnt_dscnt 0x100
	v_mul_f64_e32 v[18:19], v[6:7], v[143:144]
	v_mul_f64_e32 v[22:23], v[8:9], v[143:144]
	v_fma_f64 v[4:5], v[4:5], v[38:39], v[20:21]
	v_fma_f64 v[1:2], v[2:3], v[38:39], -v[24:25]
	v_add_f64_e32 v[16:17], v[16:17], v[26:27]
	v_add_f64_e32 v[14:15], v[14:15], v[28:29]
	v_fma_f64 v[8:9], v[8:9], v[141:142], v[18:19]
	v_fma_f64 v[6:7], v[6:7], v[141:142], -v[22:23]
	s_delay_alu instid0(VALU_DEP_4) | instskip(NEXT) | instid1(VALU_DEP_4)
	v_add_f64_e32 v[3:4], v[16:17], v[4:5]
	v_add_f64_e32 v[1:2], v[14:15], v[1:2]
	s_delay_alu instid0(VALU_DEP_2) | instskip(NEXT) | instid1(VALU_DEP_2)
	v_add_f64_e32 v[3:4], v[3:4], v[8:9]
	v_add_f64_e32 v[1:2], v[1:2], v[6:7]
	s_wait_loadcnt 0x0
	s_delay_alu instid0(VALU_DEP_2) | instskip(NEXT) | instid1(VALU_DEP_2)
	v_add_f64_e64 v[3:4], v[12:13], -v[3:4]
	v_add_f64_e64 v[1:2], v[10:11], -v[1:2]
	scratch_store_b128 off, v[1:4], off offset:112
	v_cmpx_lt_u32_e32 5, v0
	s_cbranch_execz .LBB48_297
; %bb.296:
	scratch_load_b128 v[1:4], off, s57
	v_mov_b32_e32 v5, 0
	s_delay_alu instid0(VALU_DEP_1)
	v_dual_mov_b32 v6, v5 :: v_dual_mov_b32 v7, v5
	v_mov_b32_e32 v8, v5
	scratch_store_b128 off, v[5:8], off offset:96
	s_wait_loadcnt 0x0
	ds_store_b128 v140, v[1:4]
.LBB48_297:
	s_wait_alu 0xfffe
	s_or_b32 exec_lo, exec_lo, s0
	s_wait_storecnt_dscnt 0x0
	s_barrier_signal -1
	s_barrier_wait -1
	global_inv scope:SCOPE_SE
	s_clause 0x7
	scratch_load_b128 v[2:5], off, off offset:112
	scratch_load_b128 v[6:9], off, off offset:128
	;; [unrolled: 1-line block ×8, first 2 shown]
	v_mov_b32_e32 v1, 0
	s_clause 0x1
	scratch_load_b128 v[34:37], off, off offset:240
	scratch_load_b128 v[145:148], off, off offset:256
	s_mov_b32 s0, exec_lo
	ds_load_b128 v[38:41], v1 offset:880
	ds_load_b128 v[141:144], v1 offset:896
	s_wait_loadcnt_dscnt 0x901
	v_mul_f64_e32 v[149:150], v[40:41], v[4:5]
	v_mul_f64_e32 v[4:5], v[38:39], v[4:5]
	s_wait_loadcnt_dscnt 0x800
	v_mul_f64_e32 v[151:152], v[141:142], v[8:9]
	v_mul_f64_e32 v[8:9], v[143:144], v[8:9]
	s_delay_alu instid0(VALU_DEP_4) | instskip(NEXT) | instid1(VALU_DEP_4)
	v_fma_f64 v[149:150], v[38:39], v[2:3], -v[149:150]
	v_fma_f64 v[153:154], v[40:41], v[2:3], v[4:5]
	ds_load_b128 v[2:5], v1 offset:912
	scratch_load_b128 v[38:41], off, off offset:272
	v_fma_f64 v[151:152], v[143:144], v[6:7], v[151:152]
	v_fma_f64 v[157:158], v[141:142], v[6:7], -v[8:9]
	ds_load_b128 v[6:9], v1 offset:928
	scratch_load_b128 v[141:144], off, off offset:288
	s_wait_loadcnt_dscnt 0x901
	v_mul_f64_e32 v[155:156], v[2:3], v[12:13]
	v_mul_f64_e32 v[12:13], v[4:5], v[12:13]
	s_wait_loadcnt_dscnt 0x800
	v_mul_f64_e32 v[159:160], v[6:7], v[16:17]
	v_mul_f64_e32 v[16:17], v[8:9], v[16:17]
	v_add_f64_e32 v[149:150], 0, v[149:150]
	v_add_f64_e32 v[153:154], 0, v[153:154]
	v_fma_f64 v[155:156], v[4:5], v[10:11], v[155:156]
	v_fma_f64 v[161:162], v[2:3], v[10:11], -v[12:13]
	ds_load_b128 v[2:5], v1 offset:944
	scratch_load_b128 v[10:13], off, off offset:304
	v_add_f64_e32 v[149:150], v[149:150], v[157:158]
	v_add_f64_e32 v[151:152], v[153:154], v[151:152]
	v_fma_f64 v[157:158], v[8:9], v[14:15], v[159:160]
	v_fma_f64 v[159:160], v[6:7], v[14:15], -v[16:17]
	ds_load_b128 v[6:9], v1 offset:960
	scratch_load_b128 v[14:17], off, off offset:320
	s_wait_loadcnt_dscnt 0x901
	v_mul_f64_e32 v[153:154], v[2:3], v[20:21]
	v_mul_f64_e32 v[20:21], v[4:5], v[20:21]
	v_add_f64_e32 v[149:150], v[149:150], v[161:162]
	v_add_f64_e32 v[151:152], v[151:152], v[155:156]
	s_wait_loadcnt_dscnt 0x800
	v_mul_f64_e32 v[155:156], v[6:7], v[24:25]
	v_mul_f64_e32 v[24:25], v[8:9], v[24:25]
	v_fma_f64 v[153:154], v[4:5], v[18:19], v[153:154]
	v_fma_f64 v[161:162], v[2:3], v[18:19], -v[20:21]
	ds_load_b128 v[2:5], v1 offset:976
	scratch_load_b128 v[18:21], off, off offset:336
	v_add_f64_e32 v[149:150], v[149:150], v[159:160]
	v_add_f64_e32 v[151:152], v[151:152], v[157:158]
	v_fma_f64 v[155:156], v[8:9], v[22:23], v[155:156]
	v_fma_f64 v[159:160], v[6:7], v[22:23], -v[24:25]
	ds_load_b128 v[6:9], v1 offset:992
	s_wait_loadcnt_dscnt 0x801
	v_mul_f64_e32 v[157:158], v[2:3], v[28:29]
	v_mul_f64_e32 v[28:29], v[4:5], v[28:29]
	scratch_load_b128 v[22:25], off, off offset:352
	v_add_f64_e32 v[149:150], v[149:150], v[161:162]
	v_add_f64_e32 v[151:152], v[151:152], v[153:154]
	s_wait_loadcnt_dscnt 0x800
	v_mul_f64_e32 v[153:154], v[6:7], v[32:33]
	v_mul_f64_e32 v[32:33], v[8:9], v[32:33]
	v_fma_f64 v[157:158], v[4:5], v[26:27], v[157:158]
	v_fma_f64 v[161:162], v[2:3], v[26:27], -v[28:29]
	ds_load_b128 v[2:5], v1 offset:1008
	scratch_load_b128 v[26:29], off, off offset:368
	v_add_f64_e32 v[149:150], v[149:150], v[159:160]
	v_add_f64_e32 v[151:152], v[151:152], v[155:156]
	v_fma_f64 v[153:154], v[8:9], v[30:31], v[153:154]
	v_fma_f64 v[159:160], v[6:7], v[30:31], -v[32:33]
	ds_load_b128 v[6:9], v1 offset:1024
	s_wait_loadcnt_dscnt 0x801
	v_mul_f64_e32 v[155:156], v[2:3], v[36:37]
	v_mul_f64_e32 v[36:37], v[4:5], v[36:37]
	scratch_load_b128 v[30:33], off, off offset:384
	v_add_f64_e32 v[149:150], v[149:150], v[161:162]
	v_add_f64_e32 v[151:152], v[151:152], v[157:158]
	s_wait_loadcnt_dscnt 0x800
	v_mul_f64_e32 v[157:158], v[6:7], v[147:148]
	v_mul_f64_e32 v[147:148], v[8:9], v[147:148]
	v_fma_f64 v[155:156], v[4:5], v[34:35], v[155:156]
	v_fma_f64 v[161:162], v[2:3], v[34:35], -v[36:37]
	ds_load_b128 v[2:5], v1 offset:1040
	scratch_load_b128 v[34:37], off, off offset:400
	v_add_f64_e32 v[149:150], v[149:150], v[159:160]
	v_add_f64_e32 v[151:152], v[151:152], v[153:154]
	v_fma_f64 v[157:158], v[8:9], v[145:146], v[157:158]
	v_fma_f64 v[159:160], v[6:7], v[145:146], -v[147:148]
	ds_load_b128 v[6:9], v1 offset:1056
	scratch_load_b128 v[145:148], off, off offset:416
	s_wait_loadcnt_dscnt 0x901
	v_mul_f64_e32 v[153:154], v[2:3], v[40:41]
	v_mul_f64_e32 v[40:41], v[4:5], v[40:41]
	v_add_f64_e32 v[149:150], v[149:150], v[161:162]
	v_add_f64_e32 v[151:152], v[151:152], v[155:156]
	s_wait_loadcnt_dscnt 0x800
	v_mul_f64_e32 v[155:156], v[6:7], v[143:144]
	v_mul_f64_e32 v[143:144], v[8:9], v[143:144]
	v_fma_f64 v[153:154], v[4:5], v[38:39], v[153:154]
	v_fma_f64 v[161:162], v[2:3], v[38:39], -v[40:41]
	ds_load_b128 v[2:5], v1 offset:1072
	scratch_load_b128 v[38:41], off, off offset:432
	v_add_f64_e32 v[149:150], v[149:150], v[159:160]
	v_add_f64_e32 v[151:152], v[151:152], v[157:158]
	v_fma_f64 v[155:156], v[8:9], v[141:142], v[155:156]
	v_fma_f64 v[159:160], v[6:7], v[141:142], -v[143:144]
	ds_load_b128 v[6:9], v1 offset:1088
	s_wait_loadcnt_dscnt 0x801
	v_mul_f64_e32 v[157:158], v[2:3], v[12:13]
	v_mul_f64_e32 v[12:13], v[4:5], v[12:13]
	scratch_load_b128 v[141:144], off, off offset:448
	v_add_f64_e32 v[149:150], v[149:150], v[161:162]
	v_add_f64_e32 v[151:152], v[151:152], v[153:154]
	s_wait_loadcnt_dscnt 0x800
	v_mul_f64_e32 v[153:154], v[6:7], v[16:17]
	v_mul_f64_e32 v[16:17], v[8:9], v[16:17]
	v_fma_f64 v[157:158], v[4:5], v[10:11], v[157:158]
	v_fma_f64 v[161:162], v[2:3], v[10:11], -v[12:13]
	ds_load_b128 v[2:5], v1 offset:1104
	scratch_load_b128 v[10:13], off, off offset:464
	v_add_f64_e32 v[149:150], v[149:150], v[159:160]
	v_add_f64_e32 v[151:152], v[151:152], v[155:156]
	v_fma_f64 v[153:154], v[8:9], v[14:15], v[153:154]
	v_fma_f64 v[159:160], v[6:7], v[14:15], -v[16:17]
	ds_load_b128 v[6:9], v1 offset:1120
	s_wait_loadcnt_dscnt 0x801
	v_mul_f64_e32 v[155:156], v[2:3], v[20:21]
	v_mul_f64_e32 v[20:21], v[4:5], v[20:21]
	scratch_load_b128 v[14:17], off, off offset:480
	;; [unrolled: 18-line block ×11, first 2 shown]
	v_add_f64_e32 v[149:150], v[149:150], v[161:162]
	v_add_f64_e32 v[151:152], v[151:152], v[157:158]
	s_wait_loadcnt_dscnt 0x800
	v_mul_f64_e32 v[157:158], v[6:7], v[16:17]
	v_mul_f64_e32 v[16:17], v[8:9], v[16:17]
	v_fma_f64 v[155:156], v[4:5], v[10:11], v[155:156]
	v_fma_f64 v[161:162], v[2:3], v[10:11], -v[12:13]
	ds_load_b128 v[2:5], v1 offset:1424
	scratch_load_b128 v[10:13], off, off offset:784
	v_add_f64_e32 v[149:150], v[149:150], v[159:160]
	v_add_f64_e32 v[151:152], v[151:152], v[153:154]
	v_fma_f64 v[157:158], v[8:9], v[14:15], v[157:158]
	v_fma_f64 v[14:15], v[6:7], v[14:15], -v[16:17]
	ds_load_b128 v[6:9], v1 offset:1440
	s_wait_loadcnt_dscnt 0x801
	v_mul_f64_e32 v[153:154], v[2:3], v[20:21]
	v_mul_f64_e32 v[20:21], v[4:5], v[20:21]
	v_add_f64_e32 v[16:17], v[149:150], v[161:162]
	v_add_f64_e32 v[149:150], v[151:152], v[155:156]
	s_wait_loadcnt_dscnt 0x700
	v_mul_f64_e32 v[151:152], v[6:7], v[24:25]
	v_mul_f64_e32 v[24:25], v[8:9], v[24:25]
	v_fma_f64 v[153:154], v[4:5], v[18:19], v[153:154]
	v_fma_f64 v[18:19], v[2:3], v[18:19], -v[20:21]
	ds_load_b128 v[2:5], v1 offset:1456
	v_add_f64_e32 v[14:15], v[16:17], v[14:15]
	v_add_f64_e32 v[16:17], v[149:150], v[157:158]
	v_fma_f64 v[149:150], v[8:9], v[22:23], v[151:152]
	v_fma_f64 v[22:23], v[6:7], v[22:23], -v[24:25]
	ds_load_b128 v[6:9], v1 offset:1472
	s_wait_loadcnt_dscnt 0x500
	v_mul_f64_e32 v[151:152], v[6:7], v[32:33]
	v_mul_f64_e32 v[32:33], v[8:9], v[32:33]
	v_add_f64_e32 v[18:19], v[14:15], v[18:19]
	v_add_f64_e32 v[24:25], v[16:17], v[153:154]
	scratch_load_b128 v[14:17], off, off offset:96
	v_mul_f64_e32 v[20:21], v[2:3], v[28:29]
	v_mul_f64_e32 v[28:29], v[4:5], v[28:29]
	v_add_f64_e32 v[18:19], v[18:19], v[22:23]
	v_add_f64_e32 v[22:23], v[24:25], v[149:150]
	s_delay_alu instid0(VALU_DEP_4) | instskip(NEXT) | instid1(VALU_DEP_4)
	v_fma_f64 v[20:21], v[4:5], v[26:27], v[20:21]
	v_fma_f64 v[26:27], v[2:3], v[26:27], -v[28:29]
	ds_load_b128 v[2:5], v1 offset:1488
	s_wait_loadcnt_dscnt 0x500
	v_mul_f64_e32 v[24:25], v[2:3], v[36:37]
	v_mul_f64_e32 v[28:29], v[4:5], v[36:37]
	v_fma_f64 v[36:37], v[8:9], v[30:31], v[151:152]
	v_fma_f64 v[30:31], v[6:7], v[30:31], -v[32:33]
	ds_load_b128 v[6:9], v1 offset:1504
	v_add_f64_e32 v[20:21], v[22:23], v[20:21]
	v_add_f64_e32 v[18:19], v[18:19], v[26:27]
	v_fma_f64 v[24:25], v[4:5], v[34:35], v[24:25]
	v_fma_f64 v[28:29], v[2:3], v[34:35], -v[28:29]
	ds_load_b128 v[2:5], v1 offset:1520
	s_wait_loadcnt_dscnt 0x401
	v_mul_f64_e32 v[22:23], v[6:7], v[147:148]
	v_mul_f64_e32 v[26:27], v[8:9], v[147:148]
	v_add_f64_e32 v[20:21], v[20:21], v[36:37]
	v_add_f64_e32 v[18:19], v[18:19], v[30:31]
	s_wait_loadcnt_dscnt 0x300
	v_mul_f64_e32 v[30:31], v[2:3], v[40:41]
	v_mul_f64_e32 v[32:33], v[4:5], v[40:41]
	v_fma_f64 v[22:23], v[8:9], v[145:146], v[22:23]
	v_fma_f64 v[26:27], v[6:7], v[145:146], -v[26:27]
	ds_load_b128 v[6:9], v1 offset:1536
	v_add_f64_e32 v[20:21], v[20:21], v[24:25]
	v_add_f64_e32 v[18:19], v[18:19], v[28:29]
	v_fma_f64 v[30:31], v[4:5], v[38:39], v[30:31]
	v_fma_f64 v[32:33], v[2:3], v[38:39], -v[32:33]
	ds_load_b128 v[2:5], v1 offset:1552
	s_wait_loadcnt_dscnt 0x201
	v_mul_f64_e32 v[24:25], v[6:7], v[143:144]
	v_mul_f64_e32 v[28:29], v[8:9], v[143:144]
	v_add_f64_e32 v[20:21], v[20:21], v[22:23]
	v_add_f64_e32 v[18:19], v[18:19], v[26:27]
	s_wait_loadcnt_dscnt 0x100
	v_mul_f64_e32 v[22:23], v[2:3], v[12:13]
	v_mul_f64_e32 v[12:13], v[4:5], v[12:13]
	v_fma_f64 v[8:9], v[8:9], v[141:142], v[24:25]
	v_fma_f64 v[6:7], v[6:7], v[141:142], -v[28:29]
	v_add_f64_e32 v[20:21], v[20:21], v[30:31]
	v_add_f64_e32 v[18:19], v[18:19], v[32:33]
	v_fma_f64 v[4:5], v[4:5], v[10:11], v[22:23]
	v_fma_f64 v[2:3], v[2:3], v[10:11], -v[12:13]
	s_delay_alu instid0(VALU_DEP_4) | instskip(NEXT) | instid1(VALU_DEP_4)
	v_add_f64_e32 v[8:9], v[20:21], v[8:9]
	v_add_f64_e32 v[6:7], v[18:19], v[6:7]
	s_delay_alu instid0(VALU_DEP_2) | instskip(NEXT) | instid1(VALU_DEP_2)
	v_add_f64_e32 v[4:5], v[8:9], v[4:5]
	v_add_f64_e32 v[2:3], v[6:7], v[2:3]
	s_wait_loadcnt 0x0
	s_delay_alu instid0(VALU_DEP_2) | instskip(NEXT) | instid1(VALU_DEP_2)
	v_add_f64_e64 v[4:5], v[16:17], -v[4:5]
	v_add_f64_e64 v[2:3], v[14:15], -v[2:3]
	scratch_store_b128 off, v[2:5], off offset:96
	v_cmpx_lt_u32_e32 4, v0
	s_cbranch_execz .LBB48_299
; %bb.298:
	scratch_load_b128 v[5:8], off, s37
	v_dual_mov_b32 v2, v1 :: v_dual_mov_b32 v3, v1
	v_mov_b32_e32 v4, v1
	scratch_store_b128 off, v[1:4], off offset:80
	s_wait_loadcnt 0x0
	ds_store_b128 v140, v[5:8]
.LBB48_299:
	s_wait_alu 0xfffe
	s_or_b32 exec_lo, exec_lo, s0
	s_wait_storecnt_dscnt 0x0
	s_barrier_signal -1
	s_barrier_wait -1
	global_inv scope:SCOPE_SE
	s_clause 0x7
	scratch_load_b128 v[2:5], off, off offset:96
	scratch_load_b128 v[6:9], off, off offset:112
	;; [unrolled: 1-line block ×8, first 2 shown]
	ds_load_b128 v[38:41], v1 offset:864
	ds_load_b128 v[141:144], v1 offset:880
	s_clause 0x1
	scratch_load_b128 v[34:37], off, off offset:224
	scratch_load_b128 v[145:148], off, off offset:240
	s_mov_b32 s0, exec_lo
	s_wait_loadcnt_dscnt 0x901
	v_mul_f64_e32 v[149:150], v[40:41], v[4:5]
	v_mul_f64_e32 v[4:5], v[38:39], v[4:5]
	s_wait_loadcnt_dscnt 0x800
	v_mul_f64_e32 v[151:152], v[141:142], v[8:9]
	v_mul_f64_e32 v[8:9], v[143:144], v[8:9]
	s_delay_alu instid0(VALU_DEP_4) | instskip(NEXT) | instid1(VALU_DEP_4)
	v_fma_f64 v[149:150], v[38:39], v[2:3], -v[149:150]
	v_fma_f64 v[153:154], v[40:41], v[2:3], v[4:5]
	ds_load_b128 v[2:5], v1 offset:896
	scratch_load_b128 v[38:41], off, off offset:256
	v_fma_f64 v[151:152], v[143:144], v[6:7], v[151:152]
	v_fma_f64 v[157:158], v[141:142], v[6:7], -v[8:9]
	ds_load_b128 v[6:9], v1 offset:912
	scratch_load_b128 v[141:144], off, off offset:272
	s_wait_loadcnt_dscnt 0x901
	v_mul_f64_e32 v[155:156], v[2:3], v[12:13]
	v_mul_f64_e32 v[12:13], v[4:5], v[12:13]
	s_wait_loadcnt_dscnt 0x800
	v_mul_f64_e32 v[159:160], v[6:7], v[16:17]
	v_mul_f64_e32 v[16:17], v[8:9], v[16:17]
	v_add_f64_e32 v[149:150], 0, v[149:150]
	v_add_f64_e32 v[153:154], 0, v[153:154]
	v_fma_f64 v[155:156], v[4:5], v[10:11], v[155:156]
	v_fma_f64 v[161:162], v[2:3], v[10:11], -v[12:13]
	ds_load_b128 v[2:5], v1 offset:928
	scratch_load_b128 v[10:13], off, off offset:288
	v_add_f64_e32 v[149:150], v[149:150], v[157:158]
	v_add_f64_e32 v[151:152], v[153:154], v[151:152]
	v_fma_f64 v[157:158], v[8:9], v[14:15], v[159:160]
	v_fma_f64 v[159:160], v[6:7], v[14:15], -v[16:17]
	ds_load_b128 v[6:9], v1 offset:944
	scratch_load_b128 v[14:17], off, off offset:304
	s_wait_loadcnt_dscnt 0x901
	v_mul_f64_e32 v[153:154], v[2:3], v[20:21]
	v_mul_f64_e32 v[20:21], v[4:5], v[20:21]
	v_add_f64_e32 v[149:150], v[149:150], v[161:162]
	v_add_f64_e32 v[151:152], v[151:152], v[155:156]
	s_wait_loadcnt_dscnt 0x800
	v_mul_f64_e32 v[155:156], v[6:7], v[24:25]
	v_mul_f64_e32 v[24:25], v[8:9], v[24:25]
	v_fma_f64 v[153:154], v[4:5], v[18:19], v[153:154]
	v_fma_f64 v[161:162], v[2:3], v[18:19], -v[20:21]
	ds_load_b128 v[2:5], v1 offset:960
	scratch_load_b128 v[18:21], off, off offset:320
	v_add_f64_e32 v[149:150], v[149:150], v[159:160]
	v_add_f64_e32 v[151:152], v[151:152], v[157:158]
	v_fma_f64 v[155:156], v[8:9], v[22:23], v[155:156]
	v_fma_f64 v[159:160], v[6:7], v[22:23], -v[24:25]
	ds_load_b128 v[6:9], v1 offset:976
	s_wait_loadcnt_dscnt 0x801
	v_mul_f64_e32 v[157:158], v[2:3], v[28:29]
	v_mul_f64_e32 v[28:29], v[4:5], v[28:29]
	scratch_load_b128 v[22:25], off, off offset:336
	v_add_f64_e32 v[149:150], v[149:150], v[161:162]
	v_add_f64_e32 v[151:152], v[151:152], v[153:154]
	s_wait_loadcnt_dscnt 0x800
	v_mul_f64_e32 v[153:154], v[6:7], v[32:33]
	v_mul_f64_e32 v[32:33], v[8:9], v[32:33]
	v_fma_f64 v[157:158], v[4:5], v[26:27], v[157:158]
	v_fma_f64 v[161:162], v[2:3], v[26:27], -v[28:29]
	ds_load_b128 v[2:5], v1 offset:992
	scratch_load_b128 v[26:29], off, off offset:352
	v_add_f64_e32 v[149:150], v[149:150], v[159:160]
	v_add_f64_e32 v[151:152], v[151:152], v[155:156]
	v_fma_f64 v[153:154], v[8:9], v[30:31], v[153:154]
	v_fma_f64 v[159:160], v[6:7], v[30:31], -v[32:33]
	ds_load_b128 v[6:9], v1 offset:1008
	s_wait_loadcnt_dscnt 0x801
	v_mul_f64_e32 v[155:156], v[2:3], v[36:37]
	v_mul_f64_e32 v[36:37], v[4:5], v[36:37]
	scratch_load_b128 v[30:33], off, off offset:368
	v_add_f64_e32 v[149:150], v[149:150], v[161:162]
	v_add_f64_e32 v[151:152], v[151:152], v[157:158]
	s_wait_loadcnt_dscnt 0x800
	v_mul_f64_e32 v[157:158], v[6:7], v[147:148]
	v_mul_f64_e32 v[147:148], v[8:9], v[147:148]
	v_fma_f64 v[155:156], v[4:5], v[34:35], v[155:156]
	v_fma_f64 v[161:162], v[2:3], v[34:35], -v[36:37]
	ds_load_b128 v[2:5], v1 offset:1024
	scratch_load_b128 v[34:37], off, off offset:384
	v_add_f64_e32 v[149:150], v[149:150], v[159:160]
	v_add_f64_e32 v[151:152], v[151:152], v[153:154]
	v_fma_f64 v[157:158], v[8:9], v[145:146], v[157:158]
	v_fma_f64 v[159:160], v[6:7], v[145:146], -v[147:148]
	ds_load_b128 v[6:9], v1 offset:1040
	scratch_load_b128 v[145:148], off, off offset:400
	s_wait_loadcnt_dscnt 0x901
	v_mul_f64_e32 v[153:154], v[2:3], v[40:41]
	v_mul_f64_e32 v[40:41], v[4:5], v[40:41]
	v_add_f64_e32 v[149:150], v[149:150], v[161:162]
	v_add_f64_e32 v[151:152], v[151:152], v[155:156]
	s_wait_loadcnt_dscnt 0x800
	v_mul_f64_e32 v[155:156], v[6:7], v[143:144]
	v_mul_f64_e32 v[143:144], v[8:9], v[143:144]
	v_fma_f64 v[153:154], v[4:5], v[38:39], v[153:154]
	v_fma_f64 v[161:162], v[2:3], v[38:39], -v[40:41]
	ds_load_b128 v[2:5], v1 offset:1056
	scratch_load_b128 v[38:41], off, off offset:416
	v_add_f64_e32 v[149:150], v[149:150], v[159:160]
	v_add_f64_e32 v[151:152], v[151:152], v[157:158]
	v_fma_f64 v[155:156], v[8:9], v[141:142], v[155:156]
	v_fma_f64 v[159:160], v[6:7], v[141:142], -v[143:144]
	ds_load_b128 v[6:9], v1 offset:1072
	s_wait_loadcnt_dscnt 0x801
	v_mul_f64_e32 v[157:158], v[2:3], v[12:13]
	v_mul_f64_e32 v[12:13], v[4:5], v[12:13]
	scratch_load_b128 v[141:144], off, off offset:432
	v_add_f64_e32 v[149:150], v[149:150], v[161:162]
	v_add_f64_e32 v[151:152], v[151:152], v[153:154]
	s_wait_loadcnt_dscnt 0x800
	v_mul_f64_e32 v[153:154], v[6:7], v[16:17]
	v_mul_f64_e32 v[16:17], v[8:9], v[16:17]
	v_fma_f64 v[157:158], v[4:5], v[10:11], v[157:158]
	v_fma_f64 v[161:162], v[2:3], v[10:11], -v[12:13]
	ds_load_b128 v[2:5], v1 offset:1088
	scratch_load_b128 v[10:13], off, off offset:448
	v_add_f64_e32 v[149:150], v[149:150], v[159:160]
	v_add_f64_e32 v[151:152], v[151:152], v[155:156]
	v_fma_f64 v[153:154], v[8:9], v[14:15], v[153:154]
	v_fma_f64 v[159:160], v[6:7], v[14:15], -v[16:17]
	ds_load_b128 v[6:9], v1 offset:1104
	s_wait_loadcnt_dscnt 0x801
	v_mul_f64_e32 v[155:156], v[2:3], v[20:21]
	v_mul_f64_e32 v[20:21], v[4:5], v[20:21]
	scratch_load_b128 v[14:17], off, off offset:464
	;; [unrolled: 18-line block ×12, first 2 shown]
	v_add_f64_e32 v[149:150], v[149:150], v[161:162]
	v_add_f64_e32 v[151:152], v[151:152], v[155:156]
	s_wait_loadcnt_dscnt 0x800
	v_mul_f64_e32 v[155:156], v[6:7], v[24:25]
	v_mul_f64_e32 v[24:25], v[8:9], v[24:25]
	v_fma_f64 v[153:154], v[4:5], v[18:19], v[153:154]
	v_fma_f64 v[18:19], v[2:3], v[18:19], -v[20:21]
	ds_load_b128 v[2:5], v1 offset:1440
	v_add_f64_e32 v[20:21], v[149:150], v[159:160]
	v_add_f64_e32 v[149:150], v[151:152], v[157:158]
	v_fma_f64 v[155:156], v[8:9], v[22:23], v[155:156]
	v_fma_f64 v[22:23], v[6:7], v[22:23], -v[24:25]
	ds_load_b128 v[6:9], v1 offset:1456
	s_wait_loadcnt_dscnt 0x701
	v_mul_f64_e32 v[151:152], v[2:3], v[28:29]
	v_mul_f64_e32 v[28:29], v[4:5], v[28:29]
	v_add_f64_e32 v[18:19], v[20:21], v[18:19]
	v_add_f64_e32 v[20:21], v[149:150], v[153:154]
	s_delay_alu instid0(VALU_DEP_4) | instskip(NEXT) | instid1(VALU_DEP_4)
	v_fma_f64 v[149:150], v[4:5], v[26:27], v[151:152]
	v_fma_f64 v[26:27], v[2:3], v[26:27], -v[28:29]
	ds_load_b128 v[2:5], v1 offset:1472
	v_add_f64_e32 v[22:23], v[18:19], v[22:23]
	v_add_f64_e32 v[28:29], v[20:21], v[155:156]
	scratch_load_b128 v[18:21], off, off offset:80
	s_wait_loadcnt_dscnt 0x701
	v_mul_f64_e32 v[24:25], v[6:7], v[32:33]
	v_mul_f64_e32 v[32:33], v[8:9], v[32:33]
	v_add_f64_e32 v[22:23], v[22:23], v[26:27]
	v_add_f64_e32 v[26:27], v[28:29], v[149:150]
	s_delay_alu instid0(VALU_DEP_4) | instskip(NEXT) | instid1(VALU_DEP_4)
	v_fma_f64 v[24:25], v[8:9], v[30:31], v[24:25]
	v_fma_f64 v[30:31], v[6:7], v[30:31], -v[32:33]
	ds_load_b128 v[6:9], v1 offset:1488
	s_wait_loadcnt_dscnt 0x601
	v_mul_f64_e32 v[151:152], v[2:3], v[36:37]
	v_mul_f64_e32 v[36:37], v[4:5], v[36:37]
	s_wait_loadcnt_dscnt 0x500
	v_mul_f64_e32 v[28:29], v[6:7], v[147:148]
	v_mul_f64_e32 v[32:33], v[8:9], v[147:148]
	v_add_f64_e32 v[24:25], v[26:27], v[24:25]
	v_add_f64_e32 v[22:23], v[22:23], v[30:31]
	v_fma_f64 v[147:148], v[4:5], v[34:35], v[151:152]
	v_fma_f64 v[34:35], v[2:3], v[34:35], -v[36:37]
	ds_load_b128 v[2:5], v1 offset:1504
	v_fma_f64 v[28:29], v[8:9], v[145:146], v[28:29]
	v_fma_f64 v[32:33], v[6:7], v[145:146], -v[32:33]
	ds_load_b128 v[6:9], v1 offset:1520
	s_wait_loadcnt_dscnt 0x401
	v_mul_f64_e32 v[26:27], v[2:3], v[40:41]
	v_mul_f64_e32 v[30:31], v[4:5], v[40:41]
	v_add_f64_e32 v[24:25], v[24:25], v[147:148]
	v_add_f64_e32 v[22:23], v[22:23], v[34:35]
	s_wait_loadcnt_dscnt 0x300
	v_mul_f64_e32 v[34:35], v[6:7], v[143:144]
	v_mul_f64_e32 v[36:37], v[8:9], v[143:144]
	v_fma_f64 v[26:27], v[4:5], v[38:39], v[26:27]
	v_fma_f64 v[30:31], v[2:3], v[38:39], -v[30:31]
	ds_load_b128 v[2:5], v1 offset:1536
	v_add_f64_e32 v[24:25], v[24:25], v[28:29]
	v_add_f64_e32 v[22:23], v[22:23], v[32:33]
	v_fma_f64 v[32:33], v[8:9], v[141:142], v[34:35]
	v_fma_f64 v[34:35], v[6:7], v[141:142], -v[36:37]
	ds_load_b128 v[6:9], v1 offset:1552
	s_wait_loadcnt_dscnt 0x201
	v_mul_f64_e32 v[28:29], v[2:3], v[12:13]
	v_mul_f64_e32 v[12:13], v[4:5], v[12:13]
	v_add_f64_e32 v[24:25], v[24:25], v[26:27]
	v_add_f64_e32 v[22:23], v[22:23], v[30:31]
	s_wait_loadcnt_dscnt 0x100
	v_mul_f64_e32 v[26:27], v[6:7], v[16:17]
	v_mul_f64_e32 v[16:17], v[8:9], v[16:17]
	v_fma_f64 v[4:5], v[4:5], v[10:11], v[28:29]
	v_fma_f64 v[1:2], v[2:3], v[10:11], -v[12:13]
	v_add_f64_e32 v[12:13], v[24:25], v[32:33]
	v_add_f64_e32 v[10:11], v[22:23], v[34:35]
	v_fma_f64 v[8:9], v[8:9], v[14:15], v[26:27]
	v_fma_f64 v[6:7], v[6:7], v[14:15], -v[16:17]
	s_delay_alu instid0(VALU_DEP_4) | instskip(NEXT) | instid1(VALU_DEP_4)
	v_add_f64_e32 v[3:4], v[12:13], v[4:5]
	v_add_f64_e32 v[1:2], v[10:11], v[1:2]
	s_delay_alu instid0(VALU_DEP_2) | instskip(NEXT) | instid1(VALU_DEP_2)
	v_add_f64_e32 v[3:4], v[3:4], v[8:9]
	v_add_f64_e32 v[1:2], v[1:2], v[6:7]
	s_wait_loadcnt 0x0
	s_delay_alu instid0(VALU_DEP_2) | instskip(NEXT) | instid1(VALU_DEP_2)
	v_add_f64_e64 v[3:4], v[20:21], -v[3:4]
	v_add_f64_e64 v[1:2], v[18:19], -v[1:2]
	scratch_store_b128 off, v[1:4], off offset:80
	v_cmpx_lt_u32_e32 3, v0
	s_cbranch_execz .LBB48_301
; %bb.300:
	scratch_load_b128 v[1:4], off, s39
	v_mov_b32_e32 v5, 0
	s_delay_alu instid0(VALU_DEP_1)
	v_dual_mov_b32 v6, v5 :: v_dual_mov_b32 v7, v5
	v_mov_b32_e32 v8, v5
	scratch_store_b128 off, v[5:8], off offset:64
	s_wait_loadcnt 0x0
	ds_store_b128 v140, v[1:4]
.LBB48_301:
	s_wait_alu 0xfffe
	s_or_b32 exec_lo, exec_lo, s0
	s_wait_storecnt_dscnt 0x0
	s_barrier_signal -1
	s_barrier_wait -1
	global_inv scope:SCOPE_SE
	s_clause 0x7
	scratch_load_b128 v[2:5], off, off offset:80
	scratch_load_b128 v[6:9], off, off offset:96
	;; [unrolled: 1-line block ×8, first 2 shown]
	v_mov_b32_e32 v1, 0
	s_clause 0x1
	scratch_load_b128 v[34:37], off, off offset:208
	scratch_load_b128 v[145:148], off, off offset:224
	s_mov_b32 s0, exec_lo
	ds_load_b128 v[38:41], v1 offset:848
	ds_load_b128 v[141:144], v1 offset:864
	s_wait_loadcnt_dscnt 0x901
	v_mul_f64_e32 v[149:150], v[40:41], v[4:5]
	v_mul_f64_e32 v[4:5], v[38:39], v[4:5]
	s_wait_loadcnt_dscnt 0x800
	v_mul_f64_e32 v[151:152], v[141:142], v[8:9]
	v_mul_f64_e32 v[8:9], v[143:144], v[8:9]
	s_delay_alu instid0(VALU_DEP_4) | instskip(NEXT) | instid1(VALU_DEP_4)
	v_fma_f64 v[149:150], v[38:39], v[2:3], -v[149:150]
	v_fma_f64 v[153:154], v[40:41], v[2:3], v[4:5]
	ds_load_b128 v[2:5], v1 offset:880
	scratch_load_b128 v[38:41], off, off offset:240
	v_fma_f64 v[151:152], v[143:144], v[6:7], v[151:152]
	v_fma_f64 v[157:158], v[141:142], v[6:7], -v[8:9]
	ds_load_b128 v[6:9], v1 offset:896
	scratch_load_b128 v[141:144], off, off offset:256
	s_wait_loadcnt_dscnt 0x901
	v_mul_f64_e32 v[155:156], v[2:3], v[12:13]
	v_mul_f64_e32 v[12:13], v[4:5], v[12:13]
	s_wait_loadcnt_dscnt 0x800
	v_mul_f64_e32 v[159:160], v[6:7], v[16:17]
	v_mul_f64_e32 v[16:17], v[8:9], v[16:17]
	v_add_f64_e32 v[149:150], 0, v[149:150]
	v_add_f64_e32 v[153:154], 0, v[153:154]
	v_fma_f64 v[155:156], v[4:5], v[10:11], v[155:156]
	v_fma_f64 v[161:162], v[2:3], v[10:11], -v[12:13]
	ds_load_b128 v[2:5], v1 offset:912
	scratch_load_b128 v[10:13], off, off offset:272
	v_add_f64_e32 v[149:150], v[149:150], v[157:158]
	v_add_f64_e32 v[151:152], v[153:154], v[151:152]
	v_fma_f64 v[157:158], v[8:9], v[14:15], v[159:160]
	v_fma_f64 v[159:160], v[6:7], v[14:15], -v[16:17]
	ds_load_b128 v[6:9], v1 offset:928
	scratch_load_b128 v[14:17], off, off offset:288
	s_wait_loadcnt_dscnt 0x901
	v_mul_f64_e32 v[153:154], v[2:3], v[20:21]
	v_mul_f64_e32 v[20:21], v[4:5], v[20:21]
	v_add_f64_e32 v[149:150], v[149:150], v[161:162]
	v_add_f64_e32 v[151:152], v[151:152], v[155:156]
	s_wait_loadcnt_dscnt 0x800
	v_mul_f64_e32 v[155:156], v[6:7], v[24:25]
	v_mul_f64_e32 v[24:25], v[8:9], v[24:25]
	v_fma_f64 v[153:154], v[4:5], v[18:19], v[153:154]
	v_fma_f64 v[161:162], v[2:3], v[18:19], -v[20:21]
	ds_load_b128 v[2:5], v1 offset:944
	scratch_load_b128 v[18:21], off, off offset:304
	v_add_f64_e32 v[149:150], v[149:150], v[159:160]
	v_add_f64_e32 v[151:152], v[151:152], v[157:158]
	v_fma_f64 v[155:156], v[8:9], v[22:23], v[155:156]
	v_fma_f64 v[159:160], v[6:7], v[22:23], -v[24:25]
	ds_load_b128 v[6:9], v1 offset:960
	s_wait_loadcnt_dscnt 0x801
	v_mul_f64_e32 v[157:158], v[2:3], v[28:29]
	v_mul_f64_e32 v[28:29], v[4:5], v[28:29]
	scratch_load_b128 v[22:25], off, off offset:320
	v_add_f64_e32 v[149:150], v[149:150], v[161:162]
	v_add_f64_e32 v[151:152], v[151:152], v[153:154]
	s_wait_loadcnt_dscnt 0x800
	v_mul_f64_e32 v[153:154], v[6:7], v[32:33]
	v_mul_f64_e32 v[32:33], v[8:9], v[32:33]
	v_fma_f64 v[157:158], v[4:5], v[26:27], v[157:158]
	v_fma_f64 v[161:162], v[2:3], v[26:27], -v[28:29]
	ds_load_b128 v[2:5], v1 offset:976
	scratch_load_b128 v[26:29], off, off offset:336
	v_add_f64_e32 v[149:150], v[149:150], v[159:160]
	v_add_f64_e32 v[151:152], v[151:152], v[155:156]
	v_fma_f64 v[153:154], v[8:9], v[30:31], v[153:154]
	v_fma_f64 v[159:160], v[6:7], v[30:31], -v[32:33]
	ds_load_b128 v[6:9], v1 offset:992
	s_wait_loadcnt_dscnt 0x801
	v_mul_f64_e32 v[155:156], v[2:3], v[36:37]
	v_mul_f64_e32 v[36:37], v[4:5], v[36:37]
	scratch_load_b128 v[30:33], off, off offset:352
	v_add_f64_e32 v[149:150], v[149:150], v[161:162]
	v_add_f64_e32 v[151:152], v[151:152], v[157:158]
	s_wait_loadcnt_dscnt 0x800
	v_mul_f64_e32 v[157:158], v[6:7], v[147:148]
	v_mul_f64_e32 v[147:148], v[8:9], v[147:148]
	v_fma_f64 v[155:156], v[4:5], v[34:35], v[155:156]
	v_fma_f64 v[161:162], v[2:3], v[34:35], -v[36:37]
	ds_load_b128 v[2:5], v1 offset:1008
	scratch_load_b128 v[34:37], off, off offset:368
	v_add_f64_e32 v[149:150], v[149:150], v[159:160]
	v_add_f64_e32 v[151:152], v[151:152], v[153:154]
	v_fma_f64 v[157:158], v[8:9], v[145:146], v[157:158]
	v_fma_f64 v[159:160], v[6:7], v[145:146], -v[147:148]
	ds_load_b128 v[6:9], v1 offset:1024
	scratch_load_b128 v[145:148], off, off offset:384
	s_wait_loadcnt_dscnt 0x901
	v_mul_f64_e32 v[153:154], v[2:3], v[40:41]
	v_mul_f64_e32 v[40:41], v[4:5], v[40:41]
	v_add_f64_e32 v[149:150], v[149:150], v[161:162]
	v_add_f64_e32 v[151:152], v[151:152], v[155:156]
	s_wait_loadcnt_dscnt 0x800
	v_mul_f64_e32 v[155:156], v[6:7], v[143:144]
	v_mul_f64_e32 v[143:144], v[8:9], v[143:144]
	v_fma_f64 v[153:154], v[4:5], v[38:39], v[153:154]
	v_fma_f64 v[161:162], v[2:3], v[38:39], -v[40:41]
	ds_load_b128 v[2:5], v1 offset:1040
	scratch_load_b128 v[38:41], off, off offset:400
	v_add_f64_e32 v[149:150], v[149:150], v[159:160]
	v_add_f64_e32 v[151:152], v[151:152], v[157:158]
	v_fma_f64 v[155:156], v[8:9], v[141:142], v[155:156]
	v_fma_f64 v[159:160], v[6:7], v[141:142], -v[143:144]
	ds_load_b128 v[6:9], v1 offset:1056
	s_wait_loadcnt_dscnt 0x801
	v_mul_f64_e32 v[157:158], v[2:3], v[12:13]
	v_mul_f64_e32 v[12:13], v[4:5], v[12:13]
	scratch_load_b128 v[141:144], off, off offset:416
	v_add_f64_e32 v[149:150], v[149:150], v[161:162]
	v_add_f64_e32 v[151:152], v[151:152], v[153:154]
	s_wait_loadcnt_dscnt 0x800
	v_mul_f64_e32 v[153:154], v[6:7], v[16:17]
	v_mul_f64_e32 v[16:17], v[8:9], v[16:17]
	v_fma_f64 v[157:158], v[4:5], v[10:11], v[157:158]
	v_fma_f64 v[161:162], v[2:3], v[10:11], -v[12:13]
	ds_load_b128 v[2:5], v1 offset:1072
	scratch_load_b128 v[10:13], off, off offset:432
	v_add_f64_e32 v[149:150], v[149:150], v[159:160]
	v_add_f64_e32 v[151:152], v[151:152], v[155:156]
	v_fma_f64 v[153:154], v[8:9], v[14:15], v[153:154]
	v_fma_f64 v[159:160], v[6:7], v[14:15], -v[16:17]
	ds_load_b128 v[6:9], v1 offset:1088
	s_wait_loadcnt_dscnt 0x801
	v_mul_f64_e32 v[155:156], v[2:3], v[20:21]
	v_mul_f64_e32 v[20:21], v[4:5], v[20:21]
	scratch_load_b128 v[14:17], off, off offset:448
	;; [unrolled: 18-line block ×12, first 2 shown]
	v_add_f64_e32 v[149:150], v[149:150], v[161:162]
	v_add_f64_e32 v[151:152], v[151:152], v[155:156]
	s_wait_loadcnt_dscnt 0x800
	v_mul_f64_e32 v[155:156], v[6:7], v[24:25]
	v_mul_f64_e32 v[24:25], v[8:9], v[24:25]
	v_fma_f64 v[153:154], v[4:5], v[18:19], v[153:154]
	v_fma_f64 v[161:162], v[2:3], v[18:19], -v[20:21]
	ds_load_b128 v[2:5], v1 offset:1424
	scratch_load_b128 v[18:21], off, off offset:784
	v_add_f64_e32 v[149:150], v[149:150], v[159:160]
	v_add_f64_e32 v[151:152], v[151:152], v[157:158]
	v_fma_f64 v[155:156], v[8:9], v[22:23], v[155:156]
	v_fma_f64 v[22:23], v[6:7], v[22:23], -v[24:25]
	ds_load_b128 v[6:9], v1 offset:1440
	s_wait_loadcnt_dscnt 0x801
	v_mul_f64_e32 v[157:158], v[2:3], v[28:29]
	v_mul_f64_e32 v[28:29], v[4:5], v[28:29]
	v_add_f64_e32 v[24:25], v[149:150], v[161:162]
	v_add_f64_e32 v[149:150], v[151:152], v[153:154]
	s_wait_loadcnt_dscnt 0x700
	v_mul_f64_e32 v[151:152], v[6:7], v[32:33]
	v_mul_f64_e32 v[32:33], v[8:9], v[32:33]
	v_fma_f64 v[153:154], v[4:5], v[26:27], v[157:158]
	v_fma_f64 v[26:27], v[2:3], v[26:27], -v[28:29]
	ds_load_b128 v[2:5], v1 offset:1456
	v_add_f64_e32 v[22:23], v[24:25], v[22:23]
	v_add_f64_e32 v[24:25], v[149:150], v[155:156]
	v_fma_f64 v[149:150], v[8:9], v[30:31], v[151:152]
	v_fma_f64 v[30:31], v[6:7], v[30:31], -v[32:33]
	ds_load_b128 v[6:9], v1 offset:1472
	s_wait_loadcnt_dscnt 0x500
	v_mul_f64_e32 v[151:152], v[6:7], v[147:148]
	v_mul_f64_e32 v[147:148], v[8:9], v[147:148]
	v_add_f64_e32 v[26:27], v[22:23], v[26:27]
	v_add_f64_e32 v[32:33], v[24:25], v[153:154]
	scratch_load_b128 v[22:25], off, off offset:64
	v_mul_f64_e32 v[28:29], v[2:3], v[36:37]
	v_mul_f64_e32 v[36:37], v[4:5], v[36:37]
	v_add_f64_e32 v[26:27], v[26:27], v[30:31]
	v_add_f64_e32 v[30:31], v[32:33], v[149:150]
	s_delay_alu instid0(VALU_DEP_4) | instskip(NEXT) | instid1(VALU_DEP_4)
	v_fma_f64 v[28:29], v[4:5], v[34:35], v[28:29]
	v_fma_f64 v[34:35], v[2:3], v[34:35], -v[36:37]
	ds_load_b128 v[2:5], v1 offset:1488
	s_wait_loadcnt_dscnt 0x500
	v_mul_f64_e32 v[32:33], v[2:3], v[40:41]
	v_mul_f64_e32 v[36:37], v[4:5], v[40:41]
	v_fma_f64 v[40:41], v[8:9], v[145:146], v[151:152]
	v_fma_f64 v[145:146], v[6:7], v[145:146], -v[147:148]
	ds_load_b128 v[6:9], v1 offset:1504
	v_add_f64_e32 v[28:29], v[30:31], v[28:29]
	v_add_f64_e32 v[26:27], v[26:27], v[34:35]
	v_fma_f64 v[32:33], v[4:5], v[38:39], v[32:33]
	v_fma_f64 v[36:37], v[2:3], v[38:39], -v[36:37]
	ds_load_b128 v[2:5], v1 offset:1520
	s_wait_loadcnt_dscnt 0x401
	v_mul_f64_e32 v[30:31], v[6:7], v[143:144]
	v_mul_f64_e32 v[34:35], v[8:9], v[143:144]
	v_add_f64_e32 v[28:29], v[28:29], v[40:41]
	v_add_f64_e32 v[26:27], v[26:27], v[145:146]
	s_wait_loadcnt_dscnt 0x300
	v_mul_f64_e32 v[38:39], v[2:3], v[12:13]
	v_mul_f64_e32 v[12:13], v[4:5], v[12:13]
	v_fma_f64 v[30:31], v[8:9], v[141:142], v[30:31]
	v_fma_f64 v[34:35], v[6:7], v[141:142], -v[34:35]
	ds_load_b128 v[6:9], v1 offset:1536
	v_add_f64_e32 v[28:29], v[28:29], v[32:33]
	v_add_f64_e32 v[26:27], v[26:27], v[36:37]
	v_fma_f64 v[36:37], v[4:5], v[10:11], v[38:39]
	v_fma_f64 v[10:11], v[2:3], v[10:11], -v[12:13]
	ds_load_b128 v[2:5], v1 offset:1552
	s_wait_loadcnt_dscnt 0x201
	v_mul_f64_e32 v[32:33], v[6:7], v[16:17]
	v_mul_f64_e32 v[16:17], v[8:9], v[16:17]
	v_add_f64_e32 v[12:13], v[26:27], v[34:35]
	v_add_f64_e32 v[26:27], v[28:29], v[30:31]
	s_wait_loadcnt_dscnt 0x100
	v_mul_f64_e32 v[28:29], v[2:3], v[20:21]
	v_mul_f64_e32 v[20:21], v[4:5], v[20:21]
	v_fma_f64 v[8:9], v[8:9], v[14:15], v[32:33]
	v_fma_f64 v[6:7], v[6:7], v[14:15], -v[16:17]
	v_add_f64_e32 v[10:11], v[12:13], v[10:11]
	v_add_f64_e32 v[12:13], v[26:27], v[36:37]
	v_fma_f64 v[4:5], v[4:5], v[18:19], v[28:29]
	v_fma_f64 v[2:3], v[2:3], v[18:19], -v[20:21]
	s_delay_alu instid0(VALU_DEP_4) | instskip(NEXT) | instid1(VALU_DEP_4)
	v_add_f64_e32 v[6:7], v[10:11], v[6:7]
	v_add_f64_e32 v[8:9], v[12:13], v[8:9]
	s_delay_alu instid0(VALU_DEP_2) | instskip(NEXT) | instid1(VALU_DEP_2)
	v_add_f64_e32 v[2:3], v[6:7], v[2:3]
	v_add_f64_e32 v[4:5], v[8:9], v[4:5]
	s_wait_loadcnt 0x0
	s_delay_alu instid0(VALU_DEP_2) | instskip(NEXT) | instid1(VALU_DEP_2)
	v_add_f64_e64 v[2:3], v[22:23], -v[2:3]
	v_add_f64_e64 v[4:5], v[24:25], -v[4:5]
	scratch_store_b128 off, v[2:5], off offset:64
	v_cmpx_lt_u32_e32 2, v0
	s_cbranch_execz .LBB48_303
; %bb.302:
	scratch_load_b128 v[5:8], off, s41
	v_dual_mov_b32 v2, v1 :: v_dual_mov_b32 v3, v1
	v_mov_b32_e32 v4, v1
	scratch_store_b128 off, v[1:4], off offset:48
	s_wait_loadcnt 0x0
	ds_store_b128 v140, v[5:8]
.LBB48_303:
	s_wait_alu 0xfffe
	s_or_b32 exec_lo, exec_lo, s0
	s_wait_storecnt_dscnt 0x0
	s_barrier_signal -1
	s_barrier_wait -1
	global_inv scope:SCOPE_SE
	s_clause 0x7
	scratch_load_b128 v[2:5], off, off offset:64
	scratch_load_b128 v[6:9], off, off offset:80
	;; [unrolled: 1-line block ×8, first 2 shown]
	ds_load_b128 v[38:41], v1 offset:832
	ds_load_b128 v[141:144], v1 offset:848
	s_clause 0x1
	scratch_load_b128 v[34:37], off, off offset:192
	scratch_load_b128 v[145:148], off, off offset:208
	s_mov_b32 s0, exec_lo
	s_wait_loadcnt_dscnt 0x901
	v_mul_f64_e32 v[149:150], v[40:41], v[4:5]
	v_mul_f64_e32 v[4:5], v[38:39], v[4:5]
	s_wait_loadcnt_dscnt 0x800
	v_mul_f64_e32 v[151:152], v[141:142], v[8:9]
	v_mul_f64_e32 v[8:9], v[143:144], v[8:9]
	s_delay_alu instid0(VALU_DEP_4) | instskip(NEXT) | instid1(VALU_DEP_4)
	v_fma_f64 v[149:150], v[38:39], v[2:3], -v[149:150]
	v_fma_f64 v[153:154], v[40:41], v[2:3], v[4:5]
	ds_load_b128 v[2:5], v1 offset:864
	scratch_load_b128 v[38:41], off, off offset:224
	v_fma_f64 v[151:152], v[143:144], v[6:7], v[151:152]
	v_fma_f64 v[157:158], v[141:142], v[6:7], -v[8:9]
	ds_load_b128 v[6:9], v1 offset:880
	scratch_load_b128 v[141:144], off, off offset:240
	s_wait_loadcnt_dscnt 0x901
	v_mul_f64_e32 v[155:156], v[2:3], v[12:13]
	v_mul_f64_e32 v[12:13], v[4:5], v[12:13]
	s_wait_loadcnt_dscnt 0x800
	v_mul_f64_e32 v[159:160], v[6:7], v[16:17]
	v_mul_f64_e32 v[16:17], v[8:9], v[16:17]
	v_add_f64_e32 v[149:150], 0, v[149:150]
	v_add_f64_e32 v[153:154], 0, v[153:154]
	v_fma_f64 v[155:156], v[4:5], v[10:11], v[155:156]
	v_fma_f64 v[161:162], v[2:3], v[10:11], -v[12:13]
	ds_load_b128 v[2:5], v1 offset:896
	scratch_load_b128 v[10:13], off, off offset:256
	v_add_f64_e32 v[149:150], v[149:150], v[157:158]
	v_add_f64_e32 v[151:152], v[153:154], v[151:152]
	v_fma_f64 v[157:158], v[8:9], v[14:15], v[159:160]
	v_fma_f64 v[159:160], v[6:7], v[14:15], -v[16:17]
	ds_load_b128 v[6:9], v1 offset:912
	scratch_load_b128 v[14:17], off, off offset:272
	s_wait_loadcnt_dscnt 0x901
	v_mul_f64_e32 v[153:154], v[2:3], v[20:21]
	v_mul_f64_e32 v[20:21], v[4:5], v[20:21]
	v_add_f64_e32 v[149:150], v[149:150], v[161:162]
	v_add_f64_e32 v[151:152], v[151:152], v[155:156]
	s_wait_loadcnt_dscnt 0x800
	v_mul_f64_e32 v[155:156], v[6:7], v[24:25]
	v_mul_f64_e32 v[24:25], v[8:9], v[24:25]
	v_fma_f64 v[153:154], v[4:5], v[18:19], v[153:154]
	v_fma_f64 v[161:162], v[2:3], v[18:19], -v[20:21]
	ds_load_b128 v[2:5], v1 offset:928
	scratch_load_b128 v[18:21], off, off offset:288
	v_add_f64_e32 v[149:150], v[149:150], v[159:160]
	v_add_f64_e32 v[151:152], v[151:152], v[157:158]
	v_fma_f64 v[155:156], v[8:9], v[22:23], v[155:156]
	v_fma_f64 v[159:160], v[6:7], v[22:23], -v[24:25]
	ds_load_b128 v[6:9], v1 offset:944
	s_wait_loadcnt_dscnt 0x801
	v_mul_f64_e32 v[157:158], v[2:3], v[28:29]
	v_mul_f64_e32 v[28:29], v[4:5], v[28:29]
	scratch_load_b128 v[22:25], off, off offset:304
	v_add_f64_e32 v[149:150], v[149:150], v[161:162]
	v_add_f64_e32 v[151:152], v[151:152], v[153:154]
	s_wait_loadcnt_dscnt 0x800
	v_mul_f64_e32 v[153:154], v[6:7], v[32:33]
	v_mul_f64_e32 v[32:33], v[8:9], v[32:33]
	v_fma_f64 v[157:158], v[4:5], v[26:27], v[157:158]
	v_fma_f64 v[161:162], v[2:3], v[26:27], -v[28:29]
	ds_load_b128 v[2:5], v1 offset:960
	scratch_load_b128 v[26:29], off, off offset:320
	v_add_f64_e32 v[149:150], v[149:150], v[159:160]
	v_add_f64_e32 v[151:152], v[151:152], v[155:156]
	v_fma_f64 v[153:154], v[8:9], v[30:31], v[153:154]
	v_fma_f64 v[159:160], v[6:7], v[30:31], -v[32:33]
	ds_load_b128 v[6:9], v1 offset:976
	s_wait_loadcnt_dscnt 0x801
	v_mul_f64_e32 v[155:156], v[2:3], v[36:37]
	v_mul_f64_e32 v[36:37], v[4:5], v[36:37]
	scratch_load_b128 v[30:33], off, off offset:336
	v_add_f64_e32 v[149:150], v[149:150], v[161:162]
	v_add_f64_e32 v[151:152], v[151:152], v[157:158]
	s_wait_loadcnt_dscnt 0x800
	v_mul_f64_e32 v[157:158], v[6:7], v[147:148]
	v_mul_f64_e32 v[147:148], v[8:9], v[147:148]
	v_fma_f64 v[155:156], v[4:5], v[34:35], v[155:156]
	v_fma_f64 v[161:162], v[2:3], v[34:35], -v[36:37]
	ds_load_b128 v[2:5], v1 offset:992
	scratch_load_b128 v[34:37], off, off offset:352
	v_add_f64_e32 v[149:150], v[149:150], v[159:160]
	v_add_f64_e32 v[151:152], v[151:152], v[153:154]
	v_fma_f64 v[157:158], v[8:9], v[145:146], v[157:158]
	v_fma_f64 v[159:160], v[6:7], v[145:146], -v[147:148]
	ds_load_b128 v[6:9], v1 offset:1008
	scratch_load_b128 v[145:148], off, off offset:368
	s_wait_loadcnt_dscnt 0x901
	v_mul_f64_e32 v[153:154], v[2:3], v[40:41]
	v_mul_f64_e32 v[40:41], v[4:5], v[40:41]
	v_add_f64_e32 v[149:150], v[149:150], v[161:162]
	v_add_f64_e32 v[151:152], v[151:152], v[155:156]
	s_wait_loadcnt_dscnt 0x800
	v_mul_f64_e32 v[155:156], v[6:7], v[143:144]
	v_mul_f64_e32 v[143:144], v[8:9], v[143:144]
	v_fma_f64 v[153:154], v[4:5], v[38:39], v[153:154]
	v_fma_f64 v[161:162], v[2:3], v[38:39], -v[40:41]
	ds_load_b128 v[2:5], v1 offset:1024
	scratch_load_b128 v[38:41], off, off offset:384
	v_add_f64_e32 v[149:150], v[149:150], v[159:160]
	v_add_f64_e32 v[151:152], v[151:152], v[157:158]
	v_fma_f64 v[155:156], v[8:9], v[141:142], v[155:156]
	v_fma_f64 v[159:160], v[6:7], v[141:142], -v[143:144]
	ds_load_b128 v[6:9], v1 offset:1040
	s_wait_loadcnt_dscnt 0x801
	v_mul_f64_e32 v[157:158], v[2:3], v[12:13]
	v_mul_f64_e32 v[12:13], v[4:5], v[12:13]
	scratch_load_b128 v[141:144], off, off offset:400
	v_add_f64_e32 v[149:150], v[149:150], v[161:162]
	v_add_f64_e32 v[151:152], v[151:152], v[153:154]
	s_wait_loadcnt_dscnt 0x800
	v_mul_f64_e32 v[153:154], v[6:7], v[16:17]
	v_mul_f64_e32 v[16:17], v[8:9], v[16:17]
	v_fma_f64 v[157:158], v[4:5], v[10:11], v[157:158]
	v_fma_f64 v[161:162], v[2:3], v[10:11], -v[12:13]
	ds_load_b128 v[2:5], v1 offset:1056
	scratch_load_b128 v[10:13], off, off offset:416
	v_add_f64_e32 v[149:150], v[149:150], v[159:160]
	v_add_f64_e32 v[151:152], v[151:152], v[155:156]
	v_fma_f64 v[153:154], v[8:9], v[14:15], v[153:154]
	v_fma_f64 v[159:160], v[6:7], v[14:15], -v[16:17]
	ds_load_b128 v[6:9], v1 offset:1072
	s_wait_loadcnt_dscnt 0x801
	v_mul_f64_e32 v[155:156], v[2:3], v[20:21]
	v_mul_f64_e32 v[20:21], v[4:5], v[20:21]
	scratch_load_b128 v[14:17], off, off offset:432
	;; [unrolled: 18-line block ×13, first 2 shown]
	v_add_f64_e32 v[149:150], v[149:150], v[161:162]
	v_add_f64_e32 v[151:152], v[151:152], v[153:154]
	s_wait_loadcnt_dscnt 0x800
	v_mul_f64_e32 v[153:154], v[6:7], v[32:33]
	v_mul_f64_e32 v[32:33], v[8:9], v[32:33]
	v_fma_f64 v[157:158], v[4:5], v[26:27], v[157:158]
	v_fma_f64 v[26:27], v[2:3], v[26:27], -v[28:29]
	ds_load_b128 v[2:5], v1 offset:1440
	v_add_f64_e32 v[28:29], v[149:150], v[159:160]
	v_add_f64_e32 v[149:150], v[151:152], v[155:156]
	v_fma_f64 v[153:154], v[8:9], v[30:31], v[153:154]
	v_fma_f64 v[30:31], v[6:7], v[30:31], -v[32:33]
	ds_load_b128 v[6:9], v1 offset:1456
	s_wait_loadcnt_dscnt 0x701
	v_mul_f64_e32 v[151:152], v[2:3], v[36:37]
	v_mul_f64_e32 v[36:37], v[4:5], v[36:37]
	v_add_f64_e32 v[26:27], v[28:29], v[26:27]
	v_add_f64_e32 v[28:29], v[149:150], v[157:158]
	s_delay_alu instid0(VALU_DEP_4) | instskip(NEXT) | instid1(VALU_DEP_4)
	v_fma_f64 v[149:150], v[4:5], v[34:35], v[151:152]
	v_fma_f64 v[34:35], v[2:3], v[34:35], -v[36:37]
	ds_load_b128 v[2:5], v1 offset:1472
	v_add_f64_e32 v[30:31], v[26:27], v[30:31]
	v_add_f64_e32 v[36:37], v[28:29], v[153:154]
	scratch_load_b128 v[26:29], off, off offset:48
	s_wait_loadcnt_dscnt 0x701
	v_mul_f64_e32 v[32:33], v[6:7], v[147:148]
	v_mul_f64_e32 v[147:148], v[8:9], v[147:148]
	v_add_f64_e32 v[30:31], v[30:31], v[34:35]
	v_add_f64_e32 v[34:35], v[36:37], v[149:150]
	s_delay_alu instid0(VALU_DEP_4) | instskip(NEXT) | instid1(VALU_DEP_4)
	v_fma_f64 v[32:33], v[8:9], v[145:146], v[32:33]
	v_fma_f64 v[145:146], v[6:7], v[145:146], -v[147:148]
	ds_load_b128 v[6:9], v1 offset:1488
	s_wait_loadcnt_dscnt 0x601
	v_mul_f64_e32 v[151:152], v[2:3], v[40:41]
	v_mul_f64_e32 v[40:41], v[4:5], v[40:41]
	s_wait_loadcnt_dscnt 0x500
	v_mul_f64_e32 v[36:37], v[6:7], v[143:144]
	v_mul_f64_e32 v[143:144], v[8:9], v[143:144]
	v_add_f64_e32 v[32:33], v[34:35], v[32:33]
	v_add_f64_e32 v[30:31], v[30:31], v[145:146]
	v_fma_f64 v[147:148], v[4:5], v[38:39], v[151:152]
	v_fma_f64 v[38:39], v[2:3], v[38:39], -v[40:41]
	ds_load_b128 v[2:5], v1 offset:1504
	v_fma_f64 v[36:37], v[8:9], v[141:142], v[36:37]
	v_fma_f64 v[40:41], v[6:7], v[141:142], -v[143:144]
	ds_load_b128 v[6:9], v1 offset:1520
	s_wait_loadcnt_dscnt 0x401
	v_mul_f64_e32 v[34:35], v[2:3], v[12:13]
	v_mul_f64_e32 v[12:13], v[4:5], v[12:13]
	v_add_f64_e32 v[32:33], v[32:33], v[147:148]
	v_add_f64_e32 v[30:31], v[30:31], v[38:39]
	s_wait_loadcnt_dscnt 0x300
	v_mul_f64_e32 v[38:39], v[6:7], v[16:17]
	v_mul_f64_e32 v[16:17], v[8:9], v[16:17]
	v_fma_f64 v[34:35], v[4:5], v[10:11], v[34:35]
	v_fma_f64 v[10:11], v[2:3], v[10:11], -v[12:13]
	ds_load_b128 v[2:5], v1 offset:1536
	v_add_f64_e32 v[12:13], v[30:31], v[40:41]
	v_add_f64_e32 v[30:31], v[32:33], v[36:37]
	v_fma_f64 v[36:37], v[8:9], v[14:15], v[38:39]
	v_fma_f64 v[14:15], v[6:7], v[14:15], -v[16:17]
	ds_load_b128 v[6:9], v1 offset:1552
	s_wait_loadcnt_dscnt 0x201
	v_mul_f64_e32 v[32:33], v[2:3], v[20:21]
	v_mul_f64_e32 v[20:21], v[4:5], v[20:21]
	s_wait_loadcnt_dscnt 0x100
	v_mul_f64_e32 v[16:17], v[6:7], v[24:25]
	v_mul_f64_e32 v[24:25], v[8:9], v[24:25]
	v_add_f64_e32 v[10:11], v[12:13], v[10:11]
	v_add_f64_e32 v[12:13], v[30:31], v[34:35]
	v_fma_f64 v[4:5], v[4:5], v[18:19], v[32:33]
	v_fma_f64 v[1:2], v[2:3], v[18:19], -v[20:21]
	v_fma_f64 v[8:9], v[8:9], v[22:23], v[16:17]
	v_fma_f64 v[6:7], v[6:7], v[22:23], -v[24:25]
	v_add_f64_e32 v[10:11], v[10:11], v[14:15]
	v_add_f64_e32 v[12:13], v[12:13], v[36:37]
	s_delay_alu instid0(VALU_DEP_2) | instskip(NEXT) | instid1(VALU_DEP_2)
	v_add_f64_e32 v[1:2], v[10:11], v[1:2]
	v_add_f64_e32 v[3:4], v[12:13], v[4:5]
	s_delay_alu instid0(VALU_DEP_2) | instskip(NEXT) | instid1(VALU_DEP_2)
	v_add_f64_e32 v[1:2], v[1:2], v[6:7]
	v_add_f64_e32 v[3:4], v[3:4], v[8:9]
	s_wait_loadcnt 0x0
	s_delay_alu instid0(VALU_DEP_2) | instskip(NEXT) | instid1(VALU_DEP_2)
	v_add_f64_e64 v[1:2], v[26:27], -v[1:2]
	v_add_f64_e64 v[3:4], v[28:29], -v[3:4]
	scratch_store_b128 off, v[1:4], off offset:48
	v_cmpx_lt_u32_e32 1, v0
	s_cbranch_execz .LBB48_305
; %bb.304:
	scratch_load_b128 v[1:4], off, s43
	v_mov_b32_e32 v5, 0
	s_delay_alu instid0(VALU_DEP_1)
	v_dual_mov_b32 v6, v5 :: v_dual_mov_b32 v7, v5
	v_mov_b32_e32 v8, v5
	scratch_store_b128 off, v[5:8], off offset:32
	s_wait_loadcnt 0x0
	ds_store_b128 v140, v[1:4]
.LBB48_305:
	s_wait_alu 0xfffe
	s_or_b32 exec_lo, exec_lo, s0
	s_wait_storecnt_dscnt 0x0
	s_barrier_signal -1
	s_barrier_wait -1
	global_inv scope:SCOPE_SE
	s_clause 0x7
	scratch_load_b128 v[2:5], off, off offset:48
	scratch_load_b128 v[6:9], off, off offset:64
	;; [unrolled: 1-line block ×8, first 2 shown]
	v_mov_b32_e32 v1, 0
	s_clause 0x1
	scratch_load_b128 v[34:37], off, off offset:176
	scratch_load_b128 v[145:148], off, off offset:192
	s_mov_b32 s0, exec_lo
	ds_load_b128 v[38:41], v1 offset:816
	ds_load_b128 v[141:144], v1 offset:832
	s_wait_loadcnt_dscnt 0x901
	v_mul_f64_e32 v[149:150], v[40:41], v[4:5]
	v_mul_f64_e32 v[4:5], v[38:39], v[4:5]
	s_wait_loadcnt_dscnt 0x800
	v_mul_f64_e32 v[151:152], v[141:142], v[8:9]
	v_mul_f64_e32 v[8:9], v[143:144], v[8:9]
	s_delay_alu instid0(VALU_DEP_4) | instskip(NEXT) | instid1(VALU_DEP_4)
	v_fma_f64 v[149:150], v[38:39], v[2:3], -v[149:150]
	v_fma_f64 v[153:154], v[40:41], v[2:3], v[4:5]
	ds_load_b128 v[2:5], v1 offset:848
	scratch_load_b128 v[38:41], off, off offset:208
	v_fma_f64 v[151:152], v[143:144], v[6:7], v[151:152]
	v_fma_f64 v[157:158], v[141:142], v[6:7], -v[8:9]
	ds_load_b128 v[6:9], v1 offset:864
	scratch_load_b128 v[141:144], off, off offset:224
	s_wait_loadcnt_dscnt 0x901
	v_mul_f64_e32 v[155:156], v[2:3], v[12:13]
	v_mul_f64_e32 v[12:13], v[4:5], v[12:13]
	s_wait_loadcnt_dscnt 0x800
	v_mul_f64_e32 v[159:160], v[6:7], v[16:17]
	v_mul_f64_e32 v[16:17], v[8:9], v[16:17]
	v_add_f64_e32 v[149:150], 0, v[149:150]
	v_add_f64_e32 v[153:154], 0, v[153:154]
	v_fma_f64 v[155:156], v[4:5], v[10:11], v[155:156]
	v_fma_f64 v[161:162], v[2:3], v[10:11], -v[12:13]
	ds_load_b128 v[2:5], v1 offset:880
	scratch_load_b128 v[10:13], off, off offset:240
	v_add_f64_e32 v[149:150], v[149:150], v[157:158]
	v_add_f64_e32 v[151:152], v[153:154], v[151:152]
	v_fma_f64 v[157:158], v[8:9], v[14:15], v[159:160]
	v_fma_f64 v[159:160], v[6:7], v[14:15], -v[16:17]
	ds_load_b128 v[6:9], v1 offset:896
	scratch_load_b128 v[14:17], off, off offset:256
	s_wait_loadcnt_dscnt 0x901
	v_mul_f64_e32 v[153:154], v[2:3], v[20:21]
	v_mul_f64_e32 v[20:21], v[4:5], v[20:21]
	v_add_f64_e32 v[149:150], v[149:150], v[161:162]
	v_add_f64_e32 v[151:152], v[151:152], v[155:156]
	s_wait_loadcnt_dscnt 0x800
	v_mul_f64_e32 v[155:156], v[6:7], v[24:25]
	v_mul_f64_e32 v[24:25], v[8:9], v[24:25]
	v_fma_f64 v[153:154], v[4:5], v[18:19], v[153:154]
	v_fma_f64 v[161:162], v[2:3], v[18:19], -v[20:21]
	ds_load_b128 v[2:5], v1 offset:912
	scratch_load_b128 v[18:21], off, off offset:272
	v_add_f64_e32 v[149:150], v[149:150], v[159:160]
	v_add_f64_e32 v[151:152], v[151:152], v[157:158]
	v_fma_f64 v[155:156], v[8:9], v[22:23], v[155:156]
	v_fma_f64 v[159:160], v[6:7], v[22:23], -v[24:25]
	ds_load_b128 v[6:9], v1 offset:928
	s_wait_loadcnt_dscnt 0x801
	v_mul_f64_e32 v[157:158], v[2:3], v[28:29]
	v_mul_f64_e32 v[28:29], v[4:5], v[28:29]
	scratch_load_b128 v[22:25], off, off offset:288
	v_add_f64_e32 v[149:150], v[149:150], v[161:162]
	v_add_f64_e32 v[151:152], v[151:152], v[153:154]
	s_wait_loadcnt_dscnt 0x800
	v_mul_f64_e32 v[153:154], v[6:7], v[32:33]
	v_mul_f64_e32 v[32:33], v[8:9], v[32:33]
	v_fma_f64 v[157:158], v[4:5], v[26:27], v[157:158]
	v_fma_f64 v[161:162], v[2:3], v[26:27], -v[28:29]
	ds_load_b128 v[2:5], v1 offset:944
	scratch_load_b128 v[26:29], off, off offset:304
	v_add_f64_e32 v[149:150], v[149:150], v[159:160]
	v_add_f64_e32 v[151:152], v[151:152], v[155:156]
	v_fma_f64 v[153:154], v[8:9], v[30:31], v[153:154]
	v_fma_f64 v[159:160], v[6:7], v[30:31], -v[32:33]
	ds_load_b128 v[6:9], v1 offset:960
	s_wait_loadcnt_dscnt 0x801
	v_mul_f64_e32 v[155:156], v[2:3], v[36:37]
	v_mul_f64_e32 v[36:37], v[4:5], v[36:37]
	scratch_load_b128 v[30:33], off, off offset:320
	v_add_f64_e32 v[149:150], v[149:150], v[161:162]
	v_add_f64_e32 v[151:152], v[151:152], v[157:158]
	s_wait_loadcnt_dscnt 0x800
	v_mul_f64_e32 v[157:158], v[6:7], v[147:148]
	v_mul_f64_e32 v[147:148], v[8:9], v[147:148]
	v_fma_f64 v[155:156], v[4:5], v[34:35], v[155:156]
	v_fma_f64 v[161:162], v[2:3], v[34:35], -v[36:37]
	ds_load_b128 v[2:5], v1 offset:976
	scratch_load_b128 v[34:37], off, off offset:336
	v_add_f64_e32 v[149:150], v[149:150], v[159:160]
	v_add_f64_e32 v[151:152], v[151:152], v[153:154]
	v_fma_f64 v[157:158], v[8:9], v[145:146], v[157:158]
	v_fma_f64 v[159:160], v[6:7], v[145:146], -v[147:148]
	ds_load_b128 v[6:9], v1 offset:992
	scratch_load_b128 v[145:148], off, off offset:352
	s_wait_loadcnt_dscnt 0x901
	v_mul_f64_e32 v[153:154], v[2:3], v[40:41]
	v_mul_f64_e32 v[40:41], v[4:5], v[40:41]
	v_add_f64_e32 v[149:150], v[149:150], v[161:162]
	v_add_f64_e32 v[151:152], v[151:152], v[155:156]
	s_wait_loadcnt_dscnt 0x800
	v_mul_f64_e32 v[155:156], v[6:7], v[143:144]
	v_mul_f64_e32 v[143:144], v[8:9], v[143:144]
	v_fma_f64 v[153:154], v[4:5], v[38:39], v[153:154]
	v_fma_f64 v[161:162], v[2:3], v[38:39], -v[40:41]
	ds_load_b128 v[2:5], v1 offset:1008
	scratch_load_b128 v[38:41], off, off offset:368
	v_add_f64_e32 v[149:150], v[149:150], v[159:160]
	v_add_f64_e32 v[151:152], v[151:152], v[157:158]
	v_fma_f64 v[155:156], v[8:9], v[141:142], v[155:156]
	v_fma_f64 v[159:160], v[6:7], v[141:142], -v[143:144]
	ds_load_b128 v[6:9], v1 offset:1024
	s_wait_loadcnt_dscnt 0x801
	v_mul_f64_e32 v[157:158], v[2:3], v[12:13]
	v_mul_f64_e32 v[12:13], v[4:5], v[12:13]
	scratch_load_b128 v[141:144], off, off offset:384
	v_add_f64_e32 v[149:150], v[149:150], v[161:162]
	v_add_f64_e32 v[151:152], v[151:152], v[153:154]
	s_wait_loadcnt_dscnt 0x800
	v_mul_f64_e32 v[153:154], v[6:7], v[16:17]
	v_mul_f64_e32 v[16:17], v[8:9], v[16:17]
	v_fma_f64 v[157:158], v[4:5], v[10:11], v[157:158]
	v_fma_f64 v[161:162], v[2:3], v[10:11], -v[12:13]
	ds_load_b128 v[2:5], v1 offset:1040
	scratch_load_b128 v[10:13], off, off offset:400
	v_add_f64_e32 v[149:150], v[149:150], v[159:160]
	v_add_f64_e32 v[151:152], v[151:152], v[155:156]
	v_fma_f64 v[153:154], v[8:9], v[14:15], v[153:154]
	v_fma_f64 v[159:160], v[6:7], v[14:15], -v[16:17]
	ds_load_b128 v[6:9], v1 offset:1056
	s_wait_loadcnt_dscnt 0x801
	v_mul_f64_e32 v[155:156], v[2:3], v[20:21]
	v_mul_f64_e32 v[20:21], v[4:5], v[20:21]
	scratch_load_b128 v[14:17], off, off offset:416
	;; [unrolled: 18-line block ×13, first 2 shown]
	v_add_f64_e32 v[149:150], v[149:150], v[161:162]
	v_add_f64_e32 v[151:152], v[151:152], v[153:154]
	s_wait_loadcnt_dscnt 0x800
	v_mul_f64_e32 v[153:154], v[6:7], v[32:33]
	v_mul_f64_e32 v[32:33], v[8:9], v[32:33]
	v_fma_f64 v[157:158], v[4:5], v[26:27], v[157:158]
	v_fma_f64 v[161:162], v[2:3], v[26:27], -v[28:29]
	ds_load_b128 v[2:5], v1 offset:1424
	scratch_load_b128 v[26:29], off, off offset:784
	v_add_f64_e32 v[149:150], v[149:150], v[159:160]
	v_add_f64_e32 v[151:152], v[151:152], v[155:156]
	v_fma_f64 v[153:154], v[8:9], v[30:31], v[153:154]
	v_fma_f64 v[30:31], v[6:7], v[30:31], -v[32:33]
	ds_load_b128 v[6:9], v1 offset:1440
	s_wait_loadcnt_dscnt 0x801
	v_mul_f64_e32 v[155:156], v[2:3], v[36:37]
	v_mul_f64_e32 v[36:37], v[4:5], v[36:37]
	v_add_f64_e32 v[32:33], v[149:150], v[161:162]
	v_add_f64_e32 v[149:150], v[151:152], v[157:158]
	s_wait_loadcnt_dscnt 0x700
	v_mul_f64_e32 v[151:152], v[6:7], v[147:148]
	v_mul_f64_e32 v[147:148], v[8:9], v[147:148]
	v_fma_f64 v[155:156], v[4:5], v[34:35], v[155:156]
	v_fma_f64 v[34:35], v[2:3], v[34:35], -v[36:37]
	ds_load_b128 v[2:5], v1 offset:1456
	v_add_f64_e32 v[30:31], v[32:33], v[30:31]
	v_add_f64_e32 v[32:33], v[149:150], v[153:154]
	v_fma_f64 v[149:150], v[8:9], v[145:146], v[151:152]
	v_fma_f64 v[145:146], v[6:7], v[145:146], -v[147:148]
	ds_load_b128 v[6:9], v1 offset:1472
	s_wait_loadcnt_dscnt 0x500
	v_mul_f64_e32 v[151:152], v[6:7], v[143:144]
	v_mul_f64_e32 v[143:144], v[8:9], v[143:144]
	v_add_f64_e32 v[34:35], v[30:31], v[34:35]
	v_add_f64_e32 v[147:148], v[32:33], v[155:156]
	scratch_load_b128 v[30:33], off, off offset:32
	v_mul_f64_e32 v[36:37], v[2:3], v[40:41]
	v_mul_f64_e32 v[40:41], v[4:5], v[40:41]
	v_add_f64_e32 v[34:35], v[34:35], v[145:146]
	s_delay_alu instid0(VALU_DEP_3) | instskip(NEXT) | instid1(VALU_DEP_3)
	v_fma_f64 v[36:37], v[4:5], v[38:39], v[36:37]
	v_fma_f64 v[38:39], v[2:3], v[38:39], -v[40:41]
	v_add_f64_e32 v[40:41], v[147:148], v[149:150]
	ds_load_b128 v[2:5], v1 offset:1488
	v_fma_f64 v[147:148], v[8:9], v[141:142], v[151:152]
	v_fma_f64 v[141:142], v[6:7], v[141:142], -v[143:144]
	ds_load_b128 v[6:9], v1 offset:1504
	s_wait_loadcnt_dscnt 0x501
	v_mul_f64_e32 v[145:146], v[2:3], v[12:13]
	v_mul_f64_e32 v[12:13], v[4:5], v[12:13]
	v_add_f64_e32 v[34:35], v[34:35], v[38:39]
	v_add_f64_e32 v[36:37], v[40:41], v[36:37]
	s_wait_loadcnt_dscnt 0x400
	v_mul_f64_e32 v[38:39], v[6:7], v[16:17]
	v_mul_f64_e32 v[16:17], v[8:9], v[16:17]
	v_fma_f64 v[40:41], v[4:5], v[10:11], v[145:146]
	v_fma_f64 v[10:11], v[2:3], v[10:11], -v[12:13]
	ds_load_b128 v[2:5], v1 offset:1520
	v_add_f64_e32 v[12:13], v[34:35], v[141:142]
	v_add_f64_e32 v[34:35], v[36:37], v[147:148]
	v_fma_f64 v[38:39], v[8:9], v[14:15], v[38:39]
	v_fma_f64 v[14:15], v[6:7], v[14:15], -v[16:17]
	ds_load_b128 v[6:9], v1 offset:1536
	s_wait_loadcnt_dscnt 0x301
	v_mul_f64_e32 v[36:37], v[2:3], v[20:21]
	v_mul_f64_e32 v[20:21], v[4:5], v[20:21]
	s_wait_loadcnt_dscnt 0x200
	v_mul_f64_e32 v[16:17], v[6:7], v[24:25]
	v_mul_f64_e32 v[24:25], v[8:9], v[24:25]
	v_add_f64_e32 v[10:11], v[12:13], v[10:11]
	v_add_f64_e32 v[12:13], v[34:35], v[40:41]
	v_fma_f64 v[34:35], v[4:5], v[18:19], v[36:37]
	v_fma_f64 v[18:19], v[2:3], v[18:19], -v[20:21]
	ds_load_b128 v[2:5], v1 offset:1552
	v_fma_f64 v[8:9], v[8:9], v[22:23], v[16:17]
	v_fma_f64 v[6:7], v[6:7], v[22:23], -v[24:25]
	s_wait_loadcnt_dscnt 0x100
	v_mul_f64_e32 v[20:21], v[4:5], v[28:29]
	v_add_f64_e32 v[10:11], v[10:11], v[14:15]
	v_add_f64_e32 v[12:13], v[12:13], v[38:39]
	v_mul_f64_e32 v[14:15], v[2:3], v[28:29]
	s_delay_alu instid0(VALU_DEP_4) | instskip(NEXT) | instid1(VALU_DEP_4)
	v_fma_f64 v[2:3], v[2:3], v[26:27], -v[20:21]
	v_add_f64_e32 v[10:11], v[10:11], v[18:19]
	s_delay_alu instid0(VALU_DEP_4) | instskip(NEXT) | instid1(VALU_DEP_4)
	v_add_f64_e32 v[12:13], v[12:13], v[34:35]
	v_fma_f64 v[4:5], v[4:5], v[26:27], v[14:15]
	s_delay_alu instid0(VALU_DEP_3) | instskip(NEXT) | instid1(VALU_DEP_3)
	v_add_f64_e32 v[6:7], v[10:11], v[6:7]
	v_add_f64_e32 v[8:9], v[12:13], v[8:9]
	s_delay_alu instid0(VALU_DEP_2) | instskip(NEXT) | instid1(VALU_DEP_2)
	v_add_f64_e32 v[2:3], v[6:7], v[2:3]
	v_add_f64_e32 v[4:5], v[8:9], v[4:5]
	s_wait_loadcnt 0x0
	s_delay_alu instid0(VALU_DEP_2) | instskip(NEXT) | instid1(VALU_DEP_2)
	v_add_f64_e64 v[2:3], v[30:31], -v[2:3]
	v_add_f64_e64 v[4:5], v[32:33], -v[4:5]
	scratch_store_b128 off, v[2:5], off offset:32
	v_cmpx_ne_u32_e32 0, v0
	s_cbranch_execz .LBB48_307
; %bb.306:
	scratch_load_b128 v[5:8], off, off offset:16
	v_dual_mov_b32 v2, v1 :: v_dual_mov_b32 v3, v1
	v_mov_b32_e32 v4, v1
	scratch_store_b128 off, v[1:4], off offset:16
	s_wait_loadcnt 0x0
	ds_store_b128 v140, v[5:8]
.LBB48_307:
	s_wait_alu 0xfffe
	s_or_b32 exec_lo, exec_lo, s0
	s_wait_storecnt_dscnt 0x0
	s_barrier_signal -1
	s_barrier_wait -1
	global_inv scope:SCOPE_SE
	s_clause 0x7
	scratch_load_b128 v[2:5], off, off offset:32
	scratch_load_b128 v[6:9], off, off offset:48
	;; [unrolled: 1-line block ×8, first 2 shown]
	ds_load_b128 v[38:41], v1 offset:800
	ds_load_b128 v[140:143], v1 offset:816
	s_clause 0x1
	scratch_load_b128 v[34:37], off, off offset:160
	scratch_load_b128 v[144:147], off, off offset:176
	s_and_b32 vcc_lo, exec_lo, s18
	s_wait_loadcnt_dscnt 0x901
	v_mul_f64_e32 v[148:149], v[40:41], v[4:5]
	v_mul_f64_e32 v[4:5], v[38:39], v[4:5]
	s_wait_loadcnt_dscnt 0x800
	v_mul_f64_e32 v[150:151], v[140:141], v[8:9]
	v_mul_f64_e32 v[8:9], v[142:143], v[8:9]
	s_delay_alu instid0(VALU_DEP_4) | instskip(NEXT) | instid1(VALU_DEP_4)
	v_fma_f64 v[148:149], v[38:39], v[2:3], -v[148:149]
	v_fma_f64 v[152:153], v[40:41], v[2:3], v[4:5]
	ds_load_b128 v[2:5], v1 offset:832
	scratch_load_b128 v[38:41], off, off offset:192
	v_fma_f64 v[150:151], v[142:143], v[6:7], v[150:151]
	v_fma_f64 v[156:157], v[140:141], v[6:7], -v[8:9]
	ds_load_b128 v[6:9], v1 offset:848
	scratch_load_b128 v[140:143], off, off offset:208
	s_wait_loadcnt_dscnt 0x901
	v_mul_f64_e32 v[154:155], v[2:3], v[12:13]
	v_mul_f64_e32 v[12:13], v[4:5], v[12:13]
	s_wait_loadcnt_dscnt 0x800
	v_mul_f64_e32 v[158:159], v[6:7], v[16:17]
	v_mul_f64_e32 v[16:17], v[8:9], v[16:17]
	v_add_f64_e32 v[148:149], 0, v[148:149]
	v_add_f64_e32 v[152:153], 0, v[152:153]
	v_fma_f64 v[154:155], v[4:5], v[10:11], v[154:155]
	v_fma_f64 v[160:161], v[2:3], v[10:11], -v[12:13]
	ds_load_b128 v[2:5], v1 offset:864
	scratch_load_b128 v[10:13], off, off offset:224
	v_add_f64_e32 v[148:149], v[148:149], v[156:157]
	v_add_f64_e32 v[150:151], v[152:153], v[150:151]
	v_fma_f64 v[156:157], v[8:9], v[14:15], v[158:159]
	v_fma_f64 v[158:159], v[6:7], v[14:15], -v[16:17]
	ds_load_b128 v[6:9], v1 offset:880
	scratch_load_b128 v[14:17], off, off offset:240
	s_wait_loadcnt_dscnt 0x901
	v_mul_f64_e32 v[152:153], v[2:3], v[20:21]
	v_mul_f64_e32 v[20:21], v[4:5], v[20:21]
	v_add_f64_e32 v[148:149], v[148:149], v[160:161]
	v_add_f64_e32 v[150:151], v[150:151], v[154:155]
	s_wait_loadcnt_dscnt 0x800
	v_mul_f64_e32 v[154:155], v[6:7], v[24:25]
	v_mul_f64_e32 v[24:25], v[8:9], v[24:25]
	v_fma_f64 v[152:153], v[4:5], v[18:19], v[152:153]
	v_fma_f64 v[160:161], v[2:3], v[18:19], -v[20:21]
	ds_load_b128 v[2:5], v1 offset:896
	scratch_load_b128 v[18:21], off, off offset:256
	v_add_f64_e32 v[148:149], v[148:149], v[158:159]
	v_add_f64_e32 v[150:151], v[150:151], v[156:157]
	v_fma_f64 v[154:155], v[8:9], v[22:23], v[154:155]
	v_fma_f64 v[158:159], v[6:7], v[22:23], -v[24:25]
	ds_load_b128 v[6:9], v1 offset:912
	s_wait_loadcnt_dscnt 0x801
	v_mul_f64_e32 v[156:157], v[2:3], v[28:29]
	v_mul_f64_e32 v[28:29], v[4:5], v[28:29]
	scratch_load_b128 v[22:25], off, off offset:272
	v_add_f64_e32 v[148:149], v[148:149], v[160:161]
	v_add_f64_e32 v[150:151], v[150:151], v[152:153]
	s_wait_loadcnt_dscnt 0x800
	v_mul_f64_e32 v[152:153], v[6:7], v[32:33]
	v_mul_f64_e32 v[32:33], v[8:9], v[32:33]
	v_fma_f64 v[156:157], v[4:5], v[26:27], v[156:157]
	v_fma_f64 v[160:161], v[2:3], v[26:27], -v[28:29]
	ds_load_b128 v[2:5], v1 offset:928
	scratch_load_b128 v[26:29], off, off offset:288
	v_add_f64_e32 v[148:149], v[148:149], v[158:159]
	v_add_f64_e32 v[150:151], v[150:151], v[154:155]
	v_fma_f64 v[152:153], v[8:9], v[30:31], v[152:153]
	v_fma_f64 v[158:159], v[6:7], v[30:31], -v[32:33]
	ds_load_b128 v[6:9], v1 offset:944
	s_wait_loadcnt_dscnt 0x801
	v_mul_f64_e32 v[154:155], v[2:3], v[36:37]
	v_mul_f64_e32 v[36:37], v[4:5], v[36:37]
	scratch_load_b128 v[30:33], off, off offset:304
	v_add_f64_e32 v[148:149], v[148:149], v[160:161]
	v_add_f64_e32 v[150:151], v[150:151], v[156:157]
	s_wait_loadcnt_dscnt 0x800
	v_mul_f64_e32 v[156:157], v[6:7], v[146:147]
	v_mul_f64_e32 v[146:147], v[8:9], v[146:147]
	v_fma_f64 v[154:155], v[4:5], v[34:35], v[154:155]
	v_fma_f64 v[160:161], v[2:3], v[34:35], -v[36:37]
	ds_load_b128 v[2:5], v1 offset:960
	scratch_load_b128 v[34:37], off, off offset:320
	v_add_f64_e32 v[148:149], v[148:149], v[158:159]
	v_add_f64_e32 v[150:151], v[150:151], v[152:153]
	v_fma_f64 v[156:157], v[8:9], v[144:145], v[156:157]
	v_fma_f64 v[158:159], v[6:7], v[144:145], -v[146:147]
	ds_load_b128 v[6:9], v1 offset:976
	scratch_load_b128 v[144:147], off, off offset:336
	s_wait_loadcnt_dscnt 0x901
	v_mul_f64_e32 v[152:153], v[2:3], v[40:41]
	v_mul_f64_e32 v[40:41], v[4:5], v[40:41]
	v_add_f64_e32 v[148:149], v[148:149], v[160:161]
	v_add_f64_e32 v[150:151], v[150:151], v[154:155]
	s_wait_loadcnt_dscnt 0x800
	v_mul_f64_e32 v[154:155], v[6:7], v[142:143]
	v_mul_f64_e32 v[142:143], v[8:9], v[142:143]
	v_fma_f64 v[152:153], v[4:5], v[38:39], v[152:153]
	v_fma_f64 v[160:161], v[2:3], v[38:39], -v[40:41]
	ds_load_b128 v[2:5], v1 offset:992
	scratch_load_b128 v[38:41], off, off offset:352
	v_add_f64_e32 v[148:149], v[148:149], v[158:159]
	v_add_f64_e32 v[150:151], v[150:151], v[156:157]
	v_fma_f64 v[154:155], v[8:9], v[140:141], v[154:155]
	v_fma_f64 v[158:159], v[6:7], v[140:141], -v[142:143]
	ds_load_b128 v[6:9], v1 offset:1008
	s_wait_loadcnt_dscnt 0x801
	v_mul_f64_e32 v[156:157], v[2:3], v[12:13]
	v_mul_f64_e32 v[12:13], v[4:5], v[12:13]
	scratch_load_b128 v[140:143], off, off offset:368
	v_add_f64_e32 v[148:149], v[148:149], v[160:161]
	v_add_f64_e32 v[150:151], v[150:151], v[152:153]
	s_wait_loadcnt_dscnt 0x800
	v_mul_f64_e32 v[152:153], v[6:7], v[16:17]
	v_mul_f64_e32 v[16:17], v[8:9], v[16:17]
	v_fma_f64 v[156:157], v[4:5], v[10:11], v[156:157]
	v_fma_f64 v[160:161], v[2:3], v[10:11], -v[12:13]
	ds_load_b128 v[2:5], v1 offset:1024
	scratch_load_b128 v[10:13], off, off offset:384
	v_add_f64_e32 v[148:149], v[148:149], v[158:159]
	v_add_f64_e32 v[150:151], v[150:151], v[154:155]
	v_fma_f64 v[152:153], v[8:9], v[14:15], v[152:153]
	v_fma_f64 v[158:159], v[6:7], v[14:15], -v[16:17]
	ds_load_b128 v[6:9], v1 offset:1040
	s_wait_loadcnt_dscnt 0x801
	v_mul_f64_e32 v[154:155], v[2:3], v[20:21]
	v_mul_f64_e32 v[20:21], v[4:5], v[20:21]
	scratch_load_b128 v[14:17], off, off offset:400
	;; [unrolled: 18-line block ×14, first 2 shown]
	v_add_f64_e32 v[148:149], v[148:149], v[160:161]
	v_add_f64_e32 v[150:151], v[150:151], v[156:157]
	s_wait_loadcnt_dscnt 0x800
	v_mul_f64_e32 v[156:157], v[6:7], v[146:147]
	v_mul_f64_e32 v[146:147], v[8:9], v[146:147]
	v_fma_f64 v[154:155], v[4:5], v[34:35], v[154:155]
	v_fma_f64 v[34:35], v[2:3], v[34:35], -v[36:37]
	ds_load_b128 v[2:5], v1 offset:1440
	v_add_f64_e32 v[36:37], v[148:149], v[158:159]
	v_add_f64_e32 v[148:149], v[150:151], v[152:153]
	v_fma_f64 v[152:153], v[8:9], v[144:145], v[156:157]
	v_fma_f64 v[144:145], v[6:7], v[144:145], -v[146:147]
	ds_load_b128 v[6:9], v1 offset:1456
	s_wait_loadcnt_dscnt 0x701
	v_mul_f64_e32 v[150:151], v[2:3], v[40:41]
	v_mul_f64_e32 v[40:41], v[4:5], v[40:41]
	v_add_f64_e32 v[34:35], v[36:37], v[34:35]
	v_add_f64_e32 v[36:37], v[148:149], v[154:155]
	s_delay_alu instid0(VALU_DEP_4) | instskip(NEXT) | instid1(VALU_DEP_4)
	v_fma_f64 v[148:149], v[4:5], v[38:39], v[150:151]
	v_fma_f64 v[38:39], v[2:3], v[38:39], -v[40:41]
	ds_load_b128 v[2:5], v1 offset:1472
	v_add_f64_e32 v[40:41], v[34:35], v[144:145]
	v_add_f64_e32 v[144:145], v[36:37], v[152:153]
	scratch_load_b128 v[34:37], off, off offset:16
	s_wait_loadcnt_dscnt 0x701
	v_mul_f64_e32 v[146:147], v[6:7], v[142:143]
	v_mul_f64_e32 v[142:143], v[8:9], v[142:143]
	v_add_f64_e32 v[38:39], v[40:41], v[38:39]
	v_add_f64_e32 v[40:41], v[144:145], v[148:149]
	s_delay_alu instid0(VALU_DEP_4) | instskip(NEXT) | instid1(VALU_DEP_4)
	v_fma_f64 v[146:147], v[8:9], v[140:141], v[146:147]
	v_fma_f64 v[140:141], v[6:7], v[140:141], -v[142:143]
	ds_load_b128 v[6:9], v1 offset:1488
	s_wait_loadcnt_dscnt 0x601
	v_mul_f64_e32 v[150:151], v[2:3], v[12:13]
	v_mul_f64_e32 v[12:13], v[4:5], v[12:13]
	s_wait_loadcnt_dscnt 0x500
	v_mul_f64_e32 v[142:143], v[6:7], v[16:17]
	v_mul_f64_e32 v[16:17], v[8:9], v[16:17]
	s_delay_alu instid0(VALU_DEP_4) | instskip(NEXT) | instid1(VALU_DEP_4)
	v_fma_f64 v[144:145], v[4:5], v[10:11], v[150:151]
	v_fma_f64 v[10:11], v[2:3], v[10:11], -v[12:13]
	v_add_f64_e32 v[12:13], v[38:39], v[140:141]
	v_add_f64_e32 v[38:39], v[40:41], v[146:147]
	ds_load_b128 v[2:5], v1 offset:1504
	v_fma_f64 v[140:141], v[8:9], v[14:15], v[142:143]
	v_fma_f64 v[14:15], v[6:7], v[14:15], -v[16:17]
	ds_load_b128 v[6:9], v1 offset:1520
	s_wait_loadcnt_dscnt 0x401
	v_mul_f64_e32 v[40:41], v[2:3], v[20:21]
	v_mul_f64_e32 v[20:21], v[4:5], v[20:21]
	v_add_f64_e32 v[10:11], v[12:13], v[10:11]
	v_add_f64_e32 v[12:13], v[38:39], v[144:145]
	s_wait_loadcnt_dscnt 0x300
	v_mul_f64_e32 v[16:17], v[6:7], v[24:25]
	v_mul_f64_e32 v[24:25], v[8:9], v[24:25]
	v_fma_f64 v[38:39], v[4:5], v[18:19], v[40:41]
	v_fma_f64 v[18:19], v[2:3], v[18:19], -v[20:21]
	ds_load_b128 v[2:5], v1 offset:1536
	v_add_f64_e32 v[10:11], v[10:11], v[14:15]
	v_add_f64_e32 v[12:13], v[12:13], v[140:141]
	v_fma_f64 v[16:17], v[8:9], v[22:23], v[16:17]
	v_fma_f64 v[22:23], v[6:7], v[22:23], -v[24:25]
	ds_load_b128 v[6:9], v1 offset:1552
	s_wait_loadcnt_dscnt 0x201
	v_mul_f64_e32 v[14:15], v[2:3], v[28:29]
	v_mul_f64_e32 v[20:21], v[4:5], v[28:29]
	s_wait_loadcnt_dscnt 0x100
	v_mul_f64_e32 v[0:1], v[6:7], v[32:33]
	v_add_f64_e32 v[10:11], v[10:11], v[18:19]
	v_add_f64_e32 v[12:13], v[12:13], v[38:39]
	v_mul_f64_e32 v[18:19], v[8:9], v[32:33]
	v_fma_f64 v[4:5], v[4:5], v[26:27], v[14:15]
	v_fma_f64 v[2:3], v[2:3], v[26:27], -v[20:21]
	v_fma_f64 v[0:1], v[8:9], v[30:31], v[0:1]
	v_add_f64_e32 v[10:11], v[10:11], v[22:23]
	v_add_f64_e32 v[12:13], v[12:13], v[16:17]
	v_fma_f64 v[6:7], v[6:7], v[30:31], -v[18:19]
	s_delay_alu instid0(VALU_DEP_3) | instskip(NEXT) | instid1(VALU_DEP_3)
	v_add_f64_e32 v[2:3], v[10:11], v[2:3]
	v_add_f64_e32 v[4:5], v[12:13], v[4:5]
	s_delay_alu instid0(VALU_DEP_2) | instskip(NEXT) | instid1(VALU_DEP_2)
	v_add_f64_e32 v[2:3], v[2:3], v[6:7]
	v_add_f64_e32 v[4:5], v[4:5], v[0:1]
	s_wait_loadcnt 0x0
	s_delay_alu instid0(VALU_DEP_2) | instskip(NEXT) | instid1(VALU_DEP_2)
	v_add_f64_e64 v[0:1], v[34:35], -v[2:3]
	v_add_f64_e64 v[2:3], v[36:37], -v[4:5]
	scratch_store_b128 off, v[0:3], off offset:16
	s_wait_alu 0xfffe
	s_cbranch_vccz .LBB48_404
; %bb.308:
	v_mov_b32_e32 v0, 0
	global_load_b32 v1, v0, s[2:3] offset:188
	s_wait_loadcnt 0x0
	v_cmp_ne_u32_e32 vcc_lo, 48, v1
	s_cbranch_vccz .LBB48_310
; %bb.309:
	v_lshlrev_b32_e32 v1, 4, v1
	s_delay_alu instid0(VALU_DEP_1)
	v_add_nc_u32_e32 v9, 16, v1
	s_clause 0x1
	scratch_load_b128 v[1:4], v9, off offset:-16
	scratch_load_b128 v[5:8], off, s12
	s_wait_loadcnt 0x1
	scratch_store_b128 off, v[1:4], s12
	s_wait_loadcnt 0x0
	scratch_store_b128 v9, v[5:8], off offset:-16
.LBB48_310:
	global_load_b32 v0, v0, s[2:3] offset:184
	s_wait_loadcnt 0x0
	v_cmp_eq_u32_e32 vcc_lo, 47, v0
	s_cbranch_vccnz .LBB48_312
; %bb.311:
	v_lshlrev_b32_e32 v0, 4, v0
	s_delay_alu instid0(VALU_DEP_1)
	v_add_nc_u32_e32 v8, 16, v0
	s_clause 0x1
	scratch_load_b128 v[0:3], v8, off offset:-16
	scratch_load_b128 v[4:7], off, s14
	s_wait_loadcnt 0x1
	scratch_store_b128 off, v[0:3], s14
	s_wait_loadcnt 0x0
	scratch_store_b128 v8, v[4:7], off offset:-16
.LBB48_312:
	v_mov_b32_e32 v0, 0
	global_load_b32 v1, v0, s[2:3] offset:180
	s_wait_loadcnt 0x0
	v_cmp_eq_u32_e32 vcc_lo, 46, v1
	s_cbranch_vccnz .LBB48_314
; %bb.313:
	v_lshlrev_b32_e32 v1, 4, v1
	s_delay_alu instid0(VALU_DEP_1)
	v_add_nc_u32_e32 v9, 16, v1
	s_clause 0x1
	scratch_load_b128 v[1:4], v9, off offset:-16
	scratch_load_b128 v[5:8], off, s4
	s_wait_loadcnt 0x1
	scratch_store_b128 off, v[1:4], s4
	s_wait_loadcnt 0x0
	scratch_store_b128 v9, v[5:8], off offset:-16
.LBB48_314:
	global_load_b32 v0, v0, s[2:3] offset:176
	s_wait_loadcnt 0x0
	v_cmp_eq_u32_e32 vcc_lo, 45, v0
	s_cbranch_vccnz .LBB48_316
; %bb.315:
	v_lshlrev_b32_e32 v0, 4, v0
	s_delay_alu instid0(VALU_DEP_1)
	v_add_nc_u32_e32 v8, 16, v0
	s_clause 0x1
	scratch_load_b128 v[0:3], v8, off offset:-16
	scratch_load_b128 v[4:7], off, s5
	s_wait_loadcnt 0x1
	scratch_store_b128 off, v[0:3], s5
	s_wait_loadcnt 0x0
	scratch_store_b128 v8, v[4:7], off offset:-16
.LBB48_316:
	v_mov_b32_e32 v0, 0
	global_load_b32 v1, v0, s[2:3] offset:172
	s_wait_loadcnt 0x0
	v_cmp_eq_u32_e32 vcc_lo, 44, v1
	s_cbranch_vccnz .LBB48_318
; %bb.317:
	v_lshlrev_b32_e32 v1, 4, v1
	s_delay_alu instid0(VALU_DEP_1)
	v_add_nc_u32_e32 v9, 16, v1
	s_clause 0x1
	scratch_load_b128 v[1:4], v9, off offset:-16
	scratch_load_b128 v[5:8], off, s8
	s_wait_loadcnt 0x1
	scratch_store_b128 off, v[1:4], s8
	s_wait_loadcnt 0x0
	scratch_store_b128 v9, v[5:8], off offset:-16
.LBB48_318:
	;; [unrolled: 33-line block ×23, first 2 shown]
	global_load_b32 v0, v0, s[2:3]
	s_wait_loadcnt 0x0
	v_cmp_eq_u32_e32 vcc_lo, 1, v0
	s_cbranch_vccnz .LBB48_404
; %bb.403:
	v_lshlrev_b32_e32 v0, 4, v0
	s_delay_alu instid0(VALU_DEP_1)
	v_add_nc_u32_e32 v8, 16, v0
	scratch_load_b128 v[0:3], v8, off offset:-16
	scratch_load_b128 v[4:7], off, off offset:16
	s_wait_loadcnt 0x1
	scratch_store_b128 off, v[0:3], off offset:16
	s_wait_loadcnt 0x0
	scratch_store_b128 v8, v[4:7], off offset:-16
.LBB48_404:
	scratch_load_b128 v[0:3], off, off offset:16
	s_clause 0xd
	scratch_load_b128 v[4:7], off, s43
	scratch_load_b128 v[8:11], off, s41
	;; [unrolled: 1-line block ×14, first 2 shown]
	s_wait_loadcnt 0xe
	global_store_b128 v[42:43], v[0:3], off
	s_clause 0x2
	scratch_load_b128 v[0:3], off, s47
	scratch_load_b128 v[40:43], off, s46
	;; [unrolled: 1-line block ×3, first 2 shown]
	s_wait_loadcnt 0x10
	global_store_b128 v[44:45], v[4:7], off
	scratch_load_b128 v[4:7], off, s44
	s_wait_loadcnt 0x10
	global_store_b128 v[46:47], v[8:11], off
	s_clause 0x1
	scratch_load_b128 v[8:11], off, s42
	scratch_load_b128 v[44:47], off, s40
	s_wait_loadcnt 0x11
	global_store_b128 v[48:49], v[12:15], off
	scratch_load_b128 v[12:15], off, s38
	s_wait_loadcnt 0x11
	global_store_b128 v[60:61], v[16:19], off
	s_wait_loadcnt 0x10
	global_store_b128 v[54:55], v[20:23], off
	s_clause 0x2
	scratch_load_b128 v[16:19], off, s36
	scratch_load_b128 v[20:23], off, s34
	;; [unrolled: 1-line block ×3, first 2 shown]
	s_wait_loadcnt 0x12
	global_store_b128 v[56:57], v[24:27], off
	s_clause 0x1
	scratch_load_b128 v[24:27], off, s33
	scratch_load_b128 v[54:57], off, s31
	s_wait_loadcnt 0x13
	global_store_b128 v[50:51], v[28:31], off
	s_wait_loadcnt 0x12
	global_store_b128 v[68:69], v[32:35], off
	s_clause 0x1
	scratch_load_b128 v[28:31], off, s30
	scratch_load_b128 v[32:35], off, s29
	s_wait_loadcnt 0x13
	global_store_b128 v[62:63], v[36:39], off
	s_clause 0x1
	scratch_load_b128 v[36:39], off, s27
	scratch_load_b128 v[48:51], off, s28
	s_wait_loadcnt 0x14
	global_store_b128 v[64:65], v[140:143], off
	s_clause 0x1
	scratch_load_b128 v[60:63], off, s26
	scratch_load_b128 v[140:143], off, s25
	s_wait_loadcnt 0x15
	global_store_b128 v[52:53], v[144:147], off
	s_wait_loadcnt 0x14
	global_store_b128 v[76:77], v[148:151], off
	s_clause 0x1
	scratch_load_b128 v[144:147], off, s24
	scratch_load_b128 v[148:151], off, s23
	s_wait_loadcnt 0x15
	global_store_b128 v[66:67], v[152:155], off
	s_clause 0x1
	scratch_load_b128 v[64:67], off, s21
	scratch_load_b128 v[152:155], off, s22
	s_wait_loadcnt 0x16
	global_store_b128 v[70:71], v[156:159], off
	s_clause 0x1
	scratch_load_b128 v[68:71], off, s20
	scratch_load_b128 v[156:159], off, s19
	s_wait_loadcnt 0x17
	global_store_b128 v[58:59], v[0:3], off
	s_wait_loadcnt 0x16
	global_store_b128 v[80:81], v[40:43], off
	s_clause 0x1
	scratch_load_b128 v[0:3], off, s15
	scratch_load_b128 v[40:43], off, s11
	s_wait_loadcnt 0x17
	global_store_b128 v[78:79], v[160:163], off
	s_clause 0x1
	scratch_load_b128 v[76:79], off, s9
	scratch_load_b128 v[160:163], off, s10
	s_wait_loadcnt 0x18
	global_store_b128 v[72:73], v[4:7], off
	s_clause 0x1
	scratch_load_b128 v[4:7], off, s8
	scratch_load_b128 v[168:171], off, s5
	s_wait_loadcnt 0x19
	global_store_b128 v[74:75], v[8:11], off
	s_wait_loadcnt 0x18
	global_store_b128 v[82:83], v[44:47], off
	s_clause 0x1
	scratch_load_b128 v[8:11], off, s4
	scratch_load_b128 v[44:47], off, s14
	s_wait_loadcnt 0x19
	global_store_b128 v[84:85], v[12:15], off
	s_clause 0x1
	scratch_load_b128 v[12:15], off, s12
	scratch_load_b128 v[72:75], off, s13
	s_wait_loadcnt 0x1a
	global_store_b128 v[86:87], v[16:19], off
	s_wait_loadcnt 0x19
	global_store_b128 v[88:89], v[20:23], off
	;; [unrolled: 2-line block ×27, first 2 shown]
	s_nop 0
	s_sendmsg sendmsg(MSG_DEALLOC_VGPRS)
	s_endpgm
	.section	.rodata,"a",@progbits
	.p2align	6, 0x0
	.amdhsa_kernel _ZN9rocsolver6v33100L18getri_kernel_smallILi49E19rocblas_complex_numIdEPS3_EEvT1_iilPiilS6_bb
		.amdhsa_group_segment_fixed_size 1576
		.amdhsa_private_segment_fixed_size 816
		.amdhsa_kernarg_size 60
		.amdhsa_user_sgpr_count 2
		.amdhsa_user_sgpr_dispatch_ptr 0
		.amdhsa_user_sgpr_queue_ptr 0
		.amdhsa_user_sgpr_kernarg_segment_ptr 1
		.amdhsa_user_sgpr_dispatch_id 0
		.amdhsa_user_sgpr_private_segment_size 0
		.amdhsa_wavefront_size32 1
		.amdhsa_uses_dynamic_stack 0
		.amdhsa_enable_private_segment 1
		.amdhsa_system_sgpr_workgroup_id_x 1
		.amdhsa_system_sgpr_workgroup_id_y 0
		.amdhsa_system_sgpr_workgroup_id_z 0
		.amdhsa_system_sgpr_workgroup_info 0
		.amdhsa_system_vgpr_workitem_id 0
		.amdhsa_next_free_vgpr 172
		.amdhsa_next_free_sgpr 80
		.amdhsa_reserve_vcc 1
		.amdhsa_float_round_mode_32 0
		.amdhsa_float_round_mode_16_64 0
		.amdhsa_float_denorm_mode_32 3
		.amdhsa_float_denorm_mode_16_64 3
		.amdhsa_fp16_overflow 0
		.amdhsa_workgroup_processor_mode 1
		.amdhsa_memory_ordered 1
		.amdhsa_forward_progress 1
		.amdhsa_inst_pref_size 255
		.amdhsa_round_robin_scheduling 0
		.amdhsa_exception_fp_ieee_invalid_op 0
		.amdhsa_exception_fp_denorm_src 0
		.amdhsa_exception_fp_ieee_div_zero 0
		.amdhsa_exception_fp_ieee_overflow 0
		.amdhsa_exception_fp_ieee_underflow 0
		.amdhsa_exception_fp_ieee_inexact 0
		.amdhsa_exception_int_div_zero 0
	.end_amdhsa_kernel
	.section	.text._ZN9rocsolver6v33100L18getri_kernel_smallILi49E19rocblas_complex_numIdEPS3_EEvT1_iilPiilS6_bb,"axG",@progbits,_ZN9rocsolver6v33100L18getri_kernel_smallILi49E19rocblas_complex_numIdEPS3_EEvT1_iilPiilS6_bb,comdat
.Lfunc_end48:
	.size	_ZN9rocsolver6v33100L18getri_kernel_smallILi49E19rocblas_complex_numIdEPS3_EEvT1_iilPiilS6_bb, .Lfunc_end48-_ZN9rocsolver6v33100L18getri_kernel_smallILi49E19rocblas_complex_numIdEPS3_EEvT1_iilPiilS6_bb
                                        ; -- End function
	.set _ZN9rocsolver6v33100L18getri_kernel_smallILi49E19rocblas_complex_numIdEPS3_EEvT1_iilPiilS6_bb.num_vgpr, 172
	.set _ZN9rocsolver6v33100L18getri_kernel_smallILi49E19rocblas_complex_numIdEPS3_EEvT1_iilPiilS6_bb.num_agpr, 0
	.set _ZN9rocsolver6v33100L18getri_kernel_smallILi49E19rocblas_complex_numIdEPS3_EEvT1_iilPiilS6_bb.numbered_sgpr, 80
	.set _ZN9rocsolver6v33100L18getri_kernel_smallILi49E19rocblas_complex_numIdEPS3_EEvT1_iilPiilS6_bb.num_named_barrier, 0
	.set _ZN9rocsolver6v33100L18getri_kernel_smallILi49E19rocblas_complex_numIdEPS3_EEvT1_iilPiilS6_bb.private_seg_size, 816
	.set _ZN9rocsolver6v33100L18getri_kernel_smallILi49E19rocblas_complex_numIdEPS3_EEvT1_iilPiilS6_bb.uses_vcc, 1
	.set _ZN9rocsolver6v33100L18getri_kernel_smallILi49E19rocblas_complex_numIdEPS3_EEvT1_iilPiilS6_bb.uses_flat_scratch, 1
	.set _ZN9rocsolver6v33100L18getri_kernel_smallILi49E19rocblas_complex_numIdEPS3_EEvT1_iilPiilS6_bb.has_dyn_sized_stack, 0
	.set _ZN9rocsolver6v33100L18getri_kernel_smallILi49E19rocblas_complex_numIdEPS3_EEvT1_iilPiilS6_bb.has_recursion, 0
	.set _ZN9rocsolver6v33100L18getri_kernel_smallILi49E19rocblas_complex_numIdEPS3_EEvT1_iilPiilS6_bb.has_indirect_call, 0
	.section	.AMDGPU.csdata,"",@progbits
; Kernel info:
; codeLenInByte = 98824
; TotalNumSgprs: 82
; NumVgprs: 172
; ScratchSize: 816
; MemoryBound: 0
; FloatMode: 240
; IeeeMode: 1
; LDSByteSize: 1576 bytes/workgroup (compile time only)
; SGPRBlocks: 0
; VGPRBlocks: 21
; NumSGPRsForWavesPerEU: 82
; NumVGPRsForWavesPerEU: 172
; Occupancy: 8
; WaveLimiterHint : 1
; COMPUTE_PGM_RSRC2:SCRATCH_EN: 1
; COMPUTE_PGM_RSRC2:USER_SGPR: 2
; COMPUTE_PGM_RSRC2:TRAP_HANDLER: 0
; COMPUTE_PGM_RSRC2:TGID_X_EN: 1
; COMPUTE_PGM_RSRC2:TGID_Y_EN: 0
; COMPUTE_PGM_RSRC2:TGID_Z_EN: 0
; COMPUTE_PGM_RSRC2:TIDIG_COMP_CNT: 0
	.section	.text._ZN9rocsolver6v33100L18getri_kernel_smallILi50E19rocblas_complex_numIdEPS3_EEvT1_iilPiilS6_bb,"axG",@progbits,_ZN9rocsolver6v33100L18getri_kernel_smallILi50E19rocblas_complex_numIdEPS3_EEvT1_iilPiilS6_bb,comdat
	.globl	_ZN9rocsolver6v33100L18getri_kernel_smallILi50E19rocblas_complex_numIdEPS3_EEvT1_iilPiilS6_bb ; -- Begin function _ZN9rocsolver6v33100L18getri_kernel_smallILi50E19rocblas_complex_numIdEPS3_EEvT1_iilPiilS6_bb
	.p2align	8
	.type	_ZN9rocsolver6v33100L18getri_kernel_smallILi50E19rocblas_complex_numIdEPS3_EEvT1_iilPiilS6_bb,@function
_ZN9rocsolver6v33100L18getri_kernel_smallILi50E19rocblas_complex_numIdEPS3_EEvT1_iilPiilS6_bb: ; @_ZN9rocsolver6v33100L18getri_kernel_smallILi50E19rocblas_complex_numIdEPS3_EEvT1_iilPiilS6_bb
; %bb.0:
	s_mov_b32 s2, exec_lo
	v_cmpx_gt_u32_e32 50, v0
	s_cbranch_execz .LBB49_214
; %bb.1:
	s_clause 0x2
	s_load_b32 s2, s[0:1], 0x38
	s_load_b128 s[12:15], s[0:1], 0x10
	s_load_b128 s[4:7], s[0:1], 0x28
	s_mov_b32 s16, ttmp9
	s_wait_kmcnt 0x0
	s_bitcmp1_b32 s2, 8
	s_cselect_b32 s18, -1, 0
	s_bfe_u32 s2, s2, 0x10008
	s_ashr_i32 s17, ttmp9, 31
	s_cmp_eq_u32 s2, 0
                                        ; implicit-def: $sgpr2_sgpr3
	s_cbranch_scc1 .LBB49_3
; %bb.2:
	s_load_b32 s2, s[0:1], 0x20
	s_mul_u64 s[4:5], s[4:5], s[16:17]
	s_delay_alu instid0(SALU_CYCLE_1) | instskip(NEXT) | instid1(SALU_CYCLE_1)
	s_lshl_b64 s[4:5], s[4:5], 2
	s_add_nc_u64 s[4:5], s[14:15], s[4:5]
	s_wait_kmcnt 0x0
	s_ashr_i32 s3, s2, 31
	s_delay_alu instid0(SALU_CYCLE_1) | instskip(NEXT) | instid1(SALU_CYCLE_1)
	s_lshl_b64 s[2:3], s[2:3], 2
	s_add_nc_u64 s[2:3], s[4:5], s[2:3]
.LBB49_3:
	s_clause 0x1
	s_load_b128 s[8:11], s[0:1], 0x0
	s_load_b32 s59, s[0:1], 0x38
	s_mul_u64 s[0:1], s[12:13], s[16:17]
	v_lshlrev_b32_e32 v13, 4, v0
	s_lshl_b64 s[0:1], s[0:1], 4
	s_movk_i32 s12, 0xd0
	s_movk_i32 s13, 0xe0
	;; [unrolled: 1-line block ×15, first 2 shown]
	s_wait_kmcnt 0x0
	v_add3_u32 v5, s11, s11, v0
	s_ashr_i32 s5, s10, 31
	s_mov_b32 s4, s10
	s_add_nc_u64 s[0:1], s[8:9], s[0:1]
	s_lshl_b64 s[4:5], s[4:5], 4
	v_add_nc_u32_e32 v7, s11, v5
	v_ashrrev_i32_e32 v6, 31, v5
	s_add_nc_u64 s[0:1], s[0:1], s[4:5]
	s_ashr_i32 s9, s11, 31
	v_add_co_u32 v42, s4, s0, v13
	v_add_nc_u32_e32 v9, s11, v7
	v_ashrrev_i32_e32 v8, 31, v7
	s_mov_b32 s8, s11
	v_lshlrev_b64_e32 v[11:12], 4, v[5:6]
	v_add_co_ci_u32_e64 v43, null, s1, 0, s4
	v_add_nc_u32_e32 v16, s11, v9
	s_lshl_b64 s[8:9], s[8:9], 4
	v_lshlrev_b64_e32 v[14:15], 4, v[7:8]
	v_add_co_u32 v44, vcc_lo, v42, s8
	s_delay_alu instid0(VALU_DEP_1)
	v_add_co_ci_u32_e64 v45, null, s9, v43, vcc_lo
	v_add_co_u32 v46, vcc_lo, s0, v11
	v_ashrrev_i32_e32 v17, 31, v16
	v_add_nc_u32_e32 v11, s11, v16
	v_ashrrev_i32_e32 v10, 31, v9
	s_wait_alu 0xfffd
	v_add_co_ci_u32_e64 v47, null, s1, v12, vcc_lo
	v_add_co_u32 v48, vcc_lo, s0, v14
	s_wait_alu 0xfffd
	v_add_co_ci_u32_e64 v49, null, s1, v15, vcc_lo
	v_lshlrev_b64_e32 v[14:15], 4, v[16:17]
	v_add_nc_u32_e32 v16, s11, v11
	v_lshlrev_b64_e32 v[9:10], 4, v[9:10]
	v_ashrrev_i32_e32 v12, 31, v11
	s_clause 0x1
	global_load_b128 v[1:4], v13, s[0:1]
	global_load_b128 v[5:8], v[44:45], off
	v_add_nc_u32_e32 v20, s11, v16
	v_ashrrev_i32_e32 v17, 31, v16
	v_add_co_u32 v50, vcc_lo, s0, v9
	v_lshlrev_b64_e32 v[18:19], 4, v[11:12]
	s_wait_alu 0xfffd
	v_add_co_ci_u32_e64 v51, null, s1, v10, vcc_lo
	v_add_co_u32 v52, vcc_lo, s0, v14
	v_ashrrev_i32_e32 v21, 31, v20
	s_wait_alu 0xfffd
	v_add_co_ci_u32_e64 v53, null, s1, v15, vcc_lo
	v_add_co_u32 v54, vcc_lo, s0, v18
	global_load_b128 v[9:12], v[46:47], off
	v_lshlrev_b64_e32 v[26:27], 4, v[16:17]
	v_add_nc_u32_e32 v28, s11, v20
	s_wait_alu 0xfffd
	v_add_co_ci_u32_e64 v55, null, s1, v19, vcc_lo
	v_lshlrev_b64_e32 v[30:31], 4, v[20:21]
	s_clause 0x2
	global_load_b128 v[14:17], v[48:49], off
	global_load_b128 v[18:21], v[50:51], off
	;; [unrolled: 1-line block ×3, first 2 shown]
	v_ashrrev_i32_e32 v29, 31, v28
	v_add_co_u32 v56, vcc_lo, s0, v26
	v_add_nc_u32_e32 v32, s11, v28
	s_wait_alu 0xfffd
	v_add_co_ci_u32_e64 v57, null, s1, v27, vcc_lo
	v_lshlrev_b64_e32 v[34:35], 4, v[28:29]
	global_load_b128 v[26:29], v[54:55], off
	v_ashrrev_i32_e32 v33, 31, v32
	v_add_co_u32 v58, vcc_lo, s0, v30
	v_add_nc_u32_e32 v36, s11, v32
	s_wait_alu 0xfffd
	v_add_co_ci_u32_e64 v59, null, s1, v31, vcc_lo
	v_lshlrev_b64_e32 v[38:39], 4, v[32:33]
	global_load_b128 v[30:33], v[56:57], off
	v_add_nc_u32_e32 v68, s11, v36
	v_ashrrev_i32_e32 v37, 31, v36
	v_add_co_u32 v60, vcc_lo, s0, v34
	s_wait_alu 0xfffd
	v_add_co_ci_u32_e64 v61, null, s1, v35, vcc_lo
	v_ashrrev_i32_e32 v69, 31, v68
	v_lshlrev_b64_e32 v[64:65], 4, v[36:37]
	v_add_co_u32 v62, vcc_lo, s0, v38
	s_wait_alu 0xfffd
	v_add_co_ci_u32_e64 v63, null, s1, v39, vcc_lo
	v_lshlrev_b64_e32 v[69:70], 4, v[68:69]
	v_add_nc_u32_e32 v68, s11, v68
	v_add_co_u32 v66, vcc_lo, s0, v64
	s_wait_alu 0xfffd
	v_add_co_ci_u32_e64 v67, null, s1, v65, vcc_lo
	s_delay_alu instid0(VALU_DEP_4)
	v_add_co_u32 v64, vcc_lo, s0, v69
	s_wait_alu 0xfffd
	v_add_co_ci_u32_e64 v65, null, s1, v70, vcc_lo
	v_add_nc_u32_e32 v70, s11, v68
	s_clause 0x4
	global_load_b128 v[34:37], v[58:59], off
	global_load_b128 v[38:41], v[60:61], off
	;; [unrolled: 1-line block ×5, first 2 shown]
	v_ashrrev_i32_e32 v69, 31, v68
	v_add_nc_u32_e32 v72, s11, v70
	v_ashrrev_i32_e32 v71, 31, v70
	s_movk_i32 s4, 0x70
	s_movk_i32 s5, 0x80
	v_lshlrev_b64_e32 v[68:69], 4, v[68:69]
	v_add_nc_u32_e32 v74, s11, v72
	v_lshlrev_b64_e32 v[70:71], 4, v[70:71]
	v_ashrrev_i32_e32 v73, 31, v72
	s_movk_i32 s8, 0x90
	s_movk_i32 s9, 0xa0
	v_add_nc_u32_e32 v76, s11, v74
	v_add_co_u32 v68, vcc_lo, s0, v68
	s_wait_alu 0xfffd
	v_add_co_ci_u32_e64 v69, null, s1, v69, vcc_lo
	s_delay_alu instid0(VALU_DEP_3) | instskip(SKIP_3) | instid1(VALU_DEP_3)
	v_add_nc_u32_e32 v78, s11, v76
	v_add_co_u32 v70, vcc_lo, s0, v70
	s_wait_alu 0xfffd
	v_add_co_ci_u32_e64 v71, null, s1, v71, vcc_lo
	v_add_nc_u32_e32 v80, s11, v78
	s_clause 0x1
	global_load_b128 v[120:123], v[68:69], off
	global_load_b128 v[124:127], v[70:71], off
	v_ashrrev_i32_e32 v75, 31, v74
	v_lshlrev_b64_e32 v[72:73], 4, v[72:73]
	v_add_nc_u32_e32 v82, s11, v80
	v_ashrrev_i32_e32 v77, 31, v76
	v_ashrrev_i32_e32 v79, 31, v78
	v_lshlrev_b64_e32 v[74:75], 4, v[74:75]
	v_ashrrev_i32_e32 v81, 31, v80
	v_add_nc_u32_e32 v84, s11, v82
	v_add_co_u32 v72, vcc_lo, s0, v72
	s_wait_alu 0xfffd
	v_add_co_ci_u32_e64 v73, null, s1, v73, vcc_lo
	s_delay_alu instid0(VALU_DEP_3) | instskip(SKIP_3) | instid1(VALU_DEP_3)
	v_add_nc_u32_e32 v86, s11, v84
	v_add_co_u32 v74, vcc_lo, s0, v74
	s_wait_alu 0xfffd
	v_add_co_ci_u32_e64 v75, null, s1, v75, vcc_lo
	v_add_nc_u32_e32 v88, s11, v86
	v_lshlrev_b64_e32 v[76:77], 4, v[76:77]
	v_ashrrev_i32_e32 v83, 31, v82
	v_lshlrev_b64_e32 v[78:79], 4, v[78:79]
	s_clause 0x1
	global_load_b128 v[128:131], v[72:73], off
	global_load_b128 v[132:135], v[74:75], off
	v_add_nc_u32_e32 v90, s11, v88
	v_ashrrev_i32_e32 v85, 31, v84
	v_lshlrev_b64_e32 v[80:81], 4, v[80:81]
	v_ashrrev_i32_e32 v87, 31, v86
	v_add_co_u32 v76, vcc_lo, s0, v76
	v_add_nc_u32_e32 v92, s11, v90
	v_lshlrev_b64_e32 v[82:83], 4, v[82:83]
	v_ashrrev_i32_e32 v89, 31, v88
	s_wait_alu 0xfffd
	v_add_co_ci_u32_e64 v77, null, s1, v77, vcc_lo
	v_add_nc_u32_e32 v94, s11, v92
	v_add_co_u32 v78, vcc_lo, s0, v78
	v_lshlrev_b64_e32 v[84:85], 4, v[84:85]
	v_ashrrev_i32_e32 v91, 31, v90
	s_delay_alu instid0(VALU_DEP_4) | instskip(SKIP_3) | instid1(VALU_DEP_3)
	v_add_nc_u32_e32 v96, s11, v94
	s_wait_alu 0xfffd
	v_add_co_ci_u32_e64 v79, null, s1, v79, vcc_lo
	v_add_co_u32 v80, vcc_lo, s0, v80
	v_add_nc_u32_e32 v98, s11, v96
	v_lshlrev_b64_e32 v[86:87], 4, v[86:87]
	v_ashrrev_i32_e32 v93, 31, v92
	s_wait_alu 0xfffd
	v_add_co_ci_u32_e64 v81, null, s1, v81, vcc_lo
	v_add_nc_u32_e32 v100, s11, v98
	v_add_co_u32 v82, vcc_lo, s0, v82
	v_lshlrev_b64_e32 v[88:89], 4, v[88:89]
	v_ashrrev_i32_e32 v95, 31, v94
	s_wait_alu 0xfffd
	v_add_co_ci_u32_e64 v83, null, s1, v83, vcc_lo
	v_add_co_u32 v84, vcc_lo, s0, v84
	v_lshlrev_b64_e32 v[90:91], 4, v[90:91]
	v_add_nc_u32_e32 v102, s11, v100
	v_ashrrev_i32_e32 v97, 31, v96
	s_wait_alu 0xfffd
	v_add_co_ci_u32_e64 v85, null, s1, v85, vcc_lo
	v_add_co_u32 v86, vcc_lo, s0, v86
	v_lshlrev_b64_e32 v[92:93], 4, v[92:93]
	v_ashrrev_i32_e32 v99, 31, v98
	s_wait_alu 0xfffd
	v_add_co_ci_u32_e64 v87, null, s1, v87, vcc_lo
	v_add_co_u32 v88, vcc_lo, s0, v88
	v_lshlrev_b64_e32 v[94:95], 4, v[94:95]
	v_add_nc_u32_e32 v104, s11, v102
	s_wait_alu 0xfffd
	v_add_co_ci_u32_e64 v89, null, s1, v89, vcc_lo
	v_add_co_u32 v90, vcc_lo, s0, v90
	v_lshlrev_b64_e32 v[96:97], 4, v[96:97]
	v_ashrrev_i32_e32 v101, 31, v100
	s_wait_alu 0xfffd
	v_add_co_ci_u32_e64 v91, null, s1, v91, vcc_lo
	v_add_co_u32 v92, vcc_lo, s0, v92
	v_lshlrev_b64_e32 v[98:99], 4, v[98:99]
	s_clause 0x1
	global_load_b128 v[136:139], v[76:77], off
	global_load_b128 v[140:143], v[78:79], off
	v_ashrrev_i32_e32 v103, 31, v102
	s_wait_alu 0xfffd
	v_add_co_ci_u32_e64 v93, null, s1, v93, vcc_lo
	v_add_co_u32 v94, vcc_lo, s0, v94
	v_add_nc_u32_e32 v106, s11, v104
	v_ashrrev_i32_e32 v105, 31, v104
	s_wait_alu 0xfffd
	v_add_co_ci_u32_e64 v95, null, s1, v95, vcc_lo
	v_add_co_u32 v96, vcc_lo, s0, v96
	v_lshlrev_b64_e32 v[100:101], 4, v[100:101]
	s_wait_alu 0xfffd
	v_add_co_ci_u32_e64 v97, null, s1, v97, vcc_lo
	v_add_co_u32 v98, vcc_lo, s0, v98
	v_lshlrev_b64_e32 v[102:103], 4, v[102:103]
	v_ashrrev_i32_e32 v107, 31, v106
	s_wait_alu 0xfffd
	v_add_co_ci_u32_e64 v99, null, s1, v99, vcc_lo
	v_lshlrev_b64_e32 v[104:105], 4, v[104:105]
	s_clause 0x5
	global_load_b128 v[144:147], v[80:81], off
	global_load_b128 v[148:151], v[82:83], off
	;; [unrolled: 1-line block ×6, first 2 shown]
	v_add_co_u32 v100, vcc_lo, s0, v100
	s_wait_alu 0xfffd
	v_add_co_ci_u32_e64 v101, null, s1, v101, vcc_lo
	v_add_co_u32 v102, vcc_lo, s0, v102
	s_wait_alu 0xfffd
	v_add_co_ci_u32_e64 v103, null, s1, v103, vcc_lo
	v_add_co_u32 v104, vcc_lo, s0, v104
	s_wait_alu 0xfffd
	v_add_co_ci_u32_e64 v105, null, s1, v105, vcc_lo
	v_add_nc_u32_e32 v168, s11, v106
	s_movk_i32 s10, 0xb0
	s_movk_i32 s35, 0x1c0
	;; [unrolled: 1-line block ×4, first 2 shown]
	v_add_nc_u32_e32 v170, s11, v168
	v_ashrrev_i32_e32 v169, 31, v168
	s_movk_i32 s61, 0x1f0
	s_movk_i32 s62, 0x200
	;; [unrolled: 1-line block ×3, first 2 shown]
	v_ashrrev_i32_e32 v171, 31, v170
	v_lshlrev_b64_e32 v[168:169], 4, v[168:169]
	s_movk_i32 s64, 0x220
	s_movk_i32 s65, 0x230
	;; [unrolled: 1-line block ×16, first 2 shown]
	s_wait_alu 0xfffe
	s_add_co_i32 s56, s4, 16
	s_add_co_i32 s55, s5, 16
	;; [unrolled: 1-line block ×41, first 2 shown]
	s_mov_b32 s49, 32
	s_mov_b32 s48, 48
	;; [unrolled: 1-line block ×3, first 2 shown]
	s_movk_i32 s46, 0x50
	s_wait_loadcnt 0x18
	scratch_store_b128 off, v[1:4], off offset:16
	s_wait_loadcnt 0x17
	scratch_store_b128 off, v[5:8], off offset:32
	s_clause 0x1
	global_load_b128 v[1:4], v[92:93], off
	global_load_b128 v[5:8], v[94:95], off
	s_wait_loadcnt 0x18
	scratch_store_b128 off, v[9:12], off offset:48
	s_wait_loadcnt 0x17
	scratch_store_b128 off, v[14:17], off offset:64
	;; [unrolled: 2-line block ×3, first 2 shown]
	s_clause 0x1
	global_load_b128 v[9:12], v[96:97], off
	global_load_b128 v[14:17], v[98:99], off
	s_wait_loadcnt 0x17
	scratch_store_b128 off, v[22:25], off offset:96
	v_lshlrev_b64_e32 v[22:23], 4, v[106:107]
	global_load_b128 v[18:21], v[100:101], off
	v_add_co_u32 v106, vcc_lo, s0, v22
	s_wait_alu 0xfffd
	v_add_co_ci_u32_e64 v107, null, s1, v23, vcc_lo
	global_load_b128 v[22:25], v[102:103], off
	s_wait_loadcnt 0x18
	scratch_store_b128 off, v[26:29], off offset:112
	global_load_b128 v[26:29], v[104:105], off
	s_wait_loadcnt 0x18
	scratch_store_b128 off, v[30:33], off offset:128
	;; [unrolled: 3-line block ×3, first 2 shown]
	v_lshlrev_b64_e32 v[34:35], 4, v[170:171]
	s_wait_loadcnt 0x15
	scratch_store_b128 off, v[112:115], off offset:192
	s_wait_loadcnt 0x14
	scratch_store_b128 off, v[116:119], off offset:208
	v_add_nc_u32_e32 v112, s11, v170
	s_clause 0x1
	scratch_store_b128 off, v[38:41], off offset:160
	scratch_store_b128 off, v[108:111], off offset:176
	v_add_co_u32 v108, vcc_lo, s0, v168
	v_add_nc_u32_e32 v114, s11, v112
	s_wait_alu 0xfffd
	v_add_co_ci_u32_e64 v109, null, s1, v169, vcc_lo
	v_add_co_u32 v110, vcc_lo, s0, v34
	s_delay_alu instid0(VALU_DEP_3)
	v_add_nc_u32_e32 v116, s11, v114
	s_wait_alu 0xfffd
	v_add_co_ci_u32_e64 v111, null, s1, v35, vcc_lo
	global_load_b128 v[34:37], v[108:109], off
	v_ashrrev_i32_e32 v113, 31, v112
	v_add_nc_u32_e32 v118, s11, v116
	global_load_b128 v[38:41], v[110:111], off
	v_ashrrev_i32_e32 v115, 31, v114
	v_ashrrev_i32_e32 v117, 31, v116
	v_lshlrev_b64_e32 v[112:113], 4, v[112:113]
	v_ashrrev_i32_e32 v119, 31, v118
	s_wait_loadcnt 0x15
	scratch_store_b128 off, v[120:123], off offset:224
	s_wait_loadcnt 0x14
	scratch_store_b128 off, v[124:127], off offset:240
	v_add_nc_u32_e32 v120, s11, v118
	s_wait_loadcnt 0x13
	scratch_store_b128 off, v[128:131], off offset:256
	s_wait_loadcnt 0x12
	scratch_store_b128 off, v[132:135], off offset:272
	v_add_nc_u32_e32 v122, s11, v120
	v_lshlrev_b64_e32 v[114:115], 4, v[114:115]
	v_add_co_u32 v112, vcc_lo, s0, v112
	v_ashrrev_i32_e32 v121, 31, v120
	s_delay_alu instid0(VALU_DEP_4)
	v_add_nc_u32_e32 v124, s11, v122
	s_wait_alu 0xfffd
	v_add_co_ci_u32_e64 v113, null, s1, v113, vcc_lo
	v_lshlrev_b64_e32 v[116:117], 4, v[116:117]
	v_add_co_u32 v114, vcc_lo, s0, v114
	v_add_nc_u32_e32 v126, s11, v124
	v_ashrrev_i32_e32 v123, 31, v122
	s_wait_alu 0xfffd
	v_add_co_ci_u32_e64 v115, null, s1, v115, vcc_lo
	v_lshlrev_b64_e32 v[118:119], 4, v[118:119]
	v_add_nc_u32_e32 v128, s11, v126
	v_ashrrev_i32_e32 v125, 31, v124
	v_lshlrev_b64_e32 v[120:121], 4, v[120:121]
	v_ashrrev_i32_e32 v127, 31, v126
	v_add_co_u32 v116, vcc_lo, s0, v116
	v_add_nc_u32_e32 v130, s11, v128
	s_clause 0x1
	global_load_b128 v[168:171], v[112:113], off
	global_load_b128 v[172:175], v[114:115], off
	v_lshlrev_b64_e32 v[122:123], 4, v[122:123]
	v_ashrrev_i32_e32 v129, 31, v128
	s_wait_alu 0xfffd
	v_add_co_ci_u32_e64 v117, null, s1, v117, vcc_lo
	v_add_nc_u32_e32 v132, s11, v130
	v_add_co_u32 v118, vcc_lo, s0, v118
	v_lshlrev_b64_e32 v[124:125], 4, v[124:125]
	v_ashrrev_i32_e32 v131, 31, v130
	s_delay_alu instid0(VALU_DEP_4)
	v_add_nc_u32_e32 v134, s11, v132
	s_wait_alu 0xfffd
	v_add_co_ci_u32_e64 v119, null, s1, v119, vcc_lo
	v_add_co_u32 v120, vcc_lo, s0, v120
	v_lshlrev_b64_e32 v[126:127], 4, v[126:127]
	s_wait_alu 0xfffd
	v_add_co_ci_u32_e64 v121, null, s1, v121, vcc_lo
	v_add_co_u32 v122, vcc_lo, s0, v122
	v_lshlrev_b64_e32 v[128:129], 4, v[128:129]
	v_ashrrev_i32_e32 v133, 31, v132
	s_wait_alu 0xfffd
	v_add_co_ci_u32_e64 v123, null, s1, v123, vcc_lo
	v_add_co_u32 v124, vcc_lo, s0, v124
	v_lshlrev_b64_e32 v[130:131], 4, v[130:131]
	v_ashrrev_i32_e32 v135, 31, v134
	s_wait_alu 0xfffd
	v_add_co_ci_u32_e64 v125, null, s1, v125, vcc_lo
	v_add_co_u32 v126, vcc_lo, s0, v126
	s_wait_alu 0xfffd
	v_add_co_ci_u32_e64 v127, null, s1, v127, vcc_lo
	v_add_co_u32 v128, vcc_lo, s0, v128
	v_lshlrev_b64_e32 v[132:133], 4, v[132:133]
	s_wait_loadcnt 0x13
	scratch_store_b128 off, v[136:139], off offset:288
	v_add_nc_u32_e32 v136, s11, v134
	s_wait_loadcnt 0x12
	scratch_store_b128 off, v[140:143], off offset:304
	s_wait_loadcnt 0x11
	scratch_store_b128 off, v[144:147], off offset:320
	v_add_nc_u32_e32 v138, s11, v136
	v_ashrrev_i32_e32 v137, 31, v136
	s_clause 0x1
	global_load_b128 v[142:145], v[116:117], off
	global_load_b128 v[176:179], v[118:119], off
	s_wait_loadcnt 0x12
	scratch_store_b128 off, v[148:151], off offset:336
	s_wait_loadcnt 0x11
	scratch_store_b128 off, v[152:155], off offset:352
	;; [unrolled: 2-line block ×3, first 2 shown]
	v_add_nc_u32_e32 v140, s11, v138
	v_ashrrev_i32_e32 v139, 31, v138
	s_wait_alu 0xfffd
	v_add_co_ci_u32_e64 v129, null, s1, v129, vcc_lo
	v_add_co_u32 v130, vcc_lo, s0, v130
	v_lshlrev_b64_e32 v[134:135], 4, v[134:135]
	s_clause 0x1
	global_load_b128 v[146:149], v[120:121], off
	global_load_b128 v[150:153], v[122:123], off
	s_wait_loadcnt 0x11
	scratch_store_b128 off, v[160:163], off offset:384
	v_ashrrev_i32_e32 v141, 31, v140
	s_wait_alu 0xfffd
	v_add_co_ci_u32_e64 v131, null, s1, v131, vcc_lo
	v_add_co_u32 v132, vcc_lo, s0, v132
	v_lshlrev_b64_e32 v[138:139], 4, v[138:139]
	s_wait_alu 0xfffd
	v_add_co_ci_u32_e64 v133, null, s1, v133, vcc_lo
	v_add_co_u32 v134, vcc_lo, s0, v134
	s_wait_alu 0xfffd
	v_add_co_ci_u32_e64 v135, null, s1, v135, vcc_lo
	s_movk_i32 s11, 0xc0
	s_wait_loadcnt 0x10
	scratch_store_b128 off, v[164:167], off offset:400
	s_wait_loadcnt 0xf
	scratch_store_b128 off, v[1:4], off offset:416
	s_clause 0x1
	global_load_b128 v[1:4], v[124:125], off
	global_load_b128 v[154:157], v[126:127], off
	s_wait_loadcnt 0x10
	scratch_store_b128 off, v[5:8], off offset:432
	s_wait_loadcnt 0xf
	scratch_store_b128 off, v[9:12], off offset:448
	s_wait_loadcnt 0xe
	scratch_store_b128 off, v[14:17], off offset:464
	v_lshlrev_b64_e32 v[14:15], 4, v[136:137]
	s_clause 0x1
	global_load_b128 v[5:8], v[128:129], off
	global_load_b128 v[9:12], v[130:131], off
	s_wait_loadcnt 0xf
	scratch_store_b128 off, v[18:21], off offset:480
	s_wait_loadcnt 0xe
	scratch_store_b128 off, v[22:25], off offset:496
	;; [unrolled: 2-line block ×3, first 2 shown]
	v_lshlrev_b64_e32 v[26:27], 4, v[140:141]
	v_add_co_u32 v136, vcc_lo, s0, v14
	s_wait_alu 0xfffd
	v_add_co_ci_u32_e64 v137, null, s1, v15, vcc_lo
	v_add_co_u32 v138, vcc_lo, s0, v138
	s_wait_alu 0xfffd
	v_add_co_ci_u32_e64 v139, null, s1, v139, vcc_lo
	;; [unrolled: 3-line block ×3, first 2 shown]
	s_clause 0x3
	global_load_b128 v[14:17], v[132:133], off
	global_load_b128 v[18:21], v[134:135], off
	;; [unrolled: 1-line block ×4, first 2 shown]
	s_wait_loadcnt 0x10
	scratch_store_b128 off, v[30:33], off offset:528
	global_load_b128 v[30:33], v[140:141], off
	s_movk_i32 s0, 0x50
	s_movk_i32 s1, 0x60
	s_wait_alu 0xfffe
	s_add_co_i32 s58, s0, 16
	s_add_co_i32 s57, s1, 16
	;; [unrolled: 1-line block ×4, first 2 shown]
	s_bitcmp0_b32 s59, 0
	s_mov_b32 s1, -1
	s_wait_loadcnt 0x10
	scratch_store_b128 off, v[34:37], off offset:544
	s_wait_loadcnt 0xf
	scratch_store_b128 off, v[38:41], off offset:560
	;; [unrolled: 2-line block ×17, first 2 shown]
	s_cbranch_scc1 .LBB49_212
; %bb.4:
	v_cmp_eq_u32_e64 s0, 0, v0
	s_and_saveexec_b32 s1, s0
; %bb.5:
	v_mov_b32_e32 v1, 0
	ds_store_b32 v1, v1 offset:1600
; %bb.6:
	s_wait_alu 0xfffe
	s_or_b32 exec_lo, exec_lo, s1
	s_wait_storecnt_dscnt 0x0
	s_barrier_signal -1
	s_barrier_wait -1
	global_inv scope:SCOPE_SE
	scratch_load_b128 v[1:4], v13, off offset:16
	s_wait_loadcnt 0x0
	v_cmp_eq_f64_e32 vcc_lo, 0, v[1:2]
	v_cmp_eq_f64_e64 s1, 0, v[3:4]
	s_and_b32 s1, vcc_lo, s1
	s_wait_alu 0xfffe
	s_and_saveexec_b32 s59, s1
	s_cbranch_execz .LBB49_10
; %bb.7:
	v_mov_b32_e32 v1, 0
	s_mov_b32 s60, 0
	ds_load_b32 v2, v1 offset:1600
	s_wait_dscnt 0x0
	v_readfirstlane_b32 s1, v2
	v_add_nc_u32_e32 v2, 1, v0
	s_cmp_eq_u32 s1, 0
	s_delay_alu instid0(VALU_DEP_1) | instskip(SKIP_1) | instid1(SALU_CYCLE_1)
	v_cmp_gt_i32_e32 vcc_lo, s1, v2
	s_cselect_b32 s61, -1, 0
	s_or_b32 s61, s61, vcc_lo
	s_delay_alu instid0(SALU_CYCLE_1)
	s_and_b32 exec_lo, exec_lo, s61
	s_cbranch_execz .LBB49_10
; %bb.8:
	v_mov_b32_e32 v3, s1
.LBB49_9:                               ; =>This Inner Loop Header: Depth=1
	ds_cmpstore_rtn_b32 v3, v1, v2, v3 offset:1600
	s_wait_dscnt 0x0
	v_cmp_ne_u32_e32 vcc_lo, 0, v3
	v_cmp_le_i32_e64 s1, v3, v2
	s_and_b32 s1, vcc_lo, s1
	s_wait_alu 0xfffe
	s_and_b32 s1, exec_lo, s1
	s_wait_alu 0xfffe
	s_or_b32 s60, s1, s60
	s_delay_alu instid0(SALU_CYCLE_1)
	s_and_not1_b32 exec_lo, exec_lo, s60
	s_cbranch_execnz .LBB49_9
.LBB49_10:
	s_or_b32 exec_lo, exec_lo, s59
	v_mov_b32_e32 v1, 0
	s_barrier_signal -1
	s_barrier_wait -1
	global_inv scope:SCOPE_SE
	ds_load_b32 v2, v1 offset:1600
	s_and_saveexec_b32 s1, s0
	s_cbranch_execz .LBB49_12
; %bb.11:
	s_lshl_b64 s[60:61], s[16:17], 2
	s_delay_alu instid0(SALU_CYCLE_1)
	s_add_nc_u64 s[60:61], s[6:7], s[60:61]
	s_wait_dscnt 0x0
	global_store_b32 v1, v2, s[60:61]
.LBB49_12:
	s_wait_alu 0xfffe
	s_or_b32 exec_lo, exec_lo, s1
	s_wait_dscnt 0x0
	v_cmp_ne_u32_e32 vcc_lo, 0, v2
	s_mov_b32 s1, 0
	s_cbranch_vccnz .LBB49_212
; %bb.13:
	v_add_nc_u32_e32 v14, 16, v13
                                        ; implicit-def: $vgpr1_vgpr2
                                        ; implicit-def: $vgpr9_vgpr10
	scratch_load_b128 v[5:8], v14, off
	s_wait_loadcnt 0x0
	v_cmp_ngt_f64_e64 s1, |v[5:6]|, |v[7:8]|
	s_wait_alu 0xfffe
	s_and_saveexec_b32 s59, s1
	s_delay_alu instid0(SALU_CYCLE_1)
	s_xor_b32 s1, exec_lo, s59
	s_cbranch_execz .LBB49_15
; %bb.14:
	v_div_scale_f64 v[1:2], null, v[7:8], v[7:8], v[5:6]
	v_div_scale_f64 v[11:12], vcc_lo, v[5:6], v[7:8], v[5:6]
	s_delay_alu instid0(VALU_DEP_2) | instskip(NEXT) | instid1(TRANS32_DEP_1)
	v_rcp_f64_e32 v[3:4], v[1:2]
	v_fma_f64 v[9:10], -v[1:2], v[3:4], 1.0
	s_delay_alu instid0(VALU_DEP_1) | instskip(NEXT) | instid1(VALU_DEP_1)
	v_fma_f64 v[3:4], v[3:4], v[9:10], v[3:4]
	v_fma_f64 v[9:10], -v[1:2], v[3:4], 1.0
	s_delay_alu instid0(VALU_DEP_1) | instskip(NEXT) | instid1(VALU_DEP_1)
	v_fma_f64 v[3:4], v[3:4], v[9:10], v[3:4]
	v_mul_f64_e32 v[9:10], v[11:12], v[3:4]
	s_delay_alu instid0(VALU_DEP_1) | instskip(SKIP_1) | instid1(VALU_DEP_1)
	v_fma_f64 v[1:2], -v[1:2], v[9:10], v[11:12]
	s_wait_alu 0xfffd
	v_div_fmas_f64 v[1:2], v[1:2], v[3:4], v[9:10]
	s_delay_alu instid0(VALU_DEP_1) | instskip(NEXT) | instid1(VALU_DEP_1)
	v_div_fixup_f64 v[1:2], v[1:2], v[7:8], v[5:6]
	v_fma_f64 v[3:4], v[5:6], v[1:2], v[7:8]
	s_delay_alu instid0(VALU_DEP_1) | instskip(SKIP_1) | instid1(VALU_DEP_2)
	v_div_scale_f64 v[5:6], null, v[3:4], v[3:4], 1.0
	v_div_scale_f64 v[11:12], vcc_lo, 1.0, v[3:4], 1.0
	v_rcp_f64_e32 v[7:8], v[5:6]
	s_delay_alu instid0(TRANS32_DEP_1) | instskip(NEXT) | instid1(VALU_DEP_1)
	v_fma_f64 v[9:10], -v[5:6], v[7:8], 1.0
	v_fma_f64 v[7:8], v[7:8], v[9:10], v[7:8]
	s_delay_alu instid0(VALU_DEP_1) | instskip(NEXT) | instid1(VALU_DEP_1)
	v_fma_f64 v[9:10], -v[5:6], v[7:8], 1.0
	v_fma_f64 v[7:8], v[7:8], v[9:10], v[7:8]
	s_delay_alu instid0(VALU_DEP_1) | instskip(NEXT) | instid1(VALU_DEP_1)
	v_mul_f64_e32 v[9:10], v[11:12], v[7:8]
	v_fma_f64 v[5:6], -v[5:6], v[9:10], v[11:12]
	s_wait_alu 0xfffd
	s_delay_alu instid0(VALU_DEP_1) | instskip(NEXT) | instid1(VALU_DEP_1)
	v_div_fmas_f64 v[5:6], v[5:6], v[7:8], v[9:10]
	v_div_fixup_f64 v[3:4], v[5:6], v[3:4], 1.0
                                        ; implicit-def: $vgpr5_vgpr6
	s_delay_alu instid0(VALU_DEP_1) | instskip(SKIP_1) | instid1(VALU_DEP_2)
	v_mul_f64_e32 v[1:2], v[1:2], v[3:4]
	v_xor_b32_e32 v4, 0x80000000, v4
	v_xor_b32_e32 v10, 0x80000000, v2
	s_delay_alu instid0(VALU_DEP_3)
	v_mov_b32_e32 v9, v1
.LBB49_15:
	s_wait_alu 0xfffe
	s_and_not1_saveexec_b32 s1, s1
	s_cbranch_execz .LBB49_17
; %bb.16:
	v_div_scale_f64 v[1:2], null, v[5:6], v[5:6], v[7:8]
	v_div_scale_f64 v[11:12], vcc_lo, v[7:8], v[5:6], v[7:8]
	s_delay_alu instid0(VALU_DEP_2) | instskip(NEXT) | instid1(TRANS32_DEP_1)
	v_rcp_f64_e32 v[3:4], v[1:2]
	v_fma_f64 v[9:10], -v[1:2], v[3:4], 1.0
	s_delay_alu instid0(VALU_DEP_1) | instskip(NEXT) | instid1(VALU_DEP_1)
	v_fma_f64 v[3:4], v[3:4], v[9:10], v[3:4]
	v_fma_f64 v[9:10], -v[1:2], v[3:4], 1.0
	s_delay_alu instid0(VALU_DEP_1) | instskip(NEXT) | instid1(VALU_DEP_1)
	v_fma_f64 v[3:4], v[3:4], v[9:10], v[3:4]
	v_mul_f64_e32 v[9:10], v[11:12], v[3:4]
	s_delay_alu instid0(VALU_DEP_1) | instskip(SKIP_1) | instid1(VALU_DEP_1)
	v_fma_f64 v[1:2], -v[1:2], v[9:10], v[11:12]
	s_wait_alu 0xfffd
	v_div_fmas_f64 v[1:2], v[1:2], v[3:4], v[9:10]
	s_delay_alu instid0(VALU_DEP_1) | instskip(NEXT) | instid1(VALU_DEP_1)
	v_div_fixup_f64 v[3:4], v[1:2], v[5:6], v[7:8]
	v_fma_f64 v[1:2], v[7:8], v[3:4], v[5:6]
	s_delay_alu instid0(VALU_DEP_1) | instskip(NEXT) | instid1(VALU_DEP_1)
	v_div_scale_f64 v[5:6], null, v[1:2], v[1:2], 1.0
	v_rcp_f64_e32 v[7:8], v[5:6]
	s_delay_alu instid0(TRANS32_DEP_1) | instskip(NEXT) | instid1(VALU_DEP_1)
	v_fma_f64 v[9:10], -v[5:6], v[7:8], 1.0
	v_fma_f64 v[7:8], v[7:8], v[9:10], v[7:8]
	s_delay_alu instid0(VALU_DEP_1) | instskip(NEXT) | instid1(VALU_DEP_1)
	v_fma_f64 v[9:10], -v[5:6], v[7:8], 1.0
	v_fma_f64 v[7:8], v[7:8], v[9:10], v[7:8]
	v_div_scale_f64 v[9:10], vcc_lo, 1.0, v[1:2], 1.0
	s_delay_alu instid0(VALU_DEP_1) | instskip(NEXT) | instid1(VALU_DEP_1)
	v_mul_f64_e32 v[11:12], v[9:10], v[7:8]
	v_fma_f64 v[5:6], -v[5:6], v[11:12], v[9:10]
	s_wait_alu 0xfffd
	s_delay_alu instid0(VALU_DEP_1) | instskip(NEXT) | instid1(VALU_DEP_1)
	v_div_fmas_f64 v[5:6], v[5:6], v[7:8], v[11:12]
	v_div_fixup_f64 v[1:2], v[5:6], v[1:2], 1.0
	s_delay_alu instid0(VALU_DEP_1)
	v_mul_f64_e64 v[3:4], v[3:4], -v[1:2]
	v_xor_b32_e32 v10, 0x80000000, v2
	v_mov_b32_e32 v9, v1
.LBB49_17:
	s_wait_alu 0xfffe
	s_or_b32 exec_lo, exec_lo, s1
	scratch_store_b128 v14, v[1:4], off
	scratch_load_b128 v[15:18], off, s49
	v_xor_b32_e32 v12, 0x80000000, v4
	v_mov_b32_e32 v11, v3
	v_add_nc_u32_e32 v5, 0x320, v13
	ds_store_b128 v13, v[9:12]
	s_wait_loadcnt 0x0
	ds_store_b128 v13, v[15:18] offset:800
	s_wait_storecnt_dscnt 0x0
	s_barrier_signal -1
	s_barrier_wait -1
	global_inv scope:SCOPE_SE
	s_and_saveexec_b32 s1, s0
	s_cbranch_execz .LBB49_19
; %bb.18:
	scratch_load_b128 v[1:4], v14, off
	ds_load_b128 v[6:9], v5
	v_mov_b32_e32 v10, 0
	ds_load_b128 v[15:18], v10 offset:16
	s_wait_loadcnt_dscnt 0x1
	v_mul_f64_e32 v[10:11], v[6:7], v[3:4]
	v_mul_f64_e32 v[3:4], v[8:9], v[3:4]
	s_delay_alu instid0(VALU_DEP_2) | instskip(NEXT) | instid1(VALU_DEP_2)
	v_fma_f64 v[8:9], v[8:9], v[1:2], v[10:11]
	v_fma_f64 v[1:2], v[6:7], v[1:2], -v[3:4]
	s_delay_alu instid0(VALU_DEP_2) | instskip(NEXT) | instid1(VALU_DEP_2)
	v_add_f64_e32 v[3:4], 0, v[8:9]
	v_add_f64_e32 v[1:2], 0, v[1:2]
	s_wait_dscnt 0x0
	s_delay_alu instid0(VALU_DEP_2) | instskip(NEXT) | instid1(VALU_DEP_2)
	v_mul_f64_e32 v[6:7], v[3:4], v[17:18]
	v_mul_f64_e32 v[8:9], v[1:2], v[17:18]
	s_delay_alu instid0(VALU_DEP_2) | instskip(NEXT) | instid1(VALU_DEP_2)
	v_fma_f64 v[1:2], v[1:2], v[15:16], -v[6:7]
	v_fma_f64 v[3:4], v[3:4], v[15:16], v[8:9]
	scratch_store_b128 off, v[1:4], off offset:32
.LBB49_19:
	s_wait_alu 0xfffe
	s_or_b32 exec_lo, exec_lo, s1
	s_wait_loadcnt 0x0
	s_wait_storecnt 0x0
	s_barrier_signal -1
	s_barrier_wait -1
	global_inv scope:SCOPE_SE
	scratch_load_b128 v[1:4], off, s48
	s_mov_b32 s1, exec_lo
	s_wait_loadcnt 0x0
	ds_store_b128 v5, v[1:4]
	s_wait_dscnt 0x0
	s_barrier_signal -1
	s_barrier_wait -1
	global_inv scope:SCOPE_SE
	v_cmpx_gt_u32_e32 2, v0
	s_cbranch_execz .LBB49_23
; %bb.20:
	scratch_load_b128 v[1:4], v14, off
	ds_load_b128 v[6:9], v5
	s_wait_loadcnt_dscnt 0x0
	v_mul_f64_e32 v[10:11], v[8:9], v[3:4]
	v_mul_f64_e32 v[3:4], v[6:7], v[3:4]
	s_delay_alu instid0(VALU_DEP_2) | instskip(NEXT) | instid1(VALU_DEP_2)
	v_fma_f64 v[6:7], v[6:7], v[1:2], -v[10:11]
	v_fma_f64 v[3:4], v[8:9], v[1:2], v[3:4]
	s_delay_alu instid0(VALU_DEP_2) | instskip(NEXT) | instid1(VALU_DEP_2)
	v_add_f64_e32 v[1:2], 0, v[6:7]
	v_add_f64_e32 v[3:4], 0, v[3:4]
	s_and_saveexec_b32 s59, s0
	s_cbranch_execz .LBB49_22
; %bb.21:
	scratch_load_b128 v[6:9], off, off offset:32
	v_mov_b32_e32 v10, 0
	ds_load_b128 v[15:18], v10 offset:816
	s_wait_loadcnt_dscnt 0x0
	v_mul_f64_e32 v[10:11], v[15:16], v[8:9]
	v_mul_f64_e32 v[8:9], v[17:18], v[8:9]
	s_delay_alu instid0(VALU_DEP_2) | instskip(NEXT) | instid1(VALU_DEP_2)
	v_fma_f64 v[10:11], v[17:18], v[6:7], v[10:11]
	v_fma_f64 v[6:7], v[15:16], v[6:7], -v[8:9]
	s_delay_alu instid0(VALU_DEP_2) | instskip(NEXT) | instid1(VALU_DEP_2)
	v_add_f64_e32 v[3:4], v[3:4], v[10:11]
	v_add_f64_e32 v[1:2], v[1:2], v[6:7]
.LBB49_22:
	s_or_b32 exec_lo, exec_lo, s59
	v_mov_b32_e32 v6, 0
	ds_load_b128 v[6:9], v6 offset:32
	s_wait_dscnt 0x0
	v_mul_f64_e32 v[10:11], v[3:4], v[8:9]
	v_mul_f64_e32 v[8:9], v[1:2], v[8:9]
	s_delay_alu instid0(VALU_DEP_2) | instskip(NEXT) | instid1(VALU_DEP_2)
	v_fma_f64 v[1:2], v[1:2], v[6:7], -v[10:11]
	v_fma_f64 v[3:4], v[3:4], v[6:7], v[8:9]
	scratch_store_b128 off, v[1:4], off offset:48
.LBB49_23:
	s_wait_alu 0xfffe
	s_or_b32 exec_lo, exec_lo, s1
	s_wait_loadcnt 0x0
	s_wait_storecnt 0x0
	s_barrier_signal -1
	s_barrier_wait -1
	global_inv scope:SCOPE_SE
	scratch_load_b128 v[1:4], off, s47
	v_add_nc_u32_e32 v6, -1, v0
	s_mov_b32 s0, exec_lo
	s_wait_loadcnt 0x0
	ds_store_b128 v5, v[1:4]
	s_wait_dscnt 0x0
	s_barrier_signal -1
	s_barrier_wait -1
	global_inv scope:SCOPE_SE
	v_cmpx_gt_u32_e32 3, v0
	s_cbranch_execz .LBB49_27
; %bb.24:
	v_dual_mov_b32 v1, 0 :: v_dual_add_nc_u32 v8, 0x320, v13
	v_mov_b32_e32 v3, 0
	v_dual_mov_b32 v2, 0 :: v_dual_add_nc_u32 v7, -1, v0
	v_mov_b32_e32 v4, 0
	v_or_b32_e32 v9, 8, v14
	s_mov_b32 s1, 0
.LBB49_25:                              ; =>This Inner Loop Header: Depth=1
	scratch_load_b128 v[15:18], v9, off offset:-8
	ds_load_b128 v[19:22], v8
	v_add_nc_u32_e32 v7, 1, v7
	v_add_nc_u32_e32 v8, 16, v8
	v_add_nc_u32_e32 v9, 16, v9
	s_delay_alu instid0(VALU_DEP_3)
	v_cmp_lt_u32_e32 vcc_lo, 1, v7
	s_wait_alu 0xfffe
	s_or_b32 s1, vcc_lo, s1
	s_wait_loadcnt_dscnt 0x0
	v_mul_f64_e32 v[10:11], v[21:22], v[17:18]
	v_mul_f64_e32 v[17:18], v[19:20], v[17:18]
	s_delay_alu instid0(VALU_DEP_2) | instskip(NEXT) | instid1(VALU_DEP_2)
	v_fma_f64 v[10:11], v[19:20], v[15:16], -v[10:11]
	v_fma_f64 v[15:16], v[21:22], v[15:16], v[17:18]
	s_delay_alu instid0(VALU_DEP_2) | instskip(NEXT) | instid1(VALU_DEP_2)
	v_add_f64_e32 v[3:4], v[3:4], v[10:11]
	v_add_f64_e32 v[1:2], v[1:2], v[15:16]
	s_wait_alu 0xfffe
	s_and_not1_b32 exec_lo, exec_lo, s1
	s_cbranch_execnz .LBB49_25
; %bb.26:
	s_or_b32 exec_lo, exec_lo, s1
	v_mov_b32_e32 v7, 0
	ds_load_b128 v[7:10], v7 offset:48
	s_wait_dscnt 0x0
	v_mul_f64_e32 v[11:12], v[1:2], v[9:10]
	v_mul_f64_e32 v[15:16], v[3:4], v[9:10]
	s_delay_alu instid0(VALU_DEP_2) | instskip(NEXT) | instid1(VALU_DEP_2)
	v_fma_f64 v[9:10], v[3:4], v[7:8], -v[11:12]
	v_fma_f64 v[11:12], v[1:2], v[7:8], v[15:16]
	scratch_store_b128 off, v[9:12], off offset:64
.LBB49_27:
	s_wait_alu 0xfffe
	s_or_b32 exec_lo, exec_lo, s0
	s_wait_loadcnt 0x0
	s_wait_storecnt 0x0
	s_barrier_signal -1
	s_barrier_wait -1
	global_inv scope:SCOPE_SE
	scratch_load_b128 v[1:4], off, s46
	s_mov_b32 s0, exec_lo
	s_wait_loadcnt 0x0
	ds_store_b128 v5, v[1:4]
	s_wait_dscnt 0x0
	s_barrier_signal -1
	s_barrier_wait -1
	global_inv scope:SCOPE_SE
	v_cmpx_gt_u32_e32 4, v0
	s_cbranch_execz .LBB49_31
; %bb.28:
	v_dual_mov_b32 v1, 0 :: v_dual_add_nc_u32 v8, 0x320, v13
	v_mov_b32_e32 v3, 0
	v_dual_mov_b32 v2, 0 :: v_dual_add_nc_u32 v7, -1, v0
	v_mov_b32_e32 v4, 0
	v_or_b32_e32 v9, 8, v14
	s_mov_b32 s1, 0
.LBB49_29:                              ; =>This Inner Loop Header: Depth=1
	scratch_load_b128 v[15:18], v9, off offset:-8
	ds_load_b128 v[19:22], v8
	v_add_nc_u32_e32 v7, 1, v7
	v_add_nc_u32_e32 v8, 16, v8
	v_add_nc_u32_e32 v9, 16, v9
	s_delay_alu instid0(VALU_DEP_3)
	v_cmp_lt_u32_e32 vcc_lo, 2, v7
	s_wait_alu 0xfffe
	s_or_b32 s1, vcc_lo, s1
	s_wait_loadcnt_dscnt 0x0
	v_mul_f64_e32 v[10:11], v[21:22], v[17:18]
	v_mul_f64_e32 v[17:18], v[19:20], v[17:18]
	s_delay_alu instid0(VALU_DEP_2) | instskip(NEXT) | instid1(VALU_DEP_2)
	v_fma_f64 v[10:11], v[19:20], v[15:16], -v[10:11]
	v_fma_f64 v[15:16], v[21:22], v[15:16], v[17:18]
	s_delay_alu instid0(VALU_DEP_2) | instskip(NEXT) | instid1(VALU_DEP_2)
	v_add_f64_e32 v[3:4], v[3:4], v[10:11]
	v_add_f64_e32 v[1:2], v[1:2], v[15:16]
	s_wait_alu 0xfffe
	s_and_not1_b32 exec_lo, exec_lo, s1
	s_cbranch_execnz .LBB49_29
; %bb.30:
	s_or_b32 exec_lo, exec_lo, s1
	v_mov_b32_e32 v7, 0
	ds_load_b128 v[7:10], v7 offset:64
	s_wait_dscnt 0x0
	v_mul_f64_e32 v[11:12], v[1:2], v[9:10]
	v_mul_f64_e32 v[15:16], v[3:4], v[9:10]
	s_delay_alu instid0(VALU_DEP_2) | instskip(NEXT) | instid1(VALU_DEP_2)
	v_fma_f64 v[9:10], v[3:4], v[7:8], -v[11:12]
	v_fma_f64 v[11:12], v[1:2], v[7:8], v[15:16]
	scratch_store_b128 off, v[9:12], off offset:80
.LBB49_31:
	s_wait_alu 0xfffe
	s_or_b32 exec_lo, exec_lo, s0
	s_wait_loadcnt 0x0
	s_wait_storecnt 0x0
	s_barrier_signal -1
	s_barrier_wait -1
	global_inv scope:SCOPE_SE
	scratch_load_b128 v[1:4], off, s58
	;; [unrolled: 58-line block ×19, first 2 shown]
	s_mov_b32 s0, exec_lo
	s_wait_loadcnt 0x0
	ds_store_b128 v5, v[1:4]
	s_wait_dscnt 0x0
	s_barrier_signal -1
	s_barrier_wait -1
	global_inv scope:SCOPE_SE
	v_cmpx_gt_u32_e32 22, v0
	s_cbranch_execz .LBB49_103
; %bb.100:
	v_dual_mov_b32 v1, 0 :: v_dual_add_nc_u32 v8, 0x320, v13
	v_mov_b32_e32 v3, 0
	v_dual_mov_b32 v2, 0 :: v_dual_add_nc_u32 v7, -1, v0
	v_mov_b32_e32 v4, 0
	v_or_b32_e32 v9, 8, v14
	s_mov_b32 s1, 0
.LBB49_101:                             ; =>This Inner Loop Header: Depth=1
	scratch_load_b128 v[15:18], v9, off offset:-8
	ds_load_b128 v[19:22], v8
	v_add_nc_u32_e32 v7, 1, v7
	v_add_nc_u32_e32 v8, 16, v8
	v_add_nc_u32_e32 v9, 16, v9
	s_delay_alu instid0(VALU_DEP_3)
	v_cmp_lt_u32_e32 vcc_lo, 20, v7
	s_wait_alu 0xfffe
	s_or_b32 s1, vcc_lo, s1
	s_wait_loadcnt_dscnt 0x0
	v_mul_f64_e32 v[10:11], v[21:22], v[17:18]
	v_mul_f64_e32 v[17:18], v[19:20], v[17:18]
	s_delay_alu instid0(VALU_DEP_2) | instskip(NEXT) | instid1(VALU_DEP_2)
	v_fma_f64 v[10:11], v[19:20], v[15:16], -v[10:11]
	v_fma_f64 v[15:16], v[21:22], v[15:16], v[17:18]
	s_delay_alu instid0(VALU_DEP_2) | instskip(NEXT) | instid1(VALU_DEP_2)
	v_add_f64_e32 v[3:4], v[3:4], v[10:11]
	v_add_f64_e32 v[1:2], v[1:2], v[15:16]
	s_wait_alu 0xfffe
	s_and_not1_b32 exec_lo, exec_lo, s1
	s_cbranch_execnz .LBB49_101
; %bb.102:
	s_or_b32 exec_lo, exec_lo, s1
	v_mov_b32_e32 v7, 0
	ds_load_b128 v[7:10], v7 offset:352
	s_wait_dscnt 0x0
	v_mul_f64_e32 v[11:12], v[1:2], v[9:10]
	v_mul_f64_e32 v[15:16], v[3:4], v[9:10]
	s_delay_alu instid0(VALU_DEP_2) | instskip(NEXT) | instid1(VALU_DEP_2)
	v_fma_f64 v[9:10], v[3:4], v[7:8], -v[11:12]
	v_fma_f64 v[11:12], v[1:2], v[7:8], v[15:16]
	scratch_store_b128 off, v[9:12], off offset:368
.LBB49_103:
	s_wait_alu 0xfffe
	s_or_b32 exec_lo, exec_lo, s0
	s_wait_loadcnt 0x0
	s_wait_storecnt 0x0
	s_barrier_signal -1
	s_barrier_wait -1
	global_inv scope:SCOPE_SE
	scratch_load_b128 v[1:4], off, s31
	s_mov_b32 s0, exec_lo
	s_wait_loadcnt 0x0
	ds_store_b128 v5, v[1:4]
	s_wait_dscnt 0x0
	s_barrier_signal -1
	s_barrier_wait -1
	global_inv scope:SCOPE_SE
	v_cmpx_gt_u32_e32 23, v0
	s_cbranch_execz .LBB49_107
; %bb.104:
	v_dual_mov_b32 v1, 0 :: v_dual_add_nc_u32 v8, 0x320, v13
	v_mov_b32_e32 v3, 0
	v_dual_mov_b32 v2, 0 :: v_dual_add_nc_u32 v7, -1, v0
	v_mov_b32_e32 v4, 0
	v_or_b32_e32 v9, 8, v14
	s_mov_b32 s1, 0
.LBB49_105:                             ; =>This Inner Loop Header: Depth=1
	scratch_load_b128 v[15:18], v9, off offset:-8
	ds_load_b128 v[19:22], v8
	v_add_nc_u32_e32 v7, 1, v7
	v_add_nc_u32_e32 v8, 16, v8
	v_add_nc_u32_e32 v9, 16, v9
	s_delay_alu instid0(VALU_DEP_3)
	v_cmp_lt_u32_e32 vcc_lo, 21, v7
	s_wait_alu 0xfffe
	s_or_b32 s1, vcc_lo, s1
	s_wait_loadcnt_dscnt 0x0
	v_mul_f64_e32 v[10:11], v[21:22], v[17:18]
	v_mul_f64_e32 v[17:18], v[19:20], v[17:18]
	s_delay_alu instid0(VALU_DEP_2) | instskip(NEXT) | instid1(VALU_DEP_2)
	v_fma_f64 v[10:11], v[19:20], v[15:16], -v[10:11]
	v_fma_f64 v[15:16], v[21:22], v[15:16], v[17:18]
	s_delay_alu instid0(VALU_DEP_2) | instskip(NEXT) | instid1(VALU_DEP_2)
	v_add_f64_e32 v[3:4], v[3:4], v[10:11]
	v_add_f64_e32 v[1:2], v[1:2], v[15:16]
	s_wait_alu 0xfffe
	s_and_not1_b32 exec_lo, exec_lo, s1
	s_cbranch_execnz .LBB49_105
; %bb.106:
	s_or_b32 exec_lo, exec_lo, s1
	v_mov_b32_e32 v7, 0
	ds_load_b128 v[7:10], v7 offset:368
	s_wait_dscnt 0x0
	v_mul_f64_e32 v[11:12], v[1:2], v[9:10]
	v_mul_f64_e32 v[15:16], v[3:4], v[9:10]
	s_delay_alu instid0(VALU_DEP_2) | instskip(NEXT) | instid1(VALU_DEP_2)
	v_fma_f64 v[9:10], v[3:4], v[7:8], -v[11:12]
	v_fma_f64 v[11:12], v[1:2], v[7:8], v[15:16]
	scratch_store_b128 off, v[9:12], off offset:384
.LBB49_107:
	s_wait_alu 0xfffe
	s_or_b32 exec_lo, exec_lo, s0
	s_wait_loadcnt 0x0
	s_wait_storecnt 0x0
	s_barrier_signal -1
	s_barrier_wait -1
	global_inv scope:SCOPE_SE
	scratch_load_b128 v[1:4], off, s33
	;; [unrolled: 58-line block ×27, first 2 shown]
	s_mov_b32 s0, exec_lo
	s_wait_loadcnt 0x0
	ds_store_b128 v5, v[1:4]
	s_wait_dscnt 0x0
	s_barrier_signal -1
	s_barrier_wait -1
	global_inv scope:SCOPE_SE
	v_cmpx_ne_u32_e32 49, v0
	s_cbranch_execz .LBB49_211
; %bb.208:
	v_mov_b32_e32 v1, 0
	v_dual_mov_b32 v2, 0 :: v_dual_mov_b32 v3, 0
	v_mov_b32_e32 v4, 0
	v_or_b32_e32 v7, 8, v14
	s_mov_b32 s1, 0
.LBB49_209:                             ; =>This Inner Loop Header: Depth=1
	scratch_load_b128 v[8:11], v7, off offset:-8
	ds_load_b128 v[12:15], v5
	v_add_nc_u32_e32 v6, 1, v6
	v_add_nc_u32_e32 v5, 16, v5
	;; [unrolled: 1-line block ×3, first 2 shown]
	s_delay_alu instid0(VALU_DEP_3)
	v_cmp_lt_u32_e32 vcc_lo, 47, v6
	s_wait_alu 0xfffe
	s_or_b32 s1, vcc_lo, s1
	s_wait_loadcnt_dscnt 0x0
	v_mul_f64_e32 v[16:17], v[14:15], v[10:11]
	v_mul_f64_e32 v[10:11], v[12:13], v[10:11]
	s_delay_alu instid0(VALU_DEP_2) | instskip(NEXT) | instid1(VALU_DEP_2)
	v_fma_f64 v[12:13], v[12:13], v[8:9], -v[16:17]
	v_fma_f64 v[8:9], v[14:15], v[8:9], v[10:11]
	s_delay_alu instid0(VALU_DEP_2) | instskip(NEXT) | instid1(VALU_DEP_2)
	v_add_f64_e32 v[3:4], v[3:4], v[12:13]
	v_add_f64_e32 v[1:2], v[1:2], v[8:9]
	s_wait_alu 0xfffe
	s_and_not1_b32 exec_lo, exec_lo, s1
	s_cbranch_execnz .LBB49_209
; %bb.210:
	s_or_b32 exec_lo, exec_lo, s1
	v_mov_b32_e32 v5, 0
	ds_load_b128 v[5:8], v5 offset:784
	s_wait_dscnt 0x0
	v_mul_f64_e32 v[9:10], v[1:2], v[7:8]
	v_mul_f64_e32 v[7:8], v[3:4], v[7:8]
	s_delay_alu instid0(VALU_DEP_2) | instskip(NEXT) | instid1(VALU_DEP_2)
	v_fma_f64 v[3:4], v[3:4], v[5:6], -v[9:10]
	v_fma_f64 v[5:6], v[1:2], v[5:6], v[7:8]
	scratch_store_b128 off, v[3:6], off offset:800
.LBB49_211:
	s_wait_alu 0xfffe
	s_or_b32 exec_lo, exec_lo, s0
	s_mov_b32 s1, -1
	s_wait_loadcnt 0x0
	s_wait_storecnt 0x0
	s_barrier_signal -1
	s_barrier_wait -1
	global_inv scope:SCOPE_SE
.LBB49_212:
	s_wait_alu 0xfffe
	s_and_b32 vcc_lo, exec_lo, s1
	s_wait_alu 0xfffe
	s_cbranch_vccz .LBB49_214
; %bb.213:
	v_mov_b32_e32 v1, 0
	s_lshl_b64 s[0:1], s[16:17], 2
	s_wait_alu 0xfffe
	s_add_nc_u64 s[0:1], s[6:7], s[0:1]
	global_load_b32 v1, v1, s[0:1]
	s_wait_loadcnt 0x0
	v_cmp_ne_u32_e32 vcc_lo, 0, v1
	s_cbranch_vccz .LBB49_215
.LBB49_214:
	s_nop 0
	s_sendmsg sendmsg(MSG_DEALLOC_VGPRS)
	s_endpgm
.LBB49_215:
	v_lshl_add_u32 v142, v0, 4, 0x320
	s_mov_b32 s0, exec_lo
	v_cmpx_eq_u32_e32 49, v0
	s_cbranch_execz .LBB49_217
; %bb.216:
	scratch_load_b128 v[1:4], off, s26
	v_mov_b32_e32 v5, 0
	s_delay_alu instid0(VALU_DEP_1)
	v_dual_mov_b32 v6, v5 :: v_dual_mov_b32 v7, v5
	v_mov_b32_e32 v8, v5
	scratch_store_b128 off, v[5:8], off offset:784
	s_wait_loadcnt 0x0
	ds_store_b128 v142, v[1:4]
.LBB49_217:
	s_wait_alu 0xfffe
	s_or_b32 exec_lo, exec_lo, s0
	s_wait_storecnt_dscnt 0x0
	s_barrier_signal -1
	s_barrier_wait -1
	global_inv scope:SCOPE_SE
	s_clause 0x1
	scratch_load_b128 v[2:5], off, off offset:800
	scratch_load_b128 v[6:9], off, off offset:784
	v_mov_b32_e32 v1, 0
	s_mov_b32 s0, exec_lo
	ds_load_b128 v[10:13], v1 offset:1584
	s_wait_loadcnt_dscnt 0x100
	v_mul_f64_e32 v[14:15], v[12:13], v[4:5]
	v_mul_f64_e32 v[4:5], v[10:11], v[4:5]
	s_delay_alu instid0(VALU_DEP_2) | instskip(NEXT) | instid1(VALU_DEP_2)
	v_fma_f64 v[10:11], v[10:11], v[2:3], -v[14:15]
	v_fma_f64 v[2:3], v[12:13], v[2:3], v[4:5]
	s_delay_alu instid0(VALU_DEP_2) | instskip(NEXT) | instid1(VALU_DEP_2)
	v_add_f64_e32 v[4:5], 0, v[10:11]
	v_add_f64_e32 v[10:11], 0, v[2:3]
	s_wait_loadcnt 0x0
	s_delay_alu instid0(VALU_DEP_2) | instskip(NEXT) | instid1(VALU_DEP_2)
	v_add_f64_e64 v[2:3], v[6:7], -v[4:5]
	v_add_f64_e64 v[4:5], v[8:9], -v[10:11]
	scratch_store_b128 off, v[2:5], off offset:784
	v_cmpx_lt_u32_e32 47, v0
	s_cbranch_execz .LBB49_219
; %bb.218:
	scratch_load_b128 v[5:8], off, s25
	v_dual_mov_b32 v2, v1 :: v_dual_mov_b32 v3, v1
	v_mov_b32_e32 v4, v1
	scratch_store_b128 off, v[1:4], off offset:768
	s_wait_loadcnt 0x0
	ds_store_b128 v142, v[5:8]
.LBB49_219:
	s_wait_alu 0xfffe
	s_or_b32 exec_lo, exec_lo, s0
	s_wait_storecnt_dscnt 0x0
	s_barrier_signal -1
	s_barrier_wait -1
	global_inv scope:SCOPE_SE
	s_clause 0x2
	scratch_load_b128 v[2:5], off, off offset:784
	scratch_load_b128 v[6:9], off, off offset:800
	;; [unrolled: 1-line block ×3, first 2 shown]
	ds_load_b128 v[14:17], v1 offset:1568
	ds_load_b128 v[18:21], v1 offset:1584
	s_mov_b32 s0, exec_lo
	s_wait_loadcnt_dscnt 0x201
	v_mul_f64_e32 v[22:23], v[16:17], v[4:5]
	v_mul_f64_e32 v[4:5], v[14:15], v[4:5]
	s_wait_loadcnt_dscnt 0x100
	v_mul_f64_e32 v[24:25], v[18:19], v[8:9]
	v_mul_f64_e32 v[8:9], v[20:21], v[8:9]
	s_delay_alu instid0(VALU_DEP_4) | instskip(NEXT) | instid1(VALU_DEP_4)
	v_fma_f64 v[14:15], v[14:15], v[2:3], -v[22:23]
	v_fma_f64 v[1:2], v[16:17], v[2:3], v[4:5]
	s_delay_alu instid0(VALU_DEP_4) | instskip(NEXT) | instid1(VALU_DEP_4)
	v_fma_f64 v[3:4], v[20:21], v[6:7], v[24:25]
	v_fma_f64 v[5:6], v[18:19], v[6:7], -v[8:9]
	s_delay_alu instid0(VALU_DEP_4) | instskip(NEXT) | instid1(VALU_DEP_4)
	v_add_f64_e32 v[7:8], 0, v[14:15]
	v_add_f64_e32 v[1:2], 0, v[1:2]
	s_delay_alu instid0(VALU_DEP_2) | instskip(NEXT) | instid1(VALU_DEP_2)
	v_add_f64_e32 v[5:6], v[7:8], v[5:6]
	v_add_f64_e32 v[3:4], v[1:2], v[3:4]
	s_wait_loadcnt 0x0
	s_delay_alu instid0(VALU_DEP_2) | instskip(NEXT) | instid1(VALU_DEP_2)
	v_add_f64_e64 v[1:2], v[10:11], -v[5:6]
	v_add_f64_e64 v[3:4], v[12:13], -v[3:4]
	scratch_store_b128 off, v[1:4], off offset:768
	v_cmpx_lt_u32_e32 46, v0
	s_cbranch_execz .LBB49_221
; %bb.220:
	scratch_load_b128 v[1:4], off, s28
	v_mov_b32_e32 v5, 0
	s_delay_alu instid0(VALU_DEP_1)
	v_dual_mov_b32 v6, v5 :: v_dual_mov_b32 v7, v5
	v_mov_b32_e32 v8, v5
	scratch_store_b128 off, v[5:8], off offset:752
	s_wait_loadcnt 0x0
	ds_store_b128 v142, v[1:4]
.LBB49_221:
	s_wait_alu 0xfffe
	s_or_b32 exec_lo, exec_lo, s0
	s_wait_storecnt_dscnt 0x0
	s_barrier_signal -1
	s_barrier_wait -1
	global_inv scope:SCOPE_SE
	s_clause 0x3
	scratch_load_b128 v[2:5], off, off offset:768
	scratch_load_b128 v[6:9], off, off offset:784
	;; [unrolled: 1-line block ×4, first 2 shown]
	v_mov_b32_e32 v1, 0
	ds_load_b128 v[18:21], v1 offset:1552
	ds_load_b128 v[22:25], v1 offset:1568
	s_mov_b32 s0, exec_lo
	s_wait_loadcnt_dscnt 0x301
	v_mul_f64_e32 v[26:27], v[20:21], v[4:5]
	v_mul_f64_e32 v[4:5], v[18:19], v[4:5]
	s_wait_loadcnt_dscnt 0x200
	v_mul_f64_e32 v[28:29], v[22:23], v[8:9]
	v_mul_f64_e32 v[8:9], v[24:25], v[8:9]
	s_delay_alu instid0(VALU_DEP_4) | instskip(NEXT) | instid1(VALU_DEP_4)
	v_fma_f64 v[18:19], v[18:19], v[2:3], -v[26:27]
	v_fma_f64 v[20:21], v[20:21], v[2:3], v[4:5]
	ds_load_b128 v[2:5], v1 offset:1584
	v_fma_f64 v[24:25], v[24:25], v[6:7], v[28:29]
	v_fma_f64 v[6:7], v[22:23], v[6:7], -v[8:9]
	s_wait_loadcnt_dscnt 0x100
	v_mul_f64_e32 v[26:27], v[2:3], v[12:13]
	v_mul_f64_e32 v[12:13], v[4:5], v[12:13]
	v_add_f64_e32 v[8:9], 0, v[18:19]
	v_add_f64_e32 v[18:19], 0, v[20:21]
	s_delay_alu instid0(VALU_DEP_4) | instskip(NEXT) | instid1(VALU_DEP_4)
	v_fma_f64 v[4:5], v[4:5], v[10:11], v[26:27]
	v_fma_f64 v[2:3], v[2:3], v[10:11], -v[12:13]
	s_delay_alu instid0(VALU_DEP_4) | instskip(NEXT) | instid1(VALU_DEP_4)
	v_add_f64_e32 v[6:7], v[8:9], v[6:7]
	v_add_f64_e32 v[8:9], v[18:19], v[24:25]
	s_delay_alu instid0(VALU_DEP_2) | instskip(NEXT) | instid1(VALU_DEP_2)
	v_add_f64_e32 v[2:3], v[6:7], v[2:3]
	v_add_f64_e32 v[4:5], v[8:9], v[4:5]
	s_wait_loadcnt 0x0
	s_delay_alu instid0(VALU_DEP_2) | instskip(NEXT) | instid1(VALU_DEP_2)
	v_add_f64_e64 v[2:3], v[14:15], -v[2:3]
	v_add_f64_e64 v[4:5], v[16:17], -v[4:5]
	scratch_store_b128 off, v[2:5], off offset:752
	v_cmpx_lt_u32_e32 45, v0
	s_cbranch_execz .LBB49_223
; %bb.222:
	scratch_load_b128 v[5:8], off, s27
	v_dual_mov_b32 v2, v1 :: v_dual_mov_b32 v3, v1
	v_mov_b32_e32 v4, v1
	scratch_store_b128 off, v[1:4], off offset:736
	s_wait_loadcnt 0x0
	ds_store_b128 v142, v[5:8]
.LBB49_223:
	s_wait_alu 0xfffe
	s_or_b32 exec_lo, exec_lo, s0
	s_wait_storecnt_dscnt 0x0
	s_barrier_signal -1
	s_barrier_wait -1
	global_inv scope:SCOPE_SE
	s_clause 0x4
	scratch_load_b128 v[2:5], off, off offset:752
	scratch_load_b128 v[6:9], off, off offset:768
	scratch_load_b128 v[10:13], off, off offset:784
	scratch_load_b128 v[14:17], off, off offset:800
	scratch_load_b128 v[18:21], off, off offset:736
	ds_load_b128 v[22:25], v1 offset:1536
	ds_load_b128 v[26:29], v1 offset:1552
	s_mov_b32 s0, exec_lo
	s_wait_loadcnt_dscnt 0x401
	v_mul_f64_e32 v[30:31], v[24:25], v[4:5]
	v_mul_f64_e32 v[4:5], v[22:23], v[4:5]
	s_wait_loadcnt_dscnt 0x300
	v_mul_f64_e32 v[32:33], v[26:27], v[8:9]
	v_mul_f64_e32 v[8:9], v[28:29], v[8:9]
	s_delay_alu instid0(VALU_DEP_4) | instskip(NEXT) | instid1(VALU_DEP_4)
	v_fma_f64 v[30:31], v[22:23], v[2:3], -v[30:31]
	v_fma_f64 v[34:35], v[24:25], v[2:3], v[4:5]
	ds_load_b128 v[2:5], v1 offset:1568
	ds_load_b128 v[22:25], v1 offset:1584
	v_fma_f64 v[28:29], v[28:29], v[6:7], v[32:33]
	v_fma_f64 v[6:7], v[26:27], v[6:7], -v[8:9]
	s_wait_loadcnt_dscnt 0x201
	v_mul_f64_e32 v[36:37], v[2:3], v[12:13]
	v_mul_f64_e32 v[12:13], v[4:5], v[12:13]
	v_add_f64_e32 v[8:9], 0, v[30:31]
	v_add_f64_e32 v[26:27], 0, v[34:35]
	s_wait_loadcnt_dscnt 0x100
	v_mul_f64_e32 v[30:31], v[22:23], v[16:17]
	v_mul_f64_e32 v[16:17], v[24:25], v[16:17]
	v_fma_f64 v[4:5], v[4:5], v[10:11], v[36:37]
	v_fma_f64 v[1:2], v[2:3], v[10:11], -v[12:13]
	v_add_f64_e32 v[6:7], v[8:9], v[6:7]
	v_add_f64_e32 v[8:9], v[26:27], v[28:29]
	v_fma_f64 v[10:11], v[24:25], v[14:15], v[30:31]
	v_fma_f64 v[12:13], v[22:23], v[14:15], -v[16:17]
	s_delay_alu instid0(VALU_DEP_4) | instskip(NEXT) | instid1(VALU_DEP_4)
	v_add_f64_e32 v[1:2], v[6:7], v[1:2]
	v_add_f64_e32 v[3:4], v[8:9], v[4:5]
	s_delay_alu instid0(VALU_DEP_2) | instskip(NEXT) | instid1(VALU_DEP_2)
	v_add_f64_e32 v[1:2], v[1:2], v[12:13]
	v_add_f64_e32 v[3:4], v[3:4], v[10:11]
	s_wait_loadcnt 0x0
	s_delay_alu instid0(VALU_DEP_2) | instskip(NEXT) | instid1(VALU_DEP_2)
	v_add_f64_e64 v[1:2], v[18:19], -v[1:2]
	v_add_f64_e64 v[3:4], v[20:21], -v[3:4]
	scratch_store_b128 off, v[1:4], off offset:736
	v_cmpx_lt_u32_e32 44, v0
	s_cbranch_execz .LBB49_225
; %bb.224:
	scratch_load_b128 v[1:4], off, s35
	v_mov_b32_e32 v5, 0
	s_delay_alu instid0(VALU_DEP_1)
	v_dual_mov_b32 v6, v5 :: v_dual_mov_b32 v7, v5
	v_mov_b32_e32 v8, v5
	scratch_store_b128 off, v[5:8], off offset:720
	s_wait_loadcnt 0x0
	ds_store_b128 v142, v[1:4]
.LBB49_225:
	s_wait_alu 0xfffe
	s_or_b32 exec_lo, exec_lo, s0
	s_wait_storecnt_dscnt 0x0
	s_barrier_signal -1
	s_barrier_wait -1
	global_inv scope:SCOPE_SE
	s_clause 0x5
	scratch_load_b128 v[2:5], off, off offset:736
	scratch_load_b128 v[6:9], off, off offset:752
	;; [unrolled: 1-line block ×6, first 2 shown]
	v_mov_b32_e32 v1, 0
	ds_load_b128 v[26:29], v1 offset:1520
	ds_load_b128 v[30:33], v1 offset:1536
	s_mov_b32 s0, exec_lo
	s_wait_loadcnt_dscnt 0x501
	v_mul_f64_e32 v[34:35], v[28:29], v[4:5]
	v_mul_f64_e32 v[4:5], v[26:27], v[4:5]
	s_wait_loadcnt_dscnt 0x400
	v_mul_f64_e32 v[36:37], v[30:31], v[8:9]
	v_mul_f64_e32 v[8:9], v[32:33], v[8:9]
	s_delay_alu instid0(VALU_DEP_4) | instskip(NEXT) | instid1(VALU_DEP_4)
	v_fma_f64 v[34:35], v[26:27], v[2:3], -v[34:35]
	v_fma_f64 v[38:39], v[28:29], v[2:3], v[4:5]
	ds_load_b128 v[2:5], v1 offset:1552
	ds_load_b128 v[26:29], v1 offset:1568
	v_fma_f64 v[32:33], v[32:33], v[6:7], v[36:37]
	v_fma_f64 v[6:7], v[30:31], v[6:7], -v[8:9]
	s_wait_loadcnt_dscnt 0x301
	v_mul_f64_e32 v[40:41], v[2:3], v[12:13]
	v_mul_f64_e32 v[12:13], v[4:5], v[12:13]
	v_add_f64_e32 v[8:9], 0, v[34:35]
	v_add_f64_e32 v[30:31], 0, v[38:39]
	s_wait_loadcnt_dscnt 0x200
	v_mul_f64_e32 v[34:35], v[26:27], v[16:17]
	v_mul_f64_e32 v[16:17], v[28:29], v[16:17]
	v_fma_f64 v[36:37], v[4:5], v[10:11], v[40:41]
	v_fma_f64 v[10:11], v[2:3], v[10:11], -v[12:13]
	ds_load_b128 v[2:5], v1 offset:1584
	v_add_f64_e32 v[6:7], v[8:9], v[6:7]
	v_add_f64_e32 v[8:9], v[30:31], v[32:33]
	v_fma_f64 v[28:29], v[28:29], v[14:15], v[34:35]
	v_fma_f64 v[14:15], v[26:27], v[14:15], -v[16:17]
	s_wait_loadcnt_dscnt 0x100
	v_mul_f64_e32 v[12:13], v[2:3], v[20:21]
	v_mul_f64_e32 v[20:21], v[4:5], v[20:21]
	v_add_f64_e32 v[6:7], v[6:7], v[10:11]
	v_add_f64_e32 v[8:9], v[8:9], v[36:37]
	s_delay_alu instid0(VALU_DEP_4) | instskip(NEXT) | instid1(VALU_DEP_4)
	v_fma_f64 v[4:5], v[4:5], v[18:19], v[12:13]
	v_fma_f64 v[2:3], v[2:3], v[18:19], -v[20:21]
	s_delay_alu instid0(VALU_DEP_4) | instskip(NEXT) | instid1(VALU_DEP_4)
	v_add_f64_e32 v[6:7], v[6:7], v[14:15]
	v_add_f64_e32 v[8:9], v[8:9], v[28:29]
	s_delay_alu instid0(VALU_DEP_2) | instskip(NEXT) | instid1(VALU_DEP_2)
	v_add_f64_e32 v[2:3], v[6:7], v[2:3]
	v_add_f64_e32 v[4:5], v[8:9], v[4:5]
	s_wait_loadcnt 0x0
	s_delay_alu instid0(VALU_DEP_2) | instskip(NEXT) | instid1(VALU_DEP_2)
	v_add_f64_e64 v[2:3], v[22:23], -v[2:3]
	v_add_f64_e64 v[4:5], v[24:25], -v[4:5]
	scratch_store_b128 off, v[2:5], off offset:720
	v_cmpx_lt_u32_e32 43, v0
	s_cbranch_execz .LBB49_227
; %bb.226:
	scratch_load_b128 v[5:8], off, s34
	v_dual_mov_b32 v2, v1 :: v_dual_mov_b32 v3, v1
	v_mov_b32_e32 v4, v1
	scratch_store_b128 off, v[1:4], off offset:704
	s_wait_loadcnt 0x0
	ds_store_b128 v142, v[5:8]
.LBB49_227:
	s_wait_alu 0xfffe
	s_or_b32 exec_lo, exec_lo, s0
	s_wait_storecnt_dscnt 0x0
	s_barrier_signal -1
	s_barrier_wait -1
	global_inv scope:SCOPE_SE
	s_clause 0x5
	scratch_load_b128 v[2:5], off, off offset:720
	scratch_load_b128 v[6:9], off, off offset:736
	;; [unrolled: 1-line block ×6, first 2 shown]
	ds_load_b128 v[26:29], v1 offset:1504
	ds_load_b128 v[34:37], v1 offset:1520
	scratch_load_b128 v[30:33], off, off offset:704
	s_mov_b32 s0, exec_lo
	s_wait_loadcnt_dscnt 0x601
	v_mul_f64_e32 v[38:39], v[28:29], v[4:5]
	v_mul_f64_e32 v[4:5], v[26:27], v[4:5]
	s_wait_loadcnt_dscnt 0x500
	v_mul_f64_e32 v[40:41], v[34:35], v[8:9]
	v_mul_f64_e32 v[8:9], v[36:37], v[8:9]
	s_delay_alu instid0(VALU_DEP_4) | instskip(NEXT) | instid1(VALU_DEP_4)
	v_fma_f64 v[38:39], v[26:27], v[2:3], -v[38:39]
	v_fma_f64 v[143:144], v[28:29], v[2:3], v[4:5]
	ds_load_b128 v[2:5], v1 offset:1536
	ds_load_b128 v[26:29], v1 offset:1552
	v_fma_f64 v[36:37], v[36:37], v[6:7], v[40:41]
	v_fma_f64 v[6:7], v[34:35], v[6:7], -v[8:9]
	s_wait_loadcnt_dscnt 0x401
	v_mul_f64_e32 v[145:146], v[2:3], v[12:13]
	v_mul_f64_e32 v[12:13], v[4:5], v[12:13]
	v_add_f64_e32 v[8:9], 0, v[38:39]
	v_add_f64_e32 v[34:35], 0, v[143:144]
	s_wait_loadcnt_dscnt 0x300
	v_mul_f64_e32 v[38:39], v[26:27], v[16:17]
	v_mul_f64_e32 v[16:17], v[28:29], v[16:17]
	v_fma_f64 v[40:41], v[4:5], v[10:11], v[145:146]
	v_fma_f64 v[10:11], v[2:3], v[10:11], -v[12:13]
	v_add_f64_e32 v[12:13], v[8:9], v[6:7]
	v_add_f64_e32 v[34:35], v[34:35], v[36:37]
	ds_load_b128 v[2:5], v1 offset:1568
	ds_load_b128 v[6:9], v1 offset:1584
	v_fma_f64 v[28:29], v[28:29], v[14:15], v[38:39]
	v_fma_f64 v[14:15], v[26:27], v[14:15], -v[16:17]
	s_wait_loadcnt_dscnt 0x201
	v_mul_f64_e32 v[36:37], v[2:3], v[20:21]
	v_mul_f64_e32 v[20:21], v[4:5], v[20:21]
	s_wait_loadcnt_dscnt 0x100
	v_mul_f64_e32 v[16:17], v[6:7], v[24:25]
	v_mul_f64_e32 v[24:25], v[8:9], v[24:25]
	v_add_f64_e32 v[10:11], v[12:13], v[10:11]
	v_add_f64_e32 v[12:13], v[34:35], v[40:41]
	v_fma_f64 v[4:5], v[4:5], v[18:19], v[36:37]
	v_fma_f64 v[1:2], v[2:3], v[18:19], -v[20:21]
	v_fma_f64 v[8:9], v[8:9], v[22:23], v[16:17]
	v_fma_f64 v[6:7], v[6:7], v[22:23], -v[24:25]
	v_add_f64_e32 v[10:11], v[10:11], v[14:15]
	v_add_f64_e32 v[12:13], v[12:13], v[28:29]
	s_delay_alu instid0(VALU_DEP_2) | instskip(NEXT) | instid1(VALU_DEP_2)
	v_add_f64_e32 v[1:2], v[10:11], v[1:2]
	v_add_f64_e32 v[3:4], v[12:13], v[4:5]
	s_delay_alu instid0(VALU_DEP_2) | instskip(NEXT) | instid1(VALU_DEP_2)
	v_add_f64_e32 v[1:2], v[1:2], v[6:7]
	v_add_f64_e32 v[3:4], v[3:4], v[8:9]
	s_wait_loadcnt 0x0
	s_delay_alu instid0(VALU_DEP_2) | instskip(NEXT) | instid1(VALU_DEP_2)
	v_add_f64_e64 v[1:2], v[30:31], -v[1:2]
	v_add_f64_e64 v[3:4], v[32:33], -v[3:4]
	scratch_store_b128 off, v[1:4], off offset:704
	v_cmpx_lt_u32_e32 42, v0
	s_cbranch_execz .LBB49_229
; %bb.228:
	scratch_load_b128 v[1:4], off, s5
	v_mov_b32_e32 v5, 0
	s_delay_alu instid0(VALU_DEP_1)
	v_dual_mov_b32 v6, v5 :: v_dual_mov_b32 v7, v5
	v_mov_b32_e32 v8, v5
	scratch_store_b128 off, v[5:8], off offset:688
	s_wait_loadcnt 0x0
	ds_store_b128 v142, v[1:4]
.LBB49_229:
	s_wait_alu 0xfffe
	s_or_b32 exec_lo, exec_lo, s0
	s_wait_storecnt_dscnt 0x0
	s_barrier_signal -1
	s_barrier_wait -1
	global_inv scope:SCOPE_SE
	s_clause 0x6
	scratch_load_b128 v[2:5], off, off offset:704
	scratch_load_b128 v[6:9], off, off offset:720
	;; [unrolled: 1-line block ×7, first 2 shown]
	v_mov_b32_e32 v1, 0
	scratch_load_b128 v[34:37], off, off offset:688
	s_mov_b32 s0, exec_lo
	ds_load_b128 v[30:33], v1 offset:1488
	ds_load_b128 v[38:41], v1 offset:1504
	s_wait_loadcnt_dscnt 0x701
	v_mul_f64_e32 v[143:144], v[32:33], v[4:5]
	v_mul_f64_e32 v[4:5], v[30:31], v[4:5]
	s_wait_loadcnt_dscnt 0x600
	v_mul_f64_e32 v[145:146], v[38:39], v[8:9]
	v_mul_f64_e32 v[8:9], v[40:41], v[8:9]
	s_delay_alu instid0(VALU_DEP_4) | instskip(NEXT) | instid1(VALU_DEP_4)
	v_fma_f64 v[143:144], v[30:31], v[2:3], -v[143:144]
	v_fma_f64 v[147:148], v[32:33], v[2:3], v[4:5]
	ds_load_b128 v[2:5], v1 offset:1520
	ds_load_b128 v[30:33], v1 offset:1536
	v_fma_f64 v[40:41], v[40:41], v[6:7], v[145:146]
	v_fma_f64 v[6:7], v[38:39], v[6:7], -v[8:9]
	s_wait_loadcnt_dscnt 0x501
	v_mul_f64_e32 v[149:150], v[2:3], v[12:13]
	v_mul_f64_e32 v[12:13], v[4:5], v[12:13]
	v_add_f64_e32 v[8:9], 0, v[143:144]
	v_add_f64_e32 v[38:39], 0, v[147:148]
	s_wait_loadcnt_dscnt 0x400
	v_mul_f64_e32 v[143:144], v[30:31], v[16:17]
	v_mul_f64_e32 v[16:17], v[32:33], v[16:17]
	v_fma_f64 v[145:146], v[4:5], v[10:11], v[149:150]
	v_fma_f64 v[10:11], v[2:3], v[10:11], -v[12:13]
	v_add_f64_e32 v[12:13], v[8:9], v[6:7]
	v_add_f64_e32 v[38:39], v[38:39], v[40:41]
	ds_load_b128 v[2:5], v1 offset:1552
	ds_load_b128 v[6:9], v1 offset:1568
	v_fma_f64 v[32:33], v[32:33], v[14:15], v[143:144]
	v_fma_f64 v[14:15], v[30:31], v[14:15], -v[16:17]
	s_wait_loadcnt_dscnt 0x301
	v_mul_f64_e32 v[40:41], v[2:3], v[20:21]
	v_mul_f64_e32 v[20:21], v[4:5], v[20:21]
	s_wait_loadcnt_dscnt 0x200
	v_mul_f64_e32 v[16:17], v[6:7], v[24:25]
	v_mul_f64_e32 v[24:25], v[8:9], v[24:25]
	v_add_f64_e32 v[10:11], v[12:13], v[10:11]
	v_add_f64_e32 v[12:13], v[38:39], v[145:146]
	v_fma_f64 v[30:31], v[4:5], v[18:19], v[40:41]
	v_fma_f64 v[18:19], v[2:3], v[18:19], -v[20:21]
	ds_load_b128 v[2:5], v1 offset:1584
	v_fma_f64 v[8:9], v[8:9], v[22:23], v[16:17]
	v_fma_f64 v[6:7], v[6:7], v[22:23], -v[24:25]
	v_add_f64_e32 v[10:11], v[10:11], v[14:15]
	v_add_f64_e32 v[12:13], v[12:13], v[32:33]
	s_wait_loadcnt_dscnt 0x100
	v_mul_f64_e32 v[14:15], v[2:3], v[28:29]
	v_mul_f64_e32 v[20:21], v[4:5], v[28:29]
	s_delay_alu instid0(VALU_DEP_4) | instskip(NEXT) | instid1(VALU_DEP_4)
	v_add_f64_e32 v[10:11], v[10:11], v[18:19]
	v_add_f64_e32 v[12:13], v[12:13], v[30:31]
	s_delay_alu instid0(VALU_DEP_4) | instskip(NEXT) | instid1(VALU_DEP_4)
	v_fma_f64 v[4:5], v[4:5], v[26:27], v[14:15]
	v_fma_f64 v[2:3], v[2:3], v[26:27], -v[20:21]
	s_delay_alu instid0(VALU_DEP_4) | instskip(NEXT) | instid1(VALU_DEP_4)
	v_add_f64_e32 v[6:7], v[10:11], v[6:7]
	v_add_f64_e32 v[8:9], v[12:13], v[8:9]
	s_delay_alu instid0(VALU_DEP_2) | instskip(NEXT) | instid1(VALU_DEP_2)
	v_add_f64_e32 v[2:3], v[6:7], v[2:3]
	v_add_f64_e32 v[4:5], v[8:9], v[4:5]
	s_wait_loadcnt 0x0
	s_delay_alu instid0(VALU_DEP_2) | instskip(NEXT) | instid1(VALU_DEP_2)
	v_add_f64_e64 v[2:3], v[34:35], -v[2:3]
	v_add_f64_e64 v[4:5], v[36:37], -v[4:5]
	scratch_store_b128 off, v[2:5], off offset:688
	v_cmpx_lt_u32_e32 41, v0
	s_cbranch_execz .LBB49_231
; %bb.230:
	scratch_load_b128 v[5:8], off, s4
	v_dual_mov_b32 v2, v1 :: v_dual_mov_b32 v3, v1
	v_mov_b32_e32 v4, v1
	scratch_store_b128 off, v[1:4], off offset:672
	s_wait_loadcnt 0x0
	ds_store_b128 v142, v[5:8]
.LBB49_231:
	s_wait_alu 0xfffe
	s_or_b32 exec_lo, exec_lo, s0
	s_wait_storecnt_dscnt 0x0
	s_barrier_signal -1
	s_barrier_wait -1
	global_inv scope:SCOPE_SE
	s_clause 0x7
	scratch_load_b128 v[2:5], off, off offset:688
	scratch_load_b128 v[6:9], off, off offset:704
	;; [unrolled: 1-line block ×8, first 2 shown]
	ds_load_b128 v[34:37], v1 offset:1472
	ds_load_b128 v[38:41], v1 offset:1488
	scratch_load_b128 v[143:146], off, off offset:672
	s_mov_b32 s0, exec_lo
	s_wait_loadcnt_dscnt 0x801
	v_mul_f64_e32 v[147:148], v[36:37], v[4:5]
	v_mul_f64_e32 v[4:5], v[34:35], v[4:5]
	s_wait_loadcnt_dscnt 0x700
	v_mul_f64_e32 v[149:150], v[38:39], v[8:9]
	v_mul_f64_e32 v[8:9], v[40:41], v[8:9]
	s_delay_alu instid0(VALU_DEP_4) | instskip(NEXT) | instid1(VALU_DEP_4)
	v_fma_f64 v[147:148], v[34:35], v[2:3], -v[147:148]
	v_fma_f64 v[151:152], v[36:37], v[2:3], v[4:5]
	ds_load_b128 v[2:5], v1 offset:1504
	ds_load_b128 v[34:37], v1 offset:1520
	v_fma_f64 v[40:41], v[40:41], v[6:7], v[149:150]
	v_fma_f64 v[6:7], v[38:39], v[6:7], -v[8:9]
	s_wait_loadcnt_dscnt 0x601
	v_mul_f64_e32 v[153:154], v[2:3], v[12:13]
	v_mul_f64_e32 v[12:13], v[4:5], v[12:13]
	v_add_f64_e32 v[8:9], 0, v[147:148]
	v_add_f64_e32 v[38:39], 0, v[151:152]
	s_wait_loadcnt_dscnt 0x500
	v_mul_f64_e32 v[147:148], v[34:35], v[16:17]
	v_mul_f64_e32 v[16:17], v[36:37], v[16:17]
	v_fma_f64 v[149:150], v[4:5], v[10:11], v[153:154]
	v_fma_f64 v[10:11], v[2:3], v[10:11], -v[12:13]
	v_add_f64_e32 v[12:13], v[8:9], v[6:7]
	v_add_f64_e32 v[38:39], v[38:39], v[40:41]
	ds_load_b128 v[2:5], v1 offset:1536
	ds_load_b128 v[6:9], v1 offset:1552
	v_fma_f64 v[36:37], v[36:37], v[14:15], v[147:148]
	v_fma_f64 v[14:15], v[34:35], v[14:15], -v[16:17]
	s_wait_loadcnt_dscnt 0x401
	v_mul_f64_e32 v[40:41], v[2:3], v[20:21]
	v_mul_f64_e32 v[20:21], v[4:5], v[20:21]
	s_wait_loadcnt_dscnt 0x300
	v_mul_f64_e32 v[16:17], v[6:7], v[24:25]
	v_mul_f64_e32 v[24:25], v[8:9], v[24:25]
	v_add_f64_e32 v[10:11], v[12:13], v[10:11]
	v_add_f64_e32 v[12:13], v[38:39], v[149:150]
	v_fma_f64 v[34:35], v[4:5], v[18:19], v[40:41]
	v_fma_f64 v[18:19], v[2:3], v[18:19], -v[20:21]
	v_fma_f64 v[8:9], v[8:9], v[22:23], v[16:17]
	v_fma_f64 v[6:7], v[6:7], v[22:23], -v[24:25]
	v_add_f64_e32 v[14:15], v[10:11], v[14:15]
	v_add_f64_e32 v[20:21], v[12:13], v[36:37]
	ds_load_b128 v[2:5], v1 offset:1568
	ds_load_b128 v[10:13], v1 offset:1584
	s_wait_loadcnt_dscnt 0x201
	v_mul_f64_e32 v[36:37], v[2:3], v[28:29]
	v_mul_f64_e32 v[28:29], v[4:5], v[28:29]
	v_add_f64_e32 v[14:15], v[14:15], v[18:19]
	v_add_f64_e32 v[16:17], v[20:21], v[34:35]
	s_wait_loadcnt_dscnt 0x100
	v_mul_f64_e32 v[18:19], v[10:11], v[32:33]
	v_mul_f64_e32 v[20:21], v[12:13], v[32:33]
	v_fma_f64 v[4:5], v[4:5], v[26:27], v[36:37]
	v_fma_f64 v[1:2], v[2:3], v[26:27], -v[28:29]
	v_add_f64_e32 v[6:7], v[14:15], v[6:7]
	v_add_f64_e32 v[8:9], v[16:17], v[8:9]
	v_fma_f64 v[12:13], v[12:13], v[30:31], v[18:19]
	v_fma_f64 v[10:11], v[10:11], v[30:31], -v[20:21]
	s_delay_alu instid0(VALU_DEP_4) | instskip(NEXT) | instid1(VALU_DEP_4)
	v_add_f64_e32 v[1:2], v[6:7], v[1:2]
	v_add_f64_e32 v[3:4], v[8:9], v[4:5]
	s_delay_alu instid0(VALU_DEP_2) | instskip(NEXT) | instid1(VALU_DEP_2)
	v_add_f64_e32 v[1:2], v[1:2], v[10:11]
	v_add_f64_e32 v[3:4], v[3:4], v[12:13]
	s_wait_loadcnt 0x0
	s_delay_alu instid0(VALU_DEP_2) | instskip(NEXT) | instid1(VALU_DEP_2)
	v_add_f64_e64 v[1:2], v[143:144], -v[1:2]
	v_add_f64_e64 v[3:4], v[145:146], -v[3:4]
	scratch_store_b128 off, v[1:4], off offset:672
	v_cmpx_lt_u32_e32 40, v0
	s_cbranch_execz .LBB49_233
; %bb.232:
	scratch_load_b128 v[1:4], off, s9
	v_mov_b32_e32 v5, 0
	s_delay_alu instid0(VALU_DEP_1)
	v_dual_mov_b32 v6, v5 :: v_dual_mov_b32 v7, v5
	v_mov_b32_e32 v8, v5
	scratch_store_b128 off, v[5:8], off offset:656
	s_wait_loadcnt 0x0
	ds_store_b128 v142, v[1:4]
.LBB49_233:
	s_wait_alu 0xfffe
	s_or_b32 exec_lo, exec_lo, s0
	s_wait_storecnt_dscnt 0x0
	s_barrier_signal -1
	s_barrier_wait -1
	global_inv scope:SCOPE_SE
	s_clause 0x7
	scratch_load_b128 v[2:5], off, off offset:672
	scratch_load_b128 v[6:9], off, off offset:688
	scratch_load_b128 v[10:13], off, off offset:704
	scratch_load_b128 v[14:17], off, off offset:720
	scratch_load_b128 v[18:21], off, off offset:736
	scratch_load_b128 v[22:25], off, off offset:752
	scratch_load_b128 v[26:29], off, off offset:768
	scratch_load_b128 v[30:33], off, off offset:784
	v_mov_b32_e32 v1, 0
	s_mov_b32 s0, exec_lo
	ds_load_b128 v[34:37], v1 offset:1456
	s_clause 0x1
	scratch_load_b128 v[38:41], off, off offset:800
	scratch_load_b128 v[143:146], off, off offset:656
	ds_load_b128 v[147:150], v1 offset:1472
	s_wait_loadcnt_dscnt 0x901
	v_mul_f64_e32 v[151:152], v[36:37], v[4:5]
	v_mul_f64_e32 v[4:5], v[34:35], v[4:5]
	s_wait_loadcnt_dscnt 0x800
	v_mul_f64_e32 v[153:154], v[147:148], v[8:9]
	v_mul_f64_e32 v[8:9], v[149:150], v[8:9]
	s_delay_alu instid0(VALU_DEP_4) | instskip(NEXT) | instid1(VALU_DEP_4)
	v_fma_f64 v[151:152], v[34:35], v[2:3], -v[151:152]
	v_fma_f64 v[155:156], v[36:37], v[2:3], v[4:5]
	ds_load_b128 v[2:5], v1 offset:1488
	ds_load_b128 v[34:37], v1 offset:1504
	v_fma_f64 v[149:150], v[149:150], v[6:7], v[153:154]
	v_fma_f64 v[6:7], v[147:148], v[6:7], -v[8:9]
	s_wait_loadcnt_dscnt 0x701
	v_mul_f64_e32 v[157:158], v[2:3], v[12:13]
	v_mul_f64_e32 v[12:13], v[4:5], v[12:13]
	v_add_f64_e32 v[8:9], 0, v[151:152]
	v_add_f64_e32 v[147:148], 0, v[155:156]
	s_wait_loadcnt_dscnt 0x600
	v_mul_f64_e32 v[151:152], v[34:35], v[16:17]
	v_mul_f64_e32 v[16:17], v[36:37], v[16:17]
	v_fma_f64 v[153:154], v[4:5], v[10:11], v[157:158]
	v_fma_f64 v[10:11], v[2:3], v[10:11], -v[12:13]
	v_add_f64_e32 v[12:13], v[8:9], v[6:7]
	v_add_f64_e32 v[147:148], v[147:148], v[149:150]
	ds_load_b128 v[2:5], v1 offset:1520
	ds_load_b128 v[6:9], v1 offset:1536
	v_fma_f64 v[36:37], v[36:37], v[14:15], v[151:152]
	v_fma_f64 v[14:15], v[34:35], v[14:15], -v[16:17]
	s_wait_loadcnt_dscnt 0x501
	v_mul_f64_e32 v[149:150], v[2:3], v[20:21]
	v_mul_f64_e32 v[20:21], v[4:5], v[20:21]
	s_wait_loadcnt_dscnt 0x400
	v_mul_f64_e32 v[16:17], v[6:7], v[24:25]
	v_mul_f64_e32 v[24:25], v[8:9], v[24:25]
	v_add_f64_e32 v[10:11], v[12:13], v[10:11]
	v_add_f64_e32 v[12:13], v[147:148], v[153:154]
	v_fma_f64 v[34:35], v[4:5], v[18:19], v[149:150]
	v_fma_f64 v[18:19], v[2:3], v[18:19], -v[20:21]
	v_fma_f64 v[8:9], v[8:9], v[22:23], v[16:17]
	v_fma_f64 v[6:7], v[6:7], v[22:23], -v[24:25]
	v_add_f64_e32 v[14:15], v[10:11], v[14:15]
	v_add_f64_e32 v[20:21], v[12:13], v[36:37]
	ds_load_b128 v[2:5], v1 offset:1552
	ds_load_b128 v[10:13], v1 offset:1568
	s_wait_loadcnt_dscnt 0x301
	v_mul_f64_e32 v[36:37], v[2:3], v[28:29]
	v_mul_f64_e32 v[28:29], v[4:5], v[28:29]
	v_add_f64_e32 v[14:15], v[14:15], v[18:19]
	v_add_f64_e32 v[16:17], v[20:21], v[34:35]
	s_wait_loadcnt_dscnt 0x200
	v_mul_f64_e32 v[18:19], v[10:11], v[32:33]
	v_mul_f64_e32 v[20:21], v[12:13], v[32:33]
	v_fma_f64 v[22:23], v[4:5], v[26:27], v[36:37]
	v_fma_f64 v[24:25], v[2:3], v[26:27], -v[28:29]
	ds_load_b128 v[2:5], v1 offset:1584
	v_add_f64_e32 v[6:7], v[14:15], v[6:7]
	v_add_f64_e32 v[8:9], v[16:17], v[8:9]
	v_fma_f64 v[12:13], v[12:13], v[30:31], v[18:19]
	v_fma_f64 v[10:11], v[10:11], v[30:31], -v[20:21]
	s_wait_loadcnt_dscnt 0x100
	v_mul_f64_e32 v[14:15], v[2:3], v[40:41]
	v_mul_f64_e32 v[16:17], v[4:5], v[40:41]
	v_add_f64_e32 v[6:7], v[6:7], v[24:25]
	v_add_f64_e32 v[8:9], v[8:9], v[22:23]
	s_delay_alu instid0(VALU_DEP_4) | instskip(NEXT) | instid1(VALU_DEP_4)
	v_fma_f64 v[4:5], v[4:5], v[38:39], v[14:15]
	v_fma_f64 v[2:3], v[2:3], v[38:39], -v[16:17]
	s_delay_alu instid0(VALU_DEP_4) | instskip(NEXT) | instid1(VALU_DEP_4)
	v_add_f64_e32 v[6:7], v[6:7], v[10:11]
	v_add_f64_e32 v[8:9], v[8:9], v[12:13]
	s_delay_alu instid0(VALU_DEP_2) | instskip(NEXT) | instid1(VALU_DEP_2)
	v_add_f64_e32 v[2:3], v[6:7], v[2:3]
	v_add_f64_e32 v[4:5], v[8:9], v[4:5]
	s_wait_loadcnt 0x0
	s_delay_alu instid0(VALU_DEP_2) | instskip(NEXT) | instid1(VALU_DEP_2)
	v_add_f64_e64 v[2:3], v[143:144], -v[2:3]
	v_add_f64_e64 v[4:5], v[145:146], -v[4:5]
	scratch_store_b128 off, v[2:5], off offset:656
	v_cmpx_lt_u32_e32 39, v0
	s_cbranch_execz .LBB49_235
; %bb.234:
	scratch_load_b128 v[5:8], off, s8
	v_dual_mov_b32 v2, v1 :: v_dual_mov_b32 v3, v1
	v_mov_b32_e32 v4, v1
	scratch_store_b128 off, v[1:4], off offset:640
	s_wait_loadcnt 0x0
	ds_store_b128 v142, v[5:8]
.LBB49_235:
	s_wait_alu 0xfffe
	s_or_b32 exec_lo, exec_lo, s0
	s_wait_storecnt_dscnt 0x0
	s_barrier_signal -1
	s_barrier_wait -1
	global_inv scope:SCOPE_SE
	s_clause 0x8
	scratch_load_b128 v[2:5], off, off offset:656
	scratch_load_b128 v[6:9], off, off offset:672
	;; [unrolled: 1-line block ×9, first 2 shown]
	ds_load_b128 v[38:41], v1 offset:1440
	ds_load_b128 v[143:146], v1 offset:1456
	s_clause 0x1
	scratch_load_b128 v[147:150], off, off offset:640
	scratch_load_b128 v[151:154], off, off offset:800
	s_mov_b32 s0, exec_lo
	s_wait_loadcnt_dscnt 0xa01
	v_mul_f64_e32 v[155:156], v[40:41], v[4:5]
	v_mul_f64_e32 v[4:5], v[38:39], v[4:5]
	s_wait_loadcnt_dscnt 0x900
	v_mul_f64_e32 v[157:158], v[143:144], v[8:9]
	v_mul_f64_e32 v[8:9], v[145:146], v[8:9]
	s_delay_alu instid0(VALU_DEP_4) | instskip(NEXT) | instid1(VALU_DEP_4)
	v_fma_f64 v[155:156], v[38:39], v[2:3], -v[155:156]
	v_fma_f64 v[159:160], v[40:41], v[2:3], v[4:5]
	ds_load_b128 v[2:5], v1 offset:1472
	ds_load_b128 v[38:41], v1 offset:1488
	v_fma_f64 v[145:146], v[145:146], v[6:7], v[157:158]
	v_fma_f64 v[6:7], v[143:144], v[6:7], -v[8:9]
	s_wait_loadcnt_dscnt 0x801
	v_mul_f64_e32 v[161:162], v[2:3], v[12:13]
	v_mul_f64_e32 v[12:13], v[4:5], v[12:13]
	v_add_f64_e32 v[8:9], 0, v[155:156]
	v_add_f64_e32 v[143:144], 0, v[159:160]
	s_wait_loadcnt_dscnt 0x700
	v_mul_f64_e32 v[155:156], v[38:39], v[16:17]
	v_mul_f64_e32 v[16:17], v[40:41], v[16:17]
	v_fma_f64 v[157:158], v[4:5], v[10:11], v[161:162]
	v_fma_f64 v[10:11], v[2:3], v[10:11], -v[12:13]
	v_add_f64_e32 v[12:13], v[8:9], v[6:7]
	v_add_f64_e32 v[143:144], v[143:144], v[145:146]
	ds_load_b128 v[2:5], v1 offset:1504
	ds_load_b128 v[6:9], v1 offset:1520
	v_fma_f64 v[40:41], v[40:41], v[14:15], v[155:156]
	v_fma_f64 v[14:15], v[38:39], v[14:15], -v[16:17]
	s_wait_loadcnt_dscnt 0x601
	v_mul_f64_e32 v[145:146], v[2:3], v[20:21]
	v_mul_f64_e32 v[20:21], v[4:5], v[20:21]
	s_wait_loadcnt_dscnt 0x500
	v_mul_f64_e32 v[16:17], v[6:7], v[24:25]
	v_mul_f64_e32 v[24:25], v[8:9], v[24:25]
	v_add_f64_e32 v[10:11], v[12:13], v[10:11]
	v_add_f64_e32 v[12:13], v[143:144], v[157:158]
	v_fma_f64 v[38:39], v[4:5], v[18:19], v[145:146]
	v_fma_f64 v[18:19], v[2:3], v[18:19], -v[20:21]
	v_fma_f64 v[8:9], v[8:9], v[22:23], v[16:17]
	v_fma_f64 v[6:7], v[6:7], v[22:23], -v[24:25]
	v_add_f64_e32 v[14:15], v[10:11], v[14:15]
	v_add_f64_e32 v[20:21], v[12:13], v[40:41]
	ds_load_b128 v[2:5], v1 offset:1536
	ds_load_b128 v[10:13], v1 offset:1552
	s_wait_loadcnt_dscnt 0x401
	v_mul_f64_e32 v[40:41], v[2:3], v[28:29]
	v_mul_f64_e32 v[28:29], v[4:5], v[28:29]
	v_add_f64_e32 v[14:15], v[14:15], v[18:19]
	v_add_f64_e32 v[16:17], v[20:21], v[38:39]
	s_wait_loadcnt_dscnt 0x300
	v_mul_f64_e32 v[18:19], v[10:11], v[32:33]
	v_mul_f64_e32 v[20:21], v[12:13], v[32:33]
	v_fma_f64 v[22:23], v[4:5], v[26:27], v[40:41]
	v_fma_f64 v[24:25], v[2:3], v[26:27], -v[28:29]
	v_add_f64_e32 v[14:15], v[14:15], v[6:7]
	v_add_f64_e32 v[16:17], v[16:17], v[8:9]
	ds_load_b128 v[2:5], v1 offset:1568
	ds_load_b128 v[6:9], v1 offset:1584
	v_fma_f64 v[12:13], v[12:13], v[30:31], v[18:19]
	v_fma_f64 v[10:11], v[10:11], v[30:31], -v[20:21]
	s_wait_loadcnt_dscnt 0x201
	v_mul_f64_e32 v[26:27], v[2:3], v[36:37]
	v_mul_f64_e32 v[28:29], v[4:5], v[36:37]
	s_wait_loadcnt_dscnt 0x0
	v_mul_f64_e32 v[18:19], v[6:7], v[153:154]
	v_mul_f64_e32 v[20:21], v[8:9], v[153:154]
	v_add_f64_e32 v[14:15], v[14:15], v[24:25]
	v_add_f64_e32 v[16:17], v[16:17], v[22:23]
	v_fma_f64 v[4:5], v[4:5], v[34:35], v[26:27]
	v_fma_f64 v[1:2], v[2:3], v[34:35], -v[28:29]
	v_fma_f64 v[8:9], v[8:9], v[151:152], v[18:19]
	v_fma_f64 v[6:7], v[6:7], v[151:152], -v[20:21]
	v_add_f64_e32 v[10:11], v[14:15], v[10:11]
	v_add_f64_e32 v[12:13], v[16:17], v[12:13]
	s_delay_alu instid0(VALU_DEP_2) | instskip(NEXT) | instid1(VALU_DEP_2)
	v_add_f64_e32 v[1:2], v[10:11], v[1:2]
	v_add_f64_e32 v[3:4], v[12:13], v[4:5]
	s_delay_alu instid0(VALU_DEP_2) | instskip(NEXT) | instid1(VALU_DEP_2)
	;; [unrolled: 3-line block ×3, first 2 shown]
	v_add_f64_e64 v[1:2], v[147:148], -v[1:2]
	v_add_f64_e64 v[3:4], v[149:150], -v[3:4]
	scratch_store_b128 off, v[1:4], off offset:640
	v_cmpx_lt_u32_e32 38, v0
	s_cbranch_execz .LBB49_237
; %bb.236:
	scratch_load_b128 v[1:4], off, s11
	v_mov_b32_e32 v5, 0
	s_delay_alu instid0(VALU_DEP_1)
	v_dual_mov_b32 v6, v5 :: v_dual_mov_b32 v7, v5
	v_mov_b32_e32 v8, v5
	scratch_store_b128 off, v[5:8], off offset:624
	s_wait_loadcnt 0x0
	ds_store_b128 v142, v[1:4]
.LBB49_237:
	s_wait_alu 0xfffe
	s_or_b32 exec_lo, exec_lo, s0
	s_wait_storecnt_dscnt 0x0
	s_barrier_signal -1
	s_barrier_wait -1
	global_inv scope:SCOPE_SE
	s_clause 0x7
	scratch_load_b128 v[2:5], off, off offset:640
	scratch_load_b128 v[6:9], off, off offset:656
	;; [unrolled: 1-line block ×8, first 2 shown]
	v_mov_b32_e32 v1, 0
	s_clause 0x1
	scratch_load_b128 v[38:41], off, off offset:768
	scratch_load_b128 v[147:150], off, off offset:784
	s_mov_b32 s0, exec_lo
	ds_load_b128 v[34:37], v1 offset:1424
	ds_load_b128 v[143:146], v1 offset:1440
	s_wait_loadcnt_dscnt 0x901
	v_mul_f64_e32 v[151:152], v[36:37], v[4:5]
	v_mul_f64_e32 v[4:5], v[34:35], v[4:5]
	s_wait_loadcnt_dscnt 0x800
	v_mul_f64_e32 v[153:154], v[143:144], v[8:9]
	v_mul_f64_e32 v[8:9], v[145:146], v[8:9]
	s_delay_alu instid0(VALU_DEP_4) | instskip(NEXT) | instid1(VALU_DEP_4)
	v_fma_f64 v[151:152], v[34:35], v[2:3], -v[151:152]
	v_fma_f64 v[155:156], v[36:37], v[2:3], v[4:5]
	ds_load_b128 v[2:5], v1 offset:1456
	scratch_load_b128 v[34:37], off, off offset:800
	v_fma_f64 v[145:146], v[145:146], v[6:7], v[153:154]
	v_fma_f64 v[143:144], v[143:144], v[6:7], -v[8:9]
	ds_load_b128 v[6:9], v1 offset:1472
	s_wait_loadcnt_dscnt 0x801
	v_mul_f64_e32 v[157:158], v[2:3], v[12:13]
	v_mul_f64_e32 v[12:13], v[4:5], v[12:13]
	v_add_f64_e32 v[151:152], 0, v[151:152]
	v_add_f64_e32 v[153:154], 0, v[155:156]
	s_wait_loadcnt_dscnt 0x700
	v_mul_f64_e32 v[155:156], v[6:7], v[16:17]
	v_mul_f64_e32 v[16:17], v[8:9], v[16:17]
	v_fma_f64 v[157:158], v[4:5], v[10:11], v[157:158]
	v_fma_f64 v[10:11], v[2:3], v[10:11], -v[12:13]
	ds_load_b128 v[2:5], v1 offset:1488
	v_add_f64_e32 v[12:13], v[151:152], v[143:144]
	v_add_f64_e32 v[143:144], v[153:154], v[145:146]
	v_fma_f64 v[151:152], v[8:9], v[14:15], v[155:156]
	v_fma_f64 v[14:15], v[6:7], v[14:15], -v[16:17]
	ds_load_b128 v[6:9], v1 offset:1504
	s_wait_loadcnt_dscnt 0x601
	v_mul_f64_e32 v[145:146], v[2:3], v[20:21]
	v_mul_f64_e32 v[20:21], v[4:5], v[20:21]
	s_wait_loadcnt_dscnt 0x500
	v_mul_f64_e32 v[153:154], v[6:7], v[24:25]
	v_mul_f64_e32 v[24:25], v[8:9], v[24:25]
	v_add_f64_e32 v[16:17], v[12:13], v[10:11]
	v_add_f64_e32 v[143:144], v[143:144], v[157:158]
	scratch_load_b128 v[10:13], off, off offset:624
	v_fma_f64 v[145:146], v[4:5], v[18:19], v[145:146]
	v_fma_f64 v[18:19], v[2:3], v[18:19], -v[20:21]
	ds_load_b128 v[2:5], v1 offset:1520
	v_add_f64_e32 v[14:15], v[16:17], v[14:15]
	v_add_f64_e32 v[16:17], v[143:144], v[151:152]
	v_fma_f64 v[143:144], v[8:9], v[22:23], v[153:154]
	v_fma_f64 v[22:23], v[6:7], v[22:23], -v[24:25]
	ds_load_b128 v[6:9], v1 offset:1536
	s_wait_loadcnt_dscnt 0x501
	v_mul_f64_e32 v[20:21], v[2:3], v[28:29]
	v_mul_f64_e32 v[28:29], v[4:5], v[28:29]
	s_wait_loadcnt_dscnt 0x400
	v_mul_f64_e32 v[24:25], v[8:9], v[32:33]
	v_add_f64_e32 v[14:15], v[14:15], v[18:19]
	v_add_f64_e32 v[16:17], v[16:17], v[145:146]
	v_mul_f64_e32 v[18:19], v[6:7], v[32:33]
	v_fma_f64 v[20:21], v[4:5], v[26:27], v[20:21]
	v_fma_f64 v[26:27], v[2:3], v[26:27], -v[28:29]
	ds_load_b128 v[2:5], v1 offset:1552
	v_fma_f64 v[24:25], v[6:7], v[30:31], -v[24:25]
	v_add_f64_e32 v[14:15], v[14:15], v[22:23]
	v_add_f64_e32 v[16:17], v[16:17], v[143:144]
	v_fma_f64 v[18:19], v[8:9], v[30:31], v[18:19]
	ds_load_b128 v[6:9], v1 offset:1568
	s_wait_loadcnt_dscnt 0x301
	v_mul_f64_e32 v[22:23], v[2:3], v[40:41]
	v_mul_f64_e32 v[28:29], v[4:5], v[40:41]
	v_add_f64_e32 v[14:15], v[14:15], v[26:27]
	v_add_f64_e32 v[16:17], v[16:17], v[20:21]
	s_wait_loadcnt_dscnt 0x200
	v_mul_f64_e32 v[20:21], v[6:7], v[149:150]
	v_mul_f64_e32 v[26:27], v[8:9], v[149:150]
	v_fma_f64 v[22:23], v[4:5], v[38:39], v[22:23]
	v_fma_f64 v[28:29], v[2:3], v[38:39], -v[28:29]
	ds_load_b128 v[2:5], v1 offset:1584
	v_add_f64_e32 v[14:15], v[14:15], v[24:25]
	v_add_f64_e32 v[16:17], v[16:17], v[18:19]
	v_fma_f64 v[8:9], v[8:9], v[147:148], v[20:21]
	v_fma_f64 v[6:7], v[6:7], v[147:148], -v[26:27]
	s_wait_loadcnt_dscnt 0x100
	v_mul_f64_e32 v[18:19], v[2:3], v[36:37]
	v_mul_f64_e32 v[24:25], v[4:5], v[36:37]
	v_add_f64_e32 v[14:15], v[14:15], v[28:29]
	v_add_f64_e32 v[16:17], v[16:17], v[22:23]
	s_delay_alu instid0(VALU_DEP_4) | instskip(NEXT) | instid1(VALU_DEP_4)
	v_fma_f64 v[4:5], v[4:5], v[34:35], v[18:19]
	v_fma_f64 v[2:3], v[2:3], v[34:35], -v[24:25]
	s_delay_alu instid0(VALU_DEP_4) | instskip(NEXT) | instid1(VALU_DEP_4)
	v_add_f64_e32 v[6:7], v[14:15], v[6:7]
	v_add_f64_e32 v[8:9], v[16:17], v[8:9]
	s_delay_alu instid0(VALU_DEP_2) | instskip(NEXT) | instid1(VALU_DEP_2)
	v_add_f64_e32 v[2:3], v[6:7], v[2:3]
	v_add_f64_e32 v[4:5], v[8:9], v[4:5]
	s_wait_loadcnt 0x0
	s_delay_alu instid0(VALU_DEP_2) | instskip(NEXT) | instid1(VALU_DEP_2)
	v_add_f64_e64 v[2:3], v[10:11], -v[2:3]
	v_add_f64_e64 v[4:5], v[12:13], -v[4:5]
	scratch_store_b128 off, v[2:5], off offset:624
	v_cmpx_lt_u32_e32 37, v0
	s_cbranch_execz .LBB49_239
; %bb.238:
	scratch_load_b128 v[5:8], off, s10
	v_dual_mov_b32 v2, v1 :: v_dual_mov_b32 v3, v1
	v_mov_b32_e32 v4, v1
	scratch_store_b128 off, v[1:4], off offset:608
	s_wait_loadcnt 0x0
	ds_store_b128 v142, v[5:8]
.LBB49_239:
	s_wait_alu 0xfffe
	s_or_b32 exec_lo, exec_lo, s0
	s_wait_storecnt_dscnt 0x0
	s_barrier_signal -1
	s_barrier_wait -1
	global_inv scope:SCOPE_SE
	s_clause 0x7
	scratch_load_b128 v[2:5], off, off offset:624
	scratch_load_b128 v[6:9], off, off offset:640
	;; [unrolled: 1-line block ×8, first 2 shown]
	ds_load_b128 v[34:37], v1 offset:1408
	ds_load_b128 v[143:146], v1 offset:1424
	s_clause 0x1
	scratch_load_b128 v[38:41], off, off offset:752
	scratch_load_b128 v[147:150], off, off offset:768
	s_mov_b32 s0, exec_lo
	s_wait_loadcnt_dscnt 0x901
	v_mul_f64_e32 v[151:152], v[36:37], v[4:5]
	v_mul_f64_e32 v[4:5], v[34:35], v[4:5]
	s_wait_loadcnt_dscnt 0x800
	v_mul_f64_e32 v[153:154], v[143:144], v[8:9]
	v_mul_f64_e32 v[8:9], v[145:146], v[8:9]
	s_delay_alu instid0(VALU_DEP_4) | instskip(NEXT) | instid1(VALU_DEP_4)
	v_fma_f64 v[151:152], v[34:35], v[2:3], -v[151:152]
	v_fma_f64 v[155:156], v[36:37], v[2:3], v[4:5]
	ds_load_b128 v[2:5], v1 offset:1440
	scratch_load_b128 v[34:37], off, off offset:784
	v_fma_f64 v[153:154], v[145:146], v[6:7], v[153:154]
	v_fma_f64 v[159:160], v[143:144], v[6:7], -v[8:9]
	ds_load_b128 v[6:9], v1 offset:1456
	scratch_load_b128 v[143:146], off, off offset:800
	s_wait_loadcnt_dscnt 0x901
	v_mul_f64_e32 v[157:158], v[2:3], v[12:13]
	v_mul_f64_e32 v[12:13], v[4:5], v[12:13]
	s_wait_loadcnt_dscnt 0x800
	v_mul_f64_e32 v[161:162], v[6:7], v[16:17]
	v_mul_f64_e32 v[16:17], v[8:9], v[16:17]
	v_add_f64_e32 v[151:152], 0, v[151:152]
	v_add_f64_e32 v[155:156], 0, v[155:156]
	v_fma_f64 v[157:158], v[4:5], v[10:11], v[157:158]
	v_fma_f64 v[10:11], v[2:3], v[10:11], -v[12:13]
	ds_load_b128 v[2:5], v1 offset:1472
	v_add_f64_e32 v[12:13], v[151:152], v[159:160]
	v_add_f64_e32 v[151:152], v[155:156], v[153:154]
	v_fma_f64 v[155:156], v[8:9], v[14:15], v[161:162]
	v_fma_f64 v[14:15], v[6:7], v[14:15], -v[16:17]
	ds_load_b128 v[6:9], v1 offset:1488
	s_wait_loadcnt_dscnt 0x701
	v_mul_f64_e32 v[153:154], v[2:3], v[20:21]
	v_mul_f64_e32 v[20:21], v[4:5], v[20:21]
	s_wait_loadcnt_dscnt 0x600
	v_mul_f64_e32 v[16:17], v[6:7], v[24:25]
	v_mul_f64_e32 v[24:25], v[8:9], v[24:25]
	v_add_f64_e32 v[10:11], v[12:13], v[10:11]
	v_add_f64_e32 v[12:13], v[151:152], v[157:158]
	v_fma_f64 v[151:152], v[4:5], v[18:19], v[153:154]
	v_fma_f64 v[18:19], v[2:3], v[18:19], -v[20:21]
	ds_load_b128 v[2:5], v1 offset:1504
	v_fma_f64 v[16:17], v[8:9], v[22:23], v[16:17]
	v_fma_f64 v[22:23], v[6:7], v[22:23], -v[24:25]
	ds_load_b128 v[6:9], v1 offset:1520
	s_wait_loadcnt_dscnt 0x501
	v_mul_f64_e32 v[153:154], v[2:3], v[28:29]
	v_mul_f64_e32 v[28:29], v[4:5], v[28:29]
	v_add_f64_e32 v[14:15], v[10:11], v[14:15]
	v_add_f64_e32 v[20:21], v[12:13], v[155:156]
	scratch_load_b128 v[10:13], off, off offset:608
	s_wait_loadcnt_dscnt 0x500
	v_mul_f64_e32 v[24:25], v[8:9], v[32:33]
	v_add_f64_e32 v[14:15], v[14:15], v[18:19]
	v_add_f64_e32 v[18:19], v[20:21], v[151:152]
	v_mul_f64_e32 v[20:21], v[6:7], v[32:33]
	v_fma_f64 v[32:33], v[4:5], v[26:27], v[153:154]
	v_fma_f64 v[26:27], v[2:3], v[26:27], -v[28:29]
	ds_load_b128 v[2:5], v1 offset:1536
	v_fma_f64 v[24:25], v[6:7], v[30:31], -v[24:25]
	v_add_f64_e32 v[14:15], v[14:15], v[22:23]
	v_add_f64_e32 v[16:17], v[18:19], v[16:17]
	v_fma_f64 v[20:21], v[8:9], v[30:31], v[20:21]
	ds_load_b128 v[6:9], v1 offset:1552
	s_wait_loadcnt_dscnt 0x401
	v_mul_f64_e32 v[18:19], v[2:3], v[40:41]
	v_mul_f64_e32 v[22:23], v[4:5], v[40:41]
	s_wait_loadcnt_dscnt 0x300
	v_mul_f64_e32 v[28:29], v[8:9], v[149:150]
	v_add_f64_e32 v[14:15], v[14:15], v[26:27]
	v_add_f64_e32 v[16:17], v[16:17], v[32:33]
	v_mul_f64_e32 v[26:27], v[6:7], v[149:150]
	v_fma_f64 v[18:19], v[4:5], v[38:39], v[18:19]
	v_fma_f64 v[22:23], v[2:3], v[38:39], -v[22:23]
	ds_load_b128 v[2:5], v1 offset:1568
	v_fma_f64 v[28:29], v[6:7], v[147:148], -v[28:29]
	v_add_f64_e32 v[14:15], v[14:15], v[24:25]
	v_add_f64_e32 v[16:17], v[16:17], v[20:21]
	v_fma_f64 v[26:27], v[8:9], v[147:148], v[26:27]
	ds_load_b128 v[6:9], v1 offset:1584
	s_wait_loadcnt_dscnt 0x201
	v_mul_f64_e32 v[20:21], v[2:3], v[36:37]
	v_mul_f64_e32 v[24:25], v[4:5], v[36:37]
	v_add_f64_e32 v[14:15], v[14:15], v[22:23]
	v_add_f64_e32 v[16:17], v[16:17], v[18:19]
	s_wait_loadcnt_dscnt 0x100
	v_mul_f64_e32 v[18:19], v[6:7], v[145:146]
	v_mul_f64_e32 v[22:23], v[8:9], v[145:146]
	v_fma_f64 v[4:5], v[4:5], v[34:35], v[20:21]
	v_fma_f64 v[1:2], v[2:3], v[34:35], -v[24:25]
	v_add_f64_e32 v[14:15], v[14:15], v[28:29]
	v_add_f64_e32 v[16:17], v[16:17], v[26:27]
	v_fma_f64 v[8:9], v[8:9], v[143:144], v[18:19]
	v_fma_f64 v[6:7], v[6:7], v[143:144], -v[22:23]
	s_delay_alu instid0(VALU_DEP_4) | instskip(NEXT) | instid1(VALU_DEP_4)
	v_add_f64_e32 v[1:2], v[14:15], v[1:2]
	v_add_f64_e32 v[3:4], v[16:17], v[4:5]
	s_delay_alu instid0(VALU_DEP_2) | instskip(NEXT) | instid1(VALU_DEP_2)
	v_add_f64_e32 v[1:2], v[1:2], v[6:7]
	v_add_f64_e32 v[3:4], v[3:4], v[8:9]
	s_wait_loadcnt 0x0
	s_delay_alu instid0(VALU_DEP_2) | instskip(NEXT) | instid1(VALU_DEP_2)
	v_add_f64_e64 v[1:2], v[10:11], -v[1:2]
	v_add_f64_e64 v[3:4], v[12:13], -v[3:4]
	scratch_store_b128 off, v[1:4], off offset:608
	v_cmpx_lt_u32_e32 36, v0
	s_cbranch_execz .LBB49_241
; %bb.240:
	scratch_load_b128 v[1:4], off, s13
	v_mov_b32_e32 v5, 0
	s_delay_alu instid0(VALU_DEP_1)
	v_dual_mov_b32 v6, v5 :: v_dual_mov_b32 v7, v5
	v_mov_b32_e32 v8, v5
	scratch_store_b128 off, v[5:8], off offset:592
	s_wait_loadcnt 0x0
	ds_store_b128 v142, v[1:4]
.LBB49_241:
	s_wait_alu 0xfffe
	s_or_b32 exec_lo, exec_lo, s0
	s_wait_storecnt_dscnt 0x0
	s_barrier_signal -1
	s_barrier_wait -1
	global_inv scope:SCOPE_SE
	s_clause 0x7
	scratch_load_b128 v[2:5], off, off offset:608
	scratch_load_b128 v[6:9], off, off offset:624
	;; [unrolled: 1-line block ×8, first 2 shown]
	v_mov_b32_e32 v1, 0
	s_clause 0x1
	scratch_load_b128 v[38:41], off, off offset:736
	scratch_load_b128 v[147:150], off, off offset:752
	s_mov_b32 s0, exec_lo
	ds_load_b128 v[34:37], v1 offset:1392
	ds_load_b128 v[143:146], v1 offset:1408
	s_wait_loadcnt_dscnt 0x901
	v_mul_f64_e32 v[151:152], v[36:37], v[4:5]
	v_mul_f64_e32 v[4:5], v[34:35], v[4:5]
	s_wait_loadcnt_dscnt 0x800
	v_mul_f64_e32 v[153:154], v[143:144], v[8:9]
	v_mul_f64_e32 v[8:9], v[145:146], v[8:9]
	s_delay_alu instid0(VALU_DEP_4) | instskip(NEXT) | instid1(VALU_DEP_4)
	v_fma_f64 v[151:152], v[34:35], v[2:3], -v[151:152]
	v_fma_f64 v[155:156], v[36:37], v[2:3], v[4:5]
	ds_load_b128 v[2:5], v1 offset:1424
	scratch_load_b128 v[34:37], off, off offset:768
	v_fma_f64 v[153:154], v[145:146], v[6:7], v[153:154]
	v_fma_f64 v[159:160], v[143:144], v[6:7], -v[8:9]
	ds_load_b128 v[6:9], v1 offset:1440
	scratch_load_b128 v[143:146], off, off offset:784
	s_wait_loadcnt_dscnt 0x901
	v_mul_f64_e32 v[157:158], v[2:3], v[12:13]
	v_mul_f64_e32 v[12:13], v[4:5], v[12:13]
	s_wait_loadcnt_dscnt 0x800
	v_mul_f64_e32 v[161:162], v[6:7], v[16:17]
	v_mul_f64_e32 v[16:17], v[8:9], v[16:17]
	v_add_f64_e32 v[151:152], 0, v[151:152]
	v_add_f64_e32 v[155:156], 0, v[155:156]
	v_fma_f64 v[157:158], v[4:5], v[10:11], v[157:158]
	v_fma_f64 v[163:164], v[2:3], v[10:11], -v[12:13]
	ds_load_b128 v[2:5], v1 offset:1456
	scratch_load_b128 v[10:13], off, off offset:800
	v_add_f64_e32 v[151:152], v[151:152], v[159:160]
	v_add_f64_e32 v[153:154], v[155:156], v[153:154]
	v_fma_f64 v[159:160], v[8:9], v[14:15], v[161:162]
	v_fma_f64 v[14:15], v[6:7], v[14:15], -v[16:17]
	ds_load_b128 v[6:9], v1 offset:1472
	s_wait_loadcnt_dscnt 0x801
	v_mul_f64_e32 v[155:156], v[2:3], v[20:21]
	v_mul_f64_e32 v[20:21], v[4:5], v[20:21]
	v_add_f64_e32 v[16:17], v[151:152], v[163:164]
	v_add_f64_e32 v[151:152], v[153:154], v[157:158]
	s_wait_loadcnt_dscnt 0x700
	v_mul_f64_e32 v[153:154], v[6:7], v[24:25]
	v_mul_f64_e32 v[24:25], v[8:9], v[24:25]
	v_fma_f64 v[155:156], v[4:5], v[18:19], v[155:156]
	v_fma_f64 v[18:19], v[2:3], v[18:19], -v[20:21]
	ds_load_b128 v[2:5], v1 offset:1488
	v_add_f64_e32 v[14:15], v[16:17], v[14:15]
	v_add_f64_e32 v[16:17], v[151:152], v[159:160]
	v_fma_f64 v[151:152], v[8:9], v[22:23], v[153:154]
	v_fma_f64 v[22:23], v[6:7], v[22:23], -v[24:25]
	ds_load_b128 v[6:9], v1 offset:1504
	s_wait_loadcnt_dscnt 0x601
	v_mul_f64_e32 v[20:21], v[2:3], v[28:29]
	v_mul_f64_e32 v[28:29], v[4:5], v[28:29]
	s_wait_loadcnt_dscnt 0x500
	v_mul_f64_e32 v[153:154], v[6:7], v[32:33]
	v_mul_f64_e32 v[32:33], v[8:9], v[32:33]
	v_add_f64_e32 v[18:19], v[14:15], v[18:19]
	v_add_f64_e32 v[24:25], v[16:17], v[155:156]
	scratch_load_b128 v[14:17], off, off offset:592
	v_fma_f64 v[20:21], v[4:5], v[26:27], v[20:21]
	v_fma_f64 v[26:27], v[2:3], v[26:27], -v[28:29]
	ds_load_b128 v[2:5], v1 offset:1520
	s_wait_loadcnt_dscnt 0x500
	v_mul_f64_e32 v[28:29], v[4:5], v[40:41]
	v_add_f64_e32 v[18:19], v[18:19], v[22:23]
	v_add_f64_e32 v[22:23], v[24:25], v[151:152]
	v_mul_f64_e32 v[24:25], v[2:3], v[40:41]
	v_fma_f64 v[40:41], v[8:9], v[30:31], v[153:154]
	v_fma_f64 v[30:31], v[6:7], v[30:31], -v[32:33]
	ds_load_b128 v[6:9], v1 offset:1536
	v_fma_f64 v[28:29], v[2:3], v[38:39], -v[28:29]
	v_add_f64_e32 v[18:19], v[18:19], v[26:27]
	v_add_f64_e32 v[20:21], v[22:23], v[20:21]
	v_fma_f64 v[24:25], v[4:5], v[38:39], v[24:25]
	ds_load_b128 v[2:5], v1 offset:1552
	s_wait_loadcnt_dscnt 0x401
	v_mul_f64_e32 v[22:23], v[6:7], v[149:150]
	v_mul_f64_e32 v[26:27], v[8:9], v[149:150]
	v_add_f64_e32 v[18:19], v[18:19], v[30:31]
	v_add_f64_e32 v[20:21], v[20:21], v[40:41]
	s_delay_alu instid0(VALU_DEP_4) | instskip(NEXT) | instid1(VALU_DEP_4)
	v_fma_f64 v[22:23], v[8:9], v[147:148], v[22:23]
	v_fma_f64 v[26:27], v[6:7], v[147:148], -v[26:27]
	ds_load_b128 v[6:9], v1 offset:1568
	s_wait_loadcnt_dscnt 0x301
	v_mul_f64_e32 v[30:31], v[2:3], v[36:37]
	v_mul_f64_e32 v[32:33], v[4:5], v[36:37]
	v_add_f64_e32 v[18:19], v[18:19], v[28:29]
	v_add_f64_e32 v[20:21], v[20:21], v[24:25]
	s_delay_alu instid0(VALU_DEP_4) | instskip(NEXT) | instid1(VALU_DEP_4)
	v_fma_f64 v[30:31], v[4:5], v[34:35], v[30:31]
	v_fma_f64 v[32:33], v[2:3], v[34:35], -v[32:33]
	ds_load_b128 v[2:5], v1 offset:1584
	s_wait_loadcnt_dscnt 0x201
	v_mul_f64_e32 v[24:25], v[6:7], v[145:146]
	v_mul_f64_e32 v[28:29], v[8:9], v[145:146]
	v_add_f64_e32 v[18:19], v[18:19], v[26:27]
	v_add_f64_e32 v[20:21], v[20:21], v[22:23]
	s_wait_loadcnt_dscnt 0x100
	v_mul_f64_e32 v[22:23], v[2:3], v[12:13]
	v_mul_f64_e32 v[12:13], v[4:5], v[12:13]
	v_fma_f64 v[8:9], v[8:9], v[143:144], v[24:25]
	v_fma_f64 v[6:7], v[6:7], v[143:144], -v[28:29]
	v_add_f64_e32 v[18:19], v[18:19], v[32:33]
	v_add_f64_e32 v[20:21], v[20:21], v[30:31]
	v_fma_f64 v[4:5], v[4:5], v[10:11], v[22:23]
	v_fma_f64 v[2:3], v[2:3], v[10:11], -v[12:13]
	s_delay_alu instid0(VALU_DEP_4) | instskip(NEXT) | instid1(VALU_DEP_4)
	v_add_f64_e32 v[6:7], v[18:19], v[6:7]
	v_add_f64_e32 v[8:9], v[20:21], v[8:9]
	s_delay_alu instid0(VALU_DEP_2) | instskip(NEXT) | instid1(VALU_DEP_2)
	v_add_f64_e32 v[2:3], v[6:7], v[2:3]
	v_add_f64_e32 v[4:5], v[8:9], v[4:5]
	s_wait_loadcnt 0x0
	s_delay_alu instid0(VALU_DEP_2) | instskip(NEXT) | instid1(VALU_DEP_2)
	v_add_f64_e64 v[2:3], v[14:15], -v[2:3]
	v_add_f64_e64 v[4:5], v[16:17], -v[4:5]
	scratch_store_b128 off, v[2:5], off offset:592
	v_cmpx_lt_u32_e32 35, v0
	s_cbranch_execz .LBB49_243
; %bb.242:
	scratch_load_b128 v[5:8], off, s12
	v_dual_mov_b32 v2, v1 :: v_dual_mov_b32 v3, v1
	v_mov_b32_e32 v4, v1
	scratch_store_b128 off, v[1:4], off offset:576
	s_wait_loadcnt 0x0
	ds_store_b128 v142, v[5:8]
.LBB49_243:
	s_wait_alu 0xfffe
	s_or_b32 exec_lo, exec_lo, s0
	s_wait_storecnt_dscnt 0x0
	s_barrier_signal -1
	s_barrier_wait -1
	global_inv scope:SCOPE_SE
	s_clause 0x7
	scratch_load_b128 v[2:5], off, off offset:592
	scratch_load_b128 v[6:9], off, off offset:608
	;; [unrolled: 1-line block ×8, first 2 shown]
	ds_load_b128 v[34:37], v1 offset:1376
	ds_load_b128 v[143:146], v1 offset:1392
	s_clause 0x1
	scratch_load_b128 v[38:41], off, off offset:720
	scratch_load_b128 v[147:150], off, off offset:736
	s_mov_b32 s0, exec_lo
	s_wait_loadcnt_dscnt 0x901
	v_mul_f64_e32 v[151:152], v[36:37], v[4:5]
	v_mul_f64_e32 v[4:5], v[34:35], v[4:5]
	s_wait_loadcnt_dscnt 0x800
	v_mul_f64_e32 v[153:154], v[143:144], v[8:9]
	v_mul_f64_e32 v[8:9], v[145:146], v[8:9]
	s_delay_alu instid0(VALU_DEP_4) | instskip(NEXT) | instid1(VALU_DEP_4)
	v_fma_f64 v[151:152], v[34:35], v[2:3], -v[151:152]
	v_fma_f64 v[155:156], v[36:37], v[2:3], v[4:5]
	ds_load_b128 v[2:5], v1 offset:1408
	scratch_load_b128 v[34:37], off, off offset:752
	v_fma_f64 v[153:154], v[145:146], v[6:7], v[153:154]
	v_fma_f64 v[159:160], v[143:144], v[6:7], -v[8:9]
	ds_load_b128 v[6:9], v1 offset:1424
	scratch_load_b128 v[143:146], off, off offset:768
	s_wait_loadcnt_dscnt 0x901
	v_mul_f64_e32 v[157:158], v[2:3], v[12:13]
	v_mul_f64_e32 v[12:13], v[4:5], v[12:13]
	s_wait_loadcnt_dscnt 0x800
	v_mul_f64_e32 v[161:162], v[6:7], v[16:17]
	v_mul_f64_e32 v[16:17], v[8:9], v[16:17]
	v_add_f64_e32 v[151:152], 0, v[151:152]
	v_add_f64_e32 v[155:156], 0, v[155:156]
	v_fma_f64 v[157:158], v[4:5], v[10:11], v[157:158]
	v_fma_f64 v[163:164], v[2:3], v[10:11], -v[12:13]
	ds_load_b128 v[2:5], v1 offset:1440
	scratch_load_b128 v[10:13], off, off offset:784
	v_add_f64_e32 v[151:152], v[151:152], v[159:160]
	v_add_f64_e32 v[153:154], v[155:156], v[153:154]
	v_fma_f64 v[159:160], v[8:9], v[14:15], v[161:162]
	v_fma_f64 v[161:162], v[6:7], v[14:15], -v[16:17]
	ds_load_b128 v[6:9], v1 offset:1456
	scratch_load_b128 v[14:17], off, off offset:800
	s_wait_loadcnt_dscnt 0x901
	v_mul_f64_e32 v[155:156], v[2:3], v[20:21]
	v_mul_f64_e32 v[20:21], v[4:5], v[20:21]
	v_add_f64_e32 v[151:152], v[151:152], v[163:164]
	v_add_f64_e32 v[153:154], v[153:154], v[157:158]
	s_wait_loadcnt_dscnt 0x800
	v_mul_f64_e32 v[157:158], v[6:7], v[24:25]
	v_mul_f64_e32 v[24:25], v[8:9], v[24:25]
	v_fma_f64 v[155:156], v[4:5], v[18:19], v[155:156]
	v_fma_f64 v[18:19], v[2:3], v[18:19], -v[20:21]
	ds_load_b128 v[2:5], v1 offset:1472
	v_add_f64_e32 v[20:21], v[151:152], v[161:162]
	v_add_f64_e32 v[151:152], v[153:154], v[159:160]
	v_fma_f64 v[157:158], v[8:9], v[22:23], v[157:158]
	v_fma_f64 v[22:23], v[6:7], v[22:23], -v[24:25]
	ds_load_b128 v[6:9], v1 offset:1488
	s_wait_loadcnt_dscnt 0x701
	v_mul_f64_e32 v[153:154], v[2:3], v[28:29]
	v_mul_f64_e32 v[28:29], v[4:5], v[28:29]
	s_wait_loadcnt_dscnt 0x600
	v_mul_f64_e32 v[24:25], v[6:7], v[32:33]
	v_mul_f64_e32 v[32:33], v[8:9], v[32:33]
	v_add_f64_e32 v[18:19], v[20:21], v[18:19]
	v_add_f64_e32 v[20:21], v[151:152], v[155:156]
	v_fma_f64 v[151:152], v[4:5], v[26:27], v[153:154]
	v_fma_f64 v[26:27], v[2:3], v[26:27], -v[28:29]
	ds_load_b128 v[2:5], v1 offset:1504
	v_fma_f64 v[24:25], v[8:9], v[30:31], v[24:25]
	v_fma_f64 v[30:31], v[6:7], v[30:31], -v[32:33]
	ds_load_b128 v[6:9], v1 offset:1520
	v_add_f64_e32 v[22:23], v[18:19], v[22:23]
	v_add_f64_e32 v[28:29], v[20:21], v[157:158]
	scratch_load_b128 v[18:21], off, off offset:576
	s_wait_loadcnt_dscnt 0x601
	v_mul_f64_e32 v[153:154], v[2:3], v[40:41]
	v_mul_f64_e32 v[40:41], v[4:5], v[40:41]
	s_wait_loadcnt_dscnt 0x500
	v_mul_f64_e32 v[32:33], v[8:9], v[149:150]
	v_add_f64_e32 v[22:23], v[22:23], v[26:27]
	v_add_f64_e32 v[26:27], v[28:29], v[151:152]
	v_mul_f64_e32 v[28:29], v[6:7], v[149:150]
	v_fma_f64 v[149:150], v[4:5], v[38:39], v[153:154]
	v_fma_f64 v[38:39], v[2:3], v[38:39], -v[40:41]
	ds_load_b128 v[2:5], v1 offset:1536
	v_fma_f64 v[32:33], v[6:7], v[147:148], -v[32:33]
	v_add_f64_e32 v[22:23], v[22:23], v[30:31]
	v_add_f64_e32 v[24:25], v[26:27], v[24:25]
	v_fma_f64 v[28:29], v[8:9], v[147:148], v[28:29]
	ds_load_b128 v[6:9], v1 offset:1552
	s_wait_loadcnt_dscnt 0x401
	v_mul_f64_e32 v[26:27], v[2:3], v[36:37]
	v_mul_f64_e32 v[30:31], v[4:5], v[36:37]
	s_wait_loadcnt_dscnt 0x300
	v_mul_f64_e32 v[36:37], v[6:7], v[145:146]
	v_add_f64_e32 v[22:23], v[22:23], v[38:39]
	v_add_f64_e32 v[24:25], v[24:25], v[149:150]
	v_mul_f64_e32 v[38:39], v[8:9], v[145:146]
	v_fma_f64 v[26:27], v[4:5], v[34:35], v[26:27]
	v_fma_f64 v[30:31], v[2:3], v[34:35], -v[30:31]
	ds_load_b128 v[2:5], v1 offset:1568
	v_add_f64_e32 v[22:23], v[22:23], v[32:33]
	v_add_f64_e32 v[24:25], v[24:25], v[28:29]
	v_fma_f64 v[32:33], v[8:9], v[143:144], v[36:37]
	v_fma_f64 v[34:35], v[6:7], v[143:144], -v[38:39]
	ds_load_b128 v[6:9], v1 offset:1584
	s_wait_loadcnt_dscnt 0x201
	v_mul_f64_e32 v[28:29], v[2:3], v[12:13]
	v_mul_f64_e32 v[12:13], v[4:5], v[12:13]
	v_add_f64_e32 v[22:23], v[22:23], v[30:31]
	v_add_f64_e32 v[24:25], v[24:25], v[26:27]
	s_wait_loadcnt_dscnt 0x100
	v_mul_f64_e32 v[26:27], v[6:7], v[16:17]
	v_mul_f64_e32 v[16:17], v[8:9], v[16:17]
	v_fma_f64 v[4:5], v[4:5], v[10:11], v[28:29]
	v_fma_f64 v[1:2], v[2:3], v[10:11], -v[12:13]
	v_add_f64_e32 v[10:11], v[22:23], v[34:35]
	v_add_f64_e32 v[12:13], v[24:25], v[32:33]
	v_fma_f64 v[8:9], v[8:9], v[14:15], v[26:27]
	v_fma_f64 v[6:7], v[6:7], v[14:15], -v[16:17]
	s_delay_alu instid0(VALU_DEP_4) | instskip(NEXT) | instid1(VALU_DEP_4)
	v_add_f64_e32 v[1:2], v[10:11], v[1:2]
	v_add_f64_e32 v[3:4], v[12:13], v[4:5]
	s_delay_alu instid0(VALU_DEP_2) | instskip(NEXT) | instid1(VALU_DEP_2)
	v_add_f64_e32 v[1:2], v[1:2], v[6:7]
	v_add_f64_e32 v[3:4], v[3:4], v[8:9]
	s_wait_loadcnt 0x0
	s_delay_alu instid0(VALU_DEP_2) | instskip(NEXT) | instid1(VALU_DEP_2)
	v_add_f64_e64 v[1:2], v[18:19], -v[1:2]
	v_add_f64_e64 v[3:4], v[20:21], -v[3:4]
	scratch_store_b128 off, v[1:4], off offset:576
	v_cmpx_lt_u32_e32 34, v0
	s_cbranch_execz .LBB49_245
; %bb.244:
	scratch_load_b128 v[1:4], off, s15
	v_mov_b32_e32 v5, 0
	s_delay_alu instid0(VALU_DEP_1)
	v_dual_mov_b32 v6, v5 :: v_dual_mov_b32 v7, v5
	v_mov_b32_e32 v8, v5
	scratch_store_b128 off, v[5:8], off offset:560
	s_wait_loadcnt 0x0
	ds_store_b128 v142, v[1:4]
.LBB49_245:
	s_wait_alu 0xfffe
	s_or_b32 exec_lo, exec_lo, s0
	s_wait_storecnt_dscnt 0x0
	s_barrier_signal -1
	s_barrier_wait -1
	global_inv scope:SCOPE_SE
	s_clause 0x7
	scratch_load_b128 v[2:5], off, off offset:576
	scratch_load_b128 v[6:9], off, off offset:592
	;; [unrolled: 1-line block ×8, first 2 shown]
	v_mov_b32_e32 v1, 0
	s_clause 0x1
	scratch_load_b128 v[38:41], off, off offset:704
	scratch_load_b128 v[147:150], off, off offset:720
	s_mov_b32 s0, exec_lo
	ds_load_b128 v[34:37], v1 offset:1360
	ds_load_b128 v[143:146], v1 offset:1376
	s_wait_loadcnt_dscnt 0x901
	v_mul_f64_e32 v[151:152], v[36:37], v[4:5]
	v_mul_f64_e32 v[4:5], v[34:35], v[4:5]
	s_wait_loadcnt_dscnt 0x800
	v_mul_f64_e32 v[153:154], v[143:144], v[8:9]
	v_mul_f64_e32 v[8:9], v[145:146], v[8:9]
	s_delay_alu instid0(VALU_DEP_4) | instskip(NEXT) | instid1(VALU_DEP_4)
	v_fma_f64 v[151:152], v[34:35], v[2:3], -v[151:152]
	v_fma_f64 v[155:156], v[36:37], v[2:3], v[4:5]
	ds_load_b128 v[2:5], v1 offset:1392
	scratch_load_b128 v[34:37], off, off offset:736
	v_fma_f64 v[153:154], v[145:146], v[6:7], v[153:154]
	v_fma_f64 v[159:160], v[143:144], v[6:7], -v[8:9]
	ds_load_b128 v[6:9], v1 offset:1408
	scratch_load_b128 v[143:146], off, off offset:752
	s_wait_loadcnt_dscnt 0x901
	v_mul_f64_e32 v[157:158], v[2:3], v[12:13]
	v_mul_f64_e32 v[12:13], v[4:5], v[12:13]
	s_wait_loadcnt_dscnt 0x800
	v_mul_f64_e32 v[161:162], v[6:7], v[16:17]
	v_mul_f64_e32 v[16:17], v[8:9], v[16:17]
	v_add_f64_e32 v[151:152], 0, v[151:152]
	v_add_f64_e32 v[155:156], 0, v[155:156]
	v_fma_f64 v[157:158], v[4:5], v[10:11], v[157:158]
	v_fma_f64 v[163:164], v[2:3], v[10:11], -v[12:13]
	ds_load_b128 v[2:5], v1 offset:1424
	scratch_load_b128 v[10:13], off, off offset:768
	v_add_f64_e32 v[151:152], v[151:152], v[159:160]
	v_add_f64_e32 v[153:154], v[155:156], v[153:154]
	v_fma_f64 v[159:160], v[8:9], v[14:15], v[161:162]
	v_fma_f64 v[161:162], v[6:7], v[14:15], -v[16:17]
	ds_load_b128 v[6:9], v1 offset:1440
	scratch_load_b128 v[14:17], off, off offset:784
	s_wait_loadcnt_dscnt 0x901
	v_mul_f64_e32 v[155:156], v[2:3], v[20:21]
	v_mul_f64_e32 v[20:21], v[4:5], v[20:21]
	v_add_f64_e32 v[151:152], v[151:152], v[163:164]
	v_add_f64_e32 v[153:154], v[153:154], v[157:158]
	s_wait_loadcnt_dscnt 0x800
	v_mul_f64_e32 v[157:158], v[6:7], v[24:25]
	v_mul_f64_e32 v[24:25], v[8:9], v[24:25]
	v_fma_f64 v[155:156], v[4:5], v[18:19], v[155:156]
	v_fma_f64 v[163:164], v[2:3], v[18:19], -v[20:21]
	ds_load_b128 v[2:5], v1 offset:1456
	scratch_load_b128 v[18:21], off, off offset:800
	v_add_f64_e32 v[151:152], v[151:152], v[161:162]
	v_add_f64_e32 v[153:154], v[153:154], v[159:160]
	v_fma_f64 v[157:158], v[8:9], v[22:23], v[157:158]
	v_fma_f64 v[22:23], v[6:7], v[22:23], -v[24:25]
	ds_load_b128 v[6:9], v1 offset:1472
	s_wait_loadcnt_dscnt 0x801
	v_mul_f64_e32 v[159:160], v[2:3], v[28:29]
	v_mul_f64_e32 v[28:29], v[4:5], v[28:29]
	v_add_f64_e32 v[24:25], v[151:152], v[163:164]
	v_add_f64_e32 v[151:152], v[153:154], v[155:156]
	s_wait_loadcnt_dscnt 0x700
	v_mul_f64_e32 v[153:154], v[6:7], v[32:33]
	v_mul_f64_e32 v[32:33], v[8:9], v[32:33]
	v_fma_f64 v[155:156], v[4:5], v[26:27], v[159:160]
	v_fma_f64 v[26:27], v[2:3], v[26:27], -v[28:29]
	ds_load_b128 v[2:5], v1 offset:1488
	v_add_f64_e32 v[22:23], v[24:25], v[22:23]
	v_add_f64_e32 v[24:25], v[151:152], v[157:158]
	v_fma_f64 v[151:152], v[8:9], v[30:31], v[153:154]
	v_fma_f64 v[30:31], v[6:7], v[30:31], -v[32:33]
	ds_load_b128 v[6:9], v1 offset:1504
	s_wait_loadcnt_dscnt 0x500
	v_mul_f64_e32 v[153:154], v[6:7], v[149:150]
	v_mul_f64_e32 v[149:150], v[8:9], v[149:150]
	v_add_f64_e32 v[26:27], v[22:23], v[26:27]
	v_add_f64_e32 v[32:33], v[24:25], v[155:156]
	scratch_load_b128 v[22:25], off, off offset:560
	v_mul_f64_e32 v[28:29], v[2:3], v[40:41]
	v_mul_f64_e32 v[40:41], v[4:5], v[40:41]
	v_add_f64_e32 v[26:27], v[26:27], v[30:31]
	v_add_f64_e32 v[30:31], v[32:33], v[151:152]
	s_delay_alu instid0(VALU_DEP_4) | instskip(NEXT) | instid1(VALU_DEP_4)
	v_fma_f64 v[28:29], v[4:5], v[38:39], v[28:29]
	v_fma_f64 v[38:39], v[2:3], v[38:39], -v[40:41]
	ds_load_b128 v[2:5], v1 offset:1520
	v_fma_f64 v[40:41], v[8:9], v[147:148], v[153:154]
	v_fma_f64 v[147:148], v[6:7], v[147:148], -v[149:150]
	ds_load_b128 v[6:9], v1 offset:1536
	s_wait_loadcnt_dscnt 0x501
	v_mul_f64_e32 v[32:33], v[2:3], v[36:37]
	v_mul_f64_e32 v[36:37], v[4:5], v[36:37]
	v_add_f64_e32 v[28:29], v[30:31], v[28:29]
	v_add_f64_e32 v[26:27], v[26:27], v[38:39]
	s_wait_loadcnt_dscnt 0x400
	v_mul_f64_e32 v[30:31], v[6:7], v[145:146]
	v_mul_f64_e32 v[38:39], v[8:9], v[145:146]
	v_fma_f64 v[32:33], v[4:5], v[34:35], v[32:33]
	v_fma_f64 v[34:35], v[2:3], v[34:35], -v[36:37]
	ds_load_b128 v[2:5], v1 offset:1552
	v_add_f64_e32 v[28:29], v[28:29], v[40:41]
	v_add_f64_e32 v[26:27], v[26:27], v[147:148]
	v_fma_f64 v[30:31], v[8:9], v[143:144], v[30:31]
	v_fma_f64 v[38:39], v[6:7], v[143:144], -v[38:39]
	ds_load_b128 v[6:9], v1 offset:1568
	s_wait_loadcnt_dscnt 0x301
	v_mul_f64_e32 v[36:37], v[2:3], v[12:13]
	v_mul_f64_e32 v[12:13], v[4:5], v[12:13]
	v_add_f64_e32 v[28:29], v[28:29], v[32:33]
	v_add_f64_e32 v[26:27], v[26:27], v[34:35]
	s_wait_loadcnt_dscnt 0x200
	v_mul_f64_e32 v[32:33], v[6:7], v[16:17]
	v_mul_f64_e32 v[16:17], v[8:9], v[16:17]
	v_fma_f64 v[34:35], v[4:5], v[10:11], v[36:37]
	v_fma_f64 v[10:11], v[2:3], v[10:11], -v[12:13]
	ds_load_b128 v[2:5], v1 offset:1584
	v_add_f64_e32 v[12:13], v[26:27], v[38:39]
	v_add_f64_e32 v[26:27], v[28:29], v[30:31]
	s_wait_loadcnt_dscnt 0x100
	v_mul_f64_e32 v[28:29], v[2:3], v[20:21]
	v_mul_f64_e32 v[20:21], v[4:5], v[20:21]
	v_fma_f64 v[8:9], v[8:9], v[14:15], v[32:33]
	v_fma_f64 v[6:7], v[6:7], v[14:15], -v[16:17]
	v_add_f64_e32 v[10:11], v[12:13], v[10:11]
	v_add_f64_e32 v[12:13], v[26:27], v[34:35]
	v_fma_f64 v[4:5], v[4:5], v[18:19], v[28:29]
	v_fma_f64 v[2:3], v[2:3], v[18:19], -v[20:21]
	s_delay_alu instid0(VALU_DEP_4) | instskip(NEXT) | instid1(VALU_DEP_4)
	v_add_f64_e32 v[6:7], v[10:11], v[6:7]
	v_add_f64_e32 v[8:9], v[12:13], v[8:9]
	s_delay_alu instid0(VALU_DEP_2) | instskip(NEXT) | instid1(VALU_DEP_2)
	v_add_f64_e32 v[2:3], v[6:7], v[2:3]
	v_add_f64_e32 v[4:5], v[8:9], v[4:5]
	s_wait_loadcnt 0x0
	s_delay_alu instid0(VALU_DEP_2) | instskip(NEXT) | instid1(VALU_DEP_2)
	v_add_f64_e64 v[2:3], v[22:23], -v[2:3]
	v_add_f64_e64 v[4:5], v[24:25], -v[4:5]
	scratch_store_b128 off, v[2:5], off offset:560
	v_cmpx_lt_u32_e32 33, v0
	s_cbranch_execz .LBB49_247
; %bb.246:
	scratch_load_b128 v[5:8], off, s14
	v_dual_mov_b32 v2, v1 :: v_dual_mov_b32 v3, v1
	v_mov_b32_e32 v4, v1
	scratch_store_b128 off, v[1:4], off offset:544
	s_wait_loadcnt 0x0
	ds_store_b128 v142, v[5:8]
.LBB49_247:
	s_wait_alu 0xfffe
	s_or_b32 exec_lo, exec_lo, s0
	s_wait_storecnt_dscnt 0x0
	s_barrier_signal -1
	s_barrier_wait -1
	global_inv scope:SCOPE_SE
	s_clause 0x7
	scratch_load_b128 v[2:5], off, off offset:560
	scratch_load_b128 v[6:9], off, off offset:576
	;; [unrolled: 1-line block ×8, first 2 shown]
	ds_load_b128 v[34:37], v1 offset:1344
	ds_load_b128 v[143:146], v1 offset:1360
	s_clause 0x1
	scratch_load_b128 v[38:41], off, off offset:688
	scratch_load_b128 v[147:150], off, off offset:704
	s_mov_b32 s0, exec_lo
	s_wait_loadcnt_dscnt 0x901
	v_mul_f64_e32 v[151:152], v[36:37], v[4:5]
	v_mul_f64_e32 v[4:5], v[34:35], v[4:5]
	s_wait_loadcnt_dscnt 0x800
	v_mul_f64_e32 v[153:154], v[143:144], v[8:9]
	v_mul_f64_e32 v[8:9], v[145:146], v[8:9]
	s_delay_alu instid0(VALU_DEP_4) | instskip(NEXT) | instid1(VALU_DEP_4)
	v_fma_f64 v[151:152], v[34:35], v[2:3], -v[151:152]
	v_fma_f64 v[155:156], v[36:37], v[2:3], v[4:5]
	ds_load_b128 v[2:5], v1 offset:1376
	scratch_load_b128 v[34:37], off, off offset:720
	v_fma_f64 v[153:154], v[145:146], v[6:7], v[153:154]
	v_fma_f64 v[159:160], v[143:144], v[6:7], -v[8:9]
	ds_load_b128 v[6:9], v1 offset:1392
	scratch_load_b128 v[143:146], off, off offset:736
	s_wait_loadcnt_dscnt 0x901
	v_mul_f64_e32 v[157:158], v[2:3], v[12:13]
	v_mul_f64_e32 v[12:13], v[4:5], v[12:13]
	s_wait_loadcnt_dscnt 0x800
	v_mul_f64_e32 v[161:162], v[6:7], v[16:17]
	v_mul_f64_e32 v[16:17], v[8:9], v[16:17]
	v_add_f64_e32 v[151:152], 0, v[151:152]
	v_add_f64_e32 v[155:156], 0, v[155:156]
	v_fma_f64 v[157:158], v[4:5], v[10:11], v[157:158]
	v_fma_f64 v[163:164], v[2:3], v[10:11], -v[12:13]
	ds_load_b128 v[2:5], v1 offset:1408
	scratch_load_b128 v[10:13], off, off offset:752
	v_add_f64_e32 v[151:152], v[151:152], v[159:160]
	v_add_f64_e32 v[153:154], v[155:156], v[153:154]
	v_fma_f64 v[159:160], v[8:9], v[14:15], v[161:162]
	v_fma_f64 v[161:162], v[6:7], v[14:15], -v[16:17]
	ds_load_b128 v[6:9], v1 offset:1424
	scratch_load_b128 v[14:17], off, off offset:768
	s_wait_loadcnt_dscnt 0x901
	v_mul_f64_e32 v[155:156], v[2:3], v[20:21]
	v_mul_f64_e32 v[20:21], v[4:5], v[20:21]
	v_add_f64_e32 v[151:152], v[151:152], v[163:164]
	v_add_f64_e32 v[153:154], v[153:154], v[157:158]
	s_wait_loadcnt_dscnt 0x800
	v_mul_f64_e32 v[157:158], v[6:7], v[24:25]
	v_mul_f64_e32 v[24:25], v[8:9], v[24:25]
	v_fma_f64 v[155:156], v[4:5], v[18:19], v[155:156]
	v_fma_f64 v[163:164], v[2:3], v[18:19], -v[20:21]
	ds_load_b128 v[2:5], v1 offset:1440
	scratch_load_b128 v[18:21], off, off offset:784
	v_add_f64_e32 v[151:152], v[151:152], v[161:162]
	v_add_f64_e32 v[153:154], v[153:154], v[159:160]
	v_fma_f64 v[157:158], v[8:9], v[22:23], v[157:158]
	v_fma_f64 v[161:162], v[6:7], v[22:23], -v[24:25]
	ds_load_b128 v[6:9], v1 offset:1456
	s_wait_loadcnt_dscnt 0x801
	v_mul_f64_e32 v[159:160], v[2:3], v[28:29]
	v_mul_f64_e32 v[28:29], v[4:5], v[28:29]
	scratch_load_b128 v[22:25], off, off offset:800
	v_add_f64_e32 v[151:152], v[151:152], v[163:164]
	v_add_f64_e32 v[153:154], v[153:154], v[155:156]
	s_wait_loadcnt_dscnt 0x800
	v_mul_f64_e32 v[155:156], v[6:7], v[32:33]
	v_mul_f64_e32 v[32:33], v[8:9], v[32:33]
	v_fma_f64 v[159:160], v[4:5], v[26:27], v[159:160]
	v_fma_f64 v[26:27], v[2:3], v[26:27], -v[28:29]
	ds_load_b128 v[2:5], v1 offset:1472
	v_add_f64_e32 v[28:29], v[151:152], v[161:162]
	v_add_f64_e32 v[151:152], v[153:154], v[157:158]
	v_fma_f64 v[155:156], v[8:9], v[30:31], v[155:156]
	v_fma_f64 v[30:31], v[6:7], v[30:31], -v[32:33]
	ds_load_b128 v[6:9], v1 offset:1488
	s_wait_loadcnt_dscnt 0x701
	v_mul_f64_e32 v[153:154], v[2:3], v[40:41]
	v_mul_f64_e32 v[40:41], v[4:5], v[40:41]
	v_add_f64_e32 v[26:27], v[28:29], v[26:27]
	v_add_f64_e32 v[28:29], v[151:152], v[159:160]
	s_delay_alu instid0(VALU_DEP_4) | instskip(NEXT) | instid1(VALU_DEP_4)
	v_fma_f64 v[151:152], v[4:5], v[38:39], v[153:154]
	v_fma_f64 v[38:39], v[2:3], v[38:39], -v[40:41]
	ds_load_b128 v[2:5], v1 offset:1504
	v_add_f64_e32 v[30:31], v[26:27], v[30:31]
	v_add_f64_e32 v[40:41], v[28:29], v[155:156]
	scratch_load_b128 v[26:29], off, off offset:544
	s_wait_loadcnt_dscnt 0x701
	v_mul_f64_e32 v[32:33], v[6:7], v[149:150]
	v_mul_f64_e32 v[149:150], v[8:9], v[149:150]
	v_add_f64_e32 v[30:31], v[30:31], v[38:39]
	v_add_f64_e32 v[38:39], v[40:41], v[151:152]
	s_delay_alu instid0(VALU_DEP_4) | instskip(NEXT) | instid1(VALU_DEP_4)
	v_fma_f64 v[32:33], v[8:9], v[147:148], v[32:33]
	v_fma_f64 v[147:148], v[6:7], v[147:148], -v[149:150]
	ds_load_b128 v[6:9], v1 offset:1520
	s_wait_loadcnt_dscnt 0x601
	v_mul_f64_e32 v[153:154], v[2:3], v[36:37]
	v_mul_f64_e32 v[36:37], v[4:5], v[36:37]
	s_wait_loadcnt_dscnt 0x500
	v_mul_f64_e32 v[40:41], v[6:7], v[145:146]
	v_mul_f64_e32 v[145:146], v[8:9], v[145:146]
	v_add_f64_e32 v[32:33], v[38:39], v[32:33]
	v_add_f64_e32 v[30:31], v[30:31], v[147:148]
	v_fma_f64 v[149:150], v[4:5], v[34:35], v[153:154]
	v_fma_f64 v[34:35], v[2:3], v[34:35], -v[36:37]
	ds_load_b128 v[2:5], v1 offset:1536
	v_fma_f64 v[38:39], v[8:9], v[143:144], v[40:41]
	v_fma_f64 v[40:41], v[6:7], v[143:144], -v[145:146]
	ds_load_b128 v[6:9], v1 offset:1552
	s_wait_loadcnt_dscnt 0x401
	v_mul_f64_e32 v[36:37], v[2:3], v[12:13]
	v_mul_f64_e32 v[12:13], v[4:5], v[12:13]
	v_add_f64_e32 v[32:33], v[32:33], v[149:150]
	v_add_f64_e32 v[30:31], v[30:31], v[34:35]
	s_wait_loadcnt_dscnt 0x300
	v_mul_f64_e32 v[34:35], v[6:7], v[16:17]
	v_mul_f64_e32 v[16:17], v[8:9], v[16:17]
	v_fma_f64 v[36:37], v[4:5], v[10:11], v[36:37]
	v_fma_f64 v[10:11], v[2:3], v[10:11], -v[12:13]
	ds_load_b128 v[2:5], v1 offset:1568
	v_add_f64_e32 v[12:13], v[30:31], v[40:41]
	v_add_f64_e32 v[30:31], v[32:33], v[38:39]
	v_fma_f64 v[34:35], v[8:9], v[14:15], v[34:35]
	v_fma_f64 v[14:15], v[6:7], v[14:15], -v[16:17]
	ds_load_b128 v[6:9], v1 offset:1584
	s_wait_loadcnt_dscnt 0x201
	v_mul_f64_e32 v[32:33], v[2:3], v[20:21]
	v_mul_f64_e32 v[20:21], v[4:5], v[20:21]
	s_wait_loadcnt_dscnt 0x100
	v_mul_f64_e32 v[16:17], v[6:7], v[24:25]
	v_mul_f64_e32 v[24:25], v[8:9], v[24:25]
	v_add_f64_e32 v[10:11], v[12:13], v[10:11]
	v_add_f64_e32 v[12:13], v[30:31], v[36:37]
	v_fma_f64 v[4:5], v[4:5], v[18:19], v[32:33]
	v_fma_f64 v[1:2], v[2:3], v[18:19], -v[20:21]
	v_fma_f64 v[8:9], v[8:9], v[22:23], v[16:17]
	v_fma_f64 v[6:7], v[6:7], v[22:23], -v[24:25]
	v_add_f64_e32 v[10:11], v[10:11], v[14:15]
	v_add_f64_e32 v[12:13], v[12:13], v[34:35]
	s_delay_alu instid0(VALU_DEP_2) | instskip(NEXT) | instid1(VALU_DEP_2)
	v_add_f64_e32 v[1:2], v[10:11], v[1:2]
	v_add_f64_e32 v[3:4], v[12:13], v[4:5]
	s_delay_alu instid0(VALU_DEP_2) | instskip(NEXT) | instid1(VALU_DEP_2)
	v_add_f64_e32 v[1:2], v[1:2], v[6:7]
	v_add_f64_e32 v[3:4], v[3:4], v[8:9]
	s_wait_loadcnt 0x0
	s_delay_alu instid0(VALU_DEP_2) | instskip(NEXT) | instid1(VALU_DEP_2)
	v_add_f64_e64 v[1:2], v[26:27], -v[1:2]
	v_add_f64_e64 v[3:4], v[28:29], -v[3:4]
	scratch_store_b128 off, v[1:4], off offset:544
	v_cmpx_lt_u32_e32 32, v0
	s_cbranch_execz .LBB49_249
; %bb.248:
	scratch_load_b128 v[1:4], off, s20
	v_mov_b32_e32 v5, 0
	s_delay_alu instid0(VALU_DEP_1)
	v_dual_mov_b32 v6, v5 :: v_dual_mov_b32 v7, v5
	v_mov_b32_e32 v8, v5
	scratch_store_b128 off, v[5:8], off offset:528
	s_wait_loadcnt 0x0
	ds_store_b128 v142, v[1:4]
.LBB49_249:
	s_wait_alu 0xfffe
	s_or_b32 exec_lo, exec_lo, s0
	s_wait_storecnt_dscnt 0x0
	s_barrier_signal -1
	s_barrier_wait -1
	global_inv scope:SCOPE_SE
	s_clause 0x7
	scratch_load_b128 v[2:5], off, off offset:544
	scratch_load_b128 v[6:9], off, off offset:560
	;; [unrolled: 1-line block ×8, first 2 shown]
	v_mov_b32_e32 v1, 0
	s_clause 0x1
	scratch_load_b128 v[38:41], off, off offset:672
	scratch_load_b128 v[147:150], off, off offset:688
	s_mov_b32 s0, exec_lo
	ds_load_b128 v[34:37], v1 offset:1328
	ds_load_b128 v[143:146], v1 offset:1344
	s_wait_loadcnt_dscnt 0x901
	v_mul_f64_e32 v[151:152], v[36:37], v[4:5]
	v_mul_f64_e32 v[4:5], v[34:35], v[4:5]
	s_wait_loadcnt_dscnt 0x800
	v_mul_f64_e32 v[153:154], v[143:144], v[8:9]
	v_mul_f64_e32 v[8:9], v[145:146], v[8:9]
	s_delay_alu instid0(VALU_DEP_4) | instskip(NEXT) | instid1(VALU_DEP_4)
	v_fma_f64 v[151:152], v[34:35], v[2:3], -v[151:152]
	v_fma_f64 v[155:156], v[36:37], v[2:3], v[4:5]
	ds_load_b128 v[2:5], v1 offset:1360
	scratch_load_b128 v[34:37], off, off offset:704
	v_fma_f64 v[153:154], v[145:146], v[6:7], v[153:154]
	v_fma_f64 v[159:160], v[143:144], v[6:7], -v[8:9]
	ds_load_b128 v[6:9], v1 offset:1376
	scratch_load_b128 v[143:146], off, off offset:720
	s_wait_loadcnt_dscnt 0x901
	v_mul_f64_e32 v[157:158], v[2:3], v[12:13]
	v_mul_f64_e32 v[12:13], v[4:5], v[12:13]
	s_wait_loadcnt_dscnt 0x800
	v_mul_f64_e32 v[161:162], v[6:7], v[16:17]
	v_mul_f64_e32 v[16:17], v[8:9], v[16:17]
	v_add_f64_e32 v[151:152], 0, v[151:152]
	v_add_f64_e32 v[155:156], 0, v[155:156]
	v_fma_f64 v[157:158], v[4:5], v[10:11], v[157:158]
	v_fma_f64 v[163:164], v[2:3], v[10:11], -v[12:13]
	ds_load_b128 v[2:5], v1 offset:1392
	scratch_load_b128 v[10:13], off, off offset:736
	v_add_f64_e32 v[151:152], v[151:152], v[159:160]
	v_add_f64_e32 v[153:154], v[155:156], v[153:154]
	v_fma_f64 v[159:160], v[8:9], v[14:15], v[161:162]
	v_fma_f64 v[161:162], v[6:7], v[14:15], -v[16:17]
	ds_load_b128 v[6:9], v1 offset:1408
	scratch_load_b128 v[14:17], off, off offset:752
	s_wait_loadcnt_dscnt 0x901
	v_mul_f64_e32 v[155:156], v[2:3], v[20:21]
	v_mul_f64_e32 v[20:21], v[4:5], v[20:21]
	v_add_f64_e32 v[151:152], v[151:152], v[163:164]
	v_add_f64_e32 v[153:154], v[153:154], v[157:158]
	s_wait_loadcnt_dscnt 0x800
	v_mul_f64_e32 v[157:158], v[6:7], v[24:25]
	v_mul_f64_e32 v[24:25], v[8:9], v[24:25]
	v_fma_f64 v[155:156], v[4:5], v[18:19], v[155:156]
	v_fma_f64 v[163:164], v[2:3], v[18:19], -v[20:21]
	ds_load_b128 v[2:5], v1 offset:1424
	scratch_load_b128 v[18:21], off, off offset:768
	v_add_f64_e32 v[151:152], v[151:152], v[161:162]
	v_add_f64_e32 v[153:154], v[153:154], v[159:160]
	v_fma_f64 v[157:158], v[8:9], v[22:23], v[157:158]
	v_fma_f64 v[161:162], v[6:7], v[22:23], -v[24:25]
	ds_load_b128 v[6:9], v1 offset:1440
	s_wait_loadcnt_dscnt 0x801
	v_mul_f64_e32 v[159:160], v[2:3], v[28:29]
	v_mul_f64_e32 v[28:29], v[4:5], v[28:29]
	scratch_load_b128 v[22:25], off, off offset:784
	v_add_f64_e32 v[151:152], v[151:152], v[163:164]
	v_add_f64_e32 v[153:154], v[153:154], v[155:156]
	s_wait_loadcnt_dscnt 0x800
	v_mul_f64_e32 v[155:156], v[6:7], v[32:33]
	v_mul_f64_e32 v[32:33], v[8:9], v[32:33]
	v_fma_f64 v[159:160], v[4:5], v[26:27], v[159:160]
	v_fma_f64 v[163:164], v[2:3], v[26:27], -v[28:29]
	ds_load_b128 v[2:5], v1 offset:1456
	scratch_load_b128 v[26:29], off, off offset:800
	v_add_f64_e32 v[151:152], v[151:152], v[161:162]
	v_add_f64_e32 v[153:154], v[153:154], v[157:158]
	v_fma_f64 v[155:156], v[8:9], v[30:31], v[155:156]
	v_fma_f64 v[30:31], v[6:7], v[30:31], -v[32:33]
	ds_load_b128 v[6:9], v1 offset:1472
	s_wait_loadcnt_dscnt 0x801
	v_mul_f64_e32 v[157:158], v[2:3], v[40:41]
	v_mul_f64_e32 v[40:41], v[4:5], v[40:41]
	v_add_f64_e32 v[32:33], v[151:152], v[163:164]
	v_add_f64_e32 v[151:152], v[153:154], v[159:160]
	s_wait_loadcnt_dscnt 0x700
	v_mul_f64_e32 v[153:154], v[6:7], v[149:150]
	v_mul_f64_e32 v[149:150], v[8:9], v[149:150]
	v_fma_f64 v[157:158], v[4:5], v[38:39], v[157:158]
	v_fma_f64 v[38:39], v[2:3], v[38:39], -v[40:41]
	ds_load_b128 v[2:5], v1 offset:1488
	v_add_f64_e32 v[30:31], v[32:33], v[30:31]
	v_add_f64_e32 v[32:33], v[151:152], v[155:156]
	v_fma_f64 v[151:152], v[8:9], v[147:148], v[153:154]
	v_fma_f64 v[147:148], v[6:7], v[147:148], -v[149:150]
	ds_load_b128 v[6:9], v1 offset:1504
	s_wait_loadcnt_dscnt 0x500
	v_mul_f64_e32 v[153:154], v[6:7], v[145:146]
	v_mul_f64_e32 v[145:146], v[8:9], v[145:146]
	v_add_f64_e32 v[38:39], v[30:31], v[38:39]
	v_add_f64_e32 v[149:150], v[32:33], v[157:158]
	scratch_load_b128 v[30:33], off, off offset:528
	v_mul_f64_e32 v[40:41], v[2:3], v[36:37]
	v_mul_f64_e32 v[36:37], v[4:5], v[36:37]
	s_delay_alu instid0(VALU_DEP_2) | instskip(NEXT) | instid1(VALU_DEP_2)
	v_fma_f64 v[40:41], v[4:5], v[34:35], v[40:41]
	v_fma_f64 v[34:35], v[2:3], v[34:35], -v[36:37]
	v_add_f64_e32 v[36:37], v[38:39], v[147:148]
	v_add_f64_e32 v[38:39], v[149:150], v[151:152]
	ds_load_b128 v[2:5], v1 offset:1520
	v_fma_f64 v[149:150], v[8:9], v[143:144], v[153:154]
	v_fma_f64 v[143:144], v[6:7], v[143:144], -v[145:146]
	ds_load_b128 v[6:9], v1 offset:1536
	s_wait_loadcnt_dscnt 0x501
	v_mul_f64_e32 v[147:148], v[2:3], v[12:13]
	v_mul_f64_e32 v[12:13], v[4:5], v[12:13]
	v_add_f64_e32 v[34:35], v[36:37], v[34:35]
	v_add_f64_e32 v[36:37], v[38:39], v[40:41]
	s_wait_loadcnt_dscnt 0x400
	v_mul_f64_e32 v[38:39], v[6:7], v[16:17]
	v_mul_f64_e32 v[16:17], v[8:9], v[16:17]
	v_fma_f64 v[40:41], v[4:5], v[10:11], v[147:148]
	v_fma_f64 v[10:11], v[2:3], v[10:11], -v[12:13]
	ds_load_b128 v[2:5], v1 offset:1552
	v_add_f64_e32 v[12:13], v[34:35], v[143:144]
	v_add_f64_e32 v[34:35], v[36:37], v[149:150]
	v_fma_f64 v[38:39], v[8:9], v[14:15], v[38:39]
	v_fma_f64 v[14:15], v[6:7], v[14:15], -v[16:17]
	ds_load_b128 v[6:9], v1 offset:1568
	s_wait_loadcnt_dscnt 0x301
	v_mul_f64_e32 v[36:37], v[2:3], v[20:21]
	v_mul_f64_e32 v[20:21], v[4:5], v[20:21]
	s_wait_loadcnt_dscnt 0x200
	v_mul_f64_e32 v[16:17], v[6:7], v[24:25]
	v_mul_f64_e32 v[24:25], v[8:9], v[24:25]
	v_add_f64_e32 v[10:11], v[12:13], v[10:11]
	v_add_f64_e32 v[12:13], v[34:35], v[40:41]
	v_fma_f64 v[34:35], v[4:5], v[18:19], v[36:37]
	v_fma_f64 v[18:19], v[2:3], v[18:19], -v[20:21]
	ds_load_b128 v[2:5], v1 offset:1584
	v_fma_f64 v[8:9], v[8:9], v[22:23], v[16:17]
	v_fma_f64 v[6:7], v[6:7], v[22:23], -v[24:25]
	s_wait_loadcnt_dscnt 0x100
	v_mul_f64_e32 v[20:21], v[4:5], v[28:29]
	v_add_f64_e32 v[10:11], v[10:11], v[14:15]
	v_add_f64_e32 v[12:13], v[12:13], v[38:39]
	v_mul_f64_e32 v[14:15], v[2:3], v[28:29]
	s_delay_alu instid0(VALU_DEP_4) | instskip(NEXT) | instid1(VALU_DEP_4)
	v_fma_f64 v[2:3], v[2:3], v[26:27], -v[20:21]
	v_add_f64_e32 v[10:11], v[10:11], v[18:19]
	s_delay_alu instid0(VALU_DEP_4) | instskip(NEXT) | instid1(VALU_DEP_4)
	v_add_f64_e32 v[12:13], v[12:13], v[34:35]
	v_fma_f64 v[4:5], v[4:5], v[26:27], v[14:15]
	s_delay_alu instid0(VALU_DEP_3) | instskip(NEXT) | instid1(VALU_DEP_3)
	v_add_f64_e32 v[6:7], v[10:11], v[6:7]
	v_add_f64_e32 v[8:9], v[12:13], v[8:9]
	s_delay_alu instid0(VALU_DEP_2) | instskip(NEXT) | instid1(VALU_DEP_2)
	v_add_f64_e32 v[2:3], v[6:7], v[2:3]
	v_add_f64_e32 v[4:5], v[8:9], v[4:5]
	s_wait_loadcnt 0x0
	s_delay_alu instid0(VALU_DEP_2) | instskip(NEXT) | instid1(VALU_DEP_2)
	v_add_f64_e64 v[2:3], v[30:31], -v[2:3]
	v_add_f64_e64 v[4:5], v[32:33], -v[4:5]
	scratch_store_b128 off, v[2:5], off offset:528
	v_cmpx_lt_u32_e32 31, v0
	s_cbranch_execz .LBB49_251
; %bb.250:
	scratch_load_b128 v[5:8], off, s19
	v_dual_mov_b32 v2, v1 :: v_dual_mov_b32 v3, v1
	v_mov_b32_e32 v4, v1
	scratch_store_b128 off, v[1:4], off offset:512
	s_wait_loadcnt 0x0
	ds_store_b128 v142, v[5:8]
.LBB49_251:
	s_wait_alu 0xfffe
	s_or_b32 exec_lo, exec_lo, s0
	s_wait_storecnt_dscnt 0x0
	s_barrier_signal -1
	s_barrier_wait -1
	global_inv scope:SCOPE_SE
	s_clause 0x7
	scratch_load_b128 v[2:5], off, off offset:528
	scratch_load_b128 v[6:9], off, off offset:544
	;; [unrolled: 1-line block ×8, first 2 shown]
	ds_load_b128 v[34:37], v1 offset:1312
	ds_load_b128 v[143:146], v1 offset:1328
	s_clause 0x1
	scratch_load_b128 v[38:41], off, off offset:656
	scratch_load_b128 v[147:150], off, off offset:672
	s_mov_b32 s0, exec_lo
	s_wait_loadcnt_dscnt 0x901
	v_mul_f64_e32 v[151:152], v[36:37], v[4:5]
	v_mul_f64_e32 v[4:5], v[34:35], v[4:5]
	s_wait_loadcnt_dscnt 0x800
	v_mul_f64_e32 v[153:154], v[143:144], v[8:9]
	v_mul_f64_e32 v[8:9], v[145:146], v[8:9]
	s_delay_alu instid0(VALU_DEP_4) | instskip(NEXT) | instid1(VALU_DEP_4)
	v_fma_f64 v[151:152], v[34:35], v[2:3], -v[151:152]
	v_fma_f64 v[155:156], v[36:37], v[2:3], v[4:5]
	scratch_load_b128 v[34:37], off, off offset:688
	ds_load_b128 v[2:5], v1 offset:1344
	v_fma_f64 v[153:154], v[145:146], v[6:7], v[153:154]
	v_fma_f64 v[159:160], v[143:144], v[6:7], -v[8:9]
	ds_load_b128 v[6:9], v1 offset:1360
	scratch_load_b128 v[143:146], off, off offset:704
	s_wait_loadcnt_dscnt 0x901
	v_mul_f64_e32 v[157:158], v[2:3], v[12:13]
	v_mul_f64_e32 v[12:13], v[4:5], v[12:13]
	s_wait_loadcnt_dscnt 0x800
	v_mul_f64_e32 v[161:162], v[6:7], v[16:17]
	v_mul_f64_e32 v[16:17], v[8:9], v[16:17]
	v_add_f64_e32 v[151:152], 0, v[151:152]
	v_add_f64_e32 v[155:156], 0, v[155:156]
	v_fma_f64 v[157:158], v[4:5], v[10:11], v[157:158]
	v_fma_f64 v[163:164], v[2:3], v[10:11], -v[12:13]
	ds_load_b128 v[2:5], v1 offset:1376
	scratch_load_b128 v[10:13], off, off offset:720
	v_add_f64_e32 v[151:152], v[151:152], v[159:160]
	v_add_f64_e32 v[153:154], v[155:156], v[153:154]
	v_fma_f64 v[159:160], v[8:9], v[14:15], v[161:162]
	v_fma_f64 v[161:162], v[6:7], v[14:15], -v[16:17]
	ds_load_b128 v[6:9], v1 offset:1392
	scratch_load_b128 v[14:17], off, off offset:736
	s_wait_loadcnt_dscnt 0x901
	v_mul_f64_e32 v[155:156], v[2:3], v[20:21]
	v_mul_f64_e32 v[20:21], v[4:5], v[20:21]
	v_add_f64_e32 v[151:152], v[151:152], v[163:164]
	v_add_f64_e32 v[153:154], v[153:154], v[157:158]
	s_wait_loadcnt_dscnt 0x800
	v_mul_f64_e32 v[157:158], v[6:7], v[24:25]
	v_mul_f64_e32 v[24:25], v[8:9], v[24:25]
	v_fma_f64 v[155:156], v[4:5], v[18:19], v[155:156]
	v_fma_f64 v[163:164], v[2:3], v[18:19], -v[20:21]
	ds_load_b128 v[2:5], v1 offset:1408
	scratch_load_b128 v[18:21], off, off offset:752
	v_add_f64_e32 v[151:152], v[151:152], v[161:162]
	v_add_f64_e32 v[153:154], v[153:154], v[159:160]
	v_fma_f64 v[157:158], v[8:9], v[22:23], v[157:158]
	v_fma_f64 v[161:162], v[6:7], v[22:23], -v[24:25]
	ds_load_b128 v[6:9], v1 offset:1424
	s_wait_loadcnt_dscnt 0x801
	v_mul_f64_e32 v[159:160], v[2:3], v[28:29]
	v_mul_f64_e32 v[28:29], v[4:5], v[28:29]
	scratch_load_b128 v[22:25], off, off offset:768
	v_add_f64_e32 v[151:152], v[151:152], v[163:164]
	v_add_f64_e32 v[153:154], v[153:154], v[155:156]
	s_wait_loadcnt_dscnt 0x800
	v_mul_f64_e32 v[155:156], v[6:7], v[32:33]
	v_mul_f64_e32 v[32:33], v[8:9], v[32:33]
	v_fma_f64 v[159:160], v[4:5], v[26:27], v[159:160]
	v_fma_f64 v[163:164], v[2:3], v[26:27], -v[28:29]
	ds_load_b128 v[2:5], v1 offset:1440
	scratch_load_b128 v[26:29], off, off offset:784
	v_add_f64_e32 v[151:152], v[151:152], v[161:162]
	v_add_f64_e32 v[153:154], v[153:154], v[157:158]
	v_fma_f64 v[155:156], v[8:9], v[30:31], v[155:156]
	v_fma_f64 v[161:162], v[6:7], v[30:31], -v[32:33]
	ds_load_b128 v[6:9], v1 offset:1456
	s_wait_loadcnt_dscnt 0x801
	v_mul_f64_e32 v[157:158], v[2:3], v[40:41]
	v_mul_f64_e32 v[40:41], v[4:5], v[40:41]
	scratch_load_b128 v[30:33], off, off offset:800
	v_add_f64_e32 v[151:152], v[151:152], v[163:164]
	v_add_f64_e32 v[153:154], v[153:154], v[159:160]
	v_fma_f64 v[157:158], v[4:5], v[38:39], v[157:158]
	v_fma_f64 v[38:39], v[2:3], v[38:39], -v[40:41]
	ds_load_b128 v[2:5], v1 offset:1472
	v_add_f64_e32 v[40:41], v[151:152], v[161:162]
	v_add_f64_e32 v[151:152], v[153:154], v[155:156]
	s_wait_loadcnt_dscnt 0x700
	v_mul_f64_e32 v[153:154], v[2:3], v[36:37]
	v_mul_f64_e32 v[36:37], v[4:5], v[36:37]
	s_delay_alu instid0(VALU_DEP_4) | instskip(NEXT) | instid1(VALU_DEP_4)
	v_add_f64_e32 v[38:39], v[40:41], v[38:39]
	v_add_f64_e32 v[40:41], v[151:152], v[157:158]
	s_delay_alu instid0(VALU_DEP_4) | instskip(NEXT) | instid1(VALU_DEP_4)
	v_fma_f64 v[151:152], v[4:5], v[34:35], v[153:154]
	v_fma_f64 v[153:154], v[2:3], v[34:35], -v[36:37]
	scratch_load_b128 v[34:37], off, off offset:512
	v_mul_f64_e32 v[159:160], v[6:7], v[149:150]
	v_mul_f64_e32 v[149:150], v[8:9], v[149:150]
	ds_load_b128 v[2:5], v1 offset:1504
	v_fma_f64 v[155:156], v[8:9], v[147:148], v[159:160]
	v_fma_f64 v[147:148], v[6:7], v[147:148], -v[149:150]
	ds_load_b128 v[6:9], v1 offset:1488
	s_wait_loadcnt_dscnt 0x700
	v_mul_f64_e32 v[149:150], v[6:7], v[145:146]
	v_mul_f64_e32 v[145:146], v[8:9], v[145:146]
	v_add_f64_e32 v[40:41], v[40:41], v[155:156]
	v_add_f64_e32 v[38:39], v[38:39], v[147:148]
	s_wait_loadcnt 0x6
	v_mul_f64_e32 v[147:148], v[2:3], v[12:13]
	v_mul_f64_e32 v[12:13], v[4:5], v[12:13]
	v_fma_f64 v[149:150], v[8:9], v[143:144], v[149:150]
	v_fma_f64 v[143:144], v[6:7], v[143:144], -v[145:146]
	ds_load_b128 v[6:9], v1 offset:1520
	v_add_f64_e32 v[40:41], v[40:41], v[151:152]
	v_add_f64_e32 v[38:39], v[38:39], v[153:154]
	v_fma_f64 v[147:148], v[4:5], v[10:11], v[147:148]
	v_fma_f64 v[10:11], v[2:3], v[10:11], -v[12:13]
	ds_load_b128 v[2:5], v1 offset:1536
	s_wait_loadcnt_dscnt 0x501
	v_mul_f64_e32 v[145:146], v[6:7], v[16:17]
	v_mul_f64_e32 v[16:17], v[8:9], v[16:17]
	v_add_f64_e32 v[12:13], v[38:39], v[143:144]
	v_add_f64_e32 v[38:39], v[40:41], v[149:150]
	s_wait_loadcnt_dscnt 0x400
	v_mul_f64_e32 v[40:41], v[2:3], v[20:21]
	v_mul_f64_e32 v[20:21], v[4:5], v[20:21]
	v_fma_f64 v[143:144], v[8:9], v[14:15], v[145:146]
	v_fma_f64 v[14:15], v[6:7], v[14:15], -v[16:17]
	ds_load_b128 v[6:9], v1 offset:1552
	v_add_f64_e32 v[10:11], v[12:13], v[10:11]
	v_add_f64_e32 v[12:13], v[38:39], v[147:148]
	v_fma_f64 v[38:39], v[4:5], v[18:19], v[40:41]
	v_fma_f64 v[18:19], v[2:3], v[18:19], -v[20:21]
	ds_load_b128 v[2:5], v1 offset:1568
	s_wait_loadcnt_dscnt 0x301
	v_mul_f64_e32 v[16:17], v[6:7], v[24:25]
	v_mul_f64_e32 v[24:25], v[8:9], v[24:25]
	s_wait_loadcnt_dscnt 0x200
	v_mul_f64_e32 v[20:21], v[4:5], v[28:29]
	v_add_f64_e32 v[10:11], v[10:11], v[14:15]
	v_add_f64_e32 v[12:13], v[12:13], v[143:144]
	v_mul_f64_e32 v[14:15], v[2:3], v[28:29]
	v_fma_f64 v[16:17], v[8:9], v[22:23], v[16:17]
	v_fma_f64 v[22:23], v[6:7], v[22:23], -v[24:25]
	ds_load_b128 v[6:9], v1 offset:1584
	v_fma_f64 v[1:2], v[2:3], v[26:27], -v[20:21]
	s_wait_loadcnt_dscnt 0x100
	v_mul_f64_e32 v[24:25], v[8:9], v[32:33]
	v_add_f64_e32 v[10:11], v[10:11], v[18:19]
	v_add_f64_e32 v[12:13], v[12:13], v[38:39]
	v_mul_f64_e32 v[18:19], v[6:7], v[32:33]
	v_fma_f64 v[4:5], v[4:5], v[26:27], v[14:15]
	v_fma_f64 v[6:7], v[6:7], v[30:31], -v[24:25]
	v_add_f64_e32 v[10:11], v[10:11], v[22:23]
	v_add_f64_e32 v[12:13], v[12:13], v[16:17]
	v_fma_f64 v[8:9], v[8:9], v[30:31], v[18:19]
	s_delay_alu instid0(VALU_DEP_3) | instskip(NEXT) | instid1(VALU_DEP_3)
	v_add_f64_e32 v[1:2], v[10:11], v[1:2]
	v_add_f64_e32 v[3:4], v[12:13], v[4:5]
	s_delay_alu instid0(VALU_DEP_2) | instskip(NEXT) | instid1(VALU_DEP_2)
	v_add_f64_e32 v[1:2], v[1:2], v[6:7]
	v_add_f64_e32 v[3:4], v[3:4], v[8:9]
	s_wait_loadcnt 0x0
	s_delay_alu instid0(VALU_DEP_2) | instskip(NEXT) | instid1(VALU_DEP_2)
	v_add_f64_e64 v[1:2], v[34:35], -v[1:2]
	v_add_f64_e64 v[3:4], v[36:37], -v[3:4]
	scratch_store_b128 off, v[1:4], off offset:512
	v_cmpx_lt_u32_e32 30, v0
	s_cbranch_execz .LBB49_253
; %bb.252:
	scratch_load_b128 v[1:4], off, s22
	v_mov_b32_e32 v5, 0
	s_delay_alu instid0(VALU_DEP_1)
	v_dual_mov_b32 v6, v5 :: v_dual_mov_b32 v7, v5
	v_mov_b32_e32 v8, v5
	scratch_store_b128 off, v[5:8], off offset:496
	s_wait_loadcnt 0x0
	ds_store_b128 v142, v[1:4]
.LBB49_253:
	s_wait_alu 0xfffe
	s_or_b32 exec_lo, exec_lo, s0
	s_wait_storecnt_dscnt 0x0
	s_barrier_signal -1
	s_barrier_wait -1
	global_inv scope:SCOPE_SE
	s_clause 0x7
	scratch_load_b128 v[2:5], off, off offset:512
	scratch_load_b128 v[6:9], off, off offset:528
	;; [unrolled: 1-line block ×8, first 2 shown]
	v_mov_b32_e32 v1, 0
	s_clause 0x1
	scratch_load_b128 v[38:41], off, off offset:640
	scratch_load_b128 v[147:150], off, off offset:656
	s_mov_b32 s0, exec_lo
	ds_load_b128 v[34:37], v1 offset:1296
	ds_load_b128 v[143:146], v1 offset:1312
	s_wait_loadcnt_dscnt 0x901
	v_mul_f64_e32 v[151:152], v[36:37], v[4:5]
	v_mul_f64_e32 v[4:5], v[34:35], v[4:5]
	s_wait_loadcnt_dscnt 0x800
	v_mul_f64_e32 v[153:154], v[143:144], v[8:9]
	v_mul_f64_e32 v[8:9], v[145:146], v[8:9]
	s_delay_alu instid0(VALU_DEP_4) | instskip(NEXT) | instid1(VALU_DEP_4)
	v_fma_f64 v[151:152], v[34:35], v[2:3], -v[151:152]
	v_fma_f64 v[155:156], v[36:37], v[2:3], v[4:5]
	ds_load_b128 v[2:5], v1 offset:1328
	scratch_load_b128 v[34:37], off, off offset:672
	v_fma_f64 v[153:154], v[145:146], v[6:7], v[153:154]
	v_fma_f64 v[159:160], v[143:144], v[6:7], -v[8:9]
	ds_load_b128 v[6:9], v1 offset:1344
	scratch_load_b128 v[143:146], off, off offset:688
	s_wait_loadcnt_dscnt 0x901
	v_mul_f64_e32 v[157:158], v[2:3], v[12:13]
	v_mul_f64_e32 v[12:13], v[4:5], v[12:13]
	s_wait_loadcnt_dscnt 0x800
	v_mul_f64_e32 v[161:162], v[6:7], v[16:17]
	v_mul_f64_e32 v[16:17], v[8:9], v[16:17]
	v_add_f64_e32 v[151:152], 0, v[151:152]
	v_add_f64_e32 v[155:156], 0, v[155:156]
	v_fma_f64 v[157:158], v[4:5], v[10:11], v[157:158]
	v_fma_f64 v[163:164], v[2:3], v[10:11], -v[12:13]
	ds_load_b128 v[2:5], v1 offset:1360
	scratch_load_b128 v[10:13], off, off offset:704
	v_add_f64_e32 v[151:152], v[151:152], v[159:160]
	v_add_f64_e32 v[153:154], v[155:156], v[153:154]
	v_fma_f64 v[159:160], v[8:9], v[14:15], v[161:162]
	v_fma_f64 v[161:162], v[6:7], v[14:15], -v[16:17]
	ds_load_b128 v[6:9], v1 offset:1376
	scratch_load_b128 v[14:17], off, off offset:720
	s_wait_loadcnt_dscnt 0x901
	v_mul_f64_e32 v[155:156], v[2:3], v[20:21]
	v_mul_f64_e32 v[20:21], v[4:5], v[20:21]
	v_add_f64_e32 v[151:152], v[151:152], v[163:164]
	v_add_f64_e32 v[153:154], v[153:154], v[157:158]
	s_wait_loadcnt_dscnt 0x800
	v_mul_f64_e32 v[157:158], v[6:7], v[24:25]
	v_mul_f64_e32 v[24:25], v[8:9], v[24:25]
	v_fma_f64 v[155:156], v[4:5], v[18:19], v[155:156]
	v_fma_f64 v[163:164], v[2:3], v[18:19], -v[20:21]
	ds_load_b128 v[2:5], v1 offset:1392
	scratch_load_b128 v[18:21], off, off offset:736
	v_add_f64_e32 v[151:152], v[151:152], v[161:162]
	v_add_f64_e32 v[153:154], v[153:154], v[159:160]
	v_fma_f64 v[157:158], v[8:9], v[22:23], v[157:158]
	v_fma_f64 v[161:162], v[6:7], v[22:23], -v[24:25]
	ds_load_b128 v[6:9], v1 offset:1408
	s_wait_loadcnt_dscnt 0x801
	v_mul_f64_e32 v[159:160], v[2:3], v[28:29]
	v_mul_f64_e32 v[28:29], v[4:5], v[28:29]
	scratch_load_b128 v[22:25], off, off offset:752
	v_add_f64_e32 v[151:152], v[151:152], v[163:164]
	v_add_f64_e32 v[153:154], v[153:154], v[155:156]
	s_wait_loadcnt_dscnt 0x800
	v_mul_f64_e32 v[155:156], v[6:7], v[32:33]
	v_mul_f64_e32 v[32:33], v[8:9], v[32:33]
	v_fma_f64 v[159:160], v[4:5], v[26:27], v[159:160]
	v_fma_f64 v[163:164], v[2:3], v[26:27], -v[28:29]
	ds_load_b128 v[2:5], v1 offset:1424
	scratch_load_b128 v[26:29], off, off offset:768
	v_add_f64_e32 v[151:152], v[151:152], v[161:162]
	v_add_f64_e32 v[153:154], v[153:154], v[157:158]
	v_fma_f64 v[155:156], v[8:9], v[30:31], v[155:156]
	v_fma_f64 v[161:162], v[6:7], v[30:31], -v[32:33]
	ds_load_b128 v[6:9], v1 offset:1440
	s_wait_loadcnt_dscnt 0x801
	v_mul_f64_e32 v[157:158], v[2:3], v[40:41]
	v_mul_f64_e32 v[40:41], v[4:5], v[40:41]
	scratch_load_b128 v[30:33], off, off offset:784
	v_add_f64_e32 v[151:152], v[151:152], v[163:164]
	v_add_f64_e32 v[153:154], v[153:154], v[159:160]
	s_wait_loadcnt_dscnt 0x800
	v_mul_f64_e32 v[159:160], v[6:7], v[149:150]
	v_mul_f64_e32 v[149:150], v[8:9], v[149:150]
	v_fma_f64 v[157:158], v[4:5], v[38:39], v[157:158]
	v_fma_f64 v[163:164], v[2:3], v[38:39], -v[40:41]
	ds_load_b128 v[2:5], v1 offset:1456
	scratch_load_b128 v[38:41], off, off offset:800
	v_add_f64_e32 v[151:152], v[151:152], v[161:162]
	v_add_f64_e32 v[153:154], v[153:154], v[155:156]
	v_fma_f64 v[159:160], v[8:9], v[147:148], v[159:160]
	v_fma_f64 v[147:148], v[6:7], v[147:148], -v[149:150]
	ds_load_b128 v[6:9], v1 offset:1472
	s_wait_loadcnt_dscnt 0x801
	v_mul_f64_e32 v[155:156], v[2:3], v[36:37]
	v_mul_f64_e32 v[36:37], v[4:5], v[36:37]
	v_add_f64_e32 v[149:150], v[151:152], v[163:164]
	v_add_f64_e32 v[151:152], v[153:154], v[157:158]
	s_wait_loadcnt_dscnt 0x700
	v_mul_f64_e32 v[153:154], v[6:7], v[145:146]
	v_mul_f64_e32 v[145:146], v[8:9], v[145:146]
	v_fma_f64 v[155:156], v[4:5], v[34:35], v[155:156]
	v_fma_f64 v[34:35], v[2:3], v[34:35], -v[36:37]
	ds_load_b128 v[2:5], v1 offset:1488
	v_add_f64_e32 v[36:37], v[149:150], v[147:148]
	v_add_f64_e32 v[147:148], v[151:152], v[159:160]
	v_fma_f64 v[151:152], v[8:9], v[143:144], v[153:154]
	v_fma_f64 v[143:144], v[6:7], v[143:144], -v[145:146]
	ds_load_b128 v[6:9], v1 offset:1504
	s_wait_loadcnt_dscnt 0x500
	v_mul_f64_e32 v[153:154], v[6:7], v[16:17]
	v_mul_f64_e32 v[16:17], v[8:9], v[16:17]
	v_add_f64_e32 v[145:146], v[36:37], v[34:35]
	v_add_f64_e32 v[147:148], v[147:148], v[155:156]
	scratch_load_b128 v[34:37], off, off offset:496
	v_mul_f64_e32 v[149:150], v[2:3], v[12:13]
	v_mul_f64_e32 v[12:13], v[4:5], v[12:13]
	s_delay_alu instid0(VALU_DEP_2) | instskip(NEXT) | instid1(VALU_DEP_2)
	v_fma_f64 v[149:150], v[4:5], v[10:11], v[149:150]
	v_fma_f64 v[10:11], v[2:3], v[10:11], -v[12:13]
	v_add_f64_e32 v[12:13], v[145:146], v[143:144]
	v_add_f64_e32 v[143:144], v[147:148], v[151:152]
	ds_load_b128 v[2:5], v1 offset:1520
	v_fma_f64 v[147:148], v[8:9], v[14:15], v[153:154]
	v_fma_f64 v[14:15], v[6:7], v[14:15], -v[16:17]
	ds_load_b128 v[6:9], v1 offset:1536
	s_wait_loadcnt_dscnt 0x501
	v_mul_f64_e32 v[145:146], v[2:3], v[20:21]
	v_mul_f64_e32 v[20:21], v[4:5], v[20:21]
	s_wait_loadcnt_dscnt 0x400
	v_mul_f64_e32 v[16:17], v[6:7], v[24:25]
	v_mul_f64_e32 v[24:25], v[8:9], v[24:25]
	v_add_f64_e32 v[10:11], v[12:13], v[10:11]
	v_add_f64_e32 v[12:13], v[143:144], v[149:150]
	v_fma_f64 v[143:144], v[4:5], v[18:19], v[145:146]
	v_fma_f64 v[18:19], v[2:3], v[18:19], -v[20:21]
	ds_load_b128 v[2:5], v1 offset:1552
	v_fma_f64 v[16:17], v[8:9], v[22:23], v[16:17]
	v_fma_f64 v[22:23], v[6:7], v[22:23], -v[24:25]
	ds_load_b128 v[6:9], v1 offset:1568
	v_add_f64_e32 v[10:11], v[10:11], v[14:15]
	v_add_f64_e32 v[12:13], v[12:13], v[147:148]
	s_wait_loadcnt_dscnt 0x301
	v_mul_f64_e32 v[14:15], v[2:3], v[28:29]
	v_mul_f64_e32 v[20:21], v[4:5], v[28:29]
	s_wait_loadcnt_dscnt 0x200
	v_mul_f64_e32 v[24:25], v[8:9], v[32:33]
	v_add_f64_e32 v[10:11], v[10:11], v[18:19]
	v_add_f64_e32 v[12:13], v[12:13], v[143:144]
	v_mul_f64_e32 v[18:19], v[6:7], v[32:33]
	v_fma_f64 v[14:15], v[4:5], v[26:27], v[14:15]
	v_fma_f64 v[20:21], v[2:3], v[26:27], -v[20:21]
	ds_load_b128 v[2:5], v1 offset:1584
	v_fma_f64 v[6:7], v[6:7], v[30:31], -v[24:25]
	v_add_f64_e32 v[10:11], v[10:11], v[22:23]
	v_add_f64_e32 v[12:13], v[12:13], v[16:17]
	s_wait_loadcnt_dscnt 0x100
	v_mul_f64_e32 v[16:17], v[2:3], v[40:41]
	v_mul_f64_e32 v[22:23], v[4:5], v[40:41]
	v_fma_f64 v[8:9], v[8:9], v[30:31], v[18:19]
	v_add_f64_e32 v[10:11], v[10:11], v[20:21]
	v_add_f64_e32 v[12:13], v[12:13], v[14:15]
	v_fma_f64 v[4:5], v[4:5], v[38:39], v[16:17]
	v_fma_f64 v[2:3], v[2:3], v[38:39], -v[22:23]
	s_delay_alu instid0(VALU_DEP_4) | instskip(NEXT) | instid1(VALU_DEP_4)
	v_add_f64_e32 v[6:7], v[10:11], v[6:7]
	v_add_f64_e32 v[8:9], v[12:13], v[8:9]
	s_delay_alu instid0(VALU_DEP_2) | instskip(NEXT) | instid1(VALU_DEP_2)
	v_add_f64_e32 v[2:3], v[6:7], v[2:3]
	v_add_f64_e32 v[4:5], v[8:9], v[4:5]
	s_wait_loadcnt 0x0
	s_delay_alu instid0(VALU_DEP_2) | instskip(NEXT) | instid1(VALU_DEP_2)
	v_add_f64_e64 v[2:3], v[34:35], -v[2:3]
	v_add_f64_e64 v[4:5], v[36:37], -v[4:5]
	scratch_store_b128 off, v[2:5], off offset:496
	v_cmpx_lt_u32_e32 29, v0
	s_cbranch_execz .LBB49_255
; %bb.254:
	scratch_load_b128 v[5:8], off, s21
	v_dual_mov_b32 v2, v1 :: v_dual_mov_b32 v3, v1
	v_mov_b32_e32 v4, v1
	scratch_store_b128 off, v[1:4], off offset:480
	s_wait_loadcnt 0x0
	ds_store_b128 v142, v[5:8]
.LBB49_255:
	s_wait_alu 0xfffe
	s_or_b32 exec_lo, exec_lo, s0
	s_wait_storecnt_dscnt 0x0
	s_barrier_signal -1
	s_barrier_wait -1
	global_inv scope:SCOPE_SE
	s_clause 0x7
	scratch_load_b128 v[2:5], off, off offset:496
	scratch_load_b128 v[6:9], off, off offset:512
	;; [unrolled: 1-line block ×8, first 2 shown]
	ds_load_b128 v[34:37], v1 offset:1280
	ds_load_b128 v[143:146], v1 offset:1296
	s_clause 0x1
	scratch_load_b128 v[38:41], off, off offset:624
	scratch_load_b128 v[147:150], off, off offset:640
	s_mov_b32 s0, exec_lo
	s_wait_loadcnt_dscnt 0x901
	v_mul_f64_e32 v[151:152], v[36:37], v[4:5]
	v_mul_f64_e32 v[4:5], v[34:35], v[4:5]
	s_wait_loadcnt_dscnt 0x800
	v_mul_f64_e32 v[153:154], v[143:144], v[8:9]
	v_mul_f64_e32 v[8:9], v[145:146], v[8:9]
	s_delay_alu instid0(VALU_DEP_4) | instskip(NEXT) | instid1(VALU_DEP_4)
	v_fma_f64 v[151:152], v[34:35], v[2:3], -v[151:152]
	v_fma_f64 v[155:156], v[36:37], v[2:3], v[4:5]
	ds_load_b128 v[2:5], v1 offset:1312
	scratch_load_b128 v[34:37], off, off offset:656
	v_fma_f64 v[153:154], v[145:146], v[6:7], v[153:154]
	v_fma_f64 v[159:160], v[143:144], v[6:7], -v[8:9]
	ds_load_b128 v[6:9], v1 offset:1328
	scratch_load_b128 v[143:146], off, off offset:672
	s_wait_loadcnt_dscnt 0x901
	v_mul_f64_e32 v[157:158], v[2:3], v[12:13]
	v_mul_f64_e32 v[12:13], v[4:5], v[12:13]
	s_wait_loadcnt_dscnt 0x800
	v_mul_f64_e32 v[161:162], v[6:7], v[16:17]
	v_mul_f64_e32 v[16:17], v[8:9], v[16:17]
	v_add_f64_e32 v[151:152], 0, v[151:152]
	v_add_f64_e32 v[155:156], 0, v[155:156]
	v_fma_f64 v[157:158], v[4:5], v[10:11], v[157:158]
	v_fma_f64 v[163:164], v[2:3], v[10:11], -v[12:13]
	scratch_load_b128 v[10:13], off, off offset:688
	ds_load_b128 v[2:5], v1 offset:1344
	v_add_f64_e32 v[151:152], v[151:152], v[159:160]
	v_add_f64_e32 v[153:154], v[155:156], v[153:154]
	v_fma_f64 v[159:160], v[8:9], v[14:15], v[161:162]
	v_fma_f64 v[161:162], v[6:7], v[14:15], -v[16:17]
	ds_load_b128 v[6:9], v1 offset:1360
	scratch_load_b128 v[14:17], off, off offset:704
	s_wait_loadcnt_dscnt 0x901
	v_mul_f64_e32 v[155:156], v[2:3], v[20:21]
	v_mul_f64_e32 v[20:21], v[4:5], v[20:21]
	v_add_f64_e32 v[151:152], v[151:152], v[163:164]
	v_add_f64_e32 v[153:154], v[153:154], v[157:158]
	s_wait_loadcnt_dscnt 0x800
	v_mul_f64_e32 v[157:158], v[6:7], v[24:25]
	v_mul_f64_e32 v[24:25], v[8:9], v[24:25]
	v_fma_f64 v[155:156], v[4:5], v[18:19], v[155:156]
	v_fma_f64 v[163:164], v[2:3], v[18:19], -v[20:21]
	ds_load_b128 v[2:5], v1 offset:1376
	scratch_load_b128 v[18:21], off, off offset:720
	v_add_f64_e32 v[151:152], v[151:152], v[161:162]
	v_add_f64_e32 v[153:154], v[153:154], v[159:160]
	v_fma_f64 v[157:158], v[8:9], v[22:23], v[157:158]
	v_fma_f64 v[161:162], v[6:7], v[22:23], -v[24:25]
	ds_load_b128 v[6:9], v1 offset:1392
	s_wait_loadcnt_dscnt 0x801
	v_mul_f64_e32 v[159:160], v[2:3], v[28:29]
	v_mul_f64_e32 v[28:29], v[4:5], v[28:29]
	scratch_load_b128 v[22:25], off, off offset:736
	v_add_f64_e32 v[151:152], v[151:152], v[163:164]
	v_add_f64_e32 v[153:154], v[153:154], v[155:156]
	s_wait_loadcnt_dscnt 0x800
	v_mul_f64_e32 v[155:156], v[6:7], v[32:33]
	v_mul_f64_e32 v[32:33], v[8:9], v[32:33]
	v_fma_f64 v[159:160], v[4:5], v[26:27], v[159:160]
	v_fma_f64 v[163:164], v[2:3], v[26:27], -v[28:29]
	ds_load_b128 v[2:5], v1 offset:1408
	scratch_load_b128 v[26:29], off, off offset:752
	v_add_f64_e32 v[151:152], v[151:152], v[161:162]
	v_add_f64_e32 v[153:154], v[153:154], v[157:158]
	v_fma_f64 v[155:156], v[8:9], v[30:31], v[155:156]
	v_fma_f64 v[161:162], v[6:7], v[30:31], -v[32:33]
	ds_load_b128 v[6:9], v1 offset:1424
	s_wait_loadcnt_dscnt 0x801
	v_mul_f64_e32 v[157:158], v[2:3], v[40:41]
	v_mul_f64_e32 v[40:41], v[4:5], v[40:41]
	scratch_load_b128 v[30:33], off, off offset:768
	v_add_f64_e32 v[151:152], v[151:152], v[163:164]
	v_add_f64_e32 v[153:154], v[153:154], v[159:160]
	s_wait_loadcnt_dscnt 0x800
	v_mul_f64_e32 v[159:160], v[6:7], v[149:150]
	v_mul_f64_e32 v[149:150], v[8:9], v[149:150]
	v_fma_f64 v[157:158], v[4:5], v[38:39], v[157:158]
	v_fma_f64 v[163:164], v[2:3], v[38:39], -v[40:41]
	ds_load_b128 v[2:5], v1 offset:1440
	scratch_load_b128 v[38:41], off, off offset:784
	v_add_f64_e32 v[151:152], v[151:152], v[161:162]
	v_add_f64_e32 v[153:154], v[153:154], v[155:156]
	v_fma_f64 v[159:160], v[8:9], v[147:148], v[159:160]
	v_fma_f64 v[161:162], v[6:7], v[147:148], -v[149:150]
	ds_load_b128 v[6:9], v1 offset:1456
	scratch_load_b128 v[147:150], off, off offset:800
	s_wait_loadcnt_dscnt 0x901
	v_mul_f64_e32 v[155:156], v[2:3], v[36:37]
	v_mul_f64_e32 v[36:37], v[4:5], v[36:37]
	v_add_f64_e32 v[151:152], v[151:152], v[163:164]
	v_add_f64_e32 v[153:154], v[153:154], v[157:158]
	s_delay_alu instid0(VALU_DEP_4) | instskip(NEXT) | instid1(VALU_DEP_4)
	v_fma_f64 v[155:156], v[4:5], v[34:35], v[155:156]
	v_fma_f64 v[34:35], v[2:3], v[34:35], -v[36:37]
	ds_load_b128 v[2:5], v1 offset:1472
	v_add_f64_e32 v[36:37], v[151:152], v[161:162]
	v_add_f64_e32 v[151:152], v[153:154], v[159:160]
	s_wait_loadcnt_dscnt 0x700
	v_mul_f64_e32 v[153:154], v[2:3], v[12:13]
	v_mul_f64_e32 v[12:13], v[4:5], v[12:13]
	s_delay_alu instid0(VALU_DEP_4) | instskip(NEXT) | instid1(VALU_DEP_4)
	v_add_f64_e32 v[34:35], v[36:37], v[34:35]
	v_add_f64_e32 v[36:37], v[151:152], v[155:156]
	s_delay_alu instid0(VALU_DEP_4) | instskip(NEXT) | instid1(VALU_DEP_4)
	v_fma_f64 v[151:152], v[4:5], v[10:11], v[153:154]
	v_fma_f64 v[153:154], v[2:3], v[10:11], -v[12:13]
	scratch_load_b128 v[10:13], off, off offset:480
	v_mul_f64_e32 v[157:158], v[6:7], v[145:146]
	v_mul_f64_e32 v[145:146], v[8:9], v[145:146]
	ds_load_b128 v[2:5], v1 offset:1504
	v_fma_f64 v[157:158], v[8:9], v[143:144], v[157:158]
	v_fma_f64 v[143:144], v[6:7], v[143:144], -v[145:146]
	ds_load_b128 v[6:9], v1 offset:1488
	s_wait_loadcnt_dscnt 0x700
	v_mul_f64_e32 v[145:146], v[6:7], v[16:17]
	v_mul_f64_e32 v[16:17], v[8:9], v[16:17]
	v_add_f64_e32 v[36:37], v[36:37], v[157:158]
	v_add_f64_e32 v[34:35], v[34:35], v[143:144]
	s_wait_loadcnt 0x6
	v_mul_f64_e32 v[143:144], v[2:3], v[20:21]
	v_mul_f64_e32 v[20:21], v[4:5], v[20:21]
	v_fma_f64 v[145:146], v[8:9], v[14:15], v[145:146]
	v_fma_f64 v[14:15], v[6:7], v[14:15], -v[16:17]
	ds_load_b128 v[6:9], v1 offset:1520
	v_add_f64_e32 v[16:17], v[34:35], v[153:154]
	v_add_f64_e32 v[34:35], v[36:37], v[151:152]
	v_fma_f64 v[143:144], v[4:5], v[18:19], v[143:144]
	v_fma_f64 v[18:19], v[2:3], v[18:19], -v[20:21]
	ds_load_b128 v[2:5], v1 offset:1536
	s_wait_loadcnt_dscnt 0x501
	v_mul_f64_e32 v[36:37], v[6:7], v[24:25]
	v_mul_f64_e32 v[24:25], v[8:9], v[24:25]
	s_wait_loadcnt_dscnt 0x400
	v_mul_f64_e32 v[20:21], v[2:3], v[28:29]
	v_mul_f64_e32 v[28:29], v[4:5], v[28:29]
	v_add_f64_e32 v[14:15], v[16:17], v[14:15]
	v_add_f64_e32 v[16:17], v[34:35], v[145:146]
	v_fma_f64 v[34:35], v[8:9], v[22:23], v[36:37]
	v_fma_f64 v[22:23], v[6:7], v[22:23], -v[24:25]
	ds_load_b128 v[6:9], v1 offset:1552
	v_fma_f64 v[20:21], v[4:5], v[26:27], v[20:21]
	v_fma_f64 v[26:27], v[2:3], v[26:27], -v[28:29]
	ds_load_b128 v[2:5], v1 offset:1568
	s_wait_loadcnt_dscnt 0x301
	v_mul_f64_e32 v[24:25], v[8:9], v[32:33]
	v_add_f64_e32 v[14:15], v[14:15], v[18:19]
	v_add_f64_e32 v[16:17], v[16:17], v[143:144]
	v_mul_f64_e32 v[18:19], v[6:7], v[32:33]
	s_wait_loadcnt_dscnt 0x200
	v_mul_f64_e32 v[28:29], v[4:5], v[40:41]
	v_fma_f64 v[24:25], v[6:7], v[30:31], -v[24:25]
	v_add_f64_e32 v[14:15], v[14:15], v[22:23]
	v_add_f64_e32 v[16:17], v[16:17], v[34:35]
	v_mul_f64_e32 v[22:23], v[2:3], v[40:41]
	v_fma_f64 v[18:19], v[8:9], v[30:31], v[18:19]
	ds_load_b128 v[6:9], v1 offset:1584
	v_fma_f64 v[1:2], v[2:3], v[38:39], -v[28:29]
	v_add_f64_e32 v[14:15], v[14:15], v[26:27]
	v_add_f64_e32 v[16:17], v[16:17], v[20:21]
	s_wait_loadcnt_dscnt 0x100
	v_mul_f64_e32 v[20:21], v[6:7], v[149:150]
	v_mul_f64_e32 v[26:27], v[8:9], v[149:150]
	v_fma_f64 v[4:5], v[4:5], v[38:39], v[22:23]
	v_add_f64_e32 v[14:15], v[14:15], v[24:25]
	v_add_f64_e32 v[16:17], v[16:17], v[18:19]
	v_fma_f64 v[8:9], v[8:9], v[147:148], v[20:21]
	v_fma_f64 v[6:7], v[6:7], v[147:148], -v[26:27]
	s_delay_alu instid0(VALU_DEP_4) | instskip(NEXT) | instid1(VALU_DEP_4)
	v_add_f64_e32 v[1:2], v[14:15], v[1:2]
	v_add_f64_e32 v[3:4], v[16:17], v[4:5]
	s_delay_alu instid0(VALU_DEP_2) | instskip(NEXT) | instid1(VALU_DEP_2)
	v_add_f64_e32 v[1:2], v[1:2], v[6:7]
	v_add_f64_e32 v[3:4], v[3:4], v[8:9]
	s_wait_loadcnt 0x0
	s_delay_alu instid0(VALU_DEP_2) | instskip(NEXT) | instid1(VALU_DEP_2)
	v_add_f64_e64 v[1:2], v[10:11], -v[1:2]
	v_add_f64_e64 v[3:4], v[12:13], -v[3:4]
	scratch_store_b128 off, v[1:4], off offset:480
	v_cmpx_lt_u32_e32 28, v0
	s_cbranch_execz .LBB49_257
; %bb.256:
	scratch_load_b128 v[1:4], off, s24
	v_mov_b32_e32 v5, 0
	s_delay_alu instid0(VALU_DEP_1)
	v_dual_mov_b32 v6, v5 :: v_dual_mov_b32 v7, v5
	v_mov_b32_e32 v8, v5
	scratch_store_b128 off, v[5:8], off offset:464
	s_wait_loadcnt 0x0
	ds_store_b128 v142, v[1:4]
.LBB49_257:
	s_wait_alu 0xfffe
	s_or_b32 exec_lo, exec_lo, s0
	s_wait_storecnt_dscnt 0x0
	s_barrier_signal -1
	s_barrier_wait -1
	global_inv scope:SCOPE_SE
	s_clause 0x7
	scratch_load_b128 v[2:5], off, off offset:480
	scratch_load_b128 v[6:9], off, off offset:496
	;; [unrolled: 1-line block ×8, first 2 shown]
	v_mov_b32_e32 v1, 0
	s_clause 0x1
	scratch_load_b128 v[38:41], off, off offset:608
	scratch_load_b128 v[147:150], off, off offset:624
	s_mov_b32 s0, exec_lo
	ds_load_b128 v[34:37], v1 offset:1264
	ds_load_b128 v[143:146], v1 offset:1280
	s_wait_loadcnt_dscnt 0x901
	v_mul_f64_e32 v[151:152], v[36:37], v[4:5]
	v_mul_f64_e32 v[4:5], v[34:35], v[4:5]
	s_wait_loadcnt_dscnt 0x800
	v_mul_f64_e32 v[153:154], v[143:144], v[8:9]
	v_mul_f64_e32 v[8:9], v[145:146], v[8:9]
	s_delay_alu instid0(VALU_DEP_4) | instskip(NEXT) | instid1(VALU_DEP_4)
	v_fma_f64 v[151:152], v[34:35], v[2:3], -v[151:152]
	v_fma_f64 v[155:156], v[36:37], v[2:3], v[4:5]
	ds_load_b128 v[2:5], v1 offset:1296
	scratch_load_b128 v[34:37], off, off offset:640
	v_fma_f64 v[153:154], v[145:146], v[6:7], v[153:154]
	v_fma_f64 v[159:160], v[143:144], v[6:7], -v[8:9]
	ds_load_b128 v[6:9], v1 offset:1312
	scratch_load_b128 v[143:146], off, off offset:656
	s_wait_loadcnt_dscnt 0x901
	v_mul_f64_e32 v[157:158], v[2:3], v[12:13]
	v_mul_f64_e32 v[12:13], v[4:5], v[12:13]
	s_wait_loadcnt_dscnt 0x800
	v_mul_f64_e32 v[161:162], v[6:7], v[16:17]
	v_mul_f64_e32 v[16:17], v[8:9], v[16:17]
	v_add_f64_e32 v[151:152], 0, v[151:152]
	v_add_f64_e32 v[155:156], 0, v[155:156]
	v_fma_f64 v[157:158], v[4:5], v[10:11], v[157:158]
	v_fma_f64 v[163:164], v[2:3], v[10:11], -v[12:13]
	ds_load_b128 v[2:5], v1 offset:1328
	scratch_load_b128 v[10:13], off, off offset:672
	v_add_f64_e32 v[151:152], v[151:152], v[159:160]
	v_add_f64_e32 v[153:154], v[155:156], v[153:154]
	v_fma_f64 v[159:160], v[8:9], v[14:15], v[161:162]
	v_fma_f64 v[161:162], v[6:7], v[14:15], -v[16:17]
	ds_load_b128 v[6:9], v1 offset:1344
	scratch_load_b128 v[14:17], off, off offset:688
	s_wait_loadcnt_dscnt 0x901
	v_mul_f64_e32 v[155:156], v[2:3], v[20:21]
	v_mul_f64_e32 v[20:21], v[4:5], v[20:21]
	v_add_f64_e32 v[151:152], v[151:152], v[163:164]
	v_add_f64_e32 v[153:154], v[153:154], v[157:158]
	s_wait_loadcnt_dscnt 0x800
	v_mul_f64_e32 v[157:158], v[6:7], v[24:25]
	v_mul_f64_e32 v[24:25], v[8:9], v[24:25]
	v_fma_f64 v[155:156], v[4:5], v[18:19], v[155:156]
	v_fma_f64 v[163:164], v[2:3], v[18:19], -v[20:21]
	ds_load_b128 v[2:5], v1 offset:1360
	scratch_load_b128 v[18:21], off, off offset:704
	v_add_f64_e32 v[151:152], v[151:152], v[161:162]
	v_add_f64_e32 v[153:154], v[153:154], v[159:160]
	v_fma_f64 v[157:158], v[8:9], v[22:23], v[157:158]
	v_fma_f64 v[161:162], v[6:7], v[22:23], -v[24:25]
	ds_load_b128 v[6:9], v1 offset:1376
	s_wait_loadcnt_dscnt 0x801
	v_mul_f64_e32 v[159:160], v[2:3], v[28:29]
	v_mul_f64_e32 v[28:29], v[4:5], v[28:29]
	scratch_load_b128 v[22:25], off, off offset:720
	v_add_f64_e32 v[151:152], v[151:152], v[163:164]
	v_add_f64_e32 v[153:154], v[153:154], v[155:156]
	s_wait_loadcnt_dscnt 0x800
	v_mul_f64_e32 v[155:156], v[6:7], v[32:33]
	v_mul_f64_e32 v[32:33], v[8:9], v[32:33]
	v_fma_f64 v[159:160], v[4:5], v[26:27], v[159:160]
	v_fma_f64 v[163:164], v[2:3], v[26:27], -v[28:29]
	ds_load_b128 v[2:5], v1 offset:1392
	scratch_load_b128 v[26:29], off, off offset:736
	v_add_f64_e32 v[151:152], v[151:152], v[161:162]
	v_add_f64_e32 v[153:154], v[153:154], v[157:158]
	v_fma_f64 v[155:156], v[8:9], v[30:31], v[155:156]
	v_fma_f64 v[161:162], v[6:7], v[30:31], -v[32:33]
	ds_load_b128 v[6:9], v1 offset:1408
	s_wait_loadcnt_dscnt 0x801
	v_mul_f64_e32 v[157:158], v[2:3], v[40:41]
	v_mul_f64_e32 v[40:41], v[4:5], v[40:41]
	scratch_load_b128 v[30:33], off, off offset:752
	v_add_f64_e32 v[151:152], v[151:152], v[163:164]
	v_add_f64_e32 v[153:154], v[153:154], v[159:160]
	s_wait_loadcnt_dscnt 0x800
	v_mul_f64_e32 v[159:160], v[6:7], v[149:150]
	v_mul_f64_e32 v[149:150], v[8:9], v[149:150]
	v_fma_f64 v[157:158], v[4:5], v[38:39], v[157:158]
	v_fma_f64 v[163:164], v[2:3], v[38:39], -v[40:41]
	ds_load_b128 v[2:5], v1 offset:1424
	scratch_load_b128 v[38:41], off, off offset:768
	v_add_f64_e32 v[151:152], v[151:152], v[161:162]
	v_add_f64_e32 v[153:154], v[153:154], v[155:156]
	v_fma_f64 v[159:160], v[8:9], v[147:148], v[159:160]
	v_fma_f64 v[161:162], v[6:7], v[147:148], -v[149:150]
	ds_load_b128 v[6:9], v1 offset:1440
	scratch_load_b128 v[147:150], off, off offset:784
	s_wait_loadcnt_dscnt 0x901
	v_mul_f64_e32 v[155:156], v[2:3], v[36:37]
	v_mul_f64_e32 v[36:37], v[4:5], v[36:37]
	v_add_f64_e32 v[151:152], v[151:152], v[163:164]
	v_add_f64_e32 v[153:154], v[153:154], v[157:158]
	s_wait_loadcnt_dscnt 0x800
	v_mul_f64_e32 v[157:158], v[6:7], v[145:146]
	v_mul_f64_e32 v[145:146], v[8:9], v[145:146]
	v_fma_f64 v[155:156], v[4:5], v[34:35], v[155:156]
	v_fma_f64 v[163:164], v[2:3], v[34:35], -v[36:37]
	ds_load_b128 v[2:5], v1 offset:1456
	scratch_load_b128 v[34:37], off, off offset:800
	v_add_f64_e32 v[151:152], v[151:152], v[161:162]
	v_add_f64_e32 v[153:154], v[153:154], v[159:160]
	v_fma_f64 v[157:158], v[8:9], v[143:144], v[157:158]
	v_fma_f64 v[143:144], v[6:7], v[143:144], -v[145:146]
	ds_load_b128 v[6:9], v1 offset:1472
	s_wait_loadcnt_dscnt 0x801
	v_mul_f64_e32 v[159:160], v[2:3], v[12:13]
	v_mul_f64_e32 v[12:13], v[4:5], v[12:13]
	v_add_f64_e32 v[145:146], v[151:152], v[163:164]
	v_add_f64_e32 v[151:152], v[153:154], v[155:156]
	s_wait_loadcnt_dscnt 0x700
	v_mul_f64_e32 v[153:154], v[6:7], v[16:17]
	v_mul_f64_e32 v[16:17], v[8:9], v[16:17]
	v_fma_f64 v[155:156], v[4:5], v[10:11], v[159:160]
	v_fma_f64 v[10:11], v[2:3], v[10:11], -v[12:13]
	ds_load_b128 v[2:5], v1 offset:1488
	v_add_f64_e32 v[12:13], v[145:146], v[143:144]
	v_add_f64_e32 v[143:144], v[151:152], v[157:158]
	v_fma_f64 v[151:152], v[8:9], v[14:15], v[153:154]
	v_fma_f64 v[14:15], v[6:7], v[14:15], -v[16:17]
	ds_load_b128 v[6:9], v1 offset:1504
	s_wait_loadcnt_dscnt 0x500
	v_mul_f64_e32 v[153:154], v[6:7], v[24:25]
	v_mul_f64_e32 v[24:25], v[8:9], v[24:25]
	v_add_f64_e32 v[16:17], v[12:13], v[10:11]
	v_add_f64_e32 v[143:144], v[143:144], v[155:156]
	scratch_load_b128 v[10:13], off, off offset:464
	v_mul_f64_e32 v[145:146], v[2:3], v[20:21]
	v_mul_f64_e32 v[20:21], v[4:5], v[20:21]
	v_add_f64_e32 v[14:15], v[16:17], v[14:15]
	v_add_f64_e32 v[16:17], v[143:144], v[151:152]
	v_fma_f64 v[143:144], v[8:9], v[22:23], v[153:154]
	v_fma_f64 v[145:146], v[4:5], v[18:19], v[145:146]
	v_fma_f64 v[18:19], v[2:3], v[18:19], -v[20:21]
	ds_load_b128 v[2:5], v1 offset:1520
	v_fma_f64 v[22:23], v[6:7], v[22:23], -v[24:25]
	ds_load_b128 v[6:9], v1 offset:1536
	s_wait_loadcnt_dscnt 0x501
	v_mul_f64_e32 v[20:21], v[2:3], v[28:29]
	v_mul_f64_e32 v[28:29], v[4:5], v[28:29]
	s_wait_loadcnt_dscnt 0x400
	v_mul_f64_e32 v[24:25], v[8:9], v[32:33]
	v_add_f64_e32 v[16:17], v[16:17], v[145:146]
	v_add_f64_e32 v[14:15], v[14:15], v[18:19]
	v_mul_f64_e32 v[18:19], v[6:7], v[32:33]
	v_fma_f64 v[20:21], v[4:5], v[26:27], v[20:21]
	v_fma_f64 v[26:27], v[2:3], v[26:27], -v[28:29]
	ds_load_b128 v[2:5], v1 offset:1552
	v_fma_f64 v[24:25], v[6:7], v[30:31], -v[24:25]
	v_add_f64_e32 v[16:17], v[16:17], v[143:144]
	v_add_f64_e32 v[14:15], v[14:15], v[22:23]
	v_fma_f64 v[18:19], v[8:9], v[30:31], v[18:19]
	ds_load_b128 v[6:9], v1 offset:1568
	s_wait_loadcnt_dscnt 0x301
	v_mul_f64_e32 v[22:23], v[2:3], v[40:41]
	v_mul_f64_e32 v[28:29], v[4:5], v[40:41]
	v_add_f64_e32 v[16:17], v[16:17], v[20:21]
	v_add_f64_e32 v[14:15], v[14:15], v[26:27]
	s_wait_loadcnt_dscnt 0x200
	v_mul_f64_e32 v[20:21], v[6:7], v[149:150]
	v_mul_f64_e32 v[26:27], v[8:9], v[149:150]
	v_fma_f64 v[22:23], v[4:5], v[38:39], v[22:23]
	v_fma_f64 v[28:29], v[2:3], v[38:39], -v[28:29]
	ds_load_b128 v[2:5], v1 offset:1584
	v_add_f64_e32 v[16:17], v[16:17], v[18:19]
	v_add_f64_e32 v[14:15], v[14:15], v[24:25]
	s_wait_loadcnt_dscnt 0x100
	v_mul_f64_e32 v[18:19], v[2:3], v[36:37]
	v_mul_f64_e32 v[24:25], v[4:5], v[36:37]
	v_fma_f64 v[8:9], v[8:9], v[147:148], v[20:21]
	v_fma_f64 v[6:7], v[6:7], v[147:148], -v[26:27]
	v_add_f64_e32 v[16:17], v[16:17], v[22:23]
	v_add_f64_e32 v[14:15], v[14:15], v[28:29]
	v_fma_f64 v[4:5], v[4:5], v[34:35], v[18:19]
	v_fma_f64 v[2:3], v[2:3], v[34:35], -v[24:25]
	s_delay_alu instid0(VALU_DEP_4) | instskip(NEXT) | instid1(VALU_DEP_4)
	v_add_f64_e32 v[8:9], v[16:17], v[8:9]
	v_add_f64_e32 v[6:7], v[14:15], v[6:7]
	s_delay_alu instid0(VALU_DEP_2) | instskip(NEXT) | instid1(VALU_DEP_2)
	v_add_f64_e32 v[4:5], v[8:9], v[4:5]
	v_add_f64_e32 v[2:3], v[6:7], v[2:3]
	s_wait_loadcnt 0x0
	s_delay_alu instid0(VALU_DEP_2) | instskip(NEXT) | instid1(VALU_DEP_2)
	v_add_f64_e64 v[4:5], v[12:13], -v[4:5]
	v_add_f64_e64 v[2:3], v[10:11], -v[2:3]
	scratch_store_b128 off, v[2:5], off offset:464
	v_cmpx_lt_u32_e32 27, v0
	s_cbranch_execz .LBB49_259
; %bb.258:
	scratch_load_b128 v[5:8], off, s23
	v_dual_mov_b32 v2, v1 :: v_dual_mov_b32 v3, v1
	v_mov_b32_e32 v4, v1
	scratch_store_b128 off, v[1:4], off offset:448
	s_wait_loadcnt 0x0
	ds_store_b128 v142, v[5:8]
.LBB49_259:
	s_wait_alu 0xfffe
	s_or_b32 exec_lo, exec_lo, s0
	s_wait_storecnt_dscnt 0x0
	s_barrier_signal -1
	s_barrier_wait -1
	global_inv scope:SCOPE_SE
	s_clause 0x7
	scratch_load_b128 v[2:5], off, off offset:464
	scratch_load_b128 v[6:9], off, off offset:480
	;; [unrolled: 1-line block ×8, first 2 shown]
	ds_load_b128 v[34:37], v1 offset:1248
	ds_load_b128 v[143:146], v1 offset:1264
	s_clause 0x1
	scratch_load_b128 v[38:41], off, off offset:592
	scratch_load_b128 v[147:150], off, off offset:608
	s_mov_b32 s0, exec_lo
	s_wait_loadcnt_dscnt 0x901
	v_mul_f64_e32 v[151:152], v[36:37], v[4:5]
	v_mul_f64_e32 v[4:5], v[34:35], v[4:5]
	s_wait_loadcnt_dscnt 0x800
	v_mul_f64_e32 v[153:154], v[143:144], v[8:9]
	v_mul_f64_e32 v[8:9], v[145:146], v[8:9]
	s_delay_alu instid0(VALU_DEP_4) | instskip(NEXT) | instid1(VALU_DEP_4)
	v_fma_f64 v[151:152], v[34:35], v[2:3], -v[151:152]
	v_fma_f64 v[155:156], v[36:37], v[2:3], v[4:5]
	ds_load_b128 v[2:5], v1 offset:1280
	scratch_load_b128 v[34:37], off, off offset:624
	v_fma_f64 v[153:154], v[145:146], v[6:7], v[153:154]
	v_fma_f64 v[159:160], v[143:144], v[6:7], -v[8:9]
	ds_load_b128 v[6:9], v1 offset:1296
	scratch_load_b128 v[143:146], off, off offset:640
	s_wait_loadcnt_dscnt 0x901
	v_mul_f64_e32 v[157:158], v[2:3], v[12:13]
	v_mul_f64_e32 v[12:13], v[4:5], v[12:13]
	s_wait_loadcnt_dscnt 0x800
	v_mul_f64_e32 v[161:162], v[6:7], v[16:17]
	v_mul_f64_e32 v[16:17], v[8:9], v[16:17]
	v_add_f64_e32 v[151:152], 0, v[151:152]
	v_add_f64_e32 v[155:156], 0, v[155:156]
	v_fma_f64 v[157:158], v[4:5], v[10:11], v[157:158]
	v_fma_f64 v[163:164], v[2:3], v[10:11], -v[12:13]
	ds_load_b128 v[2:5], v1 offset:1312
	scratch_load_b128 v[10:13], off, off offset:656
	v_add_f64_e32 v[151:152], v[151:152], v[159:160]
	v_add_f64_e32 v[153:154], v[155:156], v[153:154]
	v_fma_f64 v[159:160], v[8:9], v[14:15], v[161:162]
	v_fma_f64 v[161:162], v[6:7], v[14:15], -v[16:17]
	ds_load_b128 v[6:9], v1 offset:1328
	scratch_load_b128 v[14:17], off, off offset:672
	s_wait_loadcnt_dscnt 0x901
	v_mul_f64_e32 v[155:156], v[2:3], v[20:21]
	v_mul_f64_e32 v[20:21], v[4:5], v[20:21]
	v_add_f64_e32 v[151:152], v[151:152], v[163:164]
	v_add_f64_e32 v[153:154], v[153:154], v[157:158]
	s_wait_loadcnt_dscnt 0x800
	v_mul_f64_e32 v[157:158], v[6:7], v[24:25]
	v_mul_f64_e32 v[24:25], v[8:9], v[24:25]
	v_fma_f64 v[155:156], v[4:5], v[18:19], v[155:156]
	v_fma_f64 v[163:164], v[2:3], v[18:19], -v[20:21]
	ds_load_b128 v[2:5], v1 offset:1344
	scratch_load_b128 v[18:21], off, off offset:688
	v_add_f64_e32 v[151:152], v[151:152], v[161:162]
	v_add_f64_e32 v[153:154], v[153:154], v[159:160]
	v_fma_f64 v[157:158], v[8:9], v[22:23], v[157:158]
	v_fma_f64 v[161:162], v[6:7], v[22:23], -v[24:25]
	ds_load_b128 v[6:9], v1 offset:1360
	s_wait_loadcnt_dscnt 0x801
	v_mul_f64_e32 v[159:160], v[2:3], v[28:29]
	v_mul_f64_e32 v[28:29], v[4:5], v[28:29]
	scratch_load_b128 v[22:25], off, off offset:704
	v_add_f64_e32 v[151:152], v[151:152], v[163:164]
	v_add_f64_e32 v[153:154], v[153:154], v[155:156]
	s_wait_loadcnt_dscnt 0x800
	v_mul_f64_e32 v[155:156], v[6:7], v[32:33]
	v_mul_f64_e32 v[32:33], v[8:9], v[32:33]
	v_fma_f64 v[159:160], v[4:5], v[26:27], v[159:160]
	v_fma_f64 v[163:164], v[2:3], v[26:27], -v[28:29]
	ds_load_b128 v[2:5], v1 offset:1376
	scratch_load_b128 v[26:29], off, off offset:720
	v_add_f64_e32 v[151:152], v[151:152], v[161:162]
	v_add_f64_e32 v[153:154], v[153:154], v[157:158]
	v_fma_f64 v[155:156], v[8:9], v[30:31], v[155:156]
	v_fma_f64 v[161:162], v[6:7], v[30:31], -v[32:33]
	ds_load_b128 v[6:9], v1 offset:1392
	s_wait_loadcnt_dscnt 0x801
	v_mul_f64_e32 v[157:158], v[2:3], v[40:41]
	v_mul_f64_e32 v[40:41], v[4:5], v[40:41]
	scratch_load_b128 v[30:33], off, off offset:736
	v_add_f64_e32 v[151:152], v[151:152], v[163:164]
	v_add_f64_e32 v[153:154], v[153:154], v[159:160]
	s_wait_loadcnt_dscnt 0x800
	v_mul_f64_e32 v[159:160], v[6:7], v[149:150]
	v_mul_f64_e32 v[149:150], v[8:9], v[149:150]
	v_fma_f64 v[157:158], v[4:5], v[38:39], v[157:158]
	v_fma_f64 v[163:164], v[2:3], v[38:39], -v[40:41]
	ds_load_b128 v[2:5], v1 offset:1408
	scratch_load_b128 v[38:41], off, off offset:752
	v_add_f64_e32 v[151:152], v[151:152], v[161:162]
	v_add_f64_e32 v[153:154], v[153:154], v[155:156]
	v_fma_f64 v[159:160], v[8:9], v[147:148], v[159:160]
	v_fma_f64 v[161:162], v[6:7], v[147:148], -v[149:150]
	ds_load_b128 v[6:9], v1 offset:1424
	scratch_load_b128 v[147:150], off, off offset:768
	s_wait_loadcnt_dscnt 0x901
	v_mul_f64_e32 v[155:156], v[2:3], v[36:37]
	v_mul_f64_e32 v[36:37], v[4:5], v[36:37]
	v_add_f64_e32 v[151:152], v[151:152], v[163:164]
	v_add_f64_e32 v[153:154], v[153:154], v[157:158]
	s_wait_loadcnt_dscnt 0x800
	v_mul_f64_e32 v[157:158], v[6:7], v[145:146]
	v_mul_f64_e32 v[145:146], v[8:9], v[145:146]
	v_fma_f64 v[155:156], v[4:5], v[34:35], v[155:156]
	v_fma_f64 v[163:164], v[2:3], v[34:35], -v[36:37]
	ds_load_b128 v[2:5], v1 offset:1440
	scratch_load_b128 v[34:37], off, off offset:784
	v_add_f64_e32 v[151:152], v[151:152], v[161:162]
	v_add_f64_e32 v[153:154], v[153:154], v[159:160]
	v_fma_f64 v[157:158], v[8:9], v[143:144], v[157:158]
	v_fma_f64 v[161:162], v[6:7], v[143:144], -v[145:146]
	ds_load_b128 v[6:9], v1 offset:1456
	s_wait_loadcnt_dscnt 0x801
	v_mul_f64_e32 v[159:160], v[2:3], v[12:13]
	v_mul_f64_e32 v[12:13], v[4:5], v[12:13]
	scratch_load_b128 v[143:146], off, off offset:800
	v_add_f64_e32 v[151:152], v[151:152], v[163:164]
	v_add_f64_e32 v[153:154], v[153:154], v[155:156]
	s_wait_loadcnt_dscnt 0x800
	v_mul_f64_e32 v[155:156], v[6:7], v[16:17]
	v_mul_f64_e32 v[16:17], v[8:9], v[16:17]
	v_fma_f64 v[159:160], v[4:5], v[10:11], v[159:160]
	v_fma_f64 v[10:11], v[2:3], v[10:11], -v[12:13]
	ds_load_b128 v[2:5], v1 offset:1472
	v_add_f64_e32 v[12:13], v[151:152], v[161:162]
	v_add_f64_e32 v[151:152], v[153:154], v[157:158]
	v_fma_f64 v[155:156], v[8:9], v[14:15], v[155:156]
	v_fma_f64 v[14:15], v[6:7], v[14:15], -v[16:17]
	ds_load_b128 v[6:9], v1 offset:1488
	s_wait_loadcnt_dscnt 0x701
	v_mul_f64_e32 v[153:154], v[2:3], v[20:21]
	v_mul_f64_e32 v[20:21], v[4:5], v[20:21]
	v_add_f64_e32 v[10:11], v[12:13], v[10:11]
	v_add_f64_e32 v[12:13], v[151:152], v[159:160]
	s_delay_alu instid0(VALU_DEP_4) | instskip(NEXT) | instid1(VALU_DEP_4)
	v_fma_f64 v[151:152], v[4:5], v[18:19], v[153:154]
	v_fma_f64 v[18:19], v[2:3], v[18:19], -v[20:21]
	ds_load_b128 v[2:5], v1 offset:1504
	v_add_f64_e32 v[14:15], v[10:11], v[14:15]
	v_add_f64_e32 v[20:21], v[12:13], v[155:156]
	scratch_load_b128 v[10:13], off, off offset:448
	s_wait_loadcnt_dscnt 0x701
	v_mul_f64_e32 v[16:17], v[6:7], v[24:25]
	v_mul_f64_e32 v[24:25], v[8:9], v[24:25]
	v_add_f64_e32 v[14:15], v[14:15], v[18:19]
	v_add_f64_e32 v[18:19], v[20:21], v[151:152]
	s_delay_alu instid0(VALU_DEP_4) | instskip(NEXT) | instid1(VALU_DEP_4)
	v_fma_f64 v[16:17], v[8:9], v[22:23], v[16:17]
	v_fma_f64 v[22:23], v[6:7], v[22:23], -v[24:25]
	ds_load_b128 v[6:9], v1 offset:1520
	s_wait_loadcnt_dscnt 0x601
	v_mul_f64_e32 v[153:154], v[2:3], v[28:29]
	v_mul_f64_e32 v[28:29], v[4:5], v[28:29]
	s_wait_loadcnt_dscnt 0x500
	v_mul_f64_e32 v[20:21], v[6:7], v[32:33]
	v_mul_f64_e32 v[24:25], v[8:9], v[32:33]
	v_add_f64_e32 v[16:17], v[18:19], v[16:17]
	v_add_f64_e32 v[14:15], v[14:15], v[22:23]
	v_fma_f64 v[32:33], v[4:5], v[26:27], v[153:154]
	v_fma_f64 v[26:27], v[2:3], v[26:27], -v[28:29]
	ds_load_b128 v[2:5], v1 offset:1536
	v_fma_f64 v[20:21], v[8:9], v[30:31], v[20:21]
	v_fma_f64 v[24:25], v[6:7], v[30:31], -v[24:25]
	ds_load_b128 v[6:9], v1 offset:1552
	s_wait_loadcnt_dscnt 0x401
	v_mul_f64_e32 v[18:19], v[2:3], v[40:41]
	v_mul_f64_e32 v[22:23], v[4:5], v[40:41]
	v_add_f64_e32 v[16:17], v[16:17], v[32:33]
	v_add_f64_e32 v[14:15], v[14:15], v[26:27]
	s_wait_loadcnt_dscnt 0x300
	v_mul_f64_e32 v[26:27], v[6:7], v[149:150]
	v_mul_f64_e32 v[28:29], v[8:9], v[149:150]
	v_fma_f64 v[18:19], v[4:5], v[38:39], v[18:19]
	v_fma_f64 v[22:23], v[2:3], v[38:39], -v[22:23]
	ds_load_b128 v[2:5], v1 offset:1568
	v_add_f64_e32 v[16:17], v[16:17], v[20:21]
	v_add_f64_e32 v[14:15], v[14:15], v[24:25]
	v_fma_f64 v[26:27], v[8:9], v[147:148], v[26:27]
	v_fma_f64 v[28:29], v[6:7], v[147:148], -v[28:29]
	ds_load_b128 v[6:9], v1 offset:1584
	s_wait_loadcnt_dscnt 0x201
	v_mul_f64_e32 v[20:21], v[2:3], v[36:37]
	v_mul_f64_e32 v[24:25], v[4:5], v[36:37]
	v_add_f64_e32 v[16:17], v[16:17], v[18:19]
	v_add_f64_e32 v[14:15], v[14:15], v[22:23]
	s_wait_loadcnt_dscnt 0x100
	v_mul_f64_e32 v[18:19], v[6:7], v[145:146]
	v_mul_f64_e32 v[22:23], v[8:9], v[145:146]
	v_fma_f64 v[4:5], v[4:5], v[34:35], v[20:21]
	v_fma_f64 v[1:2], v[2:3], v[34:35], -v[24:25]
	v_add_f64_e32 v[16:17], v[16:17], v[26:27]
	v_add_f64_e32 v[14:15], v[14:15], v[28:29]
	v_fma_f64 v[8:9], v[8:9], v[143:144], v[18:19]
	v_fma_f64 v[6:7], v[6:7], v[143:144], -v[22:23]
	s_delay_alu instid0(VALU_DEP_4) | instskip(NEXT) | instid1(VALU_DEP_4)
	v_add_f64_e32 v[3:4], v[16:17], v[4:5]
	v_add_f64_e32 v[1:2], v[14:15], v[1:2]
	s_delay_alu instid0(VALU_DEP_2) | instskip(NEXT) | instid1(VALU_DEP_2)
	v_add_f64_e32 v[3:4], v[3:4], v[8:9]
	v_add_f64_e32 v[1:2], v[1:2], v[6:7]
	s_wait_loadcnt 0x0
	s_delay_alu instid0(VALU_DEP_2) | instskip(NEXT) | instid1(VALU_DEP_2)
	v_add_f64_e64 v[3:4], v[12:13], -v[3:4]
	v_add_f64_e64 v[1:2], v[10:11], -v[1:2]
	scratch_store_b128 off, v[1:4], off offset:448
	v_cmpx_lt_u32_e32 26, v0
	s_cbranch_execz .LBB49_261
; %bb.260:
	scratch_load_b128 v[1:4], off, s30
	v_mov_b32_e32 v5, 0
	s_delay_alu instid0(VALU_DEP_1)
	v_dual_mov_b32 v6, v5 :: v_dual_mov_b32 v7, v5
	v_mov_b32_e32 v8, v5
	scratch_store_b128 off, v[5:8], off offset:432
	s_wait_loadcnt 0x0
	ds_store_b128 v142, v[1:4]
.LBB49_261:
	s_wait_alu 0xfffe
	s_or_b32 exec_lo, exec_lo, s0
	s_wait_storecnt_dscnt 0x0
	s_barrier_signal -1
	s_barrier_wait -1
	global_inv scope:SCOPE_SE
	s_clause 0x7
	scratch_load_b128 v[2:5], off, off offset:448
	scratch_load_b128 v[6:9], off, off offset:464
	;; [unrolled: 1-line block ×8, first 2 shown]
	v_mov_b32_e32 v1, 0
	s_clause 0x1
	scratch_load_b128 v[38:41], off, off offset:576
	scratch_load_b128 v[147:150], off, off offset:592
	s_mov_b32 s0, exec_lo
	ds_load_b128 v[34:37], v1 offset:1232
	ds_load_b128 v[143:146], v1 offset:1248
	s_wait_loadcnt_dscnt 0x901
	v_mul_f64_e32 v[151:152], v[36:37], v[4:5]
	v_mul_f64_e32 v[4:5], v[34:35], v[4:5]
	s_wait_loadcnt_dscnt 0x800
	v_mul_f64_e32 v[153:154], v[143:144], v[8:9]
	v_mul_f64_e32 v[8:9], v[145:146], v[8:9]
	s_delay_alu instid0(VALU_DEP_4) | instskip(NEXT) | instid1(VALU_DEP_4)
	v_fma_f64 v[151:152], v[34:35], v[2:3], -v[151:152]
	v_fma_f64 v[155:156], v[36:37], v[2:3], v[4:5]
	ds_load_b128 v[2:5], v1 offset:1264
	scratch_load_b128 v[34:37], off, off offset:608
	v_fma_f64 v[153:154], v[145:146], v[6:7], v[153:154]
	v_fma_f64 v[159:160], v[143:144], v[6:7], -v[8:9]
	ds_load_b128 v[6:9], v1 offset:1280
	scratch_load_b128 v[143:146], off, off offset:624
	s_wait_loadcnt_dscnt 0x901
	v_mul_f64_e32 v[157:158], v[2:3], v[12:13]
	v_mul_f64_e32 v[12:13], v[4:5], v[12:13]
	s_wait_loadcnt_dscnt 0x800
	v_mul_f64_e32 v[161:162], v[6:7], v[16:17]
	v_mul_f64_e32 v[16:17], v[8:9], v[16:17]
	v_add_f64_e32 v[151:152], 0, v[151:152]
	v_add_f64_e32 v[155:156], 0, v[155:156]
	v_fma_f64 v[157:158], v[4:5], v[10:11], v[157:158]
	v_fma_f64 v[163:164], v[2:3], v[10:11], -v[12:13]
	ds_load_b128 v[2:5], v1 offset:1296
	scratch_load_b128 v[10:13], off, off offset:640
	v_add_f64_e32 v[151:152], v[151:152], v[159:160]
	v_add_f64_e32 v[153:154], v[155:156], v[153:154]
	v_fma_f64 v[159:160], v[8:9], v[14:15], v[161:162]
	v_fma_f64 v[161:162], v[6:7], v[14:15], -v[16:17]
	ds_load_b128 v[6:9], v1 offset:1312
	scratch_load_b128 v[14:17], off, off offset:656
	s_wait_loadcnt_dscnt 0x901
	v_mul_f64_e32 v[155:156], v[2:3], v[20:21]
	v_mul_f64_e32 v[20:21], v[4:5], v[20:21]
	v_add_f64_e32 v[151:152], v[151:152], v[163:164]
	v_add_f64_e32 v[153:154], v[153:154], v[157:158]
	s_wait_loadcnt_dscnt 0x800
	v_mul_f64_e32 v[157:158], v[6:7], v[24:25]
	v_mul_f64_e32 v[24:25], v[8:9], v[24:25]
	v_fma_f64 v[155:156], v[4:5], v[18:19], v[155:156]
	v_fma_f64 v[163:164], v[2:3], v[18:19], -v[20:21]
	ds_load_b128 v[2:5], v1 offset:1328
	scratch_load_b128 v[18:21], off, off offset:672
	v_add_f64_e32 v[151:152], v[151:152], v[161:162]
	v_add_f64_e32 v[153:154], v[153:154], v[159:160]
	v_fma_f64 v[157:158], v[8:9], v[22:23], v[157:158]
	v_fma_f64 v[161:162], v[6:7], v[22:23], -v[24:25]
	ds_load_b128 v[6:9], v1 offset:1344
	s_wait_loadcnt_dscnt 0x801
	v_mul_f64_e32 v[159:160], v[2:3], v[28:29]
	v_mul_f64_e32 v[28:29], v[4:5], v[28:29]
	scratch_load_b128 v[22:25], off, off offset:688
	v_add_f64_e32 v[151:152], v[151:152], v[163:164]
	v_add_f64_e32 v[153:154], v[153:154], v[155:156]
	s_wait_loadcnt_dscnt 0x800
	v_mul_f64_e32 v[155:156], v[6:7], v[32:33]
	v_mul_f64_e32 v[32:33], v[8:9], v[32:33]
	v_fma_f64 v[159:160], v[4:5], v[26:27], v[159:160]
	v_fma_f64 v[163:164], v[2:3], v[26:27], -v[28:29]
	ds_load_b128 v[2:5], v1 offset:1360
	scratch_load_b128 v[26:29], off, off offset:704
	v_add_f64_e32 v[151:152], v[151:152], v[161:162]
	v_add_f64_e32 v[153:154], v[153:154], v[157:158]
	v_fma_f64 v[155:156], v[8:9], v[30:31], v[155:156]
	v_fma_f64 v[161:162], v[6:7], v[30:31], -v[32:33]
	ds_load_b128 v[6:9], v1 offset:1376
	s_wait_loadcnt_dscnt 0x801
	v_mul_f64_e32 v[157:158], v[2:3], v[40:41]
	v_mul_f64_e32 v[40:41], v[4:5], v[40:41]
	scratch_load_b128 v[30:33], off, off offset:720
	v_add_f64_e32 v[151:152], v[151:152], v[163:164]
	v_add_f64_e32 v[153:154], v[153:154], v[159:160]
	s_wait_loadcnt_dscnt 0x800
	v_mul_f64_e32 v[159:160], v[6:7], v[149:150]
	v_mul_f64_e32 v[149:150], v[8:9], v[149:150]
	v_fma_f64 v[157:158], v[4:5], v[38:39], v[157:158]
	v_fma_f64 v[163:164], v[2:3], v[38:39], -v[40:41]
	ds_load_b128 v[2:5], v1 offset:1392
	scratch_load_b128 v[38:41], off, off offset:736
	v_add_f64_e32 v[151:152], v[151:152], v[161:162]
	v_add_f64_e32 v[153:154], v[153:154], v[155:156]
	v_fma_f64 v[159:160], v[8:9], v[147:148], v[159:160]
	v_fma_f64 v[161:162], v[6:7], v[147:148], -v[149:150]
	ds_load_b128 v[6:9], v1 offset:1408
	scratch_load_b128 v[147:150], off, off offset:752
	s_wait_loadcnt_dscnt 0x901
	v_mul_f64_e32 v[155:156], v[2:3], v[36:37]
	v_mul_f64_e32 v[36:37], v[4:5], v[36:37]
	v_add_f64_e32 v[151:152], v[151:152], v[163:164]
	v_add_f64_e32 v[153:154], v[153:154], v[157:158]
	s_wait_loadcnt_dscnt 0x800
	v_mul_f64_e32 v[157:158], v[6:7], v[145:146]
	v_mul_f64_e32 v[145:146], v[8:9], v[145:146]
	v_fma_f64 v[155:156], v[4:5], v[34:35], v[155:156]
	v_fma_f64 v[163:164], v[2:3], v[34:35], -v[36:37]
	ds_load_b128 v[2:5], v1 offset:1424
	scratch_load_b128 v[34:37], off, off offset:768
	v_add_f64_e32 v[151:152], v[151:152], v[161:162]
	v_add_f64_e32 v[153:154], v[153:154], v[159:160]
	v_fma_f64 v[157:158], v[8:9], v[143:144], v[157:158]
	v_fma_f64 v[161:162], v[6:7], v[143:144], -v[145:146]
	ds_load_b128 v[6:9], v1 offset:1440
	s_wait_loadcnt_dscnt 0x801
	v_mul_f64_e32 v[159:160], v[2:3], v[12:13]
	v_mul_f64_e32 v[12:13], v[4:5], v[12:13]
	scratch_load_b128 v[143:146], off, off offset:784
	v_add_f64_e32 v[151:152], v[151:152], v[163:164]
	v_add_f64_e32 v[153:154], v[153:154], v[155:156]
	s_wait_loadcnt_dscnt 0x800
	v_mul_f64_e32 v[155:156], v[6:7], v[16:17]
	v_mul_f64_e32 v[16:17], v[8:9], v[16:17]
	v_fma_f64 v[159:160], v[4:5], v[10:11], v[159:160]
	v_fma_f64 v[163:164], v[2:3], v[10:11], -v[12:13]
	ds_load_b128 v[2:5], v1 offset:1456
	scratch_load_b128 v[10:13], off, off offset:800
	v_add_f64_e32 v[151:152], v[151:152], v[161:162]
	v_add_f64_e32 v[153:154], v[153:154], v[157:158]
	v_fma_f64 v[155:156], v[8:9], v[14:15], v[155:156]
	v_fma_f64 v[14:15], v[6:7], v[14:15], -v[16:17]
	ds_load_b128 v[6:9], v1 offset:1472
	s_wait_loadcnt_dscnt 0x801
	v_mul_f64_e32 v[157:158], v[2:3], v[20:21]
	v_mul_f64_e32 v[20:21], v[4:5], v[20:21]
	v_add_f64_e32 v[16:17], v[151:152], v[163:164]
	v_add_f64_e32 v[151:152], v[153:154], v[159:160]
	s_wait_loadcnt_dscnt 0x700
	v_mul_f64_e32 v[153:154], v[6:7], v[24:25]
	v_mul_f64_e32 v[24:25], v[8:9], v[24:25]
	v_fma_f64 v[157:158], v[4:5], v[18:19], v[157:158]
	v_fma_f64 v[18:19], v[2:3], v[18:19], -v[20:21]
	ds_load_b128 v[2:5], v1 offset:1488
	v_add_f64_e32 v[14:15], v[16:17], v[14:15]
	v_add_f64_e32 v[16:17], v[151:152], v[155:156]
	v_fma_f64 v[151:152], v[8:9], v[22:23], v[153:154]
	v_fma_f64 v[22:23], v[6:7], v[22:23], -v[24:25]
	ds_load_b128 v[6:9], v1 offset:1504
	s_wait_loadcnt_dscnt 0x500
	v_mul_f64_e32 v[153:154], v[6:7], v[32:33]
	v_mul_f64_e32 v[32:33], v[8:9], v[32:33]
	v_add_f64_e32 v[18:19], v[14:15], v[18:19]
	v_add_f64_e32 v[24:25], v[16:17], v[157:158]
	scratch_load_b128 v[14:17], off, off offset:432
	v_mul_f64_e32 v[20:21], v[2:3], v[28:29]
	v_mul_f64_e32 v[28:29], v[4:5], v[28:29]
	v_add_f64_e32 v[18:19], v[18:19], v[22:23]
	v_add_f64_e32 v[22:23], v[24:25], v[151:152]
	s_delay_alu instid0(VALU_DEP_4) | instskip(NEXT) | instid1(VALU_DEP_4)
	v_fma_f64 v[20:21], v[4:5], v[26:27], v[20:21]
	v_fma_f64 v[26:27], v[2:3], v[26:27], -v[28:29]
	ds_load_b128 v[2:5], v1 offset:1520
	s_wait_loadcnt_dscnt 0x500
	v_mul_f64_e32 v[24:25], v[2:3], v[40:41]
	v_mul_f64_e32 v[28:29], v[4:5], v[40:41]
	v_fma_f64 v[40:41], v[8:9], v[30:31], v[153:154]
	v_fma_f64 v[30:31], v[6:7], v[30:31], -v[32:33]
	ds_load_b128 v[6:9], v1 offset:1536
	v_add_f64_e32 v[20:21], v[22:23], v[20:21]
	v_add_f64_e32 v[18:19], v[18:19], v[26:27]
	v_fma_f64 v[24:25], v[4:5], v[38:39], v[24:25]
	v_fma_f64 v[28:29], v[2:3], v[38:39], -v[28:29]
	ds_load_b128 v[2:5], v1 offset:1552
	s_wait_loadcnt_dscnt 0x401
	v_mul_f64_e32 v[22:23], v[6:7], v[149:150]
	v_mul_f64_e32 v[26:27], v[8:9], v[149:150]
	v_add_f64_e32 v[20:21], v[20:21], v[40:41]
	v_add_f64_e32 v[18:19], v[18:19], v[30:31]
	s_wait_loadcnt_dscnt 0x300
	v_mul_f64_e32 v[30:31], v[2:3], v[36:37]
	v_mul_f64_e32 v[32:33], v[4:5], v[36:37]
	v_fma_f64 v[22:23], v[8:9], v[147:148], v[22:23]
	v_fma_f64 v[26:27], v[6:7], v[147:148], -v[26:27]
	ds_load_b128 v[6:9], v1 offset:1568
	v_add_f64_e32 v[20:21], v[20:21], v[24:25]
	v_add_f64_e32 v[18:19], v[18:19], v[28:29]
	v_fma_f64 v[30:31], v[4:5], v[34:35], v[30:31]
	v_fma_f64 v[32:33], v[2:3], v[34:35], -v[32:33]
	ds_load_b128 v[2:5], v1 offset:1584
	s_wait_loadcnt_dscnt 0x201
	v_mul_f64_e32 v[24:25], v[6:7], v[145:146]
	v_mul_f64_e32 v[28:29], v[8:9], v[145:146]
	v_add_f64_e32 v[20:21], v[20:21], v[22:23]
	v_add_f64_e32 v[18:19], v[18:19], v[26:27]
	s_wait_loadcnt_dscnt 0x100
	v_mul_f64_e32 v[22:23], v[2:3], v[12:13]
	v_mul_f64_e32 v[12:13], v[4:5], v[12:13]
	v_fma_f64 v[8:9], v[8:9], v[143:144], v[24:25]
	v_fma_f64 v[6:7], v[6:7], v[143:144], -v[28:29]
	v_add_f64_e32 v[20:21], v[20:21], v[30:31]
	v_add_f64_e32 v[18:19], v[18:19], v[32:33]
	v_fma_f64 v[4:5], v[4:5], v[10:11], v[22:23]
	v_fma_f64 v[2:3], v[2:3], v[10:11], -v[12:13]
	s_delay_alu instid0(VALU_DEP_4) | instskip(NEXT) | instid1(VALU_DEP_4)
	v_add_f64_e32 v[8:9], v[20:21], v[8:9]
	v_add_f64_e32 v[6:7], v[18:19], v[6:7]
	s_delay_alu instid0(VALU_DEP_2) | instskip(NEXT) | instid1(VALU_DEP_2)
	v_add_f64_e32 v[4:5], v[8:9], v[4:5]
	v_add_f64_e32 v[2:3], v[6:7], v[2:3]
	s_wait_loadcnt 0x0
	s_delay_alu instid0(VALU_DEP_2) | instskip(NEXT) | instid1(VALU_DEP_2)
	v_add_f64_e64 v[4:5], v[16:17], -v[4:5]
	v_add_f64_e64 v[2:3], v[14:15], -v[2:3]
	scratch_store_b128 off, v[2:5], off offset:432
	v_cmpx_lt_u32_e32 25, v0
	s_cbranch_execz .LBB49_263
; %bb.262:
	scratch_load_b128 v[5:8], off, s29
	v_dual_mov_b32 v2, v1 :: v_dual_mov_b32 v3, v1
	v_mov_b32_e32 v4, v1
	scratch_store_b128 off, v[1:4], off offset:416
	s_wait_loadcnt 0x0
	ds_store_b128 v142, v[5:8]
.LBB49_263:
	s_wait_alu 0xfffe
	s_or_b32 exec_lo, exec_lo, s0
	s_wait_storecnt_dscnt 0x0
	s_barrier_signal -1
	s_barrier_wait -1
	global_inv scope:SCOPE_SE
	s_clause 0x7
	scratch_load_b128 v[2:5], off, off offset:432
	scratch_load_b128 v[6:9], off, off offset:448
	;; [unrolled: 1-line block ×8, first 2 shown]
	ds_load_b128 v[34:37], v1 offset:1216
	ds_load_b128 v[143:146], v1 offset:1232
	s_clause 0x1
	scratch_load_b128 v[38:41], off, off offset:560
	scratch_load_b128 v[147:150], off, off offset:576
	s_mov_b32 s0, exec_lo
	s_wait_loadcnt_dscnt 0x901
	v_mul_f64_e32 v[151:152], v[36:37], v[4:5]
	v_mul_f64_e32 v[4:5], v[34:35], v[4:5]
	s_wait_loadcnt_dscnt 0x800
	v_mul_f64_e32 v[153:154], v[143:144], v[8:9]
	v_mul_f64_e32 v[8:9], v[145:146], v[8:9]
	s_delay_alu instid0(VALU_DEP_4) | instskip(NEXT) | instid1(VALU_DEP_4)
	v_fma_f64 v[151:152], v[34:35], v[2:3], -v[151:152]
	v_fma_f64 v[155:156], v[36:37], v[2:3], v[4:5]
	ds_load_b128 v[2:5], v1 offset:1248
	scratch_load_b128 v[34:37], off, off offset:592
	v_fma_f64 v[153:154], v[145:146], v[6:7], v[153:154]
	v_fma_f64 v[159:160], v[143:144], v[6:7], -v[8:9]
	ds_load_b128 v[6:9], v1 offset:1264
	scratch_load_b128 v[143:146], off, off offset:608
	s_wait_loadcnt_dscnt 0x901
	v_mul_f64_e32 v[157:158], v[2:3], v[12:13]
	v_mul_f64_e32 v[12:13], v[4:5], v[12:13]
	s_wait_loadcnt_dscnt 0x800
	v_mul_f64_e32 v[161:162], v[6:7], v[16:17]
	v_mul_f64_e32 v[16:17], v[8:9], v[16:17]
	v_add_f64_e32 v[151:152], 0, v[151:152]
	v_add_f64_e32 v[155:156], 0, v[155:156]
	v_fma_f64 v[157:158], v[4:5], v[10:11], v[157:158]
	v_fma_f64 v[163:164], v[2:3], v[10:11], -v[12:13]
	ds_load_b128 v[2:5], v1 offset:1280
	scratch_load_b128 v[10:13], off, off offset:624
	v_add_f64_e32 v[151:152], v[151:152], v[159:160]
	v_add_f64_e32 v[153:154], v[155:156], v[153:154]
	v_fma_f64 v[159:160], v[8:9], v[14:15], v[161:162]
	v_fma_f64 v[161:162], v[6:7], v[14:15], -v[16:17]
	ds_load_b128 v[6:9], v1 offset:1296
	scratch_load_b128 v[14:17], off, off offset:640
	s_wait_loadcnt_dscnt 0x901
	v_mul_f64_e32 v[155:156], v[2:3], v[20:21]
	v_mul_f64_e32 v[20:21], v[4:5], v[20:21]
	v_add_f64_e32 v[151:152], v[151:152], v[163:164]
	v_add_f64_e32 v[153:154], v[153:154], v[157:158]
	s_wait_loadcnt_dscnt 0x800
	v_mul_f64_e32 v[157:158], v[6:7], v[24:25]
	v_mul_f64_e32 v[24:25], v[8:9], v[24:25]
	v_fma_f64 v[155:156], v[4:5], v[18:19], v[155:156]
	v_fma_f64 v[163:164], v[2:3], v[18:19], -v[20:21]
	ds_load_b128 v[2:5], v1 offset:1312
	scratch_load_b128 v[18:21], off, off offset:656
	v_add_f64_e32 v[151:152], v[151:152], v[161:162]
	v_add_f64_e32 v[153:154], v[153:154], v[159:160]
	v_fma_f64 v[157:158], v[8:9], v[22:23], v[157:158]
	v_fma_f64 v[161:162], v[6:7], v[22:23], -v[24:25]
	ds_load_b128 v[6:9], v1 offset:1328
	s_wait_loadcnt_dscnt 0x801
	v_mul_f64_e32 v[159:160], v[2:3], v[28:29]
	v_mul_f64_e32 v[28:29], v[4:5], v[28:29]
	scratch_load_b128 v[22:25], off, off offset:672
	v_add_f64_e32 v[151:152], v[151:152], v[163:164]
	v_add_f64_e32 v[153:154], v[153:154], v[155:156]
	s_wait_loadcnt_dscnt 0x800
	v_mul_f64_e32 v[155:156], v[6:7], v[32:33]
	v_mul_f64_e32 v[32:33], v[8:9], v[32:33]
	v_fma_f64 v[159:160], v[4:5], v[26:27], v[159:160]
	v_fma_f64 v[163:164], v[2:3], v[26:27], -v[28:29]
	ds_load_b128 v[2:5], v1 offset:1344
	scratch_load_b128 v[26:29], off, off offset:688
	v_add_f64_e32 v[151:152], v[151:152], v[161:162]
	v_add_f64_e32 v[153:154], v[153:154], v[157:158]
	v_fma_f64 v[155:156], v[8:9], v[30:31], v[155:156]
	v_fma_f64 v[161:162], v[6:7], v[30:31], -v[32:33]
	ds_load_b128 v[6:9], v1 offset:1360
	s_wait_loadcnt_dscnt 0x801
	v_mul_f64_e32 v[157:158], v[2:3], v[40:41]
	v_mul_f64_e32 v[40:41], v[4:5], v[40:41]
	scratch_load_b128 v[30:33], off, off offset:704
	v_add_f64_e32 v[151:152], v[151:152], v[163:164]
	v_add_f64_e32 v[153:154], v[153:154], v[159:160]
	s_wait_loadcnt_dscnt 0x800
	v_mul_f64_e32 v[159:160], v[6:7], v[149:150]
	v_mul_f64_e32 v[149:150], v[8:9], v[149:150]
	v_fma_f64 v[157:158], v[4:5], v[38:39], v[157:158]
	v_fma_f64 v[163:164], v[2:3], v[38:39], -v[40:41]
	ds_load_b128 v[2:5], v1 offset:1376
	scratch_load_b128 v[38:41], off, off offset:720
	v_add_f64_e32 v[151:152], v[151:152], v[161:162]
	v_add_f64_e32 v[153:154], v[153:154], v[155:156]
	v_fma_f64 v[159:160], v[8:9], v[147:148], v[159:160]
	v_fma_f64 v[161:162], v[6:7], v[147:148], -v[149:150]
	ds_load_b128 v[6:9], v1 offset:1392
	scratch_load_b128 v[147:150], off, off offset:736
	s_wait_loadcnt_dscnt 0x901
	v_mul_f64_e32 v[155:156], v[2:3], v[36:37]
	v_mul_f64_e32 v[36:37], v[4:5], v[36:37]
	v_add_f64_e32 v[151:152], v[151:152], v[163:164]
	v_add_f64_e32 v[153:154], v[153:154], v[157:158]
	s_wait_loadcnt_dscnt 0x800
	v_mul_f64_e32 v[157:158], v[6:7], v[145:146]
	v_mul_f64_e32 v[145:146], v[8:9], v[145:146]
	v_fma_f64 v[155:156], v[4:5], v[34:35], v[155:156]
	v_fma_f64 v[163:164], v[2:3], v[34:35], -v[36:37]
	ds_load_b128 v[2:5], v1 offset:1408
	scratch_load_b128 v[34:37], off, off offset:752
	v_add_f64_e32 v[151:152], v[151:152], v[161:162]
	v_add_f64_e32 v[153:154], v[153:154], v[159:160]
	v_fma_f64 v[157:158], v[8:9], v[143:144], v[157:158]
	v_fma_f64 v[161:162], v[6:7], v[143:144], -v[145:146]
	ds_load_b128 v[6:9], v1 offset:1424
	s_wait_loadcnt_dscnt 0x801
	v_mul_f64_e32 v[159:160], v[2:3], v[12:13]
	v_mul_f64_e32 v[12:13], v[4:5], v[12:13]
	scratch_load_b128 v[143:146], off, off offset:768
	v_add_f64_e32 v[151:152], v[151:152], v[163:164]
	v_add_f64_e32 v[153:154], v[153:154], v[155:156]
	s_wait_loadcnt_dscnt 0x800
	v_mul_f64_e32 v[155:156], v[6:7], v[16:17]
	v_mul_f64_e32 v[16:17], v[8:9], v[16:17]
	v_fma_f64 v[159:160], v[4:5], v[10:11], v[159:160]
	v_fma_f64 v[163:164], v[2:3], v[10:11], -v[12:13]
	ds_load_b128 v[2:5], v1 offset:1440
	scratch_load_b128 v[10:13], off, off offset:784
	v_add_f64_e32 v[151:152], v[151:152], v[161:162]
	v_add_f64_e32 v[153:154], v[153:154], v[157:158]
	v_fma_f64 v[155:156], v[8:9], v[14:15], v[155:156]
	v_fma_f64 v[161:162], v[6:7], v[14:15], -v[16:17]
	ds_load_b128 v[6:9], v1 offset:1456
	s_wait_loadcnt_dscnt 0x801
	v_mul_f64_e32 v[157:158], v[2:3], v[20:21]
	v_mul_f64_e32 v[20:21], v[4:5], v[20:21]
	scratch_load_b128 v[14:17], off, off offset:800
	v_add_f64_e32 v[151:152], v[151:152], v[163:164]
	v_add_f64_e32 v[153:154], v[153:154], v[159:160]
	s_wait_loadcnt_dscnt 0x800
	v_mul_f64_e32 v[159:160], v[6:7], v[24:25]
	v_mul_f64_e32 v[24:25], v[8:9], v[24:25]
	v_fma_f64 v[157:158], v[4:5], v[18:19], v[157:158]
	v_fma_f64 v[18:19], v[2:3], v[18:19], -v[20:21]
	ds_load_b128 v[2:5], v1 offset:1472
	v_add_f64_e32 v[20:21], v[151:152], v[161:162]
	v_add_f64_e32 v[151:152], v[153:154], v[155:156]
	v_fma_f64 v[155:156], v[8:9], v[22:23], v[159:160]
	v_fma_f64 v[22:23], v[6:7], v[22:23], -v[24:25]
	ds_load_b128 v[6:9], v1 offset:1488
	s_wait_loadcnt_dscnt 0x701
	v_mul_f64_e32 v[153:154], v[2:3], v[28:29]
	v_mul_f64_e32 v[28:29], v[4:5], v[28:29]
	v_add_f64_e32 v[18:19], v[20:21], v[18:19]
	v_add_f64_e32 v[20:21], v[151:152], v[157:158]
	s_delay_alu instid0(VALU_DEP_4) | instskip(NEXT) | instid1(VALU_DEP_4)
	v_fma_f64 v[151:152], v[4:5], v[26:27], v[153:154]
	v_fma_f64 v[26:27], v[2:3], v[26:27], -v[28:29]
	ds_load_b128 v[2:5], v1 offset:1504
	v_add_f64_e32 v[22:23], v[18:19], v[22:23]
	v_add_f64_e32 v[28:29], v[20:21], v[155:156]
	scratch_load_b128 v[18:21], off, off offset:416
	s_wait_loadcnt_dscnt 0x701
	v_mul_f64_e32 v[24:25], v[6:7], v[32:33]
	v_mul_f64_e32 v[32:33], v[8:9], v[32:33]
	v_add_f64_e32 v[22:23], v[22:23], v[26:27]
	v_add_f64_e32 v[26:27], v[28:29], v[151:152]
	s_delay_alu instid0(VALU_DEP_4) | instskip(NEXT) | instid1(VALU_DEP_4)
	v_fma_f64 v[24:25], v[8:9], v[30:31], v[24:25]
	v_fma_f64 v[30:31], v[6:7], v[30:31], -v[32:33]
	ds_load_b128 v[6:9], v1 offset:1520
	s_wait_loadcnt_dscnt 0x601
	v_mul_f64_e32 v[153:154], v[2:3], v[40:41]
	v_mul_f64_e32 v[40:41], v[4:5], v[40:41]
	s_wait_loadcnt_dscnt 0x500
	v_mul_f64_e32 v[28:29], v[6:7], v[149:150]
	v_mul_f64_e32 v[32:33], v[8:9], v[149:150]
	v_add_f64_e32 v[24:25], v[26:27], v[24:25]
	v_add_f64_e32 v[22:23], v[22:23], v[30:31]
	v_fma_f64 v[149:150], v[4:5], v[38:39], v[153:154]
	v_fma_f64 v[38:39], v[2:3], v[38:39], -v[40:41]
	ds_load_b128 v[2:5], v1 offset:1536
	v_fma_f64 v[28:29], v[8:9], v[147:148], v[28:29]
	v_fma_f64 v[32:33], v[6:7], v[147:148], -v[32:33]
	ds_load_b128 v[6:9], v1 offset:1552
	s_wait_loadcnt_dscnt 0x401
	v_mul_f64_e32 v[26:27], v[2:3], v[36:37]
	v_mul_f64_e32 v[30:31], v[4:5], v[36:37]
	v_add_f64_e32 v[24:25], v[24:25], v[149:150]
	v_add_f64_e32 v[22:23], v[22:23], v[38:39]
	s_wait_loadcnt_dscnt 0x300
	v_mul_f64_e32 v[36:37], v[6:7], v[145:146]
	v_mul_f64_e32 v[38:39], v[8:9], v[145:146]
	v_fma_f64 v[26:27], v[4:5], v[34:35], v[26:27]
	v_fma_f64 v[30:31], v[2:3], v[34:35], -v[30:31]
	ds_load_b128 v[2:5], v1 offset:1568
	v_add_f64_e32 v[24:25], v[24:25], v[28:29]
	v_add_f64_e32 v[22:23], v[22:23], v[32:33]
	v_fma_f64 v[32:33], v[8:9], v[143:144], v[36:37]
	v_fma_f64 v[34:35], v[6:7], v[143:144], -v[38:39]
	ds_load_b128 v[6:9], v1 offset:1584
	s_wait_loadcnt_dscnt 0x201
	v_mul_f64_e32 v[28:29], v[2:3], v[12:13]
	v_mul_f64_e32 v[12:13], v[4:5], v[12:13]
	v_add_f64_e32 v[24:25], v[24:25], v[26:27]
	v_add_f64_e32 v[22:23], v[22:23], v[30:31]
	s_wait_loadcnt_dscnt 0x100
	v_mul_f64_e32 v[26:27], v[6:7], v[16:17]
	v_mul_f64_e32 v[16:17], v[8:9], v[16:17]
	v_fma_f64 v[4:5], v[4:5], v[10:11], v[28:29]
	v_fma_f64 v[1:2], v[2:3], v[10:11], -v[12:13]
	v_add_f64_e32 v[12:13], v[24:25], v[32:33]
	v_add_f64_e32 v[10:11], v[22:23], v[34:35]
	v_fma_f64 v[8:9], v[8:9], v[14:15], v[26:27]
	v_fma_f64 v[6:7], v[6:7], v[14:15], -v[16:17]
	s_delay_alu instid0(VALU_DEP_4) | instskip(NEXT) | instid1(VALU_DEP_4)
	v_add_f64_e32 v[3:4], v[12:13], v[4:5]
	v_add_f64_e32 v[1:2], v[10:11], v[1:2]
	s_delay_alu instid0(VALU_DEP_2) | instskip(NEXT) | instid1(VALU_DEP_2)
	v_add_f64_e32 v[3:4], v[3:4], v[8:9]
	v_add_f64_e32 v[1:2], v[1:2], v[6:7]
	s_wait_loadcnt 0x0
	s_delay_alu instid0(VALU_DEP_2) | instskip(NEXT) | instid1(VALU_DEP_2)
	v_add_f64_e64 v[3:4], v[20:21], -v[3:4]
	v_add_f64_e64 v[1:2], v[18:19], -v[1:2]
	scratch_store_b128 off, v[1:4], off offset:416
	v_cmpx_lt_u32_e32 24, v0
	s_cbranch_execz .LBB49_265
; %bb.264:
	scratch_load_b128 v[1:4], off, s33
	v_mov_b32_e32 v5, 0
	s_delay_alu instid0(VALU_DEP_1)
	v_dual_mov_b32 v6, v5 :: v_dual_mov_b32 v7, v5
	v_mov_b32_e32 v8, v5
	scratch_store_b128 off, v[5:8], off offset:400
	s_wait_loadcnt 0x0
	ds_store_b128 v142, v[1:4]
.LBB49_265:
	s_wait_alu 0xfffe
	s_or_b32 exec_lo, exec_lo, s0
	s_wait_storecnt_dscnt 0x0
	s_barrier_signal -1
	s_barrier_wait -1
	global_inv scope:SCOPE_SE
	s_clause 0x7
	scratch_load_b128 v[2:5], off, off offset:416
	scratch_load_b128 v[6:9], off, off offset:432
	;; [unrolled: 1-line block ×8, first 2 shown]
	v_mov_b32_e32 v1, 0
	s_clause 0x1
	scratch_load_b128 v[38:41], off, off offset:544
	scratch_load_b128 v[147:150], off, off offset:560
	s_mov_b32 s0, exec_lo
	ds_load_b128 v[34:37], v1 offset:1200
	ds_load_b128 v[143:146], v1 offset:1216
	s_wait_loadcnt_dscnt 0x901
	v_mul_f64_e32 v[151:152], v[36:37], v[4:5]
	v_mul_f64_e32 v[4:5], v[34:35], v[4:5]
	s_wait_loadcnt_dscnt 0x800
	v_mul_f64_e32 v[153:154], v[143:144], v[8:9]
	v_mul_f64_e32 v[8:9], v[145:146], v[8:9]
	s_delay_alu instid0(VALU_DEP_4) | instskip(NEXT) | instid1(VALU_DEP_4)
	v_fma_f64 v[151:152], v[34:35], v[2:3], -v[151:152]
	v_fma_f64 v[155:156], v[36:37], v[2:3], v[4:5]
	ds_load_b128 v[2:5], v1 offset:1232
	scratch_load_b128 v[34:37], off, off offset:576
	v_fma_f64 v[153:154], v[145:146], v[6:7], v[153:154]
	v_fma_f64 v[159:160], v[143:144], v[6:7], -v[8:9]
	ds_load_b128 v[6:9], v1 offset:1248
	scratch_load_b128 v[143:146], off, off offset:592
	s_wait_loadcnt_dscnt 0x901
	v_mul_f64_e32 v[157:158], v[2:3], v[12:13]
	v_mul_f64_e32 v[12:13], v[4:5], v[12:13]
	s_wait_loadcnt_dscnt 0x800
	v_mul_f64_e32 v[161:162], v[6:7], v[16:17]
	v_mul_f64_e32 v[16:17], v[8:9], v[16:17]
	v_add_f64_e32 v[151:152], 0, v[151:152]
	v_add_f64_e32 v[155:156], 0, v[155:156]
	v_fma_f64 v[157:158], v[4:5], v[10:11], v[157:158]
	v_fma_f64 v[163:164], v[2:3], v[10:11], -v[12:13]
	ds_load_b128 v[2:5], v1 offset:1264
	scratch_load_b128 v[10:13], off, off offset:608
	v_add_f64_e32 v[151:152], v[151:152], v[159:160]
	v_add_f64_e32 v[153:154], v[155:156], v[153:154]
	v_fma_f64 v[159:160], v[8:9], v[14:15], v[161:162]
	v_fma_f64 v[161:162], v[6:7], v[14:15], -v[16:17]
	ds_load_b128 v[6:9], v1 offset:1280
	scratch_load_b128 v[14:17], off, off offset:624
	s_wait_loadcnt_dscnt 0x901
	v_mul_f64_e32 v[155:156], v[2:3], v[20:21]
	v_mul_f64_e32 v[20:21], v[4:5], v[20:21]
	v_add_f64_e32 v[151:152], v[151:152], v[163:164]
	v_add_f64_e32 v[153:154], v[153:154], v[157:158]
	s_wait_loadcnt_dscnt 0x800
	v_mul_f64_e32 v[157:158], v[6:7], v[24:25]
	v_mul_f64_e32 v[24:25], v[8:9], v[24:25]
	v_fma_f64 v[155:156], v[4:5], v[18:19], v[155:156]
	v_fma_f64 v[163:164], v[2:3], v[18:19], -v[20:21]
	ds_load_b128 v[2:5], v1 offset:1296
	scratch_load_b128 v[18:21], off, off offset:640
	v_add_f64_e32 v[151:152], v[151:152], v[161:162]
	v_add_f64_e32 v[153:154], v[153:154], v[159:160]
	v_fma_f64 v[157:158], v[8:9], v[22:23], v[157:158]
	v_fma_f64 v[161:162], v[6:7], v[22:23], -v[24:25]
	ds_load_b128 v[6:9], v1 offset:1312
	s_wait_loadcnt_dscnt 0x801
	v_mul_f64_e32 v[159:160], v[2:3], v[28:29]
	v_mul_f64_e32 v[28:29], v[4:5], v[28:29]
	scratch_load_b128 v[22:25], off, off offset:656
	v_add_f64_e32 v[151:152], v[151:152], v[163:164]
	v_add_f64_e32 v[153:154], v[153:154], v[155:156]
	s_wait_loadcnt_dscnt 0x800
	v_mul_f64_e32 v[155:156], v[6:7], v[32:33]
	v_mul_f64_e32 v[32:33], v[8:9], v[32:33]
	v_fma_f64 v[159:160], v[4:5], v[26:27], v[159:160]
	v_fma_f64 v[163:164], v[2:3], v[26:27], -v[28:29]
	ds_load_b128 v[2:5], v1 offset:1328
	scratch_load_b128 v[26:29], off, off offset:672
	v_add_f64_e32 v[151:152], v[151:152], v[161:162]
	v_add_f64_e32 v[153:154], v[153:154], v[157:158]
	v_fma_f64 v[155:156], v[8:9], v[30:31], v[155:156]
	v_fma_f64 v[161:162], v[6:7], v[30:31], -v[32:33]
	ds_load_b128 v[6:9], v1 offset:1344
	s_wait_loadcnt_dscnt 0x801
	v_mul_f64_e32 v[157:158], v[2:3], v[40:41]
	v_mul_f64_e32 v[40:41], v[4:5], v[40:41]
	scratch_load_b128 v[30:33], off, off offset:688
	v_add_f64_e32 v[151:152], v[151:152], v[163:164]
	v_add_f64_e32 v[153:154], v[153:154], v[159:160]
	s_wait_loadcnt_dscnt 0x800
	v_mul_f64_e32 v[159:160], v[6:7], v[149:150]
	v_mul_f64_e32 v[149:150], v[8:9], v[149:150]
	v_fma_f64 v[157:158], v[4:5], v[38:39], v[157:158]
	v_fma_f64 v[163:164], v[2:3], v[38:39], -v[40:41]
	ds_load_b128 v[2:5], v1 offset:1360
	scratch_load_b128 v[38:41], off, off offset:704
	v_add_f64_e32 v[151:152], v[151:152], v[161:162]
	v_add_f64_e32 v[153:154], v[153:154], v[155:156]
	v_fma_f64 v[159:160], v[8:9], v[147:148], v[159:160]
	v_fma_f64 v[161:162], v[6:7], v[147:148], -v[149:150]
	ds_load_b128 v[6:9], v1 offset:1376
	scratch_load_b128 v[147:150], off, off offset:720
	s_wait_loadcnt_dscnt 0x901
	v_mul_f64_e32 v[155:156], v[2:3], v[36:37]
	v_mul_f64_e32 v[36:37], v[4:5], v[36:37]
	v_add_f64_e32 v[151:152], v[151:152], v[163:164]
	v_add_f64_e32 v[153:154], v[153:154], v[157:158]
	s_wait_loadcnt_dscnt 0x800
	v_mul_f64_e32 v[157:158], v[6:7], v[145:146]
	v_mul_f64_e32 v[145:146], v[8:9], v[145:146]
	v_fma_f64 v[155:156], v[4:5], v[34:35], v[155:156]
	v_fma_f64 v[163:164], v[2:3], v[34:35], -v[36:37]
	ds_load_b128 v[2:5], v1 offset:1392
	scratch_load_b128 v[34:37], off, off offset:736
	v_add_f64_e32 v[151:152], v[151:152], v[161:162]
	v_add_f64_e32 v[153:154], v[153:154], v[159:160]
	v_fma_f64 v[157:158], v[8:9], v[143:144], v[157:158]
	v_fma_f64 v[161:162], v[6:7], v[143:144], -v[145:146]
	ds_load_b128 v[6:9], v1 offset:1408
	s_wait_loadcnt_dscnt 0x801
	v_mul_f64_e32 v[159:160], v[2:3], v[12:13]
	v_mul_f64_e32 v[12:13], v[4:5], v[12:13]
	scratch_load_b128 v[143:146], off, off offset:752
	v_add_f64_e32 v[151:152], v[151:152], v[163:164]
	v_add_f64_e32 v[153:154], v[153:154], v[155:156]
	s_wait_loadcnt_dscnt 0x800
	v_mul_f64_e32 v[155:156], v[6:7], v[16:17]
	v_mul_f64_e32 v[16:17], v[8:9], v[16:17]
	v_fma_f64 v[159:160], v[4:5], v[10:11], v[159:160]
	v_fma_f64 v[163:164], v[2:3], v[10:11], -v[12:13]
	ds_load_b128 v[2:5], v1 offset:1424
	scratch_load_b128 v[10:13], off, off offset:768
	v_add_f64_e32 v[151:152], v[151:152], v[161:162]
	v_add_f64_e32 v[153:154], v[153:154], v[157:158]
	v_fma_f64 v[155:156], v[8:9], v[14:15], v[155:156]
	v_fma_f64 v[161:162], v[6:7], v[14:15], -v[16:17]
	ds_load_b128 v[6:9], v1 offset:1440
	s_wait_loadcnt_dscnt 0x801
	v_mul_f64_e32 v[157:158], v[2:3], v[20:21]
	v_mul_f64_e32 v[20:21], v[4:5], v[20:21]
	scratch_load_b128 v[14:17], off, off offset:784
	v_add_f64_e32 v[151:152], v[151:152], v[163:164]
	v_add_f64_e32 v[153:154], v[153:154], v[159:160]
	s_wait_loadcnt_dscnt 0x800
	v_mul_f64_e32 v[159:160], v[6:7], v[24:25]
	v_mul_f64_e32 v[24:25], v[8:9], v[24:25]
	v_fma_f64 v[157:158], v[4:5], v[18:19], v[157:158]
	v_fma_f64 v[163:164], v[2:3], v[18:19], -v[20:21]
	ds_load_b128 v[2:5], v1 offset:1456
	scratch_load_b128 v[18:21], off, off offset:800
	v_add_f64_e32 v[151:152], v[151:152], v[161:162]
	v_add_f64_e32 v[153:154], v[153:154], v[155:156]
	v_fma_f64 v[159:160], v[8:9], v[22:23], v[159:160]
	v_fma_f64 v[22:23], v[6:7], v[22:23], -v[24:25]
	ds_load_b128 v[6:9], v1 offset:1472
	s_wait_loadcnt_dscnt 0x801
	v_mul_f64_e32 v[155:156], v[2:3], v[28:29]
	v_mul_f64_e32 v[28:29], v[4:5], v[28:29]
	v_add_f64_e32 v[24:25], v[151:152], v[163:164]
	v_add_f64_e32 v[151:152], v[153:154], v[157:158]
	s_wait_loadcnt_dscnt 0x700
	v_mul_f64_e32 v[153:154], v[6:7], v[32:33]
	v_mul_f64_e32 v[32:33], v[8:9], v[32:33]
	v_fma_f64 v[155:156], v[4:5], v[26:27], v[155:156]
	v_fma_f64 v[26:27], v[2:3], v[26:27], -v[28:29]
	ds_load_b128 v[2:5], v1 offset:1488
	v_add_f64_e32 v[22:23], v[24:25], v[22:23]
	v_add_f64_e32 v[24:25], v[151:152], v[159:160]
	v_fma_f64 v[151:152], v[8:9], v[30:31], v[153:154]
	v_fma_f64 v[30:31], v[6:7], v[30:31], -v[32:33]
	ds_load_b128 v[6:9], v1 offset:1504
	s_wait_loadcnt_dscnt 0x500
	v_mul_f64_e32 v[153:154], v[6:7], v[149:150]
	v_mul_f64_e32 v[149:150], v[8:9], v[149:150]
	v_add_f64_e32 v[26:27], v[22:23], v[26:27]
	v_add_f64_e32 v[32:33], v[24:25], v[155:156]
	scratch_load_b128 v[22:25], off, off offset:400
	v_mul_f64_e32 v[28:29], v[2:3], v[40:41]
	v_mul_f64_e32 v[40:41], v[4:5], v[40:41]
	v_add_f64_e32 v[26:27], v[26:27], v[30:31]
	v_add_f64_e32 v[30:31], v[32:33], v[151:152]
	s_delay_alu instid0(VALU_DEP_4) | instskip(NEXT) | instid1(VALU_DEP_4)
	v_fma_f64 v[28:29], v[4:5], v[38:39], v[28:29]
	v_fma_f64 v[38:39], v[2:3], v[38:39], -v[40:41]
	ds_load_b128 v[2:5], v1 offset:1520
	v_fma_f64 v[40:41], v[8:9], v[147:148], v[153:154]
	v_fma_f64 v[147:148], v[6:7], v[147:148], -v[149:150]
	ds_load_b128 v[6:9], v1 offset:1536
	s_wait_loadcnt_dscnt 0x501
	v_mul_f64_e32 v[32:33], v[2:3], v[36:37]
	v_mul_f64_e32 v[36:37], v[4:5], v[36:37]
	v_add_f64_e32 v[28:29], v[30:31], v[28:29]
	v_add_f64_e32 v[26:27], v[26:27], v[38:39]
	s_wait_loadcnt_dscnt 0x400
	v_mul_f64_e32 v[30:31], v[6:7], v[145:146]
	v_mul_f64_e32 v[38:39], v[8:9], v[145:146]
	v_fma_f64 v[32:33], v[4:5], v[34:35], v[32:33]
	v_fma_f64 v[34:35], v[2:3], v[34:35], -v[36:37]
	ds_load_b128 v[2:5], v1 offset:1552
	v_add_f64_e32 v[28:29], v[28:29], v[40:41]
	v_add_f64_e32 v[26:27], v[26:27], v[147:148]
	v_fma_f64 v[30:31], v[8:9], v[143:144], v[30:31]
	v_fma_f64 v[38:39], v[6:7], v[143:144], -v[38:39]
	ds_load_b128 v[6:9], v1 offset:1568
	s_wait_loadcnt_dscnt 0x301
	v_mul_f64_e32 v[36:37], v[2:3], v[12:13]
	v_mul_f64_e32 v[12:13], v[4:5], v[12:13]
	v_add_f64_e32 v[28:29], v[28:29], v[32:33]
	v_add_f64_e32 v[26:27], v[26:27], v[34:35]
	s_wait_loadcnt_dscnt 0x200
	v_mul_f64_e32 v[32:33], v[6:7], v[16:17]
	v_mul_f64_e32 v[16:17], v[8:9], v[16:17]
	v_fma_f64 v[34:35], v[4:5], v[10:11], v[36:37]
	v_fma_f64 v[10:11], v[2:3], v[10:11], -v[12:13]
	ds_load_b128 v[2:5], v1 offset:1584
	v_add_f64_e32 v[12:13], v[26:27], v[38:39]
	v_add_f64_e32 v[26:27], v[28:29], v[30:31]
	s_wait_loadcnt_dscnt 0x100
	v_mul_f64_e32 v[28:29], v[2:3], v[20:21]
	v_mul_f64_e32 v[20:21], v[4:5], v[20:21]
	v_fma_f64 v[8:9], v[8:9], v[14:15], v[32:33]
	v_fma_f64 v[6:7], v[6:7], v[14:15], -v[16:17]
	v_add_f64_e32 v[10:11], v[12:13], v[10:11]
	v_add_f64_e32 v[12:13], v[26:27], v[34:35]
	v_fma_f64 v[4:5], v[4:5], v[18:19], v[28:29]
	v_fma_f64 v[2:3], v[2:3], v[18:19], -v[20:21]
	s_delay_alu instid0(VALU_DEP_4) | instskip(NEXT) | instid1(VALU_DEP_4)
	v_add_f64_e32 v[6:7], v[10:11], v[6:7]
	v_add_f64_e32 v[8:9], v[12:13], v[8:9]
	s_delay_alu instid0(VALU_DEP_2) | instskip(NEXT) | instid1(VALU_DEP_2)
	v_add_f64_e32 v[2:3], v[6:7], v[2:3]
	v_add_f64_e32 v[4:5], v[8:9], v[4:5]
	s_wait_loadcnt 0x0
	s_delay_alu instid0(VALU_DEP_2) | instskip(NEXT) | instid1(VALU_DEP_2)
	v_add_f64_e64 v[2:3], v[22:23], -v[2:3]
	v_add_f64_e64 v[4:5], v[24:25], -v[4:5]
	scratch_store_b128 off, v[2:5], off offset:400
	v_cmpx_lt_u32_e32 23, v0
	s_cbranch_execz .LBB49_267
; %bb.266:
	scratch_load_b128 v[5:8], off, s31
	v_dual_mov_b32 v2, v1 :: v_dual_mov_b32 v3, v1
	v_mov_b32_e32 v4, v1
	scratch_store_b128 off, v[1:4], off offset:384
	s_wait_loadcnt 0x0
	ds_store_b128 v142, v[5:8]
.LBB49_267:
	s_wait_alu 0xfffe
	s_or_b32 exec_lo, exec_lo, s0
	s_wait_storecnt_dscnt 0x0
	s_barrier_signal -1
	s_barrier_wait -1
	global_inv scope:SCOPE_SE
	s_clause 0x7
	scratch_load_b128 v[2:5], off, off offset:400
	scratch_load_b128 v[6:9], off, off offset:416
	;; [unrolled: 1-line block ×8, first 2 shown]
	ds_load_b128 v[34:37], v1 offset:1184
	ds_load_b128 v[143:146], v1 offset:1200
	s_clause 0x1
	scratch_load_b128 v[38:41], off, off offset:528
	scratch_load_b128 v[147:150], off, off offset:544
	s_mov_b32 s0, exec_lo
	s_wait_loadcnt_dscnt 0x901
	v_mul_f64_e32 v[151:152], v[36:37], v[4:5]
	v_mul_f64_e32 v[4:5], v[34:35], v[4:5]
	s_wait_loadcnt_dscnt 0x800
	v_mul_f64_e32 v[153:154], v[143:144], v[8:9]
	v_mul_f64_e32 v[8:9], v[145:146], v[8:9]
	s_delay_alu instid0(VALU_DEP_4) | instskip(NEXT) | instid1(VALU_DEP_4)
	v_fma_f64 v[151:152], v[34:35], v[2:3], -v[151:152]
	v_fma_f64 v[155:156], v[36:37], v[2:3], v[4:5]
	ds_load_b128 v[2:5], v1 offset:1216
	scratch_load_b128 v[34:37], off, off offset:560
	v_fma_f64 v[153:154], v[145:146], v[6:7], v[153:154]
	v_fma_f64 v[159:160], v[143:144], v[6:7], -v[8:9]
	ds_load_b128 v[6:9], v1 offset:1232
	scratch_load_b128 v[143:146], off, off offset:576
	s_wait_loadcnt_dscnt 0x901
	v_mul_f64_e32 v[157:158], v[2:3], v[12:13]
	v_mul_f64_e32 v[12:13], v[4:5], v[12:13]
	s_wait_loadcnt_dscnt 0x800
	v_mul_f64_e32 v[161:162], v[6:7], v[16:17]
	v_mul_f64_e32 v[16:17], v[8:9], v[16:17]
	v_add_f64_e32 v[151:152], 0, v[151:152]
	v_add_f64_e32 v[155:156], 0, v[155:156]
	v_fma_f64 v[157:158], v[4:5], v[10:11], v[157:158]
	v_fma_f64 v[163:164], v[2:3], v[10:11], -v[12:13]
	ds_load_b128 v[2:5], v1 offset:1248
	scratch_load_b128 v[10:13], off, off offset:592
	v_add_f64_e32 v[151:152], v[151:152], v[159:160]
	v_add_f64_e32 v[153:154], v[155:156], v[153:154]
	v_fma_f64 v[159:160], v[8:9], v[14:15], v[161:162]
	v_fma_f64 v[161:162], v[6:7], v[14:15], -v[16:17]
	ds_load_b128 v[6:9], v1 offset:1264
	scratch_load_b128 v[14:17], off, off offset:608
	s_wait_loadcnt_dscnt 0x901
	v_mul_f64_e32 v[155:156], v[2:3], v[20:21]
	v_mul_f64_e32 v[20:21], v[4:5], v[20:21]
	v_add_f64_e32 v[151:152], v[151:152], v[163:164]
	v_add_f64_e32 v[153:154], v[153:154], v[157:158]
	s_wait_loadcnt_dscnt 0x800
	v_mul_f64_e32 v[157:158], v[6:7], v[24:25]
	v_mul_f64_e32 v[24:25], v[8:9], v[24:25]
	v_fma_f64 v[155:156], v[4:5], v[18:19], v[155:156]
	v_fma_f64 v[163:164], v[2:3], v[18:19], -v[20:21]
	ds_load_b128 v[2:5], v1 offset:1280
	scratch_load_b128 v[18:21], off, off offset:624
	v_add_f64_e32 v[151:152], v[151:152], v[161:162]
	v_add_f64_e32 v[153:154], v[153:154], v[159:160]
	v_fma_f64 v[157:158], v[8:9], v[22:23], v[157:158]
	v_fma_f64 v[161:162], v[6:7], v[22:23], -v[24:25]
	ds_load_b128 v[6:9], v1 offset:1296
	s_wait_loadcnt_dscnt 0x801
	v_mul_f64_e32 v[159:160], v[2:3], v[28:29]
	v_mul_f64_e32 v[28:29], v[4:5], v[28:29]
	scratch_load_b128 v[22:25], off, off offset:640
	v_add_f64_e32 v[151:152], v[151:152], v[163:164]
	v_add_f64_e32 v[153:154], v[153:154], v[155:156]
	s_wait_loadcnt_dscnt 0x800
	v_mul_f64_e32 v[155:156], v[6:7], v[32:33]
	v_mul_f64_e32 v[32:33], v[8:9], v[32:33]
	v_fma_f64 v[159:160], v[4:5], v[26:27], v[159:160]
	v_fma_f64 v[163:164], v[2:3], v[26:27], -v[28:29]
	ds_load_b128 v[2:5], v1 offset:1312
	scratch_load_b128 v[26:29], off, off offset:656
	v_add_f64_e32 v[151:152], v[151:152], v[161:162]
	v_add_f64_e32 v[153:154], v[153:154], v[157:158]
	v_fma_f64 v[155:156], v[8:9], v[30:31], v[155:156]
	v_fma_f64 v[161:162], v[6:7], v[30:31], -v[32:33]
	ds_load_b128 v[6:9], v1 offset:1328
	s_wait_loadcnt_dscnt 0x801
	v_mul_f64_e32 v[157:158], v[2:3], v[40:41]
	v_mul_f64_e32 v[40:41], v[4:5], v[40:41]
	scratch_load_b128 v[30:33], off, off offset:672
	v_add_f64_e32 v[151:152], v[151:152], v[163:164]
	v_add_f64_e32 v[153:154], v[153:154], v[159:160]
	s_wait_loadcnt_dscnt 0x800
	v_mul_f64_e32 v[159:160], v[6:7], v[149:150]
	v_mul_f64_e32 v[149:150], v[8:9], v[149:150]
	v_fma_f64 v[157:158], v[4:5], v[38:39], v[157:158]
	v_fma_f64 v[163:164], v[2:3], v[38:39], -v[40:41]
	ds_load_b128 v[2:5], v1 offset:1344
	scratch_load_b128 v[38:41], off, off offset:688
	v_add_f64_e32 v[151:152], v[151:152], v[161:162]
	v_add_f64_e32 v[153:154], v[153:154], v[155:156]
	v_fma_f64 v[159:160], v[8:9], v[147:148], v[159:160]
	v_fma_f64 v[161:162], v[6:7], v[147:148], -v[149:150]
	ds_load_b128 v[6:9], v1 offset:1360
	scratch_load_b128 v[147:150], off, off offset:704
	s_wait_loadcnt_dscnt 0x901
	v_mul_f64_e32 v[155:156], v[2:3], v[36:37]
	v_mul_f64_e32 v[36:37], v[4:5], v[36:37]
	v_add_f64_e32 v[151:152], v[151:152], v[163:164]
	v_add_f64_e32 v[153:154], v[153:154], v[157:158]
	s_wait_loadcnt_dscnt 0x800
	v_mul_f64_e32 v[157:158], v[6:7], v[145:146]
	v_mul_f64_e32 v[145:146], v[8:9], v[145:146]
	v_fma_f64 v[155:156], v[4:5], v[34:35], v[155:156]
	v_fma_f64 v[163:164], v[2:3], v[34:35], -v[36:37]
	ds_load_b128 v[2:5], v1 offset:1376
	scratch_load_b128 v[34:37], off, off offset:720
	v_add_f64_e32 v[151:152], v[151:152], v[161:162]
	v_add_f64_e32 v[153:154], v[153:154], v[159:160]
	v_fma_f64 v[157:158], v[8:9], v[143:144], v[157:158]
	v_fma_f64 v[161:162], v[6:7], v[143:144], -v[145:146]
	ds_load_b128 v[6:9], v1 offset:1392
	s_wait_loadcnt_dscnt 0x801
	v_mul_f64_e32 v[159:160], v[2:3], v[12:13]
	v_mul_f64_e32 v[12:13], v[4:5], v[12:13]
	scratch_load_b128 v[143:146], off, off offset:736
	v_add_f64_e32 v[151:152], v[151:152], v[163:164]
	v_add_f64_e32 v[153:154], v[153:154], v[155:156]
	s_wait_loadcnt_dscnt 0x800
	v_mul_f64_e32 v[155:156], v[6:7], v[16:17]
	v_mul_f64_e32 v[16:17], v[8:9], v[16:17]
	v_fma_f64 v[159:160], v[4:5], v[10:11], v[159:160]
	v_fma_f64 v[163:164], v[2:3], v[10:11], -v[12:13]
	ds_load_b128 v[2:5], v1 offset:1408
	scratch_load_b128 v[10:13], off, off offset:752
	v_add_f64_e32 v[151:152], v[151:152], v[161:162]
	v_add_f64_e32 v[153:154], v[153:154], v[157:158]
	v_fma_f64 v[155:156], v[8:9], v[14:15], v[155:156]
	v_fma_f64 v[161:162], v[6:7], v[14:15], -v[16:17]
	ds_load_b128 v[6:9], v1 offset:1424
	s_wait_loadcnt_dscnt 0x801
	v_mul_f64_e32 v[157:158], v[2:3], v[20:21]
	v_mul_f64_e32 v[20:21], v[4:5], v[20:21]
	scratch_load_b128 v[14:17], off, off offset:768
	;; [unrolled: 18-line block ×3, first 2 shown]
	v_add_f64_e32 v[151:152], v[151:152], v[163:164]
	v_add_f64_e32 v[153:154], v[153:154], v[157:158]
	s_wait_loadcnt_dscnt 0x800
	v_mul_f64_e32 v[157:158], v[6:7], v[32:33]
	v_mul_f64_e32 v[32:33], v[8:9], v[32:33]
	v_fma_f64 v[155:156], v[4:5], v[26:27], v[155:156]
	v_fma_f64 v[26:27], v[2:3], v[26:27], -v[28:29]
	ds_load_b128 v[2:5], v1 offset:1472
	v_add_f64_e32 v[28:29], v[151:152], v[161:162]
	v_add_f64_e32 v[151:152], v[153:154], v[159:160]
	v_fma_f64 v[157:158], v[8:9], v[30:31], v[157:158]
	v_fma_f64 v[30:31], v[6:7], v[30:31], -v[32:33]
	ds_load_b128 v[6:9], v1 offset:1488
	s_wait_loadcnt_dscnt 0x701
	v_mul_f64_e32 v[153:154], v[2:3], v[40:41]
	v_mul_f64_e32 v[40:41], v[4:5], v[40:41]
	v_add_f64_e32 v[26:27], v[28:29], v[26:27]
	v_add_f64_e32 v[28:29], v[151:152], v[155:156]
	s_delay_alu instid0(VALU_DEP_4) | instskip(NEXT) | instid1(VALU_DEP_4)
	v_fma_f64 v[151:152], v[4:5], v[38:39], v[153:154]
	v_fma_f64 v[38:39], v[2:3], v[38:39], -v[40:41]
	ds_load_b128 v[2:5], v1 offset:1504
	v_add_f64_e32 v[30:31], v[26:27], v[30:31]
	v_add_f64_e32 v[40:41], v[28:29], v[157:158]
	scratch_load_b128 v[26:29], off, off offset:384
	s_wait_loadcnt_dscnt 0x701
	v_mul_f64_e32 v[32:33], v[6:7], v[149:150]
	v_mul_f64_e32 v[149:150], v[8:9], v[149:150]
	v_add_f64_e32 v[30:31], v[30:31], v[38:39]
	v_add_f64_e32 v[38:39], v[40:41], v[151:152]
	s_delay_alu instid0(VALU_DEP_4) | instskip(NEXT) | instid1(VALU_DEP_4)
	v_fma_f64 v[32:33], v[8:9], v[147:148], v[32:33]
	v_fma_f64 v[147:148], v[6:7], v[147:148], -v[149:150]
	ds_load_b128 v[6:9], v1 offset:1520
	s_wait_loadcnt_dscnt 0x601
	v_mul_f64_e32 v[153:154], v[2:3], v[36:37]
	v_mul_f64_e32 v[36:37], v[4:5], v[36:37]
	s_wait_loadcnt_dscnt 0x500
	v_mul_f64_e32 v[40:41], v[6:7], v[145:146]
	v_mul_f64_e32 v[145:146], v[8:9], v[145:146]
	v_add_f64_e32 v[32:33], v[38:39], v[32:33]
	v_add_f64_e32 v[30:31], v[30:31], v[147:148]
	v_fma_f64 v[149:150], v[4:5], v[34:35], v[153:154]
	v_fma_f64 v[34:35], v[2:3], v[34:35], -v[36:37]
	ds_load_b128 v[2:5], v1 offset:1536
	v_fma_f64 v[38:39], v[8:9], v[143:144], v[40:41]
	v_fma_f64 v[40:41], v[6:7], v[143:144], -v[145:146]
	ds_load_b128 v[6:9], v1 offset:1552
	s_wait_loadcnt_dscnt 0x401
	v_mul_f64_e32 v[36:37], v[2:3], v[12:13]
	v_mul_f64_e32 v[12:13], v[4:5], v[12:13]
	v_add_f64_e32 v[32:33], v[32:33], v[149:150]
	v_add_f64_e32 v[30:31], v[30:31], v[34:35]
	s_wait_loadcnt_dscnt 0x300
	v_mul_f64_e32 v[34:35], v[6:7], v[16:17]
	v_mul_f64_e32 v[16:17], v[8:9], v[16:17]
	v_fma_f64 v[36:37], v[4:5], v[10:11], v[36:37]
	v_fma_f64 v[10:11], v[2:3], v[10:11], -v[12:13]
	ds_load_b128 v[2:5], v1 offset:1568
	v_add_f64_e32 v[12:13], v[30:31], v[40:41]
	v_add_f64_e32 v[30:31], v[32:33], v[38:39]
	v_fma_f64 v[34:35], v[8:9], v[14:15], v[34:35]
	v_fma_f64 v[14:15], v[6:7], v[14:15], -v[16:17]
	ds_load_b128 v[6:9], v1 offset:1584
	s_wait_loadcnt_dscnt 0x201
	v_mul_f64_e32 v[32:33], v[2:3], v[20:21]
	v_mul_f64_e32 v[20:21], v[4:5], v[20:21]
	s_wait_loadcnt_dscnt 0x100
	v_mul_f64_e32 v[16:17], v[6:7], v[24:25]
	v_mul_f64_e32 v[24:25], v[8:9], v[24:25]
	v_add_f64_e32 v[10:11], v[12:13], v[10:11]
	v_add_f64_e32 v[12:13], v[30:31], v[36:37]
	v_fma_f64 v[4:5], v[4:5], v[18:19], v[32:33]
	v_fma_f64 v[1:2], v[2:3], v[18:19], -v[20:21]
	v_fma_f64 v[8:9], v[8:9], v[22:23], v[16:17]
	v_fma_f64 v[6:7], v[6:7], v[22:23], -v[24:25]
	v_add_f64_e32 v[10:11], v[10:11], v[14:15]
	v_add_f64_e32 v[12:13], v[12:13], v[34:35]
	s_delay_alu instid0(VALU_DEP_2) | instskip(NEXT) | instid1(VALU_DEP_2)
	v_add_f64_e32 v[1:2], v[10:11], v[1:2]
	v_add_f64_e32 v[3:4], v[12:13], v[4:5]
	s_delay_alu instid0(VALU_DEP_2) | instskip(NEXT) | instid1(VALU_DEP_2)
	v_add_f64_e32 v[1:2], v[1:2], v[6:7]
	v_add_f64_e32 v[3:4], v[3:4], v[8:9]
	s_wait_loadcnt 0x0
	s_delay_alu instid0(VALU_DEP_2) | instskip(NEXT) | instid1(VALU_DEP_2)
	v_add_f64_e64 v[1:2], v[26:27], -v[1:2]
	v_add_f64_e64 v[3:4], v[28:29], -v[3:4]
	scratch_store_b128 off, v[1:4], off offset:384
	v_cmpx_lt_u32_e32 22, v0
	s_cbranch_execz .LBB49_269
; %bb.268:
	scratch_load_b128 v[1:4], off, s36
	v_mov_b32_e32 v5, 0
	s_delay_alu instid0(VALU_DEP_1)
	v_dual_mov_b32 v6, v5 :: v_dual_mov_b32 v7, v5
	v_mov_b32_e32 v8, v5
	scratch_store_b128 off, v[5:8], off offset:368
	s_wait_loadcnt 0x0
	ds_store_b128 v142, v[1:4]
.LBB49_269:
	s_wait_alu 0xfffe
	s_or_b32 exec_lo, exec_lo, s0
	s_wait_storecnt_dscnt 0x0
	s_barrier_signal -1
	s_barrier_wait -1
	global_inv scope:SCOPE_SE
	s_clause 0x7
	scratch_load_b128 v[2:5], off, off offset:384
	scratch_load_b128 v[6:9], off, off offset:400
	;; [unrolled: 1-line block ×8, first 2 shown]
	v_mov_b32_e32 v1, 0
	s_clause 0x1
	scratch_load_b128 v[38:41], off, off offset:512
	scratch_load_b128 v[147:150], off, off offset:528
	s_mov_b32 s0, exec_lo
	ds_load_b128 v[34:37], v1 offset:1168
	ds_load_b128 v[143:146], v1 offset:1184
	s_wait_loadcnt_dscnt 0x901
	v_mul_f64_e32 v[151:152], v[36:37], v[4:5]
	v_mul_f64_e32 v[4:5], v[34:35], v[4:5]
	s_wait_loadcnt_dscnt 0x800
	v_mul_f64_e32 v[153:154], v[143:144], v[8:9]
	v_mul_f64_e32 v[8:9], v[145:146], v[8:9]
	s_delay_alu instid0(VALU_DEP_4) | instskip(NEXT) | instid1(VALU_DEP_4)
	v_fma_f64 v[151:152], v[34:35], v[2:3], -v[151:152]
	v_fma_f64 v[155:156], v[36:37], v[2:3], v[4:5]
	ds_load_b128 v[2:5], v1 offset:1200
	scratch_load_b128 v[34:37], off, off offset:544
	v_fma_f64 v[153:154], v[145:146], v[6:7], v[153:154]
	v_fma_f64 v[159:160], v[143:144], v[6:7], -v[8:9]
	ds_load_b128 v[6:9], v1 offset:1216
	scratch_load_b128 v[143:146], off, off offset:560
	s_wait_loadcnt_dscnt 0x901
	v_mul_f64_e32 v[157:158], v[2:3], v[12:13]
	v_mul_f64_e32 v[12:13], v[4:5], v[12:13]
	s_wait_loadcnt_dscnt 0x800
	v_mul_f64_e32 v[161:162], v[6:7], v[16:17]
	v_mul_f64_e32 v[16:17], v[8:9], v[16:17]
	v_add_f64_e32 v[151:152], 0, v[151:152]
	v_add_f64_e32 v[155:156], 0, v[155:156]
	v_fma_f64 v[157:158], v[4:5], v[10:11], v[157:158]
	v_fma_f64 v[163:164], v[2:3], v[10:11], -v[12:13]
	ds_load_b128 v[2:5], v1 offset:1232
	scratch_load_b128 v[10:13], off, off offset:576
	v_add_f64_e32 v[151:152], v[151:152], v[159:160]
	v_add_f64_e32 v[153:154], v[155:156], v[153:154]
	v_fma_f64 v[159:160], v[8:9], v[14:15], v[161:162]
	v_fma_f64 v[161:162], v[6:7], v[14:15], -v[16:17]
	ds_load_b128 v[6:9], v1 offset:1248
	scratch_load_b128 v[14:17], off, off offset:592
	s_wait_loadcnt_dscnt 0x901
	v_mul_f64_e32 v[155:156], v[2:3], v[20:21]
	v_mul_f64_e32 v[20:21], v[4:5], v[20:21]
	v_add_f64_e32 v[151:152], v[151:152], v[163:164]
	v_add_f64_e32 v[153:154], v[153:154], v[157:158]
	s_wait_loadcnt_dscnt 0x800
	v_mul_f64_e32 v[157:158], v[6:7], v[24:25]
	v_mul_f64_e32 v[24:25], v[8:9], v[24:25]
	v_fma_f64 v[155:156], v[4:5], v[18:19], v[155:156]
	v_fma_f64 v[163:164], v[2:3], v[18:19], -v[20:21]
	ds_load_b128 v[2:5], v1 offset:1264
	scratch_load_b128 v[18:21], off, off offset:608
	v_add_f64_e32 v[151:152], v[151:152], v[161:162]
	v_add_f64_e32 v[153:154], v[153:154], v[159:160]
	v_fma_f64 v[157:158], v[8:9], v[22:23], v[157:158]
	v_fma_f64 v[161:162], v[6:7], v[22:23], -v[24:25]
	ds_load_b128 v[6:9], v1 offset:1280
	s_wait_loadcnt_dscnt 0x801
	v_mul_f64_e32 v[159:160], v[2:3], v[28:29]
	v_mul_f64_e32 v[28:29], v[4:5], v[28:29]
	scratch_load_b128 v[22:25], off, off offset:624
	v_add_f64_e32 v[151:152], v[151:152], v[163:164]
	v_add_f64_e32 v[153:154], v[153:154], v[155:156]
	s_wait_loadcnt_dscnt 0x800
	v_mul_f64_e32 v[155:156], v[6:7], v[32:33]
	v_mul_f64_e32 v[32:33], v[8:9], v[32:33]
	v_fma_f64 v[159:160], v[4:5], v[26:27], v[159:160]
	v_fma_f64 v[163:164], v[2:3], v[26:27], -v[28:29]
	ds_load_b128 v[2:5], v1 offset:1296
	scratch_load_b128 v[26:29], off, off offset:640
	v_add_f64_e32 v[151:152], v[151:152], v[161:162]
	v_add_f64_e32 v[153:154], v[153:154], v[157:158]
	v_fma_f64 v[155:156], v[8:9], v[30:31], v[155:156]
	v_fma_f64 v[161:162], v[6:7], v[30:31], -v[32:33]
	ds_load_b128 v[6:9], v1 offset:1312
	s_wait_loadcnt_dscnt 0x801
	v_mul_f64_e32 v[157:158], v[2:3], v[40:41]
	v_mul_f64_e32 v[40:41], v[4:5], v[40:41]
	scratch_load_b128 v[30:33], off, off offset:656
	v_add_f64_e32 v[151:152], v[151:152], v[163:164]
	v_add_f64_e32 v[153:154], v[153:154], v[159:160]
	s_wait_loadcnt_dscnt 0x800
	v_mul_f64_e32 v[159:160], v[6:7], v[149:150]
	v_mul_f64_e32 v[149:150], v[8:9], v[149:150]
	v_fma_f64 v[157:158], v[4:5], v[38:39], v[157:158]
	v_fma_f64 v[163:164], v[2:3], v[38:39], -v[40:41]
	ds_load_b128 v[2:5], v1 offset:1328
	scratch_load_b128 v[38:41], off, off offset:672
	v_add_f64_e32 v[151:152], v[151:152], v[161:162]
	v_add_f64_e32 v[153:154], v[153:154], v[155:156]
	v_fma_f64 v[159:160], v[8:9], v[147:148], v[159:160]
	v_fma_f64 v[161:162], v[6:7], v[147:148], -v[149:150]
	ds_load_b128 v[6:9], v1 offset:1344
	scratch_load_b128 v[147:150], off, off offset:688
	s_wait_loadcnt_dscnt 0x901
	v_mul_f64_e32 v[155:156], v[2:3], v[36:37]
	v_mul_f64_e32 v[36:37], v[4:5], v[36:37]
	v_add_f64_e32 v[151:152], v[151:152], v[163:164]
	v_add_f64_e32 v[153:154], v[153:154], v[157:158]
	s_wait_loadcnt_dscnt 0x800
	v_mul_f64_e32 v[157:158], v[6:7], v[145:146]
	v_mul_f64_e32 v[145:146], v[8:9], v[145:146]
	v_fma_f64 v[155:156], v[4:5], v[34:35], v[155:156]
	v_fma_f64 v[163:164], v[2:3], v[34:35], -v[36:37]
	ds_load_b128 v[2:5], v1 offset:1360
	scratch_load_b128 v[34:37], off, off offset:704
	v_add_f64_e32 v[151:152], v[151:152], v[161:162]
	v_add_f64_e32 v[153:154], v[153:154], v[159:160]
	v_fma_f64 v[157:158], v[8:9], v[143:144], v[157:158]
	v_fma_f64 v[161:162], v[6:7], v[143:144], -v[145:146]
	ds_load_b128 v[6:9], v1 offset:1376
	s_wait_loadcnt_dscnt 0x801
	v_mul_f64_e32 v[159:160], v[2:3], v[12:13]
	v_mul_f64_e32 v[12:13], v[4:5], v[12:13]
	scratch_load_b128 v[143:146], off, off offset:720
	v_add_f64_e32 v[151:152], v[151:152], v[163:164]
	v_add_f64_e32 v[153:154], v[153:154], v[155:156]
	s_wait_loadcnt_dscnt 0x800
	v_mul_f64_e32 v[155:156], v[6:7], v[16:17]
	v_mul_f64_e32 v[16:17], v[8:9], v[16:17]
	v_fma_f64 v[159:160], v[4:5], v[10:11], v[159:160]
	v_fma_f64 v[163:164], v[2:3], v[10:11], -v[12:13]
	ds_load_b128 v[2:5], v1 offset:1392
	scratch_load_b128 v[10:13], off, off offset:736
	v_add_f64_e32 v[151:152], v[151:152], v[161:162]
	v_add_f64_e32 v[153:154], v[153:154], v[157:158]
	v_fma_f64 v[155:156], v[8:9], v[14:15], v[155:156]
	v_fma_f64 v[161:162], v[6:7], v[14:15], -v[16:17]
	ds_load_b128 v[6:9], v1 offset:1408
	s_wait_loadcnt_dscnt 0x801
	v_mul_f64_e32 v[157:158], v[2:3], v[20:21]
	v_mul_f64_e32 v[20:21], v[4:5], v[20:21]
	scratch_load_b128 v[14:17], off, off offset:752
	;; [unrolled: 18-line block ×3, first 2 shown]
	v_add_f64_e32 v[151:152], v[151:152], v[163:164]
	v_add_f64_e32 v[153:154], v[153:154], v[157:158]
	s_wait_loadcnt_dscnt 0x800
	v_mul_f64_e32 v[157:158], v[6:7], v[32:33]
	v_mul_f64_e32 v[32:33], v[8:9], v[32:33]
	v_fma_f64 v[155:156], v[4:5], v[26:27], v[155:156]
	v_fma_f64 v[163:164], v[2:3], v[26:27], -v[28:29]
	ds_load_b128 v[2:5], v1 offset:1456
	scratch_load_b128 v[26:29], off, off offset:800
	v_add_f64_e32 v[151:152], v[151:152], v[161:162]
	v_add_f64_e32 v[153:154], v[153:154], v[159:160]
	v_fma_f64 v[157:158], v[8:9], v[30:31], v[157:158]
	v_fma_f64 v[30:31], v[6:7], v[30:31], -v[32:33]
	ds_load_b128 v[6:9], v1 offset:1472
	s_wait_loadcnt_dscnt 0x801
	v_mul_f64_e32 v[159:160], v[2:3], v[40:41]
	v_mul_f64_e32 v[40:41], v[4:5], v[40:41]
	v_add_f64_e32 v[32:33], v[151:152], v[163:164]
	v_add_f64_e32 v[151:152], v[153:154], v[155:156]
	s_wait_loadcnt_dscnt 0x700
	v_mul_f64_e32 v[153:154], v[6:7], v[149:150]
	v_mul_f64_e32 v[149:150], v[8:9], v[149:150]
	v_fma_f64 v[155:156], v[4:5], v[38:39], v[159:160]
	v_fma_f64 v[38:39], v[2:3], v[38:39], -v[40:41]
	ds_load_b128 v[2:5], v1 offset:1488
	v_add_f64_e32 v[30:31], v[32:33], v[30:31]
	v_add_f64_e32 v[32:33], v[151:152], v[157:158]
	v_fma_f64 v[151:152], v[8:9], v[147:148], v[153:154]
	v_fma_f64 v[147:148], v[6:7], v[147:148], -v[149:150]
	ds_load_b128 v[6:9], v1 offset:1504
	s_wait_loadcnt_dscnt 0x500
	v_mul_f64_e32 v[153:154], v[6:7], v[145:146]
	v_mul_f64_e32 v[145:146], v[8:9], v[145:146]
	v_add_f64_e32 v[38:39], v[30:31], v[38:39]
	v_add_f64_e32 v[149:150], v[32:33], v[155:156]
	scratch_load_b128 v[30:33], off, off offset:368
	v_mul_f64_e32 v[40:41], v[2:3], v[36:37]
	v_mul_f64_e32 v[36:37], v[4:5], v[36:37]
	s_delay_alu instid0(VALU_DEP_2) | instskip(NEXT) | instid1(VALU_DEP_2)
	v_fma_f64 v[40:41], v[4:5], v[34:35], v[40:41]
	v_fma_f64 v[34:35], v[2:3], v[34:35], -v[36:37]
	v_add_f64_e32 v[36:37], v[38:39], v[147:148]
	v_add_f64_e32 v[38:39], v[149:150], v[151:152]
	ds_load_b128 v[2:5], v1 offset:1520
	v_fma_f64 v[149:150], v[8:9], v[143:144], v[153:154]
	v_fma_f64 v[143:144], v[6:7], v[143:144], -v[145:146]
	ds_load_b128 v[6:9], v1 offset:1536
	s_wait_loadcnt_dscnt 0x501
	v_mul_f64_e32 v[147:148], v[2:3], v[12:13]
	v_mul_f64_e32 v[12:13], v[4:5], v[12:13]
	v_add_f64_e32 v[34:35], v[36:37], v[34:35]
	v_add_f64_e32 v[36:37], v[38:39], v[40:41]
	s_wait_loadcnt_dscnt 0x400
	v_mul_f64_e32 v[38:39], v[6:7], v[16:17]
	v_mul_f64_e32 v[16:17], v[8:9], v[16:17]
	v_fma_f64 v[40:41], v[4:5], v[10:11], v[147:148]
	v_fma_f64 v[10:11], v[2:3], v[10:11], -v[12:13]
	ds_load_b128 v[2:5], v1 offset:1552
	v_add_f64_e32 v[12:13], v[34:35], v[143:144]
	v_add_f64_e32 v[34:35], v[36:37], v[149:150]
	v_fma_f64 v[38:39], v[8:9], v[14:15], v[38:39]
	v_fma_f64 v[14:15], v[6:7], v[14:15], -v[16:17]
	ds_load_b128 v[6:9], v1 offset:1568
	s_wait_loadcnt_dscnt 0x301
	v_mul_f64_e32 v[36:37], v[2:3], v[20:21]
	v_mul_f64_e32 v[20:21], v[4:5], v[20:21]
	s_wait_loadcnt_dscnt 0x200
	v_mul_f64_e32 v[16:17], v[6:7], v[24:25]
	v_mul_f64_e32 v[24:25], v[8:9], v[24:25]
	v_add_f64_e32 v[10:11], v[12:13], v[10:11]
	v_add_f64_e32 v[12:13], v[34:35], v[40:41]
	v_fma_f64 v[34:35], v[4:5], v[18:19], v[36:37]
	v_fma_f64 v[18:19], v[2:3], v[18:19], -v[20:21]
	ds_load_b128 v[2:5], v1 offset:1584
	v_fma_f64 v[8:9], v[8:9], v[22:23], v[16:17]
	v_fma_f64 v[6:7], v[6:7], v[22:23], -v[24:25]
	s_wait_loadcnt_dscnt 0x100
	v_mul_f64_e32 v[20:21], v[4:5], v[28:29]
	v_add_f64_e32 v[10:11], v[10:11], v[14:15]
	v_add_f64_e32 v[12:13], v[12:13], v[38:39]
	v_mul_f64_e32 v[14:15], v[2:3], v[28:29]
	s_delay_alu instid0(VALU_DEP_4) | instskip(NEXT) | instid1(VALU_DEP_4)
	v_fma_f64 v[2:3], v[2:3], v[26:27], -v[20:21]
	v_add_f64_e32 v[10:11], v[10:11], v[18:19]
	s_delay_alu instid0(VALU_DEP_4) | instskip(NEXT) | instid1(VALU_DEP_4)
	v_add_f64_e32 v[12:13], v[12:13], v[34:35]
	v_fma_f64 v[4:5], v[4:5], v[26:27], v[14:15]
	s_delay_alu instid0(VALU_DEP_3) | instskip(NEXT) | instid1(VALU_DEP_3)
	v_add_f64_e32 v[6:7], v[10:11], v[6:7]
	v_add_f64_e32 v[8:9], v[12:13], v[8:9]
	s_delay_alu instid0(VALU_DEP_2) | instskip(NEXT) | instid1(VALU_DEP_2)
	v_add_f64_e32 v[2:3], v[6:7], v[2:3]
	v_add_f64_e32 v[4:5], v[8:9], v[4:5]
	s_wait_loadcnt 0x0
	s_delay_alu instid0(VALU_DEP_2) | instskip(NEXT) | instid1(VALU_DEP_2)
	v_add_f64_e64 v[2:3], v[30:31], -v[2:3]
	v_add_f64_e64 v[4:5], v[32:33], -v[4:5]
	scratch_store_b128 off, v[2:5], off offset:368
	v_cmpx_lt_u32_e32 21, v0
	s_cbranch_execz .LBB49_271
; %bb.270:
	scratch_load_b128 v[5:8], off, s37
	v_dual_mov_b32 v2, v1 :: v_dual_mov_b32 v3, v1
	v_mov_b32_e32 v4, v1
	scratch_store_b128 off, v[1:4], off offset:352
	s_wait_loadcnt 0x0
	ds_store_b128 v142, v[5:8]
.LBB49_271:
	s_wait_alu 0xfffe
	s_or_b32 exec_lo, exec_lo, s0
	s_wait_storecnt_dscnt 0x0
	s_barrier_signal -1
	s_barrier_wait -1
	global_inv scope:SCOPE_SE
	s_clause 0x7
	scratch_load_b128 v[2:5], off, off offset:368
	scratch_load_b128 v[6:9], off, off offset:384
	;; [unrolled: 1-line block ×8, first 2 shown]
	ds_load_b128 v[34:37], v1 offset:1152
	ds_load_b128 v[143:146], v1 offset:1168
	s_clause 0x1
	scratch_load_b128 v[38:41], off, off offset:496
	scratch_load_b128 v[147:150], off, off offset:512
	s_mov_b32 s0, exec_lo
	s_wait_loadcnt_dscnt 0x901
	v_mul_f64_e32 v[151:152], v[36:37], v[4:5]
	v_mul_f64_e32 v[4:5], v[34:35], v[4:5]
	s_wait_loadcnt_dscnt 0x800
	v_mul_f64_e32 v[153:154], v[143:144], v[8:9]
	v_mul_f64_e32 v[8:9], v[145:146], v[8:9]
	s_delay_alu instid0(VALU_DEP_4) | instskip(NEXT) | instid1(VALU_DEP_4)
	v_fma_f64 v[151:152], v[34:35], v[2:3], -v[151:152]
	v_fma_f64 v[155:156], v[36:37], v[2:3], v[4:5]
	scratch_load_b128 v[34:37], off, off offset:528
	ds_load_b128 v[2:5], v1 offset:1184
	v_fma_f64 v[153:154], v[145:146], v[6:7], v[153:154]
	v_fma_f64 v[159:160], v[143:144], v[6:7], -v[8:9]
	ds_load_b128 v[6:9], v1 offset:1200
	scratch_load_b128 v[143:146], off, off offset:544
	s_wait_loadcnt_dscnt 0x901
	v_mul_f64_e32 v[157:158], v[2:3], v[12:13]
	v_mul_f64_e32 v[12:13], v[4:5], v[12:13]
	s_wait_loadcnt_dscnt 0x800
	v_mul_f64_e32 v[161:162], v[6:7], v[16:17]
	v_mul_f64_e32 v[16:17], v[8:9], v[16:17]
	v_add_f64_e32 v[151:152], 0, v[151:152]
	v_add_f64_e32 v[155:156], 0, v[155:156]
	v_fma_f64 v[157:158], v[4:5], v[10:11], v[157:158]
	v_fma_f64 v[163:164], v[2:3], v[10:11], -v[12:13]
	ds_load_b128 v[2:5], v1 offset:1216
	scratch_load_b128 v[10:13], off, off offset:560
	v_add_f64_e32 v[151:152], v[151:152], v[159:160]
	v_add_f64_e32 v[153:154], v[155:156], v[153:154]
	v_fma_f64 v[159:160], v[8:9], v[14:15], v[161:162]
	v_fma_f64 v[161:162], v[6:7], v[14:15], -v[16:17]
	ds_load_b128 v[6:9], v1 offset:1232
	scratch_load_b128 v[14:17], off, off offset:576
	s_wait_loadcnt_dscnt 0x901
	v_mul_f64_e32 v[155:156], v[2:3], v[20:21]
	v_mul_f64_e32 v[20:21], v[4:5], v[20:21]
	v_add_f64_e32 v[151:152], v[151:152], v[163:164]
	v_add_f64_e32 v[153:154], v[153:154], v[157:158]
	s_wait_loadcnt_dscnt 0x800
	v_mul_f64_e32 v[157:158], v[6:7], v[24:25]
	v_mul_f64_e32 v[24:25], v[8:9], v[24:25]
	v_fma_f64 v[155:156], v[4:5], v[18:19], v[155:156]
	v_fma_f64 v[163:164], v[2:3], v[18:19], -v[20:21]
	ds_load_b128 v[2:5], v1 offset:1248
	scratch_load_b128 v[18:21], off, off offset:592
	v_add_f64_e32 v[151:152], v[151:152], v[161:162]
	v_add_f64_e32 v[153:154], v[153:154], v[159:160]
	v_fma_f64 v[157:158], v[8:9], v[22:23], v[157:158]
	v_fma_f64 v[161:162], v[6:7], v[22:23], -v[24:25]
	ds_load_b128 v[6:9], v1 offset:1264
	s_wait_loadcnt_dscnt 0x801
	v_mul_f64_e32 v[159:160], v[2:3], v[28:29]
	v_mul_f64_e32 v[28:29], v[4:5], v[28:29]
	scratch_load_b128 v[22:25], off, off offset:608
	v_add_f64_e32 v[151:152], v[151:152], v[163:164]
	v_add_f64_e32 v[153:154], v[153:154], v[155:156]
	s_wait_loadcnt_dscnt 0x800
	v_mul_f64_e32 v[155:156], v[6:7], v[32:33]
	v_mul_f64_e32 v[32:33], v[8:9], v[32:33]
	v_fma_f64 v[159:160], v[4:5], v[26:27], v[159:160]
	v_fma_f64 v[163:164], v[2:3], v[26:27], -v[28:29]
	ds_load_b128 v[2:5], v1 offset:1280
	scratch_load_b128 v[26:29], off, off offset:624
	v_add_f64_e32 v[151:152], v[151:152], v[161:162]
	v_add_f64_e32 v[153:154], v[153:154], v[157:158]
	v_fma_f64 v[155:156], v[8:9], v[30:31], v[155:156]
	v_fma_f64 v[161:162], v[6:7], v[30:31], -v[32:33]
	ds_load_b128 v[6:9], v1 offset:1296
	s_wait_loadcnt_dscnt 0x801
	v_mul_f64_e32 v[157:158], v[2:3], v[40:41]
	v_mul_f64_e32 v[40:41], v[4:5], v[40:41]
	scratch_load_b128 v[30:33], off, off offset:640
	v_add_f64_e32 v[151:152], v[151:152], v[163:164]
	v_add_f64_e32 v[153:154], v[153:154], v[159:160]
	s_wait_loadcnt_dscnt 0x800
	v_mul_f64_e32 v[159:160], v[6:7], v[149:150]
	v_mul_f64_e32 v[149:150], v[8:9], v[149:150]
	v_fma_f64 v[157:158], v[4:5], v[38:39], v[157:158]
	v_fma_f64 v[163:164], v[2:3], v[38:39], -v[40:41]
	ds_load_b128 v[2:5], v1 offset:1312
	scratch_load_b128 v[38:41], off, off offset:656
	v_add_f64_e32 v[151:152], v[151:152], v[161:162]
	v_add_f64_e32 v[153:154], v[153:154], v[155:156]
	v_fma_f64 v[159:160], v[8:9], v[147:148], v[159:160]
	v_fma_f64 v[161:162], v[6:7], v[147:148], -v[149:150]
	ds_load_b128 v[6:9], v1 offset:1328
	scratch_load_b128 v[147:150], off, off offset:672
	s_wait_loadcnt_dscnt 0x901
	v_mul_f64_e32 v[155:156], v[2:3], v[36:37]
	v_mul_f64_e32 v[36:37], v[4:5], v[36:37]
	v_add_f64_e32 v[151:152], v[151:152], v[163:164]
	v_add_f64_e32 v[153:154], v[153:154], v[157:158]
	s_wait_loadcnt_dscnt 0x800
	v_mul_f64_e32 v[157:158], v[6:7], v[145:146]
	v_mul_f64_e32 v[145:146], v[8:9], v[145:146]
	v_fma_f64 v[155:156], v[4:5], v[34:35], v[155:156]
	v_fma_f64 v[163:164], v[2:3], v[34:35], -v[36:37]
	scratch_load_b128 v[34:37], off, off offset:688
	ds_load_b128 v[2:5], v1 offset:1344
	v_add_f64_e32 v[151:152], v[151:152], v[161:162]
	v_add_f64_e32 v[153:154], v[153:154], v[159:160]
	v_fma_f64 v[157:158], v[8:9], v[143:144], v[157:158]
	v_fma_f64 v[161:162], v[6:7], v[143:144], -v[145:146]
	ds_load_b128 v[6:9], v1 offset:1360
	s_wait_loadcnt_dscnt 0x801
	v_mul_f64_e32 v[159:160], v[2:3], v[12:13]
	v_mul_f64_e32 v[12:13], v[4:5], v[12:13]
	scratch_load_b128 v[143:146], off, off offset:704
	v_add_f64_e32 v[151:152], v[151:152], v[163:164]
	v_add_f64_e32 v[153:154], v[153:154], v[155:156]
	s_wait_loadcnt_dscnt 0x800
	v_mul_f64_e32 v[155:156], v[6:7], v[16:17]
	v_mul_f64_e32 v[16:17], v[8:9], v[16:17]
	v_fma_f64 v[159:160], v[4:5], v[10:11], v[159:160]
	v_fma_f64 v[163:164], v[2:3], v[10:11], -v[12:13]
	ds_load_b128 v[2:5], v1 offset:1376
	scratch_load_b128 v[10:13], off, off offset:720
	v_add_f64_e32 v[151:152], v[151:152], v[161:162]
	v_add_f64_e32 v[153:154], v[153:154], v[157:158]
	v_fma_f64 v[155:156], v[8:9], v[14:15], v[155:156]
	v_fma_f64 v[161:162], v[6:7], v[14:15], -v[16:17]
	ds_load_b128 v[6:9], v1 offset:1392
	s_wait_loadcnt_dscnt 0x801
	v_mul_f64_e32 v[157:158], v[2:3], v[20:21]
	v_mul_f64_e32 v[20:21], v[4:5], v[20:21]
	scratch_load_b128 v[14:17], off, off offset:736
	v_add_f64_e32 v[151:152], v[151:152], v[163:164]
	v_add_f64_e32 v[153:154], v[153:154], v[159:160]
	s_wait_loadcnt_dscnt 0x800
	v_mul_f64_e32 v[159:160], v[6:7], v[24:25]
	v_mul_f64_e32 v[24:25], v[8:9], v[24:25]
	v_fma_f64 v[157:158], v[4:5], v[18:19], v[157:158]
	v_fma_f64 v[163:164], v[2:3], v[18:19], -v[20:21]
	ds_load_b128 v[2:5], v1 offset:1408
	scratch_load_b128 v[18:21], off, off offset:752
	;; [unrolled: 18-line block ×3, first 2 shown]
	v_add_f64_e32 v[151:152], v[151:152], v[161:162]
	v_add_f64_e32 v[153:154], v[153:154], v[159:160]
	v_fma_f64 v[157:158], v[8:9], v[30:31], v[157:158]
	v_fma_f64 v[161:162], v[6:7], v[30:31], -v[32:33]
	ds_load_b128 v[6:9], v1 offset:1456
	s_wait_loadcnt_dscnt 0x801
	v_mul_f64_e32 v[159:160], v[2:3], v[40:41]
	v_mul_f64_e32 v[40:41], v[4:5], v[40:41]
	scratch_load_b128 v[30:33], off, off offset:800
	v_add_f64_e32 v[151:152], v[151:152], v[163:164]
	v_add_f64_e32 v[153:154], v[153:154], v[155:156]
	v_fma_f64 v[159:160], v[4:5], v[38:39], v[159:160]
	v_fma_f64 v[38:39], v[2:3], v[38:39], -v[40:41]
	ds_load_b128 v[2:5], v1 offset:1472
	v_add_f64_e32 v[40:41], v[151:152], v[161:162]
	v_add_f64_e32 v[151:152], v[153:154], v[157:158]
	s_wait_loadcnt_dscnt 0x700
	v_mul_f64_e32 v[153:154], v[2:3], v[36:37]
	v_mul_f64_e32 v[36:37], v[4:5], v[36:37]
	s_delay_alu instid0(VALU_DEP_4) | instskip(NEXT) | instid1(VALU_DEP_4)
	v_add_f64_e32 v[38:39], v[40:41], v[38:39]
	v_add_f64_e32 v[40:41], v[151:152], v[159:160]
	s_delay_alu instid0(VALU_DEP_4) | instskip(NEXT) | instid1(VALU_DEP_4)
	v_fma_f64 v[151:152], v[4:5], v[34:35], v[153:154]
	v_fma_f64 v[153:154], v[2:3], v[34:35], -v[36:37]
	scratch_load_b128 v[34:37], off, off offset:352
	v_mul_f64_e32 v[155:156], v[6:7], v[149:150]
	v_mul_f64_e32 v[149:150], v[8:9], v[149:150]
	ds_load_b128 v[2:5], v1 offset:1504
	v_fma_f64 v[155:156], v[8:9], v[147:148], v[155:156]
	v_fma_f64 v[147:148], v[6:7], v[147:148], -v[149:150]
	ds_load_b128 v[6:9], v1 offset:1488
	s_wait_loadcnt_dscnt 0x700
	v_mul_f64_e32 v[149:150], v[6:7], v[145:146]
	v_mul_f64_e32 v[145:146], v[8:9], v[145:146]
	v_add_f64_e32 v[40:41], v[40:41], v[155:156]
	v_add_f64_e32 v[38:39], v[38:39], v[147:148]
	s_wait_loadcnt 0x6
	v_mul_f64_e32 v[147:148], v[2:3], v[12:13]
	v_mul_f64_e32 v[12:13], v[4:5], v[12:13]
	v_fma_f64 v[149:150], v[8:9], v[143:144], v[149:150]
	v_fma_f64 v[143:144], v[6:7], v[143:144], -v[145:146]
	ds_load_b128 v[6:9], v1 offset:1520
	v_add_f64_e32 v[40:41], v[40:41], v[151:152]
	v_add_f64_e32 v[38:39], v[38:39], v[153:154]
	v_fma_f64 v[147:148], v[4:5], v[10:11], v[147:148]
	v_fma_f64 v[10:11], v[2:3], v[10:11], -v[12:13]
	ds_load_b128 v[2:5], v1 offset:1536
	s_wait_loadcnt_dscnt 0x501
	v_mul_f64_e32 v[145:146], v[6:7], v[16:17]
	v_mul_f64_e32 v[16:17], v[8:9], v[16:17]
	v_add_f64_e32 v[12:13], v[38:39], v[143:144]
	v_add_f64_e32 v[38:39], v[40:41], v[149:150]
	s_wait_loadcnt_dscnt 0x400
	v_mul_f64_e32 v[40:41], v[2:3], v[20:21]
	v_mul_f64_e32 v[20:21], v[4:5], v[20:21]
	v_fma_f64 v[143:144], v[8:9], v[14:15], v[145:146]
	v_fma_f64 v[14:15], v[6:7], v[14:15], -v[16:17]
	ds_load_b128 v[6:9], v1 offset:1552
	v_add_f64_e32 v[10:11], v[12:13], v[10:11]
	v_add_f64_e32 v[12:13], v[38:39], v[147:148]
	v_fma_f64 v[38:39], v[4:5], v[18:19], v[40:41]
	v_fma_f64 v[18:19], v[2:3], v[18:19], -v[20:21]
	ds_load_b128 v[2:5], v1 offset:1568
	s_wait_loadcnt_dscnt 0x301
	v_mul_f64_e32 v[16:17], v[6:7], v[24:25]
	v_mul_f64_e32 v[24:25], v[8:9], v[24:25]
	s_wait_loadcnt_dscnt 0x200
	v_mul_f64_e32 v[20:21], v[4:5], v[28:29]
	v_add_f64_e32 v[10:11], v[10:11], v[14:15]
	v_add_f64_e32 v[12:13], v[12:13], v[143:144]
	v_mul_f64_e32 v[14:15], v[2:3], v[28:29]
	v_fma_f64 v[16:17], v[8:9], v[22:23], v[16:17]
	v_fma_f64 v[22:23], v[6:7], v[22:23], -v[24:25]
	ds_load_b128 v[6:9], v1 offset:1584
	v_fma_f64 v[1:2], v[2:3], v[26:27], -v[20:21]
	s_wait_loadcnt_dscnt 0x100
	v_mul_f64_e32 v[24:25], v[8:9], v[32:33]
	v_add_f64_e32 v[10:11], v[10:11], v[18:19]
	v_add_f64_e32 v[12:13], v[12:13], v[38:39]
	v_mul_f64_e32 v[18:19], v[6:7], v[32:33]
	v_fma_f64 v[4:5], v[4:5], v[26:27], v[14:15]
	v_fma_f64 v[6:7], v[6:7], v[30:31], -v[24:25]
	v_add_f64_e32 v[10:11], v[10:11], v[22:23]
	v_add_f64_e32 v[12:13], v[12:13], v[16:17]
	v_fma_f64 v[8:9], v[8:9], v[30:31], v[18:19]
	s_delay_alu instid0(VALU_DEP_3) | instskip(NEXT) | instid1(VALU_DEP_3)
	v_add_f64_e32 v[1:2], v[10:11], v[1:2]
	v_add_f64_e32 v[3:4], v[12:13], v[4:5]
	s_delay_alu instid0(VALU_DEP_2) | instskip(NEXT) | instid1(VALU_DEP_2)
	v_add_f64_e32 v[1:2], v[1:2], v[6:7]
	v_add_f64_e32 v[3:4], v[3:4], v[8:9]
	s_wait_loadcnt 0x0
	s_delay_alu instid0(VALU_DEP_2) | instskip(NEXT) | instid1(VALU_DEP_2)
	v_add_f64_e64 v[1:2], v[34:35], -v[1:2]
	v_add_f64_e64 v[3:4], v[36:37], -v[3:4]
	scratch_store_b128 off, v[1:4], off offset:352
	v_cmpx_lt_u32_e32 20, v0
	s_cbranch_execz .LBB49_273
; %bb.272:
	scratch_load_b128 v[1:4], off, s39
	v_mov_b32_e32 v5, 0
	s_delay_alu instid0(VALU_DEP_1)
	v_dual_mov_b32 v6, v5 :: v_dual_mov_b32 v7, v5
	v_mov_b32_e32 v8, v5
	scratch_store_b128 off, v[5:8], off offset:336
	s_wait_loadcnt 0x0
	ds_store_b128 v142, v[1:4]
.LBB49_273:
	s_wait_alu 0xfffe
	s_or_b32 exec_lo, exec_lo, s0
	s_wait_storecnt_dscnt 0x0
	s_barrier_signal -1
	s_barrier_wait -1
	global_inv scope:SCOPE_SE
	s_clause 0x7
	scratch_load_b128 v[2:5], off, off offset:352
	scratch_load_b128 v[6:9], off, off offset:368
	;; [unrolled: 1-line block ×8, first 2 shown]
	v_mov_b32_e32 v1, 0
	s_clause 0x1
	scratch_load_b128 v[38:41], off, off offset:480
	scratch_load_b128 v[147:150], off, off offset:496
	s_mov_b32 s0, exec_lo
	ds_load_b128 v[34:37], v1 offset:1136
	ds_load_b128 v[143:146], v1 offset:1152
	s_wait_loadcnt_dscnt 0x901
	v_mul_f64_e32 v[151:152], v[36:37], v[4:5]
	v_mul_f64_e32 v[4:5], v[34:35], v[4:5]
	s_wait_loadcnt_dscnt 0x800
	v_mul_f64_e32 v[153:154], v[143:144], v[8:9]
	v_mul_f64_e32 v[8:9], v[145:146], v[8:9]
	s_delay_alu instid0(VALU_DEP_4) | instskip(NEXT) | instid1(VALU_DEP_4)
	v_fma_f64 v[151:152], v[34:35], v[2:3], -v[151:152]
	v_fma_f64 v[155:156], v[36:37], v[2:3], v[4:5]
	ds_load_b128 v[2:5], v1 offset:1168
	scratch_load_b128 v[34:37], off, off offset:512
	v_fma_f64 v[153:154], v[145:146], v[6:7], v[153:154]
	v_fma_f64 v[159:160], v[143:144], v[6:7], -v[8:9]
	ds_load_b128 v[6:9], v1 offset:1184
	scratch_load_b128 v[143:146], off, off offset:528
	s_wait_loadcnt_dscnt 0x901
	v_mul_f64_e32 v[157:158], v[2:3], v[12:13]
	v_mul_f64_e32 v[12:13], v[4:5], v[12:13]
	s_wait_loadcnt_dscnt 0x800
	v_mul_f64_e32 v[161:162], v[6:7], v[16:17]
	v_mul_f64_e32 v[16:17], v[8:9], v[16:17]
	v_add_f64_e32 v[151:152], 0, v[151:152]
	v_add_f64_e32 v[155:156], 0, v[155:156]
	v_fma_f64 v[157:158], v[4:5], v[10:11], v[157:158]
	v_fma_f64 v[163:164], v[2:3], v[10:11], -v[12:13]
	ds_load_b128 v[2:5], v1 offset:1200
	scratch_load_b128 v[10:13], off, off offset:544
	v_add_f64_e32 v[151:152], v[151:152], v[159:160]
	v_add_f64_e32 v[153:154], v[155:156], v[153:154]
	v_fma_f64 v[159:160], v[8:9], v[14:15], v[161:162]
	v_fma_f64 v[161:162], v[6:7], v[14:15], -v[16:17]
	ds_load_b128 v[6:9], v1 offset:1216
	scratch_load_b128 v[14:17], off, off offset:560
	s_wait_loadcnt_dscnt 0x901
	v_mul_f64_e32 v[155:156], v[2:3], v[20:21]
	v_mul_f64_e32 v[20:21], v[4:5], v[20:21]
	v_add_f64_e32 v[151:152], v[151:152], v[163:164]
	v_add_f64_e32 v[153:154], v[153:154], v[157:158]
	s_wait_loadcnt_dscnt 0x800
	v_mul_f64_e32 v[157:158], v[6:7], v[24:25]
	v_mul_f64_e32 v[24:25], v[8:9], v[24:25]
	v_fma_f64 v[155:156], v[4:5], v[18:19], v[155:156]
	v_fma_f64 v[163:164], v[2:3], v[18:19], -v[20:21]
	ds_load_b128 v[2:5], v1 offset:1232
	scratch_load_b128 v[18:21], off, off offset:576
	v_add_f64_e32 v[151:152], v[151:152], v[161:162]
	v_add_f64_e32 v[153:154], v[153:154], v[159:160]
	v_fma_f64 v[157:158], v[8:9], v[22:23], v[157:158]
	v_fma_f64 v[161:162], v[6:7], v[22:23], -v[24:25]
	ds_load_b128 v[6:9], v1 offset:1248
	s_wait_loadcnt_dscnt 0x801
	v_mul_f64_e32 v[159:160], v[2:3], v[28:29]
	v_mul_f64_e32 v[28:29], v[4:5], v[28:29]
	scratch_load_b128 v[22:25], off, off offset:592
	v_add_f64_e32 v[151:152], v[151:152], v[163:164]
	v_add_f64_e32 v[153:154], v[153:154], v[155:156]
	s_wait_loadcnt_dscnt 0x800
	v_mul_f64_e32 v[155:156], v[6:7], v[32:33]
	v_mul_f64_e32 v[32:33], v[8:9], v[32:33]
	v_fma_f64 v[159:160], v[4:5], v[26:27], v[159:160]
	v_fma_f64 v[163:164], v[2:3], v[26:27], -v[28:29]
	ds_load_b128 v[2:5], v1 offset:1264
	scratch_load_b128 v[26:29], off, off offset:608
	v_add_f64_e32 v[151:152], v[151:152], v[161:162]
	v_add_f64_e32 v[153:154], v[153:154], v[157:158]
	v_fma_f64 v[155:156], v[8:9], v[30:31], v[155:156]
	v_fma_f64 v[161:162], v[6:7], v[30:31], -v[32:33]
	ds_load_b128 v[6:9], v1 offset:1280
	s_wait_loadcnt_dscnt 0x801
	v_mul_f64_e32 v[157:158], v[2:3], v[40:41]
	v_mul_f64_e32 v[40:41], v[4:5], v[40:41]
	scratch_load_b128 v[30:33], off, off offset:624
	v_add_f64_e32 v[151:152], v[151:152], v[163:164]
	v_add_f64_e32 v[153:154], v[153:154], v[159:160]
	s_wait_loadcnt_dscnt 0x800
	v_mul_f64_e32 v[159:160], v[6:7], v[149:150]
	v_mul_f64_e32 v[149:150], v[8:9], v[149:150]
	v_fma_f64 v[157:158], v[4:5], v[38:39], v[157:158]
	v_fma_f64 v[163:164], v[2:3], v[38:39], -v[40:41]
	ds_load_b128 v[2:5], v1 offset:1296
	scratch_load_b128 v[38:41], off, off offset:640
	v_add_f64_e32 v[151:152], v[151:152], v[161:162]
	v_add_f64_e32 v[153:154], v[153:154], v[155:156]
	v_fma_f64 v[159:160], v[8:9], v[147:148], v[159:160]
	v_fma_f64 v[161:162], v[6:7], v[147:148], -v[149:150]
	ds_load_b128 v[6:9], v1 offset:1312
	scratch_load_b128 v[147:150], off, off offset:656
	s_wait_loadcnt_dscnt 0x901
	v_mul_f64_e32 v[155:156], v[2:3], v[36:37]
	v_mul_f64_e32 v[36:37], v[4:5], v[36:37]
	v_add_f64_e32 v[151:152], v[151:152], v[163:164]
	v_add_f64_e32 v[153:154], v[153:154], v[157:158]
	s_wait_loadcnt_dscnt 0x800
	v_mul_f64_e32 v[157:158], v[6:7], v[145:146]
	v_mul_f64_e32 v[145:146], v[8:9], v[145:146]
	v_fma_f64 v[155:156], v[4:5], v[34:35], v[155:156]
	v_fma_f64 v[163:164], v[2:3], v[34:35], -v[36:37]
	ds_load_b128 v[2:5], v1 offset:1328
	scratch_load_b128 v[34:37], off, off offset:672
	v_add_f64_e32 v[151:152], v[151:152], v[161:162]
	v_add_f64_e32 v[153:154], v[153:154], v[159:160]
	v_fma_f64 v[157:158], v[8:9], v[143:144], v[157:158]
	v_fma_f64 v[161:162], v[6:7], v[143:144], -v[145:146]
	ds_load_b128 v[6:9], v1 offset:1344
	s_wait_loadcnt_dscnt 0x801
	v_mul_f64_e32 v[159:160], v[2:3], v[12:13]
	v_mul_f64_e32 v[12:13], v[4:5], v[12:13]
	scratch_load_b128 v[143:146], off, off offset:688
	v_add_f64_e32 v[151:152], v[151:152], v[163:164]
	v_add_f64_e32 v[153:154], v[153:154], v[155:156]
	s_wait_loadcnt_dscnt 0x800
	v_mul_f64_e32 v[155:156], v[6:7], v[16:17]
	v_mul_f64_e32 v[16:17], v[8:9], v[16:17]
	v_fma_f64 v[159:160], v[4:5], v[10:11], v[159:160]
	v_fma_f64 v[163:164], v[2:3], v[10:11], -v[12:13]
	ds_load_b128 v[2:5], v1 offset:1360
	scratch_load_b128 v[10:13], off, off offset:704
	v_add_f64_e32 v[151:152], v[151:152], v[161:162]
	v_add_f64_e32 v[153:154], v[153:154], v[157:158]
	v_fma_f64 v[155:156], v[8:9], v[14:15], v[155:156]
	v_fma_f64 v[161:162], v[6:7], v[14:15], -v[16:17]
	ds_load_b128 v[6:9], v1 offset:1376
	s_wait_loadcnt_dscnt 0x801
	v_mul_f64_e32 v[157:158], v[2:3], v[20:21]
	v_mul_f64_e32 v[20:21], v[4:5], v[20:21]
	scratch_load_b128 v[14:17], off, off offset:720
	;; [unrolled: 18-line block ×4, first 2 shown]
	v_add_f64_e32 v[151:152], v[151:152], v[163:164]
	v_add_f64_e32 v[153:154], v[153:154], v[155:156]
	s_wait_loadcnt_dscnt 0x800
	v_mul_f64_e32 v[155:156], v[6:7], v[149:150]
	v_mul_f64_e32 v[149:150], v[8:9], v[149:150]
	v_fma_f64 v[159:160], v[4:5], v[38:39], v[159:160]
	v_fma_f64 v[163:164], v[2:3], v[38:39], -v[40:41]
	ds_load_b128 v[2:5], v1 offset:1456
	scratch_load_b128 v[38:41], off, off offset:800
	v_add_f64_e32 v[151:152], v[151:152], v[161:162]
	v_add_f64_e32 v[153:154], v[153:154], v[157:158]
	v_fma_f64 v[155:156], v[8:9], v[147:148], v[155:156]
	v_fma_f64 v[147:148], v[6:7], v[147:148], -v[149:150]
	ds_load_b128 v[6:9], v1 offset:1472
	s_wait_loadcnt_dscnt 0x801
	v_mul_f64_e32 v[157:158], v[2:3], v[36:37]
	v_mul_f64_e32 v[36:37], v[4:5], v[36:37]
	v_add_f64_e32 v[149:150], v[151:152], v[163:164]
	v_add_f64_e32 v[151:152], v[153:154], v[159:160]
	s_wait_loadcnt_dscnt 0x700
	v_mul_f64_e32 v[153:154], v[6:7], v[145:146]
	v_mul_f64_e32 v[145:146], v[8:9], v[145:146]
	v_fma_f64 v[157:158], v[4:5], v[34:35], v[157:158]
	v_fma_f64 v[34:35], v[2:3], v[34:35], -v[36:37]
	ds_load_b128 v[2:5], v1 offset:1488
	v_add_f64_e32 v[36:37], v[149:150], v[147:148]
	v_add_f64_e32 v[147:148], v[151:152], v[155:156]
	v_fma_f64 v[151:152], v[8:9], v[143:144], v[153:154]
	v_fma_f64 v[143:144], v[6:7], v[143:144], -v[145:146]
	ds_load_b128 v[6:9], v1 offset:1504
	s_wait_loadcnt_dscnt 0x500
	v_mul_f64_e32 v[153:154], v[6:7], v[16:17]
	v_mul_f64_e32 v[16:17], v[8:9], v[16:17]
	v_add_f64_e32 v[145:146], v[36:37], v[34:35]
	v_add_f64_e32 v[147:148], v[147:148], v[157:158]
	scratch_load_b128 v[34:37], off, off offset:336
	v_mul_f64_e32 v[149:150], v[2:3], v[12:13]
	v_mul_f64_e32 v[12:13], v[4:5], v[12:13]
	s_delay_alu instid0(VALU_DEP_2) | instskip(NEXT) | instid1(VALU_DEP_2)
	v_fma_f64 v[149:150], v[4:5], v[10:11], v[149:150]
	v_fma_f64 v[10:11], v[2:3], v[10:11], -v[12:13]
	v_add_f64_e32 v[12:13], v[145:146], v[143:144]
	v_add_f64_e32 v[143:144], v[147:148], v[151:152]
	ds_load_b128 v[2:5], v1 offset:1520
	v_fma_f64 v[147:148], v[8:9], v[14:15], v[153:154]
	v_fma_f64 v[14:15], v[6:7], v[14:15], -v[16:17]
	ds_load_b128 v[6:9], v1 offset:1536
	s_wait_loadcnt_dscnt 0x501
	v_mul_f64_e32 v[145:146], v[2:3], v[20:21]
	v_mul_f64_e32 v[20:21], v[4:5], v[20:21]
	s_wait_loadcnt_dscnt 0x400
	v_mul_f64_e32 v[16:17], v[6:7], v[24:25]
	v_mul_f64_e32 v[24:25], v[8:9], v[24:25]
	v_add_f64_e32 v[10:11], v[12:13], v[10:11]
	v_add_f64_e32 v[12:13], v[143:144], v[149:150]
	v_fma_f64 v[143:144], v[4:5], v[18:19], v[145:146]
	v_fma_f64 v[18:19], v[2:3], v[18:19], -v[20:21]
	ds_load_b128 v[2:5], v1 offset:1552
	v_fma_f64 v[16:17], v[8:9], v[22:23], v[16:17]
	v_fma_f64 v[22:23], v[6:7], v[22:23], -v[24:25]
	ds_load_b128 v[6:9], v1 offset:1568
	v_add_f64_e32 v[10:11], v[10:11], v[14:15]
	v_add_f64_e32 v[12:13], v[12:13], v[147:148]
	s_wait_loadcnt_dscnt 0x301
	v_mul_f64_e32 v[14:15], v[2:3], v[28:29]
	v_mul_f64_e32 v[20:21], v[4:5], v[28:29]
	s_wait_loadcnt_dscnt 0x200
	v_mul_f64_e32 v[24:25], v[8:9], v[32:33]
	v_add_f64_e32 v[10:11], v[10:11], v[18:19]
	v_add_f64_e32 v[12:13], v[12:13], v[143:144]
	v_mul_f64_e32 v[18:19], v[6:7], v[32:33]
	v_fma_f64 v[14:15], v[4:5], v[26:27], v[14:15]
	v_fma_f64 v[20:21], v[2:3], v[26:27], -v[20:21]
	ds_load_b128 v[2:5], v1 offset:1584
	v_fma_f64 v[6:7], v[6:7], v[30:31], -v[24:25]
	v_add_f64_e32 v[10:11], v[10:11], v[22:23]
	v_add_f64_e32 v[12:13], v[12:13], v[16:17]
	s_wait_loadcnt_dscnt 0x100
	v_mul_f64_e32 v[16:17], v[2:3], v[40:41]
	v_mul_f64_e32 v[22:23], v[4:5], v[40:41]
	v_fma_f64 v[8:9], v[8:9], v[30:31], v[18:19]
	v_add_f64_e32 v[10:11], v[10:11], v[20:21]
	v_add_f64_e32 v[12:13], v[12:13], v[14:15]
	v_fma_f64 v[4:5], v[4:5], v[38:39], v[16:17]
	v_fma_f64 v[2:3], v[2:3], v[38:39], -v[22:23]
	s_delay_alu instid0(VALU_DEP_4) | instskip(NEXT) | instid1(VALU_DEP_4)
	v_add_f64_e32 v[6:7], v[10:11], v[6:7]
	v_add_f64_e32 v[8:9], v[12:13], v[8:9]
	s_delay_alu instid0(VALU_DEP_2) | instskip(NEXT) | instid1(VALU_DEP_2)
	v_add_f64_e32 v[2:3], v[6:7], v[2:3]
	v_add_f64_e32 v[4:5], v[8:9], v[4:5]
	s_wait_loadcnt 0x0
	s_delay_alu instid0(VALU_DEP_2) | instskip(NEXT) | instid1(VALU_DEP_2)
	v_add_f64_e64 v[2:3], v[34:35], -v[2:3]
	v_add_f64_e64 v[4:5], v[36:37], -v[4:5]
	scratch_store_b128 off, v[2:5], off offset:336
	v_cmpx_lt_u32_e32 19, v0
	s_cbranch_execz .LBB49_275
; %bb.274:
	scratch_load_b128 v[5:8], off, s38
	v_dual_mov_b32 v2, v1 :: v_dual_mov_b32 v3, v1
	v_mov_b32_e32 v4, v1
	scratch_store_b128 off, v[1:4], off offset:320
	s_wait_loadcnt 0x0
	ds_store_b128 v142, v[5:8]
.LBB49_275:
	s_wait_alu 0xfffe
	s_or_b32 exec_lo, exec_lo, s0
	s_wait_storecnt_dscnt 0x0
	s_barrier_signal -1
	s_barrier_wait -1
	global_inv scope:SCOPE_SE
	s_clause 0x7
	scratch_load_b128 v[2:5], off, off offset:336
	scratch_load_b128 v[6:9], off, off offset:352
	;; [unrolled: 1-line block ×8, first 2 shown]
	ds_load_b128 v[34:37], v1 offset:1120
	ds_load_b128 v[143:146], v1 offset:1136
	s_clause 0x1
	scratch_load_b128 v[38:41], off, off offset:464
	scratch_load_b128 v[147:150], off, off offset:480
	s_mov_b32 s0, exec_lo
	s_wait_loadcnt_dscnt 0x901
	v_mul_f64_e32 v[151:152], v[36:37], v[4:5]
	v_mul_f64_e32 v[4:5], v[34:35], v[4:5]
	s_wait_loadcnt_dscnt 0x800
	v_mul_f64_e32 v[153:154], v[143:144], v[8:9]
	v_mul_f64_e32 v[8:9], v[145:146], v[8:9]
	s_delay_alu instid0(VALU_DEP_4) | instskip(NEXT) | instid1(VALU_DEP_4)
	v_fma_f64 v[151:152], v[34:35], v[2:3], -v[151:152]
	v_fma_f64 v[155:156], v[36:37], v[2:3], v[4:5]
	ds_load_b128 v[2:5], v1 offset:1152
	scratch_load_b128 v[34:37], off, off offset:496
	v_fma_f64 v[153:154], v[145:146], v[6:7], v[153:154]
	v_fma_f64 v[159:160], v[143:144], v[6:7], -v[8:9]
	ds_load_b128 v[6:9], v1 offset:1168
	scratch_load_b128 v[143:146], off, off offset:512
	s_wait_loadcnt_dscnt 0x901
	v_mul_f64_e32 v[157:158], v[2:3], v[12:13]
	v_mul_f64_e32 v[12:13], v[4:5], v[12:13]
	s_wait_loadcnt_dscnt 0x800
	v_mul_f64_e32 v[161:162], v[6:7], v[16:17]
	v_mul_f64_e32 v[16:17], v[8:9], v[16:17]
	v_add_f64_e32 v[151:152], 0, v[151:152]
	v_add_f64_e32 v[155:156], 0, v[155:156]
	v_fma_f64 v[157:158], v[4:5], v[10:11], v[157:158]
	v_fma_f64 v[163:164], v[2:3], v[10:11], -v[12:13]
	scratch_load_b128 v[10:13], off, off offset:528
	ds_load_b128 v[2:5], v1 offset:1184
	v_add_f64_e32 v[151:152], v[151:152], v[159:160]
	v_add_f64_e32 v[153:154], v[155:156], v[153:154]
	v_fma_f64 v[159:160], v[8:9], v[14:15], v[161:162]
	v_fma_f64 v[161:162], v[6:7], v[14:15], -v[16:17]
	ds_load_b128 v[6:9], v1 offset:1200
	scratch_load_b128 v[14:17], off, off offset:544
	s_wait_loadcnt_dscnt 0x901
	v_mul_f64_e32 v[155:156], v[2:3], v[20:21]
	v_mul_f64_e32 v[20:21], v[4:5], v[20:21]
	v_add_f64_e32 v[151:152], v[151:152], v[163:164]
	v_add_f64_e32 v[153:154], v[153:154], v[157:158]
	s_wait_loadcnt_dscnt 0x800
	v_mul_f64_e32 v[157:158], v[6:7], v[24:25]
	v_mul_f64_e32 v[24:25], v[8:9], v[24:25]
	v_fma_f64 v[155:156], v[4:5], v[18:19], v[155:156]
	v_fma_f64 v[163:164], v[2:3], v[18:19], -v[20:21]
	ds_load_b128 v[2:5], v1 offset:1216
	scratch_load_b128 v[18:21], off, off offset:560
	v_add_f64_e32 v[151:152], v[151:152], v[161:162]
	v_add_f64_e32 v[153:154], v[153:154], v[159:160]
	v_fma_f64 v[157:158], v[8:9], v[22:23], v[157:158]
	v_fma_f64 v[161:162], v[6:7], v[22:23], -v[24:25]
	ds_load_b128 v[6:9], v1 offset:1232
	s_wait_loadcnt_dscnt 0x801
	v_mul_f64_e32 v[159:160], v[2:3], v[28:29]
	v_mul_f64_e32 v[28:29], v[4:5], v[28:29]
	scratch_load_b128 v[22:25], off, off offset:576
	v_add_f64_e32 v[151:152], v[151:152], v[163:164]
	v_add_f64_e32 v[153:154], v[153:154], v[155:156]
	s_wait_loadcnt_dscnt 0x800
	v_mul_f64_e32 v[155:156], v[6:7], v[32:33]
	v_mul_f64_e32 v[32:33], v[8:9], v[32:33]
	v_fma_f64 v[159:160], v[4:5], v[26:27], v[159:160]
	v_fma_f64 v[163:164], v[2:3], v[26:27], -v[28:29]
	ds_load_b128 v[2:5], v1 offset:1248
	scratch_load_b128 v[26:29], off, off offset:592
	v_add_f64_e32 v[151:152], v[151:152], v[161:162]
	v_add_f64_e32 v[153:154], v[153:154], v[157:158]
	v_fma_f64 v[155:156], v[8:9], v[30:31], v[155:156]
	v_fma_f64 v[161:162], v[6:7], v[30:31], -v[32:33]
	ds_load_b128 v[6:9], v1 offset:1264
	s_wait_loadcnt_dscnt 0x801
	v_mul_f64_e32 v[157:158], v[2:3], v[40:41]
	v_mul_f64_e32 v[40:41], v[4:5], v[40:41]
	scratch_load_b128 v[30:33], off, off offset:608
	v_add_f64_e32 v[151:152], v[151:152], v[163:164]
	v_add_f64_e32 v[153:154], v[153:154], v[159:160]
	s_wait_loadcnt_dscnt 0x800
	v_mul_f64_e32 v[159:160], v[6:7], v[149:150]
	v_mul_f64_e32 v[149:150], v[8:9], v[149:150]
	v_fma_f64 v[157:158], v[4:5], v[38:39], v[157:158]
	v_fma_f64 v[163:164], v[2:3], v[38:39], -v[40:41]
	ds_load_b128 v[2:5], v1 offset:1280
	scratch_load_b128 v[38:41], off, off offset:624
	v_add_f64_e32 v[151:152], v[151:152], v[161:162]
	v_add_f64_e32 v[153:154], v[153:154], v[155:156]
	v_fma_f64 v[159:160], v[8:9], v[147:148], v[159:160]
	v_fma_f64 v[161:162], v[6:7], v[147:148], -v[149:150]
	ds_load_b128 v[6:9], v1 offset:1296
	scratch_load_b128 v[147:150], off, off offset:640
	s_wait_loadcnt_dscnt 0x901
	v_mul_f64_e32 v[155:156], v[2:3], v[36:37]
	v_mul_f64_e32 v[36:37], v[4:5], v[36:37]
	v_add_f64_e32 v[151:152], v[151:152], v[163:164]
	v_add_f64_e32 v[153:154], v[153:154], v[157:158]
	s_wait_loadcnt_dscnt 0x800
	v_mul_f64_e32 v[157:158], v[6:7], v[145:146]
	v_mul_f64_e32 v[145:146], v[8:9], v[145:146]
	v_fma_f64 v[155:156], v[4:5], v[34:35], v[155:156]
	v_fma_f64 v[163:164], v[2:3], v[34:35], -v[36:37]
	ds_load_b128 v[2:5], v1 offset:1312
	scratch_load_b128 v[34:37], off, off offset:656
	v_add_f64_e32 v[151:152], v[151:152], v[161:162]
	v_add_f64_e32 v[153:154], v[153:154], v[159:160]
	v_fma_f64 v[157:158], v[8:9], v[143:144], v[157:158]
	v_fma_f64 v[161:162], v[6:7], v[143:144], -v[145:146]
	ds_load_b128 v[6:9], v1 offset:1328
	s_wait_loadcnt_dscnt 0x801
	v_mul_f64_e32 v[159:160], v[2:3], v[12:13]
	v_mul_f64_e32 v[12:13], v[4:5], v[12:13]
	scratch_load_b128 v[143:146], off, off offset:672
	v_add_f64_e32 v[151:152], v[151:152], v[163:164]
	v_add_f64_e32 v[153:154], v[153:154], v[155:156]
	s_wait_loadcnt_dscnt 0x800
	v_mul_f64_e32 v[155:156], v[6:7], v[16:17]
	v_mul_f64_e32 v[16:17], v[8:9], v[16:17]
	v_fma_f64 v[159:160], v[4:5], v[10:11], v[159:160]
	v_fma_f64 v[163:164], v[2:3], v[10:11], -v[12:13]
	scratch_load_b128 v[10:13], off, off offset:688
	ds_load_b128 v[2:5], v1 offset:1344
	v_add_f64_e32 v[151:152], v[151:152], v[161:162]
	v_add_f64_e32 v[153:154], v[153:154], v[157:158]
	v_fma_f64 v[155:156], v[8:9], v[14:15], v[155:156]
	v_fma_f64 v[161:162], v[6:7], v[14:15], -v[16:17]
	ds_load_b128 v[6:9], v1 offset:1360
	s_wait_loadcnt_dscnt 0x801
	v_mul_f64_e32 v[157:158], v[2:3], v[20:21]
	v_mul_f64_e32 v[20:21], v[4:5], v[20:21]
	scratch_load_b128 v[14:17], off, off offset:704
	v_add_f64_e32 v[151:152], v[151:152], v[163:164]
	v_add_f64_e32 v[153:154], v[153:154], v[159:160]
	s_wait_loadcnt_dscnt 0x800
	v_mul_f64_e32 v[159:160], v[6:7], v[24:25]
	v_mul_f64_e32 v[24:25], v[8:9], v[24:25]
	v_fma_f64 v[157:158], v[4:5], v[18:19], v[157:158]
	v_fma_f64 v[163:164], v[2:3], v[18:19], -v[20:21]
	ds_load_b128 v[2:5], v1 offset:1376
	scratch_load_b128 v[18:21], off, off offset:720
	v_add_f64_e32 v[151:152], v[151:152], v[161:162]
	v_add_f64_e32 v[153:154], v[153:154], v[155:156]
	v_fma_f64 v[159:160], v[8:9], v[22:23], v[159:160]
	v_fma_f64 v[161:162], v[6:7], v[22:23], -v[24:25]
	ds_load_b128 v[6:9], v1 offset:1392
	s_wait_loadcnt_dscnt 0x801
	v_mul_f64_e32 v[155:156], v[2:3], v[28:29]
	v_mul_f64_e32 v[28:29], v[4:5], v[28:29]
	scratch_load_b128 v[22:25], off, off offset:736
	v_add_f64_e32 v[151:152], v[151:152], v[163:164]
	v_add_f64_e32 v[153:154], v[153:154], v[157:158]
	s_wait_loadcnt_dscnt 0x800
	v_mul_f64_e32 v[157:158], v[6:7], v[32:33]
	v_mul_f64_e32 v[32:33], v[8:9], v[32:33]
	v_fma_f64 v[155:156], v[4:5], v[26:27], v[155:156]
	v_fma_f64 v[163:164], v[2:3], v[26:27], -v[28:29]
	ds_load_b128 v[2:5], v1 offset:1408
	scratch_load_b128 v[26:29], off, off offset:752
	;; [unrolled: 18-line block ×3, first 2 shown]
	v_add_f64_e32 v[151:152], v[151:152], v[161:162]
	v_add_f64_e32 v[153:154], v[153:154], v[157:158]
	v_fma_f64 v[155:156], v[8:9], v[147:148], v[155:156]
	v_fma_f64 v[161:162], v[6:7], v[147:148], -v[149:150]
	ds_load_b128 v[6:9], v1 offset:1456
	s_wait_loadcnt_dscnt 0x801
	v_mul_f64_e32 v[157:158], v[2:3], v[36:37]
	v_mul_f64_e32 v[36:37], v[4:5], v[36:37]
	scratch_load_b128 v[147:150], off, off offset:800
	v_add_f64_e32 v[151:152], v[151:152], v[163:164]
	v_add_f64_e32 v[153:154], v[153:154], v[159:160]
	v_fma_f64 v[157:158], v[4:5], v[34:35], v[157:158]
	v_fma_f64 v[34:35], v[2:3], v[34:35], -v[36:37]
	ds_load_b128 v[2:5], v1 offset:1472
	v_add_f64_e32 v[36:37], v[151:152], v[161:162]
	v_add_f64_e32 v[151:152], v[153:154], v[155:156]
	s_wait_loadcnt_dscnt 0x700
	v_mul_f64_e32 v[153:154], v[2:3], v[12:13]
	v_mul_f64_e32 v[12:13], v[4:5], v[12:13]
	s_delay_alu instid0(VALU_DEP_4) | instskip(NEXT) | instid1(VALU_DEP_4)
	v_add_f64_e32 v[34:35], v[36:37], v[34:35]
	v_add_f64_e32 v[36:37], v[151:152], v[157:158]
	s_delay_alu instid0(VALU_DEP_4) | instskip(NEXT) | instid1(VALU_DEP_4)
	v_fma_f64 v[151:152], v[4:5], v[10:11], v[153:154]
	v_fma_f64 v[153:154], v[2:3], v[10:11], -v[12:13]
	scratch_load_b128 v[10:13], off, off offset:320
	v_mul_f64_e32 v[159:160], v[6:7], v[145:146]
	v_mul_f64_e32 v[145:146], v[8:9], v[145:146]
	ds_load_b128 v[2:5], v1 offset:1504
	v_fma_f64 v[155:156], v[8:9], v[143:144], v[159:160]
	v_fma_f64 v[143:144], v[6:7], v[143:144], -v[145:146]
	ds_load_b128 v[6:9], v1 offset:1488
	s_wait_loadcnt_dscnt 0x700
	v_mul_f64_e32 v[145:146], v[6:7], v[16:17]
	v_mul_f64_e32 v[16:17], v[8:9], v[16:17]
	v_add_f64_e32 v[36:37], v[36:37], v[155:156]
	v_add_f64_e32 v[34:35], v[34:35], v[143:144]
	s_wait_loadcnt 0x6
	v_mul_f64_e32 v[143:144], v[2:3], v[20:21]
	v_mul_f64_e32 v[20:21], v[4:5], v[20:21]
	v_fma_f64 v[145:146], v[8:9], v[14:15], v[145:146]
	v_fma_f64 v[14:15], v[6:7], v[14:15], -v[16:17]
	ds_load_b128 v[6:9], v1 offset:1520
	v_add_f64_e32 v[16:17], v[34:35], v[153:154]
	v_add_f64_e32 v[34:35], v[36:37], v[151:152]
	v_fma_f64 v[143:144], v[4:5], v[18:19], v[143:144]
	v_fma_f64 v[18:19], v[2:3], v[18:19], -v[20:21]
	ds_load_b128 v[2:5], v1 offset:1536
	s_wait_loadcnt_dscnt 0x501
	v_mul_f64_e32 v[36:37], v[6:7], v[24:25]
	v_mul_f64_e32 v[24:25], v[8:9], v[24:25]
	s_wait_loadcnt_dscnt 0x400
	v_mul_f64_e32 v[20:21], v[2:3], v[28:29]
	v_mul_f64_e32 v[28:29], v[4:5], v[28:29]
	v_add_f64_e32 v[14:15], v[16:17], v[14:15]
	v_add_f64_e32 v[16:17], v[34:35], v[145:146]
	v_fma_f64 v[34:35], v[8:9], v[22:23], v[36:37]
	v_fma_f64 v[22:23], v[6:7], v[22:23], -v[24:25]
	ds_load_b128 v[6:9], v1 offset:1552
	v_fma_f64 v[20:21], v[4:5], v[26:27], v[20:21]
	v_fma_f64 v[26:27], v[2:3], v[26:27], -v[28:29]
	ds_load_b128 v[2:5], v1 offset:1568
	s_wait_loadcnt_dscnt 0x301
	v_mul_f64_e32 v[24:25], v[8:9], v[32:33]
	v_add_f64_e32 v[14:15], v[14:15], v[18:19]
	v_add_f64_e32 v[16:17], v[16:17], v[143:144]
	v_mul_f64_e32 v[18:19], v[6:7], v[32:33]
	s_wait_loadcnt_dscnt 0x200
	v_mul_f64_e32 v[28:29], v[4:5], v[40:41]
	v_fma_f64 v[24:25], v[6:7], v[30:31], -v[24:25]
	v_add_f64_e32 v[14:15], v[14:15], v[22:23]
	v_add_f64_e32 v[16:17], v[16:17], v[34:35]
	v_mul_f64_e32 v[22:23], v[2:3], v[40:41]
	v_fma_f64 v[18:19], v[8:9], v[30:31], v[18:19]
	ds_load_b128 v[6:9], v1 offset:1584
	v_fma_f64 v[1:2], v[2:3], v[38:39], -v[28:29]
	v_add_f64_e32 v[14:15], v[14:15], v[26:27]
	v_add_f64_e32 v[16:17], v[16:17], v[20:21]
	s_wait_loadcnt_dscnt 0x100
	v_mul_f64_e32 v[20:21], v[6:7], v[149:150]
	v_mul_f64_e32 v[26:27], v[8:9], v[149:150]
	v_fma_f64 v[4:5], v[4:5], v[38:39], v[22:23]
	v_add_f64_e32 v[14:15], v[14:15], v[24:25]
	v_add_f64_e32 v[16:17], v[16:17], v[18:19]
	v_fma_f64 v[8:9], v[8:9], v[147:148], v[20:21]
	v_fma_f64 v[6:7], v[6:7], v[147:148], -v[26:27]
	s_delay_alu instid0(VALU_DEP_4) | instskip(NEXT) | instid1(VALU_DEP_4)
	v_add_f64_e32 v[1:2], v[14:15], v[1:2]
	v_add_f64_e32 v[3:4], v[16:17], v[4:5]
	s_delay_alu instid0(VALU_DEP_2) | instskip(NEXT) | instid1(VALU_DEP_2)
	v_add_f64_e32 v[1:2], v[1:2], v[6:7]
	v_add_f64_e32 v[3:4], v[3:4], v[8:9]
	s_wait_loadcnt 0x0
	s_delay_alu instid0(VALU_DEP_2) | instskip(NEXT) | instid1(VALU_DEP_2)
	v_add_f64_e64 v[1:2], v[10:11], -v[1:2]
	v_add_f64_e64 v[3:4], v[12:13], -v[3:4]
	scratch_store_b128 off, v[1:4], off offset:320
	v_cmpx_lt_u32_e32 18, v0
	s_cbranch_execz .LBB49_277
; %bb.276:
	scratch_load_b128 v[1:4], off, s40
	v_mov_b32_e32 v5, 0
	s_delay_alu instid0(VALU_DEP_1)
	v_dual_mov_b32 v6, v5 :: v_dual_mov_b32 v7, v5
	v_mov_b32_e32 v8, v5
	scratch_store_b128 off, v[5:8], off offset:304
	s_wait_loadcnt 0x0
	ds_store_b128 v142, v[1:4]
.LBB49_277:
	s_wait_alu 0xfffe
	s_or_b32 exec_lo, exec_lo, s0
	s_wait_storecnt_dscnt 0x0
	s_barrier_signal -1
	s_barrier_wait -1
	global_inv scope:SCOPE_SE
	s_clause 0x7
	scratch_load_b128 v[2:5], off, off offset:320
	scratch_load_b128 v[6:9], off, off offset:336
	;; [unrolled: 1-line block ×8, first 2 shown]
	v_mov_b32_e32 v1, 0
	s_clause 0x1
	scratch_load_b128 v[38:41], off, off offset:448
	scratch_load_b128 v[147:150], off, off offset:464
	s_mov_b32 s0, exec_lo
	ds_load_b128 v[34:37], v1 offset:1104
	ds_load_b128 v[143:146], v1 offset:1120
	s_wait_loadcnt_dscnt 0x901
	v_mul_f64_e32 v[151:152], v[36:37], v[4:5]
	v_mul_f64_e32 v[4:5], v[34:35], v[4:5]
	s_wait_loadcnt_dscnt 0x800
	v_mul_f64_e32 v[153:154], v[143:144], v[8:9]
	v_mul_f64_e32 v[8:9], v[145:146], v[8:9]
	s_delay_alu instid0(VALU_DEP_4) | instskip(NEXT) | instid1(VALU_DEP_4)
	v_fma_f64 v[151:152], v[34:35], v[2:3], -v[151:152]
	v_fma_f64 v[155:156], v[36:37], v[2:3], v[4:5]
	ds_load_b128 v[2:5], v1 offset:1136
	scratch_load_b128 v[34:37], off, off offset:480
	v_fma_f64 v[153:154], v[145:146], v[6:7], v[153:154]
	v_fma_f64 v[159:160], v[143:144], v[6:7], -v[8:9]
	ds_load_b128 v[6:9], v1 offset:1152
	scratch_load_b128 v[143:146], off, off offset:496
	s_wait_loadcnt_dscnt 0x901
	v_mul_f64_e32 v[157:158], v[2:3], v[12:13]
	v_mul_f64_e32 v[12:13], v[4:5], v[12:13]
	s_wait_loadcnt_dscnt 0x800
	v_mul_f64_e32 v[161:162], v[6:7], v[16:17]
	v_mul_f64_e32 v[16:17], v[8:9], v[16:17]
	v_add_f64_e32 v[151:152], 0, v[151:152]
	v_add_f64_e32 v[155:156], 0, v[155:156]
	v_fma_f64 v[157:158], v[4:5], v[10:11], v[157:158]
	v_fma_f64 v[163:164], v[2:3], v[10:11], -v[12:13]
	ds_load_b128 v[2:5], v1 offset:1168
	scratch_load_b128 v[10:13], off, off offset:512
	v_add_f64_e32 v[151:152], v[151:152], v[159:160]
	v_add_f64_e32 v[153:154], v[155:156], v[153:154]
	v_fma_f64 v[159:160], v[8:9], v[14:15], v[161:162]
	v_fma_f64 v[161:162], v[6:7], v[14:15], -v[16:17]
	ds_load_b128 v[6:9], v1 offset:1184
	scratch_load_b128 v[14:17], off, off offset:528
	s_wait_loadcnt_dscnt 0x901
	v_mul_f64_e32 v[155:156], v[2:3], v[20:21]
	v_mul_f64_e32 v[20:21], v[4:5], v[20:21]
	v_add_f64_e32 v[151:152], v[151:152], v[163:164]
	v_add_f64_e32 v[153:154], v[153:154], v[157:158]
	s_wait_loadcnt_dscnt 0x800
	v_mul_f64_e32 v[157:158], v[6:7], v[24:25]
	v_mul_f64_e32 v[24:25], v[8:9], v[24:25]
	v_fma_f64 v[155:156], v[4:5], v[18:19], v[155:156]
	v_fma_f64 v[163:164], v[2:3], v[18:19], -v[20:21]
	ds_load_b128 v[2:5], v1 offset:1200
	scratch_load_b128 v[18:21], off, off offset:544
	v_add_f64_e32 v[151:152], v[151:152], v[161:162]
	v_add_f64_e32 v[153:154], v[153:154], v[159:160]
	v_fma_f64 v[157:158], v[8:9], v[22:23], v[157:158]
	v_fma_f64 v[161:162], v[6:7], v[22:23], -v[24:25]
	ds_load_b128 v[6:9], v1 offset:1216
	s_wait_loadcnt_dscnt 0x801
	v_mul_f64_e32 v[159:160], v[2:3], v[28:29]
	v_mul_f64_e32 v[28:29], v[4:5], v[28:29]
	scratch_load_b128 v[22:25], off, off offset:560
	v_add_f64_e32 v[151:152], v[151:152], v[163:164]
	v_add_f64_e32 v[153:154], v[153:154], v[155:156]
	s_wait_loadcnt_dscnt 0x800
	v_mul_f64_e32 v[155:156], v[6:7], v[32:33]
	v_mul_f64_e32 v[32:33], v[8:9], v[32:33]
	v_fma_f64 v[159:160], v[4:5], v[26:27], v[159:160]
	v_fma_f64 v[163:164], v[2:3], v[26:27], -v[28:29]
	ds_load_b128 v[2:5], v1 offset:1232
	scratch_load_b128 v[26:29], off, off offset:576
	v_add_f64_e32 v[151:152], v[151:152], v[161:162]
	v_add_f64_e32 v[153:154], v[153:154], v[157:158]
	v_fma_f64 v[155:156], v[8:9], v[30:31], v[155:156]
	v_fma_f64 v[161:162], v[6:7], v[30:31], -v[32:33]
	ds_load_b128 v[6:9], v1 offset:1248
	s_wait_loadcnt_dscnt 0x801
	v_mul_f64_e32 v[157:158], v[2:3], v[40:41]
	v_mul_f64_e32 v[40:41], v[4:5], v[40:41]
	scratch_load_b128 v[30:33], off, off offset:592
	v_add_f64_e32 v[151:152], v[151:152], v[163:164]
	v_add_f64_e32 v[153:154], v[153:154], v[159:160]
	s_wait_loadcnt_dscnt 0x800
	v_mul_f64_e32 v[159:160], v[6:7], v[149:150]
	v_mul_f64_e32 v[149:150], v[8:9], v[149:150]
	v_fma_f64 v[157:158], v[4:5], v[38:39], v[157:158]
	v_fma_f64 v[163:164], v[2:3], v[38:39], -v[40:41]
	ds_load_b128 v[2:5], v1 offset:1264
	scratch_load_b128 v[38:41], off, off offset:608
	v_add_f64_e32 v[151:152], v[151:152], v[161:162]
	v_add_f64_e32 v[153:154], v[153:154], v[155:156]
	v_fma_f64 v[159:160], v[8:9], v[147:148], v[159:160]
	v_fma_f64 v[161:162], v[6:7], v[147:148], -v[149:150]
	ds_load_b128 v[6:9], v1 offset:1280
	scratch_load_b128 v[147:150], off, off offset:624
	s_wait_loadcnt_dscnt 0x901
	v_mul_f64_e32 v[155:156], v[2:3], v[36:37]
	v_mul_f64_e32 v[36:37], v[4:5], v[36:37]
	v_add_f64_e32 v[151:152], v[151:152], v[163:164]
	v_add_f64_e32 v[153:154], v[153:154], v[157:158]
	s_wait_loadcnt_dscnt 0x800
	v_mul_f64_e32 v[157:158], v[6:7], v[145:146]
	v_mul_f64_e32 v[145:146], v[8:9], v[145:146]
	v_fma_f64 v[155:156], v[4:5], v[34:35], v[155:156]
	v_fma_f64 v[163:164], v[2:3], v[34:35], -v[36:37]
	ds_load_b128 v[2:5], v1 offset:1296
	scratch_load_b128 v[34:37], off, off offset:640
	v_add_f64_e32 v[151:152], v[151:152], v[161:162]
	v_add_f64_e32 v[153:154], v[153:154], v[159:160]
	v_fma_f64 v[157:158], v[8:9], v[143:144], v[157:158]
	v_fma_f64 v[161:162], v[6:7], v[143:144], -v[145:146]
	ds_load_b128 v[6:9], v1 offset:1312
	s_wait_loadcnt_dscnt 0x801
	v_mul_f64_e32 v[159:160], v[2:3], v[12:13]
	v_mul_f64_e32 v[12:13], v[4:5], v[12:13]
	scratch_load_b128 v[143:146], off, off offset:656
	v_add_f64_e32 v[151:152], v[151:152], v[163:164]
	v_add_f64_e32 v[153:154], v[153:154], v[155:156]
	s_wait_loadcnt_dscnt 0x800
	v_mul_f64_e32 v[155:156], v[6:7], v[16:17]
	v_mul_f64_e32 v[16:17], v[8:9], v[16:17]
	v_fma_f64 v[159:160], v[4:5], v[10:11], v[159:160]
	v_fma_f64 v[163:164], v[2:3], v[10:11], -v[12:13]
	ds_load_b128 v[2:5], v1 offset:1328
	scratch_load_b128 v[10:13], off, off offset:672
	v_add_f64_e32 v[151:152], v[151:152], v[161:162]
	v_add_f64_e32 v[153:154], v[153:154], v[157:158]
	v_fma_f64 v[155:156], v[8:9], v[14:15], v[155:156]
	v_fma_f64 v[161:162], v[6:7], v[14:15], -v[16:17]
	ds_load_b128 v[6:9], v1 offset:1344
	s_wait_loadcnt_dscnt 0x801
	v_mul_f64_e32 v[157:158], v[2:3], v[20:21]
	v_mul_f64_e32 v[20:21], v[4:5], v[20:21]
	scratch_load_b128 v[14:17], off, off offset:688
	;; [unrolled: 18-line block ×5, first 2 shown]
	v_add_f64_e32 v[151:152], v[151:152], v[163:164]
	v_add_f64_e32 v[153:154], v[153:154], v[159:160]
	s_wait_loadcnt_dscnt 0x800
	v_mul_f64_e32 v[159:160], v[6:7], v[145:146]
	v_mul_f64_e32 v[145:146], v[8:9], v[145:146]
	v_fma_f64 v[157:158], v[4:5], v[34:35], v[157:158]
	v_fma_f64 v[163:164], v[2:3], v[34:35], -v[36:37]
	ds_load_b128 v[2:5], v1 offset:1456
	scratch_load_b128 v[34:37], off, off offset:800
	v_add_f64_e32 v[151:152], v[151:152], v[161:162]
	v_add_f64_e32 v[153:154], v[153:154], v[155:156]
	v_fma_f64 v[159:160], v[8:9], v[143:144], v[159:160]
	v_fma_f64 v[143:144], v[6:7], v[143:144], -v[145:146]
	ds_load_b128 v[6:9], v1 offset:1472
	s_wait_loadcnt_dscnt 0x801
	v_mul_f64_e32 v[155:156], v[2:3], v[12:13]
	v_mul_f64_e32 v[12:13], v[4:5], v[12:13]
	v_add_f64_e32 v[145:146], v[151:152], v[163:164]
	v_add_f64_e32 v[151:152], v[153:154], v[157:158]
	s_wait_loadcnt_dscnt 0x700
	v_mul_f64_e32 v[153:154], v[6:7], v[16:17]
	v_mul_f64_e32 v[16:17], v[8:9], v[16:17]
	v_fma_f64 v[155:156], v[4:5], v[10:11], v[155:156]
	v_fma_f64 v[10:11], v[2:3], v[10:11], -v[12:13]
	ds_load_b128 v[2:5], v1 offset:1488
	v_add_f64_e32 v[12:13], v[145:146], v[143:144]
	v_add_f64_e32 v[143:144], v[151:152], v[159:160]
	v_fma_f64 v[151:152], v[8:9], v[14:15], v[153:154]
	v_fma_f64 v[14:15], v[6:7], v[14:15], -v[16:17]
	ds_load_b128 v[6:9], v1 offset:1504
	s_wait_loadcnt_dscnt 0x500
	v_mul_f64_e32 v[153:154], v[6:7], v[24:25]
	v_mul_f64_e32 v[24:25], v[8:9], v[24:25]
	v_add_f64_e32 v[16:17], v[12:13], v[10:11]
	v_add_f64_e32 v[143:144], v[143:144], v[155:156]
	scratch_load_b128 v[10:13], off, off offset:304
	v_mul_f64_e32 v[145:146], v[2:3], v[20:21]
	v_mul_f64_e32 v[20:21], v[4:5], v[20:21]
	v_add_f64_e32 v[14:15], v[16:17], v[14:15]
	v_add_f64_e32 v[16:17], v[143:144], v[151:152]
	v_fma_f64 v[143:144], v[8:9], v[22:23], v[153:154]
	v_fma_f64 v[145:146], v[4:5], v[18:19], v[145:146]
	v_fma_f64 v[18:19], v[2:3], v[18:19], -v[20:21]
	ds_load_b128 v[2:5], v1 offset:1520
	v_fma_f64 v[22:23], v[6:7], v[22:23], -v[24:25]
	ds_load_b128 v[6:9], v1 offset:1536
	s_wait_loadcnt_dscnt 0x501
	v_mul_f64_e32 v[20:21], v[2:3], v[28:29]
	v_mul_f64_e32 v[28:29], v[4:5], v[28:29]
	s_wait_loadcnt_dscnt 0x400
	v_mul_f64_e32 v[24:25], v[8:9], v[32:33]
	v_add_f64_e32 v[16:17], v[16:17], v[145:146]
	v_add_f64_e32 v[14:15], v[14:15], v[18:19]
	v_mul_f64_e32 v[18:19], v[6:7], v[32:33]
	v_fma_f64 v[20:21], v[4:5], v[26:27], v[20:21]
	v_fma_f64 v[26:27], v[2:3], v[26:27], -v[28:29]
	ds_load_b128 v[2:5], v1 offset:1552
	v_fma_f64 v[24:25], v[6:7], v[30:31], -v[24:25]
	v_add_f64_e32 v[16:17], v[16:17], v[143:144]
	v_add_f64_e32 v[14:15], v[14:15], v[22:23]
	v_fma_f64 v[18:19], v[8:9], v[30:31], v[18:19]
	ds_load_b128 v[6:9], v1 offset:1568
	s_wait_loadcnt_dscnt 0x301
	v_mul_f64_e32 v[22:23], v[2:3], v[40:41]
	v_mul_f64_e32 v[28:29], v[4:5], v[40:41]
	v_add_f64_e32 v[16:17], v[16:17], v[20:21]
	v_add_f64_e32 v[14:15], v[14:15], v[26:27]
	s_wait_loadcnt_dscnt 0x200
	v_mul_f64_e32 v[20:21], v[6:7], v[149:150]
	v_mul_f64_e32 v[26:27], v[8:9], v[149:150]
	v_fma_f64 v[22:23], v[4:5], v[38:39], v[22:23]
	v_fma_f64 v[28:29], v[2:3], v[38:39], -v[28:29]
	ds_load_b128 v[2:5], v1 offset:1584
	v_add_f64_e32 v[16:17], v[16:17], v[18:19]
	v_add_f64_e32 v[14:15], v[14:15], v[24:25]
	s_wait_loadcnt_dscnt 0x100
	v_mul_f64_e32 v[18:19], v[2:3], v[36:37]
	v_mul_f64_e32 v[24:25], v[4:5], v[36:37]
	v_fma_f64 v[8:9], v[8:9], v[147:148], v[20:21]
	v_fma_f64 v[6:7], v[6:7], v[147:148], -v[26:27]
	v_add_f64_e32 v[16:17], v[16:17], v[22:23]
	v_add_f64_e32 v[14:15], v[14:15], v[28:29]
	v_fma_f64 v[4:5], v[4:5], v[34:35], v[18:19]
	v_fma_f64 v[2:3], v[2:3], v[34:35], -v[24:25]
	s_delay_alu instid0(VALU_DEP_4) | instskip(NEXT) | instid1(VALU_DEP_4)
	v_add_f64_e32 v[8:9], v[16:17], v[8:9]
	v_add_f64_e32 v[6:7], v[14:15], v[6:7]
	s_delay_alu instid0(VALU_DEP_2) | instskip(NEXT) | instid1(VALU_DEP_2)
	v_add_f64_e32 v[4:5], v[8:9], v[4:5]
	v_add_f64_e32 v[2:3], v[6:7], v[2:3]
	s_wait_loadcnt 0x0
	s_delay_alu instid0(VALU_DEP_2) | instskip(NEXT) | instid1(VALU_DEP_2)
	v_add_f64_e64 v[4:5], v[12:13], -v[4:5]
	v_add_f64_e64 v[2:3], v[10:11], -v[2:3]
	scratch_store_b128 off, v[2:5], off offset:304
	v_cmpx_lt_u32_e32 17, v0
	s_cbranch_execz .LBB49_279
; %bb.278:
	scratch_load_b128 v[5:8], off, s42
	v_dual_mov_b32 v2, v1 :: v_dual_mov_b32 v3, v1
	v_mov_b32_e32 v4, v1
	scratch_store_b128 off, v[1:4], off offset:288
	s_wait_loadcnt 0x0
	ds_store_b128 v142, v[5:8]
.LBB49_279:
	s_wait_alu 0xfffe
	s_or_b32 exec_lo, exec_lo, s0
	s_wait_storecnt_dscnt 0x0
	s_barrier_signal -1
	s_barrier_wait -1
	global_inv scope:SCOPE_SE
	s_clause 0x7
	scratch_load_b128 v[2:5], off, off offset:304
	scratch_load_b128 v[6:9], off, off offset:320
	;; [unrolled: 1-line block ×8, first 2 shown]
	ds_load_b128 v[34:37], v1 offset:1088
	ds_load_b128 v[143:146], v1 offset:1104
	s_clause 0x1
	scratch_load_b128 v[38:41], off, off offset:432
	scratch_load_b128 v[147:150], off, off offset:448
	s_mov_b32 s0, exec_lo
	s_wait_loadcnt_dscnt 0x901
	v_mul_f64_e32 v[151:152], v[36:37], v[4:5]
	v_mul_f64_e32 v[4:5], v[34:35], v[4:5]
	s_wait_loadcnt_dscnt 0x800
	v_mul_f64_e32 v[153:154], v[143:144], v[8:9]
	v_mul_f64_e32 v[8:9], v[145:146], v[8:9]
	s_delay_alu instid0(VALU_DEP_4) | instskip(NEXT) | instid1(VALU_DEP_4)
	v_fma_f64 v[151:152], v[34:35], v[2:3], -v[151:152]
	v_fma_f64 v[155:156], v[36:37], v[2:3], v[4:5]
	ds_load_b128 v[2:5], v1 offset:1120
	scratch_load_b128 v[34:37], off, off offset:464
	v_fma_f64 v[153:154], v[145:146], v[6:7], v[153:154]
	v_fma_f64 v[159:160], v[143:144], v[6:7], -v[8:9]
	ds_load_b128 v[6:9], v1 offset:1136
	scratch_load_b128 v[143:146], off, off offset:480
	s_wait_loadcnt_dscnt 0x901
	v_mul_f64_e32 v[157:158], v[2:3], v[12:13]
	v_mul_f64_e32 v[12:13], v[4:5], v[12:13]
	s_wait_loadcnt_dscnt 0x800
	v_mul_f64_e32 v[161:162], v[6:7], v[16:17]
	v_mul_f64_e32 v[16:17], v[8:9], v[16:17]
	v_add_f64_e32 v[151:152], 0, v[151:152]
	v_add_f64_e32 v[155:156], 0, v[155:156]
	v_fma_f64 v[157:158], v[4:5], v[10:11], v[157:158]
	v_fma_f64 v[163:164], v[2:3], v[10:11], -v[12:13]
	ds_load_b128 v[2:5], v1 offset:1152
	scratch_load_b128 v[10:13], off, off offset:496
	v_add_f64_e32 v[151:152], v[151:152], v[159:160]
	v_add_f64_e32 v[153:154], v[155:156], v[153:154]
	v_fma_f64 v[159:160], v[8:9], v[14:15], v[161:162]
	v_fma_f64 v[161:162], v[6:7], v[14:15], -v[16:17]
	ds_load_b128 v[6:9], v1 offset:1168
	scratch_load_b128 v[14:17], off, off offset:512
	s_wait_loadcnt_dscnt 0x901
	v_mul_f64_e32 v[155:156], v[2:3], v[20:21]
	v_mul_f64_e32 v[20:21], v[4:5], v[20:21]
	v_add_f64_e32 v[151:152], v[151:152], v[163:164]
	v_add_f64_e32 v[153:154], v[153:154], v[157:158]
	s_wait_loadcnt_dscnt 0x800
	v_mul_f64_e32 v[157:158], v[6:7], v[24:25]
	v_mul_f64_e32 v[24:25], v[8:9], v[24:25]
	v_fma_f64 v[155:156], v[4:5], v[18:19], v[155:156]
	v_fma_f64 v[163:164], v[2:3], v[18:19], -v[20:21]
	ds_load_b128 v[2:5], v1 offset:1184
	scratch_load_b128 v[18:21], off, off offset:528
	v_add_f64_e32 v[151:152], v[151:152], v[161:162]
	v_add_f64_e32 v[153:154], v[153:154], v[159:160]
	v_fma_f64 v[157:158], v[8:9], v[22:23], v[157:158]
	v_fma_f64 v[161:162], v[6:7], v[22:23], -v[24:25]
	ds_load_b128 v[6:9], v1 offset:1200
	s_wait_loadcnt_dscnt 0x801
	v_mul_f64_e32 v[159:160], v[2:3], v[28:29]
	v_mul_f64_e32 v[28:29], v[4:5], v[28:29]
	scratch_load_b128 v[22:25], off, off offset:544
	v_add_f64_e32 v[151:152], v[151:152], v[163:164]
	v_add_f64_e32 v[153:154], v[153:154], v[155:156]
	s_wait_loadcnt_dscnt 0x800
	v_mul_f64_e32 v[155:156], v[6:7], v[32:33]
	v_mul_f64_e32 v[32:33], v[8:9], v[32:33]
	v_fma_f64 v[159:160], v[4:5], v[26:27], v[159:160]
	v_fma_f64 v[163:164], v[2:3], v[26:27], -v[28:29]
	ds_load_b128 v[2:5], v1 offset:1216
	scratch_load_b128 v[26:29], off, off offset:560
	v_add_f64_e32 v[151:152], v[151:152], v[161:162]
	v_add_f64_e32 v[153:154], v[153:154], v[157:158]
	v_fma_f64 v[155:156], v[8:9], v[30:31], v[155:156]
	v_fma_f64 v[161:162], v[6:7], v[30:31], -v[32:33]
	ds_load_b128 v[6:9], v1 offset:1232
	s_wait_loadcnt_dscnt 0x801
	v_mul_f64_e32 v[157:158], v[2:3], v[40:41]
	v_mul_f64_e32 v[40:41], v[4:5], v[40:41]
	scratch_load_b128 v[30:33], off, off offset:576
	v_add_f64_e32 v[151:152], v[151:152], v[163:164]
	v_add_f64_e32 v[153:154], v[153:154], v[159:160]
	s_wait_loadcnt_dscnt 0x800
	v_mul_f64_e32 v[159:160], v[6:7], v[149:150]
	v_mul_f64_e32 v[149:150], v[8:9], v[149:150]
	v_fma_f64 v[157:158], v[4:5], v[38:39], v[157:158]
	v_fma_f64 v[163:164], v[2:3], v[38:39], -v[40:41]
	ds_load_b128 v[2:5], v1 offset:1248
	scratch_load_b128 v[38:41], off, off offset:592
	v_add_f64_e32 v[151:152], v[151:152], v[161:162]
	v_add_f64_e32 v[153:154], v[153:154], v[155:156]
	v_fma_f64 v[159:160], v[8:9], v[147:148], v[159:160]
	v_fma_f64 v[161:162], v[6:7], v[147:148], -v[149:150]
	ds_load_b128 v[6:9], v1 offset:1264
	scratch_load_b128 v[147:150], off, off offset:608
	s_wait_loadcnt_dscnt 0x901
	v_mul_f64_e32 v[155:156], v[2:3], v[36:37]
	v_mul_f64_e32 v[36:37], v[4:5], v[36:37]
	v_add_f64_e32 v[151:152], v[151:152], v[163:164]
	v_add_f64_e32 v[153:154], v[153:154], v[157:158]
	s_wait_loadcnt_dscnt 0x800
	v_mul_f64_e32 v[157:158], v[6:7], v[145:146]
	v_mul_f64_e32 v[145:146], v[8:9], v[145:146]
	v_fma_f64 v[155:156], v[4:5], v[34:35], v[155:156]
	v_fma_f64 v[163:164], v[2:3], v[34:35], -v[36:37]
	ds_load_b128 v[2:5], v1 offset:1280
	scratch_load_b128 v[34:37], off, off offset:624
	v_add_f64_e32 v[151:152], v[151:152], v[161:162]
	v_add_f64_e32 v[153:154], v[153:154], v[159:160]
	v_fma_f64 v[157:158], v[8:9], v[143:144], v[157:158]
	v_fma_f64 v[161:162], v[6:7], v[143:144], -v[145:146]
	ds_load_b128 v[6:9], v1 offset:1296
	s_wait_loadcnt_dscnt 0x801
	v_mul_f64_e32 v[159:160], v[2:3], v[12:13]
	v_mul_f64_e32 v[12:13], v[4:5], v[12:13]
	scratch_load_b128 v[143:146], off, off offset:640
	v_add_f64_e32 v[151:152], v[151:152], v[163:164]
	v_add_f64_e32 v[153:154], v[153:154], v[155:156]
	s_wait_loadcnt_dscnt 0x800
	v_mul_f64_e32 v[155:156], v[6:7], v[16:17]
	v_mul_f64_e32 v[16:17], v[8:9], v[16:17]
	v_fma_f64 v[159:160], v[4:5], v[10:11], v[159:160]
	v_fma_f64 v[163:164], v[2:3], v[10:11], -v[12:13]
	ds_load_b128 v[2:5], v1 offset:1312
	scratch_load_b128 v[10:13], off, off offset:656
	v_add_f64_e32 v[151:152], v[151:152], v[161:162]
	v_add_f64_e32 v[153:154], v[153:154], v[157:158]
	v_fma_f64 v[155:156], v[8:9], v[14:15], v[155:156]
	v_fma_f64 v[161:162], v[6:7], v[14:15], -v[16:17]
	ds_load_b128 v[6:9], v1 offset:1328
	s_wait_loadcnt_dscnt 0x801
	v_mul_f64_e32 v[157:158], v[2:3], v[20:21]
	v_mul_f64_e32 v[20:21], v[4:5], v[20:21]
	scratch_load_b128 v[14:17], off, off offset:672
	;; [unrolled: 18-line block ×6, first 2 shown]
	v_add_f64_e32 v[151:152], v[151:152], v[163:164]
	v_add_f64_e32 v[153:154], v[153:154], v[157:158]
	s_wait_loadcnt_dscnt 0x800
	v_mul_f64_e32 v[157:158], v[6:7], v[16:17]
	v_mul_f64_e32 v[16:17], v[8:9], v[16:17]
	v_fma_f64 v[155:156], v[4:5], v[10:11], v[155:156]
	v_fma_f64 v[10:11], v[2:3], v[10:11], -v[12:13]
	ds_load_b128 v[2:5], v1 offset:1472
	v_add_f64_e32 v[12:13], v[151:152], v[161:162]
	v_add_f64_e32 v[151:152], v[153:154], v[159:160]
	v_fma_f64 v[157:158], v[8:9], v[14:15], v[157:158]
	v_fma_f64 v[14:15], v[6:7], v[14:15], -v[16:17]
	ds_load_b128 v[6:9], v1 offset:1488
	s_wait_loadcnt_dscnt 0x701
	v_mul_f64_e32 v[153:154], v[2:3], v[20:21]
	v_mul_f64_e32 v[20:21], v[4:5], v[20:21]
	v_add_f64_e32 v[10:11], v[12:13], v[10:11]
	v_add_f64_e32 v[12:13], v[151:152], v[155:156]
	s_delay_alu instid0(VALU_DEP_4) | instskip(NEXT) | instid1(VALU_DEP_4)
	v_fma_f64 v[151:152], v[4:5], v[18:19], v[153:154]
	v_fma_f64 v[18:19], v[2:3], v[18:19], -v[20:21]
	ds_load_b128 v[2:5], v1 offset:1504
	v_add_f64_e32 v[14:15], v[10:11], v[14:15]
	v_add_f64_e32 v[20:21], v[12:13], v[157:158]
	scratch_load_b128 v[10:13], off, off offset:288
	s_wait_loadcnt_dscnt 0x701
	v_mul_f64_e32 v[16:17], v[6:7], v[24:25]
	v_mul_f64_e32 v[24:25], v[8:9], v[24:25]
	v_add_f64_e32 v[14:15], v[14:15], v[18:19]
	v_add_f64_e32 v[18:19], v[20:21], v[151:152]
	s_delay_alu instid0(VALU_DEP_4) | instskip(NEXT) | instid1(VALU_DEP_4)
	v_fma_f64 v[16:17], v[8:9], v[22:23], v[16:17]
	v_fma_f64 v[22:23], v[6:7], v[22:23], -v[24:25]
	ds_load_b128 v[6:9], v1 offset:1520
	s_wait_loadcnt_dscnt 0x601
	v_mul_f64_e32 v[153:154], v[2:3], v[28:29]
	v_mul_f64_e32 v[28:29], v[4:5], v[28:29]
	s_wait_loadcnt_dscnt 0x500
	v_mul_f64_e32 v[20:21], v[6:7], v[32:33]
	v_mul_f64_e32 v[24:25], v[8:9], v[32:33]
	v_add_f64_e32 v[16:17], v[18:19], v[16:17]
	v_add_f64_e32 v[14:15], v[14:15], v[22:23]
	v_fma_f64 v[32:33], v[4:5], v[26:27], v[153:154]
	v_fma_f64 v[26:27], v[2:3], v[26:27], -v[28:29]
	ds_load_b128 v[2:5], v1 offset:1536
	v_fma_f64 v[20:21], v[8:9], v[30:31], v[20:21]
	v_fma_f64 v[24:25], v[6:7], v[30:31], -v[24:25]
	ds_load_b128 v[6:9], v1 offset:1552
	s_wait_loadcnt_dscnt 0x401
	v_mul_f64_e32 v[18:19], v[2:3], v[40:41]
	v_mul_f64_e32 v[22:23], v[4:5], v[40:41]
	v_add_f64_e32 v[16:17], v[16:17], v[32:33]
	v_add_f64_e32 v[14:15], v[14:15], v[26:27]
	s_wait_loadcnt_dscnt 0x300
	v_mul_f64_e32 v[26:27], v[6:7], v[149:150]
	v_mul_f64_e32 v[28:29], v[8:9], v[149:150]
	v_fma_f64 v[18:19], v[4:5], v[38:39], v[18:19]
	v_fma_f64 v[22:23], v[2:3], v[38:39], -v[22:23]
	ds_load_b128 v[2:5], v1 offset:1568
	v_add_f64_e32 v[16:17], v[16:17], v[20:21]
	v_add_f64_e32 v[14:15], v[14:15], v[24:25]
	v_fma_f64 v[26:27], v[8:9], v[147:148], v[26:27]
	v_fma_f64 v[28:29], v[6:7], v[147:148], -v[28:29]
	ds_load_b128 v[6:9], v1 offset:1584
	s_wait_loadcnt_dscnt 0x201
	v_mul_f64_e32 v[20:21], v[2:3], v[36:37]
	v_mul_f64_e32 v[24:25], v[4:5], v[36:37]
	v_add_f64_e32 v[16:17], v[16:17], v[18:19]
	v_add_f64_e32 v[14:15], v[14:15], v[22:23]
	s_wait_loadcnt_dscnt 0x100
	v_mul_f64_e32 v[18:19], v[6:7], v[145:146]
	v_mul_f64_e32 v[22:23], v[8:9], v[145:146]
	v_fma_f64 v[4:5], v[4:5], v[34:35], v[20:21]
	v_fma_f64 v[1:2], v[2:3], v[34:35], -v[24:25]
	v_add_f64_e32 v[16:17], v[16:17], v[26:27]
	v_add_f64_e32 v[14:15], v[14:15], v[28:29]
	v_fma_f64 v[8:9], v[8:9], v[143:144], v[18:19]
	v_fma_f64 v[6:7], v[6:7], v[143:144], -v[22:23]
	s_delay_alu instid0(VALU_DEP_4) | instskip(NEXT) | instid1(VALU_DEP_4)
	v_add_f64_e32 v[3:4], v[16:17], v[4:5]
	v_add_f64_e32 v[1:2], v[14:15], v[1:2]
	s_delay_alu instid0(VALU_DEP_2) | instskip(NEXT) | instid1(VALU_DEP_2)
	v_add_f64_e32 v[3:4], v[3:4], v[8:9]
	v_add_f64_e32 v[1:2], v[1:2], v[6:7]
	s_wait_loadcnt 0x0
	s_delay_alu instid0(VALU_DEP_2) | instskip(NEXT) | instid1(VALU_DEP_2)
	v_add_f64_e64 v[3:4], v[12:13], -v[3:4]
	v_add_f64_e64 v[1:2], v[10:11], -v[1:2]
	scratch_store_b128 off, v[1:4], off offset:288
	v_cmpx_lt_u32_e32 16, v0
	s_cbranch_execz .LBB49_281
; %bb.280:
	scratch_load_b128 v[1:4], off, s41
	v_mov_b32_e32 v5, 0
	s_delay_alu instid0(VALU_DEP_1)
	v_dual_mov_b32 v6, v5 :: v_dual_mov_b32 v7, v5
	v_mov_b32_e32 v8, v5
	scratch_store_b128 off, v[5:8], off offset:272
	s_wait_loadcnt 0x0
	ds_store_b128 v142, v[1:4]
.LBB49_281:
	s_wait_alu 0xfffe
	s_or_b32 exec_lo, exec_lo, s0
	s_wait_storecnt_dscnt 0x0
	s_barrier_signal -1
	s_barrier_wait -1
	global_inv scope:SCOPE_SE
	s_clause 0x7
	scratch_load_b128 v[2:5], off, off offset:288
	scratch_load_b128 v[6:9], off, off offset:304
	;; [unrolled: 1-line block ×8, first 2 shown]
	v_mov_b32_e32 v1, 0
	s_clause 0x1
	scratch_load_b128 v[38:41], off, off offset:416
	scratch_load_b128 v[147:150], off, off offset:432
	s_mov_b32 s0, exec_lo
	ds_load_b128 v[34:37], v1 offset:1072
	ds_load_b128 v[143:146], v1 offset:1088
	s_wait_loadcnt_dscnt 0x901
	v_mul_f64_e32 v[151:152], v[36:37], v[4:5]
	v_mul_f64_e32 v[4:5], v[34:35], v[4:5]
	s_wait_loadcnt_dscnt 0x800
	v_mul_f64_e32 v[153:154], v[143:144], v[8:9]
	v_mul_f64_e32 v[8:9], v[145:146], v[8:9]
	s_delay_alu instid0(VALU_DEP_4) | instskip(NEXT) | instid1(VALU_DEP_4)
	v_fma_f64 v[151:152], v[34:35], v[2:3], -v[151:152]
	v_fma_f64 v[155:156], v[36:37], v[2:3], v[4:5]
	ds_load_b128 v[2:5], v1 offset:1104
	scratch_load_b128 v[34:37], off, off offset:448
	v_fma_f64 v[153:154], v[145:146], v[6:7], v[153:154]
	v_fma_f64 v[159:160], v[143:144], v[6:7], -v[8:9]
	ds_load_b128 v[6:9], v1 offset:1120
	scratch_load_b128 v[143:146], off, off offset:464
	s_wait_loadcnt_dscnt 0x901
	v_mul_f64_e32 v[157:158], v[2:3], v[12:13]
	v_mul_f64_e32 v[12:13], v[4:5], v[12:13]
	s_wait_loadcnt_dscnt 0x800
	v_mul_f64_e32 v[161:162], v[6:7], v[16:17]
	v_mul_f64_e32 v[16:17], v[8:9], v[16:17]
	v_add_f64_e32 v[151:152], 0, v[151:152]
	v_add_f64_e32 v[155:156], 0, v[155:156]
	v_fma_f64 v[157:158], v[4:5], v[10:11], v[157:158]
	v_fma_f64 v[163:164], v[2:3], v[10:11], -v[12:13]
	ds_load_b128 v[2:5], v1 offset:1136
	scratch_load_b128 v[10:13], off, off offset:480
	v_add_f64_e32 v[151:152], v[151:152], v[159:160]
	v_add_f64_e32 v[153:154], v[155:156], v[153:154]
	v_fma_f64 v[159:160], v[8:9], v[14:15], v[161:162]
	v_fma_f64 v[161:162], v[6:7], v[14:15], -v[16:17]
	ds_load_b128 v[6:9], v1 offset:1152
	scratch_load_b128 v[14:17], off, off offset:496
	s_wait_loadcnt_dscnt 0x901
	v_mul_f64_e32 v[155:156], v[2:3], v[20:21]
	v_mul_f64_e32 v[20:21], v[4:5], v[20:21]
	v_add_f64_e32 v[151:152], v[151:152], v[163:164]
	v_add_f64_e32 v[153:154], v[153:154], v[157:158]
	s_wait_loadcnt_dscnt 0x800
	v_mul_f64_e32 v[157:158], v[6:7], v[24:25]
	v_mul_f64_e32 v[24:25], v[8:9], v[24:25]
	v_fma_f64 v[155:156], v[4:5], v[18:19], v[155:156]
	v_fma_f64 v[163:164], v[2:3], v[18:19], -v[20:21]
	ds_load_b128 v[2:5], v1 offset:1168
	scratch_load_b128 v[18:21], off, off offset:512
	v_add_f64_e32 v[151:152], v[151:152], v[161:162]
	v_add_f64_e32 v[153:154], v[153:154], v[159:160]
	v_fma_f64 v[157:158], v[8:9], v[22:23], v[157:158]
	v_fma_f64 v[161:162], v[6:7], v[22:23], -v[24:25]
	ds_load_b128 v[6:9], v1 offset:1184
	s_wait_loadcnt_dscnt 0x801
	v_mul_f64_e32 v[159:160], v[2:3], v[28:29]
	v_mul_f64_e32 v[28:29], v[4:5], v[28:29]
	scratch_load_b128 v[22:25], off, off offset:528
	v_add_f64_e32 v[151:152], v[151:152], v[163:164]
	v_add_f64_e32 v[153:154], v[153:154], v[155:156]
	s_wait_loadcnt_dscnt 0x800
	v_mul_f64_e32 v[155:156], v[6:7], v[32:33]
	v_mul_f64_e32 v[32:33], v[8:9], v[32:33]
	v_fma_f64 v[159:160], v[4:5], v[26:27], v[159:160]
	v_fma_f64 v[163:164], v[2:3], v[26:27], -v[28:29]
	ds_load_b128 v[2:5], v1 offset:1200
	scratch_load_b128 v[26:29], off, off offset:544
	v_add_f64_e32 v[151:152], v[151:152], v[161:162]
	v_add_f64_e32 v[153:154], v[153:154], v[157:158]
	v_fma_f64 v[155:156], v[8:9], v[30:31], v[155:156]
	v_fma_f64 v[161:162], v[6:7], v[30:31], -v[32:33]
	ds_load_b128 v[6:9], v1 offset:1216
	s_wait_loadcnt_dscnt 0x801
	v_mul_f64_e32 v[157:158], v[2:3], v[40:41]
	v_mul_f64_e32 v[40:41], v[4:5], v[40:41]
	scratch_load_b128 v[30:33], off, off offset:560
	v_add_f64_e32 v[151:152], v[151:152], v[163:164]
	v_add_f64_e32 v[153:154], v[153:154], v[159:160]
	s_wait_loadcnt_dscnt 0x800
	v_mul_f64_e32 v[159:160], v[6:7], v[149:150]
	v_mul_f64_e32 v[149:150], v[8:9], v[149:150]
	v_fma_f64 v[157:158], v[4:5], v[38:39], v[157:158]
	v_fma_f64 v[163:164], v[2:3], v[38:39], -v[40:41]
	ds_load_b128 v[2:5], v1 offset:1232
	scratch_load_b128 v[38:41], off, off offset:576
	v_add_f64_e32 v[151:152], v[151:152], v[161:162]
	v_add_f64_e32 v[153:154], v[153:154], v[155:156]
	v_fma_f64 v[159:160], v[8:9], v[147:148], v[159:160]
	v_fma_f64 v[161:162], v[6:7], v[147:148], -v[149:150]
	ds_load_b128 v[6:9], v1 offset:1248
	scratch_load_b128 v[147:150], off, off offset:592
	s_wait_loadcnt_dscnt 0x901
	v_mul_f64_e32 v[155:156], v[2:3], v[36:37]
	v_mul_f64_e32 v[36:37], v[4:5], v[36:37]
	v_add_f64_e32 v[151:152], v[151:152], v[163:164]
	v_add_f64_e32 v[153:154], v[153:154], v[157:158]
	s_wait_loadcnt_dscnt 0x800
	v_mul_f64_e32 v[157:158], v[6:7], v[145:146]
	v_mul_f64_e32 v[145:146], v[8:9], v[145:146]
	v_fma_f64 v[155:156], v[4:5], v[34:35], v[155:156]
	v_fma_f64 v[163:164], v[2:3], v[34:35], -v[36:37]
	ds_load_b128 v[2:5], v1 offset:1264
	scratch_load_b128 v[34:37], off, off offset:608
	v_add_f64_e32 v[151:152], v[151:152], v[161:162]
	v_add_f64_e32 v[153:154], v[153:154], v[159:160]
	v_fma_f64 v[157:158], v[8:9], v[143:144], v[157:158]
	v_fma_f64 v[161:162], v[6:7], v[143:144], -v[145:146]
	ds_load_b128 v[6:9], v1 offset:1280
	s_wait_loadcnt_dscnt 0x801
	v_mul_f64_e32 v[159:160], v[2:3], v[12:13]
	v_mul_f64_e32 v[12:13], v[4:5], v[12:13]
	scratch_load_b128 v[143:146], off, off offset:624
	v_add_f64_e32 v[151:152], v[151:152], v[163:164]
	v_add_f64_e32 v[153:154], v[153:154], v[155:156]
	s_wait_loadcnt_dscnt 0x800
	v_mul_f64_e32 v[155:156], v[6:7], v[16:17]
	v_mul_f64_e32 v[16:17], v[8:9], v[16:17]
	v_fma_f64 v[159:160], v[4:5], v[10:11], v[159:160]
	v_fma_f64 v[163:164], v[2:3], v[10:11], -v[12:13]
	ds_load_b128 v[2:5], v1 offset:1296
	scratch_load_b128 v[10:13], off, off offset:640
	v_add_f64_e32 v[151:152], v[151:152], v[161:162]
	v_add_f64_e32 v[153:154], v[153:154], v[157:158]
	v_fma_f64 v[155:156], v[8:9], v[14:15], v[155:156]
	v_fma_f64 v[161:162], v[6:7], v[14:15], -v[16:17]
	ds_load_b128 v[6:9], v1 offset:1312
	s_wait_loadcnt_dscnt 0x801
	v_mul_f64_e32 v[157:158], v[2:3], v[20:21]
	v_mul_f64_e32 v[20:21], v[4:5], v[20:21]
	scratch_load_b128 v[14:17], off, off offset:656
	;; [unrolled: 18-line block ×6, first 2 shown]
	v_add_f64_e32 v[151:152], v[151:152], v[163:164]
	v_add_f64_e32 v[153:154], v[153:154], v[157:158]
	s_wait_loadcnt_dscnt 0x800
	v_mul_f64_e32 v[157:158], v[6:7], v[16:17]
	v_mul_f64_e32 v[16:17], v[8:9], v[16:17]
	v_fma_f64 v[155:156], v[4:5], v[10:11], v[155:156]
	v_fma_f64 v[163:164], v[2:3], v[10:11], -v[12:13]
	ds_load_b128 v[2:5], v1 offset:1456
	scratch_load_b128 v[10:13], off, off offset:800
	v_add_f64_e32 v[151:152], v[151:152], v[161:162]
	v_add_f64_e32 v[153:154], v[153:154], v[159:160]
	v_fma_f64 v[157:158], v[8:9], v[14:15], v[157:158]
	v_fma_f64 v[14:15], v[6:7], v[14:15], -v[16:17]
	ds_load_b128 v[6:9], v1 offset:1472
	s_wait_loadcnt_dscnt 0x801
	v_mul_f64_e32 v[159:160], v[2:3], v[20:21]
	v_mul_f64_e32 v[20:21], v[4:5], v[20:21]
	v_add_f64_e32 v[16:17], v[151:152], v[163:164]
	v_add_f64_e32 v[151:152], v[153:154], v[155:156]
	s_wait_loadcnt_dscnt 0x700
	v_mul_f64_e32 v[153:154], v[6:7], v[24:25]
	v_mul_f64_e32 v[24:25], v[8:9], v[24:25]
	v_fma_f64 v[155:156], v[4:5], v[18:19], v[159:160]
	v_fma_f64 v[18:19], v[2:3], v[18:19], -v[20:21]
	ds_load_b128 v[2:5], v1 offset:1488
	v_add_f64_e32 v[14:15], v[16:17], v[14:15]
	v_add_f64_e32 v[16:17], v[151:152], v[157:158]
	v_fma_f64 v[151:152], v[8:9], v[22:23], v[153:154]
	v_fma_f64 v[22:23], v[6:7], v[22:23], -v[24:25]
	ds_load_b128 v[6:9], v1 offset:1504
	s_wait_loadcnt_dscnt 0x500
	v_mul_f64_e32 v[153:154], v[6:7], v[32:33]
	v_mul_f64_e32 v[32:33], v[8:9], v[32:33]
	v_add_f64_e32 v[18:19], v[14:15], v[18:19]
	v_add_f64_e32 v[24:25], v[16:17], v[155:156]
	scratch_load_b128 v[14:17], off, off offset:272
	v_mul_f64_e32 v[20:21], v[2:3], v[28:29]
	v_mul_f64_e32 v[28:29], v[4:5], v[28:29]
	v_add_f64_e32 v[18:19], v[18:19], v[22:23]
	v_add_f64_e32 v[22:23], v[24:25], v[151:152]
	s_delay_alu instid0(VALU_DEP_4) | instskip(NEXT) | instid1(VALU_DEP_4)
	v_fma_f64 v[20:21], v[4:5], v[26:27], v[20:21]
	v_fma_f64 v[26:27], v[2:3], v[26:27], -v[28:29]
	ds_load_b128 v[2:5], v1 offset:1520
	s_wait_loadcnt_dscnt 0x500
	v_mul_f64_e32 v[24:25], v[2:3], v[40:41]
	v_mul_f64_e32 v[28:29], v[4:5], v[40:41]
	v_fma_f64 v[40:41], v[8:9], v[30:31], v[153:154]
	v_fma_f64 v[30:31], v[6:7], v[30:31], -v[32:33]
	ds_load_b128 v[6:9], v1 offset:1536
	v_add_f64_e32 v[20:21], v[22:23], v[20:21]
	v_add_f64_e32 v[18:19], v[18:19], v[26:27]
	v_fma_f64 v[24:25], v[4:5], v[38:39], v[24:25]
	v_fma_f64 v[28:29], v[2:3], v[38:39], -v[28:29]
	ds_load_b128 v[2:5], v1 offset:1552
	s_wait_loadcnt_dscnt 0x401
	v_mul_f64_e32 v[22:23], v[6:7], v[149:150]
	v_mul_f64_e32 v[26:27], v[8:9], v[149:150]
	v_add_f64_e32 v[20:21], v[20:21], v[40:41]
	v_add_f64_e32 v[18:19], v[18:19], v[30:31]
	s_wait_loadcnt_dscnt 0x300
	v_mul_f64_e32 v[30:31], v[2:3], v[36:37]
	v_mul_f64_e32 v[32:33], v[4:5], v[36:37]
	v_fma_f64 v[22:23], v[8:9], v[147:148], v[22:23]
	v_fma_f64 v[26:27], v[6:7], v[147:148], -v[26:27]
	ds_load_b128 v[6:9], v1 offset:1568
	v_add_f64_e32 v[20:21], v[20:21], v[24:25]
	v_add_f64_e32 v[18:19], v[18:19], v[28:29]
	v_fma_f64 v[30:31], v[4:5], v[34:35], v[30:31]
	v_fma_f64 v[32:33], v[2:3], v[34:35], -v[32:33]
	ds_load_b128 v[2:5], v1 offset:1584
	s_wait_loadcnt_dscnt 0x201
	v_mul_f64_e32 v[24:25], v[6:7], v[145:146]
	v_mul_f64_e32 v[28:29], v[8:9], v[145:146]
	v_add_f64_e32 v[20:21], v[20:21], v[22:23]
	v_add_f64_e32 v[18:19], v[18:19], v[26:27]
	s_wait_loadcnt_dscnt 0x100
	v_mul_f64_e32 v[22:23], v[2:3], v[12:13]
	v_mul_f64_e32 v[12:13], v[4:5], v[12:13]
	v_fma_f64 v[8:9], v[8:9], v[143:144], v[24:25]
	v_fma_f64 v[6:7], v[6:7], v[143:144], -v[28:29]
	v_add_f64_e32 v[20:21], v[20:21], v[30:31]
	v_add_f64_e32 v[18:19], v[18:19], v[32:33]
	v_fma_f64 v[4:5], v[4:5], v[10:11], v[22:23]
	v_fma_f64 v[2:3], v[2:3], v[10:11], -v[12:13]
	s_delay_alu instid0(VALU_DEP_4) | instskip(NEXT) | instid1(VALU_DEP_4)
	v_add_f64_e32 v[8:9], v[20:21], v[8:9]
	v_add_f64_e32 v[6:7], v[18:19], v[6:7]
	s_delay_alu instid0(VALU_DEP_2) | instskip(NEXT) | instid1(VALU_DEP_2)
	v_add_f64_e32 v[4:5], v[8:9], v[4:5]
	v_add_f64_e32 v[2:3], v[6:7], v[2:3]
	s_wait_loadcnt 0x0
	s_delay_alu instid0(VALU_DEP_2) | instskip(NEXT) | instid1(VALU_DEP_2)
	v_add_f64_e64 v[4:5], v[16:17], -v[4:5]
	v_add_f64_e64 v[2:3], v[14:15], -v[2:3]
	scratch_store_b128 off, v[2:5], off offset:272
	v_cmpx_lt_u32_e32 15, v0
	s_cbranch_execz .LBB49_283
; %bb.282:
	scratch_load_b128 v[5:8], off, s43
	v_dual_mov_b32 v2, v1 :: v_dual_mov_b32 v3, v1
	v_mov_b32_e32 v4, v1
	scratch_store_b128 off, v[1:4], off offset:256
	s_wait_loadcnt 0x0
	ds_store_b128 v142, v[5:8]
.LBB49_283:
	s_wait_alu 0xfffe
	s_or_b32 exec_lo, exec_lo, s0
	s_wait_storecnt_dscnt 0x0
	s_barrier_signal -1
	s_barrier_wait -1
	global_inv scope:SCOPE_SE
	s_clause 0x7
	scratch_load_b128 v[2:5], off, off offset:272
	scratch_load_b128 v[6:9], off, off offset:288
	;; [unrolled: 1-line block ×8, first 2 shown]
	ds_load_b128 v[38:41], v1 offset:1056
	ds_load_b128 v[143:146], v1 offset:1072
	s_clause 0x1
	scratch_load_b128 v[34:37], off, off offset:400
	scratch_load_b128 v[147:150], off, off offset:416
	s_mov_b32 s0, exec_lo
	s_wait_loadcnt_dscnt 0x901
	v_mul_f64_e32 v[151:152], v[40:41], v[4:5]
	v_mul_f64_e32 v[4:5], v[38:39], v[4:5]
	s_wait_loadcnt_dscnt 0x800
	v_mul_f64_e32 v[153:154], v[143:144], v[8:9]
	v_mul_f64_e32 v[8:9], v[145:146], v[8:9]
	s_delay_alu instid0(VALU_DEP_4) | instskip(NEXT) | instid1(VALU_DEP_4)
	v_fma_f64 v[151:152], v[38:39], v[2:3], -v[151:152]
	v_fma_f64 v[155:156], v[40:41], v[2:3], v[4:5]
	ds_load_b128 v[2:5], v1 offset:1088
	scratch_load_b128 v[38:41], off, off offset:432
	v_fma_f64 v[153:154], v[145:146], v[6:7], v[153:154]
	v_fma_f64 v[159:160], v[143:144], v[6:7], -v[8:9]
	ds_load_b128 v[6:9], v1 offset:1104
	scratch_load_b128 v[143:146], off, off offset:448
	s_wait_loadcnt_dscnt 0x901
	v_mul_f64_e32 v[157:158], v[2:3], v[12:13]
	v_mul_f64_e32 v[12:13], v[4:5], v[12:13]
	s_wait_loadcnt_dscnt 0x800
	v_mul_f64_e32 v[161:162], v[6:7], v[16:17]
	v_mul_f64_e32 v[16:17], v[8:9], v[16:17]
	v_add_f64_e32 v[151:152], 0, v[151:152]
	v_add_f64_e32 v[155:156], 0, v[155:156]
	v_fma_f64 v[157:158], v[4:5], v[10:11], v[157:158]
	v_fma_f64 v[163:164], v[2:3], v[10:11], -v[12:13]
	ds_load_b128 v[2:5], v1 offset:1120
	scratch_load_b128 v[10:13], off, off offset:464
	v_add_f64_e32 v[151:152], v[151:152], v[159:160]
	v_add_f64_e32 v[153:154], v[155:156], v[153:154]
	v_fma_f64 v[159:160], v[8:9], v[14:15], v[161:162]
	v_fma_f64 v[161:162], v[6:7], v[14:15], -v[16:17]
	ds_load_b128 v[6:9], v1 offset:1136
	scratch_load_b128 v[14:17], off, off offset:480
	s_wait_loadcnt_dscnt 0x901
	v_mul_f64_e32 v[155:156], v[2:3], v[20:21]
	v_mul_f64_e32 v[20:21], v[4:5], v[20:21]
	v_add_f64_e32 v[151:152], v[151:152], v[163:164]
	v_add_f64_e32 v[153:154], v[153:154], v[157:158]
	s_wait_loadcnt_dscnt 0x800
	v_mul_f64_e32 v[157:158], v[6:7], v[24:25]
	v_mul_f64_e32 v[24:25], v[8:9], v[24:25]
	v_fma_f64 v[155:156], v[4:5], v[18:19], v[155:156]
	v_fma_f64 v[163:164], v[2:3], v[18:19], -v[20:21]
	ds_load_b128 v[2:5], v1 offset:1152
	scratch_load_b128 v[18:21], off, off offset:496
	v_add_f64_e32 v[151:152], v[151:152], v[161:162]
	v_add_f64_e32 v[153:154], v[153:154], v[159:160]
	v_fma_f64 v[157:158], v[8:9], v[22:23], v[157:158]
	v_fma_f64 v[161:162], v[6:7], v[22:23], -v[24:25]
	ds_load_b128 v[6:9], v1 offset:1168
	s_wait_loadcnt_dscnt 0x801
	v_mul_f64_e32 v[159:160], v[2:3], v[28:29]
	v_mul_f64_e32 v[28:29], v[4:5], v[28:29]
	scratch_load_b128 v[22:25], off, off offset:512
	v_add_f64_e32 v[151:152], v[151:152], v[163:164]
	v_add_f64_e32 v[153:154], v[153:154], v[155:156]
	s_wait_loadcnt_dscnt 0x800
	v_mul_f64_e32 v[155:156], v[6:7], v[32:33]
	v_mul_f64_e32 v[32:33], v[8:9], v[32:33]
	v_fma_f64 v[159:160], v[4:5], v[26:27], v[159:160]
	v_fma_f64 v[163:164], v[2:3], v[26:27], -v[28:29]
	ds_load_b128 v[2:5], v1 offset:1184
	scratch_load_b128 v[26:29], off, off offset:528
	v_add_f64_e32 v[151:152], v[151:152], v[161:162]
	v_add_f64_e32 v[153:154], v[153:154], v[157:158]
	v_fma_f64 v[155:156], v[8:9], v[30:31], v[155:156]
	v_fma_f64 v[161:162], v[6:7], v[30:31], -v[32:33]
	ds_load_b128 v[6:9], v1 offset:1200
	s_wait_loadcnt_dscnt 0x801
	v_mul_f64_e32 v[157:158], v[2:3], v[36:37]
	v_mul_f64_e32 v[36:37], v[4:5], v[36:37]
	scratch_load_b128 v[30:33], off, off offset:544
	v_add_f64_e32 v[151:152], v[151:152], v[163:164]
	v_add_f64_e32 v[153:154], v[153:154], v[159:160]
	s_wait_loadcnt_dscnt 0x800
	v_mul_f64_e32 v[159:160], v[6:7], v[149:150]
	v_mul_f64_e32 v[149:150], v[8:9], v[149:150]
	v_fma_f64 v[157:158], v[4:5], v[34:35], v[157:158]
	v_fma_f64 v[163:164], v[2:3], v[34:35], -v[36:37]
	ds_load_b128 v[2:5], v1 offset:1216
	scratch_load_b128 v[34:37], off, off offset:560
	v_add_f64_e32 v[151:152], v[151:152], v[161:162]
	v_add_f64_e32 v[153:154], v[153:154], v[155:156]
	v_fma_f64 v[159:160], v[8:9], v[147:148], v[159:160]
	v_fma_f64 v[161:162], v[6:7], v[147:148], -v[149:150]
	ds_load_b128 v[6:9], v1 offset:1232
	scratch_load_b128 v[147:150], off, off offset:576
	s_wait_loadcnt_dscnt 0x901
	v_mul_f64_e32 v[155:156], v[2:3], v[40:41]
	v_mul_f64_e32 v[40:41], v[4:5], v[40:41]
	v_add_f64_e32 v[151:152], v[151:152], v[163:164]
	v_add_f64_e32 v[153:154], v[153:154], v[157:158]
	s_wait_loadcnt_dscnt 0x800
	v_mul_f64_e32 v[157:158], v[6:7], v[145:146]
	v_mul_f64_e32 v[145:146], v[8:9], v[145:146]
	v_fma_f64 v[155:156], v[4:5], v[38:39], v[155:156]
	v_fma_f64 v[163:164], v[2:3], v[38:39], -v[40:41]
	ds_load_b128 v[2:5], v1 offset:1248
	scratch_load_b128 v[38:41], off, off offset:592
	v_add_f64_e32 v[151:152], v[151:152], v[161:162]
	v_add_f64_e32 v[153:154], v[153:154], v[159:160]
	v_fma_f64 v[157:158], v[8:9], v[143:144], v[157:158]
	v_fma_f64 v[161:162], v[6:7], v[143:144], -v[145:146]
	ds_load_b128 v[6:9], v1 offset:1264
	s_wait_loadcnt_dscnt 0x801
	v_mul_f64_e32 v[159:160], v[2:3], v[12:13]
	v_mul_f64_e32 v[12:13], v[4:5], v[12:13]
	scratch_load_b128 v[143:146], off, off offset:608
	v_add_f64_e32 v[151:152], v[151:152], v[163:164]
	v_add_f64_e32 v[153:154], v[153:154], v[155:156]
	s_wait_loadcnt_dscnt 0x800
	v_mul_f64_e32 v[155:156], v[6:7], v[16:17]
	v_mul_f64_e32 v[16:17], v[8:9], v[16:17]
	v_fma_f64 v[159:160], v[4:5], v[10:11], v[159:160]
	v_fma_f64 v[163:164], v[2:3], v[10:11], -v[12:13]
	ds_load_b128 v[2:5], v1 offset:1280
	scratch_load_b128 v[10:13], off, off offset:624
	v_add_f64_e32 v[151:152], v[151:152], v[161:162]
	v_add_f64_e32 v[153:154], v[153:154], v[157:158]
	v_fma_f64 v[155:156], v[8:9], v[14:15], v[155:156]
	v_fma_f64 v[161:162], v[6:7], v[14:15], -v[16:17]
	ds_load_b128 v[6:9], v1 offset:1296
	s_wait_loadcnt_dscnt 0x801
	v_mul_f64_e32 v[157:158], v[2:3], v[20:21]
	v_mul_f64_e32 v[20:21], v[4:5], v[20:21]
	scratch_load_b128 v[14:17], off, off offset:640
	;; [unrolled: 18-line block ×7, first 2 shown]
	v_add_f64_e32 v[151:152], v[151:152], v[163:164]
	v_add_f64_e32 v[153:154], v[153:154], v[155:156]
	s_wait_loadcnt_dscnt 0x800
	v_mul_f64_e32 v[155:156], v[6:7], v[24:25]
	v_mul_f64_e32 v[24:25], v[8:9], v[24:25]
	v_fma_f64 v[159:160], v[4:5], v[18:19], v[159:160]
	v_fma_f64 v[18:19], v[2:3], v[18:19], -v[20:21]
	ds_load_b128 v[2:5], v1 offset:1472
	v_add_f64_e32 v[20:21], v[151:152], v[161:162]
	v_add_f64_e32 v[151:152], v[153:154], v[157:158]
	v_fma_f64 v[155:156], v[8:9], v[22:23], v[155:156]
	v_fma_f64 v[22:23], v[6:7], v[22:23], -v[24:25]
	ds_load_b128 v[6:9], v1 offset:1488
	s_wait_loadcnt_dscnt 0x701
	v_mul_f64_e32 v[153:154], v[2:3], v[28:29]
	v_mul_f64_e32 v[28:29], v[4:5], v[28:29]
	v_add_f64_e32 v[18:19], v[20:21], v[18:19]
	v_add_f64_e32 v[20:21], v[151:152], v[159:160]
	s_delay_alu instid0(VALU_DEP_4) | instskip(NEXT) | instid1(VALU_DEP_4)
	v_fma_f64 v[151:152], v[4:5], v[26:27], v[153:154]
	v_fma_f64 v[26:27], v[2:3], v[26:27], -v[28:29]
	ds_load_b128 v[2:5], v1 offset:1504
	v_add_f64_e32 v[22:23], v[18:19], v[22:23]
	v_add_f64_e32 v[28:29], v[20:21], v[155:156]
	scratch_load_b128 v[18:21], off, off offset:256
	s_wait_loadcnt_dscnt 0x701
	v_mul_f64_e32 v[24:25], v[6:7], v[32:33]
	v_mul_f64_e32 v[32:33], v[8:9], v[32:33]
	v_add_f64_e32 v[22:23], v[22:23], v[26:27]
	v_add_f64_e32 v[26:27], v[28:29], v[151:152]
	s_delay_alu instid0(VALU_DEP_4) | instskip(NEXT) | instid1(VALU_DEP_4)
	v_fma_f64 v[24:25], v[8:9], v[30:31], v[24:25]
	v_fma_f64 v[30:31], v[6:7], v[30:31], -v[32:33]
	ds_load_b128 v[6:9], v1 offset:1520
	s_wait_loadcnt_dscnt 0x601
	v_mul_f64_e32 v[153:154], v[2:3], v[36:37]
	v_mul_f64_e32 v[36:37], v[4:5], v[36:37]
	s_wait_loadcnt_dscnt 0x500
	v_mul_f64_e32 v[28:29], v[6:7], v[149:150]
	v_mul_f64_e32 v[32:33], v[8:9], v[149:150]
	v_add_f64_e32 v[24:25], v[26:27], v[24:25]
	v_add_f64_e32 v[22:23], v[22:23], v[30:31]
	v_fma_f64 v[149:150], v[4:5], v[34:35], v[153:154]
	v_fma_f64 v[34:35], v[2:3], v[34:35], -v[36:37]
	ds_load_b128 v[2:5], v1 offset:1536
	v_fma_f64 v[28:29], v[8:9], v[147:148], v[28:29]
	v_fma_f64 v[32:33], v[6:7], v[147:148], -v[32:33]
	ds_load_b128 v[6:9], v1 offset:1552
	s_wait_loadcnt_dscnt 0x401
	v_mul_f64_e32 v[26:27], v[2:3], v[40:41]
	v_mul_f64_e32 v[30:31], v[4:5], v[40:41]
	v_add_f64_e32 v[24:25], v[24:25], v[149:150]
	v_add_f64_e32 v[22:23], v[22:23], v[34:35]
	s_wait_loadcnt_dscnt 0x300
	v_mul_f64_e32 v[34:35], v[6:7], v[145:146]
	v_mul_f64_e32 v[36:37], v[8:9], v[145:146]
	v_fma_f64 v[26:27], v[4:5], v[38:39], v[26:27]
	v_fma_f64 v[30:31], v[2:3], v[38:39], -v[30:31]
	ds_load_b128 v[2:5], v1 offset:1568
	v_add_f64_e32 v[24:25], v[24:25], v[28:29]
	v_add_f64_e32 v[22:23], v[22:23], v[32:33]
	v_fma_f64 v[32:33], v[8:9], v[143:144], v[34:35]
	v_fma_f64 v[34:35], v[6:7], v[143:144], -v[36:37]
	ds_load_b128 v[6:9], v1 offset:1584
	s_wait_loadcnt_dscnt 0x201
	v_mul_f64_e32 v[28:29], v[2:3], v[12:13]
	v_mul_f64_e32 v[12:13], v[4:5], v[12:13]
	v_add_f64_e32 v[24:25], v[24:25], v[26:27]
	v_add_f64_e32 v[22:23], v[22:23], v[30:31]
	s_wait_loadcnt_dscnt 0x100
	v_mul_f64_e32 v[26:27], v[6:7], v[16:17]
	v_mul_f64_e32 v[16:17], v[8:9], v[16:17]
	v_fma_f64 v[4:5], v[4:5], v[10:11], v[28:29]
	v_fma_f64 v[1:2], v[2:3], v[10:11], -v[12:13]
	v_add_f64_e32 v[12:13], v[24:25], v[32:33]
	v_add_f64_e32 v[10:11], v[22:23], v[34:35]
	v_fma_f64 v[8:9], v[8:9], v[14:15], v[26:27]
	v_fma_f64 v[6:7], v[6:7], v[14:15], -v[16:17]
	s_delay_alu instid0(VALU_DEP_4) | instskip(NEXT) | instid1(VALU_DEP_4)
	v_add_f64_e32 v[3:4], v[12:13], v[4:5]
	v_add_f64_e32 v[1:2], v[10:11], v[1:2]
	s_delay_alu instid0(VALU_DEP_2) | instskip(NEXT) | instid1(VALU_DEP_2)
	v_add_f64_e32 v[3:4], v[3:4], v[8:9]
	v_add_f64_e32 v[1:2], v[1:2], v[6:7]
	s_wait_loadcnt 0x0
	s_delay_alu instid0(VALU_DEP_2) | instskip(NEXT) | instid1(VALU_DEP_2)
	v_add_f64_e64 v[3:4], v[20:21], -v[3:4]
	v_add_f64_e64 v[1:2], v[18:19], -v[1:2]
	scratch_store_b128 off, v[1:4], off offset:256
	v_cmpx_lt_u32_e32 14, v0
	s_cbranch_execz .LBB49_285
; %bb.284:
	scratch_load_b128 v[1:4], off, s45
	v_mov_b32_e32 v5, 0
	s_delay_alu instid0(VALU_DEP_1)
	v_dual_mov_b32 v6, v5 :: v_dual_mov_b32 v7, v5
	v_mov_b32_e32 v8, v5
	scratch_store_b128 off, v[5:8], off offset:240
	s_wait_loadcnt 0x0
	ds_store_b128 v142, v[1:4]
.LBB49_285:
	s_wait_alu 0xfffe
	s_or_b32 exec_lo, exec_lo, s0
	s_wait_storecnt_dscnt 0x0
	s_barrier_signal -1
	s_barrier_wait -1
	global_inv scope:SCOPE_SE
	s_clause 0x7
	scratch_load_b128 v[2:5], off, off offset:256
	scratch_load_b128 v[6:9], off, off offset:272
	;; [unrolled: 1-line block ×8, first 2 shown]
	v_mov_b32_e32 v1, 0
	s_clause 0x1
	scratch_load_b128 v[34:37], off, off offset:384
	scratch_load_b128 v[147:150], off, off offset:400
	s_mov_b32 s0, exec_lo
	ds_load_b128 v[38:41], v1 offset:1040
	ds_load_b128 v[143:146], v1 offset:1056
	s_wait_loadcnt_dscnt 0x901
	v_mul_f64_e32 v[151:152], v[40:41], v[4:5]
	v_mul_f64_e32 v[4:5], v[38:39], v[4:5]
	s_wait_loadcnt_dscnt 0x800
	v_mul_f64_e32 v[153:154], v[143:144], v[8:9]
	v_mul_f64_e32 v[8:9], v[145:146], v[8:9]
	s_delay_alu instid0(VALU_DEP_4) | instskip(NEXT) | instid1(VALU_DEP_4)
	v_fma_f64 v[151:152], v[38:39], v[2:3], -v[151:152]
	v_fma_f64 v[155:156], v[40:41], v[2:3], v[4:5]
	ds_load_b128 v[2:5], v1 offset:1072
	scratch_load_b128 v[38:41], off, off offset:416
	v_fma_f64 v[153:154], v[145:146], v[6:7], v[153:154]
	v_fma_f64 v[159:160], v[143:144], v[6:7], -v[8:9]
	ds_load_b128 v[6:9], v1 offset:1088
	scratch_load_b128 v[143:146], off, off offset:432
	s_wait_loadcnt_dscnt 0x901
	v_mul_f64_e32 v[157:158], v[2:3], v[12:13]
	v_mul_f64_e32 v[12:13], v[4:5], v[12:13]
	s_wait_loadcnt_dscnt 0x800
	v_mul_f64_e32 v[161:162], v[6:7], v[16:17]
	v_mul_f64_e32 v[16:17], v[8:9], v[16:17]
	v_add_f64_e32 v[151:152], 0, v[151:152]
	v_add_f64_e32 v[155:156], 0, v[155:156]
	v_fma_f64 v[157:158], v[4:5], v[10:11], v[157:158]
	v_fma_f64 v[163:164], v[2:3], v[10:11], -v[12:13]
	ds_load_b128 v[2:5], v1 offset:1104
	scratch_load_b128 v[10:13], off, off offset:448
	v_add_f64_e32 v[151:152], v[151:152], v[159:160]
	v_add_f64_e32 v[153:154], v[155:156], v[153:154]
	v_fma_f64 v[159:160], v[8:9], v[14:15], v[161:162]
	v_fma_f64 v[161:162], v[6:7], v[14:15], -v[16:17]
	ds_load_b128 v[6:9], v1 offset:1120
	scratch_load_b128 v[14:17], off, off offset:464
	s_wait_loadcnt_dscnt 0x901
	v_mul_f64_e32 v[155:156], v[2:3], v[20:21]
	v_mul_f64_e32 v[20:21], v[4:5], v[20:21]
	v_add_f64_e32 v[151:152], v[151:152], v[163:164]
	v_add_f64_e32 v[153:154], v[153:154], v[157:158]
	s_wait_loadcnt_dscnt 0x800
	v_mul_f64_e32 v[157:158], v[6:7], v[24:25]
	v_mul_f64_e32 v[24:25], v[8:9], v[24:25]
	v_fma_f64 v[155:156], v[4:5], v[18:19], v[155:156]
	v_fma_f64 v[163:164], v[2:3], v[18:19], -v[20:21]
	ds_load_b128 v[2:5], v1 offset:1136
	scratch_load_b128 v[18:21], off, off offset:480
	v_add_f64_e32 v[151:152], v[151:152], v[161:162]
	v_add_f64_e32 v[153:154], v[153:154], v[159:160]
	v_fma_f64 v[157:158], v[8:9], v[22:23], v[157:158]
	v_fma_f64 v[161:162], v[6:7], v[22:23], -v[24:25]
	ds_load_b128 v[6:9], v1 offset:1152
	s_wait_loadcnt_dscnt 0x801
	v_mul_f64_e32 v[159:160], v[2:3], v[28:29]
	v_mul_f64_e32 v[28:29], v[4:5], v[28:29]
	scratch_load_b128 v[22:25], off, off offset:496
	v_add_f64_e32 v[151:152], v[151:152], v[163:164]
	v_add_f64_e32 v[153:154], v[153:154], v[155:156]
	s_wait_loadcnt_dscnt 0x800
	v_mul_f64_e32 v[155:156], v[6:7], v[32:33]
	v_mul_f64_e32 v[32:33], v[8:9], v[32:33]
	v_fma_f64 v[159:160], v[4:5], v[26:27], v[159:160]
	v_fma_f64 v[163:164], v[2:3], v[26:27], -v[28:29]
	ds_load_b128 v[2:5], v1 offset:1168
	scratch_load_b128 v[26:29], off, off offset:512
	v_add_f64_e32 v[151:152], v[151:152], v[161:162]
	v_add_f64_e32 v[153:154], v[153:154], v[157:158]
	v_fma_f64 v[155:156], v[8:9], v[30:31], v[155:156]
	v_fma_f64 v[161:162], v[6:7], v[30:31], -v[32:33]
	ds_load_b128 v[6:9], v1 offset:1184
	s_wait_loadcnt_dscnt 0x801
	v_mul_f64_e32 v[157:158], v[2:3], v[36:37]
	v_mul_f64_e32 v[36:37], v[4:5], v[36:37]
	scratch_load_b128 v[30:33], off, off offset:528
	v_add_f64_e32 v[151:152], v[151:152], v[163:164]
	v_add_f64_e32 v[153:154], v[153:154], v[159:160]
	s_wait_loadcnt_dscnt 0x800
	v_mul_f64_e32 v[159:160], v[6:7], v[149:150]
	v_mul_f64_e32 v[149:150], v[8:9], v[149:150]
	v_fma_f64 v[157:158], v[4:5], v[34:35], v[157:158]
	v_fma_f64 v[163:164], v[2:3], v[34:35], -v[36:37]
	ds_load_b128 v[2:5], v1 offset:1200
	scratch_load_b128 v[34:37], off, off offset:544
	v_add_f64_e32 v[151:152], v[151:152], v[161:162]
	v_add_f64_e32 v[153:154], v[153:154], v[155:156]
	v_fma_f64 v[159:160], v[8:9], v[147:148], v[159:160]
	v_fma_f64 v[161:162], v[6:7], v[147:148], -v[149:150]
	ds_load_b128 v[6:9], v1 offset:1216
	scratch_load_b128 v[147:150], off, off offset:560
	s_wait_loadcnt_dscnt 0x901
	v_mul_f64_e32 v[155:156], v[2:3], v[40:41]
	v_mul_f64_e32 v[40:41], v[4:5], v[40:41]
	v_add_f64_e32 v[151:152], v[151:152], v[163:164]
	v_add_f64_e32 v[153:154], v[153:154], v[157:158]
	s_wait_loadcnt_dscnt 0x800
	v_mul_f64_e32 v[157:158], v[6:7], v[145:146]
	v_mul_f64_e32 v[145:146], v[8:9], v[145:146]
	v_fma_f64 v[155:156], v[4:5], v[38:39], v[155:156]
	v_fma_f64 v[163:164], v[2:3], v[38:39], -v[40:41]
	ds_load_b128 v[2:5], v1 offset:1232
	scratch_load_b128 v[38:41], off, off offset:576
	v_add_f64_e32 v[151:152], v[151:152], v[161:162]
	v_add_f64_e32 v[153:154], v[153:154], v[159:160]
	v_fma_f64 v[157:158], v[8:9], v[143:144], v[157:158]
	v_fma_f64 v[161:162], v[6:7], v[143:144], -v[145:146]
	ds_load_b128 v[6:9], v1 offset:1248
	s_wait_loadcnt_dscnt 0x801
	v_mul_f64_e32 v[159:160], v[2:3], v[12:13]
	v_mul_f64_e32 v[12:13], v[4:5], v[12:13]
	scratch_load_b128 v[143:146], off, off offset:592
	v_add_f64_e32 v[151:152], v[151:152], v[163:164]
	v_add_f64_e32 v[153:154], v[153:154], v[155:156]
	s_wait_loadcnt_dscnt 0x800
	v_mul_f64_e32 v[155:156], v[6:7], v[16:17]
	v_mul_f64_e32 v[16:17], v[8:9], v[16:17]
	v_fma_f64 v[159:160], v[4:5], v[10:11], v[159:160]
	v_fma_f64 v[163:164], v[2:3], v[10:11], -v[12:13]
	ds_load_b128 v[2:5], v1 offset:1264
	scratch_load_b128 v[10:13], off, off offset:608
	v_add_f64_e32 v[151:152], v[151:152], v[161:162]
	v_add_f64_e32 v[153:154], v[153:154], v[157:158]
	v_fma_f64 v[155:156], v[8:9], v[14:15], v[155:156]
	v_fma_f64 v[161:162], v[6:7], v[14:15], -v[16:17]
	ds_load_b128 v[6:9], v1 offset:1280
	s_wait_loadcnt_dscnt 0x801
	v_mul_f64_e32 v[157:158], v[2:3], v[20:21]
	v_mul_f64_e32 v[20:21], v[4:5], v[20:21]
	scratch_load_b128 v[14:17], off, off offset:624
	;; [unrolled: 18-line block ×7, first 2 shown]
	v_add_f64_e32 v[151:152], v[151:152], v[163:164]
	v_add_f64_e32 v[153:154], v[153:154], v[155:156]
	s_wait_loadcnt_dscnt 0x800
	v_mul_f64_e32 v[155:156], v[6:7], v[24:25]
	v_mul_f64_e32 v[24:25], v[8:9], v[24:25]
	v_fma_f64 v[159:160], v[4:5], v[18:19], v[159:160]
	v_fma_f64 v[163:164], v[2:3], v[18:19], -v[20:21]
	ds_load_b128 v[2:5], v1 offset:1456
	scratch_load_b128 v[18:21], off, off offset:800
	v_add_f64_e32 v[151:152], v[151:152], v[161:162]
	v_add_f64_e32 v[153:154], v[153:154], v[157:158]
	v_fma_f64 v[155:156], v[8:9], v[22:23], v[155:156]
	v_fma_f64 v[22:23], v[6:7], v[22:23], -v[24:25]
	ds_load_b128 v[6:9], v1 offset:1472
	s_wait_loadcnt_dscnt 0x801
	v_mul_f64_e32 v[157:158], v[2:3], v[28:29]
	v_mul_f64_e32 v[28:29], v[4:5], v[28:29]
	v_add_f64_e32 v[24:25], v[151:152], v[163:164]
	v_add_f64_e32 v[151:152], v[153:154], v[159:160]
	s_wait_loadcnt_dscnt 0x700
	v_mul_f64_e32 v[153:154], v[6:7], v[32:33]
	v_mul_f64_e32 v[32:33], v[8:9], v[32:33]
	v_fma_f64 v[157:158], v[4:5], v[26:27], v[157:158]
	v_fma_f64 v[26:27], v[2:3], v[26:27], -v[28:29]
	ds_load_b128 v[2:5], v1 offset:1488
	v_add_f64_e32 v[22:23], v[24:25], v[22:23]
	v_add_f64_e32 v[24:25], v[151:152], v[155:156]
	v_fma_f64 v[151:152], v[8:9], v[30:31], v[153:154]
	v_fma_f64 v[30:31], v[6:7], v[30:31], -v[32:33]
	ds_load_b128 v[6:9], v1 offset:1504
	s_wait_loadcnt_dscnt 0x500
	v_mul_f64_e32 v[153:154], v[6:7], v[149:150]
	v_mul_f64_e32 v[149:150], v[8:9], v[149:150]
	v_add_f64_e32 v[26:27], v[22:23], v[26:27]
	v_add_f64_e32 v[32:33], v[24:25], v[157:158]
	scratch_load_b128 v[22:25], off, off offset:240
	v_mul_f64_e32 v[28:29], v[2:3], v[36:37]
	v_mul_f64_e32 v[36:37], v[4:5], v[36:37]
	v_add_f64_e32 v[26:27], v[26:27], v[30:31]
	v_add_f64_e32 v[30:31], v[32:33], v[151:152]
	s_delay_alu instid0(VALU_DEP_4) | instskip(NEXT) | instid1(VALU_DEP_4)
	v_fma_f64 v[28:29], v[4:5], v[34:35], v[28:29]
	v_fma_f64 v[34:35], v[2:3], v[34:35], -v[36:37]
	ds_load_b128 v[2:5], v1 offset:1520
	s_wait_loadcnt_dscnt 0x500
	v_mul_f64_e32 v[32:33], v[2:3], v[40:41]
	v_mul_f64_e32 v[36:37], v[4:5], v[40:41]
	v_fma_f64 v[40:41], v[8:9], v[147:148], v[153:154]
	v_fma_f64 v[147:148], v[6:7], v[147:148], -v[149:150]
	ds_load_b128 v[6:9], v1 offset:1536
	v_add_f64_e32 v[28:29], v[30:31], v[28:29]
	v_add_f64_e32 v[26:27], v[26:27], v[34:35]
	v_fma_f64 v[32:33], v[4:5], v[38:39], v[32:33]
	v_fma_f64 v[36:37], v[2:3], v[38:39], -v[36:37]
	ds_load_b128 v[2:5], v1 offset:1552
	s_wait_loadcnt_dscnt 0x401
	v_mul_f64_e32 v[30:31], v[6:7], v[145:146]
	v_mul_f64_e32 v[34:35], v[8:9], v[145:146]
	v_add_f64_e32 v[28:29], v[28:29], v[40:41]
	v_add_f64_e32 v[26:27], v[26:27], v[147:148]
	s_wait_loadcnt_dscnt 0x300
	v_mul_f64_e32 v[38:39], v[2:3], v[12:13]
	v_mul_f64_e32 v[12:13], v[4:5], v[12:13]
	v_fma_f64 v[30:31], v[8:9], v[143:144], v[30:31]
	v_fma_f64 v[34:35], v[6:7], v[143:144], -v[34:35]
	ds_load_b128 v[6:9], v1 offset:1568
	v_add_f64_e32 v[28:29], v[28:29], v[32:33]
	v_add_f64_e32 v[26:27], v[26:27], v[36:37]
	v_fma_f64 v[36:37], v[4:5], v[10:11], v[38:39]
	v_fma_f64 v[10:11], v[2:3], v[10:11], -v[12:13]
	ds_load_b128 v[2:5], v1 offset:1584
	s_wait_loadcnt_dscnt 0x201
	v_mul_f64_e32 v[32:33], v[6:7], v[16:17]
	v_mul_f64_e32 v[16:17], v[8:9], v[16:17]
	v_add_f64_e32 v[12:13], v[26:27], v[34:35]
	v_add_f64_e32 v[26:27], v[28:29], v[30:31]
	s_wait_loadcnt_dscnt 0x100
	v_mul_f64_e32 v[28:29], v[2:3], v[20:21]
	v_mul_f64_e32 v[20:21], v[4:5], v[20:21]
	v_fma_f64 v[8:9], v[8:9], v[14:15], v[32:33]
	v_fma_f64 v[6:7], v[6:7], v[14:15], -v[16:17]
	v_add_f64_e32 v[10:11], v[12:13], v[10:11]
	v_add_f64_e32 v[12:13], v[26:27], v[36:37]
	v_fma_f64 v[4:5], v[4:5], v[18:19], v[28:29]
	v_fma_f64 v[2:3], v[2:3], v[18:19], -v[20:21]
	s_delay_alu instid0(VALU_DEP_4) | instskip(NEXT) | instid1(VALU_DEP_4)
	v_add_f64_e32 v[6:7], v[10:11], v[6:7]
	v_add_f64_e32 v[8:9], v[12:13], v[8:9]
	s_delay_alu instid0(VALU_DEP_2) | instskip(NEXT) | instid1(VALU_DEP_2)
	v_add_f64_e32 v[2:3], v[6:7], v[2:3]
	v_add_f64_e32 v[4:5], v[8:9], v[4:5]
	s_wait_loadcnt 0x0
	s_delay_alu instid0(VALU_DEP_2) | instskip(NEXT) | instid1(VALU_DEP_2)
	v_add_f64_e64 v[2:3], v[22:23], -v[2:3]
	v_add_f64_e64 v[4:5], v[24:25], -v[4:5]
	scratch_store_b128 off, v[2:5], off offset:240
	v_cmpx_lt_u32_e32 13, v0
	s_cbranch_execz .LBB49_287
; %bb.286:
	scratch_load_b128 v[5:8], off, s50
	v_dual_mov_b32 v2, v1 :: v_dual_mov_b32 v3, v1
	v_mov_b32_e32 v4, v1
	scratch_store_b128 off, v[1:4], off offset:224
	s_wait_loadcnt 0x0
	ds_store_b128 v142, v[5:8]
.LBB49_287:
	s_wait_alu 0xfffe
	s_or_b32 exec_lo, exec_lo, s0
	s_wait_storecnt_dscnt 0x0
	s_barrier_signal -1
	s_barrier_wait -1
	global_inv scope:SCOPE_SE
	s_clause 0x7
	scratch_load_b128 v[2:5], off, off offset:240
	scratch_load_b128 v[6:9], off, off offset:256
	;; [unrolled: 1-line block ×8, first 2 shown]
	ds_load_b128 v[38:41], v1 offset:1024
	ds_load_b128 v[143:146], v1 offset:1040
	s_clause 0x1
	scratch_load_b128 v[34:37], off, off offset:368
	scratch_load_b128 v[147:150], off, off offset:384
	s_mov_b32 s0, exec_lo
	s_wait_loadcnt_dscnt 0x901
	v_mul_f64_e32 v[151:152], v[40:41], v[4:5]
	v_mul_f64_e32 v[4:5], v[38:39], v[4:5]
	s_wait_loadcnt_dscnt 0x800
	v_mul_f64_e32 v[153:154], v[143:144], v[8:9]
	v_mul_f64_e32 v[8:9], v[145:146], v[8:9]
	s_delay_alu instid0(VALU_DEP_4) | instskip(NEXT) | instid1(VALU_DEP_4)
	v_fma_f64 v[151:152], v[38:39], v[2:3], -v[151:152]
	v_fma_f64 v[155:156], v[40:41], v[2:3], v[4:5]
	ds_load_b128 v[2:5], v1 offset:1056
	scratch_load_b128 v[38:41], off, off offset:400
	v_fma_f64 v[153:154], v[145:146], v[6:7], v[153:154]
	v_fma_f64 v[159:160], v[143:144], v[6:7], -v[8:9]
	ds_load_b128 v[6:9], v1 offset:1072
	scratch_load_b128 v[143:146], off, off offset:416
	s_wait_loadcnt_dscnt 0x901
	v_mul_f64_e32 v[157:158], v[2:3], v[12:13]
	v_mul_f64_e32 v[12:13], v[4:5], v[12:13]
	s_wait_loadcnt_dscnt 0x800
	v_mul_f64_e32 v[161:162], v[6:7], v[16:17]
	v_mul_f64_e32 v[16:17], v[8:9], v[16:17]
	v_add_f64_e32 v[151:152], 0, v[151:152]
	v_add_f64_e32 v[155:156], 0, v[155:156]
	v_fma_f64 v[157:158], v[4:5], v[10:11], v[157:158]
	v_fma_f64 v[163:164], v[2:3], v[10:11], -v[12:13]
	ds_load_b128 v[2:5], v1 offset:1088
	scratch_load_b128 v[10:13], off, off offset:432
	v_add_f64_e32 v[151:152], v[151:152], v[159:160]
	v_add_f64_e32 v[153:154], v[155:156], v[153:154]
	v_fma_f64 v[159:160], v[8:9], v[14:15], v[161:162]
	v_fma_f64 v[161:162], v[6:7], v[14:15], -v[16:17]
	ds_load_b128 v[6:9], v1 offset:1104
	scratch_load_b128 v[14:17], off, off offset:448
	s_wait_loadcnt_dscnt 0x901
	v_mul_f64_e32 v[155:156], v[2:3], v[20:21]
	v_mul_f64_e32 v[20:21], v[4:5], v[20:21]
	v_add_f64_e32 v[151:152], v[151:152], v[163:164]
	v_add_f64_e32 v[153:154], v[153:154], v[157:158]
	s_wait_loadcnt_dscnt 0x800
	v_mul_f64_e32 v[157:158], v[6:7], v[24:25]
	v_mul_f64_e32 v[24:25], v[8:9], v[24:25]
	v_fma_f64 v[155:156], v[4:5], v[18:19], v[155:156]
	v_fma_f64 v[163:164], v[2:3], v[18:19], -v[20:21]
	ds_load_b128 v[2:5], v1 offset:1120
	scratch_load_b128 v[18:21], off, off offset:464
	v_add_f64_e32 v[151:152], v[151:152], v[161:162]
	v_add_f64_e32 v[153:154], v[153:154], v[159:160]
	v_fma_f64 v[157:158], v[8:9], v[22:23], v[157:158]
	v_fma_f64 v[161:162], v[6:7], v[22:23], -v[24:25]
	ds_load_b128 v[6:9], v1 offset:1136
	s_wait_loadcnt_dscnt 0x801
	v_mul_f64_e32 v[159:160], v[2:3], v[28:29]
	v_mul_f64_e32 v[28:29], v[4:5], v[28:29]
	scratch_load_b128 v[22:25], off, off offset:480
	v_add_f64_e32 v[151:152], v[151:152], v[163:164]
	v_add_f64_e32 v[153:154], v[153:154], v[155:156]
	s_wait_loadcnt_dscnt 0x800
	v_mul_f64_e32 v[155:156], v[6:7], v[32:33]
	v_mul_f64_e32 v[32:33], v[8:9], v[32:33]
	v_fma_f64 v[159:160], v[4:5], v[26:27], v[159:160]
	v_fma_f64 v[163:164], v[2:3], v[26:27], -v[28:29]
	ds_load_b128 v[2:5], v1 offset:1152
	scratch_load_b128 v[26:29], off, off offset:496
	v_add_f64_e32 v[151:152], v[151:152], v[161:162]
	v_add_f64_e32 v[153:154], v[153:154], v[157:158]
	v_fma_f64 v[155:156], v[8:9], v[30:31], v[155:156]
	v_fma_f64 v[161:162], v[6:7], v[30:31], -v[32:33]
	ds_load_b128 v[6:9], v1 offset:1168
	s_wait_loadcnt_dscnt 0x801
	v_mul_f64_e32 v[157:158], v[2:3], v[36:37]
	v_mul_f64_e32 v[36:37], v[4:5], v[36:37]
	scratch_load_b128 v[30:33], off, off offset:512
	v_add_f64_e32 v[151:152], v[151:152], v[163:164]
	v_add_f64_e32 v[153:154], v[153:154], v[159:160]
	s_wait_loadcnt_dscnt 0x800
	v_mul_f64_e32 v[159:160], v[6:7], v[149:150]
	v_mul_f64_e32 v[149:150], v[8:9], v[149:150]
	v_fma_f64 v[157:158], v[4:5], v[34:35], v[157:158]
	v_fma_f64 v[163:164], v[2:3], v[34:35], -v[36:37]
	ds_load_b128 v[2:5], v1 offset:1184
	scratch_load_b128 v[34:37], off, off offset:528
	v_add_f64_e32 v[151:152], v[151:152], v[161:162]
	v_add_f64_e32 v[153:154], v[153:154], v[155:156]
	v_fma_f64 v[159:160], v[8:9], v[147:148], v[159:160]
	v_fma_f64 v[161:162], v[6:7], v[147:148], -v[149:150]
	ds_load_b128 v[6:9], v1 offset:1200
	scratch_load_b128 v[147:150], off, off offset:544
	s_wait_loadcnt_dscnt 0x901
	v_mul_f64_e32 v[155:156], v[2:3], v[40:41]
	v_mul_f64_e32 v[40:41], v[4:5], v[40:41]
	v_add_f64_e32 v[151:152], v[151:152], v[163:164]
	v_add_f64_e32 v[153:154], v[153:154], v[157:158]
	s_wait_loadcnt_dscnt 0x800
	v_mul_f64_e32 v[157:158], v[6:7], v[145:146]
	v_mul_f64_e32 v[145:146], v[8:9], v[145:146]
	v_fma_f64 v[155:156], v[4:5], v[38:39], v[155:156]
	v_fma_f64 v[163:164], v[2:3], v[38:39], -v[40:41]
	ds_load_b128 v[2:5], v1 offset:1216
	scratch_load_b128 v[38:41], off, off offset:560
	v_add_f64_e32 v[151:152], v[151:152], v[161:162]
	v_add_f64_e32 v[153:154], v[153:154], v[159:160]
	v_fma_f64 v[157:158], v[8:9], v[143:144], v[157:158]
	v_fma_f64 v[161:162], v[6:7], v[143:144], -v[145:146]
	ds_load_b128 v[6:9], v1 offset:1232
	s_wait_loadcnt_dscnt 0x801
	v_mul_f64_e32 v[159:160], v[2:3], v[12:13]
	v_mul_f64_e32 v[12:13], v[4:5], v[12:13]
	scratch_load_b128 v[143:146], off, off offset:576
	v_add_f64_e32 v[151:152], v[151:152], v[163:164]
	v_add_f64_e32 v[153:154], v[153:154], v[155:156]
	s_wait_loadcnt_dscnt 0x800
	v_mul_f64_e32 v[155:156], v[6:7], v[16:17]
	v_mul_f64_e32 v[16:17], v[8:9], v[16:17]
	v_fma_f64 v[159:160], v[4:5], v[10:11], v[159:160]
	v_fma_f64 v[163:164], v[2:3], v[10:11], -v[12:13]
	ds_load_b128 v[2:5], v1 offset:1248
	scratch_load_b128 v[10:13], off, off offset:592
	v_add_f64_e32 v[151:152], v[151:152], v[161:162]
	v_add_f64_e32 v[153:154], v[153:154], v[157:158]
	v_fma_f64 v[155:156], v[8:9], v[14:15], v[155:156]
	v_fma_f64 v[161:162], v[6:7], v[14:15], -v[16:17]
	ds_load_b128 v[6:9], v1 offset:1264
	s_wait_loadcnt_dscnt 0x801
	v_mul_f64_e32 v[157:158], v[2:3], v[20:21]
	v_mul_f64_e32 v[20:21], v[4:5], v[20:21]
	scratch_load_b128 v[14:17], off, off offset:608
	;; [unrolled: 18-line block ×8, first 2 shown]
	v_add_f64_e32 v[151:152], v[151:152], v[163:164]
	v_add_f64_e32 v[153:154], v[153:154], v[159:160]
	s_wait_loadcnt_dscnt 0x800
	v_mul_f64_e32 v[159:160], v[6:7], v[32:33]
	v_mul_f64_e32 v[32:33], v[8:9], v[32:33]
	v_fma_f64 v[157:158], v[4:5], v[26:27], v[157:158]
	v_fma_f64 v[26:27], v[2:3], v[26:27], -v[28:29]
	ds_load_b128 v[2:5], v1 offset:1472
	v_add_f64_e32 v[28:29], v[151:152], v[161:162]
	v_add_f64_e32 v[151:152], v[153:154], v[155:156]
	v_fma_f64 v[155:156], v[8:9], v[30:31], v[159:160]
	v_fma_f64 v[30:31], v[6:7], v[30:31], -v[32:33]
	ds_load_b128 v[6:9], v1 offset:1488
	s_wait_loadcnt_dscnt 0x701
	v_mul_f64_e32 v[153:154], v[2:3], v[36:37]
	v_mul_f64_e32 v[36:37], v[4:5], v[36:37]
	v_add_f64_e32 v[26:27], v[28:29], v[26:27]
	v_add_f64_e32 v[28:29], v[151:152], v[157:158]
	s_delay_alu instid0(VALU_DEP_4) | instskip(NEXT) | instid1(VALU_DEP_4)
	v_fma_f64 v[151:152], v[4:5], v[34:35], v[153:154]
	v_fma_f64 v[34:35], v[2:3], v[34:35], -v[36:37]
	ds_load_b128 v[2:5], v1 offset:1504
	v_add_f64_e32 v[30:31], v[26:27], v[30:31]
	v_add_f64_e32 v[36:37], v[28:29], v[155:156]
	scratch_load_b128 v[26:29], off, off offset:224
	s_wait_loadcnt_dscnt 0x701
	v_mul_f64_e32 v[32:33], v[6:7], v[149:150]
	v_mul_f64_e32 v[149:150], v[8:9], v[149:150]
	v_add_f64_e32 v[30:31], v[30:31], v[34:35]
	v_add_f64_e32 v[34:35], v[36:37], v[151:152]
	s_delay_alu instid0(VALU_DEP_4) | instskip(NEXT) | instid1(VALU_DEP_4)
	v_fma_f64 v[32:33], v[8:9], v[147:148], v[32:33]
	v_fma_f64 v[147:148], v[6:7], v[147:148], -v[149:150]
	ds_load_b128 v[6:9], v1 offset:1520
	s_wait_loadcnt_dscnt 0x601
	v_mul_f64_e32 v[153:154], v[2:3], v[40:41]
	v_mul_f64_e32 v[40:41], v[4:5], v[40:41]
	s_wait_loadcnt_dscnt 0x500
	v_mul_f64_e32 v[36:37], v[6:7], v[145:146]
	v_mul_f64_e32 v[145:146], v[8:9], v[145:146]
	v_add_f64_e32 v[32:33], v[34:35], v[32:33]
	v_add_f64_e32 v[30:31], v[30:31], v[147:148]
	v_fma_f64 v[149:150], v[4:5], v[38:39], v[153:154]
	v_fma_f64 v[38:39], v[2:3], v[38:39], -v[40:41]
	ds_load_b128 v[2:5], v1 offset:1536
	v_fma_f64 v[36:37], v[8:9], v[143:144], v[36:37]
	v_fma_f64 v[40:41], v[6:7], v[143:144], -v[145:146]
	ds_load_b128 v[6:9], v1 offset:1552
	s_wait_loadcnt_dscnt 0x401
	v_mul_f64_e32 v[34:35], v[2:3], v[12:13]
	v_mul_f64_e32 v[12:13], v[4:5], v[12:13]
	v_add_f64_e32 v[32:33], v[32:33], v[149:150]
	v_add_f64_e32 v[30:31], v[30:31], v[38:39]
	s_wait_loadcnt_dscnt 0x300
	v_mul_f64_e32 v[38:39], v[6:7], v[16:17]
	v_mul_f64_e32 v[16:17], v[8:9], v[16:17]
	v_fma_f64 v[34:35], v[4:5], v[10:11], v[34:35]
	v_fma_f64 v[10:11], v[2:3], v[10:11], -v[12:13]
	ds_load_b128 v[2:5], v1 offset:1568
	v_add_f64_e32 v[12:13], v[30:31], v[40:41]
	v_add_f64_e32 v[30:31], v[32:33], v[36:37]
	v_fma_f64 v[36:37], v[8:9], v[14:15], v[38:39]
	v_fma_f64 v[14:15], v[6:7], v[14:15], -v[16:17]
	ds_load_b128 v[6:9], v1 offset:1584
	s_wait_loadcnt_dscnt 0x201
	v_mul_f64_e32 v[32:33], v[2:3], v[20:21]
	v_mul_f64_e32 v[20:21], v[4:5], v[20:21]
	s_wait_loadcnt_dscnt 0x100
	v_mul_f64_e32 v[16:17], v[6:7], v[24:25]
	v_mul_f64_e32 v[24:25], v[8:9], v[24:25]
	v_add_f64_e32 v[10:11], v[12:13], v[10:11]
	v_add_f64_e32 v[12:13], v[30:31], v[34:35]
	v_fma_f64 v[4:5], v[4:5], v[18:19], v[32:33]
	v_fma_f64 v[1:2], v[2:3], v[18:19], -v[20:21]
	v_fma_f64 v[8:9], v[8:9], v[22:23], v[16:17]
	v_fma_f64 v[6:7], v[6:7], v[22:23], -v[24:25]
	v_add_f64_e32 v[10:11], v[10:11], v[14:15]
	v_add_f64_e32 v[12:13], v[12:13], v[36:37]
	s_delay_alu instid0(VALU_DEP_2) | instskip(NEXT) | instid1(VALU_DEP_2)
	v_add_f64_e32 v[1:2], v[10:11], v[1:2]
	v_add_f64_e32 v[3:4], v[12:13], v[4:5]
	s_delay_alu instid0(VALU_DEP_2) | instskip(NEXT) | instid1(VALU_DEP_2)
	v_add_f64_e32 v[1:2], v[1:2], v[6:7]
	v_add_f64_e32 v[3:4], v[3:4], v[8:9]
	s_wait_loadcnt 0x0
	s_delay_alu instid0(VALU_DEP_2) | instskip(NEXT) | instid1(VALU_DEP_2)
	v_add_f64_e64 v[1:2], v[26:27], -v[1:2]
	v_add_f64_e64 v[3:4], v[28:29], -v[3:4]
	scratch_store_b128 off, v[1:4], off offset:224
	v_cmpx_lt_u32_e32 12, v0
	s_cbranch_execz .LBB49_289
; %bb.288:
	scratch_load_b128 v[1:4], off, s51
	v_mov_b32_e32 v5, 0
	s_delay_alu instid0(VALU_DEP_1)
	v_dual_mov_b32 v6, v5 :: v_dual_mov_b32 v7, v5
	v_mov_b32_e32 v8, v5
	scratch_store_b128 off, v[5:8], off offset:208
	s_wait_loadcnt 0x0
	ds_store_b128 v142, v[1:4]
.LBB49_289:
	s_wait_alu 0xfffe
	s_or_b32 exec_lo, exec_lo, s0
	s_wait_storecnt_dscnt 0x0
	s_barrier_signal -1
	s_barrier_wait -1
	global_inv scope:SCOPE_SE
	s_clause 0x7
	scratch_load_b128 v[2:5], off, off offset:224
	scratch_load_b128 v[6:9], off, off offset:240
	;; [unrolled: 1-line block ×8, first 2 shown]
	v_mov_b32_e32 v1, 0
	s_clause 0x1
	scratch_load_b128 v[34:37], off, off offset:352
	scratch_load_b128 v[147:150], off, off offset:368
	s_mov_b32 s0, exec_lo
	ds_load_b128 v[38:41], v1 offset:1008
	ds_load_b128 v[143:146], v1 offset:1024
	s_wait_loadcnt_dscnt 0x901
	v_mul_f64_e32 v[151:152], v[40:41], v[4:5]
	v_mul_f64_e32 v[4:5], v[38:39], v[4:5]
	s_wait_loadcnt_dscnt 0x800
	v_mul_f64_e32 v[153:154], v[143:144], v[8:9]
	v_mul_f64_e32 v[8:9], v[145:146], v[8:9]
	s_delay_alu instid0(VALU_DEP_4) | instskip(NEXT) | instid1(VALU_DEP_4)
	v_fma_f64 v[151:152], v[38:39], v[2:3], -v[151:152]
	v_fma_f64 v[155:156], v[40:41], v[2:3], v[4:5]
	ds_load_b128 v[2:5], v1 offset:1040
	scratch_load_b128 v[38:41], off, off offset:384
	v_fma_f64 v[153:154], v[145:146], v[6:7], v[153:154]
	v_fma_f64 v[159:160], v[143:144], v[6:7], -v[8:9]
	ds_load_b128 v[6:9], v1 offset:1056
	scratch_load_b128 v[143:146], off, off offset:400
	s_wait_loadcnt_dscnt 0x901
	v_mul_f64_e32 v[157:158], v[2:3], v[12:13]
	v_mul_f64_e32 v[12:13], v[4:5], v[12:13]
	s_wait_loadcnt_dscnt 0x800
	v_mul_f64_e32 v[161:162], v[6:7], v[16:17]
	v_mul_f64_e32 v[16:17], v[8:9], v[16:17]
	v_add_f64_e32 v[151:152], 0, v[151:152]
	v_add_f64_e32 v[155:156], 0, v[155:156]
	v_fma_f64 v[157:158], v[4:5], v[10:11], v[157:158]
	v_fma_f64 v[163:164], v[2:3], v[10:11], -v[12:13]
	ds_load_b128 v[2:5], v1 offset:1072
	scratch_load_b128 v[10:13], off, off offset:416
	v_add_f64_e32 v[151:152], v[151:152], v[159:160]
	v_add_f64_e32 v[153:154], v[155:156], v[153:154]
	v_fma_f64 v[159:160], v[8:9], v[14:15], v[161:162]
	v_fma_f64 v[161:162], v[6:7], v[14:15], -v[16:17]
	ds_load_b128 v[6:9], v1 offset:1088
	scratch_load_b128 v[14:17], off, off offset:432
	s_wait_loadcnt_dscnt 0x901
	v_mul_f64_e32 v[155:156], v[2:3], v[20:21]
	v_mul_f64_e32 v[20:21], v[4:5], v[20:21]
	v_add_f64_e32 v[151:152], v[151:152], v[163:164]
	v_add_f64_e32 v[153:154], v[153:154], v[157:158]
	s_wait_loadcnt_dscnt 0x800
	v_mul_f64_e32 v[157:158], v[6:7], v[24:25]
	v_mul_f64_e32 v[24:25], v[8:9], v[24:25]
	v_fma_f64 v[155:156], v[4:5], v[18:19], v[155:156]
	v_fma_f64 v[163:164], v[2:3], v[18:19], -v[20:21]
	ds_load_b128 v[2:5], v1 offset:1104
	scratch_load_b128 v[18:21], off, off offset:448
	v_add_f64_e32 v[151:152], v[151:152], v[161:162]
	v_add_f64_e32 v[153:154], v[153:154], v[159:160]
	v_fma_f64 v[157:158], v[8:9], v[22:23], v[157:158]
	v_fma_f64 v[161:162], v[6:7], v[22:23], -v[24:25]
	ds_load_b128 v[6:9], v1 offset:1120
	s_wait_loadcnt_dscnt 0x801
	v_mul_f64_e32 v[159:160], v[2:3], v[28:29]
	v_mul_f64_e32 v[28:29], v[4:5], v[28:29]
	scratch_load_b128 v[22:25], off, off offset:464
	v_add_f64_e32 v[151:152], v[151:152], v[163:164]
	v_add_f64_e32 v[153:154], v[153:154], v[155:156]
	s_wait_loadcnt_dscnt 0x800
	v_mul_f64_e32 v[155:156], v[6:7], v[32:33]
	v_mul_f64_e32 v[32:33], v[8:9], v[32:33]
	v_fma_f64 v[159:160], v[4:5], v[26:27], v[159:160]
	v_fma_f64 v[163:164], v[2:3], v[26:27], -v[28:29]
	ds_load_b128 v[2:5], v1 offset:1136
	scratch_load_b128 v[26:29], off, off offset:480
	v_add_f64_e32 v[151:152], v[151:152], v[161:162]
	v_add_f64_e32 v[153:154], v[153:154], v[157:158]
	v_fma_f64 v[155:156], v[8:9], v[30:31], v[155:156]
	v_fma_f64 v[161:162], v[6:7], v[30:31], -v[32:33]
	ds_load_b128 v[6:9], v1 offset:1152
	s_wait_loadcnt_dscnt 0x801
	v_mul_f64_e32 v[157:158], v[2:3], v[36:37]
	v_mul_f64_e32 v[36:37], v[4:5], v[36:37]
	scratch_load_b128 v[30:33], off, off offset:496
	v_add_f64_e32 v[151:152], v[151:152], v[163:164]
	v_add_f64_e32 v[153:154], v[153:154], v[159:160]
	s_wait_loadcnt_dscnt 0x800
	v_mul_f64_e32 v[159:160], v[6:7], v[149:150]
	v_mul_f64_e32 v[149:150], v[8:9], v[149:150]
	v_fma_f64 v[157:158], v[4:5], v[34:35], v[157:158]
	v_fma_f64 v[163:164], v[2:3], v[34:35], -v[36:37]
	ds_load_b128 v[2:5], v1 offset:1168
	scratch_load_b128 v[34:37], off, off offset:512
	v_add_f64_e32 v[151:152], v[151:152], v[161:162]
	v_add_f64_e32 v[153:154], v[153:154], v[155:156]
	v_fma_f64 v[159:160], v[8:9], v[147:148], v[159:160]
	v_fma_f64 v[161:162], v[6:7], v[147:148], -v[149:150]
	ds_load_b128 v[6:9], v1 offset:1184
	scratch_load_b128 v[147:150], off, off offset:528
	s_wait_loadcnt_dscnt 0x901
	v_mul_f64_e32 v[155:156], v[2:3], v[40:41]
	v_mul_f64_e32 v[40:41], v[4:5], v[40:41]
	v_add_f64_e32 v[151:152], v[151:152], v[163:164]
	v_add_f64_e32 v[153:154], v[153:154], v[157:158]
	s_wait_loadcnt_dscnt 0x800
	v_mul_f64_e32 v[157:158], v[6:7], v[145:146]
	v_mul_f64_e32 v[145:146], v[8:9], v[145:146]
	v_fma_f64 v[155:156], v[4:5], v[38:39], v[155:156]
	v_fma_f64 v[163:164], v[2:3], v[38:39], -v[40:41]
	ds_load_b128 v[2:5], v1 offset:1200
	scratch_load_b128 v[38:41], off, off offset:544
	v_add_f64_e32 v[151:152], v[151:152], v[161:162]
	v_add_f64_e32 v[153:154], v[153:154], v[159:160]
	v_fma_f64 v[157:158], v[8:9], v[143:144], v[157:158]
	v_fma_f64 v[161:162], v[6:7], v[143:144], -v[145:146]
	ds_load_b128 v[6:9], v1 offset:1216
	s_wait_loadcnt_dscnt 0x801
	v_mul_f64_e32 v[159:160], v[2:3], v[12:13]
	v_mul_f64_e32 v[12:13], v[4:5], v[12:13]
	scratch_load_b128 v[143:146], off, off offset:560
	v_add_f64_e32 v[151:152], v[151:152], v[163:164]
	v_add_f64_e32 v[153:154], v[153:154], v[155:156]
	s_wait_loadcnt_dscnt 0x800
	v_mul_f64_e32 v[155:156], v[6:7], v[16:17]
	v_mul_f64_e32 v[16:17], v[8:9], v[16:17]
	v_fma_f64 v[159:160], v[4:5], v[10:11], v[159:160]
	v_fma_f64 v[163:164], v[2:3], v[10:11], -v[12:13]
	ds_load_b128 v[2:5], v1 offset:1232
	scratch_load_b128 v[10:13], off, off offset:576
	v_add_f64_e32 v[151:152], v[151:152], v[161:162]
	v_add_f64_e32 v[153:154], v[153:154], v[157:158]
	v_fma_f64 v[155:156], v[8:9], v[14:15], v[155:156]
	v_fma_f64 v[161:162], v[6:7], v[14:15], -v[16:17]
	ds_load_b128 v[6:9], v1 offset:1248
	s_wait_loadcnt_dscnt 0x801
	v_mul_f64_e32 v[157:158], v[2:3], v[20:21]
	v_mul_f64_e32 v[20:21], v[4:5], v[20:21]
	scratch_load_b128 v[14:17], off, off offset:592
	;; [unrolled: 18-line block ×8, first 2 shown]
	v_add_f64_e32 v[151:152], v[151:152], v[163:164]
	v_add_f64_e32 v[153:154], v[153:154], v[159:160]
	s_wait_loadcnt_dscnt 0x800
	v_mul_f64_e32 v[159:160], v[6:7], v[32:33]
	v_mul_f64_e32 v[32:33], v[8:9], v[32:33]
	v_fma_f64 v[157:158], v[4:5], v[26:27], v[157:158]
	v_fma_f64 v[163:164], v[2:3], v[26:27], -v[28:29]
	ds_load_b128 v[2:5], v1 offset:1456
	scratch_load_b128 v[26:29], off, off offset:800
	v_add_f64_e32 v[151:152], v[151:152], v[161:162]
	v_add_f64_e32 v[153:154], v[153:154], v[155:156]
	v_fma_f64 v[159:160], v[8:9], v[30:31], v[159:160]
	v_fma_f64 v[30:31], v[6:7], v[30:31], -v[32:33]
	ds_load_b128 v[6:9], v1 offset:1472
	s_wait_loadcnt_dscnt 0x801
	v_mul_f64_e32 v[155:156], v[2:3], v[36:37]
	v_mul_f64_e32 v[36:37], v[4:5], v[36:37]
	v_add_f64_e32 v[32:33], v[151:152], v[163:164]
	v_add_f64_e32 v[151:152], v[153:154], v[157:158]
	s_wait_loadcnt_dscnt 0x700
	v_mul_f64_e32 v[153:154], v[6:7], v[149:150]
	v_mul_f64_e32 v[149:150], v[8:9], v[149:150]
	v_fma_f64 v[155:156], v[4:5], v[34:35], v[155:156]
	v_fma_f64 v[34:35], v[2:3], v[34:35], -v[36:37]
	ds_load_b128 v[2:5], v1 offset:1488
	v_add_f64_e32 v[30:31], v[32:33], v[30:31]
	v_add_f64_e32 v[32:33], v[151:152], v[159:160]
	v_fma_f64 v[151:152], v[8:9], v[147:148], v[153:154]
	v_fma_f64 v[147:148], v[6:7], v[147:148], -v[149:150]
	ds_load_b128 v[6:9], v1 offset:1504
	s_wait_loadcnt_dscnt 0x500
	v_mul_f64_e32 v[153:154], v[6:7], v[145:146]
	v_mul_f64_e32 v[145:146], v[8:9], v[145:146]
	v_add_f64_e32 v[34:35], v[30:31], v[34:35]
	v_add_f64_e32 v[149:150], v[32:33], v[155:156]
	scratch_load_b128 v[30:33], off, off offset:208
	v_mul_f64_e32 v[36:37], v[2:3], v[40:41]
	v_mul_f64_e32 v[40:41], v[4:5], v[40:41]
	v_add_f64_e32 v[34:35], v[34:35], v[147:148]
	s_delay_alu instid0(VALU_DEP_3) | instskip(NEXT) | instid1(VALU_DEP_3)
	v_fma_f64 v[36:37], v[4:5], v[38:39], v[36:37]
	v_fma_f64 v[38:39], v[2:3], v[38:39], -v[40:41]
	v_add_f64_e32 v[40:41], v[149:150], v[151:152]
	ds_load_b128 v[2:5], v1 offset:1520
	v_fma_f64 v[149:150], v[8:9], v[143:144], v[153:154]
	v_fma_f64 v[143:144], v[6:7], v[143:144], -v[145:146]
	ds_load_b128 v[6:9], v1 offset:1536
	s_wait_loadcnt_dscnt 0x501
	v_mul_f64_e32 v[147:148], v[2:3], v[12:13]
	v_mul_f64_e32 v[12:13], v[4:5], v[12:13]
	v_add_f64_e32 v[34:35], v[34:35], v[38:39]
	v_add_f64_e32 v[36:37], v[40:41], v[36:37]
	s_wait_loadcnt_dscnt 0x400
	v_mul_f64_e32 v[38:39], v[6:7], v[16:17]
	v_mul_f64_e32 v[16:17], v[8:9], v[16:17]
	v_fma_f64 v[40:41], v[4:5], v[10:11], v[147:148]
	v_fma_f64 v[10:11], v[2:3], v[10:11], -v[12:13]
	ds_load_b128 v[2:5], v1 offset:1552
	v_add_f64_e32 v[12:13], v[34:35], v[143:144]
	v_add_f64_e32 v[34:35], v[36:37], v[149:150]
	v_fma_f64 v[38:39], v[8:9], v[14:15], v[38:39]
	v_fma_f64 v[14:15], v[6:7], v[14:15], -v[16:17]
	ds_load_b128 v[6:9], v1 offset:1568
	s_wait_loadcnt_dscnt 0x301
	v_mul_f64_e32 v[36:37], v[2:3], v[20:21]
	v_mul_f64_e32 v[20:21], v[4:5], v[20:21]
	s_wait_loadcnt_dscnt 0x200
	v_mul_f64_e32 v[16:17], v[6:7], v[24:25]
	v_mul_f64_e32 v[24:25], v[8:9], v[24:25]
	v_add_f64_e32 v[10:11], v[12:13], v[10:11]
	v_add_f64_e32 v[12:13], v[34:35], v[40:41]
	v_fma_f64 v[34:35], v[4:5], v[18:19], v[36:37]
	v_fma_f64 v[18:19], v[2:3], v[18:19], -v[20:21]
	ds_load_b128 v[2:5], v1 offset:1584
	v_fma_f64 v[8:9], v[8:9], v[22:23], v[16:17]
	v_fma_f64 v[6:7], v[6:7], v[22:23], -v[24:25]
	s_wait_loadcnt_dscnt 0x100
	v_mul_f64_e32 v[20:21], v[4:5], v[28:29]
	v_add_f64_e32 v[10:11], v[10:11], v[14:15]
	v_add_f64_e32 v[12:13], v[12:13], v[38:39]
	v_mul_f64_e32 v[14:15], v[2:3], v[28:29]
	s_delay_alu instid0(VALU_DEP_4) | instskip(NEXT) | instid1(VALU_DEP_4)
	v_fma_f64 v[2:3], v[2:3], v[26:27], -v[20:21]
	v_add_f64_e32 v[10:11], v[10:11], v[18:19]
	s_delay_alu instid0(VALU_DEP_4) | instskip(NEXT) | instid1(VALU_DEP_4)
	v_add_f64_e32 v[12:13], v[12:13], v[34:35]
	v_fma_f64 v[4:5], v[4:5], v[26:27], v[14:15]
	s_delay_alu instid0(VALU_DEP_3) | instskip(NEXT) | instid1(VALU_DEP_3)
	v_add_f64_e32 v[6:7], v[10:11], v[6:7]
	v_add_f64_e32 v[8:9], v[12:13], v[8:9]
	s_delay_alu instid0(VALU_DEP_2) | instskip(NEXT) | instid1(VALU_DEP_2)
	v_add_f64_e32 v[2:3], v[6:7], v[2:3]
	v_add_f64_e32 v[4:5], v[8:9], v[4:5]
	s_wait_loadcnt 0x0
	s_delay_alu instid0(VALU_DEP_2) | instskip(NEXT) | instid1(VALU_DEP_2)
	v_add_f64_e64 v[2:3], v[30:31], -v[2:3]
	v_add_f64_e64 v[4:5], v[32:33], -v[4:5]
	scratch_store_b128 off, v[2:5], off offset:208
	v_cmpx_lt_u32_e32 11, v0
	s_cbranch_execz .LBB49_291
; %bb.290:
	scratch_load_b128 v[5:8], off, s52
	v_dual_mov_b32 v2, v1 :: v_dual_mov_b32 v3, v1
	v_mov_b32_e32 v4, v1
	scratch_store_b128 off, v[1:4], off offset:192
	s_wait_loadcnt 0x0
	ds_store_b128 v142, v[5:8]
.LBB49_291:
	s_wait_alu 0xfffe
	s_or_b32 exec_lo, exec_lo, s0
	s_wait_storecnt_dscnt 0x0
	s_barrier_signal -1
	s_barrier_wait -1
	global_inv scope:SCOPE_SE
	s_clause 0x7
	scratch_load_b128 v[2:5], off, off offset:208
	scratch_load_b128 v[6:9], off, off offset:224
	;; [unrolled: 1-line block ×8, first 2 shown]
	ds_load_b128 v[38:41], v1 offset:992
	ds_load_b128 v[143:146], v1 offset:1008
	s_clause 0x1
	scratch_load_b128 v[34:37], off, off offset:336
	scratch_load_b128 v[147:150], off, off offset:352
	s_mov_b32 s0, exec_lo
	s_wait_loadcnt_dscnt 0x901
	v_mul_f64_e32 v[151:152], v[40:41], v[4:5]
	v_mul_f64_e32 v[4:5], v[38:39], v[4:5]
	s_wait_loadcnt_dscnt 0x800
	v_mul_f64_e32 v[153:154], v[143:144], v[8:9]
	v_mul_f64_e32 v[8:9], v[145:146], v[8:9]
	s_delay_alu instid0(VALU_DEP_4) | instskip(NEXT) | instid1(VALU_DEP_4)
	v_fma_f64 v[151:152], v[38:39], v[2:3], -v[151:152]
	v_fma_f64 v[155:156], v[40:41], v[2:3], v[4:5]
	ds_load_b128 v[2:5], v1 offset:1024
	scratch_load_b128 v[38:41], off, off offset:368
	v_fma_f64 v[153:154], v[145:146], v[6:7], v[153:154]
	v_fma_f64 v[159:160], v[143:144], v[6:7], -v[8:9]
	ds_load_b128 v[6:9], v1 offset:1040
	scratch_load_b128 v[143:146], off, off offset:384
	s_wait_loadcnt_dscnt 0x901
	v_mul_f64_e32 v[157:158], v[2:3], v[12:13]
	v_mul_f64_e32 v[12:13], v[4:5], v[12:13]
	s_wait_loadcnt_dscnt 0x800
	v_mul_f64_e32 v[161:162], v[6:7], v[16:17]
	v_mul_f64_e32 v[16:17], v[8:9], v[16:17]
	v_add_f64_e32 v[151:152], 0, v[151:152]
	v_add_f64_e32 v[155:156], 0, v[155:156]
	v_fma_f64 v[157:158], v[4:5], v[10:11], v[157:158]
	v_fma_f64 v[163:164], v[2:3], v[10:11], -v[12:13]
	ds_load_b128 v[2:5], v1 offset:1056
	scratch_load_b128 v[10:13], off, off offset:400
	v_add_f64_e32 v[151:152], v[151:152], v[159:160]
	v_add_f64_e32 v[153:154], v[155:156], v[153:154]
	v_fma_f64 v[159:160], v[8:9], v[14:15], v[161:162]
	v_fma_f64 v[161:162], v[6:7], v[14:15], -v[16:17]
	ds_load_b128 v[6:9], v1 offset:1072
	scratch_load_b128 v[14:17], off, off offset:416
	s_wait_loadcnt_dscnt 0x901
	v_mul_f64_e32 v[155:156], v[2:3], v[20:21]
	v_mul_f64_e32 v[20:21], v[4:5], v[20:21]
	v_add_f64_e32 v[151:152], v[151:152], v[163:164]
	v_add_f64_e32 v[153:154], v[153:154], v[157:158]
	s_wait_loadcnt_dscnt 0x800
	v_mul_f64_e32 v[157:158], v[6:7], v[24:25]
	v_mul_f64_e32 v[24:25], v[8:9], v[24:25]
	v_fma_f64 v[155:156], v[4:5], v[18:19], v[155:156]
	v_fma_f64 v[163:164], v[2:3], v[18:19], -v[20:21]
	ds_load_b128 v[2:5], v1 offset:1088
	scratch_load_b128 v[18:21], off, off offset:432
	v_add_f64_e32 v[151:152], v[151:152], v[161:162]
	v_add_f64_e32 v[153:154], v[153:154], v[159:160]
	v_fma_f64 v[157:158], v[8:9], v[22:23], v[157:158]
	v_fma_f64 v[161:162], v[6:7], v[22:23], -v[24:25]
	ds_load_b128 v[6:9], v1 offset:1104
	s_wait_loadcnt_dscnt 0x801
	v_mul_f64_e32 v[159:160], v[2:3], v[28:29]
	v_mul_f64_e32 v[28:29], v[4:5], v[28:29]
	scratch_load_b128 v[22:25], off, off offset:448
	v_add_f64_e32 v[151:152], v[151:152], v[163:164]
	v_add_f64_e32 v[153:154], v[153:154], v[155:156]
	s_wait_loadcnt_dscnt 0x800
	v_mul_f64_e32 v[155:156], v[6:7], v[32:33]
	v_mul_f64_e32 v[32:33], v[8:9], v[32:33]
	v_fma_f64 v[159:160], v[4:5], v[26:27], v[159:160]
	v_fma_f64 v[163:164], v[2:3], v[26:27], -v[28:29]
	ds_load_b128 v[2:5], v1 offset:1120
	scratch_load_b128 v[26:29], off, off offset:464
	v_add_f64_e32 v[151:152], v[151:152], v[161:162]
	v_add_f64_e32 v[153:154], v[153:154], v[157:158]
	v_fma_f64 v[155:156], v[8:9], v[30:31], v[155:156]
	v_fma_f64 v[161:162], v[6:7], v[30:31], -v[32:33]
	ds_load_b128 v[6:9], v1 offset:1136
	s_wait_loadcnt_dscnt 0x801
	v_mul_f64_e32 v[157:158], v[2:3], v[36:37]
	v_mul_f64_e32 v[36:37], v[4:5], v[36:37]
	scratch_load_b128 v[30:33], off, off offset:480
	v_add_f64_e32 v[151:152], v[151:152], v[163:164]
	v_add_f64_e32 v[153:154], v[153:154], v[159:160]
	s_wait_loadcnt_dscnt 0x800
	v_mul_f64_e32 v[159:160], v[6:7], v[149:150]
	v_mul_f64_e32 v[149:150], v[8:9], v[149:150]
	v_fma_f64 v[157:158], v[4:5], v[34:35], v[157:158]
	v_fma_f64 v[163:164], v[2:3], v[34:35], -v[36:37]
	ds_load_b128 v[2:5], v1 offset:1152
	scratch_load_b128 v[34:37], off, off offset:496
	v_add_f64_e32 v[151:152], v[151:152], v[161:162]
	v_add_f64_e32 v[153:154], v[153:154], v[155:156]
	v_fma_f64 v[159:160], v[8:9], v[147:148], v[159:160]
	v_fma_f64 v[161:162], v[6:7], v[147:148], -v[149:150]
	ds_load_b128 v[6:9], v1 offset:1168
	scratch_load_b128 v[147:150], off, off offset:512
	s_wait_loadcnt_dscnt 0x901
	v_mul_f64_e32 v[155:156], v[2:3], v[40:41]
	v_mul_f64_e32 v[40:41], v[4:5], v[40:41]
	v_add_f64_e32 v[151:152], v[151:152], v[163:164]
	v_add_f64_e32 v[153:154], v[153:154], v[157:158]
	s_wait_loadcnt_dscnt 0x800
	v_mul_f64_e32 v[157:158], v[6:7], v[145:146]
	v_mul_f64_e32 v[145:146], v[8:9], v[145:146]
	v_fma_f64 v[155:156], v[4:5], v[38:39], v[155:156]
	v_fma_f64 v[163:164], v[2:3], v[38:39], -v[40:41]
	ds_load_b128 v[2:5], v1 offset:1184
	scratch_load_b128 v[38:41], off, off offset:528
	v_add_f64_e32 v[151:152], v[151:152], v[161:162]
	v_add_f64_e32 v[153:154], v[153:154], v[159:160]
	v_fma_f64 v[157:158], v[8:9], v[143:144], v[157:158]
	v_fma_f64 v[161:162], v[6:7], v[143:144], -v[145:146]
	ds_load_b128 v[6:9], v1 offset:1200
	s_wait_loadcnt_dscnt 0x801
	v_mul_f64_e32 v[159:160], v[2:3], v[12:13]
	v_mul_f64_e32 v[12:13], v[4:5], v[12:13]
	scratch_load_b128 v[143:146], off, off offset:544
	v_add_f64_e32 v[151:152], v[151:152], v[163:164]
	v_add_f64_e32 v[153:154], v[153:154], v[155:156]
	s_wait_loadcnt_dscnt 0x800
	v_mul_f64_e32 v[155:156], v[6:7], v[16:17]
	v_mul_f64_e32 v[16:17], v[8:9], v[16:17]
	v_fma_f64 v[159:160], v[4:5], v[10:11], v[159:160]
	v_fma_f64 v[163:164], v[2:3], v[10:11], -v[12:13]
	ds_load_b128 v[2:5], v1 offset:1216
	scratch_load_b128 v[10:13], off, off offset:560
	v_add_f64_e32 v[151:152], v[151:152], v[161:162]
	v_add_f64_e32 v[153:154], v[153:154], v[157:158]
	v_fma_f64 v[155:156], v[8:9], v[14:15], v[155:156]
	v_fma_f64 v[161:162], v[6:7], v[14:15], -v[16:17]
	ds_load_b128 v[6:9], v1 offset:1232
	s_wait_loadcnt_dscnt 0x801
	v_mul_f64_e32 v[157:158], v[2:3], v[20:21]
	v_mul_f64_e32 v[20:21], v[4:5], v[20:21]
	scratch_load_b128 v[14:17], off, off offset:576
	;; [unrolled: 18-line block ×9, first 2 shown]
	v_add_f64_e32 v[151:152], v[151:152], v[163:164]
	v_add_f64_e32 v[153:154], v[153:154], v[157:158]
	s_wait_loadcnt_dscnt 0x800
	v_mul_f64_e32 v[157:158], v[6:7], v[149:150]
	v_mul_f64_e32 v[149:150], v[8:9], v[149:150]
	v_fma_f64 v[155:156], v[4:5], v[34:35], v[155:156]
	v_fma_f64 v[34:35], v[2:3], v[34:35], -v[36:37]
	ds_load_b128 v[2:5], v1 offset:1472
	v_add_f64_e32 v[36:37], v[151:152], v[161:162]
	v_add_f64_e32 v[151:152], v[153:154], v[159:160]
	v_fma_f64 v[157:158], v[8:9], v[147:148], v[157:158]
	v_fma_f64 v[147:148], v[6:7], v[147:148], -v[149:150]
	ds_load_b128 v[6:9], v1 offset:1488
	s_wait_loadcnt_dscnt 0x701
	v_mul_f64_e32 v[153:154], v[2:3], v[40:41]
	v_mul_f64_e32 v[40:41], v[4:5], v[40:41]
	v_add_f64_e32 v[34:35], v[36:37], v[34:35]
	v_add_f64_e32 v[36:37], v[151:152], v[155:156]
	s_delay_alu instid0(VALU_DEP_4) | instskip(NEXT) | instid1(VALU_DEP_4)
	v_fma_f64 v[151:152], v[4:5], v[38:39], v[153:154]
	v_fma_f64 v[38:39], v[2:3], v[38:39], -v[40:41]
	ds_load_b128 v[2:5], v1 offset:1504
	v_add_f64_e32 v[40:41], v[34:35], v[147:148]
	v_add_f64_e32 v[147:148], v[36:37], v[157:158]
	scratch_load_b128 v[34:37], off, off offset:192
	s_wait_loadcnt_dscnt 0x701
	v_mul_f64_e32 v[149:150], v[6:7], v[145:146]
	v_mul_f64_e32 v[145:146], v[8:9], v[145:146]
	v_add_f64_e32 v[38:39], v[40:41], v[38:39]
	v_add_f64_e32 v[40:41], v[147:148], v[151:152]
	s_delay_alu instid0(VALU_DEP_4) | instskip(NEXT) | instid1(VALU_DEP_4)
	v_fma_f64 v[149:150], v[8:9], v[143:144], v[149:150]
	v_fma_f64 v[143:144], v[6:7], v[143:144], -v[145:146]
	ds_load_b128 v[6:9], v1 offset:1520
	s_wait_loadcnt_dscnt 0x601
	v_mul_f64_e32 v[153:154], v[2:3], v[12:13]
	v_mul_f64_e32 v[12:13], v[4:5], v[12:13]
	s_wait_loadcnt_dscnt 0x500
	v_mul_f64_e32 v[145:146], v[6:7], v[16:17]
	v_mul_f64_e32 v[16:17], v[8:9], v[16:17]
	s_delay_alu instid0(VALU_DEP_4) | instskip(NEXT) | instid1(VALU_DEP_4)
	v_fma_f64 v[147:148], v[4:5], v[10:11], v[153:154]
	v_fma_f64 v[10:11], v[2:3], v[10:11], -v[12:13]
	v_add_f64_e32 v[12:13], v[38:39], v[143:144]
	v_add_f64_e32 v[38:39], v[40:41], v[149:150]
	ds_load_b128 v[2:5], v1 offset:1536
	v_fma_f64 v[143:144], v[8:9], v[14:15], v[145:146]
	v_fma_f64 v[14:15], v[6:7], v[14:15], -v[16:17]
	ds_load_b128 v[6:9], v1 offset:1552
	s_wait_loadcnt_dscnt 0x401
	v_mul_f64_e32 v[40:41], v[2:3], v[20:21]
	v_mul_f64_e32 v[20:21], v[4:5], v[20:21]
	v_add_f64_e32 v[10:11], v[12:13], v[10:11]
	v_add_f64_e32 v[12:13], v[38:39], v[147:148]
	s_wait_loadcnt_dscnt 0x300
	v_mul_f64_e32 v[16:17], v[6:7], v[24:25]
	v_mul_f64_e32 v[24:25], v[8:9], v[24:25]
	v_fma_f64 v[38:39], v[4:5], v[18:19], v[40:41]
	v_fma_f64 v[18:19], v[2:3], v[18:19], -v[20:21]
	ds_load_b128 v[2:5], v1 offset:1568
	v_add_f64_e32 v[10:11], v[10:11], v[14:15]
	v_add_f64_e32 v[12:13], v[12:13], v[143:144]
	v_fma_f64 v[16:17], v[8:9], v[22:23], v[16:17]
	v_fma_f64 v[22:23], v[6:7], v[22:23], -v[24:25]
	ds_load_b128 v[6:9], v1 offset:1584
	s_wait_loadcnt_dscnt 0x201
	v_mul_f64_e32 v[14:15], v[2:3], v[28:29]
	v_mul_f64_e32 v[20:21], v[4:5], v[28:29]
	s_wait_loadcnt_dscnt 0x100
	v_mul_f64_e32 v[24:25], v[8:9], v[32:33]
	v_add_f64_e32 v[10:11], v[10:11], v[18:19]
	v_add_f64_e32 v[12:13], v[12:13], v[38:39]
	v_mul_f64_e32 v[18:19], v[6:7], v[32:33]
	v_fma_f64 v[4:5], v[4:5], v[26:27], v[14:15]
	v_fma_f64 v[1:2], v[2:3], v[26:27], -v[20:21]
	v_fma_f64 v[6:7], v[6:7], v[30:31], -v[24:25]
	v_add_f64_e32 v[10:11], v[10:11], v[22:23]
	v_add_f64_e32 v[12:13], v[12:13], v[16:17]
	v_fma_f64 v[8:9], v[8:9], v[30:31], v[18:19]
	s_delay_alu instid0(VALU_DEP_3) | instskip(NEXT) | instid1(VALU_DEP_3)
	v_add_f64_e32 v[1:2], v[10:11], v[1:2]
	v_add_f64_e32 v[3:4], v[12:13], v[4:5]
	s_delay_alu instid0(VALU_DEP_2) | instskip(NEXT) | instid1(VALU_DEP_2)
	v_add_f64_e32 v[1:2], v[1:2], v[6:7]
	v_add_f64_e32 v[3:4], v[3:4], v[8:9]
	s_wait_loadcnt 0x0
	s_delay_alu instid0(VALU_DEP_2) | instskip(NEXT) | instid1(VALU_DEP_2)
	v_add_f64_e64 v[1:2], v[34:35], -v[1:2]
	v_add_f64_e64 v[3:4], v[36:37], -v[3:4]
	scratch_store_b128 off, v[1:4], off offset:192
	v_cmpx_lt_u32_e32 10, v0
	s_cbranch_execz .LBB49_293
; %bb.292:
	scratch_load_b128 v[1:4], off, s53
	v_mov_b32_e32 v5, 0
	s_delay_alu instid0(VALU_DEP_1)
	v_dual_mov_b32 v6, v5 :: v_dual_mov_b32 v7, v5
	v_mov_b32_e32 v8, v5
	scratch_store_b128 off, v[5:8], off offset:176
	s_wait_loadcnt 0x0
	ds_store_b128 v142, v[1:4]
.LBB49_293:
	s_wait_alu 0xfffe
	s_or_b32 exec_lo, exec_lo, s0
	s_wait_storecnt_dscnt 0x0
	s_barrier_signal -1
	s_barrier_wait -1
	global_inv scope:SCOPE_SE
	s_clause 0x7
	scratch_load_b128 v[2:5], off, off offset:192
	scratch_load_b128 v[6:9], off, off offset:208
	;; [unrolled: 1-line block ×8, first 2 shown]
	v_mov_b32_e32 v1, 0
	s_clause 0x1
	scratch_load_b128 v[34:37], off, off offset:320
	scratch_load_b128 v[147:150], off, off offset:336
	s_mov_b32 s0, exec_lo
	ds_load_b128 v[38:41], v1 offset:976
	ds_load_b128 v[143:146], v1 offset:992
	s_wait_loadcnt_dscnt 0x901
	v_mul_f64_e32 v[151:152], v[40:41], v[4:5]
	v_mul_f64_e32 v[4:5], v[38:39], v[4:5]
	s_wait_loadcnt_dscnt 0x800
	v_mul_f64_e32 v[153:154], v[143:144], v[8:9]
	v_mul_f64_e32 v[8:9], v[145:146], v[8:9]
	s_delay_alu instid0(VALU_DEP_4) | instskip(NEXT) | instid1(VALU_DEP_4)
	v_fma_f64 v[151:152], v[38:39], v[2:3], -v[151:152]
	v_fma_f64 v[155:156], v[40:41], v[2:3], v[4:5]
	ds_load_b128 v[2:5], v1 offset:1008
	scratch_load_b128 v[38:41], off, off offset:352
	v_fma_f64 v[153:154], v[145:146], v[6:7], v[153:154]
	v_fma_f64 v[159:160], v[143:144], v[6:7], -v[8:9]
	ds_load_b128 v[6:9], v1 offset:1024
	scratch_load_b128 v[143:146], off, off offset:368
	s_wait_loadcnt_dscnt 0x901
	v_mul_f64_e32 v[157:158], v[2:3], v[12:13]
	v_mul_f64_e32 v[12:13], v[4:5], v[12:13]
	s_wait_loadcnt_dscnt 0x800
	v_mul_f64_e32 v[161:162], v[6:7], v[16:17]
	v_mul_f64_e32 v[16:17], v[8:9], v[16:17]
	v_add_f64_e32 v[151:152], 0, v[151:152]
	v_add_f64_e32 v[155:156], 0, v[155:156]
	v_fma_f64 v[157:158], v[4:5], v[10:11], v[157:158]
	v_fma_f64 v[163:164], v[2:3], v[10:11], -v[12:13]
	ds_load_b128 v[2:5], v1 offset:1040
	scratch_load_b128 v[10:13], off, off offset:384
	v_add_f64_e32 v[151:152], v[151:152], v[159:160]
	v_add_f64_e32 v[153:154], v[155:156], v[153:154]
	v_fma_f64 v[159:160], v[8:9], v[14:15], v[161:162]
	v_fma_f64 v[161:162], v[6:7], v[14:15], -v[16:17]
	ds_load_b128 v[6:9], v1 offset:1056
	scratch_load_b128 v[14:17], off, off offset:400
	s_wait_loadcnt_dscnt 0x901
	v_mul_f64_e32 v[155:156], v[2:3], v[20:21]
	v_mul_f64_e32 v[20:21], v[4:5], v[20:21]
	v_add_f64_e32 v[151:152], v[151:152], v[163:164]
	v_add_f64_e32 v[153:154], v[153:154], v[157:158]
	s_wait_loadcnt_dscnt 0x800
	v_mul_f64_e32 v[157:158], v[6:7], v[24:25]
	v_mul_f64_e32 v[24:25], v[8:9], v[24:25]
	v_fma_f64 v[155:156], v[4:5], v[18:19], v[155:156]
	v_fma_f64 v[163:164], v[2:3], v[18:19], -v[20:21]
	ds_load_b128 v[2:5], v1 offset:1072
	scratch_load_b128 v[18:21], off, off offset:416
	v_add_f64_e32 v[151:152], v[151:152], v[161:162]
	v_add_f64_e32 v[153:154], v[153:154], v[159:160]
	v_fma_f64 v[157:158], v[8:9], v[22:23], v[157:158]
	v_fma_f64 v[161:162], v[6:7], v[22:23], -v[24:25]
	ds_load_b128 v[6:9], v1 offset:1088
	s_wait_loadcnt_dscnt 0x801
	v_mul_f64_e32 v[159:160], v[2:3], v[28:29]
	v_mul_f64_e32 v[28:29], v[4:5], v[28:29]
	scratch_load_b128 v[22:25], off, off offset:432
	v_add_f64_e32 v[151:152], v[151:152], v[163:164]
	v_add_f64_e32 v[153:154], v[153:154], v[155:156]
	s_wait_loadcnt_dscnt 0x800
	v_mul_f64_e32 v[155:156], v[6:7], v[32:33]
	v_mul_f64_e32 v[32:33], v[8:9], v[32:33]
	v_fma_f64 v[159:160], v[4:5], v[26:27], v[159:160]
	v_fma_f64 v[163:164], v[2:3], v[26:27], -v[28:29]
	ds_load_b128 v[2:5], v1 offset:1104
	scratch_load_b128 v[26:29], off, off offset:448
	v_add_f64_e32 v[151:152], v[151:152], v[161:162]
	v_add_f64_e32 v[153:154], v[153:154], v[157:158]
	v_fma_f64 v[155:156], v[8:9], v[30:31], v[155:156]
	v_fma_f64 v[161:162], v[6:7], v[30:31], -v[32:33]
	ds_load_b128 v[6:9], v1 offset:1120
	s_wait_loadcnt_dscnt 0x801
	v_mul_f64_e32 v[157:158], v[2:3], v[36:37]
	v_mul_f64_e32 v[36:37], v[4:5], v[36:37]
	scratch_load_b128 v[30:33], off, off offset:464
	v_add_f64_e32 v[151:152], v[151:152], v[163:164]
	v_add_f64_e32 v[153:154], v[153:154], v[159:160]
	s_wait_loadcnt_dscnt 0x800
	v_mul_f64_e32 v[159:160], v[6:7], v[149:150]
	v_mul_f64_e32 v[149:150], v[8:9], v[149:150]
	v_fma_f64 v[157:158], v[4:5], v[34:35], v[157:158]
	v_fma_f64 v[163:164], v[2:3], v[34:35], -v[36:37]
	ds_load_b128 v[2:5], v1 offset:1136
	scratch_load_b128 v[34:37], off, off offset:480
	v_add_f64_e32 v[151:152], v[151:152], v[161:162]
	v_add_f64_e32 v[153:154], v[153:154], v[155:156]
	v_fma_f64 v[159:160], v[8:9], v[147:148], v[159:160]
	v_fma_f64 v[161:162], v[6:7], v[147:148], -v[149:150]
	ds_load_b128 v[6:9], v1 offset:1152
	scratch_load_b128 v[147:150], off, off offset:496
	s_wait_loadcnt_dscnt 0x901
	v_mul_f64_e32 v[155:156], v[2:3], v[40:41]
	v_mul_f64_e32 v[40:41], v[4:5], v[40:41]
	v_add_f64_e32 v[151:152], v[151:152], v[163:164]
	v_add_f64_e32 v[153:154], v[153:154], v[157:158]
	s_wait_loadcnt_dscnt 0x800
	v_mul_f64_e32 v[157:158], v[6:7], v[145:146]
	v_mul_f64_e32 v[145:146], v[8:9], v[145:146]
	v_fma_f64 v[155:156], v[4:5], v[38:39], v[155:156]
	v_fma_f64 v[163:164], v[2:3], v[38:39], -v[40:41]
	ds_load_b128 v[2:5], v1 offset:1168
	scratch_load_b128 v[38:41], off, off offset:512
	v_add_f64_e32 v[151:152], v[151:152], v[161:162]
	v_add_f64_e32 v[153:154], v[153:154], v[159:160]
	v_fma_f64 v[157:158], v[8:9], v[143:144], v[157:158]
	v_fma_f64 v[161:162], v[6:7], v[143:144], -v[145:146]
	ds_load_b128 v[6:9], v1 offset:1184
	s_wait_loadcnt_dscnt 0x801
	v_mul_f64_e32 v[159:160], v[2:3], v[12:13]
	v_mul_f64_e32 v[12:13], v[4:5], v[12:13]
	scratch_load_b128 v[143:146], off, off offset:528
	v_add_f64_e32 v[151:152], v[151:152], v[163:164]
	v_add_f64_e32 v[153:154], v[153:154], v[155:156]
	s_wait_loadcnt_dscnt 0x800
	v_mul_f64_e32 v[155:156], v[6:7], v[16:17]
	v_mul_f64_e32 v[16:17], v[8:9], v[16:17]
	v_fma_f64 v[159:160], v[4:5], v[10:11], v[159:160]
	v_fma_f64 v[163:164], v[2:3], v[10:11], -v[12:13]
	ds_load_b128 v[2:5], v1 offset:1200
	scratch_load_b128 v[10:13], off, off offset:544
	v_add_f64_e32 v[151:152], v[151:152], v[161:162]
	v_add_f64_e32 v[153:154], v[153:154], v[157:158]
	v_fma_f64 v[155:156], v[8:9], v[14:15], v[155:156]
	v_fma_f64 v[161:162], v[6:7], v[14:15], -v[16:17]
	ds_load_b128 v[6:9], v1 offset:1216
	s_wait_loadcnt_dscnt 0x801
	v_mul_f64_e32 v[157:158], v[2:3], v[20:21]
	v_mul_f64_e32 v[20:21], v[4:5], v[20:21]
	scratch_load_b128 v[14:17], off, off offset:560
	;; [unrolled: 18-line block ×9, first 2 shown]
	v_add_f64_e32 v[151:152], v[151:152], v[163:164]
	v_add_f64_e32 v[153:154], v[153:154], v[157:158]
	s_wait_loadcnt_dscnt 0x800
	v_mul_f64_e32 v[157:158], v[6:7], v[149:150]
	v_mul_f64_e32 v[149:150], v[8:9], v[149:150]
	v_fma_f64 v[155:156], v[4:5], v[34:35], v[155:156]
	v_fma_f64 v[163:164], v[2:3], v[34:35], -v[36:37]
	ds_load_b128 v[2:5], v1 offset:1456
	scratch_load_b128 v[34:37], off, off offset:800
	v_add_f64_e32 v[151:152], v[151:152], v[161:162]
	v_add_f64_e32 v[153:154], v[153:154], v[159:160]
	v_fma_f64 v[157:158], v[8:9], v[147:148], v[157:158]
	v_fma_f64 v[147:148], v[6:7], v[147:148], -v[149:150]
	ds_load_b128 v[6:9], v1 offset:1472
	s_wait_loadcnt_dscnt 0x801
	v_mul_f64_e32 v[159:160], v[2:3], v[40:41]
	v_mul_f64_e32 v[40:41], v[4:5], v[40:41]
	v_add_f64_e32 v[149:150], v[151:152], v[163:164]
	v_add_f64_e32 v[151:152], v[153:154], v[155:156]
	s_wait_loadcnt_dscnt 0x700
	v_mul_f64_e32 v[153:154], v[6:7], v[145:146]
	v_mul_f64_e32 v[145:146], v[8:9], v[145:146]
	v_fma_f64 v[155:156], v[4:5], v[38:39], v[159:160]
	v_fma_f64 v[38:39], v[2:3], v[38:39], -v[40:41]
	ds_load_b128 v[2:5], v1 offset:1488
	v_add_f64_e32 v[40:41], v[149:150], v[147:148]
	v_add_f64_e32 v[147:148], v[151:152], v[157:158]
	v_fma_f64 v[151:152], v[8:9], v[143:144], v[153:154]
	v_fma_f64 v[143:144], v[6:7], v[143:144], -v[145:146]
	ds_load_b128 v[6:9], v1 offset:1504
	s_wait_loadcnt_dscnt 0x500
	v_mul_f64_e32 v[153:154], v[6:7], v[16:17]
	v_mul_f64_e32 v[16:17], v[8:9], v[16:17]
	v_add_f64_e32 v[145:146], v[40:41], v[38:39]
	v_add_f64_e32 v[147:148], v[147:148], v[155:156]
	scratch_load_b128 v[38:41], off, off offset:176
	v_mul_f64_e32 v[149:150], v[2:3], v[12:13]
	v_mul_f64_e32 v[12:13], v[4:5], v[12:13]
	s_delay_alu instid0(VALU_DEP_2) | instskip(NEXT) | instid1(VALU_DEP_2)
	v_fma_f64 v[149:150], v[4:5], v[10:11], v[149:150]
	v_fma_f64 v[10:11], v[2:3], v[10:11], -v[12:13]
	v_add_f64_e32 v[12:13], v[145:146], v[143:144]
	v_add_f64_e32 v[143:144], v[147:148], v[151:152]
	ds_load_b128 v[2:5], v1 offset:1520
	v_fma_f64 v[147:148], v[8:9], v[14:15], v[153:154]
	v_fma_f64 v[14:15], v[6:7], v[14:15], -v[16:17]
	ds_load_b128 v[6:9], v1 offset:1536
	s_wait_loadcnt_dscnt 0x501
	v_mul_f64_e32 v[145:146], v[2:3], v[20:21]
	v_mul_f64_e32 v[20:21], v[4:5], v[20:21]
	s_wait_loadcnt_dscnt 0x400
	v_mul_f64_e32 v[16:17], v[6:7], v[24:25]
	v_mul_f64_e32 v[24:25], v[8:9], v[24:25]
	v_add_f64_e32 v[10:11], v[12:13], v[10:11]
	v_add_f64_e32 v[12:13], v[143:144], v[149:150]
	v_fma_f64 v[143:144], v[4:5], v[18:19], v[145:146]
	v_fma_f64 v[18:19], v[2:3], v[18:19], -v[20:21]
	ds_load_b128 v[2:5], v1 offset:1552
	v_fma_f64 v[16:17], v[8:9], v[22:23], v[16:17]
	v_fma_f64 v[22:23], v[6:7], v[22:23], -v[24:25]
	ds_load_b128 v[6:9], v1 offset:1568
	v_add_f64_e32 v[10:11], v[10:11], v[14:15]
	v_add_f64_e32 v[12:13], v[12:13], v[147:148]
	s_wait_loadcnt_dscnt 0x301
	v_mul_f64_e32 v[14:15], v[2:3], v[28:29]
	v_mul_f64_e32 v[20:21], v[4:5], v[28:29]
	s_wait_loadcnt_dscnt 0x200
	v_mul_f64_e32 v[24:25], v[8:9], v[32:33]
	v_add_f64_e32 v[10:11], v[10:11], v[18:19]
	v_add_f64_e32 v[12:13], v[12:13], v[143:144]
	v_mul_f64_e32 v[18:19], v[6:7], v[32:33]
	v_fma_f64 v[14:15], v[4:5], v[26:27], v[14:15]
	v_fma_f64 v[20:21], v[2:3], v[26:27], -v[20:21]
	ds_load_b128 v[2:5], v1 offset:1584
	v_fma_f64 v[6:7], v[6:7], v[30:31], -v[24:25]
	v_add_f64_e32 v[10:11], v[10:11], v[22:23]
	v_add_f64_e32 v[12:13], v[12:13], v[16:17]
	s_wait_loadcnt_dscnt 0x100
	v_mul_f64_e32 v[16:17], v[2:3], v[36:37]
	v_mul_f64_e32 v[22:23], v[4:5], v[36:37]
	v_fma_f64 v[8:9], v[8:9], v[30:31], v[18:19]
	v_add_f64_e32 v[10:11], v[10:11], v[20:21]
	v_add_f64_e32 v[12:13], v[12:13], v[14:15]
	v_fma_f64 v[4:5], v[4:5], v[34:35], v[16:17]
	v_fma_f64 v[2:3], v[2:3], v[34:35], -v[22:23]
	s_delay_alu instid0(VALU_DEP_4) | instskip(NEXT) | instid1(VALU_DEP_4)
	v_add_f64_e32 v[6:7], v[10:11], v[6:7]
	v_add_f64_e32 v[8:9], v[12:13], v[8:9]
	s_delay_alu instid0(VALU_DEP_2) | instskip(NEXT) | instid1(VALU_DEP_2)
	v_add_f64_e32 v[2:3], v[6:7], v[2:3]
	v_add_f64_e32 v[4:5], v[8:9], v[4:5]
	s_wait_loadcnt 0x0
	s_delay_alu instid0(VALU_DEP_2) | instskip(NEXT) | instid1(VALU_DEP_2)
	v_add_f64_e64 v[2:3], v[38:39], -v[2:3]
	v_add_f64_e64 v[4:5], v[40:41], -v[4:5]
	scratch_store_b128 off, v[2:5], off offset:176
	v_cmpx_lt_u32_e32 9, v0
	s_cbranch_execz .LBB49_295
; %bb.294:
	scratch_load_b128 v[5:8], off, s54
	v_dual_mov_b32 v2, v1 :: v_dual_mov_b32 v3, v1
	v_mov_b32_e32 v4, v1
	scratch_store_b128 off, v[1:4], off offset:160
	s_wait_loadcnt 0x0
	ds_store_b128 v142, v[5:8]
.LBB49_295:
	s_wait_alu 0xfffe
	s_or_b32 exec_lo, exec_lo, s0
	s_wait_storecnt_dscnt 0x0
	s_barrier_signal -1
	s_barrier_wait -1
	global_inv scope:SCOPE_SE
	s_clause 0x7
	scratch_load_b128 v[2:5], off, off offset:176
	scratch_load_b128 v[6:9], off, off offset:192
	;; [unrolled: 1-line block ×8, first 2 shown]
	ds_load_b128 v[38:41], v1 offset:960
	ds_load_b128 v[143:146], v1 offset:976
	s_clause 0x1
	scratch_load_b128 v[34:37], off, off offset:304
	scratch_load_b128 v[147:150], off, off offset:320
	s_mov_b32 s0, exec_lo
	s_wait_loadcnt_dscnt 0x901
	v_mul_f64_e32 v[151:152], v[40:41], v[4:5]
	v_mul_f64_e32 v[4:5], v[38:39], v[4:5]
	s_wait_loadcnt_dscnt 0x800
	v_mul_f64_e32 v[153:154], v[143:144], v[8:9]
	v_mul_f64_e32 v[8:9], v[145:146], v[8:9]
	s_delay_alu instid0(VALU_DEP_4) | instskip(NEXT) | instid1(VALU_DEP_4)
	v_fma_f64 v[151:152], v[38:39], v[2:3], -v[151:152]
	v_fma_f64 v[155:156], v[40:41], v[2:3], v[4:5]
	ds_load_b128 v[2:5], v1 offset:992
	scratch_load_b128 v[38:41], off, off offset:336
	v_fma_f64 v[153:154], v[145:146], v[6:7], v[153:154]
	v_fma_f64 v[159:160], v[143:144], v[6:7], -v[8:9]
	ds_load_b128 v[6:9], v1 offset:1008
	scratch_load_b128 v[143:146], off, off offset:352
	s_wait_loadcnt_dscnt 0x901
	v_mul_f64_e32 v[157:158], v[2:3], v[12:13]
	v_mul_f64_e32 v[12:13], v[4:5], v[12:13]
	s_wait_loadcnt_dscnt 0x800
	v_mul_f64_e32 v[161:162], v[6:7], v[16:17]
	v_mul_f64_e32 v[16:17], v[8:9], v[16:17]
	v_add_f64_e32 v[151:152], 0, v[151:152]
	v_add_f64_e32 v[155:156], 0, v[155:156]
	v_fma_f64 v[157:158], v[4:5], v[10:11], v[157:158]
	v_fma_f64 v[163:164], v[2:3], v[10:11], -v[12:13]
	ds_load_b128 v[2:5], v1 offset:1024
	scratch_load_b128 v[10:13], off, off offset:368
	v_add_f64_e32 v[151:152], v[151:152], v[159:160]
	v_add_f64_e32 v[153:154], v[155:156], v[153:154]
	v_fma_f64 v[159:160], v[8:9], v[14:15], v[161:162]
	v_fma_f64 v[161:162], v[6:7], v[14:15], -v[16:17]
	ds_load_b128 v[6:9], v1 offset:1040
	scratch_load_b128 v[14:17], off, off offset:384
	s_wait_loadcnt_dscnt 0x901
	v_mul_f64_e32 v[155:156], v[2:3], v[20:21]
	v_mul_f64_e32 v[20:21], v[4:5], v[20:21]
	v_add_f64_e32 v[151:152], v[151:152], v[163:164]
	v_add_f64_e32 v[153:154], v[153:154], v[157:158]
	s_wait_loadcnt_dscnt 0x800
	v_mul_f64_e32 v[157:158], v[6:7], v[24:25]
	v_mul_f64_e32 v[24:25], v[8:9], v[24:25]
	v_fma_f64 v[155:156], v[4:5], v[18:19], v[155:156]
	v_fma_f64 v[163:164], v[2:3], v[18:19], -v[20:21]
	ds_load_b128 v[2:5], v1 offset:1056
	scratch_load_b128 v[18:21], off, off offset:400
	v_add_f64_e32 v[151:152], v[151:152], v[161:162]
	v_add_f64_e32 v[153:154], v[153:154], v[159:160]
	v_fma_f64 v[157:158], v[8:9], v[22:23], v[157:158]
	v_fma_f64 v[161:162], v[6:7], v[22:23], -v[24:25]
	ds_load_b128 v[6:9], v1 offset:1072
	s_wait_loadcnt_dscnt 0x801
	v_mul_f64_e32 v[159:160], v[2:3], v[28:29]
	v_mul_f64_e32 v[28:29], v[4:5], v[28:29]
	scratch_load_b128 v[22:25], off, off offset:416
	v_add_f64_e32 v[151:152], v[151:152], v[163:164]
	v_add_f64_e32 v[153:154], v[153:154], v[155:156]
	s_wait_loadcnt_dscnt 0x800
	v_mul_f64_e32 v[155:156], v[6:7], v[32:33]
	v_mul_f64_e32 v[32:33], v[8:9], v[32:33]
	v_fma_f64 v[159:160], v[4:5], v[26:27], v[159:160]
	v_fma_f64 v[163:164], v[2:3], v[26:27], -v[28:29]
	ds_load_b128 v[2:5], v1 offset:1088
	scratch_load_b128 v[26:29], off, off offset:432
	v_add_f64_e32 v[151:152], v[151:152], v[161:162]
	v_add_f64_e32 v[153:154], v[153:154], v[157:158]
	v_fma_f64 v[155:156], v[8:9], v[30:31], v[155:156]
	v_fma_f64 v[161:162], v[6:7], v[30:31], -v[32:33]
	ds_load_b128 v[6:9], v1 offset:1104
	s_wait_loadcnt_dscnt 0x801
	v_mul_f64_e32 v[157:158], v[2:3], v[36:37]
	v_mul_f64_e32 v[36:37], v[4:5], v[36:37]
	scratch_load_b128 v[30:33], off, off offset:448
	v_add_f64_e32 v[151:152], v[151:152], v[163:164]
	v_add_f64_e32 v[153:154], v[153:154], v[159:160]
	s_wait_loadcnt_dscnt 0x800
	v_mul_f64_e32 v[159:160], v[6:7], v[149:150]
	v_mul_f64_e32 v[149:150], v[8:9], v[149:150]
	v_fma_f64 v[157:158], v[4:5], v[34:35], v[157:158]
	v_fma_f64 v[163:164], v[2:3], v[34:35], -v[36:37]
	ds_load_b128 v[2:5], v1 offset:1120
	scratch_load_b128 v[34:37], off, off offset:464
	v_add_f64_e32 v[151:152], v[151:152], v[161:162]
	v_add_f64_e32 v[153:154], v[153:154], v[155:156]
	v_fma_f64 v[159:160], v[8:9], v[147:148], v[159:160]
	v_fma_f64 v[161:162], v[6:7], v[147:148], -v[149:150]
	ds_load_b128 v[6:9], v1 offset:1136
	scratch_load_b128 v[147:150], off, off offset:480
	s_wait_loadcnt_dscnt 0x901
	v_mul_f64_e32 v[155:156], v[2:3], v[40:41]
	v_mul_f64_e32 v[40:41], v[4:5], v[40:41]
	v_add_f64_e32 v[151:152], v[151:152], v[163:164]
	v_add_f64_e32 v[153:154], v[153:154], v[157:158]
	s_wait_loadcnt_dscnt 0x800
	v_mul_f64_e32 v[157:158], v[6:7], v[145:146]
	v_mul_f64_e32 v[145:146], v[8:9], v[145:146]
	v_fma_f64 v[155:156], v[4:5], v[38:39], v[155:156]
	v_fma_f64 v[163:164], v[2:3], v[38:39], -v[40:41]
	ds_load_b128 v[2:5], v1 offset:1152
	scratch_load_b128 v[38:41], off, off offset:496
	v_add_f64_e32 v[151:152], v[151:152], v[161:162]
	v_add_f64_e32 v[153:154], v[153:154], v[159:160]
	v_fma_f64 v[157:158], v[8:9], v[143:144], v[157:158]
	v_fma_f64 v[161:162], v[6:7], v[143:144], -v[145:146]
	ds_load_b128 v[6:9], v1 offset:1168
	s_wait_loadcnt_dscnt 0x801
	v_mul_f64_e32 v[159:160], v[2:3], v[12:13]
	v_mul_f64_e32 v[12:13], v[4:5], v[12:13]
	scratch_load_b128 v[143:146], off, off offset:512
	v_add_f64_e32 v[151:152], v[151:152], v[163:164]
	v_add_f64_e32 v[153:154], v[153:154], v[155:156]
	s_wait_loadcnt_dscnt 0x800
	v_mul_f64_e32 v[155:156], v[6:7], v[16:17]
	v_mul_f64_e32 v[16:17], v[8:9], v[16:17]
	v_fma_f64 v[159:160], v[4:5], v[10:11], v[159:160]
	v_fma_f64 v[163:164], v[2:3], v[10:11], -v[12:13]
	scratch_load_b128 v[10:13], off, off offset:528
	ds_load_b128 v[2:5], v1 offset:1184
	v_add_f64_e32 v[151:152], v[151:152], v[161:162]
	v_add_f64_e32 v[153:154], v[153:154], v[157:158]
	v_fma_f64 v[155:156], v[8:9], v[14:15], v[155:156]
	v_fma_f64 v[161:162], v[6:7], v[14:15], -v[16:17]
	ds_load_b128 v[6:9], v1 offset:1200
	s_wait_loadcnt_dscnt 0x801
	v_mul_f64_e32 v[157:158], v[2:3], v[20:21]
	v_mul_f64_e32 v[20:21], v[4:5], v[20:21]
	scratch_load_b128 v[14:17], off, off offset:544
	v_add_f64_e32 v[151:152], v[151:152], v[163:164]
	v_add_f64_e32 v[153:154], v[153:154], v[159:160]
	s_wait_loadcnt_dscnt 0x800
	v_mul_f64_e32 v[159:160], v[6:7], v[24:25]
	v_mul_f64_e32 v[24:25], v[8:9], v[24:25]
	v_fma_f64 v[157:158], v[4:5], v[18:19], v[157:158]
	v_fma_f64 v[163:164], v[2:3], v[18:19], -v[20:21]
	ds_load_b128 v[2:5], v1 offset:1216
	scratch_load_b128 v[18:21], off, off offset:560
	v_add_f64_e32 v[151:152], v[151:152], v[161:162]
	v_add_f64_e32 v[153:154], v[153:154], v[155:156]
	v_fma_f64 v[159:160], v[8:9], v[22:23], v[159:160]
	v_fma_f64 v[161:162], v[6:7], v[22:23], -v[24:25]
	ds_load_b128 v[6:9], v1 offset:1232
	s_wait_loadcnt_dscnt 0x801
	v_mul_f64_e32 v[155:156], v[2:3], v[28:29]
	v_mul_f64_e32 v[28:29], v[4:5], v[28:29]
	scratch_load_b128 v[22:25], off, off offset:576
	v_add_f64_e32 v[151:152], v[151:152], v[163:164]
	v_add_f64_e32 v[153:154], v[153:154], v[157:158]
	s_wait_loadcnt_dscnt 0x800
	v_mul_f64_e32 v[157:158], v[6:7], v[32:33]
	v_mul_f64_e32 v[32:33], v[8:9], v[32:33]
	v_fma_f64 v[155:156], v[4:5], v[26:27], v[155:156]
	v_fma_f64 v[163:164], v[2:3], v[26:27], -v[28:29]
	ds_load_b128 v[2:5], v1 offset:1248
	scratch_load_b128 v[26:29], off, off offset:592
	;; [unrolled: 18-line block ×4, first 2 shown]
	v_add_f64_e32 v[151:152], v[151:152], v[161:162]
	v_add_f64_e32 v[153:154], v[153:154], v[155:156]
	v_fma_f64 v[159:160], v[8:9], v[143:144], v[159:160]
	v_fma_f64 v[161:162], v[6:7], v[143:144], -v[145:146]
	ds_load_b128 v[6:9], v1 offset:1328
	s_wait_loadcnt_dscnt 0x801
	v_mul_f64_e32 v[155:156], v[2:3], v[12:13]
	v_mul_f64_e32 v[12:13], v[4:5], v[12:13]
	scratch_load_b128 v[143:146], off, off offset:672
	v_add_f64_e32 v[151:152], v[151:152], v[163:164]
	v_add_f64_e32 v[153:154], v[153:154], v[157:158]
	s_wait_loadcnt_dscnt 0x800
	v_mul_f64_e32 v[157:158], v[6:7], v[16:17]
	v_mul_f64_e32 v[16:17], v[8:9], v[16:17]
	v_fma_f64 v[155:156], v[4:5], v[10:11], v[155:156]
	v_fma_f64 v[163:164], v[2:3], v[10:11], -v[12:13]
	scratch_load_b128 v[10:13], off, off offset:688
	ds_load_b128 v[2:5], v1 offset:1344
	v_add_f64_e32 v[151:152], v[151:152], v[161:162]
	v_add_f64_e32 v[153:154], v[153:154], v[159:160]
	v_fma_f64 v[157:158], v[8:9], v[14:15], v[157:158]
	v_fma_f64 v[161:162], v[6:7], v[14:15], -v[16:17]
	ds_load_b128 v[6:9], v1 offset:1360
	s_wait_loadcnt_dscnt 0x801
	v_mul_f64_e32 v[159:160], v[2:3], v[20:21]
	v_mul_f64_e32 v[20:21], v[4:5], v[20:21]
	scratch_load_b128 v[14:17], off, off offset:704
	v_add_f64_e32 v[151:152], v[151:152], v[163:164]
	v_add_f64_e32 v[153:154], v[153:154], v[155:156]
	s_wait_loadcnt_dscnt 0x800
	v_mul_f64_e32 v[155:156], v[6:7], v[24:25]
	v_mul_f64_e32 v[24:25], v[8:9], v[24:25]
	v_fma_f64 v[159:160], v[4:5], v[18:19], v[159:160]
	v_fma_f64 v[163:164], v[2:3], v[18:19], -v[20:21]
	ds_load_b128 v[2:5], v1 offset:1376
	scratch_load_b128 v[18:21], off, off offset:720
	v_add_f64_e32 v[151:152], v[151:152], v[161:162]
	v_add_f64_e32 v[153:154], v[153:154], v[157:158]
	v_fma_f64 v[155:156], v[8:9], v[22:23], v[155:156]
	v_fma_f64 v[161:162], v[6:7], v[22:23], -v[24:25]
	ds_load_b128 v[6:9], v1 offset:1392
	s_wait_loadcnt_dscnt 0x801
	v_mul_f64_e32 v[157:158], v[2:3], v[28:29]
	v_mul_f64_e32 v[28:29], v[4:5], v[28:29]
	scratch_load_b128 v[22:25], off, off offset:736
	v_add_f64_e32 v[151:152], v[151:152], v[163:164]
	v_add_f64_e32 v[153:154], v[153:154], v[159:160]
	s_wait_loadcnt_dscnt 0x800
	v_mul_f64_e32 v[159:160], v[6:7], v[32:33]
	v_mul_f64_e32 v[32:33], v[8:9], v[32:33]
	v_fma_f64 v[157:158], v[4:5], v[26:27], v[157:158]
	v_fma_f64 v[163:164], v[2:3], v[26:27], -v[28:29]
	ds_load_b128 v[2:5], v1 offset:1408
	scratch_load_b128 v[26:29], off, off offset:752
	;; [unrolled: 18-line block ×3, first 2 shown]
	v_add_f64_e32 v[151:152], v[151:152], v[161:162]
	v_add_f64_e32 v[153:154], v[153:154], v[159:160]
	v_fma_f64 v[157:158], v[8:9], v[147:148], v[157:158]
	v_fma_f64 v[161:162], v[6:7], v[147:148], -v[149:150]
	ds_load_b128 v[6:9], v1 offset:1456
	s_wait_loadcnt_dscnt 0x801
	v_mul_f64_e32 v[159:160], v[2:3], v[40:41]
	v_mul_f64_e32 v[40:41], v[4:5], v[40:41]
	scratch_load_b128 v[147:150], off, off offset:800
	v_add_f64_e32 v[151:152], v[151:152], v[163:164]
	v_add_f64_e32 v[153:154], v[153:154], v[155:156]
	v_fma_f64 v[159:160], v[4:5], v[38:39], v[159:160]
	v_fma_f64 v[38:39], v[2:3], v[38:39], -v[40:41]
	ds_load_b128 v[2:5], v1 offset:1472
	v_add_f64_e32 v[40:41], v[151:152], v[161:162]
	v_add_f64_e32 v[151:152], v[153:154], v[157:158]
	s_wait_loadcnt_dscnt 0x700
	v_mul_f64_e32 v[153:154], v[2:3], v[12:13]
	v_mul_f64_e32 v[12:13], v[4:5], v[12:13]
	s_delay_alu instid0(VALU_DEP_4) | instskip(NEXT) | instid1(VALU_DEP_4)
	v_add_f64_e32 v[38:39], v[40:41], v[38:39]
	v_add_f64_e32 v[40:41], v[151:152], v[159:160]
	s_delay_alu instid0(VALU_DEP_4) | instskip(NEXT) | instid1(VALU_DEP_4)
	v_fma_f64 v[151:152], v[4:5], v[10:11], v[153:154]
	v_fma_f64 v[153:154], v[2:3], v[10:11], -v[12:13]
	scratch_load_b128 v[10:13], off, off offset:160
	v_mul_f64_e32 v[155:156], v[6:7], v[145:146]
	v_mul_f64_e32 v[145:146], v[8:9], v[145:146]
	ds_load_b128 v[2:5], v1 offset:1504
	v_fma_f64 v[155:156], v[8:9], v[143:144], v[155:156]
	v_fma_f64 v[143:144], v[6:7], v[143:144], -v[145:146]
	ds_load_b128 v[6:9], v1 offset:1488
	s_wait_loadcnt_dscnt 0x700
	v_mul_f64_e32 v[145:146], v[6:7], v[16:17]
	v_mul_f64_e32 v[16:17], v[8:9], v[16:17]
	v_add_f64_e32 v[40:41], v[40:41], v[155:156]
	v_add_f64_e32 v[38:39], v[38:39], v[143:144]
	s_wait_loadcnt 0x6
	v_mul_f64_e32 v[143:144], v[2:3], v[20:21]
	v_mul_f64_e32 v[20:21], v[4:5], v[20:21]
	v_fma_f64 v[145:146], v[8:9], v[14:15], v[145:146]
	v_fma_f64 v[14:15], v[6:7], v[14:15], -v[16:17]
	ds_load_b128 v[6:9], v1 offset:1520
	v_add_f64_e32 v[16:17], v[38:39], v[153:154]
	v_add_f64_e32 v[38:39], v[40:41], v[151:152]
	v_fma_f64 v[143:144], v[4:5], v[18:19], v[143:144]
	v_fma_f64 v[18:19], v[2:3], v[18:19], -v[20:21]
	ds_load_b128 v[2:5], v1 offset:1536
	s_wait_loadcnt_dscnt 0x501
	v_mul_f64_e32 v[40:41], v[6:7], v[24:25]
	v_mul_f64_e32 v[24:25], v[8:9], v[24:25]
	s_wait_loadcnt_dscnt 0x400
	v_mul_f64_e32 v[20:21], v[2:3], v[28:29]
	v_mul_f64_e32 v[28:29], v[4:5], v[28:29]
	v_add_f64_e32 v[14:15], v[16:17], v[14:15]
	v_add_f64_e32 v[16:17], v[38:39], v[145:146]
	v_fma_f64 v[38:39], v[8:9], v[22:23], v[40:41]
	v_fma_f64 v[22:23], v[6:7], v[22:23], -v[24:25]
	ds_load_b128 v[6:9], v1 offset:1552
	v_fma_f64 v[20:21], v[4:5], v[26:27], v[20:21]
	v_fma_f64 v[26:27], v[2:3], v[26:27], -v[28:29]
	ds_load_b128 v[2:5], v1 offset:1568
	s_wait_loadcnt_dscnt 0x301
	v_mul_f64_e32 v[24:25], v[8:9], v[32:33]
	v_add_f64_e32 v[14:15], v[14:15], v[18:19]
	v_add_f64_e32 v[16:17], v[16:17], v[143:144]
	v_mul_f64_e32 v[18:19], v[6:7], v[32:33]
	s_wait_loadcnt_dscnt 0x200
	v_mul_f64_e32 v[28:29], v[4:5], v[36:37]
	v_fma_f64 v[24:25], v[6:7], v[30:31], -v[24:25]
	v_add_f64_e32 v[14:15], v[14:15], v[22:23]
	v_add_f64_e32 v[16:17], v[16:17], v[38:39]
	v_mul_f64_e32 v[22:23], v[2:3], v[36:37]
	v_fma_f64 v[18:19], v[8:9], v[30:31], v[18:19]
	ds_load_b128 v[6:9], v1 offset:1584
	v_fma_f64 v[1:2], v[2:3], v[34:35], -v[28:29]
	v_add_f64_e32 v[14:15], v[14:15], v[26:27]
	v_add_f64_e32 v[16:17], v[16:17], v[20:21]
	s_wait_loadcnt_dscnt 0x100
	v_mul_f64_e32 v[20:21], v[6:7], v[149:150]
	v_mul_f64_e32 v[26:27], v[8:9], v[149:150]
	v_fma_f64 v[4:5], v[4:5], v[34:35], v[22:23]
	v_add_f64_e32 v[14:15], v[14:15], v[24:25]
	v_add_f64_e32 v[16:17], v[16:17], v[18:19]
	v_fma_f64 v[8:9], v[8:9], v[147:148], v[20:21]
	v_fma_f64 v[6:7], v[6:7], v[147:148], -v[26:27]
	s_delay_alu instid0(VALU_DEP_4) | instskip(NEXT) | instid1(VALU_DEP_4)
	v_add_f64_e32 v[1:2], v[14:15], v[1:2]
	v_add_f64_e32 v[3:4], v[16:17], v[4:5]
	s_delay_alu instid0(VALU_DEP_2) | instskip(NEXT) | instid1(VALU_DEP_2)
	v_add_f64_e32 v[1:2], v[1:2], v[6:7]
	v_add_f64_e32 v[3:4], v[3:4], v[8:9]
	s_wait_loadcnt 0x0
	s_delay_alu instid0(VALU_DEP_2) | instskip(NEXT) | instid1(VALU_DEP_2)
	v_add_f64_e64 v[1:2], v[10:11], -v[1:2]
	v_add_f64_e64 v[3:4], v[12:13], -v[3:4]
	scratch_store_b128 off, v[1:4], off offset:160
	v_cmpx_lt_u32_e32 8, v0
	s_cbranch_execz .LBB49_297
; %bb.296:
	scratch_load_b128 v[1:4], off, s55
	v_mov_b32_e32 v5, 0
	s_delay_alu instid0(VALU_DEP_1)
	v_dual_mov_b32 v6, v5 :: v_dual_mov_b32 v7, v5
	v_mov_b32_e32 v8, v5
	scratch_store_b128 off, v[5:8], off offset:144
	s_wait_loadcnt 0x0
	ds_store_b128 v142, v[1:4]
.LBB49_297:
	s_wait_alu 0xfffe
	s_or_b32 exec_lo, exec_lo, s0
	s_wait_storecnt_dscnt 0x0
	s_barrier_signal -1
	s_barrier_wait -1
	global_inv scope:SCOPE_SE
	s_clause 0x7
	scratch_load_b128 v[2:5], off, off offset:160
	scratch_load_b128 v[6:9], off, off offset:176
	;; [unrolled: 1-line block ×8, first 2 shown]
	v_mov_b32_e32 v1, 0
	s_clause 0x1
	scratch_load_b128 v[34:37], off, off offset:288
	scratch_load_b128 v[147:150], off, off offset:304
	s_mov_b32 s0, exec_lo
	ds_load_b128 v[38:41], v1 offset:944
	ds_load_b128 v[143:146], v1 offset:960
	s_wait_loadcnt_dscnt 0x901
	v_mul_f64_e32 v[151:152], v[40:41], v[4:5]
	v_mul_f64_e32 v[4:5], v[38:39], v[4:5]
	s_wait_loadcnt_dscnt 0x800
	v_mul_f64_e32 v[153:154], v[143:144], v[8:9]
	v_mul_f64_e32 v[8:9], v[145:146], v[8:9]
	s_delay_alu instid0(VALU_DEP_4) | instskip(NEXT) | instid1(VALU_DEP_4)
	v_fma_f64 v[151:152], v[38:39], v[2:3], -v[151:152]
	v_fma_f64 v[155:156], v[40:41], v[2:3], v[4:5]
	ds_load_b128 v[2:5], v1 offset:976
	scratch_load_b128 v[38:41], off, off offset:320
	v_fma_f64 v[153:154], v[145:146], v[6:7], v[153:154]
	v_fma_f64 v[159:160], v[143:144], v[6:7], -v[8:9]
	ds_load_b128 v[6:9], v1 offset:992
	scratch_load_b128 v[143:146], off, off offset:336
	s_wait_loadcnt_dscnt 0x901
	v_mul_f64_e32 v[157:158], v[2:3], v[12:13]
	v_mul_f64_e32 v[12:13], v[4:5], v[12:13]
	s_wait_loadcnt_dscnt 0x800
	v_mul_f64_e32 v[161:162], v[6:7], v[16:17]
	v_mul_f64_e32 v[16:17], v[8:9], v[16:17]
	v_add_f64_e32 v[151:152], 0, v[151:152]
	v_add_f64_e32 v[155:156], 0, v[155:156]
	v_fma_f64 v[157:158], v[4:5], v[10:11], v[157:158]
	v_fma_f64 v[163:164], v[2:3], v[10:11], -v[12:13]
	ds_load_b128 v[2:5], v1 offset:1008
	scratch_load_b128 v[10:13], off, off offset:352
	v_add_f64_e32 v[151:152], v[151:152], v[159:160]
	v_add_f64_e32 v[153:154], v[155:156], v[153:154]
	v_fma_f64 v[159:160], v[8:9], v[14:15], v[161:162]
	v_fma_f64 v[161:162], v[6:7], v[14:15], -v[16:17]
	ds_load_b128 v[6:9], v1 offset:1024
	scratch_load_b128 v[14:17], off, off offset:368
	s_wait_loadcnt_dscnt 0x901
	v_mul_f64_e32 v[155:156], v[2:3], v[20:21]
	v_mul_f64_e32 v[20:21], v[4:5], v[20:21]
	v_add_f64_e32 v[151:152], v[151:152], v[163:164]
	v_add_f64_e32 v[153:154], v[153:154], v[157:158]
	s_wait_loadcnt_dscnt 0x800
	v_mul_f64_e32 v[157:158], v[6:7], v[24:25]
	v_mul_f64_e32 v[24:25], v[8:9], v[24:25]
	v_fma_f64 v[155:156], v[4:5], v[18:19], v[155:156]
	v_fma_f64 v[163:164], v[2:3], v[18:19], -v[20:21]
	ds_load_b128 v[2:5], v1 offset:1040
	scratch_load_b128 v[18:21], off, off offset:384
	v_add_f64_e32 v[151:152], v[151:152], v[161:162]
	v_add_f64_e32 v[153:154], v[153:154], v[159:160]
	v_fma_f64 v[157:158], v[8:9], v[22:23], v[157:158]
	v_fma_f64 v[161:162], v[6:7], v[22:23], -v[24:25]
	ds_load_b128 v[6:9], v1 offset:1056
	s_wait_loadcnt_dscnt 0x801
	v_mul_f64_e32 v[159:160], v[2:3], v[28:29]
	v_mul_f64_e32 v[28:29], v[4:5], v[28:29]
	scratch_load_b128 v[22:25], off, off offset:400
	v_add_f64_e32 v[151:152], v[151:152], v[163:164]
	v_add_f64_e32 v[153:154], v[153:154], v[155:156]
	s_wait_loadcnt_dscnt 0x800
	v_mul_f64_e32 v[155:156], v[6:7], v[32:33]
	v_mul_f64_e32 v[32:33], v[8:9], v[32:33]
	v_fma_f64 v[159:160], v[4:5], v[26:27], v[159:160]
	v_fma_f64 v[163:164], v[2:3], v[26:27], -v[28:29]
	ds_load_b128 v[2:5], v1 offset:1072
	scratch_load_b128 v[26:29], off, off offset:416
	v_add_f64_e32 v[151:152], v[151:152], v[161:162]
	v_add_f64_e32 v[153:154], v[153:154], v[157:158]
	v_fma_f64 v[155:156], v[8:9], v[30:31], v[155:156]
	v_fma_f64 v[161:162], v[6:7], v[30:31], -v[32:33]
	ds_load_b128 v[6:9], v1 offset:1088
	s_wait_loadcnt_dscnt 0x801
	v_mul_f64_e32 v[157:158], v[2:3], v[36:37]
	v_mul_f64_e32 v[36:37], v[4:5], v[36:37]
	scratch_load_b128 v[30:33], off, off offset:432
	v_add_f64_e32 v[151:152], v[151:152], v[163:164]
	v_add_f64_e32 v[153:154], v[153:154], v[159:160]
	s_wait_loadcnt_dscnt 0x800
	v_mul_f64_e32 v[159:160], v[6:7], v[149:150]
	v_mul_f64_e32 v[149:150], v[8:9], v[149:150]
	v_fma_f64 v[157:158], v[4:5], v[34:35], v[157:158]
	v_fma_f64 v[163:164], v[2:3], v[34:35], -v[36:37]
	ds_load_b128 v[2:5], v1 offset:1104
	scratch_load_b128 v[34:37], off, off offset:448
	v_add_f64_e32 v[151:152], v[151:152], v[161:162]
	v_add_f64_e32 v[153:154], v[153:154], v[155:156]
	v_fma_f64 v[159:160], v[8:9], v[147:148], v[159:160]
	v_fma_f64 v[161:162], v[6:7], v[147:148], -v[149:150]
	ds_load_b128 v[6:9], v1 offset:1120
	scratch_load_b128 v[147:150], off, off offset:464
	s_wait_loadcnt_dscnt 0x901
	v_mul_f64_e32 v[155:156], v[2:3], v[40:41]
	v_mul_f64_e32 v[40:41], v[4:5], v[40:41]
	v_add_f64_e32 v[151:152], v[151:152], v[163:164]
	v_add_f64_e32 v[153:154], v[153:154], v[157:158]
	s_wait_loadcnt_dscnt 0x800
	v_mul_f64_e32 v[157:158], v[6:7], v[145:146]
	v_mul_f64_e32 v[145:146], v[8:9], v[145:146]
	v_fma_f64 v[155:156], v[4:5], v[38:39], v[155:156]
	v_fma_f64 v[163:164], v[2:3], v[38:39], -v[40:41]
	ds_load_b128 v[2:5], v1 offset:1136
	scratch_load_b128 v[38:41], off, off offset:480
	v_add_f64_e32 v[151:152], v[151:152], v[161:162]
	v_add_f64_e32 v[153:154], v[153:154], v[159:160]
	v_fma_f64 v[157:158], v[8:9], v[143:144], v[157:158]
	v_fma_f64 v[161:162], v[6:7], v[143:144], -v[145:146]
	ds_load_b128 v[6:9], v1 offset:1152
	s_wait_loadcnt_dscnt 0x801
	v_mul_f64_e32 v[159:160], v[2:3], v[12:13]
	v_mul_f64_e32 v[12:13], v[4:5], v[12:13]
	scratch_load_b128 v[143:146], off, off offset:496
	v_add_f64_e32 v[151:152], v[151:152], v[163:164]
	v_add_f64_e32 v[153:154], v[153:154], v[155:156]
	s_wait_loadcnt_dscnt 0x800
	v_mul_f64_e32 v[155:156], v[6:7], v[16:17]
	v_mul_f64_e32 v[16:17], v[8:9], v[16:17]
	v_fma_f64 v[159:160], v[4:5], v[10:11], v[159:160]
	v_fma_f64 v[163:164], v[2:3], v[10:11], -v[12:13]
	ds_load_b128 v[2:5], v1 offset:1168
	scratch_load_b128 v[10:13], off, off offset:512
	v_add_f64_e32 v[151:152], v[151:152], v[161:162]
	v_add_f64_e32 v[153:154], v[153:154], v[157:158]
	v_fma_f64 v[155:156], v[8:9], v[14:15], v[155:156]
	v_fma_f64 v[161:162], v[6:7], v[14:15], -v[16:17]
	ds_load_b128 v[6:9], v1 offset:1184
	s_wait_loadcnt_dscnt 0x801
	v_mul_f64_e32 v[157:158], v[2:3], v[20:21]
	v_mul_f64_e32 v[20:21], v[4:5], v[20:21]
	scratch_load_b128 v[14:17], off, off offset:528
	v_add_f64_e32 v[151:152], v[151:152], v[163:164]
	v_add_f64_e32 v[153:154], v[153:154], v[159:160]
	s_wait_loadcnt_dscnt 0x800
	v_mul_f64_e32 v[159:160], v[6:7], v[24:25]
	v_mul_f64_e32 v[24:25], v[8:9], v[24:25]
	v_fma_f64 v[157:158], v[4:5], v[18:19], v[157:158]
	v_fma_f64 v[163:164], v[2:3], v[18:19], -v[20:21]
	ds_load_b128 v[2:5], v1 offset:1200
	scratch_load_b128 v[18:21], off, off offset:544
	v_add_f64_e32 v[151:152], v[151:152], v[161:162]
	v_add_f64_e32 v[153:154], v[153:154], v[155:156]
	v_fma_f64 v[159:160], v[8:9], v[22:23], v[159:160]
	v_fma_f64 v[161:162], v[6:7], v[22:23], -v[24:25]
	ds_load_b128 v[6:9], v1 offset:1216
	s_wait_loadcnt_dscnt 0x801
	v_mul_f64_e32 v[155:156], v[2:3], v[28:29]
	v_mul_f64_e32 v[28:29], v[4:5], v[28:29]
	scratch_load_b128 v[22:25], off, off offset:560
	v_add_f64_e32 v[151:152], v[151:152], v[163:164]
	v_add_f64_e32 v[153:154], v[153:154], v[157:158]
	s_wait_loadcnt_dscnt 0x800
	v_mul_f64_e32 v[157:158], v[6:7], v[32:33]
	v_mul_f64_e32 v[32:33], v[8:9], v[32:33]
	v_fma_f64 v[155:156], v[4:5], v[26:27], v[155:156]
	v_fma_f64 v[163:164], v[2:3], v[26:27], -v[28:29]
	ds_load_b128 v[2:5], v1 offset:1232
	scratch_load_b128 v[26:29], off, off offset:576
	v_add_f64_e32 v[151:152], v[151:152], v[161:162]
	v_add_f64_e32 v[153:154], v[153:154], v[159:160]
	v_fma_f64 v[157:158], v[8:9], v[30:31], v[157:158]
	v_fma_f64 v[161:162], v[6:7], v[30:31], -v[32:33]
	ds_load_b128 v[6:9], v1 offset:1248
	s_wait_loadcnt_dscnt 0x801
	v_mul_f64_e32 v[159:160], v[2:3], v[36:37]
	v_mul_f64_e32 v[36:37], v[4:5], v[36:37]
	scratch_load_b128 v[30:33], off, off offset:592
	v_add_f64_e32 v[151:152], v[151:152], v[163:164]
	v_add_f64_e32 v[153:154], v[153:154], v[155:156]
	s_wait_loadcnt_dscnt 0x800
	v_mul_f64_e32 v[155:156], v[6:7], v[149:150]
	v_mul_f64_e32 v[149:150], v[8:9], v[149:150]
	v_fma_f64 v[159:160], v[4:5], v[34:35], v[159:160]
	v_fma_f64 v[163:164], v[2:3], v[34:35], -v[36:37]
	ds_load_b128 v[2:5], v1 offset:1264
	scratch_load_b128 v[34:37], off, off offset:608
	v_add_f64_e32 v[151:152], v[151:152], v[161:162]
	v_add_f64_e32 v[153:154], v[153:154], v[157:158]
	v_fma_f64 v[155:156], v[8:9], v[147:148], v[155:156]
	v_fma_f64 v[161:162], v[6:7], v[147:148], -v[149:150]
	ds_load_b128 v[6:9], v1 offset:1280
	s_wait_loadcnt_dscnt 0x801
	v_mul_f64_e32 v[157:158], v[2:3], v[40:41]
	v_mul_f64_e32 v[40:41], v[4:5], v[40:41]
	scratch_load_b128 v[147:150], off, off offset:624
	v_add_f64_e32 v[151:152], v[151:152], v[163:164]
	v_add_f64_e32 v[153:154], v[153:154], v[159:160]
	s_wait_loadcnt_dscnt 0x800
	v_mul_f64_e32 v[159:160], v[6:7], v[145:146]
	v_mul_f64_e32 v[145:146], v[8:9], v[145:146]
	v_fma_f64 v[157:158], v[4:5], v[38:39], v[157:158]
	v_fma_f64 v[163:164], v[2:3], v[38:39], -v[40:41]
	ds_load_b128 v[2:5], v1 offset:1296
	scratch_load_b128 v[38:41], off, off offset:640
	v_add_f64_e32 v[151:152], v[151:152], v[161:162]
	v_add_f64_e32 v[153:154], v[153:154], v[155:156]
	v_fma_f64 v[159:160], v[8:9], v[143:144], v[159:160]
	v_fma_f64 v[161:162], v[6:7], v[143:144], -v[145:146]
	ds_load_b128 v[6:9], v1 offset:1312
	s_wait_loadcnt_dscnt 0x801
	v_mul_f64_e32 v[155:156], v[2:3], v[12:13]
	v_mul_f64_e32 v[12:13], v[4:5], v[12:13]
	scratch_load_b128 v[143:146], off, off offset:656
	v_add_f64_e32 v[151:152], v[151:152], v[163:164]
	v_add_f64_e32 v[153:154], v[153:154], v[157:158]
	s_wait_loadcnt_dscnt 0x800
	v_mul_f64_e32 v[157:158], v[6:7], v[16:17]
	v_mul_f64_e32 v[16:17], v[8:9], v[16:17]
	v_fma_f64 v[155:156], v[4:5], v[10:11], v[155:156]
	v_fma_f64 v[163:164], v[2:3], v[10:11], -v[12:13]
	ds_load_b128 v[2:5], v1 offset:1328
	scratch_load_b128 v[10:13], off, off offset:672
	v_add_f64_e32 v[151:152], v[151:152], v[161:162]
	v_add_f64_e32 v[153:154], v[153:154], v[159:160]
	v_fma_f64 v[157:158], v[8:9], v[14:15], v[157:158]
	v_fma_f64 v[161:162], v[6:7], v[14:15], -v[16:17]
	ds_load_b128 v[6:9], v1 offset:1344
	s_wait_loadcnt_dscnt 0x801
	v_mul_f64_e32 v[159:160], v[2:3], v[20:21]
	v_mul_f64_e32 v[20:21], v[4:5], v[20:21]
	scratch_load_b128 v[14:17], off, off offset:688
	v_add_f64_e32 v[151:152], v[151:152], v[163:164]
	v_add_f64_e32 v[153:154], v[153:154], v[155:156]
	s_wait_loadcnt_dscnt 0x800
	v_mul_f64_e32 v[155:156], v[6:7], v[24:25]
	v_mul_f64_e32 v[24:25], v[8:9], v[24:25]
	v_fma_f64 v[159:160], v[4:5], v[18:19], v[159:160]
	v_fma_f64 v[163:164], v[2:3], v[18:19], -v[20:21]
	ds_load_b128 v[2:5], v1 offset:1360
	scratch_load_b128 v[18:21], off, off offset:704
	v_add_f64_e32 v[151:152], v[151:152], v[161:162]
	v_add_f64_e32 v[153:154], v[153:154], v[157:158]
	v_fma_f64 v[155:156], v[8:9], v[22:23], v[155:156]
	v_fma_f64 v[161:162], v[6:7], v[22:23], -v[24:25]
	ds_load_b128 v[6:9], v1 offset:1376
	s_wait_loadcnt_dscnt 0x801
	v_mul_f64_e32 v[157:158], v[2:3], v[28:29]
	v_mul_f64_e32 v[28:29], v[4:5], v[28:29]
	scratch_load_b128 v[22:25], off, off offset:720
	v_add_f64_e32 v[151:152], v[151:152], v[163:164]
	v_add_f64_e32 v[153:154], v[153:154], v[159:160]
	s_wait_loadcnt_dscnt 0x800
	v_mul_f64_e32 v[159:160], v[6:7], v[32:33]
	v_mul_f64_e32 v[32:33], v[8:9], v[32:33]
	v_fma_f64 v[157:158], v[4:5], v[26:27], v[157:158]
	v_fma_f64 v[163:164], v[2:3], v[26:27], -v[28:29]
	ds_load_b128 v[2:5], v1 offset:1392
	scratch_load_b128 v[26:29], off, off offset:736
	v_add_f64_e32 v[151:152], v[151:152], v[161:162]
	v_add_f64_e32 v[153:154], v[153:154], v[155:156]
	v_fma_f64 v[159:160], v[8:9], v[30:31], v[159:160]
	v_fma_f64 v[161:162], v[6:7], v[30:31], -v[32:33]
	ds_load_b128 v[6:9], v1 offset:1408
	s_wait_loadcnt_dscnt 0x801
	v_mul_f64_e32 v[155:156], v[2:3], v[36:37]
	v_mul_f64_e32 v[36:37], v[4:5], v[36:37]
	scratch_load_b128 v[30:33], off, off offset:752
	v_add_f64_e32 v[151:152], v[151:152], v[163:164]
	v_add_f64_e32 v[153:154], v[153:154], v[157:158]
	s_wait_loadcnt_dscnt 0x800
	v_mul_f64_e32 v[157:158], v[6:7], v[149:150]
	v_mul_f64_e32 v[149:150], v[8:9], v[149:150]
	v_fma_f64 v[155:156], v[4:5], v[34:35], v[155:156]
	v_fma_f64 v[163:164], v[2:3], v[34:35], -v[36:37]
	ds_load_b128 v[2:5], v1 offset:1424
	scratch_load_b128 v[34:37], off, off offset:768
	v_add_f64_e32 v[151:152], v[151:152], v[161:162]
	v_add_f64_e32 v[153:154], v[153:154], v[159:160]
	v_fma_f64 v[157:158], v[8:9], v[147:148], v[157:158]
	v_fma_f64 v[161:162], v[6:7], v[147:148], -v[149:150]
	ds_load_b128 v[6:9], v1 offset:1440
	s_wait_loadcnt_dscnt 0x801
	v_mul_f64_e32 v[159:160], v[2:3], v[40:41]
	v_mul_f64_e32 v[40:41], v[4:5], v[40:41]
	scratch_load_b128 v[147:150], off, off offset:784
	v_add_f64_e32 v[151:152], v[151:152], v[163:164]
	v_add_f64_e32 v[153:154], v[153:154], v[155:156]
	s_wait_loadcnt_dscnt 0x800
	v_mul_f64_e32 v[155:156], v[6:7], v[145:146]
	v_mul_f64_e32 v[145:146], v[8:9], v[145:146]
	v_fma_f64 v[159:160], v[4:5], v[38:39], v[159:160]
	v_fma_f64 v[163:164], v[2:3], v[38:39], -v[40:41]
	ds_load_b128 v[2:5], v1 offset:1456
	scratch_load_b128 v[38:41], off, off offset:800
	v_add_f64_e32 v[151:152], v[151:152], v[161:162]
	v_add_f64_e32 v[153:154], v[153:154], v[157:158]
	v_fma_f64 v[155:156], v[8:9], v[143:144], v[155:156]
	v_fma_f64 v[143:144], v[6:7], v[143:144], -v[145:146]
	ds_load_b128 v[6:9], v1 offset:1472
	s_wait_loadcnt_dscnt 0x801
	v_mul_f64_e32 v[157:158], v[2:3], v[12:13]
	v_mul_f64_e32 v[12:13], v[4:5], v[12:13]
	v_add_f64_e32 v[145:146], v[151:152], v[163:164]
	v_add_f64_e32 v[151:152], v[153:154], v[159:160]
	s_wait_loadcnt_dscnt 0x700
	v_mul_f64_e32 v[153:154], v[6:7], v[16:17]
	v_mul_f64_e32 v[16:17], v[8:9], v[16:17]
	v_fma_f64 v[157:158], v[4:5], v[10:11], v[157:158]
	v_fma_f64 v[10:11], v[2:3], v[10:11], -v[12:13]
	ds_load_b128 v[2:5], v1 offset:1488
	v_add_f64_e32 v[12:13], v[145:146], v[143:144]
	v_add_f64_e32 v[143:144], v[151:152], v[155:156]
	v_fma_f64 v[151:152], v[8:9], v[14:15], v[153:154]
	v_fma_f64 v[14:15], v[6:7], v[14:15], -v[16:17]
	ds_load_b128 v[6:9], v1 offset:1504
	s_wait_loadcnt_dscnt 0x500
	v_mul_f64_e32 v[153:154], v[6:7], v[24:25]
	v_mul_f64_e32 v[24:25], v[8:9], v[24:25]
	v_add_f64_e32 v[16:17], v[12:13], v[10:11]
	v_add_f64_e32 v[143:144], v[143:144], v[157:158]
	scratch_load_b128 v[10:13], off, off offset:144
	v_mul_f64_e32 v[145:146], v[2:3], v[20:21]
	v_mul_f64_e32 v[20:21], v[4:5], v[20:21]
	v_add_f64_e32 v[14:15], v[16:17], v[14:15]
	v_add_f64_e32 v[16:17], v[143:144], v[151:152]
	v_fma_f64 v[143:144], v[8:9], v[22:23], v[153:154]
	v_fma_f64 v[145:146], v[4:5], v[18:19], v[145:146]
	v_fma_f64 v[18:19], v[2:3], v[18:19], -v[20:21]
	ds_load_b128 v[2:5], v1 offset:1520
	v_fma_f64 v[22:23], v[6:7], v[22:23], -v[24:25]
	ds_load_b128 v[6:9], v1 offset:1536
	s_wait_loadcnt_dscnt 0x501
	v_mul_f64_e32 v[20:21], v[2:3], v[28:29]
	v_mul_f64_e32 v[28:29], v[4:5], v[28:29]
	s_wait_loadcnt_dscnt 0x400
	v_mul_f64_e32 v[24:25], v[8:9], v[32:33]
	v_add_f64_e32 v[16:17], v[16:17], v[145:146]
	v_add_f64_e32 v[14:15], v[14:15], v[18:19]
	v_mul_f64_e32 v[18:19], v[6:7], v[32:33]
	v_fma_f64 v[20:21], v[4:5], v[26:27], v[20:21]
	v_fma_f64 v[26:27], v[2:3], v[26:27], -v[28:29]
	ds_load_b128 v[2:5], v1 offset:1552
	v_fma_f64 v[24:25], v[6:7], v[30:31], -v[24:25]
	v_add_f64_e32 v[16:17], v[16:17], v[143:144]
	v_add_f64_e32 v[14:15], v[14:15], v[22:23]
	v_fma_f64 v[18:19], v[8:9], v[30:31], v[18:19]
	ds_load_b128 v[6:9], v1 offset:1568
	s_wait_loadcnt_dscnt 0x301
	v_mul_f64_e32 v[22:23], v[2:3], v[36:37]
	v_mul_f64_e32 v[28:29], v[4:5], v[36:37]
	v_add_f64_e32 v[16:17], v[16:17], v[20:21]
	v_add_f64_e32 v[14:15], v[14:15], v[26:27]
	s_wait_loadcnt_dscnt 0x200
	v_mul_f64_e32 v[20:21], v[6:7], v[149:150]
	v_mul_f64_e32 v[26:27], v[8:9], v[149:150]
	v_fma_f64 v[22:23], v[4:5], v[34:35], v[22:23]
	v_fma_f64 v[28:29], v[2:3], v[34:35], -v[28:29]
	ds_load_b128 v[2:5], v1 offset:1584
	v_add_f64_e32 v[16:17], v[16:17], v[18:19]
	v_add_f64_e32 v[14:15], v[14:15], v[24:25]
	s_wait_loadcnt_dscnt 0x100
	v_mul_f64_e32 v[18:19], v[2:3], v[40:41]
	v_mul_f64_e32 v[24:25], v[4:5], v[40:41]
	v_fma_f64 v[8:9], v[8:9], v[147:148], v[20:21]
	v_fma_f64 v[6:7], v[6:7], v[147:148], -v[26:27]
	v_add_f64_e32 v[16:17], v[16:17], v[22:23]
	v_add_f64_e32 v[14:15], v[14:15], v[28:29]
	v_fma_f64 v[4:5], v[4:5], v[38:39], v[18:19]
	v_fma_f64 v[2:3], v[2:3], v[38:39], -v[24:25]
	s_delay_alu instid0(VALU_DEP_4) | instskip(NEXT) | instid1(VALU_DEP_4)
	v_add_f64_e32 v[8:9], v[16:17], v[8:9]
	v_add_f64_e32 v[6:7], v[14:15], v[6:7]
	s_delay_alu instid0(VALU_DEP_2) | instskip(NEXT) | instid1(VALU_DEP_2)
	v_add_f64_e32 v[4:5], v[8:9], v[4:5]
	v_add_f64_e32 v[2:3], v[6:7], v[2:3]
	s_wait_loadcnt 0x0
	s_delay_alu instid0(VALU_DEP_2) | instskip(NEXT) | instid1(VALU_DEP_2)
	v_add_f64_e64 v[4:5], v[12:13], -v[4:5]
	v_add_f64_e64 v[2:3], v[10:11], -v[2:3]
	scratch_store_b128 off, v[2:5], off offset:144
	v_cmpx_lt_u32_e32 7, v0
	s_cbranch_execz .LBB49_299
; %bb.298:
	scratch_load_b128 v[5:8], off, s56
	v_dual_mov_b32 v2, v1 :: v_dual_mov_b32 v3, v1
	v_mov_b32_e32 v4, v1
	scratch_store_b128 off, v[1:4], off offset:128
	s_wait_loadcnt 0x0
	ds_store_b128 v142, v[5:8]
.LBB49_299:
	s_wait_alu 0xfffe
	s_or_b32 exec_lo, exec_lo, s0
	s_wait_storecnt_dscnt 0x0
	s_barrier_signal -1
	s_barrier_wait -1
	global_inv scope:SCOPE_SE
	s_clause 0x7
	scratch_load_b128 v[2:5], off, off offset:144
	scratch_load_b128 v[6:9], off, off offset:160
	scratch_load_b128 v[10:13], off, off offset:176
	scratch_load_b128 v[14:17], off, off offset:192
	scratch_load_b128 v[18:21], off, off offset:208
	scratch_load_b128 v[22:25], off, off offset:224
	scratch_load_b128 v[26:29], off, off offset:240
	scratch_load_b128 v[30:33], off, off offset:256
	ds_load_b128 v[38:41], v1 offset:928
	ds_load_b128 v[143:146], v1 offset:944
	s_clause 0x1
	scratch_load_b128 v[34:37], off, off offset:272
	scratch_load_b128 v[147:150], off, off offset:288
	s_mov_b32 s0, exec_lo
	s_wait_loadcnt_dscnt 0x901
	v_mul_f64_e32 v[151:152], v[40:41], v[4:5]
	v_mul_f64_e32 v[4:5], v[38:39], v[4:5]
	s_wait_loadcnt_dscnt 0x800
	v_mul_f64_e32 v[153:154], v[143:144], v[8:9]
	v_mul_f64_e32 v[8:9], v[145:146], v[8:9]
	s_delay_alu instid0(VALU_DEP_4) | instskip(NEXT) | instid1(VALU_DEP_4)
	v_fma_f64 v[151:152], v[38:39], v[2:3], -v[151:152]
	v_fma_f64 v[155:156], v[40:41], v[2:3], v[4:5]
	ds_load_b128 v[2:5], v1 offset:960
	scratch_load_b128 v[38:41], off, off offset:304
	v_fma_f64 v[153:154], v[145:146], v[6:7], v[153:154]
	v_fma_f64 v[159:160], v[143:144], v[6:7], -v[8:9]
	ds_load_b128 v[6:9], v1 offset:976
	scratch_load_b128 v[143:146], off, off offset:320
	s_wait_loadcnt_dscnt 0x901
	v_mul_f64_e32 v[157:158], v[2:3], v[12:13]
	v_mul_f64_e32 v[12:13], v[4:5], v[12:13]
	s_wait_loadcnt_dscnt 0x800
	v_mul_f64_e32 v[161:162], v[6:7], v[16:17]
	v_mul_f64_e32 v[16:17], v[8:9], v[16:17]
	v_add_f64_e32 v[151:152], 0, v[151:152]
	v_add_f64_e32 v[155:156], 0, v[155:156]
	v_fma_f64 v[157:158], v[4:5], v[10:11], v[157:158]
	v_fma_f64 v[163:164], v[2:3], v[10:11], -v[12:13]
	ds_load_b128 v[2:5], v1 offset:992
	scratch_load_b128 v[10:13], off, off offset:336
	v_add_f64_e32 v[151:152], v[151:152], v[159:160]
	v_add_f64_e32 v[153:154], v[155:156], v[153:154]
	v_fma_f64 v[159:160], v[8:9], v[14:15], v[161:162]
	v_fma_f64 v[161:162], v[6:7], v[14:15], -v[16:17]
	ds_load_b128 v[6:9], v1 offset:1008
	scratch_load_b128 v[14:17], off, off offset:352
	s_wait_loadcnt_dscnt 0x901
	v_mul_f64_e32 v[155:156], v[2:3], v[20:21]
	v_mul_f64_e32 v[20:21], v[4:5], v[20:21]
	v_add_f64_e32 v[151:152], v[151:152], v[163:164]
	v_add_f64_e32 v[153:154], v[153:154], v[157:158]
	s_wait_loadcnt_dscnt 0x800
	v_mul_f64_e32 v[157:158], v[6:7], v[24:25]
	v_mul_f64_e32 v[24:25], v[8:9], v[24:25]
	v_fma_f64 v[155:156], v[4:5], v[18:19], v[155:156]
	v_fma_f64 v[163:164], v[2:3], v[18:19], -v[20:21]
	ds_load_b128 v[2:5], v1 offset:1024
	scratch_load_b128 v[18:21], off, off offset:368
	v_add_f64_e32 v[151:152], v[151:152], v[161:162]
	v_add_f64_e32 v[153:154], v[153:154], v[159:160]
	v_fma_f64 v[157:158], v[8:9], v[22:23], v[157:158]
	v_fma_f64 v[161:162], v[6:7], v[22:23], -v[24:25]
	ds_load_b128 v[6:9], v1 offset:1040
	s_wait_loadcnt_dscnt 0x801
	v_mul_f64_e32 v[159:160], v[2:3], v[28:29]
	v_mul_f64_e32 v[28:29], v[4:5], v[28:29]
	scratch_load_b128 v[22:25], off, off offset:384
	v_add_f64_e32 v[151:152], v[151:152], v[163:164]
	v_add_f64_e32 v[153:154], v[153:154], v[155:156]
	s_wait_loadcnt_dscnt 0x800
	v_mul_f64_e32 v[155:156], v[6:7], v[32:33]
	v_mul_f64_e32 v[32:33], v[8:9], v[32:33]
	v_fma_f64 v[159:160], v[4:5], v[26:27], v[159:160]
	v_fma_f64 v[163:164], v[2:3], v[26:27], -v[28:29]
	ds_load_b128 v[2:5], v1 offset:1056
	scratch_load_b128 v[26:29], off, off offset:400
	v_add_f64_e32 v[151:152], v[151:152], v[161:162]
	v_add_f64_e32 v[153:154], v[153:154], v[157:158]
	v_fma_f64 v[155:156], v[8:9], v[30:31], v[155:156]
	v_fma_f64 v[161:162], v[6:7], v[30:31], -v[32:33]
	ds_load_b128 v[6:9], v1 offset:1072
	s_wait_loadcnt_dscnt 0x801
	v_mul_f64_e32 v[157:158], v[2:3], v[36:37]
	v_mul_f64_e32 v[36:37], v[4:5], v[36:37]
	scratch_load_b128 v[30:33], off, off offset:416
	v_add_f64_e32 v[151:152], v[151:152], v[163:164]
	v_add_f64_e32 v[153:154], v[153:154], v[159:160]
	s_wait_loadcnt_dscnt 0x800
	v_mul_f64_e32 v[159:160], v[6:7], v[149:150]
	v_mul_f64_e32 v[149:150], v[8:9], v[149:150]
	v_fma_f64 v[157:158], v[4:5], v[34:35], v[157:158]
	v_fma_f64 v[163:164], v[2:3], v[34:35], -v[36:37]
	ds_load_b128 v[2:5], v1 offset:1088
	scratch_load_b128 v[34:37], off, off offset:432
	v_add_f64_e32 v[151:152], v[151:152], v[161:162]
	v_add_f64_e32 v[153:154], v[153:154], v[155:156]
	v_fma_f64 v[159:160], v[8:9], v[147:148], v[159:160]
	v_fma_f64 v[161:162], v[6:7], v[147:148], -v[149:150]
	ds_load_b128 v[6:9], v1 offset:1104
	scratch_load_b128 v[147:150], off, off offset:448
	s_wait_loadcnt_dscnt 0x901
	v_mul_f64_e32 v[155:156], v[2:3], v[40:41]
	v_mul_f64_e32 v[40:41], v[4:5], v[40:41]
	v_add_f64_e32 v[151:152], v[151:152], v[163:164]
	v_add_f64_e32 v[153:154], v[153:154], v[157:158]
	s_wait_loadcnt_dscnt 0x800
	v_mul_f64_e32 v[157:158], v[6:7], v[145:146]
	v_mul_f64_e32 v[145:146], v[8:9], v[145:146]
	v_fma_f64 v[155:156], v[4:5], v[38:39], v[155:156]
	v_fma_f64 v[163:164], v[2:3], v[38:39], -v[40:41]
	ds_load_b128 v[2:5], v1 offset:1120
	scratch_load_b128 v[38:41], off, off offset:464
	v_add_f64_e32 v[151:152], v[151:152], v[161:162]
	v_add_f64_e32 v[153:154], v[153:154], v[159:160]
	v_fma_f64 v[157:158], v[8:9], v[143:144], v[157:158]
	v_fma_f64 v[161:162], v[6:7], v[143:144], -v[145:146]
	ds_load_b128 v[6:9], v1 offset:1136
	s_wait_loadcnt_dscnt 0x801
	v_mul_f64_e32 v[159:160], v[2:3], v[12:13]
	v_mul_f64_e32 v[12:13], v[4:5], v[12:13]
	scratch_load_b128 v[143:146], off, off offset:480
	v_add_f64_e32 v[151:152], v[151:152], v[163:164]
	v_add_f64_e32 v[153:154], v[153:154], v[155:156]
	s_wait_loadcnt_dscnt 0x800
	v_mul_f64_e32 v[155:156], v[6:7], v[16:17]
	v_mul_f64_e32 v[16:17], v[8:9], v[16:17]
	v_fma_f64 v[159:160], v[4:5], v[10:11], v[159:160]
	v_fma_f64 v[163:164], v[2:3], v[10:11], -v[12:13]
	ds_load_b128 v[2:5], v1 offset:1152
	scratch_load_b128 v[10:13], off, off offset:496
	v_add_f64_e32 v[151:152], v[151:152], v[161:162]
	v_add_f64_e32 v[153:154], v[153:154], v[157:158]
	v_fma_f64 v[155:156], v[8:9], v[14:15], v[155:156]
	v_fma_f64 v[161:162], v[6:7], v[14:15], -v[16:17]
	ds_load_b128 v[6:9], v1 offset:1168
	s_wait_loadcnt_dscnt 0x801
	v_mul_f64_e32 v[157:158], v[2:3], v[20:21]
	v_mul_f64_e32 v[20:21], v[4:5], v[20:21]
	scratch_load_b128 v[14:17], off, off offset:512
	;; [unrolled: 18-line block ×11, first 2 shown]
	v_add_f64_e32 v[151:152], v[151:152], v[163:164]
	v_add_f64_e32 v[153:154], v[153:154], v[159:160]
	s_wait_loadcnt_dscnt 0x800
	v_mul_f64_e32 v[159:160], v[6:7], v[16:17]
	v_mul_f64_e32 v[16:17], v[8:9], v[16:17]
	v_fma_f64 v[157:158], v[4:5], v[10:11], v[157:158]
	v_fma_f64 v[10:11], v[2:3], v[10:11], -v[12:13]
	ds_load_b128 v[2:5], v1 offset:1472
	v_add_f64_e32 v[12:13], v[151:152], v[161:162]
	v_add_f64_e32 v[151:152], v[153:154], v[155:156]
	v_fma_f64 v[155:156], v[8:9], v[14:15], v[159:160]
	v_fma_f64 v[14:15], v[6:7], v[14:15], -v[16:17]
	ds_load_b128 v[6:9], v1 offset:1488
	s_wait_loadcnt_dscnt 0x701
	v_mul_f64_e32 v[153:154], v[2:3], v[20:21]
	v_mul_f64_e32 v[20:21], v[4:5], v[20:21]
	v_add_f64_e32 v[10:11], v[12:13], v[10:11]
	v_add_f64_e32 v[12:13], v[151:152], v[157:158]
	s_delay_alu instid0(VALU_DEP_4) | instskip(NEXT) | instid1(VALU_DEP_4)
	v_fma_f64 v[151:152], v[4:5], v[18:19], v[153:154]
	v_fma_f64 v[18:19], v[2:3], v[18:19], -v[20:21]
	ds_load_b128 v[2:5], v1 offset:1504
	v_add_f64_e32 v[14:15], v[10:11], v[14:15]
	v_add_f64_e32 v[20:21], v[12:13], v[155:156]
	scratch_load_b128 v[10:13], off, off offset:128
	s_wait_loadcnt_dscnt 0x701
	v_mul_f64_e32 v[16:17], v[6:7], v[24:25]
	v_mul_f64_e32 v[24:25], v[8:9], v[24:25]
	v_add_f64_e32 v[14:15], v[14:15], v[18:19]
	v_add_f64_e32 v[18:19], v[20:21], v[151:152]
	s_delay_alu instid0(VALU_DEP_4) | instskip(NEXT) | instid1(VALU_DEP_4)
	v_fma_f64 v[16:17], v[8:9], v[22:23], v[16:17]
	v_fma_f64 v[22:23], v[6:7], v[22:23], -v[24:25]
	ds_load_b128 v[6:9], v1 offset:1520
	s_wait_loadcnt_dscnt 0x601
	v_mul_f64_e32 v[153:154], v[2:3], v[28:29]
	v_mul_f64_e32 v[28:29], v[4:5], v[28:29]
	s_wait_loadcnt_dscnt 0x500
	v_mul_f64_e32 v[20:21], v[6:7], v[32:33]
	v_mul_f64_e32 v[24:25], v[8:9], v[32:33]
	v_add_f64_e32 v[16:17], v[18:19], v[16:17]
	v_add_f64_e32 v[14:15], v[14:15], v[22:23]
	v_fma_f64 v[32:33], v[4:5], v[26:27], v[153:154]
	v_fma_f64 v[26:27], v[2:3], v[26:27], -v[28:29]
	ds_load_b128 v[2:5], v1 offset:1536
	v_fma_f64 v[20:21], v[8:9], v[30:31], v[20:21]
	v_fma_f64 v[24:25], v[6:7], v[30:31], -v[24:25]
	ds_load_b128 v[6:9], v1 offset:1552
	s_wait_loadcnt_dscnt 0x401
	v_mul_f64_e32 v[18:19], v[2:3], v[36:37]
	v_mul_f64_e32 v[22:23], v[4:5], v[36:37]
	v_add_f64_e32 v[16:17], v[16:17], v[32:33]
	v_add_f64_e32 v[14:15], v[14:15], v[26:27]
	s_wait_loadcnt_dscnt 0x300
	v_mul_f64_e32 v[26:27], v[6:7], v[149:150]
	v_mul_f64_e32 v[28:29], v[8:9], v[149:150]
	v_fma_f64 v[18:19], v[4:5], v[34:35], v[18:19]
	v_fma_f64 v[22:23], v[2:3], v[34:35], -v[22:23]
	ds_load_b128 v[2:5], v1 offset:1568
	v_add_f64_e32 v[16:17], v[16:17], v[20:21]
	v_add_f64_e32 v[14:15], v[14:15], v[24:25]
	v_fma_f64 v[26:27], v[8:9], v[147:148], v[26:27]
	v_fma_f64 v[28:29], v[6:7], v[147:148], -v[28:29]
	ds_load_b128 v[6:9], v1 offset:1584
	s_wait_loadcnt_dscnt 0x201
	v_mul_f64_e32 v[20:21], v[2:3], v[40:41]
	v_mul_f64_e32 v[24:25], v[4:5], v[40:41]
	v_add_f64_e32 v[16:17], v[16:17], v[18:19]
	v_add_f64_e32 v[14:15], v[14:15], v[22:23]
	s_wait_loadcnt_dscnt 0x100
	v_mul_f64_e32 v[18:19], v[6:7], v[145:146]
	v_mul_f64_e32 v[22:23], v[8:9], v[145:146]
	v_fma_f64 v[4:5], v[4:5], v[38:39], v[20:21]
	v_fma_f64 v[1:2], v[2:3], v[38:39], -v[24:25]
	v_add_f64_e32 v[16:17], v[16:17], v[26:27]
	v_add_f64_e32 v[14:15], v[14:15], v[28:29]
	v_fma_f64 v[8:9], v[8:9], v[143:144], v[18:19]
	v_fma_f64 v[6:7], v[6:7], v[143:144], -v[22:23]
	s_delay_alu instid0(VALU_DEP_4) | instskip(NEXT) | instid1(VALU_DEP_4)
	v_add_f64_e32 v[3:4], v[16:17], v[4:5]
	v_add_f64_e32 v[1:2], v[14:15], v[1:2]
	s_delay_alu instid0(VALU_DEP_2) | instskip(NEXT) | instid1(VALU_DEP_2)
	v_add_f64_e32 v[3:4], v[3:4], v[8:9]
	v_add_f64_e32 v[1:2], v[1:2], v[6:7]
	s_wait_loadcnt 0x0
	s_delay_alu instid0(VALU_DEP_2) | instskip(NEXT) | instid1(VALU_DEP_2)
	v_add_f64_e64 v[3:4], v[12:13], -v[3:4]
	v_add_f64_e64 v[1:2], v[10:11], -v[1:2]
	scratch_store_b128 off, v[1:4], off offset:128
	v_cmpx_lt_u32_e32 6, v0
	s_cbranch_execz .LBB49_301
; %bb.300:
	scratch_load_b128 v[1:4], off, s57
	v_mov_b32_e32 v5, 0
	s_delay_alu instid0(VALU_DEP_1)
	v_dual_mov_b32 v6, v5 :: v_dual_mov_b32 v7, v5
	v_mov_b32_e32 v8, v5
	scratch_store_b128 off, v[5:8], off offset:112
	s_wait_loadcnt 0x0
	ds_store_b128 v142, v[1:4]
.LBB49_301:
	s_wait_alu 0xfffe
	s_or_b32 exec_lo, exec_lo, s0
	s_wait_storecnt_dscnt 0x0
	s_barrier_signal -1
	s_barrier_wait -1
	global_inv scope:SCOPE_SE
	s_clause 0x7
	scratch_load_b128 v[2:5], off, off offset:128
	scratch_load_b128 v[6:9], off, off offset:144
	;; [unrolled: 1-line block ×8, first 2 shown]
	v_mov_b32_e32 v1, 0
	s_clause 0x1
	scratch_load_b128 v[34:37], off, off offset:256
	scratch_load_b128 v[147:150], off, off offset:272
	s_mov_b32 s0, exec_lo
	ds_load_b128 v[38:41], v1 offset:912
	ds_load_b128 v[143:146], v1 offset:928
	s_wait_loadcnt_dscnt 0x901
	v_mul_f64_e32 v[151:152], v[40:41], v[4:5]
	v_mul_f64_e32 v[4:5], v[38:39], v[4:5]
	s_wait_loadcnt_dscnt 0x800
	v_mul_f64_e32 v[153:154], v[143:144], v[8:9]
	v_mul_f64_e32 v[8:9], v[145:146], v[8:9]
	s_delay_alu instid0(VALU_DEP_4) | instskip(NEXT) | instid1(VALU_DEP_4)
	v_fma_f64 v[151:152], v[38:39], v[2:3], -v[151:152]
	v_fma_f64 v[155:156], v[40:41], v[2:3], v[4:5]
	ds_load_b128 v[2:5], v1 offset:944
	scratch_load_b128 v[38:41], off, off offset:288
	v_fma_f64 v[153:154], v[145:146], v[6:7], v[153:154]
	v_fma_f64 v[159:160], v[143:144], v[6:7], -v[8:9]
	ds_load_b128 v[6:9], v1 offset:960
	scratch_load_b128 v[143:146], off, off offset:304
	s_wait_loadcnt_dscnt 0x901
	v_mul_f64_e32 v[157:158], v[2:3], v[12:13]
	v_mul_f64_e32 v[12:13], v[4:5], v[12:13]
	s_wait_loadcnt_dscnt 0x800
	v_mul_f64_e32 v[161:162], v[6:7], v[16:17]
	v_mul_f64_e32 v[16:17], v[8:9], v[16:17]
	v_add_f64_e32 v[151:152], 0, v[151:152]
	v_add_f64_e32 v[155:156], 0, v[155:156]
	v_fma_f64 v[157:158], v[4:5], v[10:11], v[157:158]
	v_fma_f64 v[163:164], v[2:3], v[10:11], -v[12:13]
	ds_load_b128 v[2:5], v1 offset:976
	scratch_load_b128 v[10:13], off, off offset:320
	v_add_f64_e32 v[151:152], v[151:152], v[159:160]
	v_add_f64_e32 v[153:154], v[155:156], v[153:154]
	v_fma_f64 v[159:160], v[8:9], v[14:15], v[161:162]
	v_fma_f64 v[161:162], v[6:7], v[14:15], -v[16:17]
	ds_load_b128 v[6:9], v1 offset:992
	scratch_load_b128 v[14:17], off, off offset:336
	s_wait_loadcnt_dscnt 0x901
	v_mul_f64_e32 v[155:156], v[2:3], v[20:21]
	v_mul_f64_e32 v[20:21], v[4:5], v[20:21]
	v_add_f64_e32 v[151:152], v[151:152], v[163:164]
	v_add_f64_e32 v[153:154], v[153:154], v[157:158]
	s_wait_loadcnt_dscnt 0x800
	v_mul_f64_e32 v[157:158], v[6:7], v[24:25]
	v_mul_f64_e32 v[24:25], v[8:9], v[24:25]
	v_fma_f64 v[155:156], v[4:5], v[18:19], v[155:156]
	v_fma_f64 v[163:164], v[2:3], v[18:19], -v[20:21]
	ds_load_b128 v[2:5], v1 offset:1008
	scratch_load_b128 v[18:21], off, off offset:352
	v_add_f64_e32 v[151:152], v[151:152], v[161:162]
	v_add_f64_e32 v[153:154], v[153:154], v[159:160]
	v_fma_f64 v[157:158], v[8:9], v[22:23], v[157:158]
	v_fma_f64 v[161:162], v[6:7], v[22:23], -v[24:25]
	ds_load_b128 v[6:9], v1 offset:1024
	s_wait_loadcnt_dscnt 0x801
	v_mul_f64_e32 v[159:160], v[2:3], v[28:29]
	v_mul_f64_e32 v[28:29], v[4:5], v[28:29]
	scratch_load_b128 v[22:25], off, off offset:368
	v_add_f64_e32 v[151:152], v[151:152], v[163:164]
	v_add_f64_e32 v[153:154], v[153:154], v[155:156]
	s_wait_loadcnt_dscnt 0x800
	v_mul_f64_e32 v[155:156], v[6:7], v[32:33]
	v_mul_f64_e32 v[32:33], v[8:9], v[32:33]
	v_fma_f64 v[159:160], v[4:5], v[26:27], v[159:160]
	v_fma_f64 v[163:164], v[2:3], v[26:27], -v[28:29]
	ds_load_b128 v[2:5], v1 offset:1040
	scratch_load_b128 v[26:29], off, off offset:384
	v_add_f64_e32 v[151:152], v[151:152], v[161:162]
	v_add_f64_e32 v[153:154], v[153:154], v[157:158]
	v_fma_f64 v[155:156], v[8:9], v[30:31], v[155:156]
	v_fma_f64 v[161:162], v[6:7], v[30:31], -v[32:33]
	ds_load_b128 v[6:9], v1 offset:1056
	s_wait_loadcnt_dscnt 0x801
	v_mul_f64_e32 v[157:158], v[2:3], v[36:37]
	v_mul_f64_e32 v[36:37], v[4:5], v[36:37]
	scratch_load_b128 v[30:33], off, off offset:400
	v_add_f64_e32 v[151:152], v[151:152], v[163:164]
	v_add_f64_e32 v[153:154], v[153:154], v[159:160]
	s_wait_loadcnt_dscnt 0x800
	v_mul_f64_e32 v[159:160], v[6:7], v[149:150]
	v_mul_f64_e32 v[149:150], v[8:9], v[149:150]
	v_fma_f64 v[157:158], v[4:5], v[34:35], v[157:158]
	v_fma_f64 v[163:164], v[2:3], v[34:35], -v[36:37]
	ds_load_b128 v[2:5], v1 offset:1072
	scratch_load_b128 v[34:37], off, off offset:416
	v_add_f64_e32 v[151:152], v[151:152], v[161:162]
	v_add_f64_e32 v[153:154], v[153:154], v[155:156]
	v_fma_f64 v[159:160], v[8:9], v[147:148], v[159:160]
	v_fma_f64 v[161:162], v[6:7], v[147:148], -v[149:150]
	ds_load_b128 v[6:9], v1 offset:1088
	scratch_load_b128 v[147:150], off, off offset:432
	s_wait_loadcnt_dscnt 0x901
	v_mul_f64_e32 v[155:156], v[2:3], v[40:41]
	v_mul_f64_e32 v[40:41], v[4:5], v[40:41]
	v_add_f64_e32 v[151:152], v[151:152], v[163:164]
	v_add_f64_e32 v[153:154], v[153:154], v[157:158]
	s_wait_loadcnt_dscnt 0x800
	v_mul_f64_e32 v[157:158], v[6:7], v[145:146]
	v_mul_f64_e32 v[145:146], v[8:9], v[145:146]
	v_fma_f64 v[155:156], v[4:5], v[38:39], v[155:156]
	v_fma_f64 v[163:164], v[2:3], v[38:39], -v[40:41]
	ds_load_b128 v[2:5], v1 offset:1104
	scratch_load_b128 v[38:41], off, off offset:448
	v_add_f64_e32 v[151:152], v[151:152], v[161:162]
	v_add_f64_e32 v[153:154], v[153:154], v[159:160]
	v_fma_f64 v[157:158], v[8:9], v[143:144], v[157:158]
	v_fma_f64 v[161:162], v[6:7], v[143:144], -v[145:146]
	ds_load_b128 v[6:9], v1 offset:1120
	s_wait_loadcnt_dscnt 0x801
	v_mul_f64_e32 v[159:160], v[2:3], v[12:13]
	v_mul_f64_e32 v[12:13], v[4:5], v[12:13]
	scratch_load_b128 v[143:146], off, off offset:464
	v_add_f64_e32 v[151:152], v[151:152], v[163:164]
	v_add_f64_e32 v[153:154], v[153:154], v[155:156]
	s_wait_loadcnt_dscnt 0x800
	v_mul_f64_e32 v[155:156], v[6:7], v[16:17]
	v_mul_f64_e32 v[16:17], v[8:9], v[16:17]
	v_fma_f64 v[159:160], v[4:5], v[10:11], v[159:160]
	v_fma_f64 v[163:164], v[2:3], v[10:11], -v[12:13]
	ds_load_b128 v[2:5], v1 offset:1136
	scratch_load_b128 v[10:13], off, off offset:480
	v_add_f64_e32 v[151:152], v[151:152], v[161:162]
	v_add_f64_e32 v[153:154], v[153:154], v[157:158]
	v_fma_f64 v[155:156], v[8:9], v[14:15], v[155:156]
	v_fma_f64 v[161:162], v[6:7], v[14:15], -v[16:17]
	ds_load_b128 v[6:9], v1 offset:1152
	s_wait_loadcnt_dscnt 0x801
	v_mul_f64_e32 v[157:158], v[2:3], v[20:21]
	v_mul_f64_e32 v[20:21], v[4:5], v[20:21]
	scratch_load_b128 v[14:17], off, off offset:496
	;; [unrolled: 18-line block ×11, first 2 shown]
	v_add_f64_e32 v[151:152], v[151:152], v[163:164]
	v_add_f64_e32 v[153:154], v[153:154], v[159:160]
	s_wait_loadcnt_dscnt 0x800
	v_mul_f64_e32 v[159:160], v[6:7], v[16:17]
	v_mul_f64_e32 v[16:17], v[8:9], v[16:17]
	v_fma_f64 v[157:158], v[4:5], v[10:11], v[157:158]
	v_fma_f64 v[163:164], v[2:3], v[10:11], -v[12:13]
	ds_load_b128 v[2:5], v1 offset:1456
	scratch_load_b128 v[10:13], off, off offset:800
	v_add_f64_e32 v[151:152], v[151:152], v[161:162]
	v_add_f64_e32 v[153:154], v[153:154], v[155:156]
	v_fma_f64 v[159:160], v[8:9], v[14:15], v[159:160]
	v_fma_f64 v[14:15], v[6:7], v[14:15], -v[16:17]
	ds_load_b128 v[6:9], v1 offset:1472
	s_wait_loadcnt_dscnt 0x801
	v_mul_f64_e32 v[155:156], v[2:3], v[20:21]
	v_mul_f64_e32 v[20:21], v[4:5], v[20:21]
	v_add_f64_e32 v[16:17], v[151:152], v[163:164]
	v_add_f64_e32 v[151:152], v[153:154], v[157:158]
	s_wait_loadcnt_dscnt 0x700
	v_mul_f64_e32 v[153:154], v[6:7], v[24:25]
	v_mul_f64_e32 v[24:25], v[8:9], v[24:25]
	v_fma_f64 v[155:156], v[4:5], v[18:19], v[155:156]
	v_fma_f64 v[18:19], v[2:3], v[18:19], -v[20:21]
	ds_load_b128 v[2:5], v1 offset:1488
	v_add_f64_e32 v[14:15], v[16:17], v[14:15]
	v_add_f64_e32 v[16:17], v[151:152], v[159:160]
	v_fma_f64 v[151:152], v[8:9], v[22:23], v[153:154]
	v_fma_f64 v[22:23], v[6:7], v[22:23], -v[24:25]
	ds_load_b128 v[6:9], v1 offset:1504
	s_wait_loadcnt_dscnt 0x500
	v_mul_f64_e32 v[153:154], v[6:7], v[32:33]
	v_mul_f64_e32 v[32:33], v[8:9], v[32:33]
	v_add_f64_e32 v[18:19], v[14:15], v[18:19]
	v_add_f64_e32 v[24:25], v[16:17], v[155:156]
	scratch_load_b128 v[14:17], off, off offset:112
	v_mul_f64_e32 v[20:21], v[2:3], v[28:29]
	v_mul_f64_e32 v[28:29], v[4:5], v[28:29]
	v_add_f64_e32 v[18:19], v[18:19], v[22:23]
	v_add_f64_e32 v[22:23], v[24:25], v[151:152]
	s_delay_alu instid0(VALU_DEP_4) | instskip(NEXT) | instid1(VALU_DEP_4)
	v_fma_f64 v[20:21], v[4:5], v[26:27], v[20:21]
	v_fma_f64 v[26:27], v[2:3], v[26:27], -v[28:29]
	ds_load_b128 v[2:5], v1 offset:1520
	s_wait_loadcnt_dscnt 0x500
	v_mul_f64_e32 v[24:25], v[2:3], v[36:37]
	v_mul_f64_e32 v[28:29], v[4:5], v[36:37]
	v_fma_f64 v[36:37], v[8:9], v[30:31], v[153:154]
	v_fma_f64 v[30:31], v[6:7], v[30:31], -v[32:33]
	ds_load_b128 v[6:9], v1 offset:1536
	v_add_f64_e32 v[20:21], v[22:23], v[20:21]
	v_add_f64_e32 v[18:19], v[18:19], v[26:27]
	v_fma_f64 v[24:25], v[4:5], v[34:35], v[24:25]
	v_fma_f64 v[28:29], v[2:3], v[34:35], -v[28:29]
	ds_load_b128 v[2:5], v1 offset:1552
	s_wait_loadcnt_dscnt 0x401
	v_mul_f64_e32 v[22:23], v[6:7], v[149:150]
	v_mul_f64_e32 v[26:27], v[8:9], v[149:150]
	v_add_f64_e32 v[20:21], v[20:21], v[36:37]
	v_add_f64_e32 v[18:19], v[18:19], v[30:31]
	s_wait_loadcnt_dscnt 0x300
	v_mul_f64_e32 v[30:31], v[2:3], v[40:41]
	v_mul_f64_e32 v[32:33], v[4:5], v[40:41]
	v_fma_f64 v[22:23], v[8:9], v[147:148], v[22:23]
	v_fma_f64 v[26:27], v[6:7], v[147:148], -v[26:27]
	ds_load_b128 v[6:9], v1 offset:1568
	v_add_f64_e32 v[20:21], v[20:21], v[24:25]
	v_add_f64_e32 v[18:19], v[18:19], v[28:29]
	v_fma_f64 v[30:31], v[4:5], v[38:39], v[30:31]
	v_fma_f64 v[32:33], v[2:3], v[38:39], -v[32:33]
	ds_load_b128 v[2:5], v1 offset:1584
	s_wait_loadcnt_dscnt 0x201
	v_mul_f64_e32 v[24:25], v[6:7], v[145:146]
	v_mul_f64_e32 v[28:29], v[8:9], v[145:146]
	v_add_f64_e32 v[20:21], v[20:21], v[22:23]
	v_add_f64_e32 v[18:19], v[18:19], v[26:27]
	s_wait_loadcnt_dscnt 0x100
	v_mul_f64_e32 v[22:23], v[2:3], v[12:13]
	v_mul_f64_e32 v[12:13], v[4:5], v[12:13]
	v_fma_f64 v[8:9], v[8:9], v[143:144], v[24:25]
	v_fma_f64 v[6:7], v[6:7], v[143:144], -v[28:29]
	v_add_f64_e32 v[20:21], v[20:21], v[30:31]
	v_add_f64_e32 v[18:19], v[18:19], v[32:33]
	v_fma_f64 v[4:5], v[4:5], v[10:11], v[22:23]
	v_fma_f64 v[2:3], v[2:3], v[10:11], -v[12:13]
	s_delay_alu instid0(VALU_DEP_4) | instskip(NEXT) | instid1(VALU_DEP_4)
	v_add_f64_e32 v[8:9], v[20:21], v[8:9]
	v_add_f64_e32 v[6:7], v[18:19], v[6:7]
	s_delay_alu instid0(VALU_DEP_2) | instskip(NEXT) | instid1(VALU_DEP_2)
	v_add_f64_e32 v[4:5], v[8:9], v[4:5]
	v_add_f64_e32 v[2:3], v[6:7], v[2:3]
	s_wait_loadcnt 0x0
	s_delay_alu instid0(VALU_DEP_2) | instskip(NEXT) | instid1(VALU_DEP_2)
	v_add_f64_e64 v[4:5], v[16:17], -v[4:5]
	v_add_f64_e64 v[2:3], v[14:15], -v[2:3]
	scratch_store_b128 off, v[2:5], off offset:112
	v_cmpx_lt_u32_e32 5, v0
	s_cbranch_execz .LBB49_303
; %bb.302:
	scratch_load_b128 v[5:8], off, s58
	v_dual_mov_b32 v2, v1 :: v_dual_mov_b32 v3, v1
	v_mov_b32_e32 v4, v1
	scratch_store_b128 off, v[1:4], off offset:96
	s_wait_loadcnt 0x0
	ds_store_b128 v142, v[5:8]
.LBB49_303:
	s_wait_alu 0xfffe
	s_or_b32 exec_lo, exec_lo, s0
	s_wait_storecnt_dscnt 0x0
	s_barrier_signal -1
	s_barrier_wait -1
	global_inv scope:SCOPE_SE
	s_clause 0x7
	scratch_load_b128 v[2:5], off, off offset:112
	scratch_load_b128 v[6:9], off, off offset:128
	;; [unrolled: 1-line block ×8, first 2 shown]
	ds_load_b128 v[38:41], v1 offset:896
	ds_load_b128 v[143:146], v1 offset:912
	s_clause 0x1
	scratch_load_b128 v[34:37], off, off offset:240
	scratch_load_b128 v[147:150], off, off offset:256
	s_mov_b32 s0, exec_lo
	s_wait_loadcnt_dscnt 0x901
	v_mul_f64_e32 v[151:152], v[40:41], v[4:5]
	v_mul_f64_e32 v[4:5], v[38:39], v[4:5]
	s_wait_loadcnt_dscnt 0x800
	v_mul_f64_e32 v[153:154], v[143:144], v[8:9]
	v_mul_f64_e32 v[8:9], v[145:146], v[8:9]
	s_delay_alu instid0(VALU_DEP_4) | instskip(NEXT) | instid1(VALU_DEP_4)
	v_fma_f64 v[151:152], v[38:39], v[2:3], -v[151:152]
	v_fma_f64 v[155:156], v[40:41], v[2:3], v[4:5]
	ds_load_b128 v[2:5], v1 offset:928
	scratch_load_b128 v[38:41], off, off offset:272
	v_fma_f64 v[153:154], v[145:146], v[6:7], v[153:154]
	v_fma_f64 v[159:160], v[143:144], v[6:7], -v[8:9]
	ds_load_b128 v[6:9], v1 offset:944
	scratch_load_b128 v[143:146], off, off offset:288
	s_wait_loadcnt_dscnt 0x901
	v_mul_f64_e32 v[157:158], v[2:3], v[12:13]
	v_mul_f64_e32 v[12:13], v[4:5], v[12:13]
	s_wait_loadcnt_dscnt 0x800
	v_mul_f64_e32 v[161:162], v[6:7], v[16:17]
	v_mul_f64_e32 v[16:17], v[8:9], v[16:17]
	v_add_f64_e32 v[151:152], 0, v[151:152]
	v_add_f64_e32 v[155:156], 0, v[155:156]
	v_fma_f64 v[157:158], v[4:5], v[10:11], v[157:158]
	v_fma_f64 v[163:164], v[2:3], v[10:11], -v[12:13]
	ds_load_b128 v[2:5], v1 offset:960
	scratch_load_b128 v[10:13], off, off offset:304
	v_add_f64_e32 v[151:152], v[151:152], v[159:160]
	v_add_f64_e32 v[153:154], v[155:156], v[153:154]
	v_fma_f64 v[159:160], v[8:9], v[14:15], v[161:162]
	v_fma_f64 v[161:162], v[6:7], v[14:15], -v[16:17]
	ds_load_b128 v[6:9], v1 offset:976
	scratch_load_b128 v[14:17], off, off offset:320
	s_wait_loadcnt_dscnt 0x901
	v_mul_f64_e32 v[155:156], v[2:3], v[20:21]
	v_mul_f64_e32 v[20:21], v[4:5], v[20:21]
	v_add_f64_e32 v[151:152], v[151:152], v[163:164]
	v_add_f64_e32 v[153:154], v[153:154], v[157:158]
	s_wait_loadcnt_dscnt 0x800
	v_mul_f64_e32 v[157:158], v[6:7], v[24:25]
	v_mul_f64_e32 v[24:25], v[8:9], v[24:25]
	v_fma_f64 v[155:156], v[4:5], v[18:19], v[155:156]
	v_fma_f64 v[163:164], v[2:3], v[18:19], -v[20:21]
	ds_load_b128 v[2:5], v1 offset:992
	scratch_load_b128 v[18:21], off, off offset:336
	v_add_f64_e32 v[151:152], v[151:152], v[161:162]
	v_add_f64_e32 v[153:154], v[153:154], v[159:160]
	v_fma_f64 v[157:158], v[8:9], v[22:23], v[157:158]
	v_fma_f64 v[161:162], v[6:7], v[22:23], -v[24:25]
	ds_load_b128 v[6:9], v1 offset:1008
	s_wait_loadcnt_dscnt 0x801
	v_mul_f64_e32 v[159:160], v[2:3], v[28:29]
	v_mul_f64_e32 v[28:29], v[4:5], v[28:29]
	scratch_load_b128 v[22:25], off, off offset:352
	v_add_f64_e32 v[151:152], v[151:152], v[163:164]
	v_add_f64_e32 v[153:154], v[153:154], v[155:156]
	s_wait_loadcnt_dscnt 0x800
	v_mul_f64_e32 v[155:156], v[6:7], v[32:33]
	v_mul_f64_e32 v[32:33], v[8:9], v[32:33]
	v_fma_f64 v[159:160], v[4:5], v[26:27], v[159:160]
	v_fma_f64 v[163:164], v[2:3], v[26:27], -v[28:29]
	ds_load_b128 v[2:5], v1 offset:1024
	scratch_load_b128 v[26:29], off, off offset:368
	v_add_f64_e32 v[151:152], v[151:152], v[161:162]
	v_add_f64_e32 v[153:154], v[153:154], v[157:158]
	v_fma_f64 v[155:156], v[8:9], v[30:31], v[155:156]
	v_fma_f64 v[161:162], v[6:7], v[30:31], -v[32:33]
	ds_load_b128 v[6:9], v1 offset:1040
	s_wait_loadcnt_dscnt 0x801
	v_mul_f64_e32 v[157:158], v[2:3], v[36:37]
	v_mul_f64_e32 v[36:37], v[4:5], v[36:37]
	scratch_load_b128 v[30:33], off, off offset:384
	v_add_f64_e32 v[151:152], v[151:152], v[163:164]
	v_add_f64_e32 v[153:154], v[153:154], v[159:160]
	s_wait_loadcnt_dscnt 0x800
	v_mul_f64_e32 v[159:160], v[6:7], v[149:150]
	v_mul_f64_e32 v[149:150], v[8:9], v[149:150]
	v_fma_f64 v[157:158], v[4:5], v[34:35], v[157:158]
	v_fma_f64 v[163:164], v[2:3], v[34:35], -v[36:37]
	ds_load_b128 v[2:5], v1 offset:1056
	scratch_load_b128 v[34:37], off, off offset:400
	v_add_f64_e32 v[151:152], v[151:152], v[161:162]
	v_add_f64_e32 v[153:154], v[153:154], v[155:156]
	v_fma_f64 v[159:160], v[8:9], v[147:148], v[159:160]
	v_fma_f64 v[161:162], v[6:7], v[147:148], -v[149:150]
	ds_load_b128 v[6:9], v1 offset:1072
	scratch_load_b128 v[147:150], off, off offset:416
	s_wait_loadcnt_dscnt 0x901
	v_mul_f64_e32 v[155:156], v[2:3], v[40:41]
	v_mul_f64_e32 v[40:41], v[4:5], v[40:41]
	v_add_f64_e32 v[151:152], v[151:152], v[163:164]
	v_add_f64_e32 v[153:154], v[153:154], v[157:158]
	s_wait_loadcnt_dscnt 0x800
	v_mul_f64_e32 v[157:158], v[6:7], v[145:146]
	v_mul_f64_e32 v[145:146], v[8:9], v[145:146]
	v_fma_f64 v[155:156], v[4:5], v[38:39], v[155:156]
	v_fma_f64 v[163:164], v[2:3], v[38:39], -v[40:41]
	ds_load_b128 v[2:5], v1 offset:1088
	scratch_load_b128 v[38:41], off, off offset:432
	v_add_f64_e32 v[151:152], v[151:152], v[161:162]
	v_add_f64_e32 v[153:154], v[153:154], v[159:160]
	v_fma_f64 v[157:158], v[8:9], v[143:144], v[157:158]
	v_fma_f64 v[161:162], v[6:7], v[143:144], -v[145:146]
	ds_load_b128 v[6:9], v1 offset:1104
	s_wait_loadcnt_dscnt 0x801
	v_mul_f64_e32 v[159:160], v[2:3], v[12:13]
	v_mul_f64_e32 v[12:13], v[4:5], v[12:13]
	scratch_load_b128 v[143:146], off, off offset:448
	v_add_f64_e32 v[151:152], v[151:152], v[163:164]
	v_add_f64_e32 v[153:154], v[153:154], v[155:156]
	s_wait_loadcnt_dscnt 0x800
	v_mul_f64_e32 v[155:156], v[6:7], v[16:17]
	v_mul_f64_e32 v[16:17], v[8:9], v[16:17]
	v_fma_f64 v[159:160], v[4:5], v[10:11], v[159:160]
	v_fma_f64 v[163:164], v[2:3], v[10:11], -v[12:13]
	ds_load_b128 v[2:5], v1 offset:1120
	scratch_load_b128 v[10:13], off, off offset:464
	v_add_f64_e32 v[151:152], v[151:152], v[161:162]
	v_add_f64_e32 v[153:154], v[153:154], v[157:158]
	v_fma_f64 v[155:156], v[8:9], v[14:15], v[155:156]
	v_fma_f64 v[161:162], v[6:7], v[14:15], -v[16:17]
	ds_load_b128 v[6:9], v1 offset:1136
	s_wait_loadcnt_dscnt 0x801
	v_mul_f64_e32 v[157:158], v[2:3], v[20:21]
	v_mul_f64_e32 v[20:21], v[4:5], v[20:21]
	scratch_load_b128 v[14:17], off, off offset:480
	;; [unrolled: 18-line block ×12, first 2 shown]
	v_add_f64_e32 v[151:152], v[151:152], v[163:164]
	v_add_f64_e32 v[153:154], v[153:154], v[157:158]
	s_wait_loadcnt_dscnt 0x800
	v_mul_f64_e32 v[157:158], v[6:7], v[24:25]
	v_mul_f64_e32 v[24:25], v[8:9], v[24:25]
	v_fma_f64 v[155:156], v[4:5], v[18:19], v[155:156]
	v_fma_f64 v[18:19], v[2:3], v[18:19], -v[20:21]
	ds_load_b128 v[2:5], v1 offset:1472
	v_add_f64_e32 v[20:21], v[151:152], v[161:162]
	v_add_f64_e32 v[151:152], v[153:154], v[159:160]
	v_fma_f64 v[157:158], v[8:9], v[22:23], v[157:158]
	v_fma_f64 v[22:23], v[6:7], v[22:23], -v[24:25]
	ds_load_b128 v[6:9], v1 offset:1488
	s_wait_loadcnt_dscnt 0x701
	v_mul_f64_e32 v[153:154], v[2:3], v[28:29]
	v_mul_f64_e32 v[28:29], v[4:5], v[28:29]
	v_add_f64_e32 v[18:19], v[20:21], v[18:19]
	v_add_f64_e32 v[20:21], v[151:152], v[155:156]
	s_delay_alu instid0(VALU_DEP_4) | instskip(NEXT) | instid1(VALU_DEP_4)
	v_fma_f64 v[151:152], v[4:5], v[26:27], v[153:154]
	v_fma_f64 v[26:27], v[2:3], v[26:27], -v[28:29]
	ds_load_b128 v[2:5], v1 offset:1504
	v_add_f64_e32 v[22:23], v[18:19], v[22:23]
	v_add_f64_e32 v[28:29], v[20:21], v[157:158]
	scratch_load_b128 v[18:21], off, off offset:96
	s_wait_loadcnt_dscnt 0x701
	v_mul_f64_e32 v[24:25], v[6:7], v[32:33]
	v_mul_f64_e32 v[32:33], v[8:9], v[32:33]
	v_add_f64_e32 v[22:23], v[22:23], v[26:27]
	v_add_f64_e32 v[26:27], v[28:29], v[151:152]
	s_delay_alu instid0(VALU_DEP_4) | instskip(NEXT) | instid1(VALU_DEP_4)
	v_fma_f64 v[24:25], v[8:9], v[30:31], v[24:25]
	v_fma_f64 v[30:31], v[6:7], v[30:31], -v[32:33]
	ds_load_b128 v[6:9], v1 offset:1520
	s_wait_loadcnt_dscnt 0x601
	v_mul_f64_e32 v[153:154], v[2:3], v[36:37]
	v_mul_f64_e32 v[36:37], v[4:5], v[36:37]
	s_wait_loadcnt_dscnt 0x500
	v_mul_f64_e32 v[28:29], v[6:7], v[149:150]
	v_mul_f64_e32 v[32:33], v[8:9], v[149:150]
	v_add_f64_e32 v[24:25], v[26:27], v[24:25]
	v_add_f64_e32 v[22:23], v[22:23], v[30:31]
	v_fma_f64 v[149:150], v[4:5], v[34:35], v[153:154]
	v_fma_f64 v[34:35], v[2:3], v[34:35], -v[36:37]
	ds_load_b128 v[2:5], v1 offset:1536
	v_fma_f64 v[28:29], v[8:9], v[147:148], v[28:29]
	v_fma_f64 v[32:33], v[6:7], v[147:148], -v[32:33]
	ds_load_b128 v[6:9], v1 offset:1552
	s_wait_loadcnt_dscnt 0x401
	v_mul_f64_e32 v[26:27], v[2:3], v[40:41]
	v_mul_f64_e32 v[30:31], v[4:5], v[40:41]
	v_add_f64_e32 v[24:25], v[24:25], v[149:150]
	v_add_f64_e32 v[22:23], v[22:23], v[34:35]
	s_wait_loadcnt_dscnt 0x300
	v_mul_f64_e32 v[34:35], v[6:7], v[145:146]
	v_mul_f64_e32 v[36:37], v[8:9], v[145:146]
	v_fma_f64 v[26:27], v[4:5], v[38:39], v[26:27]
	v_fma_f64 v[30:31], v[2:3], v[38:39], -v[30:31]
	ds_load_b128 v[2:5], v1 offset:1568
	v_add_f64_e32 v[24:25], v[24:25], v[28:29]
	v_add_f64_e32 v[22:23], v[22:23], v[32:33]
	v_fma_f64 v[32:33], v[8:9], v[143:144], v[34:35]
	v_fma_f64 v[34:35], v[6:7], v[143:144], -v[36:37]
	ds_load_b128 v[6:9], v1 offset:1584
	s_wait_loadcnt_dscnt 0x201
	v_mul_f64_e32 v[28:29], v[2:3], v[12:13]
	v_mul_f64_e32 v[12:13], v[4:5], v[12:13]
	v_add_f64_e32 v[24:25], v[24:25], v[26:27]
	v_add_f64_e32 v[22:23], v[22:23], v[30:31]
	s_wait_loadcnt_dscnt 0x100
	v_mul_f64_e32 v[26:27], v[6:7], v[16:17]
	v_mul_f64_e32 v[16:17], v[8:9], v[16:17]
	v_fma_f64 v[4:5], v[4:5], v[10:11], v[28:29]
	v_fma_f64 v[1:2], v[2:3], v[10:11], -v[12:13]
	v_add_f64_e32 v[12:13], v[24:25], v[32:33]
	v_add_f64_e32 v[10:11], v[22:23], v[34:35]
	v_fma_f64 v[8:9], v[8:9], v[14:15], v[26:27]
	v_fma_f64 v[6:7], v[6:7], v[14:15], -v[16:17]
	s_delay_alu instid0(VALU_DEP_4) | instskip(NEXT) | instid1(VALU_DEP_4)
	v_add_f64_e32 v[3:4], v[12:13], v[4:5]
	v_add_f64_e32 v[1:2], v[10:11], v[1:2]
	s_delay_alu instid0(VALU_DEP_2) | instskip(NEXT) | instid1(VALU_DEP_2)
	v_add_f64_e32 v[3:4], v[3:4], v[8:9]
	v_add_f64_e32 v[1:2], v[1:2], v[6:7]
	s_wait_loadcnt 0x0
	s_delay_alu instid0(VALU_DEP_2) | instskip(NEXT) | instid1(VALU_DEP_2)
	v_add_f64_e64 v[3:4], v[20:21], -v[3:4]
	v_add_f64_e64 v[1:2], v[18:19], -v[1:2]
	scratch_store_b128 off, v[1:4], off offset:96
	v_cmpx_lt_u32_e32 4, v0
	s_cbranch_execz .LBB49_305
; %bb.304:
	scratch_load_b128 v[1:4], off, s46
	v_mov_b32_e32 v5, 0
	s_delay_alu instid0(VALU_DEP_1)
	v_dual_mov_b32 v6, v5 :: v_dual_mov_b32 v7, v5
	v_mov_b32_e32 v8, v5
	scratch_store_b128 off, v[5:8], off offset:80
	s_wait_loadcnt 0x0
	ds_store_b128 v142, v[1:4]
.LBB49_305:
	s_wait_alu 0xfffe
	s_or_b32 exec_lo, exec_lo, s0
	s_wait_storecnt_dscnt 0x0
	s_barrier_signal -1
	s_barrier_wait -1
	global_inv scope:SCOPE_SE
	s_clause 0x7
	scratch_load_b128 v[2:5], off, off offset:96
	scratch_load_b128 v[6:9], off, off offset:112
	scratch_load_b128 v[10:13], off, off offset:128
	scratch_load_b128 v[14:17], off, off offset:144
	scratch_load_b128 v[18:21], off, off offset:160
	scratch_load_b128 v[22:25], off, off offset:176
	scratch_load_b128 v[26:29], off, off offset:192
	scratch_load_b128 v[30:33], off, off offset:208
	v_mov_b32_e32 v1, 0
	s_clause 0x1
	scratch_load_b128 v[34:37], off, off offset:224
	scratch_load_b128 v[147:150], off, off offset:240
	s_mov_b32 s0, exec_lo
	ds_load_b128 v[38:41], v1 offset:880
	ds_load_b128 v[143:146], v1 offset:896
	s_wait_loadcnt_dscnt 0x901
	v_mul_f64_e32 v[151:152], v[40:41], v[4:5]
	v_mul_f64_e32 v[4:5], v[38:39], v[4:5]
	s_wait_loadcnt_dscnt 0x800
	v_mul_f64_e32 v[153:154], v[143:144], v[8:9]
	v_mul_f64_e32 v[8:9], v[145:146], v[8:9]
	s_delay_alu instid0(VALU_DEP_4) | instskip(NEXT) | instid1(VALU_DEP_4)
	v_fma_f64 v[151:152], v[38:39], v[2:3], -v[151:152]
	v_fma_f64 v[155:156], v[40:41], v[2:3], v[4:5]
	ds_load_b128 v[2:5], v1 offset:912
	scratch_load_b128 v[38:41], off, off offset:256
	v_fma_f64 v[153:154], v[145:146], v[6:7], v[153:154]
	v_fma_f64 v[159:160], v[143:144], v[6:7], -v[8:9]
	ds_load_b128 v[6:9], v1 offset:928
	scratch_load_b128 v[143:146], off, off offset:272
	s_wait_loadcnt_dscnt 0x901
	v_mul_f64_e32 v[157:158], v[2:3], v[12:13]
	v_mul_f64_e32 v[12:13], v[4:5], v[12:13]
	s_wait_loadcnt_dscnt 0x800
	v_mul_f64_e32 v[161:162], v[6:7], v[16:17]
	v_mul_f64_e32 v[16:17], v[8:9], v[16:17]
	v_add_f64_e32 v[151:152], 0, v[151:152]
	v_add_f64_e32 v[155:156], 0, v[155:156]
	v_fma_f64 v[157:158], v[4:5], v[10:11], v[157:158]
	v_fma_f64 v[163:164], v[2:3], v[10:11], -v[12:13]
	ds_load_b128 v[2:5], v1 offset:944
	scratch_load_b128 v[10:13], off, off offset:288
	v_add_f64_e32 v[151:152], v[151:152], v[159:160]
	v_add_f64_e32 v[153:154], v[155:156], v[153:154]
	v_fma_f64 v[159:160], v[8:9], v[14:15], v[161:162]
	v_fma_f64 v[161:162], v[6:7], v[14:15], -v[16:17]
	ds_load_b128 v[6:9], v1 offset:960
	scratch_load_b128 v[14:17], off, off offset:304
	s_wait_loadcnt_dscnt 0x901
	v_mul_f64_e32 v[155:156], v[2:3], v[20:21]
	v_mul_f64_e32 v[20:21], v[4:5], v[20:21]
	v_add_f64_e32 v[151:152], v[151:152], v[163:164]
	v_add_f64_e32 v[153:154], v[153:154], v[157:158]
	s_wait_loadcnt_dscnt 0x800
	v_mul_f64_e32 v[157:158], v[6:7], v[24:25]
	v_mul_f64_e32 v[24:25], v[8:9], v[24:25]
	v_fma_f64 v[155:156], v[4:5], v[18:19], v[155:156]
	v_fma_f64 v[163:164], v[2:3], v[18:19], -v[20:21]
	ds_load_b128 v[2:5], v1 offset:976
	scratch_load_b128 v[18:21], off, off offset:320
	v_add_f64_e32 v[151:152], v[151:152], v[161:162]
	v_add_f64_e32 v[153:154], v[153:154], v[159:160]
	v_fma_f64 v[157:158], v[8:9], v[22:23], v[157:158]
	v_fma_f64 v[161:162], v[6:7], v[22:23], -v[24:25]
	ds_load_b128 v[6:9], v1 offset:992
	s_wait_loadcnt_dscnt 0x801
	v_mul_f64_e32 v[159:160], v[2:3], v[28:29]
	v_mul_f64_e32 v[28:29], v[4:5], v[28:29]
	scratch_load_b128 v[22:25], off, off offset:336
	v_add_f64_e32 v[151:152], v[151:152], v[163:164]
	v_add_f64_e32 v[153:154], v[153:154], v[155:156]
	s_wait_loadcnt_dscnt 0x800
	v_mul_f64_e32 v[155:156], v[6:7], v[32:33]
	v_mul_f64_e32 v[32:33], v[8:9], v[32:33]
	v_fma_f64 v[159:160], v[4:5], v[26:27], v[159:160]
	v_fma_f64 v[163:164], v[2:3], v[26:27], -v[28:29]
	ds_load_b128 v[2:5], v1 offset:1008
	scratch_load_b128 v[26:29], off, off offset:352
	v_add_f64_e32 v[151:152], v[151:152], v[161:162]
	v_add_f64_e32 v[153:154], v[153:154], v[157:158]
	v_fma_f64 v[155:156], v[8:9], v[30:31], v[155:156]
	v_fma_f64 v[161:162], v[6:7], v[30:31], -v[32:33]
	ds_load_b128 v[6:9], v1 offset:1024
	s_wait_loadcnt_dscnt 0x801
	v_mul_f64_e32 v[157:158], v[2:3], v[36:37]
	v_mul_f64_e32 v[36:37], v[4:5], v[36:37]
	scratch_load_b128 v[30:33], off, off offset:368
	v_add_f64_e32 v[151:152], v[151:152], v[163:164]
	v_add_f64_e32 v[153:154], v[153:154], v[159:160]
	s_wait_loadcnt_dscnt 0x800
	v_mul_f64_e32 v[159:160], v[6:7], v[149:150]
	v_mul_f64_e32 v[149:150], v[8:9], v[149:150]
	v_fma_f64 v[157:158], v[4:5], v[34:35], v[157:158]
	v_fma_f64 v[163:164], v[2:3], v[34:35], -v[36:37]
	ds_load_b128 v[2:5], v1 offset:1040
	scratch_load_b128 v[34:37], off, off offset:384
	v_add_f64_e32 v[151:152], v[151:152], v[161:162]
	v_add_f64_e32 v[153:154], v[153:154], v[155:156]
	v_fma_f64 v[159:160], v[8:9], v[147:148], v[159:160]
	v_fma_f64 v[161:162], v[6:7], v[147:148], -v[149:150]
	ds_load_b128 v[6:9], v1 offset:1056
	scratch_load_b128 v[147:150], off, off offset:400
	s_wait_loadcnt_dscnt 0x901
	v_mul_f64_e32 v[155:156], v[2:3], v[40:41]
	v_mul_f64_e32 v[40:41], v[4:5], v[40:41]
	v_add_f64_e32 v[151:152], v[151:152], v[163:164]
	v_add_f64_e32 v[153:154], v[153:154], v[157:158]
	s_wait_loadcnt_dscnt 0x800
	v_mul_f64_e32 v[157:158], v[6:7], v[145:146]
	v_mul_f64_e32 v[145:146], v[8:9], v[145:146]
	v_fma_f64 v[155:156], v[4:5], v[38:39], v[155:156]
	v_fma_f64 v[163:164], v[2:3], v[38:39], -v[40:41]
	ds_load_b128 v[2:5], v1 offset:1072
	scratch_load_b128 v[38:41], off, off offset:416
	v_add_f64_e32 v[151:152], v[151:152], v[161:162]
	v_add_f64_e32 v[153:154], v[153:154], v[159:160]
	v_fma_f64 v[157:158], v[8:9], v[143:144], v[157:158]
	v_fma_f64 v[161:162], v[6:7], v[143:144], -v[145:146]
	ds_load_b128 v[6:9], v1 offset:1088
	s_wait_loadcnt_dscnt 0x801
	v_mul_f64_e32 v[159:160], v[2:3], v[12:13]
	v_mul_f64_e32 v[12:13], v[4:5], v[12:13]
	scratch_load_b128 v[143:146], off, off offset:432
	v_add_f64_e32 v[151:152], v[151:152], v[163:164]
	v_add_f64_e32 v[153:154], v[153:154], v[155:156]
	s_wait_loadcnt_dscnt 0x800
	v_mul_f64_e32 v[155:156], v[6:7], v[16:17]
	v_mul_f64_e32 v[16:17], v[8:9], v[16:17]
	v_fma_f64 v[159:160], v[4:5], v[10:11], v[159:160]
	v_fma_f64 v[163:164], v[2:3], v[10:11], -v[12:13]
	ds_load_b128 v[2:5], v1 offset:1104
	scratch_load_b128 v[10:13], off, off offset:448
	v_add_f64_e32 v[151:152], v[151:152], v[161:162]
	v_add_f64_e32 v[153:154], v[153:154], v[157:158]
	v_fma_f64 v[155:156], v[8:9], v[14:15], v[155:156]
	v_fma_f64 v[161:162], v[6:7], v[14:15], -v[16:17]
	ds_load_b128 v[6:9], v1 offset:1120
	s_wait_loadcnt_dscnt 0x801
	v_mul_f64_e32 v[157:158], v[2:3], v[20:21]
	v_mul_f64_e32 v[20:21], v[4:5], v[20:21]
	scratch_load_b128 v[14:17], off, off offset:464
	;; [unrolled: 18-line block ×12, first 2 shown]
	v_add_f64_e32 v[151:152], v[151:152], v[163:164]
	v_add_f64_e32 v[153:154], v[153:154], v[157:158]
	s_wait_loadcnt_dscnt 0x800
	v_mul_f64_e32 v[157:158], v[6:7], v[24:25]
	v_mul_f64_e32 v[24:25], v[8:9], v[24:25]
	v_fma_f64 v[155:156], v[4:5], v[18:19], v[155:156]
	v_fma_f64 v[163:164], v[2:3], v[18:19], -v[20:21]
	ds_load_b128 v[2:5], v1 offset:1456
	scratch_load_b128 v[18:21], off, off offset:800
	v_add_f64_e32 v[151:152], v[151:152], v[161:162]
	v_add_f64_e32 v[153:154], v[153:154], v[159:160]
	v_fma_f64 v[157:158], v[8:9], v[22:23], v[157:158]
	v_fma_f64 v[22:23], v[6:7], v[22:23], -v[24:25]
	ds_load_b128 v[6:9], v1 offset:1472
	s_wait_loadcnt_dscnt 0x801
	v_mul_f64_e32 v[159:160], v[2:3], v[28:29]
	v_mul_f64_e32 v[28:29], v[4:5], v[28:29]
	v_add_f64_e32 v[24:25], v[151:152], v[163:164]
	v_add_f64_e32 v[151:152], v[153:154], v[155:156]
	s_wait_loadcnt_dscnt 0x700
	v_mul_f64_e32 v[153:154], v[6:7], v[32:33]
	v_mul_f64_e32 v[32:33], v[8:9], v[32:33]
	v_fma_f64 v[155:156], v[4:5], v[26:27], v[159:160]
	v_fma_f64 v[26:27], v[2:3], v[26:27], -v[28:29]
	ds_load_b128 v[2:5], v1 offset:1488
	v_add_f64_e32 v[22:23], v[24:25], v[22:23]
	v_add_f64_e32 v[24:25], v[151:152], v[157:158]
	v_fma_f64 v[151:152], v[8:9], v[30:31], v[153:154]
	v_fma_f64 v[30:31], v[6:7], v[30:31], -v[32:33]
	ds_load_b128 v[6:9], v1 offset:1504
	s_wait_loadcnt_dscnt 0x500
	v_mul_f64_e32 v[153:154], v[6:7], v[149:150]
	v_mul_f64_e32 v[149:150], v[8:9], v[149:150]
	v_add_f64_e32 v[26:27], v[22:23], v[26:27]
	v_add_f64_e32 v[32:33], v[24:25], v[155:156]
	scratch_load_b128 v[22:25], off, off offset:80
	v_mul_f64_e32 v[28:29], v[2:3], v[36:37]
	v_mul_f64_e32 v[36:37], v[4:5], v[36:37]
	v_add_f64_e32 v[26:27], v[26:27], v[30:31]
	v_add_f64_e32 v[30:31], v[32:33], v[151:152]
	s_delay_alu instid0(VALU_DEP_4) | instskip(NEXT) | instid1(VALU_DEP_4)
	v_fma_f64 v[28:29], v[4:5], v[34:35], v[28:29]
	v_fma_f64 v[34:35], v[2:3], v[34:35], -v[36:37]
	ds_load_b128 v[2:5], v1 offset:1520
	s_wait_loadcnt_dscnt 0x500
	v_mul_f64_e32 v[32:33], v[2:3], v[40:41]
	v_mul_f64_e32 v[36:37], v[4:5], v[40:41]
	v_fma_f64 v[40:41], v[8:9], v[147:148], v[153:154]
	v_fma_f64 v[147:148], v[6:7], v[147:148], -v[149:150]
	ds_load_b128 v[6:9], v1 offset:1536
	v_add_f64_e32 v[28:29], v[30:31], v[28:29]
	v_add_f64_e32 v[26:27], v[26:27], v[34:35]
	v_fma_f64 v[32:33], v[4:5], v[38:39], v[32:33]
	v_fma_f64 v[36:37], v[2:3], v[38:39], -v[36:37]
	ds_load_b128 v[2:5], v1 offset:1552
	s_wait_loadcnt_dscnt 0x401
	v_mul_f64_e32 v[30:31], v[6:7], v[145:146]
	v_mul_f64_e32 v[34:35], v[8:9], v[145:146]
	v_add_f64_e32 v[28:29], v[28:29], v[40:41]
	v_add_f64_e32 v[26:27], v[26:27], v[147:148]
	s_wait_loadcnt_dscnt 0x300
	v_mul_f64_e32 v[38:39], v[2:3], v[12:13]
	v_mul_f64_e32 v[12:13], v[4:5], v[12:13]
	v_fma_f64 v[30:31], v[8:9], v[143:144], v[30:31]
	v_fma_f64 v[34:35], v[6:7], v[143:144], -v[34:35]
	ds_load_b128 v[6:9], v1 offset:1568
	v_add_f64_e32 v[28:29], v[28:29], v[32:33]
	v_add_f64_e32 v[26:27], v[26:27], v[36:37]
	v_fma_f64 v[36:37], v[4:5], v[10:11], v[38:39]
	v_fma_f64 v[10:11], v[2:3], v[10:11], -v[12:13]
	ds_load_b128 v[2:5], v1 offset:1584
	s_wait_loadcnt_dscnt 0x201
	v_mul_f64_e32 v[32:33], v[6:7], v[16:17]
	v_mul_f64_e32 v[16:17], v[8:9], v[16:17]
	v_add_f64_e32 v[12:13], v[26:27], v[34:35]
	v_add_f64_e32 v[26:27], v[28:29], v[30:31]
	s_wait_loadcnt_dscnt 0x100
	v_mul_f64_e32 v[28:29], v[2:3], v[20:21]
	v_mul_f64_e32 v[20:21], v[4:5], v[20:21]
	v_fma_f64 v[8:9], v[8:9], v[14:15], v[32:33]
	v_fma_f64 v[6:7], v[6:7], v[14:15], -v[16:17]
	v_add_f64_e32 v[10:11], v[12:13], v[10:11]
	v_add_f64_e32 v[12:13], v[26:27], v[36:37]
	v_fma_f64 v[4:5], v[4:5], v[18:19], v[28:29]
	v_fma_f64 v[2:3], v[2:3], v[18:19], -v[20:21]
	s_delay_alu instid0(VALU_DEP_4) | instskip(NEXT) | instid1(VALU_DEP_4)
	v_add_f64_e32 v[6:7], v[10:11], v[6:7]
	v_add_f64_e32 v[8:9], v[12:13], v[8:9]
	s_delay_alu instid0(VALU_DEP_2) | instskip(NEXT) | instid1(VALU_DEP_2)
	v_add_f64_e32 v[2:3], v[6:7], v[2:3]
	v_add_f64_e32 v[4:5], v[8:9], v[4:5]
	s_wait_loadcnt 0x0
	s_delay_alu instid0(VALU_DEP_2) | instskip(NEXT) | instid1(VALU_DEP_2)
	v_add_f64_e64 v[2:3], v[22:23], -v[2:3]
	v_add_f64_e64 v[4:5], v[24:25], -v[4:5]
	scratch_store_b128 off, v[2:5], off offset:80
	v_cmpx_lt_u32_e32 3, v0
	s_cbranch_execz .LBB49_307
; %bb.306:
	scratch_load_b128 v[5:8], off, s47
	v_dual_mov_b32 v2, v1 :: v_dual_mov_b32 v3, v1
	v_mov_b32_e32 v4, v1
	scratch_store_b128 off, v[1:4], off offset:64
	s_wait_loadcnt 0x0
	ds_store_b128 v142, v[5:8]
.LBB49_307:
	s_wait_alu 0xfffe
	s_or_b32 exec_lo, exec_lo, s0
	s_wait_storecnt_dscnt 0x0
	s_barrier_signal -1
	s_barrier_wait -1
	global_inv scope:SCOPE_SE
	s_clause 0x7
	scratch_load_b128 v[2:5], off, off offset:80
	scratch_load_b128 v[6:9], off, off offset:96
	;; [unrolled: 1-line block ×8, first 2 shown]
	ds_load_b128 v[38:41], v1 offset:864
	ds_load_b128 v[143:146], v1 offset:880
	s_clause 0x1
	scratch_load_b128 v[34:37], off, off offset:208
	scratch_load_b128 v[147:150], off, off offset:224
	s_mov_b32 s0, exec_lo
	s_wait_loadcnt_dscnt 0x901
	v_mul_f64_e32 v[151:152], v[40:41], v[4:5]
	v_mul_f64_e32 v[4:5], v[38:39], v[4:5]
	s_wait_loadcnt_dscnt 0x800
	v_mul_f64_e32 v[153:154], v[143:144], v[8:9]
	v_mul_f64_e32 v[8:9], v[145:146], v[8:9]
	s_delay_alu instid0(VALU_DEP_4) | instskip(NEXT) | instid1(VALU_DEP_4)
	v_fma_f64 v[151:152], v[38:39], v[2:3], -v[151:152]
	v_fma_f64 v[155:156], v[40:41], v[2:3], v[4:5]
	ds_load_b128 v[2:5], v1 offset:896
	scratch_load_b128 v[38:41], off, off offset:240
	v_fma_f64 v[153:154], v[145:146], v[6:7], v[153:154]
	v_fma_f64 v[159:160], v[143:144], v[6:7], -v[8:9]
	ds_load_b128 v[6:9], v1 offset:912
	scratch_load_b128 v[143:146], off, off offset:256
	s_wait_loadcnt_dscnt 0x901
	v_mul_f64_e32 v[157:158], v[2:3], v[12:13]
	v_mul_f64_e32 v[12:13], v[4:5], v[12:13]
	s_wait_loadcnt_dscnt 0x800
	v_mul_f64_e32 v[161:162], v[6:7], v[16:17]
	v_mul_f64_e32 v[16:17], v[8:9], v[16:17]
	v_add_f64_e32 v[151:152], 0, v[151:152]
	v_add_f64_e32 v[155:156], 0, v[155:156]
	v_fma_f64 v[157:158], v[4:5], v[10:11], v[157:158]
	v_fma_f64 v[163:164], v[2:3], v[10:11], -v[12:13]
	ds_load_b128 v[2:5], v1 offset:928
	scratch_load_b128 v[10:13], off, off offset:272
	v_add_f64_e32 v[151:152], v[151:152], v[159:160]
	v_add_f64_e32 v[153:154], v[155:156], v[153:154]
	v_fma_f64 v[159:160], v[8:9], v[14:15], v[161:162]
	v_fma_f64 v[161:162], v[6:7], v[14:15], -v[16:17]
	ds_load_b128 v[6:9], v1 offset:944
	scratch_load_b128 v[14:17], off, off offset:288
	s_wait_loadcnt_dscnt 0x901
	v_mul_f64_e32 v[155:156], v[2:3], v[20:21]
	v_mul_f64_e32 v[20:21], v[4:5], v[20:21]
	v_add_f64_e32 v[151:152], v[151:152], v[163:164]
	v_add_f64_e32 v[153:154], v[153:154], v[157:158]
	s_wait_loadcnt_dscnt 0x800
	v_mul_f64_e32 v[157:158], v[6:7], v[24:25]
	v_mul_f64_e32 v[24:25], v[8:9], v[24:25]
	v_fma_f64 v[155:156], v[4:5], v[18:19], v[155:156]
	v_fma_f64 v[163:164], v[2:3], v[18:19], -v[20:21]
	ds_load_b128 v[2:5], v1 offset:960
	scratch_load_b128 v[18:21], off, off offset:304
	v_add_f64_e32 v[151:152], v[151:152], v[161:162]
	v_add_f64_e32 v[153:154], v[153:154], v[159:160]
	v_fma_f64 v[157:158], v[8:9], v[22:23], v[157:158]
	v_fma_f64 v[161:162], v[6:7], v[22:23], -v[24:25]
	ds_load_b128 v[6:9], v1 offset:976
	s_wait_loadcnt_dscnt 0x801
	v_mul_f64_e32 v[159:160], v[2:3], v[28:29]
	v_mul_f64_e32 v[28:29], v[4:5], v[28:29]
	scratch_load_b128 v[22:25], off, off offset:320
	v_add_f64_e32 v[151:152], v[151:152], v[163:164]
	v_add_f64_e32 v[153:154], v[153:154], v[155:156]
	s_wait_loadcnt_dscnt 0x800
	v_mul_f64_e32 v[155:156], v[6:7], v[32:33]
	v_mul_f64_e32 v[32:33], v[8:9], v[32:33]
	v_fma_f64 v[159:160], v[4:5], v[26:27], v[159:160]
	v_fma_f64 v[163:164], v[2:3], v[26:27], -v[28:29]
	ds_load_b128 v[2:5], v1 offset:992
	scratch_load_b128 v[26:29], off, off offset:336
	v_add_f64_e32 v[151:152], v[151:152], v[161:162]
	v_add_f64_e32 v[153:154], v[153:154], v[157:158]
	v_fma_f64 v[155:156], v[8:9], v[30:31], v[155:156]
	v_fma_f64 v[161:162], v[6:7], v[30:31], -v[32:33]
	ds_load_b128 v[6:9], v1 offset:1008
	s_wait_loadcnt_dscnt 0x801
	v_mul_f64_e32 v[157:158], v[2:3], v[36:37]
	v_mul_f64_e32 v[36:37], v[4:5], v[36:37]
	scratch_load_b128 v[30:33], off, off offset:352
	v_add_f64_e32 v[151:152], v[151:152], v[163:164]
	v_add_f64_e32 v[153:154], v[153:154], v[159:160]
	s_wait_loadcnt_dscnt 0x800
	v_mul_f64_e32 v[159:160], v[6:7], v[149:150]
	v_mul_f64_e32 v[149:150], v[8:9], v[149:150]
	v_fma_f64 v[157:158], v[4:5], v[34:35], v[157:158]
	v_fma_f64 v[163:164], v[2:3], v[34:35], -v[36:37]
	ds_load_b128 v[2:5], v1 offset:1024
	scratch_load_b128 v[34:37], off, off offset:368
	v_add_f64_e32 v[151:152], v[151:152], v[161:162]
	v_add_f64_e32 v[153:154], v[153:154], v[155:156]
	v_fma_f64 v[159:160], v[8:9], v[147:148], v[159:160]
	v_fma_f64 v[161:162], v[6:7], v[147:148], -v[149:150]
	ds_load_b128 v[6:9], v1 offset:1040
	scratch_load_b128 v[147:150], off, off offset:384
	s_wait_loadcnt_dscnt 0x901
	v_mul_f64_e32 v[155:156], v[2:3], v[40:41]
	v_mul_f64_e32 v[40:41], v[4:5], v[40:41]
	v_add_f64_e32 v[151:152], v[151:152], v[163:164]
	v_add_f64_e32 v[153:154], v[153:154], v[157:158]
	s_wait_loadcnt_dscnt 0x800
	v_mul_f64_e32 v[157:158], v[6:7], v[145:146]
	v_mul_f64_e32 v[145:146], v[8:9], v[145:146]
	v_fma_f64 v[155:156], v[4:5], v[38:39], v[155:156]
	v_fma_f64 v[163:164], v[2:3], v[38:39], -v[40:41]
	ds_load_b128 v[2:5], v1 offset:1056
	scratch_load_b128 v[38:41], off, off offset:400
	v_add_f64_e32 v[151:152], v[151:152], v[161:162]
	v_add_f64_e32 v[153:154], v[153:154], v[159:160]
	v_fma_f64 v[157:158], v[8:9], v[143:144], v[157:158]
	v_fma_f64 v[161:162], v[6:7], v[143:144], -v[145:146]
	ds_load_b128 v[6:9], v1 offset:1072
	s_wait_loadcnt_dscnt 0x801
	v_mul_f64_e32 v[159:160], v[2:3], v[12:13]
	v_mul_f64_e32 v[12:13], v[4:5], v[12:13]
	scratch_load_b128 v[143:146], off, off offset:416
	v_add_f64_e32 v[151:152], v[151:152], v[163:164]
	v_add_f64_e32 v[153:154], v[153:154], v[155:156]
	s_wait_loadcnt_dscnt 0x800
	v_mul_f64_e32 v[155:156], v[6:7], v[16:17]
	v_mul_f64_e32 v[16:17], v[8:9], v[16:17]
	v_fma_f64 v[159:160], v[4:5], v[10:11], v[159:160]
	v_fma_f64 v[163:164], v[2:3], v[10:11], -v[12:13]
	ds_load_b128 v[2:5], v1 offset:1088
	scratch_load_b128 v[10:13], off, off offset:432
	v_add_f64_e32 v[151:152], v[151:152], v[161:162]
	v_add_f64_e32 v[153:154], v[153:154], v[157:158]
	v_fma_f64 v[155:156], v[8:9], v[14:15], v[155:156]
	v_fma_f64 v[161:162], v[6:7], v[14:15], -v[16:17]
	ds_load_b128 v[6:9], v1 offset:1104
	s_wait_loadcnt_dscnt 0x801
	v_mul_f64_e32 v[157:158], v[2:3], v[20:21]
	v_mul_f64_e32 v[20:21], v[4:5], v[20:21]
	scratch_load_b128 v[14:17], off, off offset:448
	;; [unrolled: 18-line block ×13, first 2 shown]
	v_add_f64_e32 v[151:152], v[151:152], v[163:164]
	v_add_f64_e32 v[153:154], v[153:154], v[155:156]
	s_wait_loadcnt_dscnt 0x800
	v_mul_f64_e32 v[155:156], v[6:7], v[32:33]
	v_mul_f64_e32 v[32:33], v[8:9], v[32:33]
	v_fma_f64 v[159:160], v[4:5], v[26:27], v[159:160]
	v_fma_f64 v[26:27], v[2:3], v[26:27], -v[28:29]
	ds_load_b128 v[2:5], v1 offset:1472
	v_add_f64_e32 v[28:29], v[151:152], v[161:162]
	v_add_f64_e32 v[151:152], v[153:154], v[157:158]
	v_fma_f64 v[155:156], v[8:9], v[30:31], v[155:156]
	v_fma_f64 v[30:31], v[6:7], v[30:31], -v[32:33]
	ds_load_b128 v[6:9], v1 offset:1488
	s_wait_loadcnt_dscnt 0x701
	v_mul_f64_e32 v[153:154], v[2:3], v[36:37]
	v_mul_f64_e32 v[36:37], v[4:5], v[36:37]
	v_add_f64_e32 v[26:27], v[28:29], v[26:27]
	v_add_f64_e32 v[28:29], v[151:152], v[159:160]
	s_delay_alu instid0(VALU_DEP_4) | instskip(NEXT) | instid1(VALU_DEP_4)
	v_fma_f64 v[151:152], v[4:5], v[34:35], v[153:154]
	v_fma_f64 v[34:35], v[2:3], v[34:35], -v[36:37]
	ds_load_b128 v[2:5], v1 offset:1504
	v_add_f64_e32 v[30:31], v[26:27], v[30:31]
	v_add_f64_e32 v[36:37], v[28:29], v[155:156]
	scratch_load_b128 v[26:29], off, off offset:64
	s_wait_loadcnt_dscnt 0x701
	v_mul_f64_e32 v[32:33], v[6:7], v[149:150]
	v_mul_f64_e32 v[149:150], v[8:9], v[149:150]
	v_add_f64_e32 v[30:31], v[30:31], v[34:35]
	v_add_f64_e32 v[34:35], v[36:37], v[151:152]
	s_delay_alu instid0(VALU_DEP_4) | instskip(NEXT) | instid1(VALU_DEP_4)
	v_fma_f64 v[32:33], v[8:9], v[147:148], v[32:33]
	v_fma_f64 v[147:148], v[6:7], v[147:148], -v[149:150]
	ds_load_b128 v[6:9], v1 offset:1520
	s_wait_loadcnt_dscnt 0x601
	v_mul_f64_e32 v[153:154], v[2:3], v[40:41]
	v_mul_f64_e32 v[40:41], v[4:5], v[40:41]
	s_wait_loadcnt_dscnt 0x500
	v_mul_f64_e32 v[36:37], v[6:7], v[145:146]
	v_mul_f64_e32 v[145:146], v[8:9], v[145:146]
	v_add_f64_e32 v[32:33], v[34:35], v[32:33]
	v_add_f64_e32 v[30:31], v[30:31], v[147:148]
	v_fma_f64 v[149:150], v[4:5], v[38:39], v[153:154]
	v_fma_f64 v[38:39], v[2:3], v[38:39], -v[40:41]
	ds_load_b128 v[2:5], v1 offset:1536
	v_fma_f64 v[36:37], v[8:9], v[143:144], v[36:37]
	v_fma_f64 v[40:41], v[6:7], v[143:144], -v[145:146]
	ds_load_b128 v[6:9], v1 offset:1552
	s_wait_loadcnt_dscnt 0x401
	v_mul_f64_e32 v[34:35], v[2:3], v[12:13]
	v_mul_f64_e32 v[12:13], v[4:5], v[12:13]
	v_add_f64_e32 v[32:33], v[32:33], v[149:150]
	v_add_f64_e32 v[30:31], v[30:31], v[38:39]
	s_wait_loadcnt_dscnt 0x300
	v_mul_f64_e32 v[38:39], v[6:7], v[16:17]
	v_mul_f64_e32 v[16:17], v[8:9], v[16:17]
	v_fma_f64 v[34:35], v[4:5], v[10:11], v[34:35]
	v_fma_f64 v[10:11], v[2:3], v[10:11], -v[12:13]
	ds_load_b128 v[2:5], v1 offset:1568
	v_add_f64_e32 v[12:13], v[30:31], v[40:41]
	v_add_f64_e32 v[30:31], v[32:33], v[36:37]
	v_fma_f64 v[36:37], v[8:9], v[14:15], v[38:39]
	v_fma_f64 v[14:15], v[6:7], v[14:15], -v[16:17]
	ds_load_b128 v[6:9], v1 offset:1584
	s_wait_loadcnt_dscnt 0x201
	v_mul_f64_e32 v[32:33], v[2:3], v[20:21]
	v_mul_f64_e32 v[20:21], v[4:5], v[20:21]
	s_wait_loadcnt_dscnt 0x100
	v_mul_f64_e32 v[16:17], v[6:7], v[24:25]
	v_mul_f64_e32 v[24:25], v[8:9], v[24:25]
	v_add_f64_e32 v[10:11], v[12:13], v[10:11]
	v_add_f64_e32 v[12:13], v[30:31], v[34:35]
	v_fma_f64 v[4:5], v[4:5], v[18:19], v[32:33]
	v_fma_f64 v[1:2], v[2:3], v[18:19], -v[20:21]
	v_fma_f64 v[8:9], v[8:9], v[22:23], v[16:17]
	v_fma_f64 v[6:7], v[6:7], v[22:23], -v[24:25]
	v_add_f64_e32 v[10:11], v[10:11], v[14:15]
	v_add_f64_e32 v[12:13], v[12:13], v[36:37]
	s_delay_alu instid0(VALU_DEP_2) | instskip(NEXT) | instid1(VALU_DEP_2)
	v_add_f64_e32 v[1:2], v[10:11], v[1:2]
	v_add_f64_e32 v[3:4], v[12:13], v[4:5]
	s_delay_alu instid0(VALU_DEP_2) | instskip(NEXT) | instid1(VALU_DEP_2)
	v_add_f64_e32 v[1:2], v[1:2], v[6:7]
	v_add_f64_e32 v[3:4], v[3:4], v[8:9]
	s_wait_loadcnt 0x0
	s_delay_alu instid0(VALU_DEP_2) | instskip(NEXT) | instid1(VALU_DEP_2)
	v_add_f64_e64 v[1:2], v[26:27], -v[1:2]
	v_add_f64_e64 v[3:4], v[28:29], -v[3:4]
	scratch_store_b128 off, v[1:4], off offset:64
	v_cmpx_lt_u32_e32 2, v0
	s_cbranch_execz .LBB49_309
; %bb.308:
	scratch_load_b128 v[1:4], off, s48
	v_mov_b32_e32 v5, 0
	s_delay_alu instid0(VALU_DEP_1)
	v_dual_mov_b32 v6, v5 :: v_dual_mov_b32 v7, v5
	v_mov_b32_e32 v8, v5
	scratch_store_b128 off, v[5:8], off offset:48
	s_wait_loadcnt 0x0
	ds_store_b128 v142, v[1:4]
.LBB49_309:
	s_wait_alu 0xfffe
	s_or_b32 exec_lo, exec_lo, s0
	s_wait_storecnt_dscnt 0x0
	s_barrier_signal -1
	s_barrier_wait -1
	global_inv scope:SCOPE_SE
	s_clause 0x7
	scratch_load_b128 v[2:5], off, off offset:64
	scratch_load_b128 v[6:9], off, off offset:80
	;; [unrolled: 1-line block ×8, first 2 shown]
	v_mov_b32_e32 v1, 0
	s_clause 0x1
	scratch_load_b128 v[34:37], off, off offset:192
	scratch_load_b128 v[147:150], off, off offset:208
	s_mov_b32 s0, exec_lo
	ds_load_b128 v[38:41], v1 offset:848
	ds_load_b128 v[143:146], v1 offset:864
	s_wait_loadcnt_dscnt 0x901
	v_mul_f64_e32 v[151:152], v[40:41], v[4:5]
	v_mul_f64_e32 v[4:5], v[38:39], v[4:5]
	s_wait_loadcnt_dscnt 0x800
	v_mul_f64_e32 v[153:154], v[143:144], v[8:9]
	v_mul_f64_e32 v[8:9], v[145:146], v[8:9]
	s_delay_alu instid0(VALU_DEP_4) | instskip(NEXT) | instid1(VALU_DEP_4)
	v_fma_f64 v[151:152], v[38:39], v[2:3], -v[151:152]
	v_fma_f64 v[155:156], v[40:41], v[2:3], v[4:5]
	ds_load_b128 v[2:5], v1 offset:880
	scratch_load_b128 v[38:41], off, off offset:224
	v_fma_f64 v[153:154], v[145:146], v[6:7], v[153:154]
	v_fma_f64 v[159:160], v[143:144], v[6:7], -v[8:9]
	ds_load_b128 v[6:9], v1 offset:896
	scratch_load_b128 v[143:146], off, off offset:240
	s_wait_loadcnt_dscnt 0x901
	v_mul_f64_e32 v[157:158], v[2:3], v[12:13]
	v_mul_f64_e32 v[12:13], v[4:5], v[12:13]
	s_wait_loadcnt_dscnt 0x800
	v_mul_f64_e32 v[161:162], v[6:7], v[16:17]
	v_mul_f64_e32 v[16:17], v[8:9], v[16:17]
	v_add_f64_e32 v[151:152], 0, v[151:152]
	v_add_f64_e32 v[155:156], 0, v[155:156]
	v_fma_f64 v[157:158], v[4:5], v[10:11], v[157:158]
	v_fma_f64 v[163:164], v[2:3], v[10:11], -v[12:13]
	ds_load_b128 v[2:5], v1 offset:912
	scratch_load_b128 v[10:13], off, off offset:256
	v_add_f64_e32 v[151:152], v[151:152], v[159:160]
	v_add_f64_e32 v[153:154], v[155:156], v[153:154]
	v_fma_f64 v[159:160], v[8:9], v[14:15], v[161:162]
	v_fma_f64 v[161:162], v[6:7], v[14:15], -v[16:17]
	ds_load_b128 v[6:9], v1 offset:928
	scratch_load_b128 v[14:17], off, off offset:272
	s_wait_loadcnt_dscnt 0x901
	v_mul_f64_e32 v[155:156], v[2:3], v[20:21]
	v_mul_f64_e32 v[20:21], v[4:5], v[20:21]
	v_add_f64_e32 v[151:152], v[151:152], v[163:164]
	v_add_f64_e32 v[153:154], v[153:154], v[157:158]
	s_wait_loadcnt_dscnt 0x800
	v_mul_f64_e32 v[157:158], v[6:7], v[24:25]
	v_mul_f64_e32 v[24:25], v[8:9], v[24:25]
	v_fma_f64 v[155:156], v[4:5], v[18:19], v[155:156]
	v_fma_f64 v[163:164], v[2:3], v[18:19], -v[20:21]
	ds_load_b128 v[2:5], v1 offset:944
	scratch_load_b128 v[18:21], off, off offset:288
	v_add_f64_e32 v[151:152], v[151:152], v[161:162]
	v_add_f64_e32 v[153:154], v[153:154], v[159:160]
	v_fma_f64 v[157:158], v[8:9], v[22:23], v[157:158]
	v_fma_f64 v[161:162], v[6:7], v[22:23], -v[24:25]
	ds_load_b128 v[6:9], v1 offset:960
	s_wait_loadcnt_dscnt 0x801
	v_mul_f64_e32 v[159:160], v[2:3], v[28:29]
	v_mul_f64_e32 v[28:29], v[4:5], v[28:29]
	scratch_load_b128 v[22:25], off, off offset:304
	v_add_f64_e32 v[151:152], v[151:152], v[163:164]
	v_add_f64_e32 v[153:154], v[153:154], v[155:156]
	s_wait_loadcnt_dscnt 0x800
	v_mul_f64_e32 v[155:156], v[6:7], v[32:33]
	v_mul_f64_e32 v[32:33], v[8:9], v[32:33]
	v_fma_f64 v[159:160], v[4:5], v[26:27], v[159:160]
	v_fma_f64 v[163:164], v[2:3], v[26:27], -v[28:29]
	ds_load_b128 v[2:5], v1 offset:976
	scratch_load_b128 v[26:29], off, off offset:320
	v_add_f64_e32 v[151:152], v[151:152], v[161:162]
	v_add_f64_e32 v[153:154], v[153:154], v[157:158]
	v_fma_f64 v[155:156], v[8:9], v[30:31], v[155:156]
	v_fma_f64 v[161:162], v[6:7], v[30:31], -v[32:33]
	ds_load_b128 v[6:9], v1 offset:992
	s_wait_loadcnt_dscnt 0x801
	v_mul_f64_e32 v[157:158], v[2:3], v[36:37]
	v_mul_f64_e32 v[36:37], v[4:5], v[36:37]
	scratch_load_b128 v[30:33], off, off offset:336
	v_add_f64_e32 v[151:152], v[151:152], v[163:164]
	v_add_f64_e32 v[153:154], v[153:154], v[159:160]
	s_wait_loadcnt_dscnt 0x800
	v_mul_f64_e32 v[159:160], v[6:7], v[149:150]
	v_mul_f64_e32 v[149:150], v[8:9], v[149:150]
	v_fma_f64 v[157:158], v[4:5], v[34:35], v[157:158]
	v_fma_f64 v[163:164], v[2:3], v[34:35], -v[36:37]
	ds_load_b128 v[2:5], v1 offset:1008
	scratch_load_b128 v[34:37], off, off offset:352
	v_add_f64_e32 v[151:152], v[151:152], v[161:162]
	v_add_f64_e32 v[153:154], v[153:154], v[155:156]
	v_fma_f64 v[159:160], v[8:9], v[147:148], v[159:160]
	v_fma_f64 v[161:162], v[6:7], v[147:148], -v[149:150]
	ds_load_b128 v[6:9], v1 offset:1024
	scratch_load_b128 v[147:150], off, off offset:368
	s_wait_loadcnt_dscnt 0x901
	v_mul_f64_e32 v[155:156], v[2:3], v[40:41]
	v_mul_f64_e32 v[40:41], v[4:5], v[40:41]
	v_add_f64_e32 v[151:152], v[151:152], v[163:164]
	v_add_f64_e32 v[153:154], v[153:154], v[157:158]
	s_wait_loadcnt_dscnt 0x800
	v_mul_f64_e32 v[157:158], v[6:7], v[145:146]
	v_mul_f64_e32 v[145:146], v[8:9], v[145:146]
	v_fma_f64 v[155:156], v[4:5], v[38:39], v[155:156]
	v_fma_f64 v[163:164], v[2:3], v[38:39], -v[40:41]
	ds_load_b128 v[2:5], v1 offset:1040
	scratch_load_b128 v[38:41], off, off offset:384
	v_add_f64_e32 v[151:152], v[151:152], v[161:162]
	v_add_f64_e32 v[153:154], v[153:154], v[159:160]
	v_fma_f64 v[157:158], v[8:9], v[143:144], v[157:158]
	v_fma_f64 v[161:162], v[6:7], v[143:144], -v[145:146]
	ds_load_b128 v[6:9], v1 offset:1056
	s_wait_loadcnt_dscnt 0x801
	v_mul_f64_e32 v[159:160], v[2:3], v[12:13]
	v_mul_f64_e32 v[12:13], v[4:5], v[12:13]
	scratch_load_b128 v[143:146], off, off offset:400
	v_add_f64_e32 v[151:152], v[151:152], v[163:164]
	v_add_f64_e32 v[153:154], v[153:154], v[155:156]
	s_wait_loadcnt_dscnt 0x800
	v_mul_f64_e32 v[155:156], v[6:7], v[16:17]
	v_mul_f64_e32 v[16:17], v[8:9], v[16:17]
	v_fma_f64 v[159:160], v[4:5], v[10:11], v[159:160]
	v_fma_f64 v[163:164], v[2:3], v[10:11], -v[12:13]
	ds_load_b128 v[2:5], v1 offset:1072
	scratch_load_b128 v[10:13], off, off offset:416
	v_add_f64_e32 v[151:152], v[151:152], v[161:162]
	v_add_f64_e32 v[153:154], v[153:154], v[157:158]
	v_fma_f64 v[155:156], v[8:9], v[14:15], v[155:156]
	v_fma_f64 v[161:162], v[6:7], v[14:15], -v[16:17]
	ds_load_b128 v[6:9], v1 offset:1088
	s_wait_loadcnt_dscnt 0x801
	v_mul_f64_e32 v[157:158], v[2:3], v[20:21]
	v_mul_f64_e32 v[20:21], v[4:5], v[20:21]
	scratch_load_b128 v[14:17], off, off offset:432
	;; [unrolled: 18-line block ×13, first 2 shown]
	v_add_f64_e32 v[151:152], v[151:152], v[163:164]
	v_add_f64_e32 v[153:154], v[153:154], v[155:156]
	s_wait_loadcnt_dscnt 0x800
	v_mul_f64_e32 v[155:156], v[6:7], v[32:33]
	v_mul_f64_e32 v[32:33], v[8:9], v[32:33]
	v_fma_f64 v[159:160], v[4:5], v[26:27], v[159:160]
	v_fma_f64 v[163:164], v[2:3], v[26:27], -v[28:29]
	ds_load_b128 v[2:5], v1 offset:1456
	scratch_load_b128 v[26:29], off, off offset:800
	v_add_f64_e32 v[151:152], v[151:152], v[161:162]
	v_add_f64_e32 v[153:154], v[153:154], v[157:158]
	v_fma_f64 v[155:156], v[8:9], v[30:31], v[155:156]
	v_fma_f64 v[30:31], v[6:7], v[30:31], -v[32:33]
	ds_load_b128 v[6:9], v1 offset:1472
	s_wait_loadcnt_dscnt 0x801
	v_mul_f64_e32 v[157:158], v[2:3], v[36:37]
	v_mul_f64_e32 v[36:37], v[4:5], v[36:37]
	v_add_f64_e32 v[32:33], v[151:152], v[163:164]
	v_add_f64_e32 v[151:152], v[153:154], v[159:160]
	s_wait_loadcnt_dscnt 0x700
	v_mul_f64_e32 v[153:154], v[6:7], v[149:150]
	v_mul_f64_e32 v[149:150], v[8:9], v[149:150]
	v_fma_f64 v[157:158], v[4:5], v[34:35], v[157:158]
	v_fma_f64 v[34:35], v[2:3], v[34:35], -v[36:37]
	ds_load_b128 v[2:5], v1 offset:1488
	v_add_f64_e32 v[30:31], v[32:33], v[30:31]
	v_add_f64_e32 v[32:33], v[151:152], v[155:156]
	v_fma_f64 v[151:152], v[8:9], v[147:148], v[153:154]
	v_fma_f64 v[147:148], v[6:7], v[147:148], -v[149:150]
	ds_load_b128 v[6:9], v1 offset:1504
	s_wait_loadcnt_dscnt 0x500
	v_mul_f64_e32 v[153:154], v[6:7], v[145:146]
	v_mul_f64_e32 v[145:146], v[8:9], v[145:146]
	v_add_f64_e32 v[34:35], v[30:31], v[34:35]
	v_add_f64_e32 v[149:150], v[32:33], v[157:158]
	scratch_load_b128 v[30:33], off, off offset:48
	v_mul_f64_e32 v[36:37], v[2:3], v[40:41]
	v_mul_f64_e32 v[40:41], v[4:5], v[40:41]
	v_add_f64_e32 v[34:35], v[34:35], v[147:148]
	s_delay_alu instid0(VALU_DEP_3) | instskip(NEXT) | instid1(VALU_DEP_3)
	v_fma_f64 v[36:37], v[4:5], v[38:39], v[36:37]
	v_fma_f64 v[38:39], v[2:3], v[38:39], -v[40:41]
	v_add_f64_e32 v[40:41], v[149:150], v[151:152]
	ds_load_b128 v[2:5], v1 offset:1520
	v_fma_f64 v[149:150], v[8:9], v[143:144], v[153:154]
	v_fma_f64 v[143:144], v[6:7], v[143:144], -v[145:146]
	ds_load_b128 v[6:9], v1 offset:1536
	s_wait_loadcnt_dscnt 0x501
	v_mul_f64_e32 v[147:148], v[2:3], v[12:13]
	v_mul_f64_e32 v[12:13], v[4:5], v[12:13]
	v_add_f64_e32 v[34:35], v[34:35], v[38:39]
	v_add_f64_e32 v[36:37], v[40:41], v[36:37]
	s_wait_loadcnt_dscnt 0x400
	v_mul_f64_e32 v[38:39], v[6:7], v[16:17]
	v_mul_f64_e32 v[16:17], v[8:9], v[16:17]
	v_fma_f64 v[40:41], v[4:5], v[10:11], v[147:148]
	v_fma_f64 v[10:11], v[2:3], v[10:11], -v[12:13]
	ds_load_b128 v[2:5], v1 offset:1552
	v_add_f64_e32 v[12:13], v[34:35], v[143:144]
	v_add_f64_e32 v[34:35], v[36:37], v[149:150]
	v_fma_f64 v[38:39], v[8:9], v[14:15], v[38:39]
	v_fma_f64 v[14:15], v[6:7], v[14:15], -v[16:17]
	ds_load_b128 v[6:9], v1 offset:1568
	s_wait_loadcnt_dscnt 0x301
	v_mul_f64_e32 v[36:37], v[2:3], v[20:21]
	v_mul_f64_e32 v[20:21], v[4:5], v[20:21]
	s_wait_loadcnt_dscnt 0x200
	v_mul_f64_e32 v[16:17], v[6:7], v[24:25]
	v_mul_f64_e32 v[24:25], v[8:9], v[24:25]
	v_add_f64_e32 v[10:11], v[12:13], v[10:11]
	v_add_f64_e32 v[12:13], v[34:35], v[40:41]
	v_fma_f64 v[34:35], v[4:5], v[18:19], v[36:37]
	v_fma_f64 v[18:19], v[2:3], v[18:19], -v[20:21]
	ds_load_b128 v[2:5], v1 offset:1584
	v_fma_f64 v[8:9], v[8:9], v[22:23], v[16:17]
	v_fma_f64 v[6:7], v[6:7], v[22:23], -v[24:25]
	s_wait_loadcnt_dscnt 0x100
	v_mul_f64_e32 v[20:21], v[4:5], v[28:29]
	v_add_f64_e32 v[10:11], v[10:11], v[14:15]
	v_add_f64_e32 v[12:13], v[12:13], v[38:39]
	v_mul_f64_e32 v[14:15], v[2:3], v[28:29]
	s_delay_alu instid0(VALU_DEP_4) | instskip(NEXT) | instid1(VALU_DEP_4)
	v_fma_f64 v[2:3], v[2:3], v[26:27], -v[20:21]
	v_add_f64_e32 v[10:11], v[10:11], v[18:19]
	s_delay_alu instid0(VALU_DEP_4) | instskip(NEXT) | instid1(VALU_DEP_4)
	v_add_f64_e32 v[12:13], v[12:13], v[34:35]
	v_fma_f64 v[4:5], v[4:5], v[26:27], v[14:15]
	s_delay_alu instid0(VALU_DEP_3) | instskip(NEXT) | instid1(VALU_DEP_3)
	v_add_f64_e32 v[6:7], v[10:11], v[6:7]
	v_add_f64_e32 v[8:9], v[12:13], v[8:9]
	s_delay_alu instid0(VALU_DEP_2) | instskip(NEXT) | instid1(VALU_DEP_2)
	v_add_f64_e32 v[2:3], v[6:7], v[2:3]
	v_add_f64_e32 v[4:5], v[8:9], v[4:5]
	s_wait_loadcnt 0x0
	s_delay_alu instid0(VALU_DEP_2) | instskip(NEXT) | instid1(VALU_DEP_2)
	v_add_f64_e64 v[2:3], v[30:31], -v[2:3]
	v_add_f64_e64 v[4:5], v[32:33], -v[4:5]
	scratch_store_b128 off, v[2:5], off offset:48
	v_cmpx_lt_u32_e32 1, v0
	s_cbranch_execz .LBB49_311
; %bb.310:
	scratch_load_b128 v[5:8], off, s49
	v_dual_mov_b32 v2, v1 :: v_dual_mov_b32 v3, v1
	v_mov_b32_e32 v4, v1
	scratch_store_b128 off, v[1:4], off offset:32
	s_wait_loadcnt 0x0
	ds_store_b128 v142, v[5:8]
.LBB49_311:
	s_wait_alu 0xfffe
	s_or_b32 exec_lo, exec_lo, s0
	s_wait_storecnt_dscnt 0x0
	s_barrier_signal -1
	s_barrier_wait -1
	global_inv scope:SCOPE_SE
	s_clause 0x7
	scratch_load_b128 v[2:5], off, off offset:48
	scratch_load_b128 v[6:9], off, off offset:64
	scratch_load_b128 v[10:13], off, off offset:80
	scratch_load_b128 v[14:17], off, off offset:96
	scratch_load_b128 v[18:21], off, off offset:112
	scratch_load_b128 v[22:25], off, off offset:128
	scratch_load_b128 v[26:29], off, off offset:144
	scratch_load_b128 v[30:33], off, off offset:160
	ds_load_b128 v[38:41], v1 offset:832
	ds_load_b128 v[143:146], v1 offset:848
	s_clause 0x1
	scratch_load_b128 v[34:37], off, off offset:176
	scratch_load_b128 v[147:150], off, off offset:192
	s_mov_b32 s0, exec_lo
	s_wait_loadcnt_dscnt 0x901
	v_mul_f64_e32 v[151:152], v[40:41], v[4:5]
	v_mul_f64_e32 v[4:5], v[38:39], v[4:5]
	s_wait_loadcnt_dscnt 0x800
	v_mul_f64_e32 v[153:154], v[143:144], v[8:9]
	v_mul_f64_e32 v[8:9], v[145:146], v[8:9]
	s_delay_alu instid0(VALU_DEP_4) | instskip(NEXT) | instid1(VALU_DEP_4)
	v_fma_f64 v[151:152], v[38:39], v[2:3], -v[151:152]
	v_fma_f64 v[155:156], v[40:41], v[2:3], v[4:5]
	ds_load_b128 v[2:5], v1 offset:864
	scratch_load_b128 v[38:41], off, off offset:208
	v_fma_f64 v[153:154], v[145:146], v[6:7], v[153:154]
	v_fma_f64 v[159:160], v[143:144], v[6:7], -v[8:9]
	ds_load_b128 v[6:9], v1 offset:880
	scratch_load_b128 v[143:146], off, off offset:224
	s_wait_loadcnt_dscnt 0x901
	v_mul_f64_e32 v[157:158], v[2:3], v[12:13]
	v_mul_f64_e32 v[12:13], v[4:5], v[12:13]
	s_wait_loadcnt_dscnt 0x800
	v_mul_f64_e32 v[161:162], v[6:7], v[16:17]
	v_mul_f64_e32 v[16:17], v[8:9], v[16:17]
	v_add_f64_e32 v[151:152], 0, v[151:152]
	v_add_f64_e32 v[155:156], 0, v[155:156]
	v_fma_f64 v[157:158], v[4:5], v[10:11], v[157:158]
	v_fma_f64 v[163:164], v[2:3], v[10:11], -v[12:13]
	ds_load_b128 v[2:5], v1 offset:896
	scratch_load_b128 v[10:13], off, off offset:240
	v_add_f64_e32 v[151:152], v[151:152], v[159:160]
	v_add_f64_e32 v[153:154], v[155:156], v[153:154]
	v_fma_f64 v[159:160], v[8:9], v[14:15], v[161:162]
	v_fma_f64 v[161:162], v[6:7], v[14:15], -v[16:17]
	ds_load_b128 v[6:9], v1 offset:912
	scratch_load_b128 v[14:17], off, off offset:256
	s_wait_loadcnt_dscnt 0x901
	v_mul_f64_e32 v[155:156], v[2:3], v[20:21]
	v_mul_f64_e32 v[20:21], v[4:5], v[20:21]
	v_add_f64_e32 v[151:152], v[151:152], v[163:164]
	v_add_f64_e32 v[153:154], v[153:154], v[157:158]
	s_wait_loadcnt_dscnt 0x800
	v_mul_f64_e32 v[157:158], v[6:7], v[24:25]
	v_mul_f64_e32 v[24:25], v[8:9], v[24:25]
	v_fma_f64 v[155:156], v[4:5], v[18:19], v[155:156]
	v_fma_f64 v[163:164], v[2:3], v[18:19], -v[20:21]
	ds_load_b128 v[2:5], v1 offset:928
	scratch_load_b128 v[18:21], off, off offset:272
	v_add_f64_e32 v[151:152], v[151:152], v[161:162]
	v_add_f64_e32 v[153:154], v[153:154], v[159:160]
	v_fma_f64 v[157:158], v[8:9], v[22:23], v[157:158]
	v_fma_f64 v[161:162], v[6:7], v[22:23], -v[24:25]
	ds_load_b128 v[6:9], v1 offset:944
	s_wait_loadcnt_dscnt 0x801
	v_mul_f64_e32 v[159:160], v[2:3], v[28:29]
	v_mul_f64_e32 v[28:29], v[4:5], v[28:29]
	scratch_load_b128 v[22:25], off, off offset:288
	v_add_f64_e32 v[151:152], v[151:152], v[163:164]
	v_add_f64_e32 v[153:154], v[153:154], v[155:156]
	s_wait_loadcnt_dscnt 0x800
	v_mul_f64_e32 v[155:156], v[6:7], v[32:33]
	v_mul_f64_e32 v[32:33], v[8:9], v[32:33]
	v_fma_f64 v[159:160], v[4:5], v[26:27], v[159:160]
	v_fma_f64 v[163:164], v[2:3], v[26:27], -v[28:29]
	ds_load_b128 v[2:5], v1 offset:960
	scratch_load_b128 v[26:29], off, off offset:304
	v_add_f64_e32 v[151:152], v[151:152], v[161:162]
	v_add_f64_e32 v[153:154], v[153:154], v[157:158]
	v_fma_f64 v[155:156], v[8:9], v[30:31], v[155:156]
	v_fma_f64 v[161:162], v[6:7], v[30:31], -v[32:33]
	ds_load_b128 v[6:9], v1 offset:976
	s_wait_loadcnt_dscnt 0x801
	v_mul_f64_e32 v[157:158], v[2:3], v[36:37]
	v_mul_f64_e32 v[36:37], v[4:5], v[36:37]
	scratch_load_b128 v[30:33], off, off offset:320
	v_add_f64_e32 v[151:152], v[151:152], v[163:164]
	v_add_f64_e32 v[153:154], v[153:154], v[159:160]
	s_wait_loadcnt_dscnt 0x800
	v_mul_f64_e32 v[159:160], v[6:7], v[149:150]
	v_mul_f64_e32 v[149:150], v[8:9], v[149:150]
	v_fma_f64 v[157:158], v[4:5], v[34:35], v[157:158]
	v_fma_f64 v[163:164], v[2:3], v[34:35], -v[36:37]
	ds_load_b128 v[2:5], v1 offset:992
	scratch_load_b128 v[34:37], off, off offset:336
	v_add_f64_e32 v[151:152], v[151:152], v[161:162]
	v_add_f64_e32 v[153:154], v[153:154], v[155:156]
	v_fma_f64 v[159:160], v[8:9], v[147:148], v[159:160]
	v_fma_f64 v[161:162], v[6:7], v[147:148], -v[149:150]
	ds_load_b128 v[6:9], v1 offset:1008
	scratch_load_b128 v[147:150], off, off offset:352
	s_wait_loadcnt_dscnt 0x901
	v_mul_f64_e32 v[155:156], v[2:3], v[40:41]
	v_mul_f64_e32 v[40:41], v[4:5], v[40:41]
	v_add_f64_e32 v[151:152], v[151:152], v[163:164]
	v_add_f64_e32 v[153:154], v[153:154], v[157:158]
	s_wait_loadcnt_dscnt 0x800
	v_mul_f64_e32 v[157:158], v[6:7], v[145:146]
	v_mul_f64_e32 v[145:146], v[8:9], v[145:146]
	v_fma_f64 v[155:156], v[4:5], v[38:39], v[155:156]
	v_fma_f64 v[163:164], v[2:3], v[38:39], -v[40:41]
	ds_load_b128 v[2:5], v1 offset:1024
	scratch_load_b128 v[38:41], off, off offset:368
	v_add_f64_e32 v[151:152], v[151:152], v[161:162]
	v_add_f64_e32 v[153:154], v[153:154], v[159:160]
	v_fma_f64 v[157:158], v[8:9], v[143:144], v[157:158]
	v_fma_f64 v[161:162], v[6:7], v[143:144], -v[145:146]
	ds_load_b128 v[6:9], v1 offset:1040
	s_wait_loadcnt_dscnt 0x801
	v_mul_f64_e32 v[159:160], v[2:3], v[12:13]
	v_mul_f64_e32 v[12:13], v[4:5], v[12:13]
	scratch_load_b128 v[143:146], off, off offset:384
	v_add_f64_e32 v[151:152], v[151:152], v[163:164]
	v_add_f64_e32 v[153:154], v[153:154], v[155:156]
	s_wait_loadcnt_dscnt 0x800
	v_mul_f64_e32 v[155:156], v[6:7], v[16:17]
	v_mul_f64_e32 v[16:17], v[8:9], v[16:17]
	v_fma_f64 v[159:160], v[4:5], v[10:11], v[159:160]
	v_fma_f64 v[163:164], v[2:3], v[10:11], -v[12:13]
	ds_load_b128 v[2:5], v1 offset:1056
	scratch_load_b128 v[10:13], off, off offset:400
	v_add_f64_e32 v[151:152], v[151:152], v[161:162]
	v_add_f64_e32 v[153:154], v[153:154], v[157:158]
	v_fma_f64 v[155:156], v[8:9], v[14:15], v[155:156]
	v_fma_f64 v[161:162], v[6:7], v[14:15], -v[16:17]
	ds_load_b128 v[6:9], v1 offset:1072
	s_wait_loadcnt_dscnt 0x801
	v_mul_f64_e32 v[157:158], v[2:3], v[20:21]
	v_mul_f64_e32 v[20:21], v[4:5], v[20:21]
	scratch_load_b128 v[14:17], off, off offset:416
	;; [unrolled: 18-line block ×14, first 2 shown]
	v_add_f64_e32 v[151:152], v[151:152], v[163:164]
	v_add_f64_e32 v[153:154], v[153:154], v[159:160]
	s_wait_loadcnt_dscnt 0x800
	v_mul_f64_e32 v[159:160], v[6:7], v[149:150]
	v_mul_f64_e32 v[149:150], v[8:9], v[149:150]
	v_fma_f64 v[157:158], v[4:5], v[34:35], v[157:158]
	v_fma_f64 v[34:35], v[2:3], v[34:35], -v[36:37]
	ds_load_b128 v[2:5], v1 offset:1472
	v_add_f64_e32 v[36:37], v[151:152], v[161:162]
	v_add_f64_e32 v[151:152], v[153:154], v[155:156]
	v_fma_f64 v[155:156], v[8:9], v[147:148], v[159:160]
	v_fma_f64 v[147:148], v[6:7], v[147:148], -v[149:150]
	ds_load_b128 v[6:9], v1 offset:1488
	s_wait_loadcnt_dscnt 0x701
	v_mul_f64_e32 v[153:154], v[2:3], v[40:41]
	v_mul_f64_e32 v[40:41], v[4:5], v[40:41]
	v_add_f64_e32 v[34:35], v[36:37], v[34:35]
	v_add_f64_e32 v[36:37], v[151:152], v[157:158]
	s_delay_alu instid0(VALU_DEP_4) | instskip(NEXT) | instid1(VALU_DEP_4)
	v_fma_f64 v[151:152], v[4:5], v[38:39], v[153:154]
	v_fma_f64 v[38:39], v[2:3], v[38:39], -v[40:41]
	ds_load_b128 v[2:5], v1 offset:1504
	v_add_f64_e32 v[40:41], v[34:35], v[147:148]
	v_add_f64_e32 v[147:148], v[36:37], v[155:156]
	scratch_load_b128 v[34:37], off, off offset:32
	s_wait_loadcnt_dscnt 0x701
	v_mul_f64_e32 v[149:150], v[6:7], v[145:146]
	v_mul_f64_e32 v[145:146], v[8:9], v[145:146]
	v_add_f64_e32 v[38:39], v[40:41], v[38:39]
	v_add_f64_e32 v[40:41], v[147:148], v[151:152]
	s_delay_alu instid0(VALU_DEP_4) | instskip(NEXT) | instid1(VALU_DEP_4)
	v_fma_f64 v[149:150], v[8:9], v[143:144], v[149:150]
	v_fma_f64 v[143:144], v[6:7], v[143:144], -v[145:146]
	ds_load_b128 v[6:9], v1 offset:1520
	s_wait_loadcnt_dscnt 0x601
	v_mul_f64_e32 v[153:154], v[2:3], v[12:13]
	v_mul_f64_e32 v[12:13], v[4:5], v[12:13]
	s_wait_loadcnt_dscnt 0x500
	v_mul_f64_e32 v[145:146], v[6:7], v[16:17]
	v_mul_f64_e32 v[16:17], v[8:9], v[16:17]
	s_delay_alu instid0(VALU_DEP_4) | instskip(NEXT) | instid1(VALU_DEP_4)
	v_fma_f64 v[147:148], v[4:5], v[10:11], v[153:154]
	v_fma_f64 v[10:11], v[2:3], v[10:11], -v[12:13]
	v_add_f64_e32 v[12:13], v[38:39], v[143:144]
	v_add_f64_e32 v[38:39], v[40:41], v[149:150]
	ds_load_b128 v[2:5], v1 offset:1536
	v_fma_f64 v[143:144], v[8:9], v[14:15], v[145:146]
	v_fma_f64 v[14:15], v[6:7], v[14:15], -v[16:17]
	ds_load_b128 v[6:9], v1 offset:1552
	s_wait_loadcnt_dscnt 0x401
	v_mul_f64_e32 v[40:41], v[2:3], v[20:21]
	v_mul_f64_e32 v[20:21], v[4:5], v[20:21]
	v_add_f64_e32 v[10:11], v[12:13], v[10:11]
	v_add_f64_e32 v[12:13], v[38:39], v[147:148]
	s_wait_loadcnt_dscnt 0x300
	v_mul_f64_e32 v[16:17], v[6:7], v[24:25]
	v_mul_f64_e32 v[24:25], v[8:9], v[24:25]
	v_fma_f64 v[38:39], v[4:5], v[18:19], v[40:41]
	v_fma_f64 v[18:19], v[2:3], v[18:19], -v[20:21]
	ds_load_b128 v[2:5], v1 offset:1568
	v_add_f64_e32 v[10:11], v[10:11], v[14:15]
	v_add_f64_e32 v[12:13], v[12:13], v[143:144]
	v_fma_f64 v[16:17], v[8:9], v[22:23], v[16:17]
	v_fma_f64 v[22:23], v[6:7], v[22:23], -v[24:25]
	ds_load_b128 v[6:9], v1 offset:1584
	s_wait_loadcnt_dscnt 0x201
	v_mul_f64_e32 v[14:15], v[2:3], v[28:29]
	v_mul_f64_e32 v[20:21], v[4:5], v[28:29]
	s_wait_loadcnt_dscnt 0x100
	v_mul_f64_e32 v[24:25], v[8:9], v[32:33]
	v_add_f64_e32 v[10:11], v[10:11], v[18:19]
	v_add_f64_e32 v[12:13], v[12:13], v[38:39]
	v_mul_f64_e32 v[18:19], v[6:7], v[32:33]
	v_fma_f64 v[4:5], v[4:5], v[26:27], v[14:15]
	v_fma_f64 v[1:2], v[2:3], v[26:27], -v[20:21]
	v_fma_f64 v[6:7], v[6:7], v[30:31], -v[24:25]
	v_add_f64_e32 v[10:11], v[10:11], v[22:23]
	v_add_f64_e32 v[12:13], v[12:13], v[16:17]
	v_fma_f64 v[8:9], v[8:9], v[30:31], v[18:19]
	s_delay_alu instid0(VALU_DEP_3) | instskip(NEXT) | instid1(VALU_DEP_3)
	v_add_f64_e32 v[1:2], v[10:11], v[1:2]
	v_add_f64_e32 v[3:4], v[12:13], v[4:5]
	s_delay_alu instid0(VALU_DEP_2) | instskip(NEXT) | instid1(VALU_DEP_2)
	v_add_f64_e32 v[1:2], v[1:2], v[6:7]
	v_add_f64_e32 v[3:4], v[3:4], v[8:9]
	s_wait_loadcnt 0x0
	s_delay_alu instid0(VALU_DEP_2) | instskip(NEXT) | instid1(VALU_DEP_2)
	v_add_f64_e64 v[1:2], v[34:35], -v[1:2]
	v_add_f64_e64 v[3:4], v[36:37], -v[3:4]
	scratch_store_b128 off, v[1:4], off offset:32
	v_cmpx_ne_u32_e32 0, v0
	s_cbranch_execz .LBB49_313
; %bb.312:
	scratch_load_b128 v[0:3], off, off offset:16
	v_mov_b32_e32 v4, 0
	s_delay_alu instid0(VALU_DEP_1)
	v_dual_mov_b32 v5, v4 :: v_dual_mov_b32 v6, v4
	v_mov_b32_e32 v7, v4
	scratch_store_b128 off, v[4:7], off offset:16
	s_wait_loadcnt 0x0
	ds_store_b128 v142, v[0:3]
.LBB49_313:
	s_wait_alu 0xfffe
	s_or_b32 exec_lo, exec_lo, s0
	s_wait_storecnt_dscnt 0x0
	s_barrier_signal -1
	s_barrier_wait -1
	global_inv scope:SCOPE_SE
	s_clause 0x7
	scratch_load_b128 v[0:3], off, off offset:32
	scratch_load_b128 v[4:7], off, off offset:48
	scratch_load_b128 v[8:11], off, off offset:64
	scratch_load_b128 v[12:15], off, off offset:80
	scratch_load_b128 v[16:19], off, off offset:96
	scratch_load_b128 v[20:23], off, off offset:112
	scratch_load_b128 v[24:27], off, off offset:128
	scratch_load_b128 v[28:31], off, off offset:144
	v_mov_b32_e32 v40, 0
	s_clause 0x1
	scratch_load_b128 v[32:35], off, off offset:160
	scratch_load_b128 v[146:149], off, off offset:176
	s_and_b32 vcc_lo, exec_lo, s18
	ds_load_b128 v[36:39], v40 offset:816
	ds_load_b128 v[142:145], v40 offset:832
	s_wait_loadcnt_dscnt 0x901
	v_mul_f64_e32 v[150:151], v[38:39], v[2:3]
	v_mul_f64_e32 v[2:3], v[36:37], v[2:3]
	s_wait_loadcnt_dscnt 0x800
	v_mul_f64_e32 v[152:153], v[142:143], v[6:7]
	v_mul_f64_e32 v[6:7], v[144:145], v[6:7]
	s_delay_alu instid0(VALU_DEP_4) | instskip(NEXT) | instid1(VALU_DEP_4)
	v_fma_f64 v[150:151], v[36:37], v[0:1], -v[150:151]
	v_fma_f64 v[154:155], v[38:39], v[0:1], v[2:3]
	ds_load_b128 v[0:3], v40 offset:848
	scratch_load_b128 v[36:39], off, off offset:192
	v_fma_f64 v[152:153], v[144:145], v[4:5], v[152:153]
	v_fma_f64 v[158:159], v[142:143], v[4:5], -v[6:7]
	ds_load_b128 v[4:7], v40 offset:864
	scratch_load_b128 v[142:145], off, off offset:208
	s_wait_loadcnt_dscnt 0x901
	v_mul_f64_e32 v[156:157], v[0:1], v[10:11]
	v_mul_f64_e32 v[10:11], v[2:3], v[10:11]
	s_wait_loadcnt_dscnt 0x800
	v_mul_f64_e32 v[160:161], v[4:5], v[14:15]
	v_mul_f64_e32 v[14:15], v[6:7], v[14:15]
	v_add_f64_e32 v[150:151], 0, v[150:151]
	v_add_f64_e32 v[154:155], 0, v[154:155]
	v_fma_f64 v[156:157], v[2:3], v[8:9], v[156:157]
	v_fma_f64 v[162:163], v[0:1], v[8:9], -v[10:11]
	ds_load_b128 v[0:3], v40 offset:880
	scratch_load_b128 v[8:11], off, off offset:224
	v_add_f64_e32 v[150:151], v[150:151], v[158:159]
	v_add_f64_e32 v[152:153], v[154:155], v[152:153]
	v_fma_f64 v[158:159], v[6:7], v[12:13], v[160:161]
	v_fma_f64 v[160:161], v[4:5], v[12:13], -v[14:15]
	ds_load_b128 v[4:7], v40 offset:896
	scratch_load_b128 v[12:15], off, off offset:240
	s_wait_loadcnt_dscnt 0x901
	v_mul_f64_e32 v[154:155], v[0:1], v[18:19]
	v_mul_f64_e32 v[18:19], v[2:3], v[18:19]
	v_add_f64_e32 v[150:151], v[150:151], v[162:163]
	v_add_f64_e32 v[152:153], v[152:153], v[156:157]
	s_wait_loadcnt_dscnt 0x800
	v_mul_f64_e32 v[156:157], v[4:5], v[22:23]
	v_mul_f64_e32 v[22:23], v[6:7], v[22:23]
	v_fma_f64 v[154:155], v[2:3], v[16:17], v[154:155]
	v_fma_f64 v[162:163], v[0:1], v[16:17], -v[18:19]
	ds_load_b128 v[0:3], v40 offset:912
	scratch_load_b128 v[16:19], off, off offset:256
	v_add_f64_e32 v[150:151], v[150:151], v[160:161]
	v_add_f64_e32 v[152:153], v[152:153], v[158:159]
	v_fma_f64 v[156:157], v[6:7], v[20:21], v[156:157]
	v_fma_f64 v[160:161], v[4:5], v[20:21], -v[22:23]
	ds_load_b128 v[4:7], v40 offset:928
	s_wait_loadcnt_dscnt 0x801
	v_mul_f64_e32 v[158:159], v[0:1], v[26:27]
	v_mul_f64_e32 v[26:27], v[2:3], v[26:27]
	scratch_load_b128 v[20:23], off, off offset:272
	v_add_f64_e32 v[150:151], v[150:151], v[162:163]
	v_add_f64_e32 v[152:153], v[152:153], v[154:155]
	s_wait_loadcnt_dscnt 0x800
	v_mul_f64_e32 v[154:155], v[4:5], v[30:31]
	v_mul_f64_e32 v[30:31], v[6:7], v[30:31]
	v_fma_f64 v[158:159], v[2:3], v[24:25], v[158:159]
	v_fma_f64 v[162:163], v[0:1], v[24:25], -v[26:27]
	ds_load_b128 v[0:3], v40 offset:944
	scratch_load_b128 v[24:27], off, off offset:288
	v_add_f64_e32 v[150:151], v[150:151], v[160:161]
	v_add_f64_e32 v[152:153], v[152:153], v[156:157]
	v_fma_f64 v[154:155], v[6:7], v[28:29], v[154:155]
	v_fma_f64 v[160:161], v[4:5], v[28:29], -v[30:31]
	ds_load_b128 v[4:7], v40 offset:960
	s_wait_loadcnt_dscnt 0x801
	v_mul_f64_e32 v[156:157], v[0:1], v[34:35]
	v_mul_f64_e32 v[34:35], v[2:3], v[34:35]
	scratch_load_b128 v[28:31], off, off offset:304
	v_add_f64_e32 v[150:151], v[150:151], v[162:163]
	v_add_f64_e32 v[152:153], v[152:153], v[158:159]
	s_wait_loadcnt_dscnt 0x800
	v_mul_f64_e32 v[158:159], v[4:5], v[148:149]
	v_mul_f64_e32 v[148:149], v[6:7], v[148:149]
	v_fma_f64 v[156:157], v[2:3], v[32:33], v[156:157]
	v_fma_f64 v[162:163], v[0:1], v[32:33], -v[34:35]
	ds_load_b128 v[0:3], v40 offset:976
	scratch_load_b128 v[32:35], off, off offset:320
	v_add_f64_e32 v[150:151], v[150:151], v[160:161]
	v_add_f64_e32 v[152:153], v[152:153], v[154:155]
	v_fma_f64 v[158:159], v[6:7], v[146:147], v[158:159]
	v_fma_f64 v[160:161], v[4:5], v[146:147], -v[148:149]
	ds_load_b128 v[4:7], v40 offset:992
	scratch_load_b128 v[146:149], off, off offset:336
	s_wait_loadcnt_dscnt 0x901
	v_mul_f64_e32 v[154:155], v[0:1], v[38:39]
	v_mul_f64_e32 v[38:39], v[2:3], v[38:39]
	v_add_f64_e32 v[150:151], v[150:151], v[162:163]
	v_add_f64_e32 v[152:153], v[152:153], v[156:157]
	s_wait_loadcnt_dscnt 0x800
	v_mul_f64_e32 v[156:157], v[4:5], v[144:145]
	v_mul_f64_e32 v[144:145], v[6:7], v[144:145]
	v_fma_f64 v[154:155], v[2:3], v[36:37], v[154:155]
	v_fma_f64 v[162:163], v[0:1], v[36:37], -v[38:39]
	ds_load_b128 v[0:3], v40 offset:1008
	scratch_load_b128 v[36:39], off, off offset:352
	v_add_f64_e32 v[150:151], v[150:151], v[160:161]
	v_add_f64_e32 v[152:153], v[152:153], v[158:159]
	v_fma_f64 v[156:157], v[6:7], v[142:143], v[156:157]
	v_fma_f64 v[160:161], v[4:5], v[142:143], -v[144:145]
	ds_load_b128 v[4:7], v40 offset:1024
	s_wait_loadcnt_dscnt 0x801
	v_mul_f64_e32 v[158:159], v[0:1], v[10:11]
	v_mul_f64_e32 v[10:11], v[2:3], v[10:11]
	scratch_load_b128 v[142:145], off, off offset:368
	v_add_f64_e32 v[150:151], v[150:151], v[162:163]
	v_add_f64_e32 v[152:153], v[152:153], v[154:155]
	s_wait_loadcnt_dscnt 0x800
	v_mul_f64_e32 v[154:155], v[4:5], v[14:15]
	v_mul_f64_e32 v[14:15], v[6:7], v[14:15]
	v_fma_f64 v[158:159], v[2:3], v[8:9], v[158:159]
	v_fma_f64 v[162:163], v[0:1], v[8:9], -v[10:11]
	ds_load_b128 v[0:3], v40 offset:1040
	scratch_load_b128 v[8:11], off, off offset:384
	v_add_f64_e32 v[150:151], v[150:151], v[160:161]
	v_add_f64_e32 v[152:153], v[152:153], v[156:157]
	v_fma_f64 v[154:155], v[6:7], v[12:13], v[154:155]
	v_fma_f64 v[160:161], v[4:5], v[12:13], -v[14:15]
	ds_load_b128 v[4:7], v40 offset:1056
	s_wait_loadcnt_dscnt 0x801
	v_mul_f64_e32 v[156:157], v[0:1], v[18:19]
	v_mul_f64_e32 v[18:19], v[2:3], v[18:19]
	scratch_load_b128 v[12:15], off, off offset:400
	;; [unrolled: 18-line block ×14, first 2 shown]
	v_add_f64_e32 v[150:151], v[150:151], v[162:163]
	v_add_f64_e32 v[152:153], v[152:153], v[158:159]
	s_wait_loadcnt_dscnt 0x800
	v_mul_f64_e32 v[158:159], v[4:5], v[148:149]
	v_mul_f64_e32 v[148:149], v[6:7], v[148:149]
	v_fma_f64 v[156:157], v[2:3], v[32:33], v[156:157]
	v_fma_f64 v[162:163], v[0:1], v[32:33], -v[34:35]
	ds_load_b128 v[0:3], v40 offset:1456
	scratch_load_b128 v[32:35], off, off offset:800
	v_add_f64_e32 v[150:151], v[150:151], v[160:161]
	v_add_f64_e32 v[152:153], v[152:153], v[154:155]
	v_fma_f64 v[158:159], v[6:7], v[146:147], v[158:159]
	v_fma_f64 v[146:147], v[4:5], v[146:147], -v[148:149]
	ds_load_b128 v[4:7], v40 offset:1472
	s_wait_loadcnt_dscnt 0x801
	v_mul_f64_e32 v[154:155], v[0:1], v[38:39]
	v_mul_f64_e32 v[38:39], v[2:3], v[38:39]
	v_add_f64_e32 v[148:149], v[150:151], v[162:163]
	v_add_f64_e32 v[150:151], v[152:153], v[156:157]
	s_wait_loadcnt_dscnt 0x700
	v_mul_f64_e32 v[152:153], v[4:5], v[144:145]
	v_mul_f64_e32 v[144:145], v[6:7], v[144:145]
	v_fma_f64 v[154:155], v[2:3], v[36:37], v[154:155]
	v_fma_f64 v[36:37], v[0:1], v[36:37], -v[38:39]
	ds_load_b128 v[0:3], v40 offset:1488
	v_add_f64_e32 v[38:39], v[148:149], v[146:147]
	v_add_f64_e32 v[146:147], v[150:151], v[158:159]
	v_fma_f64 v[150:151], v[6:7], v[142:143], v[152:153]
	v_fma_f64 v[142:143], v[4:5], v[142:143], -v[144:145]
	ds_load_b128 v[4:7], v40 offset:1504
	s_wait_loadcnt_dscnt 0x500
	v_mul_f64_e32 v[152:153], v[4:5], v[14:15]
	v_mul_f64_e32 v[14:15], v[6:7], v[14:15]
	v_add_f64_e32 v[144:145], v[38:39], v[36:37]
	v_add_f64_e32 v[146:147], v[146:147], v[154:155]
	scratch_load_b128 v[36:39], off, off offset:16
	v_mul_f64_e32 v[148:149], v[0:1], v[10:11]
	v_mul_f64_e32 v[10:11], v[2:3], v[10:11]
	s_delay_alu instid0(VALU_DEP_2) | instskip(NEXT) | instid1(VALU_DEP_2)
	v_fma_f64 v[148:149], v[2:3], v[8:9], v[148:149]
	v_fma_f64 v[8:9], v[0:1], v[8:9], -v[10:11]
	v_add_f64_e32 v[10:11], v[144:145], v[142:143]
	v_add_f64_e32 v[142:143], v[146:147], v[150:151]
	ds_load_b128 v[0:3], v40 offset:1520
	v_fma_f64 v[146:147], v[6:7], v[12:13], v[152:153]
	v_fma_f64 v[12:13], v[4:5], v[12:13], -v[14:15]
	ds_load_b128 v[4:7], v40 offset:1536
	s_wait_loadcnt_dscnt 0x501
	v_mul_f64_e32 v[144:145], v[0:1], v[18:19]
	v_mul_f64_e32 v[18:19], v[2:3], v[18:19]
	s_wait_loadcnt_dscnt 0x400
	v_mul_f64_e32 v[14:15], v[4:5], v[22:23]
	v_mul_f64_e32 v[22:23], v[6:7], v[22:23]
	v_add_f64_e32 v[8:9], v[10:11], v[8:9]
	v_add_f64_e32 v[10:11], v[142:143], v[148:149]
	v_fma_f64 v[142:143], v[2:3], v[16:17], v[144:145]
	v_fma_f64 v[16:17], v[0:1], v[16:17], -v[18:19]
	ds_load_b128 v[0:3], v40 offset:1552
	v_fma_f64 v[14:15], v[6:7], v[20:21], v[14:15]
	v_fma_f64 v[20:21], v[4:5], v[20:21], -v[22:23]
	ds_load_b128 v[4:7], v40 offset:1568
	v_add_f64_e32 v[8:9], v[8:9], v[12:13]
	v_add_f64_e32 v[10:11], v[10:11], v[146:147]
	s_wait_loadcnt_dscnt 0x301
	v_mul_f64_e32 v[12:13], v[0:1], v[26:27]
	v_mul_f64_e32 v[18:19], v[2:3], v[26:27]
	s_wait_loadcnt_dscnt 0x200
	v_mul_f64_e32 v[22:23], v[6:7], v[30:31]
	v_add_f64_e32 v[8:9], v[8:9], v[16:17]
	v_add_f64_e32 v[10:11], v[10:11], v[142:143]
	v_mul_f64_e32 v[16:17], v[4:5], v[30:31]
	v_fma_f64 v[12:13], v[2:3], v[24:25], v[12:13]
	v_fma_f64 v[18:19], v[0:1], v[24:25], -v[18:19]
	ds_load_b128 v[0:3], v40 offset:1584
	v_fma_f64 v[4:5], v[4:5], v[28:29], -v[22:23]
	v_add_f64_e32 v[8:9], v[8:9], v[20:21]
	v_add_f64_e32 v[10:11], v[10:11], v[14:15]
	s_wait_loadcnt_dscnt 0x100
	v_mul_f64_e32 v[14:15], v[0:1], v[34:35]
	v_mul_f64_e32 v[20:21], v[2:3], v[34:35]
	v_fma_f64 v[6:7], v[6:7], v[28:29], v[16:17]
	v_add_f64_e32 v[8:9], v[8:9], v[18:19]
	v_add_f64_e32 v[10:11], v[10:11], v[12:13]
	v_fma_f64 v[2:3], v[2:3], v[32:33], v[14:15]
	v_fma_f64 v[0:1], v[0:1], v[32:33], -v[20:21]
	s_delay_alu instid0(VALU_DEP_4) | instskip(NEXT) | instid1(VALU_DEP_4)
	v_add_f64_e32 v[4:5], v[8:9], v[4:5]
	v_add_f64_e32 v[6:7], v[10:11], v[6:7]
	s_delay_alu instid0(VALU_DEP_2) | instskip(NEXT) | instid1(VALU_DEP_2)
	v_add_f64_e32 v[0:1], v[4:5], v[0:1]
	v_add_f64_e32 v[2:3], v[6:7], v[2:3]
	s_wait_loadcnt 0x0
	s_delay_alu instid0(VALU_DEP_2) | instskip(NEXT) | instid1(VALU_DEP_2)
	v_add_f64_e64 v[0:1], v[36:37], -v[0:1]
	v_add_f64_e64 v[2:3], v[38:39], -v[2:3]
	scratch_store_b128 off, v[0:3], off offset:16
	s_wait_alu 0xfffe
	s_cbranch_vccz .LBB49_412
; %bb.314:
	global_load_b32 v0, v40, s[2:3] offset:192
	s_wait_loadcnt 0x0
	v_cmp_ne_u32_e32 vcc_lo, 49, v0
	s_cbranch_vccz .LBB49_316
; %bb.315:
	v_lshlrev_b32_e32 v0, 4, v0
	s_delay_alu instid0(VALU_DEP_1)
	v_add_nc_u32_e32 v8, 16, v0
	s_clause 0x1
	scratch_load_b128 v[0:3], v8, off offset:-16
	scratch_load_b128 v[4:7], off, s26
	s_wait_loadcnt 0x1
	scratch_store_b128 off, v[0:3], s26
	s_wait_loadcnt 0x0
	scratch_store_b128 v8, v[4:7], off offset:-16
.LBB49_316:
	v_mov_b32_e32 v0, 0
	global_load_b32 v1, v0, s[2:3] offset:188
	s_wait_loadcnt 0x0
	v_cmp_eq_u32_e32 vcc_lo, 48, v1
	s_cbranch_vccnz .LBB49_318
; %bb.317:
	v_lshlrev_b32_e32 v1, 4, v1
	s_delay_alu instid0(VALU_DEP_1)
	v_add_nc_u32_e32 v9, 16, v1
	s_clause 0x1
	scratch_load_b128 v[1:4], v9, off offset:-16
	scratch_load_b128 v[5:8], off, s25
	s_wait_loadcnt 0x1
	scratch_store_b128 off, v[1:4], s25
	s_wait_loadcnt 0x0
	scratch_store_b128 v9, v[5:8], off offset:-16
.LBB49_318:
	global_load_b32 v0, v0, s[2:3] offset:184
	s_wait_loadcnt 0x0
	v_cmp_eq_u32_e32 vcc_lo, 47, v0
	s_cbranch_vccnz .LBB49_320
; %bb.319:
	v_lshlrev_b32_e32 v0, 4, v0
	s_delay_alu instid0(VALU_DEP_1)
	v_add_nc_u32_e32 v8, 16, v0
	s_clause 0x1
	scratch_load_b128 v[0:3], v8, off offset:-16
	scratch_load_b128 v[4:7], off, s28
	s_wait_loadcnt 0x1
	scratch_store_b128 off, v[0:3], s28
	s_wait_loadcnt 0x0
	scratch_store_b128 v8, v[4:7], off offset:-16
.LBB49_320:
	v_mov_b32_e32 v0, 0
	global_load_b32 v1, v0, s[2:3] offset:180
	s_wait_loadcnt 0x0
	v_cmp_eq_u32_e32 vcc_lo, 46, v1
	s_cbranch_vccnz .LBB49_322
; %bb.321:
	v_lshlrev_b32_e32 v1, 4, v1
	s_delay_alu instid0(VALU_DEP_1)
	v_add_nc_u32_e32 v9, 16, v1
	s_clause 0x1
	scratch_load_b128 v[1:4], v9, off offset:-16
	scratch_load_b128 v[5:8], off, s27
	s_wait_loadcnt 0x1
	scratch_store_b128 off, v[1:4], s27
	s_wait_loadcnt 0x0
	scratch_store_b128 v9, v[5:8], off offset:-16
.LBB49_322:
	global_load_b32 v0, v0, s[2:3] offset:176
	s_wait_loadcnt 0x0
	v_cmp_eq_u32_e32 vcc_lo, 45, v0
	s_cbranch_vccnz .LBB49_324
; %bb.323:
	v_lshlrev_b32_e32 v0, 4, v0
	s_delay_alu instid0(VALU_DEP_1)
	v_add_nc_u32_e32 v8, 16, v0
	s_clause 0x1
	scratch_load_b128 v[0:3], v8, off offset:-16
	scratch_load_b128 v[4:7], off, s35
	s_wait_loadcnt 0x1
	scratch_store_b128 off, v[0:3], s35
	s_wait_loadcnt 0x0
	scratch_store_b128 v8, v[4:7], off offset:-16
.LBB49_324:
	;; [unrolled: 33-line block ×23, first 2 shown]
	v_mov_b32_e32 v0, 0
	global_load_b32 v1, v0, s[2:3] offset:4
	s_wait_loadcnt 0x0
	v_cmp_eq_u32_e32 vcc_lo, 2, v1
	s_cbranch_vccnz .LBB49_410
; %bb.409:
	v_lshlrev_b32_e32 v1, 4, v1
	s_delay_alu instid0(VALU_DEP_1)
	v_add_nc_u32_e32 v9, 16, v1
	s_clause 0x1
	scratch_load_b128 v[1:4], v9, off offset:-16
	scratch_load_b128 v[5:8], off, s49
	s_wait_loadcnt 0x1
	scratch_store_b128 off, v[1:4], s49
	s_wait_loadcnt 0x0
	scratch_store_b128 v9, v[5:8], off offset:-16
.LBB49_410:
	global_load_b32 v0, v0, s[2:3]
	s_wait_loadcnt 0x0
	v_cmp_eq_u32_e32 vcc_lo, 1, v0
	s_cbranch_vccnz .LBB49_412
; %bb.411:
	v_lshlrev_b32_e32 v0, 4, v0
	s_delay_alu instid0(VALU_DEP_1)
	v_add_nc_u32_e32 v8, 16, v0
	scratch_load_b128 v[0:3], v8, off offset:-16
	scratch_load_b128 v[4:7], off, off offset:16
	s_wait_loadcnt 0x1
	scratch_store_b128 off, v[0:3], off offset:16
	s_wait_loadcnt 0x0
	scratch_store_b128 v8, v[4:7], off offset:-16
.LBB49_412:
	scratch_load_b128 v[0:3], off, off offset:16
	s_clause 0xe
	scratch_load_b128 v[4:7], off, s49
	scratch_load_b128 v[8:11], off, s48
	;; [unrolled: 1-line block ×15, first 2 shown]
	s_wait_loadcnt 0xf
	global_store_b128 v[42:43], v[0:3], off
	scratch_load_b128 v[0:3], off, s43
	s_wait_loadcnt 0xf
	global_store_b128 v[44:45], v[4:7], off
	s_clause 0x1
	scratch_load_b128 v[4:7], off, s41
	scratch_load_b128 v[40:43], off, s42
	s_wait_loadcnt 0x10
	global_store_b128 v[46:47], v[8:11], off
	scratch_load_b128 v[8:11], off, s40
	s_wait_loadcnt 0x10
	global_store_b128 v[48:49], v[12:15], off
	s_clause 0x1
	scratch_load_b128 v[12:15], off, s38
	scratch_load_b128 v[44:47], off, s39
	s_wait_loadcnt 0x11
	global_store_b128 v[50:51], v[16:19], off
	scratch_load_b128 v[16:19], off, s37
	s_wait_loadcnt 0x11
	global_store_b128 v[52:53], v[20:23], off
	;; [unrolled: 3-line block ×3, first 2 shown]
	s_clause 0x1
	scratch_load_b128 v[24:27], off, s31
	scratch_load_b128 v[48:51], off, s33
	s_wait_loadcnt 0x12
	global_store_b128 v[56:57], v[28:31], off
	s_clause 0x1
	scratch_load_b128 v[28:31], off, s29
	scratch_load_b128 v[52:55], off, s30
	s_wait_loadcnt 0x13
	global_store_b128 v[58:59], v[32:35], off
	s_wait_loadcnt 0x12
	global_store_b128 v[60:61], v[36:39], off
	s_clause 0x1
	scratch_load_b128 v[32:35], off, s23
	scratch_load_b128 v[36:39], off, s24
	s_wait_loadcnt 0x13
	global_store_b128 v[62:63], v[142:145], off
	s_clause 0x1
	scratch_load_b128 v[56:59], off, s21
	scratch_load_b128 v[60:63], off, s22
	s_wait_loadcnt 0x14
	global_store_b128 v[66:67], v[146:149], off
	s_clause 0x1
	scratch_load_b128 v[142:145], off, s19
	scratch_load_b128 v[146:149], off, s20
	s_wait_loadcnt 0x15
	global_store_b128 v[64:65], v[150:153], off
	s_wait_loadcnt 0x14
	global_store_b128 v[68:69], v[154:157], off
	s_clause 0x1
	scratch_load_b128 v[64:67], off, s14
	scratch_load_b128 v[150:153], off, s15
	s_wait_loadcnt 0x15
	global_store_b128 v[70:71], v[158:161], off
	s_clause 0x1
	scratch_load_b128 v[68:71], off, s12
	scratch_load_b128 v[154:157], off, s13
	s_wait_loadcnt 0x15
	global_store_b128 v[72:73], v[0:3], off
	s_clause 0x1
	scratch_load_b128 v[0:3], off, s10
	scratch_load_b128 v[158:161], off, s11
	s_wait_loadcnt 0x16
	global_store_b128 v[74:75], v[4:7], off
	s_wait_loadcnt 0x15
	global_store_b128 v[76:77], v[40:43], off
	s_clause 0x1
	scratch_load_b128 v[4:7], off, s8
	scratch_load_b128 v[40:43], off, s9
	s_wait_loadcnt 0x16
	global_store_b128 v[78:79], v[8:11], off
	s_clause 0x1
	scratch_load_b128 v[8:11], off, s4
	scratch_load_b128 v[72:75], off, s5
	s_wait_loadcnt 0x17
	global_store_b128 v[80:81], v[12:15], off
	s_clause 0x1
	scratch_load_b128 v[12:15], off, s34
	scratch_load_b128 v[76:79], off, s35
	s_wait_loadcnt 0x18
	global_store_b128 v[82:83], v[44:47], off
	s_wait_loadcnt 0x17
	global_store_b128 v[84:85], v[16:19], off
	s_clause 0x1
	scratch_load_b128 v[16:19], off, s27
	scratch_load_b128 v[44:47], off, s28
	s_wait_loadcnt 0x18
	global_store_b128 v[86:87], v[20:23], off
	s_clause 0x1
	scratch_load_b128 v[20:23], off, s25
	scratch_load_b128 v[80:83], off, s26
	s_wait_loadcnt 0x19
	global_store_b128 v[88:89], v[24:27], off
	s_wait_loadcnt 0x18
	global_store_b128 v[90:91], v[48:51], off
	;; [unrolled: 2-line block ×25, first 2 shown]
	s_wait_loadcnt 0x0
	s_clause 0x1
	global_store_b128 v[138:139], v[80:83], off
	global_store_b128 v[140:141], v[162:165], off
	s_nop 0
	s_sendmsg sendmsg(MSG_DEALLOC_VGPRS)
	s_endpgm
	.section	.rodata,"a",@progbits
	.p2align	6, 0x0
	.amdhsa_kernel _ZN9rocsolver6v33100L18getri_kernel_smallILi50E19rocblas_complex_numIdEPS3_EEvT1_iilPiilS6_bb
		.amdhsa_group_segment_fixed_size 1608
		.amdhsa_private_segment_fixed_size 832
		.amdhsa_kernarg_size 60
		.amdhsa_user_sgpr_count 2
		.amdhsa_user_sgpr_dispatch_ptr 0
		.amdhsa_user_sgpr_queue_ptr 0
		.amdhsa_user_sgpr_kernarg_segment_ptr 1
		.amdhsa_user_sgpr_dispatch_id 0
		.amdhsa_user_sgpr_private_segment_size 0
		.amdhsa_wavefront_size32 1
		.amdhsa_uses_dynamic_stack 0
		.amdhsa_enable_private_segment 1
		.amdhsa_system_sgpr_workgroup_id_x 1
		.amdhsa_system_sgpr_workgroup_id_y 0
		.amdhsa_system_sgpr_workgroup_id_z 0
		.amdhsa_system_sgpr_workgroup_info 0
		.amdhsa_system_vgpr_workitem_id 0
		.amdhsa_next_free_vgpr 180
		.amdhsa_next_free_sgpr 80
		.amdhsa_reserve_vcc 1
		.amdhsa_float_round_mode_32 0
		.amdhsa_float_round_mode_16_64 0
		.amdhsa_float_denorm_mode_32 3
		.amdhsa_float_denorm_mode_16_64 3
		.amdhsa_fp16_overflow 0
		.amdhsa_workgroup_processor_mode 1
		.amdhsa_memory_ordered 1
		.amdhsa_forward_progress 1
		.amdhsa_inst_pref_size 255
		.amdhsa_round_robin_scheduling 0
		.amdhsa_exception_fp_ieee_invalid_op 0
		.amdhsa_exception_fp_denorm_src 0
		.amdhsa_exception_fp_ieee_div_zero 0
		.amdhsa_exception_fp_ieee_overflow 0
		.amdhsa_exception_fp_ieee_underflow 0
		.amdhsa_exception_fp_ieee_inexact 0
		.amdhsa_exception_int_div_zero 0
	.end_amdhsa_kernel
	.section	.text._ZN9rocsolver6v33100L18getri_kernel_smallILi50E19rocblas_complex_numIdEPS3_EEvT1_iilPiilS6_bb,"axG",@progbits,_ZN9rocsolver6v33100L18getri_kernel_smallILi50E19rocblas_complex_numIdEPS3_EEvT1_iilPiilS6_bb,comdat
.Lfunc_end49:
	.size	_ZN9rocsolver6v33100L18getri_kernel_smallILi50E19rocblas_complex_numIdEPS3_EEvT1_iilPiilS6_bb, .Lfunc_end49-_ZN9rocsolver6v33100L18getri_kernel_smallILi50E19rocblas_complex_numIdEPS3_EEvT1_iilPiilS6_bb
                                        ; -- End function
	.set _ZN9rocsolver6v33100L18getri_kernel_smallILi50E19rocblas_complex_numIdEPS3_EEvT1_iilPiilS6_bb.num_vgpr, 180
	.set _ZN9rocsolver6v33100L18getri_kernel_smallILi50E19rocblas_complex_numIdEPS3_EEvT1_iilPiilS6_bb.num_agpr, 0
	.set _ZN9rocsolver6v33100L18getri_kernel_smallILi50E19rocblas_complex_numIdEPS3_EEvT1_iilPiilS6_bb.numbered_sgpr, 80
	.set _ZN9rocsolver6v33100L18getri_kernel_smallILi50E19rocblas_complex_numIdEPS3_EEvT1_iilPiilS6_bb.num_named_barrier, 0
	.set _ZN9rocsolver6v33100L18getri_kernel_smallILi50E19rocblas_complex_numIdEPS3_EEvT1_iilPiilS6_bb.private_seg_size, 832
	.set _ZN9rocsolver6v33100L18getri_kernel_smallILi50E19rocblas_complex_numIdEPS3_EEvT1_iilPiilS6_bb.uses_vcc, 1
	.set _ZN9rocsolver6v33100L18getri_kernel_smallILi50E19rocblas_complex_numIdEPS3_EEvT1_iilPiilS6_bb.uses_flat_scratch, 1
	.set _ZN9rocsolver6v33100L18getri_kernel_smallILi50E19rocblas_complex_numIdEPS3_EEvT1_iilPiilS6_bb.has_dyn_sized_stack, 0
	.set _ZN9rocsolver6v33100L18getri_kernel_smallILi50E19rocblas_complex_numIdEPS3_EEvT1_iilPiilS6_bb.has_recursion, 0
	.set _ZN9rocsolver6v33100L18getri_kernel_smallILi50E19rocblas_complex_numIdEPS3_EEvT1_iilPiilS6_bb.has_indirect_call, 0
	.section	.AMDGPU.csdata,"",@progbits
; Kernel info:
; codeLenInByte = 102224
; TotalNumSgprs: 82
; NumVgprs: 180
; ScratchSize: 832
; MemoryBound: 0
; FloatMode: 240
; IeeeMode: 1
; LDSByteSize: 1608 bytes/workgroup (compile time only)
; SGPRBlocks: 0
; VGPRBlocks: 22
; NumSGPRsForWavesPerEU: 82
; NumVGPRsForWavesPerEU: 180
; Occupancy: 8
; WaveLimiterHint : 1
; COMPUTE_PGM_RSRC2:SCRATCH_EN: 1
; COMPUTE_PGM_RSRC2:USER_SGPR: 2
; COMPUTE_PGM_RSRC2:TRAP_HANDLER: 0
; COMPUTE_PGM_RSRC2:TGID_X_EN: 1
; COMPUTE_PGM_RSRC2:TGID_Y_EN: 0
; COMPUTE_PGM_RSRC2:TGID_Z_EN: 0
; COMPUTE_PGM_RSRC2:TIDIG_COMP_CNT: 0
	.section	.text._ZN9rocsolver6v33100L18getri_kernel_smallILi51E19rocblas_complex_numIdEPS3_EEvT1_iilPiilS6_bb,"axG",@progbits,_ZN9rocsolver6v33100L18getri_kernel_smallILi51E19rocblas_complex_numIdEPS3_EEvT1_iilPiilS6_bb,comdat
	.globl	_ZN9rocsolver6v33100L18getri_kernel_smallILi51E19rocblas_complex_numIdEPS3_EEvT1_iilPiilS6_bb ; -- Begin function _ZN9rocsolver6v33100L18getri_kernel_smallILi51E19rocblas_complex_numIdEPS3_EEvT1_iilPiilS6_bb
	.p2align	8
	.type	_ZN9rocsolver6v33100L18getri_kernel_smallILi51E19rocblas_complex_numIdEPS3_EEvT1_iilPiilS6_bb,@function
_ZN9rocsolver6v33100L18getri_kernel_smallILi51E19rocblas_complex_numIdEPS3_EEvT1_iilPiilS6_bb: ; @_ZN9rocsolver6v33100L18getri_kernel_smallILi51E19rocblas_complex_numIdEPS3_EEvT1_iilPiilS6_bb
; %bb.0:
	s_mov_b32 s2, exec_lo
	v_cmpx_gt_u32_e32 51, v0
	s_cbranch_execz .LBB50_218
; %bb.1:
	s_clause 0x2
	s_load_b32 s2, s[0:1], 0x38
	s_load_b128 s[12:15], s[0:1], 0x10
	s_load_b128 s[4:7], s[0:1], 0x28
	s_mov_b32 s16, ttmp9
	s_wait_kmcnt 0x0
	s_bitcmp1_b32 s2, 8
	s_cselect_b32 s18, -1, 0
	s_bfe_u32 s2, s2, 0x10008
	s_ashr_i32 s17, ttmp9, 31
	s_cmp_eq_u32 s2, 0
                                        ; implicit-def: $sgpr2_sgpr3
	s_cbranch_scc1 .LBB50_3
; %bb.2:
	s_load_b32 s2, s[0:1], 0x20
	s_mul_u64 s[4:5], s[4:5], s[16:17]
	s_delay_alu instid0(SALU_CYCLE_1) | instskip(NEXT) | instid1(SALU_CYCLE_1)
	s_lshl_b64 s[4:5], s[4:5], 2
	s_add_nc_u64 s[4:5], s[14:15], s[4:5]
	s_wait_kmcnt 0x0
	s_ashr_i32 s3, s2, 31
	s_delay_alu instid0(SALU_CYCLE_1) | instskip(NEXT) | instid1(SALU_CYCLE_1)
	s_lshl_b64 s[2:3], s[2:3], 2
	s_add_nc_u64 s[2:3], s[4:5], s[2:3]
.LBB50_3:
	s_clause 0x1
	s_load_b128 s[8:11], s[0:1], 0x0
	s_load_b32 s60, s[0:1], 0x38
	s_mul_u64 s[0:1], s[12:13], s[16:17]
	v_lshlrev_b32_e32 v14, 4, v0
	s_lshl_b64 s[0:1], s[0:1], 4
	s_movk_i32 s12, 0xd0
	s_movk_i32 s13, 0xe0
	;; [unrolled: 1-line block ×15, first 2 shown]
	s_wait_kmcnt 0x0
	v_add3_u32 v5, s11, s11, v0
	s_ashr_i32 s5, s10, 31
	s_mov_b32 s4, s10
	s_add_nc_u64 s[0:1], s[8:9], s[0:1]
	s_lshl_b64 s[4:5], s[4:5], 4
	v_add_nc_u32_e32 v7, s11, v5
	v_ashrrev_i32_e32 v6, 31, v5
	s_add_nc_u64 s[0:1], s[0:1], s[4:5]
	s_ashr_i32 s9, s11, 31
	v_add_co_u32 v42, s4, s0, v14
	v_ashrrev_i32_e32 v8, 31, v7
	s_mov_b32 s8, s11
	v_lshlrev_b64_e32 v[5:6], 4, v[5:6]
	v_add_co_ci_u32_e64 v43, null, s1, 0, s4
	s_lshl_b64 s[8:9], s[8:9], 4
	v_lshlrev_b64_e32 v[12:13], 4, v[7:8]
	v_add_co_u32 v44, vcc_lo, v42, s8
	s_delay_alu instid0(VALU_DEP_1)
	v_add_co_ci_u32_e64 v45, null, s9, v43, vcc_lo
	v_add_co_u32 v46, vcc_lo, s0, v5
	s_wait_alu 0xfffd
	v_add_co_ci_u32_e64 v47, null, s1, v6, vcc_lo
	v_add_co_u32 v48, vcc_lo, s0, v12
	s_wait_alu 0xfffd
	v_add_co_ci_u32_e64 v49, null, s1, v13, vcc_lo
	global_load_b128 v[1:4], v14, s[0:1]
	v_add_nc_u32_e32 v9, s11, v7
	s_clause 0x2
	global_load_b128 v[5:8], v[44:45], off
	global_load_b128 v[15:18], v[46:47], off
	;; [unrolled: 1-line block ×3, first 2 shown]
	s_movk_i32 s4, 0x70
	s_movk_i32 s5, 0x80
	v_ashrrev_i32_e32 v10, 31, v9
	v_add_nc_u32_e32 v11, s11, v9
	s_movk_i32 s8, 0x90
	s_movk_i32 s9, 0xa0
	;; [unrolled: 1-line block ×3, first 2 shown]
	v_lshlrev_b64_e32 v[9:10], 4, v[9:10]
	v_ashrrev_i32_e32 v12, 31, v11
	v_add_nc_u32_e32 v27, s11, v11
	s_movk_i32 s30, 0x1c0
	s_movk_i32 s61, 0x1d0
	s_movk_i32 s62, 0x1e0
	v_lshlrev_b64_e32 v[11:12], 4, v[11:12]
	v_add_co_u32 v60, vcc_lo, s0, v9
	s_wait_alu 0xfffd
	v_add_co_ci_u32_e64 v61, null, s1, v10, vcc_lo
	v_add_nc_u32_e32 v29, s11, v27
	s_delay_alu instid0(VALU_DEP_4)
	v_add_co_u32 v50, vcc_lo, s0, v11
	s_wait_alu 0xfffd
	v_add_co_ci_u32_e64 v51, null, s1, v12, vcc_lo
	global_load_b128 v[9:12], v[60:61], off
	v_add_nc_u32_e32 v31, s11, v29
	v_ashrrev_i32_e32 v28, 31, v27
	v_ashrrev_i32_e32 v30, 31, v29
	global_load_b128 v[23:26], v[50:51], off
	s_movk_i32 s63, 0x1f0
	v_add_nc_u32_e32 v33, s11, v31
	v_ashrrev_i32_e32 v32, 31, v31
	v_lshlrev_b64_e32 v[27:28], 4, v[27:28]
	v_lshlrev_b64_e32 v[29:30], 4, v[29:30]
	s_movk_i32 s64, 0x200
	v_add_nc_u32_e32 v35, s11, v33
	v_ashrrev_i32_e32 v34, 31, v33
	v_lshlrev_b64_e32 v[31:32], 4, v[31:32]
	v_add_co_u32 v76, vcc_lo, s0, v27
	s_delay_alu instid0(VALU_DEP_4)
	v_add_nc_u32_e32 v39, s11, v35
	v_ashrrev_i32_e32 v36, 31, v35
	v_lshlrev_b64_e32 v[33:34], 4, v[33:34]
	s_wait_alu 0xfffd
	v_add_co_ci_u32_e64 v77, null, s1, v28, vcc_lo
	v_add_nc_u32_e32 v56, s11, v39
	v_add_co_u32 v66, vcc_lo, s0, v29
	v_lshlrev_b64_e32 v[54:55], 4, v[35:36]
	v_ashrrev_i32_e32 v40, 31, v39
	s_wait_alu 0xfffd
	v_add_co_ci_u32_e64 v67, null, s1, v30, vcc_lo
	v_add_co_u32 v62, vcc_lo, s0, v31
	v_ashrrev_i32_e32 v57, 31, v56
	v_add_nc_u32_e32 v58, s11, v56
	s_wait_alu 0xfffd
	v_add_co_ci_u32_e64 v63, null, s1, v32, vcc_lo
	v_add_co_u32 v52, vcc_lo, s0, v33
	v_lshlrev_b64_e32 v[39:40], 4, v[39:40]
	s_wait_alu 0xfffd
	v_add_co_ci_u32_e64 v53, null, s1, v34, vcc_lo
	v_add_co_u32 v82, vcc_lo, s0, v54
	s_wait_alu 0xfffd
	v_add_co_ci_u32_e64 v83, null, s1, v55, vcc_lo
	v_lshlrev_b64_e32 v[54:55], 4, v[56:57]
	v_ashrrev_i32_e32 v59, 31, v58
	v_add_nc_u32_e32 v56, s11, v58
	v_add_co_u32 v68, vcc_lo, s0, v39
	s_wait_alu 0xfffd
	v_add_co_ci_u32_e64 v69, null, s1, v40, vcc_lo
	v_lshlrev_b64_e32 v[39:40], 4, v[58:59]
	v_add_nc_u32_e32 v58, s11, v56
	v_ashrrev_i32_e32 v57, 31, v56
	v_add_co_u32 v72, vcc_lo, s0, v54
	s_wait_alu 0xfffd
	v_add_co_ci_u32_e64 v73, null, s1, v55, vcc_lo
	v_ashrrev_i32_e32 v59, 31, v58
	v_add_nc_u32_e32 v64, s11, v58
	v_lshlrev_b64_e32 v[56:57], 4, v[56:57]
	v_add_co_u32 v54, vcc_lo, s0, v39
	s_wait_alu 0xfffd
	v_add_co_ci_u32_e64 v55, null, s1, v40, vcc_lo
	v_lshlrev_b64_e32 v[39:40], 4, v[58:59]
	v_ashrrev_i32_e32 v65, 31, v64
	v_add_nc_u32_e32 v58, s11, v64
	v_add_co_u32 v90, vcc_lo, s0, v56
	s_wait_alu 0xfffd
	v_add_co_ci_u32_e64 v91, null, s1, v57, vcc_lo
	v_lshlrev_b64_e32 v[56:57], 4, v[64:65]
	v_ashrrev_i32_e32 v59, 31, v58
	v_add_nc_u32_e32 v64, s11, v58
	v_add_co_u32 v78, vcc_lo, s0, v39
	s_wait_alu 0xfffd
	v_add_co_ci_u32_e64 v79, null, s1, v40, vcc_lo
	v_lshlrev_b64_e32 v[39:40], 4, v[58:59]
	v_add_nc_u32_e32 v58, s11, v64
	v_ashrrev_i32_e32 v65, 31, v64
	v_add_co_u32 v84, vcc_lo, s0, v56
	s_wait_alu 0xfffd
	v_add_co_ci_u32_e64 v85, null, s1, v57, vcc_lo
	v_ashrrev_i32_e32 v59, 31, v58
	v_add_nc_u32_e32 v70, s11, v58
	v_lshlrev_b64_e32 v[56:57], 4, v[64:65]
	v_add_co_u32 v64, vcc_lo, s0, v39
	s_wait_alu 0xfffd
	v_add_co_ci_u32_e64 v65, null, s1, v40, vcc_lo
	v_lshlrev_b64_e32 v[39:40], 4, v[58:59]
	v_add_nc_u32_e32 v58, s11, v70
	v_ashrrev_i32_e32 v71, 31, v70
	v_add_co_u32 v86, vcc_lo, s0, v56
	s_wait_alu 0xfffd
	v_add_co_ci_u32_e64 v87, null, s1, v57, vcc_lo
	v_add_nc_u32_e32 v74, s11, v58
	v_ashrrev_i32_e32 v59, 31, v58
	v_lshlrev_b64_e32 v[56:57], 4, v[70:71]
	v_add_co_u32 v70, vcc_lo, s0, v39
	s_delay_alu instid0(VALU_DEP_4)
	v_add_nc_u32_e32 v80, s11, v74
	s_wait_alu 0xfffd
	v_add_co_ci_u32_e64 v71, null, s1, v40, vcc_lo
	v_lshlrev_b64_e32 v[39:40], 4, v[58:59]
	v_ashrrev_i32_e32 v75, 31, v74
	v_add_nc_u32_e32 v88, s11, v80
	v_ashrrev_i32_e32 v81, 31, v80
	v_add_co_u32 v56, vcc_lo, s0, v56
	s_wait_alu 0xfffd
	v_add_co_ci_u32_e64 v57, null, s1, v57, vcc_lo
	v_add_nc_u32_e32 v92, s11, v88
	v_lshlrev_b64_e32 v[74:75], 4, v[74:75]
	v_add_co_u32 v58, vcc_lo, s0, v39
	s_wait_alu 0xfffd
	v_add_co_ci_u32_e64 v59, null, s1, v40, vcc_lo
	v_add_nc_u32_e32 v94, s11, v92
	v_lshlrev_b64_e32 v[39:40], 4, v[80:81]
	v_ashrrev_i32_e32 v89, 31, v88
	v_ashrrev_i32_e32 v93, 31, v92
	v_add_co_u32 v74, vcc_lo, s0, v74
	v_add_nc_u32_e32 v96, s11, v94
	s_wait_alu 0xfffd
	v_add_co_ci_u32_e64 v75, null, s1, v75, vcc_lo
	v_lshlrev_b64_e32 v[88:89], 4, v[88:89]
	v_add_co_u32 v80, vcc_lo, s0, v39
	v_add_nc_u32_e32 v98, s11, v96
	s_wait_alu 0xfffd
	v_add_co_ci_u32_e64 v81, null, s1, v40, vcc_lo
	v_lshlrev_b64_e32 v[39:40], 4, v[92:93]
	v_ashrrev_i32_e32 v95, 31, v94
	v_add_nc_u32_e32 v100, s11, v98
	v_ashrrev_i32_e32 v97, 31, v96
	v_add_co_u32 v88, vcc_lo, s0, v88
	s_wait_alu 0xfffd
	v_add_co_ci_u32_e64 v89, null, s1, v89, vcc_lo
	v_add_nc_u32_e32 v102, s11, v100
	v_lshlrev_b64_e32 v[94:95], 4, v[94:95]
	v_add_co_u32 v92, vcc_lo, s0, v39
	s_wait_alu 0xfffd
	v_add_co_ci_u32_e64 v93, null, s1, v40, vcc_lo
	v_add_nc_u32_e32 v104, s11, v102
	v_lshlrev_b64_e32 v[39:40], 4, v[96:97]
	v_ashrrev_i32_e32 v99, 31, v98
	v_ashrrev_i32_e32 v101, 31, v100
	v_add_co_u32 v94, vcc_lo, s0, v94
	v_add_nc_u32_e32 v106, s11, v104
	s_wait_alu 0xfffd
	v_add_co_ci_u32_e64 v95, null, s1, v95, vcc_lo
	v_lshlrev_b64_e32 v[98:99], 4, v[98:99]
	v_add_co_u32 v96, vcc_lo, s0, v39
	v_add_nc_u32_e32 v108, s11, v106
	s_wait_alu 0xfffd
	v_add_co_ci_u32_e64 v97, null, s1, v40, vcc_lo
	v_lshlrev_b64_e32 v[39:40], 4, v[100:101]
	v_ashrrev_i32_e32 v103, 31, v102
	v_add_nc_u32_e32 v110, s11, v108
	v_ashrrev_i32_e32 v105, 31, v104
	v_add_co_u32 v98, vcc_lo, s0, v98
	s_wait_alu 0xfffd
	v_add_co_ci_u32_e64 v99, null, s1, v99, vcc_lo
	v_add_nc_u32_e32 v112, s11, v110
	v_lshlrev_b64_e32 v[102:103], 4, v[102:103]
	v_add_co_u32 v100, vcc_lo, s0, v39
	s_wait_alu 0xfffd
	v_add_co_ci_u32_e64 v101, null, s1, v40, vcc_lo
	v_lshlrev_b64_e32 v[39:40], 4, v[104:105]
	v_ashrrev_i32_e32 v107, 31, v106
	v_add_nc_u32_e32 v114, s11, v112
	v_ashrrev_i32_e32 v109, 31, v108
	v_add_co_u32 v102, vcc_lo, s0, v102
	s_wait_alu 0xfffd
	v_add_co_ci_u32_e64 v103, null, s1, v103, vcc_lo
	v_lshlrev_b64_e32 v[106:107], 4, v[106:107]
	v_add_co_u32 v104, vcc_lo, s0, v39
	v_add_nc_u32_e32 v116, s11, v114
	s_wait_alu 0xfffd
	v_add_co_ci_u32_e64 v105, null, s1, v40, vcc_lo
	v_lshlrev_b64_e32 v[39:40], 4, v[108:109]
	v_ashrrev_i32_e32 v111, 31, v110
	v_ashrrev_i32_e32 v113, 31, v112
	v_add_co_u32 v106, vcc_lo, s0, v106
	v_add_nc_u32_e32 v118, s11, v116
	s_wait_alu 0xfffd
	v_add_co_ci_u32_e64 v107, null, s1, v107, vcc_lo
	v_lshlrev_b64_e32 v[110:111], 4, v[110:111]
	v_add_co_u32 v108, vcc_lo, s0, v39
	s_wait_alu 0xfffd
	v_add_co_ci_u32_e64 v109, null, s1, v40, vcc_lo
	v_lshlrev_b64_e32 v[39:40], 4, v[112:113]
	v_ashrrev_i32_e32 v115, 31, v114
	v_add_nc_u32_e32 v120, s11, v118
	v_ashrrev_i32_e32 v117, 31, v116
	v_add_co_u32 v110, vcc_lo, s0, v110
	s_wait_alu 0xfffd
	v_add_co_ci_u32_e64 v111, null, s1, v111, vcc_lo
	v_lshlrev_b64_e32 v[114:115], 4, v[114:115]
	v_add_co_u32 v112, vcc_lo, s0, v39
	v_add_nc_u32_e32 v122, s11, v120
	s_wait_alu 0xfffd
	v_add_co_ci_u32_e64 v113, null, s1, v40, vcc_lo
	v_lshlrev_b64_e32 v[39:40], 4, v[116:117]
	v_ashrrev_i32_e32 v119, 31, v118
	v_ashrrev_i32_e32 v121, 31, v120
	v_add_nc_u32_e32 v124, s11, v122
	v_add_co_u32 v114, vcc_lo, s0, v114
	s_wait_alu 0xfffd
	v_add_co_ci_u32_e64 v115, null, s1, v115, vcc_lo
	v_lshlrev_b64_e32 v[118:119], 4, v[118:119]
	v_add_co_u32 v116, vcc_lo, s0, v39
	s_wait_alu 0xfffd
	v_add_co_ci_u32_e64 v117, null, s1, v40, vcc_lo
	v_lshlrev_b64_e32 v[39:40], 4, v[120:121]
	v_add_nc_u32_e32 v126, s11, v124
	v_ashrrev_i32_e32 v123, 31, v122
	v_ashrrev_i32_e32 v125, 31, v124
	v_add_co_u32 v118, vcc_lo, s0, v118
	s_delay_alu instid0(VALU_DEP_4)
	v_add_nc_u32_e32 v128, s11, v126
	s_wait_alu 0xfffd
	v_add_co_ci_u32_e64 v119, null, s1, v119, vcc_lo
	v_lshlrev_b64_e32 v[122:123], 4, v[122:123]
	v_add_co_u32 v120, vcc_lo, s0, v39
	s_wait_alu 0xfffd
	v_add_co_ci_u32_e64 v121, null, s1, v40, vcc_lo
	v_lshlrev_b64_e32 v[39:40], 4, v[124:125]
	v_ashrrev_i32_e32 v127, 31, v126
	v_add_nc_u32_e32 v130, s11, v128
	v_ashrrev_i32_e32 v129, 31, v128
	v_add_co_u32 v122, vcc_lo, s0, v122
	s_wait_alu 0xfffd
	v_add_co_ci_u32_e64 v123, null, s1, v123, vcc_lo
	v_lshlrev_b64_e32 v[126:127], 4, v[126:127]
	v_add_co_u32 v124, vcc_lo, s0, v39
	v_add_nc_u32_e32 v132, s11, v130
	s_wait_alu 0xfffd
	v_add_co_ci_u32_e64 v125, null, s1, v40, vcc_lo
	v_lshlrev_b64_e32 v[39:40], 4, v[128:129]
	v_ashrrev_i32_e32 v131, 31, v130
	v_add_co_u32 v126, vcc_lo, s0, v126
	v_add_nc_u32_e32 v134, s11, v132
	s_wait_alu 0xfffd
	v_add_co_ci_u32_e64 v127, null, s1, v127, vcc_lo
	v_add_co_u32 v128, vcc_lo, s0, v39
	s_wait_alu 0xfffd
	v_add_co_ci_u32_e64 v129, null, s1, v40, vcc_lo
	v_lshlrev_b64_e32 v[39:40], 4, v[130:131]
	v_add_nc_u32_e32 v136, s11, v134
	v_ashrrev_i32_e32 v133, 31, v132
	v_ashrrev_i32_e32 v135, 31, v134
	s_clause 0x2
	global_load_b128 v[27:30], v[76:77], off
	global_load_b128 v[31:34], v[66:67], off
	;; [unrolled: 1-line block ×3, first 2 shown]
	v_add_co_u32 v130, vcc_lo, s0, v39
	v_add_nc_u32_e32 v39, s11, v136
	v_lshlrev_b64_e32 v[132:133], 4, v[132:133]
	v_ashrrev_i32_e32 v137, 31, v136
	s_clause 0x7
	global_load_b128 v[144:147], v[52:53], off
	global_load_b128 v[148:151], v[82:83], off
	;; [unrolled: 1-line block ×8, first 2 shown]
	s_wait_alu 0xfffd
	v_add_co_ci_u32_e64 v131, null, s1, v40, vcc_lo
	v_add_co_u32 v132, vcc_lo, s0, v132
	s_wait_alu 0xfffd
	v_add_co_ci_u32_e64 v133, null, s1, v133, vcc_lo
	s_wait_loadcnt 0x10
	scratch_store_b128 off, v[1:4], off offset:16
	s_wait_loadcnt 0xf
	scratch_store_b128 off, v[5:8], off offset:32
	;; [unrolled: 2-line block ×3, first 2 shown]
	v_lshlrev_b64_e32 v[15:16], 4, v[134:135]
	s_clause 0x1
	global_load_b128 v[1:4], v[64:65], off
	global_load_b128 v[5:8], v[86:87], off
	s_wait_loadcnt 0xf
	scratch_store_b128 off, v[19:22], off offset:64
	v_add_nc_u32_e32 v19, s11, v39
	v_lshlrev_b64_e32 v[17:18], 4, v[136:137]
	v_ashrrev_i32_e32 v40, 31, v39
	v_add_co_u32 v134, vcc_lo, s0, v15
	s_delay_alu instid0(VALU_DEP_4)
	v_add_nc_u32_e32 v15, s11, v19
	v_ashrrev_i32_e32 v20, 31, v19
	s_wait_alu 0xfffd
	v_add_co_ci_u32_e64 v135, null, s1, v16, vcc_lo
	v_add_co_u32 v136, vcc_lo, s0, v17
	v_ashrrev_i32_e32 v16, 31, v15
	s_wait_alu 0xfffd
	v_add_co_ci_u32_e64 v137, null, s1, v18, vcc_lo
	v_lshlrev_b64_e32 v[17:18], 4, v[39:40]
	v_lshlrev_b64_e32 v[19:20], 4, v[19:20]
	;; [unrolled: 1-line block ×3, first 2 shown]
	s_movk_i32 s11, 0xc0
	s_movk_i32 s65, 0x210
	;; [unrolled: 1-line block ×3, first 2 shown]
	v_add_co_u32 v138, vcc_lo, s0, v17
	s_wait_alu 0xfffd
	v_add_co_ci_u32_e64 v139, null, s1, v18, vcc_lo
	v_add_co_u32 v140, vcc_lo, s0, v19
	s_wait_alu 0xfffd
	v_add_co_ci_u32_e64 v141, null, s1, v20, vcc_lo
	v_add_co_u32 v142, vcc_lo, s0, v15
	s_wait_loadcnt 0xe
	scratch_store_b128 off, v[9:12], off offset:80
	global_load_b128 v[9:12], v[70:71], off
	s_wait_alu 0xfffd
	v_add_co_ci_u32_e64 v143, null, s1, v16, vcc_lo
	global_load_b128 v[15:18], v[56:57], off
	s_wait_loadcnt 0xf
	scratch_store_b128 off, v[23:26], off offset:96
	s_wait_loadcnt 0xe
	scratch_store_b128 off, v[27:30], off offset:112
	s_wait_loadcnt 0xd
	scratch_store_b128 off, v[31:34], off offset:128
	s_clause 0x3
	global_load_b128 v[19:22], v[58:59], off
	global_load_b128 v[23:26], v[74:75], off
	;; [unrolled: 1-line block ×4, first 2 shown]
	s_wait_loadcnt 0x10
	scratch_store_b128 off, v[35:38], off offset:144
	global_load_b128 v[35:38], v[92:93], off
	s_wait_loadcnt 0x10
	scratch_store_b128 off, v[144:147], off offset:160
	global_load_b128 v[144:147], v[94:95], off
	s_wait_loadcnt 0x10
	scratch_store_b128 off, v[148:151], off offset:176
	s_wait_loadcnt 0xf
	scratch_store_b128 off, v[152:155], off offset:192
	s_clause 0x1
	global_load_b128 v[148:151], v[96:97], off
	global_load_b128 v[152:155], v[98:99], off
	s_wait_loadcnt 0x10
	scratch_store_b128 off, v[156:159], off offset:208
	s_wait_loadcnt 0xf
	scratch_store_b128 off, v[160:163], off offset:224
	s_clause 0x1
	global_load_b128 v[156:159], v[100:101], off
	global_load_b128 v[160:163], v[102:103], off
	s_wait_loadcnt 0x10
	scratch_store_b128 off, v[164:167], off offset:240
	s_wait_loadcnt 0xf
	scratch_store_b128 off, v[168:171], off offset:256
	;; [unrolled: 2-line block ×3, first 2 shown]
	global_load_b128 v[164:167], v[104:105], off
	s_wait_loadcnt 0xe
	scratch_store_b128 off, v[1:4], off offset:288
	global_load_b128 v[1:4], v[106:107], off
	s_wait_loadcnt 0xe
	scratch_store_b128 off, v[5:8], off offset:304
	global_load_b128 v[5:8], v[108:109], off
	s_movk_i32 s0, 0x50
	s_movk_i32 s1, 0x60
	s_movk_i32 s67, 0x230
	s_movk_i32 s68, 0x240
	s_movk_i32 s69, 0x250
	s_movk_i32 s70, 0x260
	s_movk_i32 s71, 0x270
	s_movk_i32 s72, 0x280
	s_movk_i32 s73, 0x290
	s_movk_i32 s74, 0x2a0
	s_movk_i32 s75, 0x2b0
	s_movk_i32 s76, 0x2c0
	s_movk_i32 s77, 0x2d0
	s_movk_i32 s78, 0x2e0
	s_movk_i32 s79, 0x2f0
	s_movk_i32 s80, 0x300
	s_movk_i32 s81, 0x310
	s_movk_i32 s82, 0x320
	s_wait_alu 0xfffe
	s_add_co_i32 s59, s0, 16
	s_add_co_i32 s58, s1, 16
	;; [unrolled: 1-line block ×12, first 2 shown]
	s_wait_loadcnt 0xe
	scratch_store_b128 off, v[9:12], off offset:320
	global_load_b128 v[9:12], v[110:111], off
	s_add_co_i32 s47, s19, 16
	s_wait_loadcnt 0xe
	scratch_store_b128 off, v[15:18], off offset:336
	global_load_b128 v[15:18], v[112:113], off
	s_add_co_i32 s46, s20, 16
	s_add_co_i32 s44, s21, 16
	;; [unrolled: 1-line block ×33, first 2 shown]
	s_mov_b32 s45, 32
	s_mov_b32 s43, 48
	;; [unrolled: 1-line block ×3, first 2 shown]
	s_movk_i32 s40, 0x50
	s_bitcmp0_b32 s60, 0
	s_mov_b32 s1, -1
	s_wait_loadcnt 0xe
	scratch_store_b128 off, v[19:22], off offset:352
	global_load_b128 v[19:22], v[114:115], off
	s_wait_loadcnt 0xe
	scratch_store_b128 off, v[23:26], off offset:368
	s_wait_loadcnt 0xd
	scratch_store_b128 off, v[27:30], off offset:384
	s_clause 0x1
	global_load_b128 v[23:26], v[116:117], off
	global_load_b128 v[27:30], v[118:119], off
	s_wait_loadcnt 0xe
	scratch_store_b128 off, v[31:34], off offset:400
	s_wait_loadcnt 0xd
	scratch_store_b128 off, v[35:38], off offset:416
	s_clause 0x1
	global_load_b128 v[31:34], v[120:121], off
	;; [unrolled: 7-line block ×6, first 2 shown]
	global_load_b128 v[5:8], v[138:139], off
	s_wait_loadcnt 0xe
	scratch_store_b128 off, v[9:12], off offset:560
	global_load_b128 v[9:12], v[140:141], off
	s_wait_loadcnt 0xe
	scratch_store_b128 off, v[15:18], off offset:576
	;; [unrolled: 3-line block ×3, first 2 shown]
	s_wait_loadcnt 0xd
	scratch_store_b128 off, v[23:26], off offset:608
	s_wait_loadcnt 0xc
	scratch_store_b128 off, v[27:30], off offset:624
	;; [unrolled: 2-line block ×14, first 2 shown]
	s_cbranch_scc1 .LBB50_216
; %bb.4:
	v_cmp_eq_u32_e64 s0, 0, v0
	s_and_saveexec_b32 s1, s0
; %bb.5:
	v_mov_b32_e32 v1, 0
	ds_store_b32 v1, v1 offset:1632
; %bb.6:
	s_wait_alu 0xfffe
	s_or_b32 exec_lo, exec_lo, s1
	s_wait_storecnt_dscnt 0x0
	s_barrier_signal -1
	s_barrier_wait -1
	global_inv scope:SCOPE_SE
	scratch_load_b128 v[1:4], v14, off offset:16
	s_wait_loadcnt 0x0
	v_cmp_eq_f64_e32 vcc_lo, 0, v[1:2]
	v_cmp_eq_f64_e64 s1, 0, v[3:4]
	s_and_b32 s1, vcc_lo, s1
	s_wait_alu 0xfffe
	s_and_saveexec_b32 s60, s1
	s_cbranch_execz .LBB50_10
; %bb.7:
	v_mov_b32_e32 v1, 0
	s_mov_b32 s61, 0
	ds_load_b32 v2, v1 offset:1632
	s_wait_dscnt 0x0
	v_readfirstlane_b32 s1, v2
	v_add_nc_u32_e32 v2, 1, v0
	s_cmp_eq_u32 s1, 0
	s_delay_alu instid0(VALU_DEP_1) | instskip(SKIP_1) | instid1(SALU_CYCLE_1)
	v_cmp_gt_i32_e32 vcc_lo, s1, v2
	s_cselect_b32 s62, -1, 0
	s_or_b32 s62, s62, vcc_lo
	s_delay_alu instid0(SALU_CYCLE_1)
	s_and_b32 exec_lo, exec_lo, s62
	s_cbranch_execz .LBB50_10
; %bb.8:
	v_mov_b32_e32 v3, s1
.LBB50_9:                               ; =>This Inner Loop Header: Depth=1
	ds_cmpstore_rtn_b32 v3, v1, v2, v3 offset:1632
	s_wait_dscnt 0x0
	v_cmp_ne_u32_e32 vcc_lo, 0, v3
	v_cmp_le_i32_e64 s1, v3, v2
	s_and_b32 s1, vcc_lo, s1
	s_wait_alu 0xfffe
	s_and_b32 s1, exec_lo, s1
	s_wait_alu 0xfffe
	s_or_b32 s61, s1, s61
	s_delay_alu instid0(SALU_CYCLE_1)
	s_and_not1_b32 exec_lo, exec_lo, s61
	s_cbranch_execnz .LBB50_9
.LBB50_10:
	s_or_b32 exec_lo, exec_lo, s60
	v_mov_b32_e32 v1, 0
	s_barrier_signal -1
	s_barrier_wait -1
	global_inv scope:SCOPE_SE
	ds_load_b32 v2, v1 offset:1632
	s_and_saveexec_b32 s1, s0
	s_cbranch_execz .LBB50_12
; %bb.11:
	s_lshl_b64 s[60:61], s[16:17], 2
	s_delay_alu instid0(SALU_CYCLE_1)
	s_add_nc_u64 s[60:61], s[6:7], s[60:61]
	s_wait_dscnt 0x0
	global_store_b32 v1, v2, s[60:61]
.LBB50_12:
	s_wait_alu 0xfffe
	s_or_b32 exec_lo, exec_lo, s1
	s_wait_dscnt 0x0
	v_cmp_ne_u32_e32 vcc_lo, 0, v2
	s_mov_b32 s1, 0
	s_cbranch_vccnz .LBB50_216
; %bb.13:
	v_add_nc_u32_e32 v13, 16, v14
                                        ; implicit-def: $vgpr1_vgpr2
                                        ; implicit-def: $vgpr9_vgpr10
	scratch_load_b128 v[5:8], v13, off
	s_wait_loadcnt 0x0
	v_cmp_ngt_f64_e64 s1, |v[5:6]|, |v[7:8]|
	s_wait_alu 0xfffe
	s_and_saveexec_b32 s60, s1
	s_delay_alu instid0(SALU_CYCLE_1)
	s_xor_b32 s1, exec_lo, s60
	s_cbranch_execz .LBB50_15
; %bb.14:
	v_div_scale_f64 v[1:2], null, v[7:8], v[7:8], v[5:6]
	v_div_scale_f64 v[11:12], vcc_lo, v[5:6], v[7:8], v[5:6]
	s_delay_alu instid0(VALU_DEP_2) | instskip(NEXT) | instid1(TRANS32_DEP_1)
	v_rcp_f64_e32 v[3:4], v[1:2]
	v_fma_f64 v[9:10], -v[1:2], v[3:4], 1.0
	s_delay_alu instid0(VALU_DEP_1) | instskip(NEXT) | instid1(VALU_DEP_1)
	v_fma_f64 v[3:4], v[3:4], v[9:10], v[3:4]
	v_fma_f64 v[9:10], -v[1:2], v[3:4], 1.0
	s_delay_alu instid0(VALU_DEP_1) | instskip(NEXT) | instid1(VALU_DEP_1)
	v_fma_f64 v[3:4], v[3:4], v[9:10], v[3:4]
	v_mul_f64_e32 v[9:10], v[11:12], v[3:4]
	s_delay_alu instid0(VALU_DEP_1) | instskip(SKIP_1) | instid1(VALU_DEP_1)
	v_fma_f64 v[1:2], -v[1:2], v[9:10], v[11:12]
	s_wait_alu 0xfffd
	v_div_fmas_f64 v[1:2], v[1:2], v[3:4], v[9:10]
	s_delay_alu instid0(VALU_DEP_1) | instskip(NEXT) | instid1(VALU_DEP_1)
	v_div_fixup_f64 v[1:2], v[1:2], v[7:8], v[5:6]
	v_fma_f64 v[3:4], v[5:6], v[1:2], v[7:8]
	s_delay_alu instid0(VALU_DEP_1) | instskip(SKIP_1) | instid1(VALU_DEP_2)
	v_div_scale_f64 v[5:6], null, v[3:4], v[3:4], 1.0
	v_div_scale_f64 v[11:12], vcc_lo, 1.0, v[3:4], 1.0
	v_rcp_f64_e32 v[7:8], v[5:6]
	s_delay_alu instid0(TRANS32_DEP_1) | instskip(NEXT) | instid1(VALU_DEP_1)
	v_fma_f64 v[9:10], -v[5:6], v[7:8], 1.0
	v_fma_f64 v[7:8], v[7:8], v[9:10], v[7:8]
	s_delay_alu instid0(VALU_DEP_1) | instskip(NEXT) | instid1(VALU_DEP_1)
	v_fma_f64 v[9:10], -v[5:6], v[7:8], 1.0
	v_fma_f64 v[7:8], v[7:8], v[9:10], v[7:8]
	s_delay_alu instid0(VALU_DEP_1) | instskip(NEXT) | instid1(VALU_DEP_1)
	v_mul_f64_e32 v[9:10], v[11:12], v[7:8]
	v_fma_f64 v[5:6], -v[5:6], v[9:10], v[11:12]
	s_wait_alu 0xfffd
	s_delay_alu instid0(VALU_DEP_1) | instskip(NEXT) | instid1(VALU_DEP_1)
	v_div_fmas_f64 v[5:6], v[5:6], v[7:8], v[9:10]
	v_div_fixup_f64 v[3:4], v[5:6], v[3:4], 1.0
                                        ; implicit-def: $vgpr5_vgpr6
	s_delay_alu instid0(VALU_DEP_1) | instskip(SKIP_1) | instid1(VALU_DEP_2)
	v_mul_f64_e32 v[1:2], v[1:2], v[3:4]
	v_xor_b32_e32 v4, 0x80000000, v4
	v_xor_b32_e32 v10, 0x80000000, v2
	s_delay_alu instid0(VALU_DEP_3)
	v_mov_b32_e32 v9, v1
.LBB50_15:
	s_wait_alu 0xfffe
	s_and_not1_saveexec_b32 s1, s1
	s_cbranch_execz .LBB50_17
; %bb.16:
	v_div_scale_f64 v[1:2], null, v[5:6], v[5:6], v[7:8]
	v_div_scale_f64 v[11:12], vcc_lo, v[7:8], v[5:6], v[7:8]
	s_delay_alu instid0(VALU_DEP_2) | instskip(NEXT) | instid1(TRANS32_DEP_1)
	v_rcp_f64_e32 v[3:4], v[1:2]
	v_fma_f64 v[9:10], -v[1:2], v[3:4], 1.0
	s_delay_alu instid0(VALU_DEP_1) | instskip(NEXT) | instid1(VALU_DEP_1)
	v_fma_f64 v[3:4], v[3:4], v[9:10], v[3:4]
	v_fma_f64 v[9:10], -v[1:2], v[3:4], 1.0
	s_delay_alu instid0(VALU_DEP_1) | instskip(NEXT) | instid1(VALU_DEP_1)
	v_fma_f64 v[3:4], v[3:4], v[9:10], v[3:4]
	v_mul_f64_e32 v[9:10], v[11:12], v[3:4]
	s_delay_alu instid0(VALU_DEP_1) | instskip(SKIP_1) | instid1(VALU_DEP_1)
	v_fma_f64 v[1:2], -v[1:2], v[9:10], v[11:12]
	s_wait_alu 0xfffd
	v_div_fmas_f64 v[1:2], v[1:2], v[3:4], v[9:10]
	s_delay_alu instid0(VALU_DEP_1) | instskip(NEXT) | instid1(VALU_DEP_1)
	v_div_fixup_f64 v[3:4], v[1:2], v[5:6], v[7:8]
	v_fma_f64 v[1:2], v[7:8], v[3:4], v[5:6]
	s_delay_alu instid0(VALU_DEP_1) | instskip(NEXT) | instid1(VALU_DEP_1)
	v_div_scale_f64 v[5:6], null, v[1:2], v[1:2], 1.0
	v_rcp_f64_e32 v[7:8], v[5:6]
	s_delay_alu instid0(TRANS32_DEP_1) | instskip(NEXT) | instid1(VALU_DEP_1)
	v_fma_f64 v[9:10], -v[5:6], v[7:8], 1.0
	v_fma_f64 v[7:8], v[7:8], v[9:10], v[7:8]
	s_delay_alu instid0(VALU_DEP_1) | instskip(NEXT) | instid1(VALU_DEP_1)
	v_fma_f64 v[9:10], -v[5:6], v[7:8], 1.0
	v_fma_f64 v[7:8], v[7:8], v[9:10], v[7:8]
	v_div_scale_f64 v[9:10], vcc_lo, 1.0, v[1:2], 1.0
	s_delay_alu instid0(VALU_DEP_1) | instskip(NEXT) | instid1(VALU_DEP_1)
	v_mul_f64_e32 v[11:12], v[9:10], v[7:8]
	v_fma_f64 v[5:6], -v[5:6], v[11:12], v[9:10]
	s_wait_alu 0xfffd
	s_delay_alu instid0(VALU_DEP_1) | instskip(NEXT) | instid1(VALU_DEP_1)
	v_div_fmas_f64 v[5:6], v[5:6], v[7:8], v[11:12]
	v_div_fixup_f64 v[1:2], v[5:6], v[1:2], 1.0
	s_delay_alu instid0(VALU_DEP_1)
	v_mul_f64_e64 v[3:4], v[3:4], -v[1:2]
	v_xor_b32_e32 v10, 0x80000000, v2
	v_mov_b32_e32 v9, v1
.LBB50_17:
	s_wait_alu 0xfffe
	s_or_b32 exec_lo, exec_lo, s1
	scratch_store_b128 v13, v[1:4], off
	scratch_load_b128 v[15:18], off, s45
	v_xor_b32_e32 v12, 0x80000000, v4
	v_mov_b32_e32 v11, v3
	v_add_nc_u32_e32 v5, 0x330, v14
	ds_store_b128 v14, v[9:12]
	s_wait_loadcnt 0x0
	ds_store_b128 v14, v[15:18] offset:816
	s_wait_storecnt_dscnt 0x0
	s_barrier_signal -1
	s_barrier_wait -1
	global_inv scope:SCOPE_SE
	s_and_saveexec_b32 s1, s0
	s_cbranch_execz .LBB50_19
; %bb.18:
	scratch_load_b128 v[1:4], v13, off
	ds_load_b128 v[6:9], v5
	v_mov_b32_e32 v10, 0
	ds_load_b128 v[15:18], v10 offset:16
	s_wait_loadcnt_dscnt 0x1
	v_mul_f64_e32 v[10:11], v[6:7], v[3:4]
	v_mul_f64_e32 v[3:4], v[8:9], v[3:4]
	s_delay_alu instid0(VALU_DEP_2) | instskip(NEXT) | instid1(VALU_DEP_2)
	v_fma_f64 v[8:9], v[8:9], v[1:2], v[10:11]
	v_fma_f64 v[1:2], v[6:7], v[1:2], -v[3:4]
	s_delay_alu instid0(VALU_DEP_2) | instskip(NEXT) | instid1(VALU_DEP_2)
	v_add_f64_e32 v[3:4], 0, v[8:9]
	v_add_f64_e32 v[1:2], 0, v[1:2]
	s_wait_dscnt 0x0
	s_delay_alu instid0(VALU_DEP_2) | instskip(NEXT) | instid1(VALU_DEP_2)
	v_mul_f64_e32 v[6:7], v[3:4], v[17:18]
	v_mul_f64_e32 v[8:9], v[1:2], v[17:18]
	s_delay_alu instid0(VALU_DEP_2) | instskip(NEXT) | instid1(VALU_DEP_2)
	v_fma_f64 v[1:2], v[1:2], v[15:16], -v[6:7]
	v_fma_f64 v[3:4], v[3:4], v[15:16], v[8:9]
	scratch_store_b128 off, v[1:4], off offset:32
.LBB50_19:
	s_wait_alu 0xfffe
	s_or_b32 exec_lo, exec_lo, s1
	s_wait_loadcnt 0x0
	s_wait_storecnt 0x0
	s_barrier_signal -1
	s_barrier_wait -1
	global_inv scope:SCOPE_SE
	scratch_load_b128 v[1:4], off, s43
	s_mov_b32 s1, exec_lo
	s_wait_loadcnt 0x0
	ds_store_b128 v5, v[1:4]
	s_wait_dscnt 0x0
	s_barrier_signal -1
	s_barrier_wait -1
	global_inv scope:SCOPE_SE
	v_cmpx_gt_u32_e32 2, v0
	s_cbranch_execz .LBB50_23
; %bb.20:
	scratch_load_b128 v[1:4], v13, off
	ds_load_b128 v[6:9], v5
	s_wait_loadcnt_dscnt 0x0
	v_mul_f64_e32 v[10:11], v[8:9], v[3:4]
	v_mul_f64_e32 v[3:4], v[6:7], v[3:4]
	s_delay_alu instid0(VALU_DEP_2) | instskip(NEXT) | instid1(VALU_DEP_2)
	v_fma_f64 v[6:7], v[6:7], v[1:2], -v[10:11]
	v_fma_f64 v[3:4], v[8:9], v[1:2], v[3:4]
	s_delay_alu instid0(VALU_DEP_2) | instskip(NEXT) | instid1(VALU_DEP_2)
	v_add_f64_e32 v[1:2], 0, v[6:7]
	v_add_f64_e32 v[3:4], 0, v[3:4]
	s_and_saveexec_b32 s60, s0
	s_cbranch_execz .LBB50_22
; %bb.21:
	scratch_load_b128 v[6:9], off, off offset:32
	v_mov_b32_e32 v10, 0
	ds_load_b128 v[15:18], v10 offset:832
	s_wait_loadcnt_dscnt 0x0
	v_mul_f64_e32 v[10:11], v[15:16], v[8:9]
	v_mul_f64_e32 v[8:9], v[17:18], v[8:9]
	s_delay_alu instid0(VALU_DEP_2) | instskip(NEXT) | instid1(VALU_DEP_2)
	v_fma_f64 v[10:11], v[17:18], v[6:7], v[10:11]
	v_fma_f64 v[6:7], v[15:16], v[6:7], -v[8:9]
	s_delay_alu instid0(VALU_DEP_2) | instskip(NEXT) | instid1(VALU_DEP_2)
	v_add_f64_e32 v[3:4], v[3:4], v[10:11]
	v_add_f64_e32 v[1:2], v[1:2], v[6:7]
.LBB50_22:
	s_or_b32 exec_lo, exec_lo, s60
	v_mov_b32_e32 v6, 0
	ds_load_b128 v[6:9], v6 offset:32
	s_wait_dscnt 0x0
	v_mul_f64_e32 v[10:11], v[3:4], v[8:9]
	v_mul_f64_e32 v[8:9], v[1:2], v[8:9]
	s_delay_alu instid0(VALU_DEP_2) | instskip(NEXT) | instid1(VALU_DEP_2)
	v_fma_f64 v[1:2], v[1:2], v[6:7], -v[10:11]
	v_fma_f64 v[3:4], v[3:4], v[6:7], v[8:9]
	scratch_store_b128 off, v[1:4], off offset:48
.LBB50_23:
	s_wait_alu 0xfffe
	s_or_b32 exec_lo, exec_lo, s1
	s_wait_loadcnt 0x0
	s_wait_storecnt 0x0
	s_barrier_signal -1
	s_barrier_wait -1
	global_inv scope:SCOPE_SE
	scratch_load_b128 v[1:4], off, s41
	v_add_nc_u32_e32 v6, -1, v0
	s_mov_b32 s0, exec_lo
	s_wait_loadcnt 0x0
	ds_store_b128 v5, v[1:4]
	s_wait_dscnt 0x0
	s_barrier_signal -1
	s_barrier_wait -1
	global_inv scope:SCOPE_SE
	v_cmpx_gt_u32_e32 3, v0
	s_cbranch_execz .LBB50_27
; %bb.24:
	v_dual_mov_b32 v1, 0 :: v_dual_add_nc_u32 v8, 0x330, v14
	v_mov_b32_e32 v3, 0
	v_dual_mov_b32 v2, 0 :: v_dual_add_nc_u32 v7, -1, v0
	v_mov_b32_e32 v4, 0
	v_or_b32_e32 v9, 8, v13
	s_mov_b32 s1, 0
.LBB50_25:                              ; =>This Inner Loop Header: Depth=1
	scratch_load_b128 v[15:18], v9, off offset:-8
	ds_load_b128 v[19:22], v8
	v_add_nc_u32_e32 v7, 1, v7
	v_add_nc_u32_e32 v8, 16, v8
	v_add_nc_u32_e32 v9, 16, v9
	s_delay_alu instid0(VALU_DEP_3)
	v_cmp_lt_u32_e32 vcc_lo, 1, v7
	s_wait_alu 0xfffe
	s_or_b32 s1, vcc_lo, s1
	s_wait_loadcnt_dscnt 0x0
	v_mul_f64_e32 v[10:11], v[21:22], v[17:18]
	v_mul_f64_e32 v[17:18], v[19:20], v[17:18]
	s_delay_alu instid0(VALU_DEP_2) | instskip(NEXT) | instid1(VALU_DEP_2)
	v_fma_f64 v[10:11], v[19:20], v[15:16], -v[10:11]
	v_fma_f64 v[15:16], v[21:22], v[15:16], v[17:18]
	s_delay_alu instid0(VALU_DEP_2) | instskip(NEXT) | instid1(VALU_DEP_2)
	v_add_f64_e32 v[3:4], v[3:4], v[10:11]
	v_add_f64_e32 v[1:2], v[1:2], v[15:16]
	s_wait_alu 0xfffe
	s_and_not1_b32 exec_lo, exec_lo, s1
	s_cbranch_execnz .LBB50_25
; %bb.26:
	s_or_b32 exec_lo, exec_lo, s1
	v_mov_b32_e32 v7, 0
	ds_load_b128 v[7:10], v7 offset:48
	s_wait_dscnt 0x0
	v_mul_f64_e32 v[11:12], v[1:2], v[9:10]
	v_mul_f64_e32 v[15:16], v[3:4], v[9:10]
	s_delay_alu instid0(VALU_DEP_2) | instskip(NEXT) | instid1(VALU_DEP_2)
	v_fma_f64 v[9:10], v[3:4], v[7:8], -v[11:12]
	v_fma_f64 v[11:12], v[1:2], v[7:8], v[15:16]
	scratch_store_b128 off, v[9:12], off offset:64
.LBB50_27:
	s_wait_alu 0xfffe
	s_or_b32 exec_lo, exec_lo, s0
	s_wait_loadcnt 0x0
	s_wait_storecnt 0x0
	s_barrier_signal -1
	s_barrier_wait -1
	global_inv scope:SCOPE_SE
	scratch_load_b128 v[1:4], off, s40
	s_mov_b32 s0, exec_lo
	s_wait_loadcnt 0x0
	ds_store_b128 v5, v[1:4]
	s_wait_dscnt 0x0
	s_barrier_signal -1
	s_barrier_wait -1
	global_inv scope:SCOPE_SE
	v_cmpx_gt_u32_e32 4, v0
	s_cbranch_execz .LBB50_31
; %bb.28:
	v_dual_mov_b32 v1, 0 :: v_dual_add_nc_u32 v8, 0x330, v14
	v_mov_b32_e32 v3, 0
	v_dual_mov_b32 v2, 0 :: v_dual_add_nc_u32 v7, -1, v0
	v_mov_b32_e32 v4, 0
	v_or_b32_e32 v9, 8, v13
	s_mov_b32 s1, 0
.LBB50_29:                              ; =>This Inner Loop Header: Depth=1
	scratch_load_b128 v[15:18], v9, off offset:-8
	ds_load_b128 v[19:22], v8
	v_add_nc_u32_e32 v7, 1, v7
	v_add_nc_u32_e32 v8, 16, v8
	v_add_nc_u32_e32 v9, 16, v9
	s_delay_alu instid0(VALU_DEP_3)
	v_cmp_lt_u32_e32 vcc_lo, 2, v7
	s_wait_alu 0xfffe
	s_or_b32 s1, vcc_lo, s1
	s_wait_loadcnt_dscnt 0x0
	v_mul_f64_e32 v[10:11], v[21:22], v[17:18]
	v_mul_f64_e32 v[17:18], v[19:20], v[17:18]
	s_delay_alu instid0(VALU_DEP_2) | instskip(NEXT) | instid1(VALU_DEP_2)
	v_fma_f64 v[10:11], v[19:20], v[15:16], -v[10:11]
	v_fma_f64 v[15:16], v[21:22], v[15:16], v[17:18]
	s_delay_alu instid0(VALU_DEP_2) | instskip(NEXT) | instid1(VALU_DEP_2)
	v_add_f64_e32 v[3:4], v[3:4], v[10:11]
	v_add_f64_e32 v[1:2], v[1:2], v[15:16]
	s_wait_alu 0xfffe
	s_and_not1_b32 exec_lo, exec_lo, s1
	s_cbranch_execnz .LBB50_29
; %bb.30:
	s_or_b32 exec_lo, exec_lo, s1
	v_mov_b32_e32 v7, 0
	ds_load_b128 v[7:10], v7 offset:64
	s_wait_dscnt 0x0
	v_mul_f64_e32 v[11:12], v[1:2], v[9:10]
	v_mul_f64_e32 v[15:16], v[3:4], v[9:10]
	s_delay_alu instid0(VALU_DEP_2) | instskip(NEXT) | instid1(VALU_DEP_2)
	v_fma_f64 v[9:10], v[3:4], v[7:8], -v[11:12]
	v_fma_f64 v[11:12], v[1:2], v[7:8], v[15:16]
	scratch_store_b128 off, v[9:12], off offset:80
.LBB50_31:
	s_wait_alu 0xfffe
	s_or_b32 exec_lo, exec_lo, s0
	s_wait_loadcnt 0x0
	s_wait_storecnt 0x0
	s_barrier_signal -1
	s_barrier_wait -1
	global_inv scope:SCOPE_SE
	scratch_load_b128 v[1:4], off, s59
	;; [unrolled: 58-line block ×19, first 2 shown]
	s_mov_b32 s0, exec_lo
	s_wait_loadcnt 0x0
	ds_store_b128 v5, v[1:4]
	s_wait_dscnt 0x0
	s_barrier_signal -1
	s_barrier_wait -1
	global_inv scope:SCOPE_SE
	v_cmpx_gt_u32_e32 22, v0
	s_cbranch_execz .LBB50_103
; %bb.100:
	v_dual_mov_b32 v1, 0 :: v_dual_add_nc_u32 v8, 0x330, v14
	v_mov_b32_e32 v3, 0
	v_dual_mov_b32 v2, 0 :: v_dual_add_nc_u32 v7, -1, v0
	v_mov_b32_e32 v4, 0
	v_or_b32_e32 v9, 8, v13
	s_mov_b32 s1, 0
.LBB50_101:                             ; =>This Inner Loop Header: Depth=1
	scratch_load_b128 v[15:18], v9, off offset:-8
	ds_load_b128 v[19:22], v8
	v_add_nc_u32_e32 v7, 1, v7
	v_add_nc_u32_e32 v8, 16, v8
	v_add_nc_u32_e32 v9, 16, v9
	s_delay_alu instid0(VALU_DEP_3)
	v_cmp_lt_u32_e32 vcc_lo, 20, v7
	s_wait_alu 0xfffe
	s_or_b32 s1, vcc_lo, s1
	s_wait_loadcnt_dscnt 0x0
	v_mul_f64_e32 v[10:11], v[21:22], v[17:18]
	v_mul_f64_e32 v[17:18], v[19:20], v[17:18]
	s_delay_alu instid0(VALU_DEP_2) | instskip(NEXT) | instid1(VALU_DEP_2)
	v_fma_f64 v[10:11], v[19:20], v[15:16], -v[10:11]
	v_fma_f64 v[15:16], v[21:22], v[15:16], v[17:18]
	s_delay_alu instid0(VALU_DEP_2) | instskip(NEXT) | instid1(VALU_DEP_2)
	v_add_f64_e32 v[3:4], v[3:4], v[10:11]
	v_add_f64_e32 v[1:2], v[1:2], v[15:16]
	s_wait_alu 0xfffe
	s_and_not1_b32 exec_lo, exec_lo, s1
	s_cbranch_execnz .LBB50_101
; %bb.102:
	s_or_b32 exec_lo, exec_lo, s1
	v_mov_b32_e32 v7, 0
	ds_load_b128 v[7:10], v7 offset:352
	s_wait_dscnt 0x0
	v_mul_f64_e32 v[11:12], v[1:2], v[9:10]
	v_mul_f64_e32 v[15:16], v[3:4], v[9:10]
	s_delay_alu instid0(VALU_DEP_2) | instskip(NEXT) | instid1(VALU_DEP_2)
	v_fma_f64 v[9:10], v[3:4], v[7:8], -v[11:12]
	v_fma_f64 v[11:12], v[1:2], v[7:8], v[15:16]
	scratch_store_b128 off, v[9:12], off offset:368
.LBB50_103:
	s_wait_alu 0xfffe
	s_or_b32 exec_lo, exec_lo, s0
	s_wait_loadcnt 0x0
	s_wait_storecnt 0x0
	s_barrier_signal -1
	s_barrier_wait -1
	global_inv scope:SCOPE_SE
	scratch_load_b128 v[1:4], off, s37
	s_mov_b32 s0, exec_lo
	s_wait_loadcnt 0x0
	ds_store_b128 v5, v[1:4]
	s_wait_dscnt 0x0
	s_barrier_signal -1
	s_barrier_wait -1
	global_inv scope:SCOPE_SE
	v_cmpx_gt_u32_e32 23, v0
	s_cbranch_execz .LBB50_107
; %bb.104:
	v_dual_mov_b32 v1, 0 :: v_dual_add_nc_u32 v8, 0x330, v14
	v_mov_b32_e32 v3, 0
	v_dual_mov_b32 v2, 0 :: v_dual_add_nc_u32 v7, -1, v0
	v_mov_b32_e32 v4, 0
	v_or_b32_e32 v9, 8, v13
	s_mov_b32 s1, 0
.LBB50_105:                             ; =>This Inner Loop Header: Depth=1
	scratch_load_b128 v[15:18], v9, off offset:-8
	ds_load_b128 v[19:22], v8
	v_add_nc_u32_e32 v7, 1, v7
	v_add_nc_u32_e32 v8, 16, v8
	v_add_nc_u32_e32 v9, 16, v9
	s_delay_alu instid0(VALU_DEP_3)
	v_cmp_lt_u32_e32 vcc_lo, 21, v7
	s_wait_alu 0xfffe
	s_or_b32 s1, vcc_lo, s1
	s_wait_loadcnt_dscnt 0x0
	v_mul_f64_e32 v[10:11], v[21:22], v[17:18]
	v_mul_f64_e32 v[17:18], v[19:20], v[17:18]
	s_delay_alu instid0(VALU_DEP_2) | instskip(NEXT) | instid1(VALU_DEP_2)
	v_fma_f64 v[10:11], v[19:20], v[15:16], -v[10:11]
	v_fma_f64 v[15:16], v[21:22], v[15:16], v[17:18]
	s_delay_alu instid0(VALU_DEP_2) | instskip(NEXT) | instid1(VALU_DEP_2)
	v_add_f64_e32 v[3:4], v[3:4], v[10:11]
	v_add_f64_e32 v[1:2], v[1:2], v[15:16]
	s_wait_alu 0xfffe
	s_and_not1_b32 exec_lo, exec_lo, s1
	s_cbranch_execnz .LBB50_105
; %bb.106:
	s_or_b32 exec_lo, exec_lo, s1
	v_mov_b32_e32 v7, 0
	ds_load_b128 v[7:10], v7 offset:368
	s_wait_dscnt 0x0
	v_mul_f64_e32 v[11:12], v[1:2], v[9:10]
	v_mul_f64_e32 v[15:16], v[3:4], v[9:10]
	s_delay_alu instid0(VALU_DEP_2) | instskip(NEXT) | instid1(VALU_DEP_2)
	v_fma_f64 v[9:10], v[3:4], v[7:8], -v[11:12]
	v_fma_f64 v[11:12], v[1:2], v[7:8], v[15:16]
	scratch_store_b128 off, v[9:12], off offset:384
.LBB50_107:
	s_wait_alu 0xfffe
	s_or_b32 exec_lo, exec_lo, s0
	s_wait_loadcnt 0x0
	s_wait_storecnt 0x0
	s_barrier_signal -1
	s_barrier_wait -1
	global_inv scope:SCOPE_SE
	scratch_load_b128 v[1:4], off, s36
	;; [unrolled: 58-line block ×28, first 2 shown]
	s_mov_b32 s0, exec_lo
	s_wait_loadcnt 0x0
	ds_store_b128 v5, v[1:4]
	s_wait_dscnt 0x0
	s_barrier_signal -1
	s_barrier_wait -1
	global_inv scope:SCOPE_SE
	v_cmpx_ne_u32_e32 50, v0
	s_cbranch_execz .LBB50_215
; %bb.212:
	v_mov_b32_e32 v1, 0
	v_dual_mov_b32 v2, 0 :: v_dual_mov_b32 v3, 0
	v_mov_b32_e32 v4, 0
	v_or_b32_e32 v7, 8, v13
	s_mov_b32 s1, 0
.LBB50_213:                             ; =>This Inner Loop Header: Depth=1
	scratch_load_b128 v[8:11], v7, off offset:-8
	ds_load_b128 v[12:15], v5
	v_add_nc_u32_e32 v6, 1, v6
	v_add_nc_u32_e32 v5, 16, v5
	;; [unrolled: 1-line block ×3, first 2 shown]
	s_delay_alu instid0(VALU_DEP_3)
	v_cmp_lt_u32_e32 vcc_lo, 48, v6
	s_wait_alu 0xfffe
	s_or_b32 s1, vcc_lo, s1
	s_wait_loadcnt_dscnt 0x0
	v_mul_f64_e32 v[16:17], v[14:15], v[10:11]
	v_mul_f64_e32 v[10:11], v[12:13], v[10:11]
	s_delay_alu instid0(VALU_DEP_2) | instskip(NEXT) | instid1(VALU_DEP_2)
	v_fma_f64 v[12:13], v[12:13], v[8:9], -v[16:17]
	v_fma_f64 v[8:9], v[14:15], v[8:9], v[10:11]
	s_delay_alu instid0(VALU_DEP_2) | instskip(NEXT) | instid1(VALU_DEP_2)
	v_add_f64_e32 v[3:4], v[3:4], v[12:13]
	v_add_f64_e32 v[1:2], v[1:2], v[8:9]
	s_wait_alu 0xfffe
	s_and_not1_b32 exec_lo, exec_lo, s1
	s_cbranch_execnz .LBB50_213
; %bb.214:
	s_or_b32 exec_lo, exec_lo, s1
	v_mov_b32_e32 v5, 0
	ds_load_b128 v[5:8], v5 offset:800
	s_wait_dscnt 0x0
	v_mul_f64_e32 v[9:10], v[1:2], v[7:8]
	v_mul_f64_e32 v[7:8], v[3:4], v[7:8]
	s_delay_alu instid0(VALU_DEP_2) | instskip(NEXT) | instid1(VALU_DEP_2)
	v_fma_f64 v[3:4], v[3:4], v[5:6], -v[9:10]
	v_fma_f64 v[5:6], v[1:2], v[5:6], v[7:8]
	scratch_store_b128 off, v[3:6], off offset:816
.LBB50_215:
	s_wait_alu 0xfffe
	s_or_b32 exec_lo, exec_lo, s0
	s_mov_b32 s1, -1
	s_wait_loadcnt 0x0
	s_wait_storecnt 0x0
	s_barrier_signal -1
	s_barrier_wait -1
	global_inv scope:SCOPE_SE
.LBB50_216:
	s_wait_alu 0xfffe
	s_and_b32 vcc_lo, exec_lo, s1
	s_wait_alu 0xfffe
	s_cbranch_vccz .LBB50_218
; %bb.217:
	v_mov_b32_e32 v1, 0
	s_lshl_b64 s[0:1], s[16:17], 2
	s_wait_alu 0xfffe
	s_add_nc_u64 s[0:1], s[6:7], s[0:1]
	global_load_b32 v1, v1, s[0:1]
	s_wait_loadcnt 0x0
	v_cmp_ne_u32_e32 vcc_lo, 0, v1
	s_cbranch_vccz .LBB50_219
.LBB50_218:
	s_nop 0
	s_sendmsg sendmsg(MSG_DEALLOC_VGPRS)
	s_endpgm
.LBB50_219:
	v_lshl_add_u32 v144, v0, 4, 0x330
	s_mov_b32 s0, exec_lo
	v_cmpx_eq_u32_e32 50, v0
	s_cbranch_execz .LBB50_221
; %bb.220:
	scratch_load_b128 v[1:4], off, s12
	v_mov_b32_e32 v5, 0
	s_delay_alu instid0(VALU_DEP_1)
	v_dual_mov_b32 v6, v5 :: v_dual_mov_b32 v7, v5
	v_mov_b32_e32 v8, v5
	scratch_store_b128 off, v[5:8], off offset:800
	s_wait_loadcnt 0x0
	ds_store_b128 v144, v[1:4]
.LBB50_221:
	s_wait_alu 0xfffe
	s_or_b32 exec_lo, exec_lo, s0
	s_wait_storecnt_dscnt 0x0
	s_barrier_signal -1
	s_barrier_wait -1
	global_inv scope:SCOPE_SE
	s_clause 0x1
	scratch_load_b128 v[2:5], off, off offset:816
	scratch_load_b128 v[6:9], off, off offset:800
	v_mov_b32_e32 v1, 0
	s_mov_b32 s0, exec_lo
	ds_load_b128 v[10:13], v1 offset:1616
	s_wait_loadcnt_dscnt 0x100
	v_mul_f64_e32 v[14:15], v[12:13], v[4:5]
	v_mul_f64_e32 v[4:5], v[10:11], v[4:5]
	s_delay_alu instid0(VALU_DEP_2) | instskip(NEXT) | instid1(VALU_DEP_2)
	v_fma_f64 v[10:11], v[10:11], v[2:3], -v[14:15]
	v_fma_f64 v[2:3], v[12:13], v[2:3], v[4:5]
	s_delay_alu instid0(VALU_DEP_2) | instskip(NEXT) | instid1(VALU_DEP_2)
	v_add_f64_e32 v[4:5], 0, v[10:11]
	v_add_f64_e32 v[10:11], 0, v[2:3]
	s_wait_loadcnt 0x0
	s_delay_alu instid0(VALU_DEP_2) | instskip(NEXT) | instid1(VALU_DEP_2)
	v_add_f64_e64 v[2:3], v[6:7], -v[4:5]
	v_add_f64_e64 v[4:5], v[8:9], -v[10:11]
	scratch_store_b128 off, v[2:5], off offset:800
	v_cmpx_lt_u32_e32 48, v0
	s_cbranch_execz .LBB50_223
; %bb.222:
	scratch_load_b128 v[5:8], off, s14
	v_dual_mov_b32 v2, v1 :: v_dual_mov_b32 v3, v1
	v_mov_b32_e32 v4, v1
	scratch_store_b128 off, v[1:4], off offset:784
	s_wait_loadcnt 0x0
	ds_store_b128 v144, v[5:8]
.LBB50_223:
	s_wait_alu 0xfffe
	s_or_b32 exec_lo, exec_lo, s0
	s_wait_storecnt_dscnt 0x0
	s_barrier_signal -1
	s_barrier_wait -1
	global_inv scope:SCOPE_SE
	s_clause 0x2
	scratch_load_b128 v[2:5], off, off offset:800
	scratch_load_b128 v[6:9], off, off offset:816
	;; [unrolled: 1-line block ×3, first 2 shown]
	ds_load_b128 v[14:17], v1 offset:1600
	ds_load_b128 v[18:21], v1 offset:1616
	s_mov_b32 s0, exec_lo
	s_wait_loadcnt_dscnt 0x201
	v_mul_f64_e32 v[22:23], v[16:17], v[4:5]
	v_mul_f64_e32 v[4:5], v[14:15], v[4:5]
	s_wait_loadcnt_dscnt 0x100
	v_mul_f64_e32 v[24:25], v[18:19], v[8:9]
	v_mul_f64_e32 v[8:9], v[20:21], v[8:9]
	s_delay_alu instid0(VALU_DEP_4) | instskip(NEXT) | instid1(VALU_DEP_4)
	v_fma_f64 v[14:15], v[14:15], v[2:3], -v[22:23]
	v_fma_f64 v[1:2], v[16:17], v[2:3], v[4:5]
	s_delay_alu instid0(VALU_DEP_4) | instskip(NEXT) | instid1(VALU_DEP_4)
	v_fma_f64 v[3:4], v[20:21], v[6:7], v[24:25]
	v_fma_f64 v[5:6], v[18:19], v[6:7], -v[8:9]
	s_delay_alu instid0(VALU_DEP_4) | instskip(NEXT) | instid1(VALU_DEP_4)
	v_add_f64_e32 v[7:8], 0, v[14:15]
	v_add_f64_e32 v[1:2], 0, v[1:2]
	s_delay_alu instid0(VALU_DEP_2) | instskip(NEXT) | instid1(VALU_DEP_2)
	v_add_f64_e32 v[5:6], v[7:8], v[5:6]
	v_add_f64_e32 v[3:4], v[1:2], v[3:4]
	s_wait_loadcnt 0x0
	s_delay_alu instid0(VALU_DEP_2) | instskip(NEXT) | instid1(VALU_DEP_2)
	v_add_f64_e64 v[1:2], v[10:11], -v[5:6]
	v_add_f64_e64 v[3:4], v[12:13], -v[3:4]
	scratch_store_b128 off, v[1:4], off offset:784
	v_cmpx_lt_u32_e32 47, v0
	s_cbranch_execz .LBB50_225
; %bb.224:
	scratch_load_b128 v[1:4], off, s4
	v_mov_b32_e32 v5, 0
	s_delay_alu instid0(VALU_DEP_1)
	v_dual_mov_b32 v6, v5 :: v_dual_mov_b32 v7, v5
	v_mov_b32_e32 v8, v5
	scratch_store_b128 off, v[5:8], off offset:768
	s_wait_loadcnt 0x0
	ds_store_b128 v144, v[1:4]
.LBB50_225:
	s_wait_alu 0xfffe
	s_or_b32 exec_lo, exec_lo, s0
	s_wait_storecnt_dscnt 0x0
	s_barrier_signal -1
	s_barrier_wait -1
	global_inv scope:SCOPE_SE
	s_clause 0x3
	scratch_load_b128 v[2:5], off, off offset:784
	scratch_load_b128 v[6:9], off, off offset:800
	scratch_load_b128 v[10:13], off, off offset:816
	scratch_load_b128 v[14:17], off, off offset:768
	v_mov_b32_e32 v1, 0
	ds_load_b128 v[18:21], v1 offset:1584
	ds_load_b128 v[22:25], v1 offset:1600
	s_mov_b32 s0, exec_lo
	s_wait_loadcnt_dscnt 0x301
	v_mul_f64_e32 v[26:27], v[20:21], v[4:5]
	v_mul_f64_e32 v[4:5], v[18:19], v[4:5]
	s_wait_loadcnt_dscnt 0x200
	v_mul_f64_e32 v[28:29], v[22:23], v[8:9]
	v_mul_f64_e32 v[8:9], v[24:25], v[8:9]
	s_delay_alu instid0(VALU_DEP_4) | instskip(NEXT) | instid1(VALU_DEP_4)
	v_fma_f64 v[18:19], v[18:19], v[2:3], -v[26:27]
	v_fma_f64 v[20:21], v[20:21], v[2:3], v[4:5]
	ds_load_b128 v[2:5], v1 offset:1616
	v_fma_f64 v[24:25], v[24:25], v[6:7], v[28:29]
	v_fma_f64 v[6:7], v[22:23], v[6:7], -v[8:9]
	s_wait_loadcnt_dscnt 0x100
	v_mul_f64_e32 v[26:27], v[2:3], v[12:13]
	v_mul_f64_e32 v[12:13], v[4:5], v[12:13]
	v_add_f64_e32 v[8:9], 0, v[18:19]
	v_add_f64_e32 v[18:19], 0, v[20:21]
	s_delay_alu instid0(VALU_DEP_4) | instskip(NEXT) | instid1(VALU_DEP_4)
	v_fma_f64 v[4:5], v[4:5], v[10:11], v[26:27]
	v_fma_f64 v[2:3], v[2:3], v[10:11], -v[12:13]
	s_delay_alu instid0(VALU_DEP_4) | instskip(NEXT) | instid1(VALU_DEP_4)
	v_add_f64_e32 v[6:7], v[8:9], v[6:7]
	v_add_f64_e32 v[8:9], v[18:19], v[24:25]
	s_delay_alu instid0(VALU_DEP_2) | instskip(NEXT) | instid1(VALU_DEP_2)
	v_add_f64_e32 v[2:3], v[6:7], v[2:3]
	v_add_f64_e32 v[4:5], v[8:9], v[4:5]
	s_wait_loadcnt 0x0
	s_delay_alu instid0(VALU_DEP_2) | instskip(NEXT) | instid1(VALU_DEP_2)
	v_add_f64_e64 v[2:3], v[14:15], -v[2:3]
	v_add_f64_e64 v[4:5], v[16:17], -v[4:5]
	scratch_store_b128 off, v[2:5], off offset:768
	v_cmpx_lt_u32_e32 46, v0
	s_cbranch_execz .LBB50_227
; %bb.226:
	scratch_load_b128 v[5:8], off, s5
	v_dual_mov_b32 v2, v1 :: v_dual_mov_b32 v3, v1
	v_mov_b32_e32 v4, v1
	scratch_store_b128 off, v[1:4], off offset:752
	s_wait_loadcnt 0x0
	ds_store_b128 v144, v[5:8]
.LBB50_227:
	s_wait_alu 0xfffe
	s_or_b32 exec_lo, exec_lo, s0
	s_wait_storecnt_dscnt 0x0
	s_barrier_signal -1
	s_barrier_wait -1
	global_inv scope:SCOPE_SE
	s_clause 0x4
	scratch_load_b128 v[2:5], off, off offset:768
	scratch_load_b128 v[6:9], off, off offset:784
	;; [unrolled: 1-line block ×5, first 2 shown]
	ds_load_b128 v[22:25], v1 offset:1568
	ds_load_b128 v[26:29], v1 offset:1584
	s_mov_b32 s0, exec_lo
	s_wait_loadcnt_dscnt 0x401
	v_mul_f64_e32 v[30:31], v[24:25], v[4:5]
	v_mul_f64_e32 v[4:5], v[22:23], v[4:5]
	s_wait_loadcnt_dscnt 0x300
	v_mul_f64_e32 v[32:33], v[26:27], v[8:9]
	v_mul_f64_e32 v[8:9], v[28:29], v[8:9]
	s_delay_alu instid0(VALU_DEP_4) | instskip(NEXT) | instid1(VALU_DEP_4)
	v_fma_f64 v[30:31], v[22:23], v[2:3], -v[30:31]
	v_fma_f64 v[34:35], v[24:25], v[2:3], v[4:5]
	ds_load_b128 v[2:5], v1 offset:1600
	ds_load_b128 v[22:25], v1 offset:1616
	v_fma_f64 v[28:29], v[28:29], v[6:7], v[32:33]
	v_fma_f64 v[6:7], v[26:27], v[6:7], -v[8:9]
	s_wait_loadcnt_dscnt 0x201
	v_mul_f64_e32 v[36:37], v[2:3], v[12:13]
	v_mul_f64_e32 v[12:13], v[4:5], v[12:13]
	v_add_f64_e32 v[8:9], 0, v[30:31]
	v_add_f64_e32 v[26:27], 0, v[34:35]
	s_wait_loadcnt_dscnt 0x100
	v_mul_f64_e32 v[30:31], v[22:23], v[16:17]
	v_mul_f64_e32 v[16:17], v[24:25], v[16:17]
	v_fma_f64 v[4:5], v[4:5], v[10:11], v[36:37]
	v_fma_f64 v[1:2], v[2:3], v[10:11], -v[12:13]
	v_add_f64_e32 v[6:7], v[8:9], v[6:7]
	v_add_f64_e32 v[8:9], v[26:27], v[28:29]
	v_fma_f64 v[10:11], v[24:25], v[14:15], v[30:31]
	v_fma_f64 v[12:13], v[22:23], v[14:15], -v[16:17]
	s_delay_alu instid0(VALU_DEP_4) | instskip(NEXT) | instid1(VALU_DEP_4)
	v_add_f64_e32 v[1:2], v[6:7], v[1:2]
	v_add_f64_e32 v[3:4], v[8:9], v[4:5]
	s_delay_alu instid0(VALU_DEP_2) | instskip(NEXT) | instid1(VALU_DEP_2)
	v_add_f64_e32 v[1:2], v[1:2], v[12:13]
	v_add_f64_e32 v[3:4], v[3:4], v[10:11]
	s_wait_loadcnt 0x0
	s_delay_alu instid0(VALU_DEP_2) | instskip(NEXT) | instid1(VALU_DEP_2)
	v_add_f64_e64 v[1:2], v[18:19], -v[1:2]
	v_add_f64_e64 v[3:4], v[20:21], -v[3:4]
	scratch_store_b128 off, v[1:4], off offset:752
	v_cmpx_lt_u32_e32 45, v0
	s_cbranch_execz .LBB50_229
; %bb.228:
	scratch_load_b128 v[1:4], off, s8
	v_mov_b32_e32 v5, 0
	s_delay_alu instid0(VALU_DEP_1)
	v_dual_mov_b32 v6, v5 :: v_dual_mov_b32 v7, v5
	v_mov_b32_e32 v8, v5
	scratch_store_b128 off, v[5:8], off offset:736
	s_wait_loadcnt 0x0
	ds_store_b128 v144, v[1:4]
.LBB50_229:
	s_wait_alu 0xfffe
	s_or_b32 exec_lo, exec_lo, s0
	s_wait_storecnt_dscnt 0x0
	s_barrier_signal -1
	s_barrier_wait -1
	global_inv scope:SCOPE_SE
	s_clause 0x5
	scratch_load_b128 v[2:5], off, off offset:752
	scratch_load_b128 v[6:9], off, off offset:768
	;; [unrolled: 1-line block ×6, first 2 shown]
	v_mov_b32_e32 v1, 0
	ds_load_b128 v[26:29], v1 offset:1552
	ds_load_b128 v[30:33], v1 offset:1568
	s_mov_b32 s0, exec_lo
	s_wait_loadcnt_dscnt 0x501
	v_mul_f64_e32 v[34:35], v[28:29], v[4:5]
	v_mul_f64_e32 v[4:5], v[26:27], v[4:5]
	s_wait_loadcnt_dscnt 0x400
	v_mul_f64_e32 v[36:37], v[30:31], v[8:9]
	v_mul_f64_e32 v[8:9], v[32:33], v[8:9]
	s_delay_alu instid0(VALU_DEP_4) | instskip(NEXT) | instid1(VALU_DEP_4)
	v_fma_f64 v[34:35], v[26:27], v[2:3], -v[34:35]
	v_fma_f64 v[38:39], v[28:29], v[2:3], v[4:5]
	ds_load_b128 v[2:5], v1 offset:1584
	ds_load_b128 v[26:29], v1 offset:1600
	v_fma_f64 v[32:33], v[32:33], v[6:7], v[36:37]
	v_fma_f64 v[6:7], v[30:31], v[6:7], -v[8:9]
	s_wait_loadcnt_dscnt 0x301
	v_mul_f64_e32 v[40:41], v[2:3], v[12:13]
	v_mul_f64_e32 v[12:13], v[4:5], v[12:13]
	v_add_f64_e32 v[8:9], 0, v[34:35]
	v_add_f64_e32 v[30:31], 0, v[38:39]
	s_wait_loadcnt_dscnt 0x200
	v_mul_f64_e32 v[34:35], v[26:27], v[16:17]
	v_mul_f64_e32 v[16:17], v[28:29], v[16:17]
	v_fma_f64 v[36:37], v[4:5], v[10:11], v[40:41]
	v_fma_f64 v[10:11], v[2:3], v[10:11], -v[12:13]
	ds_load_b128 v[2:5], v1 offset:1616
	v_add_f64_e32 v[6:7], v[8:9], v[6:7]
	v_add_f64_e32 v[8:9], v[30:31], v[32:33]
	v_fma_f64 v[28:29], v[28:29], v[14:15], v[34:35]
	v_fma_f64 v[14:15], v[26:27], v[14:15], -v[16:17]
	s_wait_loadcnt_dscnt 0x100
	v_mul_f64_e32 v[12:13], v[2:3], v[20:21]
	v_mul_f64_e32 v[20:21], v[4:5], v[20:21]
	v_add_f64_e32 v[6:7], v[6:7], v[10:11]
	v_add_f64_e32 v[8:9], v[8:9], v[36:37]
	s_delay_alu instid0(VALU_DEP_4) | instskip(NEXT) | instid1(VALU_DEP_4)
	v_fma_f64 v[4:5], v[4:5], v[18:19], v[12:13]
	v_fma_f64 v[2:3], v[2:3], v[18:19], -v[20:21]
	s_delay_alu instid0(VALU_DEP_4) | instskip(NEXT) | instid1(VALU_DEP_4)
	v_add_f64_e32 v[6:7], v[6:7], v[14:15]
	v_add_f64_e32 v[8:9], v[8:9], v[28:29]
	s_delay_alu instid0(VALU_DEP_2) | instskip(NEXT) | instid1(VALU_DEP_2)
	v_add_f64_e32 v[2:3], v[6:7], v[2:3]
	v_add_f64_e32 v[4:5], v[8:9], v[4:5]
	s_wait_loadcnt 0x0
	s_delay_alu instid0(VALU_DEP_2) | instskip(NEXT) | instid1(VALU_DEP_2)
	v_add_f64_e64 v[2:3], v[22:23], -v[2:3]
	v_add_f64_e64 v[4:5], v[24:25], -v[4:5]
	scratch_store_b128 off, v[2:5], off offset:736
	v_cmpx_lt_u32_e32 44, v0
	s_cbranch_execz .LBB50_231
; %bb.230:
	scratch_load_b128 v[5:8], off, s10
	v_dual_mov_b32 v2, v1 :: v_dual_mov_b32 v3, v1
	v_mov_b32_e32 v4, v1
	scratch_store_b128 off, v[1:4], off offset:720
	s_wait_loadcnt 0x0
	ds_store_b128 v144, v[5:8]
.LBB50_231:
	s_wait_alu 0xfffe
	s_or_b32 exec_lo, exec_lo, s0
	s_wait_storecnt_dscnt 0x0
	s_barrier_signal -1
	s_barrier_wait -1
	global_inv scope:SCOPE_SE
	s_clause 0x5
	scratch_load_b128 v[2:5], off, off offset:736
	scratch_load_b128 v[6:9], off, off offset:752
	;; [unrolled: 1-line block ×6, first 2 shown]
	ds_load_b128 v[26:29], v1 offset:1536
	ds_load_b128 v[34:37], v1 offset:1552
	scratch_load_b128 v[30:33], off, off offset:720
	s_mov_b32 s0, exec_lo
	s_wait_loadcnt_dscnt 0x601
	v_mul_f64_e32 v[38:39], v[28:29], v[4:5]
	v_mul_f64_e32 v[4:5], v[26:27], v[4:5]
	s_wait_loadcnt_dscnt 0x500
	v_mul_f64_e32 v[40:41], v[34:35], v[8:9]
	v_mul_f64_e32 v[8:9], v[36:37], v[8:9]
	s_delay_alu instid0(VALU_DEP_4) | instskip(NEXT) | instid1(VALU_DEP_4)
	v_fma_f64 v[38:39], v[26:27], v[2:3], -v[38:39]
	v_fma_f64 v[145:146], v[28:29], v[2:3], v[4:5]
	ds_load_b128 v[2:5], v1 offset:1568
	ds_load_b128 v[26:29], v1 offset:1584
	v_fma_f64 v[36:37], v[36:37], v[6:7], v[40:41]
	v_fma_f64 v[6:7], v[34:35], v[6:7], -v[8:9]
	s_wait_loadcnt_dscnt 0x401
	v_mul_f64_e32 v[147:148], v[2:3], v[12:13]
	v_mul_f64_e32 v[12:13], v[4:5], v[12:13]
	v_add_f64_e32 v[8:9], 0, v[38:39]
	v_add_f64_e32 v[34:35], 0, v[145:146]
	s_wait_loadcnt_dscnt 0x300
	v_mul_f64_e32 v[38:39], v[26:27], v[16:17]
	v_mul_f64_e32 v[16:17], v[28:29], v[16:17]
	v_fma_f64 v[40:41], v[4:5], v[10:11], v[147:148]
	v_fma_f64 v[10:11], v[2:3], v[10:11], -v[12:13]
	v_add_f64_e32 v[12:13], v[8:9], v[6:7]
	v_add_f64_e32 v[34:35], v[34:35], v[36:37]
	ds_load_b128 v[2:5], v1 offset:1600
	ds_load_b128 v[6:9], v1 offset:1616
	v_fma_f64 v[28:29], v[28:29], v[14:15], v[38:39]
	v_fma_f64 v[14:15], v[26:27], v[14:15], -v[16:17]
	s_wait_loadcnt_dscnt 0x201
	v_mul_f64_e32 v[36:37], v[2:3], v[20:21]
	v_mul_f64_e32 v[20:21], v[4:5], v[20:21]
	s_wait_loadcnt_dscnt 0x100
	v_mul_f64_e32 v[16:17], v[6:7], v[24:25]
	v_mul_f64_e32 v[24:25], v[8:9], v[24:25]
	v_add_f64_e32 v[10:11], v[12:13], v[10:11]
	v_add_f64_e32 v[12:13], v[34:35], v[40:41]
	v_fma_f64 v[4:5], v[4:5], v[18:19], v[36:37]
	v_fma_f64 v[1:2], v[2:3], v[18:19], -v[20:21]
	v_fma_f64 v[8:9], v[8:9], v[22:23], v[16:17]
	v_fma_f64 v[6:7], v[6:7], v[22:23], -v[24:25]
	v_add_f64_e32 v[10:11], v[10:11], v[14:15]
	v_add_f64_e32 v[12:13], v[12:13], v[28:29]
	s_delay_alu instid0(VALU_DEP_2) | instskip(NEXT) | instid1(VALU_DEP_2)
	v_add_f64_e32 v[1:2], v[10:11], v[1:2]
	v_add_f64_e32 v[3:4], v[12:13], v[4:5]
	s_delay_alu instid0(VALU_DEP_2) | instskip(NEXT) | instid1(VALU_DEP_2)
	v_add_f64_e32 v[1:2], v[1:2], v[6:7]
	v_add_f64_e32 v[3:4], v[3:4], v[8:9]
	s_wait_loadcnt 0x0
	s_delay_alu instid0(VALU_DEP_2) | instskip(NEXT) | instid1(VALU_DEP_2)
	v_add_f64_e64 v[1:2], v[30:31], -v[1:2]
	v_add_f64_e64 v[3:4], v[32:33], -v[3:4]
	scratch_store_b128 off, v[1:4], off offset:720
	v_cmpx_lt_u32_e32 43, v0
	s_cbranch_execz .LBB50_233
; %bb.232:
	scratch_load_b128 v[1:4], off, s9
	v_mov_b32_e32 v5, 0
	s_delay_alu instid0(VALU_DEP_1)
	v_dual_mov_b32 v6, v5 :: v_dual_mov_b32 v7, v5
	v_mov_b32_e32 v8, v5
	scratch_store_b128 off, v[5:8], off offset:704
	s_wait_loadcnt 0x0
	ds_store_b128 v144, v[1:4]
.LBB50_233:
	s_wait_alu 0xfffe
	s_or_b32 exec_lo, exec_lo, s0
	s_wait_storecnt_dscnt 0x0
	s_barrier_signal -1
	s_barrier_wait -1
	global_inv scope:SCOPE_SE
	s_clause 0x6
	scratch_load_b128 v[2:5], off, off offset:720
	scratch_load_b128 v[6:9], off, off offset:736
	;; [unrolled: 1-line block ×7, first 2 shown]
	v_mov_b32_e32 v1, 0
	scratch_load_b128 v[34:37], off, off offset:704
	s_mov_b32 s0, exec_lo
	ds_load_b128 v[30:33], v1 offset:1520
	ds_load_b128 v[38:41], v1 offset:1536
	s_wait_loadcnt_dscnt 0x701
	v_mul_f64_e32 v[145:146], v[32:33], v[4:5]
	v_mul_f64_e32 v[4:5], v[30:31], v[4:5]
	s_wait_loadcnt_dscnt 0x600
	v_mul_f64_e32 v[147:148], v[38:39], v[8:9]
	v_mul_f64_e32 v[8:9], v[40:41], v[8:9]
	s_delay_alu instid0(VALU_DEP_4) | instskip(NEXT) | instid1(VALU_DEP_4)
	v_fma_f64 v[145:146], v[30:31], v[2:3], -v[145:146]
	v_fma_f64 v[149:150], v[32:33], v[2:3], v[4:5]
	ds_load_b128 v[2:5], v1 offset:1552
	ds_load_b128 v[30:33], v1 offset:1568
	v_fma_f64 v[40:41], v[40:41], v[6:7], v[147:148]
	v_fma_f64 v[6:7], v[38:39], v[6:7], -v[8:9]
	s_wait_loadcnt_dscnt 0x501
	v_mul_f64_e32 v[151:152], v[2:3], v[12:13]
	v_mul_f64_e32 v[12:13], v[4:5], v[12:13]
	v_add_f64_e32 v[8:9], 0, v[145:146]
	v_add_f64_e32 v[38:39], 0, v[149:150]
	s_wait_loadcnt_dscnt 0x400
	v_mul_f64_e32 v[145:146], v[30:31], v[16:17]
	v_mul_f64_e32 v[16:17], v[32:33], v[16:17]
	v_fma_f64 v[147:148], v[4:5], v[10:11], v[151:152]
	v_fma_f64 v[10:11], v[2:3], v[10:11], -v[12:13]
	v_add_f64_e32 v[12:13], v[8:9], v[6:7]
	v_add_f64_e32 v[38:39], v[38:39], v[40:41]
	ds_load_b128 v[2:5], v1 offset:1584
	ds_load_b128 v[6:9], v1 offset:1600
	v_fma_f64 v[32:33], v[32:33], v[14:15], v[145:146]
	v_fma_f64 v[14:15], v[30:31], v[14:15], -v[16:17]
	s_wait_loadcnt_dscnt 0x301
	v_mul_f64_e32 v[40:41], v[2:3], v[20:21]
	v_mul_f64_e32 v[20:21], v[4:5], v[20:21]
	s_wait_loadcnt_dscnt 0x200
	v_mul_f64_e32 v[16:17], v[6:7], v[24:25]
	v_mul_f64_e32 v[24:25], v[8:9], v[24:25]
	v_add_f64_e32 v[10:11], v[12:13], v[10:11]
	v_add_f64_e32 v[12:13], v[38:39], v[147:148]
	v_fma_f64 v[30:31], v[4:5], v[18:19], v[40:41]
	v_fma_f64 v[18:19], v[2:3], v[18:19], -v[20:21]
	ds_load_b128 v[2:5], v1 offset:1616
	v_fma_f64 v[8:9], v[8:9], v[22:23], v[16:17]
	v_fma_f64 v[6:7], v[6:7], v[22:23], -v[24:25]
	v_add_f64_e32 v[10:11], v[10:11], v[14:15]
	v_add_f64_e32 v[12:13], v[12:13], v[32:33]
	s_wait_loadcnt_dscnt 0x100
	v_mul_f64_e32 v[14:15], v[2:3], v[28:29]
	v_mul_f64_e32 v[20:21], v[4:5], v[28:29]
	s_delay_alu instid0(VALU_DEP_4) | instskip(NEXT) | instid1(VALU_DEP_4)
	v_add_f64_e32 v[10:11], v[10:11], v[18:19]
	v_add_f64_e32 v[12:13], v[12:13], v[30:31]
	s_delay_alu instid0(VALU_DEP_4) | instskip(NEXT) | instid1(VALU_DEP_4)
	v_fma_f64 v[4:5], v[4:5], v[26:27], v[14:15]
	v_fma_f64 v[2:3], v[2:3], v[26:27], -v[20:21]
	s_delay_alu instid0(VALU_DEP_4) | instskip(NEXT) | instid1(VALU_DEP_4)
	v_add_f64_e32 v[6:7], v[10:11], v[6:7]
	v_add_f64_e32 v[8:9], v[12:13], v[8:9]
	s_delay_alu instid0(VALU_DEP_2) | instskip(NEXT) | instid1(VALU_DEP_2)
	v_add_f64_e32 v[2:3], v[6:7], v[2:3]
	v_add_f64_e32 v[4:5], v[8:9], v[4:5]
	s_wait_loadcnt 0x0
	s_delay_alu instid0(VALU_DEP_2) | instskip(NEXT) | instid1(VALU_DEP_2)
	v_add_f64_e64 v[2:3], v[34:35], -v[2:3]
	v_add_f64_e64 v[4:5], v[36:37], -v[4:5]
	scratch_store_b128 off, v[2:5], off offset:704
	v_cmpx_lt_u32_e32 42, v0
	s_cbranch_execz .LBB50_235
; %bb.234:
	scratch_load_b128 v[5:8], off, s11
	v_dual_mov_b32 v2, v1 :: v_dual_mov_b32 v3, v1
	v_mov_b32_e32 v4, v1
	scratch_store_b128 off, v[1:4], off offset:688
	s_wait_loadcnt 0x0
	ds_store_b128 v144, v[5:8]
.LBB50_235:
	s_wait_alu 0xfffe
	s_or_b32 exec_lo, exec_lo, s0
	s_wait_storecnt_dscnt 0x0
	s_barrier_signal -1
	s_barrier_wait -1
	global_inv scope:SCOPE_SE
	s_clause 0x7
	scratch_load_b128 v[2:5], off, off offset:704
	scratch_load_b128 v[6:9], off, off offset:720
	;; [unrolled: 1-line block ×8, first 2 shown]
	ds_load_b128 v[34:37], v1 offset:1504
	ds_load_b128 v[38:41], v1 offset:1520
	scratch_load_b128 v[145:148], off, off offset:688
	s_mov_b32 s0, exec_lo
	s_wait_loadcnt_dscnt 0x801
	v_mul_f64_e32 v[149:150], v[36:37], v[4:5]
	v_mul_f64_e32 v[4:5], v[34:35], v[4:5]
	s_wait_loadcnt_dscnt 0x700
	v_mul_f64_e32 v[151:152], v[38:39], v[8:9]
	v_mul_f64_e32 v[8:9], v[40:41], v[8:9]
	s_delay_alu instid0(VALU_DEP_4) | instskip(NEXT) | instid1(VALU_DEP_4)
	v_fma_f64 v[149:150], v[34:35], v[2:3], -v[149:150]
	v_fma_f64 v[153:154], v[36:37], v[2:3], v[4:5]
	ds_load_b128 v[2:5], v1 offset:1536
	ds_load_b128 v[34:37], v1 offset:1552
	v_fma_f64 v[40:41], v[40:41], v[6:7], v[151:152]
	v_fma_f64 v[6:7], v[38:39], v[6:7], -v[8:9]
	s_wait_loadcnt_dscnt 0x601
	v_mul_f64_e32 v[155:156], v[2:3], v[12:13]
	v_mul_f64_e32 v[12:13], v[4:5], v[12:13]
	v_add_f64_e32 v[8:9], 0, v[149:150]
	v_add_f64_e32 v[38:39], 0, v[153:154]
	s_wait_loadcnt_dscnt 0x500
	v_mul_f64_e32 v[149:150], v[34:35], v[16:17]
	v_mul_f64_e32 v[16:17], v[36:37], v[16:17]
	v_fma_f64 v[151:152], v[4:5], v[10:11], v[155:156]
	v_fma_f64 v[10:11], v[2:3], v[10:11], -v[12:13]
	v_add_f64_e32 v[12:13], v[8:9], v[6:7]
	v_add_f64_e32 v[38:39], v[38:39], v[40:41]
	ds_load_b128 v[2:5], v1 offset:1568
	ds_load_b128 v[6:9], v1 offset:1584
	v_fma_f64 v[36:37], v[36:37], v[14:15], v[149:150]
	v_fma_f64 v[14:15], v[34:35], v[14:15], -v[16:17]
	s_wait_loadcnt_dscnt 0x401
	v_mul_f64_e32 v[40:41], v[2:3], v[20:21]
	v_mul_f64_e32 v[20:21], v[4:5], v[20:21]
	s_wait_loadcnt_dscnt 0x300
	v_mul_f64_e32 v[16:17], v[6:7], v[24:25]
	v_mul_f64_e32 v[24:25], v[8:9], v[24:25]
	v_add_f64_e32 v[10:11], v[12:13], v[10:11]
	v_add_f64_e32 v[12:13], v[38:39], v[151:152]
	v_fma_f64 v[34:35], v[4:5], v[18:19], v[40:41]
	v_fma_f64 v[18:19], v[2:3], v[18:19], -v[20:21]
	v_fma_f64 v[8:9], v[8:9], v[22:23], v[16:17]
	v_fma_f64 v[6:7], v[6:7], v[22:23], -v[24:25]
	v_add_f64_e32 v[14:15], v[10:11], v[14:15]
	v_add_f64_e32 v[20:21], v[12:13], v[36:37]
	ds_load_b128 v[2:5], v1 offset:1600
	ds_load_b128 v[10:13], v1 offset:1616
	s_wait_loadcnt_dscnt 0x201
	v_mul_f64_e32 v[36:37], v[2:3], v[28:29]
	v_mul_f64_e32 v[28:29], v[4:5], v[28:29]
	v_add_f64_e32 v[14:15], v[14:15], v[18:19]
	v_add_f64_e32 v[16:17], v[20:21], v[34:35]
	s_wait_loadcnt_dscnt 0x100
	v_mul_f64_e32 v[18:19], v[10:11], v[32:33]
	v_mul_f64_e32 v[20:21], v[12:13], v[32:33]
	v_fma_f64 v[4:5], v[4:5], v[26:27], v[36:37]
	v_fma_f64 v[1:2], v[2:3], v[26:27], -v[28:29]
	v_add_f64_e32 v[6:7], v[14:15], v[6:7]
	v_add_f64_e32 v[8:9], v[16:17], v[8:9]
	v_fma_f64 v[12:13], v[12:13], v[30:31], v[18:19]
	v_fma_f64 v[10:11], v[10:11], v[30:31], -v[20:21]
	s_delay_alu instid0(VALU_DEP_4) | instskip(NEXT) | instid1(VALU_DEP_4)
	v_add_f64_e32 v[1:2], v[6:7], v[1:2]
	v_add_f64_e32 v[3:4], v[8:9], v[4:5]
	s_delay_alu instid0(VALU_DEP_2) | instskip(NEXT) | instid1(VALU_DEP_2)
	v_add_f64_e32 v[1:2], v[1:2], v[10:11]
	v_add_f64_e32 v[3:4], v[3:4], v[12:13]
	s_wait_loadcnt 0x0
	s_delay_alu instid0(VALU_DEP_2) | instskip(NEXT) | instid1(VALU_DEP_2)
	v_add_f64_e64 v[1:2], v[145:146], -v[1:2]
	v_add_f64_e64 v[3:4], v[147:148], -v[3:4]
	scratch_store_b128 off, v[1:4], off offset:688
	v_cmpx_lt_u32_e32 41, v0
	s_cbranch_execz .LBB50_237
; %bb.236:
	scratch_load_b128 v[1:4], off, s15
	v_mov_b32_e32 v5, 0
	s_delay_alu instid0(VALU_DEP_1)
	v_dual_mov_b32 v6, v5 :: v_dual_mov_b32 v7, v5
	v_mov_b32_e32 v8, v5
	scratch_store_b128 off, v[5:8], off offset:672
	s_wait_loadcnt 0x0
	ds_store_b128 v144, v[1:4]
.LBB50_237:
	s_wait_alu 0xfffe
	s_or_b32 exec_lo, exec_lo, s0
	s_wait_storecnt_dscnt 0x0
	s_barrier_signal -1
	s_barrier_wait -1
	global_inv scope:SCOPE_SE
	s_clause 0x7
	scratch_load_b128 v[2:5], off, off offset:688
	scratch_load_b128 v[6:9], off, off offset:704
	scratch_load_b128 v[10:13], off, off offset:720
	scratch_load_b128 v[14:17], off, off offset:736
	scratch_load_b128 v[18:21], off, off offset:752
	scratch_load_b128 v[22:25], off, off offset:768
	scratch_load_b128 v[26:29], off, off offset:784
	scratch_load_b128 v[30:33], off, off offset:800
	v_mov_b32_e32 v1, 0
	s_mov_b32 s0, exec_lo
	ds_load_b128 v[34:37], v1 offset:1488
	s_clause 0x1
	scratch_load_b128 v[38:41], off, off offset:816
	scratch_load_b128 v[145:148], off, off offset:672
	ds_load_b128 v[149:152], v1 offset:1504
	s_wait_loadcnt_dscnt 0x901
	v_mul_f64_e32 v[153:154], v[36:37], v[4:5]
	v_mul_f64_e32 v[4:5], v[34:35], v[4:5]
	s_wait_loadcnt_dscnt 0x800
	v_mul_f64_e32 v[155:156], v[149:150], v[8:9]
	v_mul_f64_e32 v[8:9], v[151:152], v[8:9]
	s_delay_alu instid0(VALU_DEP_4) | instskip(NEXT) | instid1(VALU_DEP_4)
	v_fma_f64 v[153:154], v[34:35], v[2:3], -v[153:154]
	v_fma_f64 v[157:158], v[36:37], v[2:3], v[4:5]
	ds_load_b128 v[2:5], v1 offset:1520
	ds_load_b128 v[34:37], v1 offset:1536
	v_fma_f64 v[151:152], v[151:152], v[6:7], v[155:156]
	v_fma_f64 v[6:7], v[149:150], v[6:7], -v[8:9]
	s_wait_loadcnt_dscnt 0x701
	v_mul_f64_e32 v[159:160], v[2:3], v[12:13]
	v_mul_f64_e32 v[12:13], v[4:5], v[12:13]
	v_add_f64_e32 v[8:9], 0, v[153:154]
	v_add_f64_e32 v[149:150], 0, v[157:158]
	s_wait_loadcnt_dscnt 0x600
	v_mul_f64_e32 v[153:154], v[34:35], v[16:17]
	v_mul_f64_e32 v[16:17], v[36:37], v[16:17]
	v_fma_f64 v[155:156], v[4:5], v[10:11], v[159:160]
	v_fma_f64 v[10:11], v[2:3], v[10:11], -v[12:13]
	v_add_f64_e32 v[12:13], v[8:9], v[6:7]
	v_add_f64_e32 v[149:150], v[149:150], v[151:152]
	ds_load_b128 v[2:5], v1 offset:1552
	ds_load_b128 v[6:9], v1 offset:1568
	v_fma_f64 v[36:37], v[36:37], v[14:15], v[153:154]
	v_fma_f64 v[14:15], v[34:35], v[14:15], -v[16:17]
	s_wait_loadcnt_dscnt 0x501
	v_mul_f64_e32 v[151:152], v[2:3], v[20:21]
	v_mul_f64_e32 v[20:21], v[4:5], v[20:21]
	s_wait_loadcnt_dscnt 0x400
	v_mul_f64_e32 v[16:17], v[6:7], v[24:25]
	v_mul_f64_e32 v[24:25], v[8:9], v[24:25]
	v_add_f64_e32 v[10:11], v[12:13], v[10:11]
	v_add_f64_e32 v[12:13], v[149:150], v[155:156]
	v_fma_f64 v[34:35], v[4:5], v[18:19], v[151:152]
	v_fma_f64 v[18:19], v[2:3], v[18:19], -v[20:21]
	v_fma_f64 v[8:9], v[8:9], v[22:23], v[16:17]
	v_fma_f64 v[6:7], v[6:7], v[22:23], -v[24:25]
	v_add_f64_e32 v[14:15], v[10:11], v[14:15]
	v_add_f64_e32 v[20:21], v[12:13], v[36:37]
	ds_load_b128 v[2:5], v1 offset:1584
	ds_load_b128 v[10:13], v1 offset:1600
	s_wait_loadcnt_dscnt 0x301
	v_mul_f64_e32 v[36:37], v[2:3], v[28:29]
	v_mul_f64_e32 v[28:29], v[4:5], v[28:29]
	v_add_f64_e32 v[14:15], v[14:15], v[18:19]
	v_add_f64_e32 v[16:17], v[20:21], v[34:35]
	s_wait_loadcnt_dscnt 0x200
	v_mul_f64_e32 v[18:19], v[10:11], v[32:33]
	v_mul_f64_e32 v[20:21], v[12:13], v[32:33]
	v_fma_f64 v[22:23], v[4:5], v[26:27], v[36:37]
	v_fma_f64 v[24:25], v[2:3], v[26:27], -v[28:29]
	ds_load_b128 v[2:5], v1 offset:1616
	v_add_f64_e32 v[6:7], v[14:15], v[6:7]
	v_add_f64_e32 v[8:9], v[16:17], v[8:9]
	v_fma_f64 v[12:13], v[12:13], v[30:31], v[18:19]
	v_fma_f64 v[10:11], v[10:11], v[30:31], -v[20:21]
	s_wait_loadcnt_dscnt 0x100
	v_mul_f64_e32 v[14:15], v[2:3], v[40:41]
	v_mul_f64_e32 v[16:17], v[4:5], v[40:41]
	v_add_f64_e32 v[6:7], v[6:7], v[24:25]
	v_add_f64_e32 v[8:9], v[8:9], v[22:23]
	s_delay_alu instid0(VALU_DEP_4) | instskip(NEXT) | instid1(VALU_DEP_4)
	v_fma_f64 v[4:5], v[4:5], v[38:39], v[14:15]
	v_fma_f64 v[2:3], v[2:3], v[38:39], -v[16:17]
	s_delay_alu instid0(VALU_DEP_4) | instskip(NEXT) | instid1(VALU_DEP_4)
	v_add_f64_e32 v[6:7], v[6:7], v[10:11]
	v_add_f64_e32 v[8:9], v[8:9], v[12:13]
	s_delay_alu instid0(VALU_DEP_2) | instskip(NEXT) | instid1(VALU_DEP_2)
	v_add_f64_e32 v[2:3], v[6:7], v[2:3]
	v_add_f64_e32 v[4:5], v[8:9], v[4:5]
	s_wait_loadcnt 0x0
	s_delay_alu instid0(VALU_DEP_2) | instskip(NEXT) | instid1(VALU_DEP_2)
	v_add_f64_e64 v[2:3], v[145:146], -v[2:3]
	v_add_f64_e64 v[4:5], v[147:148], -v[4:5]
	scratch_store_b128 off, v[2:5], off offset:672
	v_cmpx_lt_u32_e32 40, v0
	s_cbranch_execz .LBB50_239
; %bb.238:
	scratch_load_b128 v[5:8], off, s19
	v_dual_mov_b32 v2, v1 :: v_dual_mov_b32 v3, v1
	v_mov_b32_e32 v4, v1
	scratch_store_b128 off, v[1:4], off offset:656
	s_wait_loadcnt 0x0
	ds_store_b128 v144, v[5:8]
.LBB50_239:
	s_wait_alu 0xfffe
	s_or_b32 exec_lo, exec_lo, s0
	s_wait_storecnt_dscnt 0x0
	s_barrier_signal -1
	s_barrier_wait -1
	global_inv scope:SCOPE_SE
	s_clause 0x8
	scratch_load_b128 v[2:5], off, off offset:672
	scratch_load_b128 v[6:9], off, off offset:688
	;; [unrolled: 1-line block ×9, first 2 shown]
	ds_load_b128 v[38:41], v1 offset:1472
	ds_load_b128 v[145:148], v1 offset:1488
	s_clause 0x1
	scratch_load_b128 v[149:152], off, off offset:656
	scratch_load_b128 v[153:156], off, off offset:816
	s_mov_b32 s0, exec_lo
	s_wait_loadcnt_dscnt 0xa01
	v_mul_f64_e32 v[157:158], v[40:41], v[4:5]
	v_mul_f64_e32 v[4:5], v[38:39], v[4:5]
	s_wait_loadcnt_dscnt 0x900
	v_mul_f64_e32 v[159:160], v[145:146], v[8:9]
	v_mul_f64_e32 v[8:9], v[147:148], v[8:9]
	s_delay_alu instid0(VALU_DEP_4) | instskip(NEXT) | instid1(VALU_DEP_4)
	v_fma_f64 v[157:158], v[38:39], v[2:3], -v[157:158]
	v_fma_f64 v[161:162], v[40:41], v[2:3], v[4:5]
	ds_load_b128 v[2:5], v1 offset:1504
	ds_load_b128 v[38:41], v1 offset:1520
	v_fma_f64 v[147:148], v[147:148], v[6:7], v[159:160]
	v_fma_f64 v[6:7], v[145:146], v[6:7], -v[8:9]
	s_wait_loadcnt_dscnt 0x801
	v_mul_f64_e32 v[163:164], v[2:3], v[12:13]
	v_mul_f64_e32 v[12:13], v[4:5], v[12:13]
	v_add_f64_e32 v[8:9], 0, v[157:158]
	v_add_f64_e32 v[145:146], 0, v[161:162]
	s_wait_loadcnt_dscnt 0x700
	v_mul_f64_e32 v[157:158], v[38:39], v[16:17]
	v_mul_f64_e32 v[16:17], v[40:41], v[16:17]
	v_fma_f64 v[159:160], v[4:5], v[10:11], v[163:164]
	v_fma_f64 v[10:11], v[2:3], v[10:11], -v[12:13]
	v_add_f64_e32 v[12:13], v[8:9], v[6:7]
	v_add_f64_e32 v[145:146], v[145:146], v[147:148]
	ds_load_b128 v[2:5], v1 offset:1536
	ds_load_b128 v[6:9], v1 offset:1552
	v_fma_f64 v[40:41], v[40:41], v[14:15], v[157:158]
	v_fma_f64 v[14:15], v[38:39], v[14:15], -v[16:17]
	s_wait_loadcnt_dscnt 0x601
	v_mul_f64_e32 v[147:148], v[2:3], v[20:21]
	v_mul_f64_e32 v[20:21], v[4:5], v[20:21]
	s_wait_loadcnt_dscnt 0x500
	v_mul_f64_e32 v[16:17], v[6:7], v[24:25]
	v_mul_f64_e32 v[24:25], v[8:9], v[24:25]
	v_add_f64_e32 v[10:11], v[12:13], v[10:11]
	v_add_f64_e32 v[12:13], v[145:146], v[159:160]
	v_fma_f64 v[38:39], v[4:5], v[18:19], v[147:148]
	v_fma_f64 v[18:19], v[2:3], v[18:19], -v[20:21]
	v_fma_f64 v[8:9], v[8:9], v[22:23], v[16:17]
	v_fma_f64 v[6:7], v[6:7], v[22:23], -v[24:25]
	v_add_f64_e32 v[14:15], v[10:11], v[14:15]
	v_add_f64_e32 v[20:21], v[12:13], v[40:41]
	ds_load_b128 v[2:5], v1 offset:1568
	ds_load_b128 v[10:13], v1 offset:1584
	s_wait_loadcnt_dscnt 0x401
	v_mul_f64_e32 v[40:41], v[2:3], v[28:29]
	v_mul_f64_e32 v[28:29], v[4:5], v[28:29]
	v_add_f64_e32 v[14:15], v[14:15], v[18:19]
	v_add_f64_e32 v[16:17], v[20:21], v[38:39]
	s_wait_loadcnt_dscnt 0x300
	v_mul_f64_e32 v[18:19], v[10:11], v[32:33]
	v_mul_f64_e32 v[20:21], v[12:13], v[32:33]
	v_fma_f64 v[22:23], v[4:5], v[26:27], v[40:41]
	v_fma_f64 v[24:25], v[2:3], v[26:27], -v[28:29]
	v_add_f64_e32 v[14:15], v[14:15], v[6:7]
	v_add_f64_e32 v[16:17], v[16:17], v[8:9]
	ds_load_b128 v[2:5], v1 offset:1600
	ds_load_b128 v[6:9], v1 offset:1616
	v_fma_f64 v[12:13], v[12:13], v[30:31], v[18:19]
	v_fma_f64 v[10:11], v[10:11], v[30:31], -v[20:21]
	s_wait_loadcnt_dscnt 0x201
	v_mul_f64_e32 v[26:27], v[2:3], v[36:37]
	v_mul_f64_e32 v[28:29], v[4:5], v[36:37]
	s_wait_loadcnt_dscnt 0x0
	v_mul_f64_e32 v[18:19], v[6:7], v[155:156]
	v_mul_f64_e32 v[20:21], v[8:9], v[155:156]
	v_add_f64_e32 v[14:15], v[14:15], v[24:25]
	v_add_f64_e32 v[16:17], v[16:17], v[22:23]
	v_fma_f64 v[4:5], v[4:5], v[34:35], v[26:27]
	v_fma_f64 v[1:2], v[2:3], v[34:35], -v[28:29]
	v_fma_f64 v[8:9], v[8:9], v[153:154], v[18:19]
	v_fma_f64 v[6:7], v[6:7], v[153:154], -v[20:21]
	v_add_f64_e32 v[10:11], v[14:15], v[10:11]
	v_add_f64_e32 v[12:13], v[16:17], v[12:13]
	s_delay_alu instid0(VALU_DEP_2) | instskip(NEXT) | instid1(VALU_DEP_2)
	v_add_f64_e32 v[1:2], v[10:11], v[1:2]
	v_add_f64_e32 v[3:4], v[12:13], v[4:5]
	s_delay_alu instid0(VALU_DEP_2) | instskip(NEXT) | instid1(VALU_DEP_2)
	;; [unrolled: 3-line block ×3, first 2 shown]
	v_add_f64_e64 v[1:2], v[149:150], -v[1:2]
	v_add_f64_e64 v[3:4], v[151:152], -v[3:4]
	scratch_store_b128 off, v[1:4], off offset:656
	v_cmpx_lt_u32_e32 39, v0
	s_cbranch_execz .LBB50_241
; %bb.240:
	scratch_load_b128 v[1:4], off, s20
	v_mov_b32_e32 v5, 0
	s_delay_alu instid0(VALU_DEP_1)
	v_dual_mov_b32 v6, v5 :: v_dual_mov_b32 v7, v5
	v_mov_b32_e32 v8, v5
	scratch_store_b128 off, v[5:8], off offset:640
	s_wait_loadcnt 0x0
	ds_store_b128 v144, v[1:4]
.LBB50_241:
	s_wait_alu 0xfffe
	s_or_b32 exec_lo, exec_lo, s0
	s_wait_storecnt_dscnt 0x0
	s_barrier_signal -1
	s_barrier_wait -1
	global_inv scope:SCOPE_SE
	s_clause 0x7
	scratch_load_b128 v[2:5], off, off offset:656
	scratch_load_b128 v[6:9], off, off offset:672
	;; [unrolled: 1-line block ×8, first 2 shown]
	v_mov_b32_e32 v1, 0
	s_clause 0x1
	scratch_load_b128 v[38:41], off, off offset:784
	scratch_load_b128 v[149:152], off, off offset:800
	s_mov_b32 s0, exec_lo
	ds_load_b128 v[34:37], v1 offset:1456
	ds_load_b128 v[145:148], v1 offset:1472
	s_wait_loadcnt_dscnt 0x901
	v_mul_f64_e32 v[153:154], v[36:37], v[4:5]
	v_mul_f64_e32 v[4:5], v[34:35], v[4:5]
	s_wait_loadcnt_dscnt 0x800
	v_mul_f64_e32 v[155:156], v[145:146], v[8:9]
	v_mul_f64_e32 v[8:9], v[147:148], v[8:9]
	s_delay_alu instid0(VALU_DEP_4) | instskip(NEXT) | instid1(VALU_DEP_4)
	v_fma_f64 v[153:154], v[34:35], v[2:3], -v[153:154]
	v_fma_f64 v[157:158], v[36:37], v[2:3], v[4:5]
	ds_load_b128 v[2:5], v1 offset:1488
	scratch_load_b128 v[34:37], off, off offset:816
	v_fma_f64 v[147:148], v[147:148], v[6:7], v[155:156]
	v_fma_f64 v[145:146], v[145:146], v[6:7], -v[8:9]
	ds_load_b128 v[6:9], v1 offset:1504
	s_wait_loadcnt_dscnt 0x801
	v_mul_f64_e32 v[159:160], v[2:3], v[12:13]
	v_mul_f64_e32 v[12:13], v[4:5], v[12:13]
	v_add_f64_e32 v[153:154], 0, v[153:154]
	v_add_f64_e32 v[155:156], 0, v[157:158]
	s_wait_loadcnt_dscnt 0x700
	v_mul_f64_e32 v[157:158], v[6:7], v[16:17]
	v_mul_f64_e32 v[16:17], v[8:9], v[16:17]
	v_fma_f64 v[159:160], v[4:5], v[10:11], v[159:160]
	v_fma_f64 v[10:11], v[2:3], v[10:11], -v[12:13]
	ds_load_b128 v[2:5], v1 offset:1520
	v_add_f64_e32 v[12:13], v[153:154], v[145:146]
	v_add_f64_e32 v[145:146], v[155:156], v[147:148]
	v_fma_f64 v[153:154], v[8:9], v[14:15], v[157:158]
	v_fma_f64 v[14:15], v[6:7], v[14:15], -v[16:17]
	ds_load_b128 v[6:9], v1 offset:1536
	s_wait_loadcnt_dscnt 0x601
	v_mul_f64_e32 v[147:148], v[2:3], v[20:21]
	v_mul_f64_e32 v[20:21], v[4:5], v[20:21]
	s_wait_loadcnt_dscnt 0x500
	v_mul_f64_e32 v[155:156], v[6:7], v[24:25]
	v_mul_f64_e32 v[24:25], v[8:9], v[24:25]
	v_add_f64_e32 v[16:17], v[12:13], v[10:11]
	v_add_f64_e32 v[145:146], v[145:146], v[159:160]
	scratch_load_b128 v[10:13], off, off offset:640
	v_fma_f64 v[147:148], v[4:5], v[18:19], v[147:148]
	v_fma_f64 v[18:19], v[2:3], v[18:19], -v[20:21]
	ds_load_b128 v[2:5], v1 offset:1552
	v_add_f64_e32 v[14:15], v[16:17], v[14:15]
	v_add_f64_e32 v[16:17], v[145:146], v[153:154]
	v_fma_f64 v[145:146], v[8:9], v[22:23], v[155:156]
	v_fma_f64 v[22:23], v[6:7], v[22:23], -v[24:25]
	ds_load_b128 v[6:9], v1 offset:1568
	s_wait_loadcnt_dscnt 0x501
	v_mul_f64_e32 v[20:21], v[2:3], v[28:29]
	v_mul_f64_e32 v[28:29], v[4:5], v[28:29]
	s_wait_loadcnt_dscnt 0x400
	v_mul_f64_e32 v[24:25], v[8:9], v[32:33]
	v_add_f64_e32 v[14:15], v[14:15], v[18:19]
	v_add_f64_e32 v[16:17], v[16:17], v[147:148]
	v_mul_f64_e32 v[18:19], v[6:7], v[32:33]
	v_fma_f64 v[20:21], v[4:5], v[26:27], v[20:21]
	v_fma_f64 v[26:27], v[2:3], v[26:27], -v[28:29]
	ds_load_b128 v[2:5], v1 offset:1584
	v_fma_f64 v[24:25], v[6:7], v[30:31], -v[24:25]
	v_add_f64_e32 v[14:15], v[14:15], v[22:23]
	v_add_f64_e32 v[16:17], v[16:17], v[145:146]
	v_fma_f64 v[18:19], v[8:9], v[30:31], v[18:19]
	ds_load_b128 v[6:9], v1 offset:1600
	s_wait_loadcnt_dscnt 0x301
	v_mul_f64_e32 v[22:23], v[2:3], v[40:41]
	v_mul_f64_e32 v[28:29], v[4:5], v[40:41]
	v_add_f64_e32 v[14:15], v[14:15], v[26:27]
	v_add_f64_e32 v[16:17], v[16:17], v[20:21]
	s_wait_loadcnt_dscnt 0x200
	v_mul_f64_e32 v[20:21], v[6:7], v[151:152]
	v_mul_f64_e32 v[26:27], v[8:9], v[151:152]
	v_fma_f64 v[22:23], v[4:5], v[38:39], v[22:23]
	v_fma_f64 v[28:29], v[2:3], v[38:39], -v[28:29]
	ds_load_b128 v[2:5], v1 offset:1616
	v_add_f64_e32 v[14:15], v[14:15], v[24:25]
	v_add_f64_e32 v[16:17], v[16:17], v[18:19]
	v_fma_f64 v[8:9], v[8:9], v[149:150], v[20:21]
	v_fma_f64 v[6:7], v[6:7], v[149:150], -v[26:27]
	s_wait_loadcnt_dscnt 0x100
	v_mul_f64_e32 v[18:19], v[2:3], v[36:37]
	v_mul_f64_e32 v[24:25], v[4:5], v[36:37]
	v_add_f64_e32 v[14:15], v[14:15], v[28:29]
	v_add_f64_e32 v[16:17], v[16:17], v[22:23]
	s_delay_alu instid0(VALU_DEP_4) | instskip(NEXT) | instid1(VALU_DEP_4)
	v_fma_f64 v[4:5], v[4:5], v[34:35], v[18:19]
	v_fma_f64 v[2:3], v[2:3], v[34:35], -v[24:25]
	s_delay_alu instid0(VALU_DEP_4) | instskip(NEXT) | instid1(VALU_DEP_4)
	v_add_f64_e32 v[6:7], v[14:15], v[6:7]
	v_add_f64_e32 v[8:9], v[16:17], v[8:9]
	s_delay_alu instid0(VALU_DEP_2) | instskip(NEXT) | instid1(VALU_DEP_2)
	v_add_f64_e32 v[2:3], v[6:7], v[2:3]
	v_add_f64_e32 v[4:5], v[8:9], v[4:5]
	s_wait_loadcnt 0x0
	s_delay_alu instid0(VALU_DEP_2) | instskip(NEXT) | instid1(VALU_DEP_2)
	v_add_f64_e64 v[2:3], v[10:11], -v[2:3]
	v_add_f64_e64 v[4:5], v[12:13], -v[4:5]
	scratch_store_b128 off, v[2:5], off offset:640
	v_cmpx_lt_u32_e32 38, v0
	s_cbranch_execz .LBB50_243
; %bb.242:
	scratch_load_b128 v[5:8], off, s22
	v_dual_mov_b32 v2, v1 :: v_dual_mov_b32 v3, v1
	v_mov_b32_e32 v4, v1
	scratch_store_b128 off, v[1:4], off offset:624
	s_wait_loadcnt 0x0
	ds_store_b128 v144, v[5:8]
.LBB50_243:
	s_wait_alu 0xfffe
	s_or_b32 exec_lo, exec_lo, s0
	s_wait_storecnt_dscnt 0x0
	s_barrier_signal -1
	s_barrier_wait -1
	global_inv scope:SCOPE_SE
	s_clause 0x7
	scratch_load_b128 v[2:5], off, off offset:640
	scratch_load_b128 v[6:9], off, off offset:656
	scratch_load_b128 v[10:13], off, off offset:672
	scratch_load_b128 v[14:17], off, off offset:688
	scratch_load_b128 v[18:21], off, off offset:704
	scratch_load_b128 v[22:25], off, off offset:720
	scratch_load_b128 v[26:29], off, off offset:736
	scratch_load_b128 v[30:33], off, off offset:752
	ds_load_b128 v[34:37], v1 offset:1440
	ds_load_b128 v[145:148], v1 offset:1456
	s_clause 0x1
	scratch_load_b128 v[38:41], off, off offset:768
	scratch_load_b128 v[149:152], off, off offset:784
	s_mov_b32 s0, exec_lo
	s_wait_loadcnt_dscnt 0x901
	v_mul_f64_e32 v[153:154], v[36:37], v[4:5]
	v_mul_f64_e32 v[4:5], v[34:35], v[4:5]
	s_wait_loadcnt_dscnt 0x800
	v_mul_f64_e32 v[155:156], v[145:146], v[8:9]
	v_mul_f64_e32 v[8:9], v[147:148], v[8:9]
	s_delay_alu instid0(VALU_DEP_4) | instskip(NEXT) | instid1(VALU_DEP_4)
	v_fma_f64 v[153:154], v[34:35], v[2:3], -v[153:154]
	v_fma_f64 v[157:158], v[36:37], v[2:3], v[4:5]
	ds_load_b128 v[2:5], v1 offset:1472
	scratch_load_b128 v[34:37], off, off offset:800
	v_fma_f64 v[155:156], v[147:148], v[6:7], v[155:156]
	v_fma_f64 v[161:162], v[145:146], v[6:7], -v[8:9]
	ds_load_b128 v[6:9], v1 offset:1488
	scratch_load_b128 v[145:148], off, off offset:816
	s_wait_loadcnt_dscnt 0x901
	v_mul_f64_e32 v[159:160], v[2:3], v[12:13]
	v_mul_f64_e32 v[12:13], v[4:5], v[12:13]
	s_wait_loadcnt_dscnt 0x800
	v_mul_f64_e32 v[163:164], v[6:7], v[16:17]
	v_mul_f64_e32 v[16:17], v[8:9], v[16:17]
	v_add_f64_e32 v[153:154], 0, v[153:154]
	v_add_f64_e32 v[157:158], 0, v[157:158]
	v_fma_f64 v[159:160], v[4:5], v[10:11], v[159:160]
	v_fma_f64 v[10:11], v[2:3], v[10:11], -v[12:13]
	ds_load_b128 v[2:5], v1 offset:1504
	v_add_f64_e32 v[12:13], v[153:154], v[161:162]
	v_add_f64_e32 v[153:154], v[157:158], v[155:156]
	v_fma_f64 v[157:158], v[8:9], v[14:15], v[163:164]
	v_fma_f64 v[14:15], v[6:7], v[14:15], -v[16:17]
	ds_load_b128 v[6:9], v1 offset:1520
	s_wait_loadcnt_dscnt 0x701
	v_mul_f64_e32 v[155:156], v[2:3], v[20:21]
	v_mul_f64_e32 v[20:21], v[4:5], v[20:21]
	s_wait_loadcnt_dscnt 0x600
	v_mul_f64_e32 v[16:17], v[6:7], v[24:25]
	v_mul_f64_e32 v[24:25], v[8:9], v[24:25]
	v_add_f64_e32 v[10:11], v[12:13], v[10:11]
	v_add_f64_e32 v[12:13], v[153:154], v[159:160]
	v_fma_f64 v[153:154], v[4:5], v[18:19], v[155:156]
	v_fma_f64 v[18:19], v[2:3], v[18:19], -v[20:21]
	ds_load_b128 v[2:5], v1 offset:1536
	v_fma_f64 v[16:17], v[8:9], v[22:23], v[16:17]
	v_fma_f64 v[22:23], v[6:7], v[22:23], -v[24:25]
	ds_load_b128 v[6:9], v1 offset:1552
	s_wait_loadcnt_dscnt 0x501
	v_mul_f64_e32 v[155:156], v[2:3], v[28:29]
	v_mul_f64_e32 v[28:29], v[4:5], v[28:29]
	v_add_f64_e32 v[14:15], v[10:11], v[14:15]
	v_add_f64_e32 v[20:21], v[12:13], v[157:158]
	scratch_load_b128 v[10:13], off, off offset:624
	s_wait_loadcnt_dscnt 0x500
	v_mul_f64_e32 v[24:25], v[8:9], v[32:33]
	v_add_f64_e32 v[14:15], v[14:15], v[18:19]
	v_add_f64_e32 v[18:19], v[20:21], v[153:154]
	v_mul_f64_e32 v[20:21], v[6:7], v[32:33]
	v_fma_f64 v[32:33], v[4:5], v[26:27], v[155:156]
	v_fma_f64 v[26:27], v[2:3], v[26:27], -v[28:29]
	ds_load_b128 v[2:5], v1 offset:1568
	v_fma_f64 v[24:25], v[6:7], v[30:31], -v[24:25]
	v_add_f64_e32 v[14:15], v[14:15], v[22:23]
	v_add_f64_e32 v[16:17], v[18:19], v[16:17]
	v_fma_f64 v[20:21], v[8:9], v[30:31], v[20:21]
	ds_load_b128 v[6:9], v1 offset:1584
	s_wait_loadcnt_dscnt 0x401
	v_mul_f64_e32 v[18:19], v[2:3], v[40:41]
	v_mul_f64_e32 v[22:23], v[4:5], v[40:41]
	s_wait_loadcnt_dscnt 0x300
	v_mul_f64_e32 v[28:29], v[8:9], v[151:152]
	v_add_f64_e32 v[14:15], v[14:15], v[26:27]
	v_add_f64_e32 v[16:17], v[16:17], v[32:33]
	v_mul_f64_e32 v[26:27], v[6:7], v[151:152]
	v_fma_f64 v[18:19], v[4:5], v[38:39], v[18:19]
	v_fma_f64 v[22:23], v[2:3], v[38:39], -v[22:23]
	ds_load_b128 v[2:5], v1 offset:1600
	v_fma_f64 v[28:29], v[6:7], v[149:150], -v[28:29]
	v_add_f64_e32 v[14:15], v[14:15], v[24:25]
	v_add_f64_e32 v[16:17], v[16:17], v[20:21]
	v_fma_f64 v[26:27], v[8:9], v[149:150], v[26:27]
	ds_load_b128 v[6:9], v1 offset:1616
	s_wait_loadcnt_dscnt 0x201
	v_mul_f64_e32 v[20:21], v[2:3], v[36:37]
	v_mul_f64_e32 v[24:25], v[4:5], v[36:37]
	v_add_f64_e32 v[14:15], v[14:15], v[22:23]
	v_add_f64_e32 v[16:17], v[16:17], v[18:19]
	s_wait_loadcnt_dscnt 0x100
	v_mul_f64_e32 v[18:19], v[6:7], v[147:148]
	v_mul_f64_e32 v[22:23], v[8:9], v[147:148]
	v_fma_f64 v[4:5], v[4:5], v[34:35], v[20:21]
	v_fma_f64 v[1:2], v[2:3], v[34:35], -v[24:25]
	v_add_f64_e32 v[14:15], v[14:15], v[28:29]
	v_add_f64_e32 v[16:17], v[16:17], v[26:27]
	v_fma_f64 v[8:9], v[8:9], v[145:146], v[18:19]
	v_fma_f64 v[6:7], v[6:7], v[145:146], -v[22:23]
	s_delay_alu instid0(VALU_DEP_4) | instskip(NEXT) | instid1(VALU_DEP_4)
	v_add_f64_e32 v[1:2], v[14:15], v[1:2]
	v_add_f64_e32 v[3:4], v[16:17], v[4:5]
	s_delay_alu instid0(VALU_DEP_2) | instskip(NEXT) | instid1(VALU_DEP_2)
	v_add_f64_e32 v[1:2], v[1:2], v[6:7]
	v_add_f64_e32 v[3:4], v[3:4], v[8:9]
	s_wait_loadcnt 0x0
	s_delay_alu instid0(VALU_DEP_2) | instskip(NEXT) | instid1(VALU_DEP_2)
	v_add_f64_e64 v[1:2], v[10:11], -v[1:2]
	v_add_f64_e64 v[3:4], v[12:13], -v[3:4]
	scratch_store_b128 off, v[1:4], off offset:624
	v_cmpx_lt_u32_e32 37, v0
	s_cbranch_execz .LBB50_245
; %bb.244:
	scratch_load_b128 v[1:4], off, s21
	v_mov_b32_e32 v5, 0
	s_delay_alu instid0(VALU_DEP_1)
	v_dual_mov_b32 v6, v5 :: v_dual_mov_b32 v7, v5
	v_mov_b32_e32 v8, v5
	scratch_store_b128 off, v[5:8], off offset:608
	s_wait_loadcnt 0x0
	ds_store_b128 v144, v[1:4]
.LBB50_245:
	s_wait_alu 0xfffe
	s_or_b32 exec_lo, exec_lo, s0
	s_wait_storecnt_dscnt 0x0
	s_barrier_signal -1
	s_barrier_wait -1
	global_inv scope:SCOPE_SE
	s_clause 0x7
	scratch_load_b128 v[2:5], off, off offset:624
	scratch_load_b128 v[6:9], off, off offset:640
	;; [unrolled: 1-line block ×8, first 2 shown]
	v_mov_b32_e32 v1, 0
	s_clause 0x1
	scratch_load_b128 v[38:41], off, off offset:752
	scratch_load_b128 v[149:152], off, off offset:768
	s_mov_b32 s0, exec_lo
	ds_load_b128 v[34:37], v1 offset:1424
	ds_load_b128 v[145:148], v1 offset:1440
	s_wait_loadcnt_dscnt 0x901
	v_mul_f64_e32 v[153:154], v[36:37], v[4:5]
	v_mul_f64_e32 v[4:5], v[34:35], v[4:5]
	s_wait_loadcnt_dscnt 0x800
	v_mul_f64_e32 v[155:156], v[145:146], v[8:9]
	v_mul_f64_e32 v[8:9], v[147:148], v[8:9]
	s_delay_alu instid0(VALU_DEP_4) | instskip(NEXT) | instid1(VALU_DEP_4)
	v_fma_f64 v[153:154], v[34:35], v[2:3], -v[153:154]
	v_fma_f64 v[157:158], v[36:37], v[2:3], v[4:5]
	ds_load_b128 v[2:5], v1 offset:1456
	scratch_load_b128 v[34:37], off, off offset:784
	v_fma_f64 v[155:156], v[147:148], v[6:7], v[155:156]
	v_fma_f64 v[161:162], v[145:146], v[6:7], -v[8:9]
	ds_load_b128 v[6:9], v1 offset:1472
	scratch_load_b128 v[145:148], off, off offset:800
	s_wait_loadcnt_dscnt 0x901
	v_mul_f64_e32 v[159:160], v[2:3], v[12:13]
	v_mul_f64_e32 v[12:13], v[4:5], v[12:13]
	s_wait_loadcnt_dscnt 0x800
	v_mul_f64_e32 v[163:164], v[6:7], v[16:17]
	v_mul_f64_e32 v[16:17], v[8:9], v[16:17]
	v_add_f64_e32 v[153:154], 0, v[153:154]
	v_add_f64_e32 v[157:158], 0, v[157:158]
	v_fma_f64 v[159:160], v[4:5], v[10:11], v[159:160]
	v_fma_f64 v[165:166], v[2:3], v[10:11], -v[12:13]
	ds_load_b128 v[2:5], v1 offset:1488
	scratch_load_b128 v[10:13], off, off offset:816
	v_add_f64_e32 v[153:154], v[153:154], v[161:162]
	v_add_f64_e32 v[155:156], v[157:158], v[155:156]
	v_fma_f64 v[161:162], v[8:9], v[14:15], v[163:164]
	v_fma_f64 v[14:15], v[6:7], v[14:15], -v[16:17]
	ds_load_b128 v[6:9], v1 offset:1504
	s_wait_loadcnt_dscnt 0x801
	v_mul_f64_e32 v[157:158], v[2:3], v[20:21]
	v_mul_f64_e32 v[20:21], v[4:5], v[20:21]
	v_add_f64_e32 v[16:17], v[153:154], v[165:166]
	v_add_f64_e32 v[153:154], v[155:156], v[159:160]
	s_wait_loadcnt_dscnt 0x700
	v_mul_f64_e32 v[155:156], v[6:7], v[24:25]
	v_mul_f64_e32 v[24:25], v[8:9], v[24:25]
	v_fma_f64 v[157:158], v[4:5], v[18:19], v[157:158]
	v_fma_f64 v[18:19], v[2:3], v[18:19], -v[20:21]
	ds_load_b128 v[2:5], v1 offset:1520
	v_add_f64_e32 v[14:15], v[16:17], v[14:15]
	v_add_f64_e32 v[16:17], v[153:154], v[161:162]
	v_fma_f64 v[153:154], v[8:9], v[22:23], v[155:156]
	v_fma_f64 v[22:23], v[6:7], v[22:23], -v[24:25]
	ds_load_b128 v[6:9], v1 offset:1536
	s_wait_loadcnt_dscnt 0x601
	v_mul_f64_e32 v[20:21], v[2:3], v[28:29]
	v_mul_f64_e32 v[28:29], v[4:5], v[28:29]
	s_wait_loadcnt_dscnt 0x500
	v_mul_f64_e32 v[155:156], v[6:7], v[32:33]
	v_mul_f64_e32 v[32:33], v[8:9], v[32:33]
	v_add_f64_e32 v[18:19], v[14:15], v[18:19]
	v_add_f64_e32 v[24:25], v[16:17], v[157:158]
	scratch_load_b128 v[14:17], off, off offset:608
	v_fma_f64 v[20:21], v[4:5], v[26:27], v[20:21]
	v_fma_f64 v[26:27], v[2:3], v[26:27], -v[28:29]
	ds_load_b128 v[2:5], v1 offset:1552
	s_wait_loadcnt_dscnt 0x500
	v_mul_f64_e32 v[28:29], v[4:5], v[40:41]
	v_add_f64_e32 v[18:19], v[18:19], v[22:23]
	v_add_f64_e32 v[22:23], v[24:25], v[153:154]
	v_mul_f64_e32 v[24:25], v[2:3], v[40:41]
	v_fma_f64 v[40:41], v[8:9], v[30:31], v[155:156]
	v_fma_f64 v[30:31], v[6:7], v[30:31], -v[32:33]
	ds_load_b128 v[6:9], v1 offset:1568
	v_fma_f64 v[28:29], v[2:3], v[38:39], -v[28:29]
	v_add_f64_e32 v[18:19], v[18:19], v[26:27]
	v_add_f64_e32 v[20:21], v[22:23], v[20:21]
	v_fma_f64 v[24:25], v[4:5], v[38:39], v[24:25]
	ds_load_b128 v[2:5], v1 offset:1584
	s_wait_loadcnt_dscnt 0x401
	v_mul_f64_e32 v[22:23], v[6:7], v[151:152]
	v_mul_f64_e32 v[26:27], v[8:9], v[151:152]
	v_add_f64_e32 v[18:19], v[18:19], v[30:31]
	v_add_f64_e32 v[20:21], v[20:21], v[40:41]
	s_delay_alu instid0(VALU_DEP_4) | instskip(NEXT) | instid1(VALU_DEP_4)
	v_fma_f64 v[22:23], v[8:9], v[149:150], v[22:23]
	v_fma_f64 v[26:27], v[6:7], v[149:150], -v[26:27]
	ds_load_b128 v[6:9], v1 offset:1600
	s_wait_loadcnt_dscnt 0x301
	v_mul_f64_e32 v[30:31], v[2:3], v[36:37]
	v_mul_f64_e32 v[32:33], v[4:5], v[36:37]
	v_add_f64_e32 v[18:19], v[18:19], v[28:29]
	v_add_f64_e32 v[20:21], v[20:21], v[24:25]
	s_delay_alu instid0(VALU_DEP_4) | instskip(NEXT) | instid1(VALU_DEP_4)
	v_fma_f64 v[30:31], v[4:5], v[34:35], v[30:31]
	v_fma_f64 v[32:33], v[2:3], v[34:35], -v[32:33]
	ds_load_b128 v[2:5], v1 offset:1616
	s_wait_loadcnt_dscnt 0x201
	v_mul_f64_e32 v[24:25], v[6:7], v[147:148]
	v_mul_f64_e32 v[28:29], v[8:9], v[147:148]
	v_add_f64_e32 v[18:19], v[18:19], v[26:27]
	v_add_f64_e32 v[20:21], v[20:21], v[22:23]
	s_wait_loadcnt_dscnt 0x100
	v_mul_f64_e32 v[22:23], v[2:3], v[12:13]
	v_mul_f64_e32 v[12:13], v[4:5], v[12:13]
	v_fma_f64 v[8:9], v[8:9], v[145:146], v[24:25]
	v_fma_f64 v[6:7], v[6:7], v[145:146], -v[28:29]
	v_add_f64_e32 v[18:19], v[18:19], v[32:33]
	v_add_f64_e32 v[20:21], v[20:21], v[30:31]
	v_fma_f64 v[4:5], v[4:5], v[10:11], v[22:23]
	v_fma_f64 v[2:3], v[2:3], v[10:11], -v[12:13]
	s_delay_alu instid0(VALU_DEP_4) | instskip(NEXT) | instid1(VALU_DEP_4)
	v_add_f64_e32 v[6:7], v[18:19], v[6:7]
	v_add_f64_e32 v[8:9], v[20:21], v[8:9]
	s_delay_alu instid0(VALU_DEP_2) | instskip(NEXT) | instid1(VALU_DEP_2)
	v_add_f64_e32 v[2:3], v[6:7], v[2:3]
	v_add_f64_e32 v[4:5], v[8:9], v[4:5]
	s_wait_loadcnt 0x0
	s_delay_alu instid0(VALU_DEP_2) | instskip(NEXT) | instid1(VALU_DEP_2)
	v_add_f64_e64 v[2:3], v[14:15], -v[2:3]
	v_add_f64_e64 v[4:5], v[16:17], -v[4:5]
	scratch_store_b128 off, v[2:5], off offset:608
	v_cmpx_lt_u32_e32 36, v0
	s_cbranch_execz .LBB50_247
; %bb.246:
	scratch_load_b128 v[5:8], off, s23
	v_dual_mov_b32 v2, v1 :: v_dual_mov_b32 v3, v1
	v_mov_b32_e32 v4, v1
	scratch_store_b128 off, v[1:4], off offset:592
	s_wait_loadcnt 0x0
	ds_store_b128 v144, v[5:8]
.LBB50_247:
	s_wait_alu 0xfffe
	s_or_b32 exec_lo, exec_lo, s0
	s_wait_storecnt_dscnt 0x0
	s_barrier_signal -1
	s_barrier_wait -1
	global_inv scope:SCOPE_SE
	s_clause 0x7
	scratch_load_b128 v[2:5], off, off offset:608
	scratch_load_b128 v[6:9], off, off offset:624
	;; [unrolled: 1-line block ×8, first 2 shown]
	ds_load_b128 v[34:37], v1 offset:1408
	ds_load_b128 v[145:148], v1 offset:1424
	s_clause 0x1
	scratch_load_b128 v[38:41], off, off offset:736
	scratch_load_b128 v[149:152], off, off offset:752
	s_mov_b32 s0, exec_lo
	s_wait_loadcnt_dscnt 0x901
	v_mul_f64_e32 v[153:154], v[36:37], v[4:5]
	v_mul_f64_e32 v[4:5], v[34:35], v[4:5]
	s_wait_loadcnt_dscnt 0x800
	v_mul_f64_e32 v[155:156], v[145:146], v[8:9]
	v_mul_f64_e32 v[8:9], v[147:148], v[8:9]
	s_delay_alu instid0(VALU_DEP_4) | instskip(NEXT) | instid1(VALU_DEP_4)
	v_fma_f64 v[153:154], v[34:35], v[2:3], -v[153:154]
	v_fma_f64 v[157:158], v[36:37], v[2:3], v[4:5]
	ds_load_b128 v[2:5], v1 offset:1440
	scratch_load_b128 v[34:37], off, off offset:768
	v_fma_f64 v[155:156], v[147:148], v[6:7], v[155:156]
	v_fma_f64 v[161:162], v[145:146], v[6:7], -v[8:9]
	ds_load_b128 v[6:9], v1 offset:1456
	scratch_load_b128 v[145:148], off, off offset:784
	s_wait_loadcnt_dscnt 0x901
	v_mul_f64_e32 v[159:160], v[2:3], v[12:13]
	v_mul_f64_e32 v[12:13], v[4:5], v[12:13]
	s_wait_loadcnt_dscnt 0x800
	v_mul_f64_e32 v[163:164], v[6:7], v[16:17]
	v_mul_f64_e32 v[16:17], v[8:9], v[16:17]
	v_add_f64_e32 v[153:154], 0, v[153:154]
	v_add_f64_e32 v[157:158], 0, v[157:158]
	v_fma_f64 v[159:160], v[4:5], v[10:11], v[159:160]
	v_fma_f64 v[165:166], v[2:3], v[10:11], -v[12:13]
	ds_load_b128 v[2:5], v1 offset:1472
	scratch_load_b128 v[10:13], off, off offset:800
	v_add_f64_e32 v[153:154], v[153:154], v[161:162]
	v_add_f64_e32 v[155:156], v[157:158], v[155:156]
	v_fma_f64 v[161:162], v[8:9], v[14:15], v[163:164]
	v_fma_f64 v[163:164], v[6:7], v[14:15], -v[16:17]
	ds_load_b128 v[6:9], v1 offset:1488
	scratch_load_b128 v[14:17], off, off offset:816
	s_wait_loadcnt_dscnt 0x901
	v_mul_f64_e32 v[157:158], v[2:3], v[20:21]
	v_mul_f64_e32 v[20:21], v[4:5], v[20:21]
	v_add_f64_e32 v[153:154], v[153:154], v[165:166]
	v_add_f64_e32 v[155:156], v[155:156], v[159:160]
	s_wait_loadcnt_dscnt 0x800
	v_mul_f64_e32 v[159:160], v[6:7], v[24:25]
	v_mul_f64_e32 v[24:25], v[8:9], v[24:25]
	v_fma_f64 v[157:158], v[4:5], v[18:19], v[157:158]
	v_fma_f64 v[18:19], v[2:3], v[18:19], -v[20:21]
	ds_load_b128 v[2:5], v1 offset:1504
	v_add_f64_e32 v[20:21], v[153:154], v[163:164]
	v_add_f64_e32 v[153:154], v[155:156], v[161:162]
	v_fma_f64 v[159:160], v[8:9], v[22:23], v[159:160]
	v_fma_f64 v[22:23], v[6:7], v[22:23], -v[24:25]
	ds_load_b128 v[6:9], v1 offset:1520
	s_wait_loadcnt_dscnt 0x701
	v_mul_f64_e32 v[155:156], v[2:3], v[28:29]
	v_mul_f64_e32 v[28:29], v[4:5], v[28:29]
	s_wait_loadcnt_dscnt 0x600
	v_mul_f64_e32 v[24:25], v[6:7], v[32:33]
	v_mul_f64_e32 v[32:33], v[8:9], v[32:33]
	v_add_f64_e32 v[18:19], v[20:21], v[18:19]
	v_add_f64_e32 v[20:21], v[153:154], v[157:158]
	v_fma_f64 v[153:154], v[4:5], v[26:27], v[155:156]
	v_fma_f64 v[26:27], v[2:3], v[26:27], -v[28:29]
	ds_load_b128 v[2:5], v1 offset:1536
	v_fma_f64 v[24:25], v[8:9], v[30:31], v[24:25]
	v_fma_f64 v[30:31], v[6:7], v[30:31], -v[32:33]
	ds_load_b128 v[6:9], v1 offset:1552
	v_add_f64_e32 v[22:23], v[18:19], v[22:23]
	v_add_f64_e32 v[28:29], v[20:21], v[159:160]
	scratch_load_b128 v[18:21], off, off offset:592
	s_wait_loadcnt_dscnt 0x601
	v_mul_f64_e32 v[155:156], v[2:3], v[40:41]
	v_mul_f64_e32 v[40:41], v[4:5], v[40:41]
	s_wait_loadcnt_dscnt 0x500
	v_mul_f64_e32 v[32:33], v[8:9], v[151:152]
	v_add_f64_e32 v[22:23], v[22:23], v[26:27]
	v_add_f64_e32 v[26:27], v[28:29], v[153:154]
	v_mul_f64_e32 v[28:29], v[6:7], v[151:152]
	v_fma_f64 v[151:152], v[4:5], v[38:39], v[155:156]
	v_fma_f64 v[38:39], v[2:3], v[38:39], -v[40:41]
	ds_load_b128 v[2:5], v1 offset:1568
	v_fma_f64 v[32:33], v[6:7], v[149:150], -v[32:33]
	v_add_f64_e32 v[22:23], v[22:23], v[30:31]
	v_add_f64_e32 v[24:25], v[26:27], v[24:25]
	v_fma_f64 v[28:29], v[8:9], v[149:150], v[28:29]
	ds_load_b128 v[6:9], v1 offset:1584
	s_wait_loadcnt_dscnt 0x401
	v_mul_f64_e32 v[26:27], v[2:3], v[36:37]
	v_mul_f64_e32 v[30:31], v[4:5], v[36:37]
	s_wait_loadcnt_dscnt 0x300
	v_mul_f64_e32 v[36:37], v[6:7], v[147:148]
	v_add_f64_e32 v[22:23], v[22:23], v[38:39]
	v_add_f64_e32 v[24:25], v[24:25], v[151:152]
	v_mul_f64_e32 v[38:39], v[8:9], v[147:148]
	v_fma_f64 v[26:27], v[4:5], v[34:35], v[26:27]
	v_fma_f64 v[30:31], v[2:3], v[34:35], -v[30:31]
	ds_load_b128 v[2:5], v1 offset:1600
	v_add_f64_e32 v[22:23], v[22:23], v[32:33]
	v_add_f64_e32 v[24:25], v[24:25], v[28:29]
	v_fma_f64 v[32:33], v[8:9], v[145:146], v[36:37]
	v_fma_f64 v[34:35], v[6:7], v[145:146], -v[38:39]
	ds_load_b128 v[6:9], v1 offset:1616
	s_wait_loadcnt_dscnt 0x201
	v_mul_f64_e32 v[28:29], v[2:3], v[12:13]
	v_mul_f64_e32 v[12:13], v[4:5], v[12:13]
	v_add_f64_e32 v[22:23], v[22:23], v[30:31]
	v_add_f64_e32 v[24:25], v[24:25], v[26:27]
	s_wait_loadcnt_dscnt 0x100
	v_mul_f64_e32 v[26:27], v[6:7], v[16:17]
	v_mul_f64_e32 v[16:17], v[8:9], v[16:17]
	v_fma_f64 v[4:5], v[4:5], v[10:11], v[28:29]
	v_fma_f64 v[1:2], v[2:3], v[10:11], -v[12:13]
	v_add_f64_e32 v[10:11], v[22:23], v[34:35]
	v_add_f64_e32 v[12:13], v[24:25], v[32:33]
	v_fma_f64 v[8:9], v[8:9], v[14:15], v[26:27]
	v_fma_f64 v[6:7], v[6:7], v[14:15], -v[16:17]
	s_delay_alu instid0(VALU_DEP_4) | instskip(NEXT) | instid1(VALU_DEP_4)
	v_add_f64_e32 v[1:2], v[10:11], v[1:2]
	v_add_f64_e32 v[3:4], v[12:13], v[4:5]
	s_delay_alu instid0(VALU_DEP_2) | instskip(NEXT) | instid1(VALU_DEP_2)
	v_add_f64_e32 v[1:2], v[1:2], v[6:7]
	v_add_f64_e32 v[3:4], v[3:4], v[8:9]
	s_wait_loadcnt 0x0
	s_delay_alu instid0(VALU_DEP_2) | instskip(NEXT) | instid1(VALU_DEP_2)
	v_add_f64_e64 v[1:2], v[18:19], -v[1:2]
	v_add_f64_e64 v[3:4], v[20:21], -v[3:4]
	scratch_store_b128 off, v[1:4], off offset:592
	v_cmpx_lt_u32_e32 35, v0
	s_cbranch_execz .LBB50_249
; %bb.248:
	scratch_load_b128 v[1:4], off, s24
	v_mov_b32_e32 v5, 0
	s_delay_alu instid0(VALU_DEP_1)
	v_dual_mov_b32 v6, v5 :: v_dual_mov_b32 v7, v5
	v_mov_b32_e32 v8, v5
	scratch_store_b128 off, v[5:8], off offset:576
	s_wait_loadcnt 0x0
	ds_store_b128 v144, v[1:4]
.LBB50_249:
	s_wait_alu 0xfffe
	s_or_b32 exec_lo, exec_lo, s0
	s_wait_storecnt_dscnt 0x0
	s_barrier_signal -1
	s_barrier_wait -1
	global_inv scope:SCOPE_SE
	s_clause 0x7
	scratch_load_b128 v[2:5], off, off offset:592
	scratch_load_b128 v[6:9], off, off offset:608
	;; [unrolled: 1-line block ×8, first 2 shown]
	v_mov_b32_e32 v1, 0
	s_clause 0x1
	scratch_load_b128 v[38:41], off, off offset:720
	scratch_load_b128 v[149:152], off, off offset:736
	s_mov_b32 s0, exec_lo
	ds_load_b128 v[34:37], v1 offset:1392
	ds_load_b128 v[145:148], v1 offset:1408
	s_wait_loadcnt_dscnt 0x901
	v_mul_f64_e32 v[153:154], v[36:37], v[4:5]
	v_mul_f64_e32 v[4:5], v[34:35], v[4:5]
	s_wait_loadcnt_dscnt 0x800
	v_mul_f64_e32 v[155:156], v[145:146], v[8:9]
	v_mul_f64_e32 v[8:9], v[147:148], v[8:9]
	s_delay_alu instid0(VALU_DEP_4) | instskip(NEXT) | instid1(VALU_DEP_4)
	v_fma_f64 v[153:154], v[34:35], v[2:3], -v[153:154]
	v_fma_f64 v[157:158], v[36:37], v[2:3], v[4:5]
	ds_load_b128 v[2:5], v1 offset:1424
	scratch_load_b128 v[34:37], off, off offset:752
	v_fma_f64 v[155:156], v[147:148], v[6:7], v[155:156]
	v_fma_f64 v[161:162], v[145:146], v[6:7], -v[8:9]
	ds_load_b128 v[6:9], v1 offset:1440
	scratch_load_b128 v[145:148], off, off offset:768
	s_wait_loadcnt_dscnt 0x901
	v_mul_f64_e32 v[159:160], v[2:3], v[12:13]
	v_mul_f64_e32 v[12:13], v[4:5], v[12:13]
	s_wait_loadcnt_dscnt 0x800
	v_mul_f64_e32 v[163:164], v[6:7], v[16:17]
	v_mul_f64_e32 v[16:17], v[8:9], v[16:17]
	v_add_f64_e32 v[153:154], 0, v[153:154]
	v_add_f64_e32 v[157:158], 0, v[157:158]
	v_fma_f64 v[159:160], v[4:5], v[10:11], v[159:160]
	v_fma_f64 v[165:166], v[2:3], v[10:11], -v[12:13]
	ds_load_b128 v[2:5], v1 offset:1456
	scratch_load_b128 v[10:13], off, off offset:784
	v_add_f64_e32 v[153:154], v[153:154], v[161:162]
	v_add_f64_e32 v[155:156], v[157:158], v[155:156]
	v_fma_f64 v[161:162], v[8:9], v[14:15], v[163:164]
	v_fma_f64 v[163:164], v[6:7], v[14:15], -v[16:17]
	ds_load_b128 v[6:9], v1 offset:1472
	scratch_load_b128 v[14:17], off, off offset:800
	s_wait_loadcnt_dscnt 0x901
	v_mul_f64_e32 v[157:158], v[2:3], v[20:21]
	v_mul_f64_e32 v[20:21], v[4:5], v[20:21]
	v_add_f64_e32 v[153:154], v[153:154], v[165:166]
	v_add_f64_e32 v[155:156], v[155:156], v[159:160]
	s_wait_loadcnt_dscnt 0x800
	v_mul_f64_e32 v[159:160], v[6:7], v[24:25]
	v_mul_f64_e32 v[24:25], v[8:9], v[24:25]
	v_fma_f64 v[157:158], v[4:5], v[18:19], v[157:158]
	v_fma_f64 v[165:166], v[2:3], v[18:19], -v[20:21]
	ds_load_b128 v[2:5], v1 offset:1488
	scratch_load_b128 v[18:21], off, off offset:816
	v_add_f64_e32 v[153:154], v[153:154], v[163:164]
	v_add_f64_e32 v[155:156], v[155:156], v[161:162]
	v_fma_f64 v[159:160], v[8:9], v[22:23], v[159:160]
	v_fma_f64 v[22:23], v[6:7], v[22:23], -v[24:25]
	ds_load_b128 v[6:9], v1 offset:1504
	s_wait_loadcnt_dscnt 0x801
	v_mul_f64_e32 v[161:162], v[2:3], v[28:29]
	v_mul_f64_e32 v[28:29], v[4:5], v[28:29]
	v_add_f64_e32 v[24:25], v[153:154], v[165:166]
	v_add_f64_e32 v[153:154], v[155:156], v[157:158]
	s_wait_loadcnt_dscnt 0x700
	v_mul_f64_e32 v[155:156], v[6:7], v[32:33]
	v_mul_f64_e32 v[32:33], v[8:9], v[32:33]
	v_fma_f64 v[157:158], v[4:5], v[26:27], v[161:162]
	v_fma_f64 v[26:27], v[2:3], v[26:27], -v[28:29]
	ds_load_b128 v[2:5], v1 offset:1520
	v_add_f64_e32 v[22:23], v[24:25], v[22:23]
	v_add_f64_e32 v[24:25], v[153:154], v[159:160]
	v_fma_f64 v[153:154], v[8:9], v[30:31], v[155:156]
	v_fma_f64 v[30:31], v[6:7], v[30:31], -v[32:33]
	ds_load_b128 v[6:9], v1 offset:1536
	s_wait_loadcnt_dscnt 0x500
	v_mul_f64_e32 v[155:156], v[6:7], v[151:152]
	v_mul_f64_e32 v[151:152], v[8:9], v[151:152]
	v_add_f64_e32 v[26:27], v[22:23], v[26:27]
	v_add_f64_e32 v[32:33], v[24:25], v[157:158]
	scratch_load_b128 v[22:25], off, off offset:576
	v_mul_f64_e32 v[28:29], v[2:3], v[40:41]
	v_mul_f64_e32 v[40:41], v[4:5], v[40:41]
	v_add_f64_e32 v[26:27], v[26:27], v[30:31]
	v_add_f64_e32 v[30:31], v[32:33], v[153:154]
	s_delay_alu instid0(VALU_DEP_4) | instskip(NEXT) | instid1(VALU_DEP_4)
	v_fma_f64 v[28:29], v[4:5], v[38:39], v[28:29]
	v_fma_f64 v[38:39], v[2:3], v[38:39], -v[40:41]
	ds_load_b128 v[2:5], v1 offset:1552
	v_fma_f64 v[40:41], v[8:9], v[149:150], v[155:156]
	v_fma_f64 v[149:150], v[6:7], v[149:150], -v[151:152]
	ds_load_b128 v[6:9], v1 offset:1568
	s_wait_loadcnt_dscnt 0x501
	v_mul_f64_e32 v[32:33], v[2:3], v[36:37]
	v_mul_f64_e32 v[36:37], v[4:5], v[36:37]
	v_add_f64_e32 v[28:29], v[30:31], v[28:29]
	v_add_f64_e32 v[26:27], v[26:27], v[38:39]
	s_wait_loadcnt_dscnt 0x400
	v_mul_f64_e32 v[30:31], v[6:7], v[147:148]
	v_mul_f64_e32 v[38:39], v[8:9], v[147:148]
	v_fma_f64 v[32:33], v[4:5], v[34:35], v[32:33]
	v_fma_f64 v[34:35], v[2:3], v[34:35], -v[36:37]
	ds_load_b128 v[2:5], v1 offset:1584
	v_add_f64_e32 v[28:29], v[28:29], v[40:41]
	v_add_f64_e32 v[26:27], v[26:27], v[149:150]
	v_fma_f64 v[30:31], v[8:9], v[145:146], v[30:31]
	v_fma_f64 v[38:39], v[6:7], v[145:146], -v[38:39]
	ds_load_b128 v[6:9], v1 offset:1600
	s_wait_loadcnt_dscnt 0x301
	v_mul_f64_e32 v[36:37], v[2:3], v[12:13]
	v_mul_f64_e32 v[12:13], v[4:5], v[12:13]
	v_add_f64_e32 v[28:29], v[28:29], v[32:33]
	v_add_f64_e32 v[26:27], v[26:27], v[34:35]
	s_wait_loadcnt_dscnt 0x200
	v_mul_f64_e32 v[32:33], v[6:7], v[16:17]
	v_mul_f64_e32 v[16:17], v[8:9], v[16:17]
	v_fma_f64 v[34:35], v[4:5], v[10:11], v[36:37]
	v_fma_f64 v[10:11], v[2:3], v[10:11], -v[12:13]
	ds_load_b128 v[2:5], v1 offset:1616
	v_add_f64_e32 v[12:13], v[26:27], v[38:39]
	v_add_f64_e32 v[26:27], v[28:29], v[30:31]
	s_wait_loadcnt_dscnt 0x100
	v_mul_f64_e32 v[28:29], v[2:3], v[20:21]
	v_mul_f64_e32 v[20:21], v[4:5], v[20:21]
	v_fma_f64 v[8:9], v[8:9], v[14:15], v[32:33]
	v_fma_f64 v[6:7], v[6:7], v[14:15], -v[16:17]
	v_add_f64_e32 v[10:11], v[12:13], v[10:11]
	v_add_f64_e32 v[12:13], v[26:27], v[34:35]
	v_fma_f64 v[4:5], v[4:5], v[18:19], v[28:29]
	v_fma_f64 v[2:3], v[2:3], v[18:19], -v[20:21]
	s_delay_alu instid0(VALU_DEP_4) | instskip(NEXT) | instid1(VALU_DEP_4)
	v_add_f64_e32 v[6:7], v[10:11], v[6:7]
	v_add_f64_e32 v[8:9], v[12:13], v[8:9]
	s_delay_alu instid0(VALU_DEP_2) | instskip(NEXT) | instid1(VALU_DEP_2)
	v_add_f64_e32 v[2:3], v[6:7], v[2:3]
	v_add_f64_e32 v[4:5], v[8:9], v[4:5]
	s_wait_loadcnt 0x0
	s_delay_alu instid0(VALU_DEP_2) | instskip(NEXT) | instid1(VALU_DEP_2)
	v_add_f64_e64 v[2:3], v[22:23], -v[2:3]
	v_add_f64_e64 v[4:5], v[24:25], -v[4:5]
	scratch_store_b128 off, v[2:5], off offset:576
	v_cmpx_lt_u32_e32 34, v0
	s_cbranch_execz .LBB50_251
; %bb.250:
	scratch_load_b128 v[5:8], off, s25
	v_dual_mov_b32 v2, v1 :: v_dual_mov_b32 v3, v1
	v_mov_b32_e32 v4, v1
	scratch_store_b128 off, v[1:4], off offset:560
	s_wait_loadcnt 0x0
	ds_store_b128 v144, v[5:8]
.LBB50_251:
	s_wait_alu 0xfffe
	s_or_b32 exec_lo, exec_lo, s0
	s_wait_storecnt_dscnt 0x0
	s_barrier_signal -1
	s_barrier_wait -1
	global_inv scope:SCOPE_SE
	s_clause 0x7
	scratch_load_b128 v[2:5], off, off offset:576
	scratch_load_b128 v[6:9], off, off offset:592
	;; [unrolled: 1-line block ×8, first 2 shown]
	ds_load_b128 v[34:37], v1 offset:1376
	ds_load_b128 v[145:148], v1 offset:1392
	s_clause 0x1
	scratch_load_b128 v[38:41], off, off offset:704
	scratch_load_b128 v[149:152], off, off offset:720
	s_mov_b32 s0, exec_lo
	s_wait_loadcnt_dscnt 0x901
	v_mul_f64_e32 v[153:154], v[36:37], v[4:5]
	v_mul_f64_e32 v[4:5], v[34:35], v[4:5]
	s_wait_loadcnt_dscnt 0x800
	v_mul_f64_e32 v[155:156], v[145:146], v[8:9]
	v_mul_f64_e32 v[8:9], v[147:148], v[8:9]
	s_delay_alu instid0(VALU_DEP_4) | instskip(NEXT) | instid1(VALU_DEP_4)
	v_fma_f64 v[153:154], v[34:35], v[2:3], -v[153:154]
	v_fma_f64 v[157:158], v[36:37], v[2:3], v[4:5]
	ds_load_b128 v[2:5], v1 offset:1408
	scratch_load_b128 v[34:37], off, off offset:736
	v_fma_f64 v[155:156], v[147:148], v[6:7], v[155:156]
	v_fma_f64 v[161:162], v[145:146], v[6:7], -v[8:9]
	ds_load_b128 v[6:9], v1 offset:1424
	scratch_load_b128 v[145:148], off, off offset:752
	s_wait_loadcnt_dscnt 0x901
	v_mul_f64_e32 v[159:160], v[2:3], v[12:13]
	v_mul_f64_e32 v[12:13], v[4:5], v[12:13]
	s_wait_loadcnt_dscnt 0x800
	v_mul_f64_e32 v[163:164], v[6:7], v[16:17]
	v_mul_f64_e32 v[16:17], v[8:9], v[16:17]
	v_add_f64_e32 v[153:154], 0, v[153:154]
	v_add_f64_e32 v[157:158], 0, v[157:158]
	v_fma_f64 v[159:160], v[4:5], v[10:11], v[159:160]
	v_fma_f64 v[165:166], v[2:3], v[10:11], -v[12:13]
	ds_load_b128 v[2:5], v1 offset:1440
	scratch_load_b128 v[10:13], off, off offset:768
	v_add_f64_e32 v[153:154], v[153:154], v[161:162]
	v_add_f64_e32 v[155:156], v[157:158], v[155:156]
	v_fma_f64 v[161:162], v[8:9], v[14:15], v[163:164]
	v_fma_f64 v[163:164], v[6:7], v[14:15], -v[16:17]
	ds_load_b128 v[6:9], v1 offset:1456
	scratch_load_b128 v[14:17], off, off offset:784
	s_wait_loadcnt_dscnt 0x901
	v_mul_f64_e32 v[157:158], v[2:3], v[20:21]
	v_mul_f64_e32 v[20:21], v[4:5], v[20:21]
	v_add_f64_e32 v[153:154], v[153:154], v[165:166]
	v_add_f64_e32 v[155:156], v[155:156], v[159:160]
	s_wait_loadcnt_dscnt 0x800
	v_mul_f64_e32 v[159:160], v[6:7], v[24:25]
	v_mul_f64_e32 v[24:25], v[8:9], v[24:25]
	v_fma_f64 v[157:158], v[4:5], v[18:19], v[157:158]
	v_fma_f64 v[165:166], v[2:3], v[18:19], -v[20:21]
	ds_load_b128 v[2:5], v1 offset:1472
	scratch_load_b128 v[18:21], off, off offset:800
	v_add_f64_e32 v[153:154], v[153:154], v[163:164]
	v_add_f64_e32 v[155:156], v[155:156], v[161:162]
	v_fma_f64 v[159:160], v[8:9], v[22:23], v[159:160]
	v_fma_f64 v[163:164], v[6:7], v[22:23], -v[24:25]
	ds_load_b128 v[6:9], v1 offset:1488
	s_wait_loadcnt_dscnt 0x801
	v_mul_f64_e32 v[161:162], v[2:3], v[28:29]
	v_mul_f64_e32 v[28:29], v[4:5], v[28:29]
	scratch_load_b128 v[22:25], off, off offset:816
	v_add_f64_e32 v[153:154], v[153:154], v[165:166]
	v_add_f64_e32 v[155:156], v[155:156], v[157:158]
	s_wait_loadcnt_dscnt 0x800
	v_mul_f64_e32 v[157:158], v[6:7], v[32:33]
	v_mul_f64_e32 v[32:33], v[8:9], v[32:33]
	v_fma_f64 v[161:162], v[4:5], v[26:27], v[161:162]
	v_fma_f64 v[26:27], v[2:3], v[26:27], -v[28:29]
	ds_load_b128 v[2:5], v1 offset:1504
	v_add_f64_e32 v[28:29], v[153:154], v[163:164]
	v_add_f64_e32 v[153:154], v[155:156], v[159:160]
	v_fma_f64 v[157:158], v[8:9], v[30:31], v[157:158]
	v_fma_f64 v[30:31], v[6:7], v[30:31], -v[32:33]
	ds_load_b128 v[6:9], v1 offset:1520
	s_wait_loadcnt_dscnt 0x701
	v_mul_f64_e32 v[155:156], v[2:3], v[40:41]
	v_mul_f64_e32 v[40:41], v[4:5], v[40:41]
	v_add_f64_e32 v[26:27], v[28:29], v[26:27]
	v_add_f64_e32 v[28:29], v[153:154], v[161:162]
	s_delay_alu instid0(VALU_DEP_4) | instskip(NEXT) | instid1(VALU_DEP_4)
	v_fma_f64 v[153:154], v[4:5], v[38:39], v[155:156]
	v_fma_f64 v[38:39], v[2:3], v[38:39], -v[40:41]
	ds_load_b128 v[2:5], v1 offset:1536
	v_add_f64_e32 v[30:31], v[26:27], v[30:31]
	v_add_f64_e32 v[40:41], v[28:29], v[157:158]
	scratch_load_b128 v[26:29], off, off offset:560
	s_wait_loadcnt_dscnt 0x701
	v_mul_f64_e32 v[32:33], v[6:7], v[151:152]
	v_mul_f64_e32 v[151:152], v[8:9], v[151:152]
	v_add_f64_e32 v[30:31], v[30:31], v[38:39]
	v_add_f64_e32 v[38:39], v[40:41], v[153:154]
	s_delay_alu instid0(VALU_DEP_4) | instskip(NEXT) | instid1(VALU_DEP_4)
	v_fma_f64 v[32:33], v[8:9], v[149:150], v[32:33]
	v_fma_f64 v[149:150], v[6:7], v[149:150], -v[151:152]
	ds_load_b128 v[6:9], v1 offset:1552
	s_wait_loadcnt_dscnt 0x601
	v_mul_f64_e32 v[155:156], v[2:3], v[36:37]
	v_mul_f64_e32 v[36:37], v[4:5], v[36:37]
	s_wait_loadcnt_dscnt 0x500
	v_mul_f64_e32 v[40:41], v[6:7], v[147:148]
	v_mul_f64_e32 v[147:148], v[8:9], v[147:148]
	v_add_f64_e32 v[32:33], v[38:39], v[32:33]
	v_add_f64_e32 v[30:31], v[30:31], v[149:150]
	v_fma_f64 v[151:152], v[4:5], v[34:35], v[155:156]
	v_fma_f64 v[34:35], v[2:3], v[34:35], -v[36:37]
	ds_load_b128 v[2:5], v1 offset:1568
	v_fma_f64 v[38:39], v[8:9], v[145:146], v[40:41]
	v_fma_f64 v[40:41], v[6:7], v[145:146], -v[147:148]
	ds_load_b128 v[6:9], v1 offset:1584
	s_wait_loadcnt_dscnt 0x401
	v_mul_f64_e32 v[36:37], v[2:3], v[12:13]
	v_mul_f64_e32 v[12:13], v[4:5], v[12:13]
	v_add_f64_e32 v[32:33], v[32:33], v[151:152]
	v_add_f64_e32 v[30:31], v[30:31], v[34:35]
	s_wait_loadcnt_dscnt 0x300
	v_mul_f64_e32 v[34:35], v[6:7], v[16:17]
	v_mul_f64_e32 v[16:17], v[8:9], v[16:17]
	v_fma_f64 v[36:37], v[4:5], v[10:11], v[36:37]
	v_fma_f64 v[10:11], v[2:3], v[10:11], -v[12:13]
	ds_load_b128 v[2:5], v1 offset:1600
	v_add_f64_e32 v[12:13], v[30:31], v[40:41]
	v_add_f64_e32 v[30:31], v[32:33], v[38:39]
	v_fma_f64 v[34:35], v[8:9], v[14:15], v[34:35]
	v_fma_f64 v[14:15], v[6:7], v[14:15], -v[16:17]
	ds_load_b128 v[6:9], v1 offset:1616
	s_wait_loadcnt_dscnt 0x201
	v_mul_f64_e32 v[32:33], v[2:3], v[20:21]
	v_mul_f64_e32 v[20:21], v[4:5], v[20:21]
	s_wait_loadcnt_dscnt 0x100
	v_mul_f64_e32 v[16:17], v[6:7], v[24:25]
	v_mul_f64_e32 v[24:25], v[8:9], v[24:25]
	v_add_f64_e32 v[10:11], v[12:13], v[10:11]
	v_add_f64_e32 v[12:13], v[30:31], v[36:37]
	v_fma_f64 v[4:5], v[4:5], v[18:19], v[32:33]
	v_fma_f64 v[1:2], v[2:3], v[18:19], -v[20:21]
	v_fma_f64 v[8:9], v[8:9], v[22:23], v[16:17]
	v_fma_f64 v[6:7], v[6:7], v[22:23], -v[24:25]
	v_add_f64_e32 v[10:11], v[10:11], v[14:15]
	v_add_f64_e32 v[12:13], v[12:13], v[34:35]
	s_delay_alu instid0(VALU_DEP_2) | instskip(NEXT) | instid1(VALU_DEP_2)
	v_add_f64_e32 v[1:2], v[10:11], v[1:2]
	v_add_f64_e32 v[3:4], v[12:13], v[4:5]
	s_delay_alu instid0(VALU_DEP_2) | instskip(NEXT) | instid1(VALU_DEP_2)
	v_add_f64_e32 v[1:2], v[1:2], v[6:7]
	v_add_f64_e32 v[3:4], v[3:4], v[8:9]
	s_wait_loadcnt 0x0
	s_delay_alu instid0(VALU_DEP_2) | instskip(NEXT) | instid1(VALU_DEP_2)
	v_add_f64_e64 v[1:2], v[26:27], -v[1:2]
	v_add_f64_e64 v[3:4], v[28:29], -v[3:4]
	scratch_store_b128 off, v[1:4], off offset:560
	v_cmpx_lt_u32_e32 33, v0
	s_cbranch_execz .LBB50_253
; %bb.252:
	scratch_load_b128 v[1:4], off, s26
	v_mov_b32_e32 v5, 0
	s_delay_alu instid0(VALU_DEP_1)
	v_dual_mov_b32 v6, v5 :: v_dual_mov_b32 v7, v5
	v_mov_b32_e32 v8, v5
	scratch_store_b128 off, v[5:8], off offset:544
	s_wait_loadcnt 0x0
	ds_store_b128 v144, v[1:4]
.LBB50_253:
	s_wait_alu 0xfffe
	s_or_b32 exec_lo, exec_lo, s0
	s_wait_storecnt_dscnt 0x0
	s_barrier_signal -1
	s_barrier_wait -1
	global_inv scope:SCOPE_SE
	s_clause 0x7
	scratch_load_b128 v[2:5], off, off offset:560
	scratch_load_b128 v[6:9], off, off offset:576
	;; [unrolled: 1-line block ×8, first 2 shown]
	v_mov_b32_e32 v1, 0
	s_clause 0x1
	scratch_load_b128 v[38:41], off, off offset:688
	scratch_load_b128 v[149:152], off, off offset:704
	s_mov_b32 s0, exec_lo
	ds_load_b128 v[34:37], v1 offset:1360
	ds_load_b128 v[145:148], v1 offset:1376
	s_wait_loadcnt_dscnt 0x901
	v_mul_f64_e32 v[153:154], v[36:37], v[4:5]
	v_mul_f64_e32 v[4:5], v[34:35], v[4:5]
	s_wait_loadcnt_dscnt 0x800
	v_mul_f64_e32 v[155:156], v[145:146], v[8:9]
	v_mul_f64_e32 v[8:9], v[147:148], v[8:9]
	s_delay_alu instid0(VALU_DEP_4) | instskip(NEXT) | instid1(VALU_DEP_4)
	v_fma_f64 v[153:154], v[34:35], v[2:3], -v[153:154]
	v_fma_f64 v[157:158], v[36:37], v[2:3], v[4:5]
	ds_load_b128 v[2:5], v1 offset:1392
	scratch_load_b128 v[34:37], off, off offset:720
	v_fma_f64 v[155:156], v[147:148], v[6:7], v[155:156]
	v_fma_f64 v[161:162], v[145:146], v[6:7], -v[8:9]
	ds_load_b128 v[6:9], v1 offset:1408
	scratch_load_b128 v[145:148], off, off offset:736
	s_wait_loadcnt_dscnt 0x901
	v_mul_f64_e32 v[159:160], v[2:3], v[12:13]
	v_mul_f64_e32 v[12:13], v[4:5], v[12:13]
	s_wait_loadcnt_dscnt 0x800
	v_mul_f64_e32 v[163:164], v[6:7], v[16:17]
	v_mul_f64_e32 v[16:17], v[8:9], v[16:17]
	v_add_f64_e32 v[153:154], 0, v[153:154]
	v_add_f64_e32 v[157:158], 0, v[157:158]
	v_fma_f64 v[159:160], v[4:5], v[10:11], v[159:160]
	v_fma_f64 v[165:166], v[2:3], v[10:11], -v[12:13]
	ds_load_b128 v[2:5], v1 offset:1424
	scratch_load_b128 v[10:13], off, off offset:752
	v_add_f64_e32 v[153:154], v[153:154], v[161:162]
	v_add_f64_e32 v[155:156], v[157:158], v[155:156]
	v_fma_f64 v[161:162], v[8:9], v[14:15], v[163:164]
	v_fma_f64 v[163:164], v[6:7], v[14:15], -v[16:17]
	ds_load_b128 v[6:9], v1 offset:1440
	scratch_load_b128 v[14:17], off, off offset:768
	s_wait_loadcnt_dscnt 0x901
	v_mul_f64_e32 v[157:158], v[2:3], v[20:21]
	v_mul_f64_e32 v[20:21], v[4:5], v[20:21]
	v_add_f64_e32 v[153:154], v[153:154], v[165:166]
	v_add_f64_e32 v[155:156], v[155:156], v[159:160]
	s_wait_loadcnt_dscnt 0x800
	v_mul_f64_e32 v[159:160], v[6:7], v[24:25]
	v_mul_f64_e32 v[24:25], v[8:9], v[24:25]
	v_fma_f64 v[157:158], v[4:5], v[18:19], v[157:158]
	v_fma_f64 v[165:166], v[2:3], v[18:19], -v[20:21]
	ds_load_b128 v[2:5], v1 offset:1456
	scratch_load_b128 v[18:21], off, off offset:784
	v_add_f64_e32 v[153:154], v[153:154], v[163:164]
	v_add_f64_e32 v[155:156], v[155:156], v[161:162]
	v_fma_f64 v[159:160], v[8:9], v[22:23], v[159:160]
	v_fma_f64 v[163:164], v[6:7], v[22:23], -v[24:25]
	ds_load_b128 v[6:9], v1 offset:1472
	s_wait_loadcnt_dscnt 0x801
	v_mul_f64_e32 v[161:162], v[2:3], v[28:29]
	v_mul_f64_e32 v[28:29], v[4:5], v[28:29]
	scratch_load_b128 v[22:25], off, off offset:800
	v_add_f64_e32 v[153:154], v[153:154], v[165:166]
	v_add_f64_e32 v[155:156], v[155:156], v[157:158]
	s_wait_loadcnt_dscnt 0x800
	v_mul_f64_e32 v[157:158], v[6:7], v[32:33]
	v_mul_f64_e32 v[32:33], v[8:9], v[32:33]
	v_fma_f64 v[161:162], v[4:5], v[26:27], v[161:162]
	v_fma_f64 v[165:166], v[2:3], v[26:27], -v[28:29]
	ds_load_b128 v[2:5], v1 offset:1488
	scratch_load_b128 v[26:29], off, off offset:816
	v_add_f64_e32 v[153:154], v[153:154], v[163:164]
	v_add_f64_e32 v[155:156], v[155:156], v[159:160]
	v_fma_f64 v[157:158], v[8:9], v[30:31], v[157:158]
	v_fma_f64 v[30:31], v[6:7], v[30:31], -v[32:33]
	ds_load_b128 v[6:9], v1 offset:1504
	s_wait_loadcnt_dscnt 0x801
	v_mul_f64_e32 v[159:160], v[2:3], v[40:41]
	v_mul_f64_e32 v[40:41], v[4:5], v[40:41]
	v_add_f64_e32 v[32:33], v[153:154], v[165:166]
	v_add_f64_e32 v[153:154], v[155:156], v[161:162]
	s_wait_loadcnt_dscnt 0x700
	v_mul_f64_e32 v[155:156], v[6:7], v[151:152]
	v_mul_f64_e32 v[151:152], v[8:9], v[151:152]
	v_fma_f64 v[159:160], v[4:5], v[38:39], v[159:160]
	v_fma_f64 v[38:39], v[2:3], v[38:39], -v[40:41]
	ds_load_b128 v[2:5], v1 offset:1520
	v_add_f64_e32 v[30:31], v[32:33], v[30:31]
	v_add_f64_e32 v[32:33], v[153:154], v[157:158]
	v_fma_f64 v[153:154], v[8:9], v[149:150], v[155:156]
	v_fma_f64 v[149:150], v[6:7], v[149:150], -v[151:152]
	ds_load_b128 v[6:9], v1 offset:1536
	s_wait_loadcnt_dscnt 0x500
	v_mul_f64_e32 v[155:156], v[6:7], v[147:148]
	v_mul_f64_e32 v[147:148], v[8:9], v[147:148]
	v_add_f64_e32 v[38:39], v[30:31], v[38:39]
	v_add_f64_e32 v[151:152], v[32:33], v[159:160]
	scratch_load_b128 v[30:33], off, off offset:544
	v_mul_f64_e32 v[40:41], v[2:3], v[36:37]
	v_mul_f64_e32 v[36:37], v[4:5], v[36:37]
	s_delay_alu instid0(VALU_DEP_2) | instskip(NEXT) | instid1(VALU_DEP_2)
	v_fma_f64 v[40:41], v[4:5], v[34:35], v[40:41]
	v_fma_f64 v[34:35], v[2:3], v[34:35], -v[36:37]
	v_add_f64_e32 v[36:37], v[38:39], v[149:150]
	v_add_f64_e32 v[38:39], v[151:152], v[153:154]
	ds_load_b128 v[2:5], v1 offset:1552
	v_fma_f64 v[151:152], v[8:9], v[145:146], v[155:156]
	v_fma_f64 v[145:146], v[6:7], v[145:146], -v[147:148]
	ds_load_b128 v[6:9], v1 offset:1568
	s_wait_loadcnt_dscnt 0x501
	v_mul_f64_e32 v[149:150], v[2:3], v[12:13]
	v_mul_f64_e32 v[12:13], v[4:5], v[12:13]
	v_add_f64_e32 v[34:35], v[36:37], v[34:35]
	v_add_f64_e32 v[36:37], v[38:39], v[40:41]
	s_wait_loadcnt_dscnt 0x400
	v_mul_f64_e32 v[38:39], v[6:7], v[16:17]
	v_mul_f64_e32 v[16:17], v[8:9], v[16:17]
	v_fma_f64 v[40:41], v[4:5], v[10:11], v[149:150]
	v_fma_f64 v[10:11], v[2:3], v[10:11], -v[12:13]
	ds_load_b128 v[2:5], v1 offset:1584
	v_add_f64_e32 v[12:13], v[34:35], v[145:146]
	v_add_f64_e32 v[34:35], v[36:37], v[151:152]
	v_fma_f64 v[38:39], v[8:9], v[14:15], v[38:39]
	v_fma_f64 v[14:15], v[6:7], v[14:15], -v[16:17]
	ds_load_b128 v[6:9], v1 offset:1600
	s_wait_loadcnt_dscnt 0x301
	v_mul_f64_e32 v[36:37], v[2:3], v[20:21]
	v_mul_f64_e32 v[20:21], v[4:5], v[20:21]
	s_wait_loadcnt_dscnt 0x200
	v_mul_f64_e32 v[16:17], v[6:7], v[24:25]
	v_mul_f64_e32 v[24:25], v[8:9], v[24:25]
	v_add_f64_e32 v[10:11], v[12:13], v[10:11]
	v_add_f64_e32 v[12:13], v[34:35], v[40:41]
	v_fma_f64 v[34:35], v[4:5], v[18:19], v[36:37]
	v_fma_f64 v[18:19], v[2:3], v[18:19], -v[20:21]
	ds_load_b128 v[2:5], v1 offset:1616
	v_fma_f64 v[8:9], v[8:9], v[22:23], v[16:17]
	v_fma_f64 v[6:7], v[6:7], v[22:23], -v[24:25]
	s_wait_loadcnt_dscnt 0x100
	v_mul_f64_e32 v[20:21], v[4:5], v[28:29]
	v_add_f64_e32 v[10:11], v[10:11], v[14:15]
	v_add_f64_e32 v[12:13], v[12:13], v[38:39]
	v_mul_f64_e32 v[14:15], v[2:3], v[28:29]
	s_delay_alu instid0(VALU_DEP_4) | instskip(NEXT) | instid1(VALU_DEP_4)
	v_fma_f64 v[2:3], v[2:3], v[26:27], -v[20:21]
	v_add_f64_e32 v[10:11], v[10:11], v[18:19]
	s_delay_alu instid0(VALU_DEP_4) | instskip(NEXT) | instid1(VALU_DEP_4)
	v_add_f64_e32 v[12:13], v[12:13], v[34:35]
	v_fma_f64 v[4:5], v[4:5], v[26:27], v[14:15]
	s_delay_alu instid0(VALU_DEP_3) | instskip(NEXT) | instid1(VALU_DEP_3)
	v_add_f64_e32 v[6:7], v[10:11], v[6:7]
	v_add_f64_e32 v[8:9], v[12:13], v[8:9]
	s_delay_alu instid0(VALU_DEP_2) | instskip(NEXT) | instid1(VALU_DEP_2)
	v_add_f64_e32 v[2:3], v[6:7], v[2:3]
	v_add_f64_e32 v[4:5], v[8:9], v[4:5]
	s_wait_loadcnt 0x0
	s_delay_alu instid0(VALU_DEP_2) | instskip(NEXT) | instid1(VALU_DEP_2)
	v_add_f64_e64 v[2:3], v[30:31], -v[2:3]
	v_add_f64_e64 v[4:5], v[32:33], -v[4:5]
	scratch_store_b128 off, v[2:5], off offset:544
	v_cmpx_lt_u32_e32 32, v0
	s_cbranch_execz .LBB50_255
; %bb.254:
	scratch_load_b128 v[5:8], off, s28
	v_dual_mov_b32 v2, v1 :: v_dual_mov_b32 v3, v1
	v_mov_b32_e32 v4, v1
	scratch_store_b128 off, v[1:4], off offset:528
	s_wait_loadcnt 0x0
	ds_store_b128 v144, v[5:8]
.LBB50_255:
	s_wait_alu 0xfffe
	s_or_b32 exec_lo, exec_lo, s0
	s_wait_storecnt_dscnt 0x0
	s_barrier_signal -1
	s_barrier_wait -1
	global_inv scope:SCOPE_SE
	s_clause 0x7
	scratch_load_b128 v[2:5], off, off offset:544
	scratch_load_b128 v[6:9], off, off offset:560
	;; [unrolled: 1-line block ×8, first 2 shown]
	ds_load_b128 v[34:37], v1 offset:1344
	ds_load_b128 v[145:148], v1 offset:1360
	s_clause 0x1
	scratch_load_b128 v[38:41], off, off offset:672
	scratch_load_b128 v[149:152], off, off offset:688
	s_mov_b32 s0, exec_lo
	s_wait_loadcnt_dscnt 0x901
	v_mul_f64_e32 v[153:154], v[36:37], v[4:5]
	v_mul_f64_e32 v[4:5], v[34:35], v[4:5]
	s_wait_loadcnt_dscnt 0x800
	v_mul_f64_e32 v[155:156], v[145:146], v[8:9]
	v_mul_f64_e32 v[8:9], v[147:148], v[8:9]
	s_delay_alu instid0(VALU_DEP_4) | instskip(NEXT) | instid1(VALU_DEP_4)
	v_fma_f64 v[153:154], v[34:35], v[2:3], -v[153:154]
	v_fma_f64 v[157:158], v[36:37], v[2:3], v[4:5]
	scratch_load_b128 v[34:37], off, off offset:704
	ds_load_b128 v[2:5], v1 offset:1376
	v_fma_f64 v[155:156], v[147:148], v[6:7], v[155:156]
	v_fma_f64 v[161:162], v[145:146], v[6:7], -v[8:9]
	ds_load_b128 v[6:9], v1 offset:1392
	scratch_load_b128 v[145:148], off, off offset:720
	s_wait_loadcnt_dscnt 0x901
	v_mul_f64_e32 v[159:160], v[2:3], v[12:13]
	v_mul_f64_e32 v[12:13], v[4:5], v[12:13]
	s_wait_loadcnt_dscnt 0x800
	v_mul_f64_e32 v[163:164], v[6:7], v[16:17]
	v_mul_f64_e32 v[16:17], v[8:9], v[16:17]
	v_add_f64_e32 v[153:154], 0, v[153:154]
	v_add_f64_e32 v[157:158], 0, v[157:158]
	v_fma_f64 v[159:160], v[4:5], v[10:11], v[159:160]
	v_fma_f64 v[165:166], v[2:3], v[10:11], -v[12:13]
	ds_load_b128 v[2:5], v1 offset:1408
	scratch_load_b128 v[10:13], off, off offset:736
	v_add_f64_e32 v[153:154], v[153:154], v[161:162]
	v_add_f64_e32 v[155:156], v[157:158], v[155:156]
	v_fma_f64 v[161:162], v[8:9], v[14:15], v[163:164]
	v_fma_f64 v[163:164], v[6:7], v[14:15], -v[16:17]
	ds_load_b128 v[6:9], v1 offset:1424
	scratch_load_b128 v[14:17], off, off offset:752
	s_wait_loadcnt_dscnt 0x901
	v_mul_f64_e32 v[157:158], v[2:3], v[20:21]
	v_mul_f64_e32 v[20:21], v[4:5], v[20:21]
	v_add_f64_e32 v[153:154], v[153:154], v[165:166]
	v_add_f64_e32 v[155:156], v[155:156], v[159:160]
	s_wait_loadcnt_dscnt 0x800
	v_mul_f64_e32 v[159:160], v[6:7], v[24:25]
	v_mul_f64_e32 v[24:25], v[8:9], v[24:25]
	v_fma_f64 v[157:158], v[4:5], v[18:19], v[157:158]
	v_fma_f64 v[165:166], v[2:3], v[18:19], -v[20:21]
	ds_load_b128 v[2:5], v1 offset:1440
	scratch_load_b128 v[18:21], off, off offset:768
	v_add_f64_e32 v[153:154], v[153:154], v[163:164]
	v_add_f64_e32 v[155:156], v[155:156], v[161:162]
	v_fma_f64 v[159:160], v[8:9], v[22:23], v[159:160]
	v_fma_f64 v[163:164], v[6:7], v[22:23], -v[24:25]
	ds_load_b128 v[6:9], v1 offset:1456
	s_wait_loadcnt_dscnt 0x801
	v_mul_f64_e32 v[161:162], v[2:3], v[28:29]
	v_mul_f64_e32 v[28:29], v[4:5], v[28:29]
	scratch_load_b128 v[22:25], off, off offset:784
	v_add_f64_e32 v[153:154], v[153:154], v[165:166]
	v_add_f64_e32 v[155:156], v[155:156], v[157:158]
	s_wait_loadcnt_dscnt 0x800
	v_mul_f64_e32 v[157:158], v[6:7], v[32:33]
	v_mul_f64_e32 v[32:33], v[8:9], v[32:33]
	v_fma_f64 v[161:162], v[4:5], v[26:27], v[161:162]
	v_fma_f64 v[165:166], v[2:3], v[26:27], -v[28:29]
	ds_load_b128 v[2:5], v1 offset:1472
	scratch_load_b128 v[26:29], off, off offset:800
	v_add_f64_e32 v[153:154], v[153:154], v[163:164]
	v_add_f64_e32 v[155:156], v[155:156], v[159:160]
	v_fma_f64 v[157:158], v[8:9], v[30:31], v[157:158]
	v_fma_f64 v[163:164], v[6:7], v[30:31], -v[32:33]
	ds_load_b128 v[6:9], v1 offset:1488
	s_wait_loadcnt_dscnt 0x801
	v_mul_f64_e32 v[159:160], v[2:3], v[40:41]
	v_mul_f64_e32 v[40:41], v[4:5], v[40:41]
	scratch_load_b128 v[30:33], off, off offset:816
	v_add_f64_e32 v[153:154], v[153:154], v[165:166]
	v_add_f64_e32 v[155:156], v[155:156], v[161:162]
	v_fma_f64 v[159:160], v[4:5], v[38:39], v[159:160]
	v_fma_f64 v[38:39], v[2:3], v[38:39], -v[40:41]
	ds_load_b128 v[2:5], v1 offset:1504
	v_add_f64_e32 v[40:41], v[153:154], v[163:164]
	v_add_f64_e32 v[153:154], v[155:156], v[157:158]
	s_wait_loadcnt_dscnt 0x700
	v_mul_f64_e32 v[155:156], v[2:3], v[36:37]
	v_mul_f64_e32 v[36:37], v[4:5], v[36:37]
	s_delay_alu instid0(VALU_DEP_4) | instskip(NEXT) | instid1(VALU_DEP_4)
	v_add_f64_e32 v[38:39], v[40:41], v[38:39]
	v_add_f64_e32 v[40:41], v[153:154], v[159:160]
	s_delay_alu instid0(VALU_DEP_4) | instskip(NEXT) | instid1(VALU_DEP_4)
	v_fma_f64 v[153:154], v[4:5], v[34:35], v[155:156]
	v_fma_f64 v[155:156], v[2:3], v[34:35], -v[36:37]
	scratch_load_b128 v[34:37], off, off offset:528
	v_mul_f64_e32 v[161:162], v[6:7], v[151:152]
	v_mul_f64_e32 v[151:152], v[8:9], v[151:152]
	ds_load_b128 v[2:5], v1 offset:1536
	v_fma_f64 v[157:158], v[8:9], v[149:150], v[161:162]
	v_fma_f64 v[149:150], v[6:7], v[149:150], -v[151:152]
	ds_load_b128 v[6:9], v1 offset:1520
	s_wait_loadcnt_dscnt 0x700
	v_mul_f64_e32 v[151:152], v[6:7], v[147:148]
	v_mul_f64_e32 v[147:148], v[8:9], v[147:148]
	v_add_f64_e32 v[40:41], v[40:41], v[157:158]
	v_add_f64_e32 v[38:39], v[38:39], v[149:150]
	s_wait_loadcnt 0x6
	v_mul_f64_e32 v[149:150], v[2:3], v[12:13]
	v_mul_f64_e32 v[12:13], v[4:5], v[12:13]
	v_fma_f64 v[151:152], v[8:9], v[145:146], v[151:152]
	v_fma_f64 v[145:146], v[6:7], v[145:146], -v[147:148]
	ds_load_b128 v[6:9], v1 offset:1552
	v_add_f64_e32 v[40:41], v[40:41], v[153:154]
	v_add_f64_e32 v[38:39], v[38:39], v[155:156]
	v_fma_f64 v[149:150], v[4:5], v[10:11], v[149:150]
	v_fma_f64 v[10:11], v[2:3], v[10:11], -v[12:13]
	ds_load_b128 v[2:5], v1 offset:1568
	s_wait_loadcnt_dscnt 0x501
	v_mul_f64_e32 v[147:148], v[6:7], v[16:17]
	v_mul_f64_e32 v[16:17], v[8:9], v[16:17]
	v_add_f64_e32 v[12:13], v[38:39], v[145:146]
	v_add_f64_e32 v[38:39], v[40:41], v[151:152]
	s_wait_loadcnt_dscnt 0x400
	v_mul_f64_e32 v[40:41], v[2:3], v[20:21]
	v_mul_f64_e32 v[20:21], v[4:5], v[20:21]
	v_fma_f64 v[145:146], v[8:9], v[14:15], v[147:148]
	v_fma_f64 v[14:15], v[6:7], v[14:15], -v[16:17]
	ds_load_b128 v[6:9], v1 offset:1584
	v_add_f64_e32 v[10:11], v[12:13], v[10:11]
	v_add_f64_e32 v[12:13], v[38:39], v[149:150]
	v_fma_f64 v[38:39], v[4:5], v[18:19], v[40:41]
	v_fma_f64 v[18:19], v[2:3], v[18:19], -v[20:21]
	ds_load_b128 v[2:5], v1 offset:1600
	s_wait_loadcnt_dscnt 0x301
	v_mul_f64_e32 v[16:17], v[6:7], v[24:25]
	v_mul_f64_e32 v[24:25], v[8:9], v[24:25]
	s_wait_loadcnt_dscnt 0x200
	v_mul_f64_e32 v[20:21], v[4:5], v[28:29]
	v_add_f64_e32 v[10:11], v[10:11], v[14:15]
	v_add_f64_e32 v[12:13], v[12:13], v[145:146]
	v_mul_f64_e32 v[14:15], v[2:3], v[28:29]
	v_fma_f64 v[16:17], v[8:9], v[22:23], v[16:17]
	v_fma_f64 v[22:23], v[6:7], v[22:23], -v[24:25]
	ds_load_b128 v[6:9], v1 offset:1616
	v_fma_f64 v[1:2], v[2:3], v[26:27], -v[20:21]
	s_wait_loadcnt_dscnt 0x100
	v_mul_f64_e32 v[24:25], v[8:9], v[32:33]
	v_add_f64_e32 v[10:11], v[10:11], v[18:19]
	v_add_f64_e32 v[12:13], v[12:13], v[38:39]
	v_mul_f64_e32 v[18:19], v[6:7], v[32:33]
	v_fma_f64 v[4:5], v[4:5], v[26:27], v[14:15]
	v_fma_f64 v[6:7], v[6:7], v[30:31], -v[24:25]
	v_add_f64_e32 v[10:11], v[10:11], v[22:23]
	v_add_f64_e32 v[12:13], v[12:13], v[16:17]
	v_fma_f64 v[8:9], v[8:9], v[30:31], v[18:19]
	s_delay_alu instid0(VALU_DEP_3) | instskip(NEXT) | instid1(VALU_DEP_3)
	v_add_f64_e32 v[1:2], v[10:11], v[1:2]
	v_add_f64_e32 v[3:4], v[12:13], v[4:5]
	s_delay_alu instid0(VALU_DEP_2) | instskip(NEXT) | instid1(VALU_DEP_2)
	v_add_f64_e32 v[1:2], v[1:2], v[6:7]
	v_add_f64_e32 v[3:4], v[3:4], v[8:9]
	s_wait_loadcnt 0x0
	s_delay_alu instid0(VALU_DEP_2) | instskip(NEXT) | instid1(VALU_DEP_2)
	v_add_f64_e64 v[1:2], v[34:35], -v[1:2]
	v_add_f64_e64 v[3:4], v[36:37], -v[3:4]
	scratch_store_b128 off, v[1:4], off offset:528
	v_cmpx_lt_u32_e32 31, v0
	s_cbranch_execz .LBB50_257
; %bb.256:
	scratch_load_b128 v[1:4], off, s27
	v_mov_b32_e32 v5, 0
	s_delay_alu instid0(VALU_DEP_1)
	v_dual_mov_b32 v6, v5 :: v_dual_mov_b32 v7, v5
	v_mov_b32_e32 v8, v5
	scratch_store_b128 off, v[5:8], off offset:512
	s_wait_loadcnt 0x0
	ds_store_b128 v144, v[1:4]
.LBB50_257:
	s_wait_alu 0xfffe
	s_or_b32 exec_lo, exec_lo, s0
	s_wait_storecnt_dscnt 0x0
	s_barrier_signal -1
	s_barrier_wait -1
	global_inv scope:SCOPE_SE
	s_clause 0x7
	scratch_load_b128 v[2:5], off, off offset:528
	scratch_load_b128 v[6:9], off, off offset:544
	;; [unrolled: 1-line block ×8, first 2 shown]
	v_mov_b32_e32 v1, 0
	s_clause 0x1
	scratch_load_b128 v[38:41], off, off offset:656
	scratch_load_b128 v[149:152], off, off offset:672
	s_mov_b32 s0, exec_lo
	ds_load_b128 v[34:37], v1 offset:1328
	ds_load_b128 v[145:148], v1 offset:1344
	s_wait_loadcnt_dscnt 0x901
	v_mul_f64_e32 v[153:154], v[36:37], v[4:5]
	v_mul_f64_e32 v[4:5], v[34:35], v[4:5]
	s_wait_loadcnt_dscnt 0x800
	v_mul_f64_e32 v[155:156], v[145:146], v[8:9]
	v_mul_f64_e32 v[8:9], v[147:148], v[8:9]
	s_delay_alu instid0(VALU_DEP_4) | instskip(NEXT) | instid1(VALU_DEP_4)
	v_fma_f64 v[153:154], v[34:35], v[2:3], -v[153:154]
	v_fma_f64 v[157:158], v[36:37], v[2:3], v[4:5]
	ds_load_b128 v[2:5], v1 offset:1360
	scratch_load_b128 v[34:37], off, off offset:688
	v_fma_f64 v[155:156], v[147:148], v[6:7], v[155:156]
	v_fma_f64 v[161:162], v[145:146], v[6:7], -v[8:9]
	ds_load_b128 v[6:9], v1 offset:1376
	scratch_load_b128 v[145:148], off, off offset:704
	s_wait_loadcnt_dscnt 0x901
	v_mul_f64_e32 v[159:160], v[2:3], v[12:13]
	v_mul_f64_e32 v[12:13], v[4:5], v[12:13]
	s_wait_loadcnt_dscnt 0x800
	v_mul_f64_e32 v[163:164], v[6:7], v[16:17]
	v_mul_f64_e32 v[16:17], v[8:9], v[16:17]
	v_add_f64_e32 v[153:154], 0, v[153:154]
	v_add_f64_e32 v[157:158], 0, v[157:158]
	v_fma_f64 v[159:160], v[4:5], v[10:11], v[159:160]
	v_fma_f64 v[165:166], v[2:3], v[10:11], -v[12:13]
	ds_load_b128 v[2:5], v1 offset:1392
	scratch_load_b128 v[10:13], off, off offset:720
	v_add_f64_e32 v[153:154], v[153:154], v[161:162]
	v_add_f64_e32 v[155:156], v[157:158], v[155:156]
	v_fma_f64 v[161:162], v[8:9], v[14:15], v[163:164]
	v_fma_f64 v[163:164], v[6:7], v[14:15], -v[16:17]
	ds_load_b128 v[6:9], v1 offset:1408
	scratch_load_b128 v[14:17], off, off offset:736
	s_wait_loadcnt_dscnt 0x901
	v_mul_f64_e32 v[157:158], v[2:3], v[20:21]
	v_mul_f64_e32 v[20:21], v[4:5], v[20:21]
	v_add_f64_e32 v[153:154], v[153:154], v[165:166]
	v_add_f64_e32 v[155:156], v[155:156], v[159:160]
	s_wait_loadcnt_dscnt 0x800
	v_mul_f64_e32 v[159:160], v[6:7], v[24:25]
	v_mul_f64_e32 v[24:25], v[8:9], v[24:25]
	v_fma_f64 v[157:158], v[4:5], v[18:19], v[157:158]
	v_fma_f64 v[165:166], v[2:3], v[18:19], -v[20:21]
	ds_load_b128 v[2:5], v1 offset:1424
	scratch_load_b128 v[18:21], off, off offset:752
	v_add_f64_e32 v[153:154], v[153:154], v[163:164]
	v_add_f64_e32 v[155:156], v[155:156], v[161:162]
	v_fma_f64 v[159:160], v[8:9], v[22:23], v[159:160]
	v_fma_f64 v[163:164], v[6:7], v[22:23], -v[24:25]
	ds_load_b128 v[6:9], v1 offset:1440
	s_wait_loadcnt_dscnt 0x801
	v_mul_f64_e32 v[161:162], v[2:3], v[28:29]
	v_mul_f64_e32 v[28:29], v[4:5], v[28:29]
	scratch_load_b128 v[22:25], off, off offset:768
	v_add_f64_e32 v[153:154], v[153:154], v[165:166]
	v_add_f64_e32 v[155:156], v[155:156], v[157:158]
	s_wait_loadcnt_dscnt 0x800
	v_mul_f64_e32 v[157:158], v[6:7], v[32:33]
	v_mul_f64_e32 v[32:33], v[8:9], v[32:33]
	v_fma_f64 v[161:162], v[4:5], v[26:27], v[161:162]
	v_fma_f64 v[165:166], v[2:3], v[26:27], -v[28:29]
	ds_load_b128 v[2:5], v1 offset:1456
	scratch_load_b128 v[26:29], off, off offset:784
	v_add_f64_e32 v[153:154], v[153:154], v[163:164]
	v_add_f64_e32 v[155:156], v[155:156], v[159:160]
	v_fma_f64 v[157:158], v[8:9], v[30:31], v[157:158]
	v_fma_f64 v[163:164], v[6:7], v[30:31], -v[32:33]
	ds_load_b128 v[6:9], v1 offset:1472
	s_wait_loadcnt_dscnt 0x801
	v_mul_f64_e32 v[159:160], v[2:3], v[40:41]
	v_mul_f64_e32 v[40:41], v[4:5], v[40:41]
	scratch_load_b128 v[30:33], off, off offset:800
	v_add_f64_e32 v[153:154], v[153:154], v[165:166]
	v_add_f64_e32 v[155:156], v[155:156], v[161:162]
	s_wait_loadcnt_dscnt 0x800
	v_mul_f64_e32 v[161:162], v[6:7], v[151:152]
	v_mul_f64_e32 v[151:152], v[8:9], v[151:152]
	v_fma_f64 v[159:160], v[4:5], v[38:39], v[159:160]
	v_fma_f64 v[165:166], v[2:3], v[38:39], -v[40:41]
	ds_load_b128 v[2:5], v1 offset:1488
	scratch_load_b128 v[38:41], off, off offset:816
	v_add_f64_e32 v[153:154], v[153:154], v[163:164]
	v_add_f64_e32 v[155:156], v[155:156], v[157:158]
	v_fma_f64 v[161:162], v[8:9], v[149:150], v[161:162]
	v_fma_f64 v[149:150], v[6:7], v[149:150], -v[151:152]
	ds_load_b128 v[6:9], v1 offset:1504
	s_wait_loadcnt_dscnt 0x801
	v_mul_f64_e32 v[157:158], v[2:3], v[36:37]
	v_mul_f64_e32 v[36:37], v[4:5], v[36:37]
	v_add_f64_e32 v[151:152], v[153:154], v[165:166]
	v_add_f64_e32 v[153:154], v[155:156], v[159:160]
	s_wait_loadcnt_dscnt 0x700
	v_mul_f64_e32 v[155:156], v[6:7], v[147:148]
	v_mul_f64_e32 v[147:148], v[8:9], v[147:148]
	v_fma_f64 v[157:158], v[4:5], v[34:35], v[157:158]
	v_fma_f64 v[34:35], v[2:3], v[34:35], -v[36:37]
	ds_load_b128 v[2:5], v1 offset:1520
	v_add_f64_e32 v[36:37], v[151:152], v[149:150]
	v_add_f64_e32 v[149:150], v[153:154], v[161:162]
	v_fma_f64 v[153:154], v[8:9], v[145:146], v[155:156]
	v_fma_f64 v[145:146], v[6:7], v[145:146], -v[147:148]
	ds_load_b128 v[6:9], v1 offset:1536
	s_wait_loadcnt_dscnt 0x500
	v_mul_f64_e32 v[155:156], v[6:7], v[16:17]
	v_mul_f64_e32 v[16:17], v[8:9], v[16:17]
	v_add_f64_e32 v[147:148], v[36:37], v[34:35]
	v_add_f64_e32 v[149:150], v[149:150], v[157:158]
	scratch_load_b128 v[34:37], off, off offset:512
	v_mul_f64_e32 v[151:152], v[2:3], v[12:13]
	v_mul_f64_e32 v[12:13], v[4:5], v[12:13]
	s_delay_alu instid0(VALU_DEP_2) | instskip(NEXT) | instid1(VALU_DEP_2)
	v_fma_f64 v[151:152], v[4:5], v[10:11], v[151:152]
	v_fma_f64 v[10:11], v[2:3], v[10:11], -v[12:13]
	v_add_f64_e32 v[12:13], v[147:148], v[145:146]
	v_add_f64_e32 v[145:146], v[149:150], v[153:154]
	ds_load_b128 v[2:5], v1 offset:1552
	v_fma_f64 v[149:150], v[8:9], v[14:15], v[155:156]
	v_fma_f64 v[14:15], v[6:7], v[14:15], -v[16:17]
	ds_load_b128 v[6:9], v1 offset:1568
	s_wait_loadcnt_dscnt 0x501
	v_mul_f64_e32 v[147:148], v[2:3], v[20:21]
	v_mul_f64_e32 v[20:21], v[4:5], v[20:21]
	s_wait_loadcnt_dscnt 0x400
	v_mul_f64_e32 v[16:17], v[6:7], v[24:25]
	v_mul_f64_e32 v[24:25], v[8:9], v[24:25]
	v_add_f64_e32 v[10:11], v[12:13], v[10:11]
	v_add_f64_e32 v[12:13], v[145:146], v[151:152]
	v_fma_f64 v[145:146], v[4:5], v[18:19], v[147:148]
	v_fma_f64 v[18:19], v[2:3], v[18:19], -v[20:21]
	ds_load_b128 v[2:5], v1 offset:1584
	v_fma_f64 v[16:17], v[8:9], v[22:23], v[16:17]
	v_fma_f64 v[22:23], v[6:7], v[22:23], -v[24:25]
	ds_load_b128 v[6:9], v1 offset:1600
	v_add_f64_e32 v[10:11], v[10:11], v[14:15]
	v_add_f64_e32 v[12:13], v[12:13], v[149:150]
	s_wait_loadcnt_dscnt 0x301
	v_mul_f64_e32 v[14:15], v[2:3], v[28:29]
	v_mul_f64_e32 v[20:21], v[4:5], v[28:29]
	s_wait_loadcnt_dscnt 0x200
	v_mul_f64_e32 v[24:25], v[8:9], v[32:33]
	v_add_f64_e32 v[10:11], v[10:11], v[18:19]
	v_add_f64_e32 v[12:13], v[12:13], v[145:146]
	v_mul_f64_e32 v[18:19], v[6:7], v[32:33]
	v_fma_f64 v[14:15], v[4:5], v[26:27], v[14:15]
	v_fma_f64 v[20:21], v[2:3], v[26:27], -v[20:21]
	ds_load_b128 v[2:5], v1 offset:1616
	v_fma_f64 v[6:7], v[6:7], v[30:31], -v[24:25]
	v_add_f64_e32 v[10:11], v[10:11], v[22:23]
	v_add_f64_e32 v[12:13], v[12:13], v[16:17]
	s_wait_loadcnt_dscnt 0x100
	v_mul_f64_e32 v[16:17], v[2:3], v[40:41]
	v_mul_f64_e32 v[22:23], v[4:5], v[40:41]
	v_fma_f64 v[8:9], v[8:9], v[30:31], v[18:19]
	v_add_f64_e32 v[10:11], v[10:11], v[20:21]
	v_add_f64_e32 v[12:13], v[12:13], v[14:15]
	v_fma_f64 v[4:5], v[4:5], v[38:39], v[16:17]
	v_fma_f64 v[2:3], v[2:3], v[38:39], -v[22:23]
	s_delay_alu instid0(VALU_DEP_4) | instskip(NEXT) | instid1(VALU_DEP_4)
	v_add_f64_e32 v[6:7], v[10:11], v[6:7]
	v_add_f64_e32 v[8:9], v[12:13], v[8:9]
	s_delay_alu instid0(VALU_DEP_2) | instskip(NEXT) | instid1(VALU_DEP_2)
	v_add_f64_e32 v[2:3], v[6:7], v[2:3]
	v_add_f64_e32 v[4:5], v[8:9], v[4:5]
	s_wait_loadcnt 0x0
	s_delay_alu instid0(VALU_DEP_2) | instskip(NEXT) | instid1(VALU_DEP_2)
	v_add_f64_e64 v[2:3], v[34:35], -v[2:3]
	v_add_f64_e64 v[4:5], v[36:37], -v[4:5]
	scratch_store_b128 off, v[2:5], off offset:512
	v_cmpx_lt_u32_e32 30, v0
	s_cbranch_execz .LBB50_259
; %bb.258:
	scratch_load_b128 v[5:8], off, s29
	v_dual_mov_b32 v2, v1 :: v_dual_mov_b32 v3, v1
	v_mov_b32_e32 v4, v1
	scratch_store_b128 off, v[1:4], off offset:496
	s_wait_loadcnt 0x0
	ds_store_b128 v144, v[5:8]
.LBB50_259:
	s_wait_alu 0xfffe
	s_or_b32 exec_lo, exec_lo, s0
	s_wait_storecnt_dscnt 0x0
	s_barrier_signal -1
	s_barrier_wait -1
	global_inv scope:SCOPE_SE
	s_clause 0x7
	scratch_load_b128 v[2:5], off, off offset:512
	scratch_load_b128 v[6:9], off, off offset:528
	scratch_load_b128 v[10:13], off, off offset:544
	scratch_load_b128 v[14:17], off, off offset:560
	scratch_load_b128 v[18:21], off, off offset:576
	scratch_load_b128 v[22:25], off, off offset:592
	scratch_load_b128 v[26:29], off, off offset:608
	scratch_load_b128 v[30:33], off, off offset:624
	ds_load_b128 v[34:37], v1 offset:1312
	ds_load_b128 v[145:148], v1 offset:1328
	s_clause 0x1
	scratch_load_b128 v[38:41], off, off offset:640
	scratch_load_b128 v[149:152], off, off offset:656
	s_mov_b32 s0, exec_lo
	s_wait_loadcnt_dscnt 0x901
	v_mul_f64_e32 v[153:154], v[36:37], v[4:5]
	v_mul_f64_e32 v[4:5], v[34:35], v[4:5]
	s_wait_loadcnt_dscnt 0x800
	v_mul_f64_e32 v[155:156], v[145:146], v[8:9]
	v_mul_f64_e32 v[8:9], v[147:148], v[8:9]
	s_delay_alu instid0(VALU_DEP_4) | instskip(NEXT) | instid1(VALU_DEP_4)
	v_fma_f64 v[153:154], v[34:35], v[2:3], -v[153:154]
	v_fma_f64 v[157:158], v[36:37], v[2:3], v[4:5]
	ds_load_b128 v[2:5], v1 offset:1344
	scratch_load_b128 v[34:37], off, off offset:672
	v_fma_f64 v[155:156], v[147:148], v[6:7], v[155:156]
	v_fma_f64 v[161:162], v[145:146], v[6:7], -v[8:9]
	ds_load_b128 v[6:9], v1 offset:1360
	scratch_load_b128 v[145:148], off, off offset:688
	s_wait_loadcnt_dscnt 0x901
	v_mul_f64_e32 v[159:160], v[2:3], v[12:13]
	v_mul_f64_e32 v[12:13], v[4:5], v[12:13]
	s_wait_loadcnt_dscnt 0x800
	v_mul_f64_e32 v[163:164], v[6:7], v[16:17]
	v_mul_f64_e32 v[16:17], v[8:9], v[16:17]
	v_add_f64_e32 v[153:154], 0, v[153:154]
	v_add_f64_e32 v[157:158], 0, v[157:158]
	v_fma_f64 v[159:160], v[4:5], v[10:11], v[159:160]
	v_fma_f64 v[165:166], v[2:3], v[10:11], -v[12:13]
	scratch_load_b128 v[10:13], off, off offset:704
	ds_load_b128 v[2:5], v1 offset:1376
	v_add_f64_e32 v[153:154], v[153:154], v[161:162]
	v_add_f64_e32 v[155:156], v[157:158], v[155:156]
	v_fma_f64 v[161:162], v[8:9], v[14:15], v[163:164]
	v_fma_f64 v[163:164], v[6:7], v[14:15], -v[16:17]
	ds_load_b128 v[6:9], v1 offset:1392
	scratch_load_b128 v[14:17], off, off offset:720
	s_wait_loadcnt_dscnt 0x901
	v_mul_f64_e32 v[157:158], v[2:3], v[20:21]
	v_mul_f64_e32 v[20:21], v[4:5], v[20:21]
	v_add_f64_e32 v[153:154], v[153:154], v[165:166]
	v_add_f64_e32 v[155:156], v[155:156], v[159:160]
	s_wait_loadcnt_dscnt 0x800
	v_mul_f64_e32 v[159:160], v[6:7], v[24:25]
	v_mul_f64_e32 v[24:25], v[8:9], v[24:25]
	v_fma_f64 v[157:158], v[4:5], v[18:19], v[157:158]
	v_fma_f64 v[165:166], v[2:3], v[18:19], -v[20:21]
	ds_load_b128 v[2:5], v1 offset:1408
	scratch_load_b128 v[18:21], off, off offset:736
	v_add_f64_e32 v[153:154], v[153:154], v[163:164]
	v_add_f64_e32 v[155:156], v[155:156], v[161:162]
	v_fma_f64 v[159:160], v[8:9], v[22:23], v[159:160]
	v_fma_f64 v[163:164], v[6:7], v[22:23], -v[24:25]
	ds_load_b128 v[6:9], v1 offset:1424
	s_wait_loadcnt_dscnt 0x801
	v_mul_f64_e32 v[161:162], v[2:3], v[28:29]
	v_mul_f64_e32 v[28:29], v[4:5], v[28:29]
	scratch_load_b128 v[22:25], off, off offset:752
	v_add_f64_e32 v[153:154], v[153:154], v[165:166]
	v_add_f64_e32 v[155:156], v[155:156], v[157:158]
	s_wait_loadcnt_dscnt 0x800
	v_mul_f64_e32 v[157:158], v[6:7], v[32:33]
	v_mul_f64_e32 v[32:33], v[8:9], v[32:33]
	v_fma_f64 v[161:162], v[4:5], v[26:27], v[161:162]
	v_fma_f64 v[165:166], v[2:3], v[26:27], -v[28:29]
	ds_load_b128 v[2:5], v1 offset:1440
	scratch_load_b128 v[26:29], off, off offset:768
	v_add_f64_e32 v[153:154], v[153:154], v[163:164]
	v_add_f64_e32 v[155:156], v[155:156], v[159:160]
	v_fma_f64 v[157:158], v[8:9], v[30:31], v[157:158]
	v_fma_f64 v[163:164], v[6:7], v[30:31], -v[32:33]
	ds_load_b128 v[6:9], v1 offset:1456
	s_wait_loadcnt_dscnt 0x801
	v_mul_f64_e32 v[159:160], v[2:3], v[40:41]
	v_mul_f64_e32 v[40:41], v[4:5], v[40:41]
	scratch_load_b128 v[30:33], off, off offset:784
	v_add_f64_e32 v[153:154], v[153:154], v[165:166]
	v_add_f64_e32 v[155:156], v[155:156], v[161:162]
	s_wait_loadcnt_dscnt 0x800
	v_mul_f64_e32 v[161:162], v[6:7], v[151:152]
	v_mul_f64_e32 v[151:152], v[8:9], v[151:152]
	v_fma_f64 v[159:160], v[4:5], v[38:39], v[159:160]
	v_fma_f64 v[165:166], v[2:3], v[38:39], -v[40:41]
	ds_load_b128 v[2:5], v1 offset:1472
	scratch_load_b128 v[38:41], off, off offset:800
	v_add_f64_e32 v[153:154], v[153:154], v[163:164]
	v_add_f64_e32 v[155:156], v[155:156], v[157:158]
	v_fma_f64 v[161:162], v[8:9], v[149:150], v[161:162]
	v_fma_f64 v[163:164], v[6:7], v[149:150], -v[151:152]
	ds_load_b128 v[6:9], v1 offset:1488
	scratch_load_b128 v[149:152], off, off offset:816
	s_wait_loadcnt_dscnt 0x901
	v_mul_f64_e32 v[157:158], v[2:3], v[36:37]
	v_mul_f64_e32 v[36:37], v[4:5], v[36:37]
	v_add_f64_e32 v[153:154], v[153:154], v[165:166]
	v_add_f64_e32 v[155:156], v[155:156], v[159:160]
	s_delay_alu instid0(VALU_DEP_4) | instskip(NEXT) | instid1(VALU_DEP_4)
	v_fma_f64 v[157:158], v[4:5], v[34:35], v[157:158]
	v_fma_f64 v[34:35], v[2:3], v[34:35], -v[36:37]
	ds_load_b128 v[2:5], v1 offset:1504
	v_add_f64_e32 v[36:37], v[153:154], v[163:164]
	v_add_f64_e32 v[153:154], v[155:156], v[161:162]
	s_wait_loadcnt_dscnt 0x700
	v_mul_f64_e32 v[155:156], v[2:3], v[12:13]
	v_mul_f64_e32 v[12:13], v[4:5], v[12:13]
	s_delay_alu instid0(VALU_DEP_4) | instskip(NEXT) | instid1(VALU_DEP_4)
	v_add_f64_e32 v[34:35], v[36:37], v[34:35]
	v_add_f64_e32 v[36:37], v[153:154], v[157:158]
	s_delay_alu instid0(VALU_DEP_4) | instskip(NEXT) | instid1(VALU_DEP_4)
	v_fma_f64 v[153:154], v[4:5], v[10:11], v[155:156]
	v_fma_f64 v[155:156], v[2:3], v[10:11], -v[12:13]
	scratch_load_b128 v[10:13], off, off offset:496
	v_mul_f64_e32 v[159:160], v[6:7], v[147:148]
	v_mul_f64_e32 v[147:148], v[8:9], v[147:148]
	ds_load_b128 v[2:5], v1 offset:1536
	v_fma_f64 v[159:160], v[8:9], v[145:146], v[159:160]
	v_fma_f64 v[145:146], v[6:7], v[145:146], -v[147:148]
	ds_load_b128 v[6:9], v1 offset:1520
	s_wait_loadcnt_dscnt 0x700
	v_mul_f64_e32 v[147:148], v[6:7], v[16:17]
	v_mul_f64_e32 v[16:17], v[8:9], v[16:17]
	v_add_f64_e32 v[36:37], v[36:37], v[159:160]
	v_add_f64_e32 v[34:35], v[34:35], v[145:146]
	s_wait_loadcnt 0x6
	v_mul_f64_e32 v[145:146], v[2:3], v[20:21]
	v_mul_f64_e32 v[20:21], v[4:5], v[20:21]
	v_fma_f64 v[147:148], v[8:9], v[14:15], v[147:148]
	v_fma_f64 v[14:15], v[6:7], v[14:15], -v[16:17]
	ds_load_b128 v[6:9], v1 offset:1552
	v_add_f64_e32 v[16:17], v[34:35], v[155:156]
	v_add_f64_e32 v[34:35], v[36:37], v[153:154]
	v_fma_f64 v[145:146], v[4:5], v[18:19], v[145:146]
	v_fma_f64 v[18:19], v[2:3], v[18:19], -v[20:21]
	ds_load_b128 v[2:5], v1 offset:1568
	s_wait_loadcnt_dscnt 0x501
	v_mul_f64_e32 v[36:37], v[6:7], v[24:25]
	v_mul_f64_e32 v[24:25], v[8:9], v[24:25]
	s_wait_loadcnt_dscnt 0x400
	v_mul_f64_e32 v[20:21], v[2:3], v[28:29]
	v_mul_f64_e32 v[28:29], v[4:5], v[28:29]
	v_add_f64_e32 v[14:15], v[16:17], v[14:15]
	v_add_f64_e32 v[16:17], v[34:35], v[147:148]
	v_fma_f64 v[34:35], v[8:9], v[22:23], v[36:37]
	v_fma_f64 v[22:23], v[6:7], v[22:23], -v[24:25]
	ds_load_b128 v[6:9], v1 offset:1584
	v_fma_f64 v[20:21], v[4:5], v[26:27], v[20:21]
	v_fma_f64 v[26:27], v[2:3], v[26:27], -v[28:29]
	ds_load_b128 v[2:5], v1 offset:1600
	s_wait_loadcnt_dscnt 0x301
	v_mul_f64_e32 v[24:25], v[8:9], v[32:33]
	v_add_f64_e32 v[14:15], v[14:15], v[18:19]
	v_add_f64_e32 v[16:17], v[16:17], v[145:146]
	v_mul_f64_e32 v[18:19], v[6:7], v[32:33]
	s_wait_loadcnt_dscnt 0x200
	v_mul_f64_e32 v[28:29], v[4:5], v[40:41]
	v_fma_f64 v[24:25], v[6:7], v[30:31], -v[24:25]
	v_add_f64_e32 v[14:15], v[14:15], v[22:23]
	v_add_f64_e32 v[16:17], v[16:17], v[34:35]
	v_mul_f64_e32 v[22:23], v[2:3], v[40:41]
	v_fma_f64 v[18:19], v[8:9], v[30:31], v[18:19]
	ds_load_b128 v[6:9], v1 offset:1616
	v_fma_f64 v[1:2], v[2:3], v[38:39], -v[28:29]
	v_add_f64_e32 v[14:15], v[14:15], v[26:27]
	v_add_f64_e32 v[16:17], v[16:17], v[20:21]
	s_wait_loadcnt_dscnt 0x100
	v_mul_f64_e32 v[20:21], v[6:7], v[151:152]
	v_mul_f64_e32 v[26:27], v[8:9], v[151:152]
	v_fma_f64 v[4:5], v[4:5], v[38:39], v[22:23]
	v_add_f64_e32 v[14:15], v[14:15], v[24:25]
	v_add_f64_e32 v[16:17], v[16:17], v[18:19]
	v_fma_f64 v[8:9], v[8:9], v[149:150], v[20:21]
	v_fma_f64 v[6:7], v[6:7], v[149:150], -v[26:27]
	s_delay_alu instid0(VALU_DEP_4) | instskip(NEXT) | instid1(VALU_DEP_4)
	v_add_f64_e32 v[1:2], v[14:15], v[1:2]
	v_add_f64_e32 v[3:4], v[16:17], v[4:5]
	s_delay_alu instid0(VALU_DEP_2) | instskip(NEXT) | instid1(VALU_DEP_2)
	v_add_f64_e32 v[1:2], v[1:2], v[6:7]
	v_add_f64_e32 v[3:4], v[3:4], v[8:9]
	s_wait_loadcnt 0x0
	s_delay_alu instid0(VALU_DEP_2) | instskip(NEXT) | instid1(VALU_DEP_2)
	v_add_f64_e64 v[1:2], v[10:11], -v[1:2]
	v_add_f64_e64 v[3:4], v[12:13], -v[3:4]
	scratch_store_b128 off, v[1:4], off offset:496
	v_cmpx_lt_u32_e32 29, v0
	s_cbranch_execz .LBB50_261
; %bb.260:
	scratch_load_b128 v[1:4], off, s30
	v_mov_b32_e32 v5, 0
	s_delay_alu instid0(VALU_DEP_1)
	v_dual_mov_b32 v6, v5 :: v_dual_mov_b32 v7, v5
	v_mov_b32_e32 v8, v5
	scratch_store_b128 off, v[5:8], off offset:480
	s_wait_loadcnt 0x0
	ds_store_b128 v144, v[1:4]
.LBB50_261:
	s_wait_alu 0xfffe
	s_or_b32 exec_lo, exec_lo, s0
	s_wait_storecnt_dscnt 0x0
	s_barrier_signal -1
	s_barrier_wait -1
	global_inv scope:SCOPE_SE
	s_clause 0x7
	scratch_load_b128 v[2:5], off, off offset:496
	scratch_load_b128 v[6:9], off, off offset:512
	;; [unrolled: 1-line block ×8, first 2 shown]
	v_mov_b32_e32 v1, 0
	s_clause 0x1
	scratch_load_b128 v[38:41], off, off offset:624
	scratch_load_b128 v[149:152], off, off offset:640
	s_mov_b32 s0, exec_lo
	ds_load_b128 v[34:37], v1 offset:1296
	ds_load_b128 v[145:148], v1 offset:1312
	s_wait_loadcnt_dscnt 0x901
	v_mul_f64_e32 v[153:154], v[36:37], v[4:5]
	v_mul_f64_e32 v[4:5], v[34:35], v[4:5]
	s_wait_loadcnt_dscnt 0x800
	v_mul_f64_e32 v[155:156], v[145:146], v[8:9]
	v_mul_f64_e32 v[8:9], v[147:148], v[8:9]
	s_delay_alu instid0(VALU_DEP_4) | instskip(NEXT) | instid1(VALU_DEP_4)
	v_fma_f64 v[153:154], v[34:35], v[2:3], -v[153:154]
	v_fma_f64 v[157:158], v[36:37], v[2:3], v[4:5]
	ds_load_b128 v[2:5], v1 offset:1328
	scratch_load_b128 v[34:37], off, off offset:656
	v_fma_f64 v[155:156], v[147:148], v[6:7], v[155:156]
	v_fma_f64 v[161:162], v[145:146], v[6:7], -v[8:9]
	ds_load_b128 v[6:9], v1 offset:1344
	scratch_load_b128 v[145:148], off, off offset:672
	s_wait_loadcnt_dscnt 0x901
	v_mul_f64_e32 v[159:160], v[2:3], v[12:13]
	v_mul_f64_e32 v[12:13], v[4:5], v[12:13]
	s_wait_loadcnt_dscnt 0x800
	v_mul_f64_e32 v[163:164], v[6:7], v[16:17]
	v_mul_f64_e32 v[16:17], v[8:9], v[16:17]
	v_add_f64_e32 v[153:154], 0, v[153:154]
	v_add_f64_e32 v[157:158], 0, v[157:158]
	v_fma_f64 v[159:160], v[4:5], v[10:11], v[159:160]
	v_fma_f64 v[165:166], v[2:3], v[10:11], -v[12:13]
	ds_load_b128 v[2:5], v1 offset:1360
	scratch_load_b128 v[10:13], off, off offset:688
	v_add_f64_e32 v[153:154], v[153:154], v[161:162]
	v_add_f64_e32 v[155:156], v[157:158], v[155:156]
	v_fma_f64 v[161:162], v[8:9], v[14:15], v[163:164]
	v_fma_f64 v[163:164], v[6:7], v[14:15], -v[16:17]
	ds_load_b128 v[6:9], v1 offset:1376
	scratch_load_b128 v[14:17], off, off offset:704
	s_wait_loadcnt_dscnt 0x901
	v_mul_f64_e32 v[157:158], v[2:3], v[20:21]
	v_mul_f64_e32 v[20:21], v[4:5], v[20:21]
	v_add_f64_e32 v[153:154], v[153:154], v[165:166]
	v_add_f64_e32 v[155:156], v[155:156], v[159:160]
	s_wait_loadcnt_dscnt 0x800
	v_mul_f64_e32 v[159:160], v[6:7], v[24:25]
	v_mul_f64_e32 v[24:25], v[8:9], v[24:25]
	v_fma_f64 v[157:158], v[4:5], v[18:19], v[157:158]
	v_fma_f64 v[165:166], v[2:3], v[18:19], -v[20:21]
	ds_load_b128 v[2:5], v1 offset:1392
	scratch_load_b128 v[18:21], off, off offset:720
	v_add_f64_e32 v[153:154], v[153:154], v[163:164]
	v_add_f64_e32 v[155:156], v[155:156], v[161:162]
	v_fma_f64 v[159:160], v[8:9], v[22:23], v[159:160]
	v_fma_f64 v[163:164], v[6:7], v[22:23], -v[24:25]
	ds_load_b128 v[6:9], v1 offset:1408
	s_wait_loadcnt_dscnt 0x801
	v_mul_f64_e32 v[161:162], v[2:3], v[28:29]
	v_mul_f64_e32 v[28:29], v[4:5], v[28:29]
	scratch_load_b128 v[22:25], off, off offset:736
	v_add_f64_e32 v[153:154], v[153:154], v[165:166]
	v_add_f64_e32 v[155:156], v[155:156], v[157:158]
	s_wait_loadcnt_dscnt 0x800
	v_mul_f64_e32 v[157:158], v[6:7], v[32:33]
	v_mul_f64_e32 v[32:33], v[8:9], v[32:33]
	v_fma_f64 v[161:162], v[4:5], v[26:27], v[161:162]
	v_fma_f64 v[165:166], v[2:3], v[26:27], -v[28:29]
	ds_load_b128 v[2:5], v1 offset:1424
	scratch_load_b128 v[26:29], off, off offset:752
	v_add_f64_e32 v[153:154], v[153:154], v[163:164]
	v_add_f64_e32 v[155:156], v[155:156], v[159:160]
	v_fma_f64 v[157:158], v[8:9], v[30:31], v[157:158]
	v_fma_f64 v[163:164], v[6:7], v[30:31], -v[32:33]
	ds_load_b128 v[6:9], v1 offset:1440
	s_wait_loadcnt_dscnt 0x801
	v_mul_f64_e32 v[159:160], v[2:3], v[40:41]
	v_mul_f64_e32 v[40:41], v[4:5], v[40:41]
	scratch_load_b128 v[30:33], off, off offset:768
	v_add_f64_e32 v[153:154], v[153:154], v[165:166]
	v_add_f64_e32 v[155:156], v[155:156], v[161:162]
	s_wait_loadcnt_dscnt 0x800
	v_mul_f64_e32 v[161:162], v[6:7], v[151:152]
	v_mul_f64_e32 v[151:152], v[8:9], v[151:152]
	v_fma_f64 v[159:160], v[4:5], v[38:39], v[159:160]
	v_fma_f64 v[165:166], v[2:3], v[38:39], -v[40:41]
	ds_load_b128 v[2:5], v1 offset:1456
	scratch_load_b128 v[38:41], off, off offset:784
	v_add_f64_e32 v[153:154], v[153:154], v[163:164]
	v_add_f64_e32 v[155:156], v[155:156], v[157:158]
	v_fma_f64 v[161:162], v[8:9], v[149:150], v[161:162]
	v_fma_f64 v[163:164], v[6:7], v[149:150], -v[151:152]
	ds_load_b128 v[6:9], v1 offset:1472
	scratch_load_b128 v[149:152], off, off offset:800
	s_wait_loadcnt_dscnt 0x901
	v_mul_f64_e32 v[157:158], v[2:3], v[36:37]
	v_mul_f64_e32 v[36:37], v[4:5], v[36:37]
	v_add_f64_e32 v[153:154], v[153:154], v[165:166]
	v_add_f64_e32 v[155:156], v[155:156], v[159:160]
	s_wait_loadcnt_dscnt 0x800
	v_mul_f64_e32 v[159:160], v[6:7], v[147:148]
	v_mul_f64_e32 v[147:148], v[8:9], v[147:148]
	v_fma_f64 v[157:158], v[4:5], v[34:35], v[157:158]
	v_fma_f64 v[165:166], v[2:3], v[34:35], -v[36:37]
	ds_load_b128 v[2:5], v1 offset:1488
	scratch_load_b128 v[34:37], off, off offset:816
	v_add_f64_e32 v[153:154], v[153:154], v[163:164]
	v_add_f64_e32 v[155:156], v[155:156], v[161:162]
	v_fma_f64 v[159:160], v[8:9], v[145:146], v[159:160]
	v_fma_f64 v[145:146], v[6:7], v[145:146], -v[147:148]
	ds_load_b128 v[6:9], v1 offset:1504
	s_wait_loadcnt_dscnt 0x801
	v_mul_f64_e32 v[161:162], v[2:3], v[12:13]
	v_mul_f64_e32 v[12:13], v[4:5], v[12:13]
	v_add_f64_e32 v[147:148], v[153:154], v[165:166]
	v_add_f64_e32 v[153:154], v[155:156], v[157:158]
	s_wait_loadcnt_dscnt 0x700
	v_mul_f64_e32 v[155:156], v[6:7], v[16:17]
	v_mul_f64_e32 v[16:17], v[8:9], v[16:17]
	v_fma_f64 v[157:158], v[4:5], v[10:11], v[161:162]
	v_fma_f64 v[10:11], v[2:3], v[10:11], -v[12:13]
	ds_load_b128 v[2:5], v1 offset:1520
	v_add_f64_e32 v[12:13], v[147:148], v[145:146]
	v_add_f64_e32 v[145:146], v[153:154], v[159:160]
	v_fma_f64 v[153:154], v[8:9], v[14:15], v[155:156]
	v_fma_f64 v[14:15], v[6:7], v[14:15], -v[16:17]
	ds_load_b128 v[6:9], v1 offset:1536
	s_wait_loadcnt_dscnt 0x500
	v_mul_f64_e32 v[155:156], v[6:7], v[24:25]
	v_mul_f64_e32 v[24:25], v[8:9], v[24:25]
	v_add_f64_e32 v[16:17], v[12:13], v[10:11]
	v_add_f64_e32 v[145:146], v[145:146], v[157:158]
	scratch_load_b128 v[10:13], off, off offset:480
	v_mul_f64_e32 v[147:148], v[2:3], v[20:21]
	v_mul_f64_e32 v[20:21], v[4:5], v[20:21]
	v_add_f64_e32 v[14:15], v[16:17], v[14:15]
	v_add_f64_e32 v[16:17], v[145:146], v[153:154]
	v_fma_f64 v[145:146], v[8:9], v[22:23], v[155:156]
	v_fma_f64 v[147:148], v[4:5], v[18:19], v[147:148]
	v_fma_f64 v[18:19], v[2:3], v[18:19], -v[20:21]
	ds_load_b128 v[2:5], v1 offset:1552
	v_fma_f64 v[22:23], v[6:7], v[22:23], -v[24:25]
	ds_load_b128 v[6:9], v1 offset:1568
	s_wait_loadcnt_dscnt 0x501
	v_mul_f64_e32 v[20:21], v[2:3], v[28:29]
	v_mul_f64_e32 v[28:29], v[4:5], v[28:29]
	s_wait_loadcnt_dscnt 0x400
	v_mul_f64_e32 v[24:25], v[8:9], v[32:33]
	v_add_f64_e32 v[16:17], v[16:17], v[147:148]
	v_add_f64_e32 v[14:15], v[14:15], v[18:19]
	v_mul_f64_e32 v[18:19], v[6:7], v[32:33]
	v_fma_f64 v[20:21], v[4:5], v[26:27], v[20:21]
	v_fma_f64 v[26:27], v[2:3], v[26:27], -v[28:29]
	ds_load_b128 v[2:5], v1 offset:1584
	v_fma_f64 v[24:25], v[6:7], v[30:31], -v[24:25]
	v_add_f64_e32 v[16:17], v[16:17], v[145:146]
	v_add_f64_e32 v[14:15], v[14:15], v[22:23]
	v_fma_f64 v[18:19], v[8:9], v[30:31], v[18:19]
	ds_load_b128 v[6:9], v1 offset:1600
	s_wait_loadcnt_dscnt 0x301
	v_mul_f64_e32 v[22:23], v[2:3], v[40:41]
	v_mul_f64_e32 v[28:29], v[4:5], v[40:41]
	v_add_f64_e32 v[16:17], v[16:17], v[20:21]
	v_add_f64_e32 v[14:15], v[14:15], v[26:27]
	s_wait_loadcnt_dscnt 0x200
	v_mul_f64_e32 v[20:21], v[6:7], v[151:152]
	v_mul_f64_e32 v[26:27], v[8:9], v[151:152]
	v_fma_f64 v[22:23], v[4:5], v[38:39], v[22:23]
	v_fma_f64 v[28:29], v[2:3], v[38:39], -v[28:29]
	ds_load_b128 v[2:5], v1 offset:1616
	v_add_f64_e32 v[16:17], v[16:17], v[18:19]
	v_add_f64_e32 v[14:15], v[14:15], v[24:25]
	s_wait_loadcnt_dscnt 0x100
	v_mul_f64_e32 v[18:19], v[2:3], v[36:37]
	v_mul_f64_e32 v[24:25], v[4:5], v[36:37]
	v_fma_f64 v[8:9], v[8:9], v[149:150], v[20:21]
	v_fma_f64 v[6:7], v[6:7], v[149:150], -v[26:27]
	v_add_f64_e32 v[16:17], v[16:17], v[22:23]
	v_add_f64_e32 v[14:15], v[14:15], v[28:29]
	v_fma_f64 v[4:5], v[4:5], v[34:35], v[18:19]
	v_fma_f64 v[2:3], v[2:3], v[34:35], -v[24:25]
	s_delay_alu instid0(VALU_DEP_4) | instskip(NEXT) | instid1(VALU_DEP_4)
	v_add_f64_e32 v[8:9], v[16:17], v[8:9]
	v_add_f64_e32 v[6:7], v[14:15], v[6:7]
	s_delay_alu instid0(VALU_DEP_2) | instskip(NEXT) | instid1(VALU_DEP_2)
	v_add_f64_e32 v[4:5], v[8:9], v[4:5]
	v_add_f64_e32 v[2:3], v[6:7], v[2:3]
	s_wait_loadcnt 0x0
	s_delay_alu instid0(VALU_DEP_2) | instskip(NEXT) | instid1(VALU_DEP_2)
	v_add_f64_e64 v[4:5], v[12:13], -v[4:5]
	v_add_f64_e64 v[2:3], v[10:11], -v[2:3]
	scratch_store_b128 off, v[2:5], off offset:480
	v_cmpx_lt_u32_e32 28, v0
	s_cbranch_execz .LBB50_263
; %bb.262:
	scratch_load_b128 v[5:8], off, s31
	v_dual_mov_b32 v2, v1 :: v_dual_mov_b32 v3, v1
	v_mov_b32_e32 v4, v1
	scratch_store_b128 off, v[1:4], off offset:464
	s_wait_loadcnt 0x0
	ds_store_b128 v144, v[5:8]
.LBB50_263:
	s_wait_alu 0xfffe
	s_or_b32 exec_lo, exec_lo, s0
	s_wait_storecnt_dscnt 0x0
	s_barrier_signal -1
	s_barrier_wait -1
	global_inv scope:SCOPE_SE
	s_clause 0x7
	scratch_load_b128 v[2:5], off, off offset:480
	scratch_load_b128 v[6:9], off, off offset:496
	;; [unrolled: 1-line block ×8, first 2 shown]
	ds_load_b128 v[34:37], v1 offset:1280
	ds_load_b128 v[145:148], v1 offset:1296
	s_clause 0x1
	scratch_load_b128 v[38:41], off, off offset:608
	scratch_load_b128 v[149:152], off, off offset:624
	s_mov_b32 s0, exec_lo
	s_wait_loadcnt_dscnt 0x901
	v_mul_f64_e32 v[153:154], v[36:37], v[4:5]
	v_mul_f64_e32 v[4:5], v[34:35], v[4:5]
	s_wait_loadcnt_dscnt 0x800
	v_mul_f64_e32 v[155:156], v[145:146], v[8:9]
	v_mul_f64_e32 v[8:9], v[147:148], v[8:9]
	s_delay_alu instid0(VALU_DEP_4) | instskip(NEXT) | instid1(VALU_DEP_4)
	v_fma_f64 v[153:154], v[34:35], v[2:3], -v[153:154]
	v_fma_f64 v[157:158], v[36:37], v[2:3], v[4:5]
	ds_load_b128 v[2:5], v1 offset:1312
	scratch_load_b128 v[34:37], off, off offset:640
	v_fma_f64 v[155:156], v[147:148], v[6:7], v[155:156]
	v_fma_f64 v[161:162], v[145:146], v[6:7], -v[8:9]
	ds_load_b128 v[6:9], v1 offset:1328
	scratch_load_b128 v[145:148], off, off offset:656
	s_wait_loadcnt_dscnt 0x901
	v_mul_f64_e32 v[159:160], v[2:3], v[12:13]
	v_mul_f64_e32 v[12:13], v[4:5], v[12:13]
	s_wait_loadcnt_dscnt 0x800
	v_mul_f64_e32 v[163:164], v[6:7], v[16:17]
	v_mul_f64_e32 v[16:17], v[8:9], v[16:17]
	v_add_f64_e32 v[153:154], 0, v[153:154]
	v_add_f64_e32 v[157:158], 0, v[157:158]
	v_fma_f64 v[159:160], v[4:5], v[10:11], v[159:160]
	v_fma_f64 v[165:166], v[2:3], v[10:11], -v[12:13]
	ds_load_b128 v[2:5], v1 offset:1344
	scratch_load_b128 v[10:13], off, off offset:672
	v_add_f64_e32 v[153:154], v[153:154], v[161:162]
	v_add_f64_e32 v[155:156], v[157:158], v[155:156]
	v_fma_f64 v[161:162], v[8:9], v[14:15], v[163:164]
	v_fma_f64 v[163:164], v[6:7], v[14:15], -v[16:17]
	ds_load_b128 v[6:9], v1 offset:1360
	scratch_load_b128 v[14:17], off, off offset:688
	s_wait_loadcnt_dscnt 0x901
	v_mul_f64_e32 v[157:158], v[2:3], v[20:21]
	v_mul_f64_e32 v[20:21], v[4:5], v[20:21]
	v_add_f64_e32 v[153:154], v[153:154], v[165:166]
	v_add_f64_e32 v[155:156], v[155:156], v[159:160]
	s_wait_loadcnt_dscnt 0x800
	v_mul_f64_e32 v[159:160], v[6:7], v[24:25]
	v_mul_f64_e32 v[24:25], v[8:9], v[24:25]
	v_fma_f64 v[157:158], v[4:5], v[18:19], v[157:158]
	v_fma_f64 v[165:166], v[2:3], v[18:19], -v[20:21]
	ds_load_b128 v[2:5], v1 offset:1376
	scratch_load_b128 v[18:21], off, off offset:704
	v_add_f64_e32 v[153:154], v[153:154], v[163:164]
	v_add_f64_e32 v[155:156], v[155:156], v[161:162]
	v_fma_f64 v[159:160], v[8:9], v[22:23], v[159:160]
	v_fma_f64 v[163:164], v[6:7], v[22:23], -v[24:25]
	ds_load_b128 v[6:9], v1 offset:1392
	s_wait_loadcnt_dscnt 0x801
	v_mul_f64_e32 v[161:162], v[2:3], v[28:29]
	v_mul_f64_e32 v[28:29], v[4:5], v[28:29]
	scratch_load_b128 v[22:25], off, off offset:720
	v_add_f64_e32 v[153:154], v[153:154], v[165:166]
	v_add_f64_e32 v[155:156], v[155:156], v[157:158]
	s_wait_loadcnt_dscnt 0x800
	v_mul_f64_e32 v[157:158], v[6:7], v[32:33]
	v_mul_f64_e32 v[32:33], v[8:9], v[32:33]
	v_fma_f64 v[161:162], v[4:5], v[26:27], v[161:162]
	v_fma_f64 v[165:166], v[2:3], v[26:27], -v[28:29]
	ds_load_b128 v[2:5], v1 offset:1408
	scratch_load_b128 v[26:29], off, off offset:736
	v_add_f64_e32 v[153:154], v[153:154], v[163:164]
	v_add_f64_e32 v[155:156], v[155:156], v[159:160]
	v_fma_f64 v[157:158], v[8:9], v[30:31], v[157:158]
	v_fma_f64 v[163:164], v[6:7], v[30:31], -v[32:33]
	ds_load_b128 v[6:9], v1 offset:1424
	s_wait_loadcnt_dscnt 0x801
	v_mul_f64_e32 v[159:160], v[2:3], v[40:41]
	v_mul_f64_e32 v[40:41], v[4:5], v[40:41]
	scratch_load_b128 v[30:33], off, off offset:752
	v_add_f64_e32 v[153:154], v[153:154], v[165:166]
	v_add_f64_e32 v[155:156], v[155:156], v[161:162]
	s_wait_loadcnt_dscnt 0x800
	v_mul_f64_e32 v[161:162], v[6:7], v[151:152]
	v_mul_f64_e32 v[151:152], v[8:9], v[151:152]
	v_fma_f64 v[159:160], v[4:5], v[38:39], v[159:160]
	v_fma_f64 v[165:166], v[2:3], v[38:39], -v[40:41]
	ds_load_b128 v[2:5], v1 offset:1440
	scratch_load_b128 v[38:41], off, off offset:768
	v_add_f64_e32 v[153:154], v[153:154], v[163:164]
	v_add_f64_e32 v[155:156], v[155:156], v[157:158]
	v_fma_f64 v[161:162], v[8:9], v[149:150], v[161:162]
	v_fma_f64 v[163:164], v[6:7], v[149:150], -v[151:152]
	ds_load_b128 v[6:9], v1 offset:1456
	scratch_load_b128 v[149:152], off, off offset:784
	s_wait_loadcnt_dscnt 0x901
	v_mul_f64_e32 v[157:158], v[2:3], v[36:37]
	v_mul_f64_e32 v[36:37], v[4:5], v[36:37]
	v_add_f64_e32 v[153:154], v[153:154], v[165:166]
	v_add_f64_e32 v[155:156], v[155:156], v[159:160]
	s_wait_loadcnt_dscnt 0x800
	v_mul_f64_e32 v[159:160], v[6:7], v[147:148]
	v_mul_f64_e32 v[147:148], v[8:9], v[147:148]
	v_fma_f64 v[157:158], v[4:5], v[34:35], v[157:158]
	v_fma_f64 v[165:166], v[2:3], v[34:35], -v[36:37]
	ds_load_b128 v[2:5], v1 offset:1472
	scratch_load_b128 v[34:37], off, off offset:800
	v_add_f64_e32 v[153:154], v[153:154], v[163:164]
	v_add_f64_e32 v[155:156], v[155:156], v[161:162]
	v_fma_f64 v[159:160], v[8:9], v[145:146], v[159:160]
	v_fma_f64 v[163:164], v[6:7], v[145:146], -v[147:148]
	ds_load_b128 v[6:9], v1 offset:1488
	s_wait_loadcnt_dscnt 0x801
	v_mul_f64_e32 v[161:162], v[2:3], v[12:13]
	v_mul_f64_e32 v[12:13], v[4:5], v[12:13]
	scratch_load_b128 v[145:148], off, off offset:816
	v_add_f64_e32 v[153:154], v[153:154], v[165:166]
	v_add_f64_e32 v[155:156], v[155:156], v[157:158]
	s_wait_loadcnt_dscnt 0x800
	v_mul_f64_e32 v[157:158], v[6:7], v[16:17]
	v_mul_f64_e32 v[16:17], v[8:9], v[16:17]
	v_fma_f64 v[161:162], v[4:5], v[10:11], v[161:162]
	v_fma_f64 v[10:11], v[2:3], v[10:11], -v[12:13]
	ds_load_b128 v[2:5], v1 offset:1504
	v_add_f64_e32 v[12:13], v[153:154], v[163:164]
	v_add_f64_e32 v[153:154], v[155:156], v[159:160]
	v_fma_f64 v[157:158], v[8:9], v[14:15], v[157:158]
	v_fma_f64 v[14:15], v[6:7], v[14:15], -v[16:17]
	ds_load_b128 v[6:9], v1 offset:1520
	s_wait_loadcnt_dscnt 0x701
	v_mul_f64_e32 v[155:156], v[2:3], v[20:21]
	v_mul_f64_e32 v[20:21], v[4:5], v[20:21]
	v_add_f64_e32 v[10:11], v[12:13], v[10:11]
	v_add_f64_e32 v[12:13], v[153:154], v[161:162]
	s_delay_alu instid0(VALU_DEP_4) | instskip(NEXT) | instid1(VALU_DEP_4)
	v_fma_f64 v[153:154], v[4:5], v[18:19], v[155:156]
	v_fma_f64 v[18:19], v[2:3], v[18:19], -v[20:21]
	ds_load_b128 v[2:5], v1 offset:1536
	v_add_f64_e32 v[14:15], v[10:11], v[14:15]
	v_add_f64_e32 v[20:21], v[12:13], v[157:158]
	scratch_load_b128 v[10:13], off, off offset:464
	s_wait_loadcnt_dscnt 0x701
	v_mul_f64_e32 v[16:17], v[6:7], v[24:25]
	v_mul_f64_e32 v[24:25], v[8:9], v[24:25]
	v_add_f64_e32 v[14:15], v[14:15], v[18:19]
	v_add_f64_e32 v[18:19], v[20:21], v[153:154]
	s_delay_alu instid0(VALU_DEP_4) | instskip(NEXT) | instid1(VALU_DEP_4)
	v_fma_f64 v[16:17], v[8:9], v[22:23], v[16:17]
	v_fma_f64 v[22:23], v[6:7], v[22:23], -v[24:25]
	ds_load_b128 v[6:9], v1 offset:1552
	s_wait_loadcnt_dscnt 0x601
	v_mul_f64_e32 v[155:156], v[2:3], v[28:29]
	v_mul_f64_e32 v[28:29], v[4:5], v[28:29]
	s_wait_loadcnt_dscnt 0x500
	v_mul_f64_e32 v[20:21], v[6:7], v[32:33]
	v_mul_f64_e32 v[24:25], v[8:9], v[32:33]
	v_add_f64_e32 v[16:17], v[18:19], v[16:17]
	v_add_f64_e32 v[14:15], v[14:15], v[22:23]
	v_fma_f64 v[32:33], v[4:5], v[26:27], v[155:156]
	v_fma_f64 v[26:27], v[2:3], v[26:27], -v[28:29]
	ds_load_b128 v[2:5], v1 offset:1568
	v_fma_f64 v[20:21], v[8:9], v[30:31], v[20:21]
	v_fma_f64 v[24:25], v[6:7], v[30:31], -v[24:25]
	ds_load_b128 v[6:9], v1 offset:1584
	s_wait_loadcnt_dscnt 0x401
	v_mul_f64_e32 v[18:19], v[2:3], v[40:41]
	v_mul_f64_e32 v[22:23], v[4:5], v[40:41]
	v_add_f64_e32 v[16:17], v[16:17], v[32:33]
	v_add_f64_e32 v[14:15], v[14:15], v[26:27]
	s_wait_loadcnt_dscnt 0x300
	v_mul_f64_e32 v[26:27], v[6:7], v[151:152]
	v_mul_f64_e32 v[28:29], v[8:9], v[151:152]
	v_fma_f64 v[18:19], v[4:5], v[38:39], v[18:19]
	v_fma_f64 v[22:23], v[2:3], v[38:39], -v[22:23]
	ds_load_b128 v[2:5], v1 offset:1600
	v_add_f64_e32 v[16:17], v[16:17], v[20:21]
	v_add_f64_e32 v[14:15], v[14:15], v[24:25]
	v_fma_f64 v[26:27], v[8:9], v[149:150], v[26:27]
	v_fma_f64 v[28:29], v[6:7], v[149:150], -v[28:29]
	ds_load_b128 v[6:9], v1 offset:1616
	s_wait_loadcnt_dscnt 0x201
	v_mul_f64_e32 v[20:21], v[2:3], v[36:37]
	v_mul_f64_e32 v[24:25], v[4:5], v[36:37]
	v_add_f64_e32 v[16:17], v[16:17], v[18:19]
	v_add_f64_e32 v[14:15], v[14:15], v[22:23]
	s_wait_loadcnt_dscnt 0x100
	v_mul_f64_e32 v[18:19], v[6:7], v[147:148]
	v_mul_f64_e32 v[22:23], v[8:9], v[147:148]
	v_fma_f64 v[4:5], v[4:5], v[34:35], v[20:21]
	v_fma_f64 v[1:2], v[2:3], v[34:35], -v[24:25]
	v_add_f64_e32 v[16:17], v[16:17], v[26:27]
	v_add_f64_e32 v[14:15], v[14:15], v[28:29]
	v_fma_f64 v[8:9], v[8:9], v[145:146], v[18:19]
	v_fma_f64 v[6:7], v[6:7], v[145:146], -v[22:23]
	s_delay_alu instid0(VALU_DEP_4) | instskip(NEXT) | instid1(VALU_DEP_4)
	v_add_f64_e32 v[3:4], v[16:17], v[4:5]
	v_add_f64_e32 v[1:2], v[14:15], v[1:2]
	s_delay_alu instid0(VALU_DEP_2) | instskip(NEXT) | instid1(VALU_DEP_2)
	v_add_f64_e32 v[3:4], v[3:4], v[8:9]
	v_add_f64_e32 v[1:2], v[1:2], v[6:7]
	s_wait_loadcnt 0x0
	s_delay_alu instid0(VALU_DEP_2) | instskip(NEXT) | instid1(VALU_DEP_2)
	v_add_f64_e64 v[3:4], v[12:13], -v[3:4]
	v_add_f64_e64 v[1:2], v[10:11], -v[1:2]
	scratch_store_b128 off, v[1:4], off offset:464
	v_cmpx_lt_u32_e32 27, v0
	s_cbranch_execz .LBB50_265
; %bb.264:
	scratch_load_b128 v[1:4], off, s33
	v_mov_b32_e32 v5, 0
	s_delay_alu instid0(VALU_DEP_1)
	v_dual_mov_b32 v6, v5 :: v_dual_mov_b32 v7, v5
	v_mov_b32_e32 v8, v5
	scratch_store_b128 off, v[5:8], off offset:448
	s_wait_loadcnt 0x0
	ds_store_b128 v144, v[1:4]
.LBB50_265:
	s_wait_alu 0xfffe
	s_or_b32 exec_lo, exec_lo, s0
	s_wait_storecnt_dscnt 0x0
	s_barrier_signal -1
	s_barrier_wait -1
	global_inv scope:SCOPE_SE
	s_clause 0x7
	scratch_load_b128 v[2:5], off, off offset:464
	scratch_load_b128 v[6:9], off, off offset:480
	;; [unrolled: 1-line block ×8, first 2 shown]
	v_mov_b32_e32 v1, 0
	s_clause 0x1
	scratch_load_b128 v[38:41], off, off offset:592
	scratch_load_b128 v[149:152], off, off offset:608
	s_mov_b32 s0, exec_lo
	ds_load_b128 v[34:37], v1 offset:1264
	ds_load_b128 v[145:148], v1 offset:1280
	s_wait_loadcnt_dscnt 0x901
	v_mul_f64_e32 v[153:154], v[36:37], v[4:5]
	v_mul_f64_e32 v[4:5], v[34:35], v[4:5]
	s_wait_loadcnt_dscnt 0x800
	v_mul_f64_e32 v[155:156], v[145:146], v[8:9]
	v_mul_f64_e32 v[8:9], v[147:148], v[8:9]
	s_delay_alu instid0(VALU_DEP_4) | instskip(NEXT) | instid1(VALU_DEP_4)
	v_fma_f64 v[153:154], v[34:35], v[2:3], -v[153:154]
	v_fma_f64 v[157:158], v[36:37], v[2:3], v[4:5]
	ds_load_b128 v[2:5], v1 offset:1296
	scratch_load_b128 v[34:37], off, off offset:624
	v_fma_f64 v[155:156], v[147:148], v[6:7], v[155:156]
	v_fma_f64 v[161:162], v[145:146], v[6:7], -v[8:9]
	ds_load_b128 v[6:9], v1 offset:1312
	scratch_load_b128 v[145:148], off, off offset:640
	s_wait_loadcnt_dscnt 0x901
	v_mul_f64_e32 v[159:160], v[2:3], v[12:13]
	v_mul_f64_e32 v[12:13], v[4:5], v[12:13]
	s_wait_loadcnt_dscnt 0x800
	v_mul_f64_e32 v[163:164], v[6:7], v[16:17]
	v_mul_f64_e32 v[16:17], v[8:9], v[16:17]
	v_add_f64_e32 v[153:154], 0, v[153:154]
	v_add_f64_e32 v[157:158], 0, v[157:158]
	v_fma_f64 v[159:160], v[4:5], v[10:11], v[159:160]
	v_fma_f64 v[165:166], v[2:3], v[10:11], -v[12:13]
	ds_load_b128 v[2:5], v1 offset:1328
	scratch_load_b128 v[10:13], off, off offset:656
	v_add_f64_e32 v[153:154], v[153:154], v[161:162]
	v_add_f64_e32 v[155:156], v[157:158], v[155:156]
	v_fma_f64 v[161:162], v[8:9], v[14:15], v[163:164]
	v_fma_f64 v[163:164], v[6:7], v[14:15], -v[16:17]
	ds_load_b128 v[6:9], v1 offset:1344
	scratch_load_b128 v[14:17], off, off offset:672
	s_wait_loadcnt_dscnt 0x901
	v_mul_f64_e32 v[157:158], v[2:3], v[20:21]
	v_mul_f64_e32 v[20:21], v[4:5], v[20:21]
	v_add_f64_e32 v[153:154], v[153:154], v[165:166]
	v_add_f64_e32 v[155:156], v[155:156], v[159:160]
	s_wait_loadcnt_dscnt 0x800
	v_mul_f64_e32 v[159:160], v[6:7], v[24:25]
	v_mul_f64_e32 v[24:25], v[8:9], v[24:25]
	v_fma_f64 v[157:158], v[4:5], v[18:19], v[157:158]
	v_fma_f64 v[165:166], v[2:3], v[18:19], -v[20:21]
	ds_load_b128 v[2:5], v1 offset:1360
	scratch_load_b128 v[18:21], off, off offset:688
	v_add_f64_e32 v[153:154], v[153:154], v[163:164]
	v_add_f64_e32 v[155:156], v[155:156], v[161:162]
	v_fma_f64 v[159:160], v[8:9], v[22:23], v[159:160]
	v_fma_f64 v[163:164], v[6:7], v[22:23], -v[24:25]
	ds_load_b128 v[6:9], v1 offset:1376
	s_wait_loadcnt_dscnt 0x801
	v_mul_f64_e32 v[161:162], v[2:3], v[28:29]
	v_mul_f64_e32 v[28:29], v[4:5], v[28:29]
	scratch_load_b128 v[22:25], off, off offset:704
	v_add_f64_e32 v[153:154], v[153:154], v[165:166]
	v_add_f64_e32 v[155:156], v[155:156], v[157:158]
	s_wait_loadcnt_dscnt 0x800
	v_mul_f64_e32 v[157:158], v[6:7], v[32:33]
	v_mul_f64_e32 v[32:33], v[8:9], v[32:33]
	v_fma_f64 v[161:162], v[4:5], v[26:27], v[161:162]
	v_fma_f64 v[165:166], v[2:3], v[26:27], -v[28:29]
	ds_load_b128 v[2:5], v1 offset:1392
	scratch_load_b128 v[26:29], off, off offset:720
	v_add_f64_e32 v[153:154], v[153:154], v[163:164]
	v_add_f64_e32 v[155:156], v[155:156], v[159:160]
	v_fma_f64 v[157:158], v[8:9], v[30:31], v[157:158]
	v_fma_f64 v[163:164], v[6:7], v[30:31], -v[32:33]
	ds_load_b128 v[6:9], v1 offset:1408
	s_wait_loadcnt_dscnt 0x801
	v_mul_f64_e32 v[159:160], v[2:3], v[40:41]
	v_mul_f64_e32 v[40:41], v[4:5], v[40:41]
	scratch_load_b128 v[30:33], off, off offset:736
	v_add_f64_e32 v[153:154], v[153:154], v[165:166]
	v_add_f64_e32 v[155:156], v[155:156], v[161:162]
	s_wait_loadcnt_dscnt 0x800
	v_mul_f64_e32 v[161:162], v[6:7], v[151:152]
	v_mul_f64_e32 v[151:152], v[8:9], v[151:152]
	v_fma_f64 v[159:160], v[4:5], v[38:39], v[159:160]
	v_fma_f64 v[165:166], v[2:3], v[38:39], -v[40:41]
	ds_load_b128 v[2:5], v1 offset:1424
	scratch_load_b128 v[38:41], off, off offset:752
	v_add_f64_e32 v[153:154], v[153:154], v[163:164]
	v_add_f64_e32 v[155:156], v[155:156], v[157:158]
	v_fma_f64 v[161:162], v[8:9], v[149:150], v[161:162]
	v_fma_f64 v[163:164], v[6:7], v[149:150], -v[151:152]
	ds_load_b128 v[6:9], v1 offset:1440
	scratch_load_b128 v[149:152], off, off offset:768
	s_wait_loadcnt_dscnt 0x901
	v_mul_f64_e32 v[157:158], v[2:3], v[36:37]
	v_mul_f64_e32 v[36:37], v[4:5], v[36:37]
	v_add_f64_e32 v[153:154], v[153:154], v[165:166]
	v_add_f64_e32 v[155:156], v[155:156], v[159:160]
	s_wait_loadcnt_dscnt 0x800
	v_mul_f64_e32 v[159:160], v[6:7], v[147:148]
	v_mul_f64_e32 v[147:148], v[8:9], v[147:148]
	v_fma_f64 v[157:158], v[4:5], v[34:35], v[157:158]
	v_fma_f64 v[165:166], v[2:3], v[34:35], -v[36:37]
	ds_load_b128 v[2:5], v1 offset:1456
	scratch_load_b128 v[34:37], off, off offset:784
	v_add_f64_e32 v[153:154], v[153:154], v[163:164]
	v_add_f64_e32 v[155:156], v[155:156], v[161:162]
	v_fma_f64 v[159:160], v[8:9], v[145:146], v[159:160]
	v_fma_f64 v[163:164], v[6:7], v[145:146], -v[147:148]
	ds_load_b128 v[6:9], v1 offset:1472
	s_wait_loadcnt_dscnt 0x801
	v_mul_f64_e32 v[161:162], v[2:3], v[12:13]
	v_mul_f64_e32 v[12:13], v[4:5], v[12:13]
	scratch_load_b128 v[145:148], off, off offset:800
	v_add_f64_e32 v[153:154], v[153:154], v[165:166]
	v_add_f64_e32 v[155:156], v[155:156], v[157:158]
	s_wait_loadcnt_dscnt 0x800
	v_mul_f64_e32 v[157:158], v[6:7], v[16:17]
	v_mul_f64_e32 v[16:17], v[8:9], v[16:17]
	v_fma_f64 v[161:162], v[4:5], v[10:11], v[161:162]
	v_fma_f64 v[165:166], v[2:3], v[10:11], -v[12:13]
	ds_load_b128 v[2:5], v1 offset:1488
	scratch_load_b128 v[10:13], off, off offset:816
	v_add_f64_e32 v[153:154], v[153:154], v[163:164]
	v_add_f64_e32 v[155:156], v[155:156], v[159:160]
	v_fma_f64 v[157:158], v[8:9], v[14:15], v[157:158]
	v_fma_f64 v[14:15], v[6:7], v[14:15], -v[16:17]
	ds_load_b128 v[6:9], v1 offset:1504
	s_wait_loadcnt_dscnt 0x801
	v_mul_f64_e32 v[159:160], v[2:3], v[20:21]
	v_mul_f64_e32 v[20:21], v[4:5], v[20:21]
	v_add_f64_e32 v[16:17], v[153:154], v[165:166]
	v_add_f64_e32 v[153:154], v[155:156], v[161:162]
	s_wait_loadcnt_dscnt 0x700
	v_mul_f64_e32 v[155:156], v[6:7], v[24:25]
	v_mul_f64_e32 v[24:25], v[8:9], v[24:25]
	v_fma_f64 v[159:160], v[4:5], v[18:19], v[159:160]
	v_fma_f64 v[18:19], v[2:3], v[18:19], -v[20:21]
	ds_load_b128 v[2:5], v1 offset:1520
	v_add_f64_e32 v[14:15], v[16:17], v[14:15]
	v_add_f64_e32 v[16:17], v[153:154], v[157:158]
	v_fma_f64 v[153:154], v[8:9], v[22:23], v[155:156]
	v_fma_f64 v[22:23], v[6:7], v[22:23], -v[24:25]
	ds_load_b128 v[6:9], v1 offset:1536
	s_wait_loadcnt_dscnt 0x500
	v_mul_f64_e32 v[155:156], v[6:7], v[32:33]
	v_mul_f64_e32 v[32:33], v[8:9], v[32:33]
	v_add_f64_e32 v[18:19], v[14:15], v[18:19]
	v_add_f64_e32 v[24:25], v[16:17], v[159:160]
	scratch_load_b128 v[14:17], off, off offset:448
	v_mul_f64_e32 v[20:21], v[2:3], v[28:29]
	v_mul_f64_e32 v[28:29], v[4:5], v[28:29]
	v_add_f64_e32 v[18:19], v[18:19], v[22:23]
	v_add_f64_e32 v[22:23], v[24:25], v[153:154]
	s_delay_alu instid0(VALU_DEP_4) | instskip(NEXT) | instid1(VALU_DEP_4)
	v_fma_f64 v[20:21], v[4:5], v[26:27], v[20:21]
	v_fma_f64 v[26:27], v[2:3], v[26:27], -v[28:29]
	ds_load_b128 v[2:5], v1 offset:1552
	s_wait_loadcnt_dscnt 0x500
	v_mul_f64_e32 v[24:25], v[2:3], v[40:41]
	v_mul_f64_e32 v[28:29], v[4:5], v[40:41]
	v_fma_f64 v[40:41], v[8:9], v[30:31], v[155:156]
	v_fma_f64 v[30:31], v[6:7], v[30:31], -v[32:33]
	ds_load_b128 v[6:9], v1 offset:1568
	v_add_f64_e32 v[20:21], v[22:23], v[20:21]
	v_add_f64_e32 v[18:19], v[18:19], v[26:27]
	v_fma_f64 v[24:25], v[4:5], v[38:39], v[24:25]
	v_fma_f64 v[28:29], v[2:3], v[38:39], -v[28:29]
	ds_load_b128 v[2:5], v1 offset:1584
	s_wait_loadcnt_dscnt 0x401
	v_mul_f64_e32 v[22:23], v[6:7], v[151:152]
	v_mul_f64_e32 v[26:27], v[8:9], v[151:152]
	v_add_f64_e32 v[20:21], v[20:21], v[40:41]
	v_add_f64_e32 v[18:19], v[18:19], v[30:31]
	s_wait_loadcnt_dscnt 0x300
	v_mul_f64_e32 v[30:31], v[2:3], v[36:37]
	v_mul_f64_e32 v[32:33], v[4:5], v[36:37]
	v_fma_f64 v[22:23], v[8:9], v[149:150], v[22:23]
	v_fma_f64 v[26:27], v[6:7], v[149:150], -v[26:27]
	ds_load_b128 v[6:9], v1 offset:1600
	v_add_f64_e32 v[20:21], v[20:21], v[24:25]
	v_add_f64_e32 v[18:19], v[18:19], v[28:29]
	v_fma_f64 v[30:31], v[4:5], v[34:35], v[30:31]
	v_fma_f64 v[32:33], v[2:3], v[34:35], -v[32:33]
	ds_load_b128 v[2:5], v1 offset:1616
	s_wait_loadcnt_dscnt 0x201
	v_mul_f64_e32 v[24:25], v[6:7], v[147:148]
	v_mul_f64_e32 v[28:29], v[8:9], v[147:148]
	v_add_f64_e32 v[20:21], v[20:21], v[22:23]
	v_add_f64_e32 v[18:19], v[18:19], v[26:27]
	s_wait_loadcnt_dscnt 0x100
	v_mul_f64_e32 v[22:23], v[2:3], v[12:13]
	v_mul_f64_e32 v[12:13], v[4:5], v[12:13]
	v_fma_f64 v[8:9], v[8:9], v[145:146], v[24:25]
	v_fma_f64 v[6:7], v[6:7], v[145:146], -v[28:29]
	v_add_f64_e32 v[20:21], v[20:21], v[30:31]
	v_add_f64_e32 v[18:19], v[18:19], v[32:33]
	v_fma_f64 v[4:5], v[4:5], v[10:11], v[22:23]
	v_fma_f64 v[2:3], v[2:3], v[10:11], -v[12:13]
	s_delay_alu instid0(VALU_DEP_4) | instskip(NEXT) | instid1(VALU_DEP_4)
	v_add_f64_e32 v[8:9], v[20:21], v[8:9]
	v_add_f64_e32 v[6:7], v[18:19], v[6:7]
	s_delay_alu instid0(VALU_DEP_2) | instskip(NEXT) | instid1(VALU_DEP_2)
	v_add_f64_e32 v[4:5], v[8:9], v[4:5]
	v_add_f64_e32 v[2:3], v[6:7], v[2:3]
	s_wait_loadcnt 0x0
	s_delay_alu instid0(VALU_DEP_2) | instskip(NEXT) | instid1(VALU_DEP_2)
	v_add_f64_e64 v[4:5], v[16:17], -v[4:5]
	v_add_f64_e64 v[2:3], v[14:15], -v[2:3]
	scratch_store_b128 off, v[2:5], off offset:448
	v_cmpx_lt_u32_e32 26, v0
	s_cbranch_execz .LBB50_267
; %bb.266:
	scratch_load_b128 v[5:8], off, s35
	v_dual_mov_b32 v2, v1 :: v_dual_mov_b32 v3, v1
	v_mov_b32_e32 v4, v1
	scratch_store_b128 off, v[1:4], off offset:432
	s_wait_loadcnt 0x0
	ds_store_b128 v144, v[5:8]
.LBB50_267:
	s_wait_alu 0xfffe
	s_or_b32 exec_lo, exec_lo, s0
	s_wait_storecnt_dscnt 0x0
	s_barrier_signal -1
	s_barrier_wait -1
	global_inv scope:SCOPE_SE
	s_clause 0x7
	scratch_load_b128 v[2:5], off, off offset:448
	scratch_load_b128 v[6:9], off, off offset:464
	;; [unrolled: 1-line block ×8, first 2 shown]
	ds_load_b128 v[34:37], v1 offset:1248
	ds_load_b128 v[145:148], v1 offset:1264
	s_clause 0x1
	scratch_load_b128 v[38:41], off, off offset:576
	scratch_load_b128 v[149:152], off, off offset:592
	s_mov_b32 s0, exec_lo
	s_wait_loadcnt_dscnt 0x901
	v_mul_f64_e32 v[153:154], v[36:37], v[4:5]
	v_mul_f64_e32 v[4:5], v[34:35], v[4:5]
	s_wait_loadcnt_dscnt 0x800
	v_mul_f64_e32 v[155:156], v[145:146], v[8:9]
	v_mul_f64_e32 v[8:9], v[147:148], v[8:9]
	s_delay_alu instid0(VALU_DEP_4) | instskip(NEXT) | instid1(VALU_DEP_4)
	v_fma_f64 v[153:154], v[34:35], v[2:3], -v[153:154]
	v_fma_f64 v[157:158], v[36:37], v[2:3], v[4:5]
	ds_load_b128 v[2:5], v1 offset:1280
	scratch_load_b128 v[34:37], off, off offset:608
	v_fma_f64 v[155:156], v[147:148], v[6:7], v[155:156]
	v_fma_f64 v[161:162], v[145:146], v[6:7], -v[8:9]
	ds_load_b128 v[6:9], v1 offset:1296
	scratch_load_b128 v[145:148], off, off offset:624
	s_wait_loadcnt_dscnt 0x901
	v_mul_f64_e32 v[159:160], v[2:3], v[12:13]
	v_mul_f64_e32 v[12:13], v[4:5], v[12:13]
	s_wait_loadcnt_dscnt 0x800
	v_mul_f64_e32 v[163:164], v[6:7], v[16:17]
	v_mul_f64_e32 v[16:17], v[8:9], v[16:17]
	v_add_f64_e32 v[153:154], 0, v[153:154]
	v_add_f64_e32 v[157:158], 0, v[157:158]
	v_fma_f64 v[159:160], v[4:5], v[10:11], v[159:160]
	v_fma_f64 v[165:166], v[2:3], v[10:11], -v[12:13]
	ds_load_b128 v[2:5], v1 offset:1312
	scratch_load_b128 v[10:13], off, off offset:640
	v_add_f64_e32 v[153:154], v[153:154], v[161:162]
	v_add_f64_e32 v[155:156], v[157:158], v[155:156]
	v_fma_f64 v[161:162], v[8:9], v[14:15], v[163:164]
	v_fma_f64 v[163:164], v[6:7], v[14:15], -v[16:17]
	ds_load_b128 v[6:9], v1 offset:1328
	scratch_load_b128 v[14:17], off, off offset:656
	s_wait_loadcnt_dscnt 0x901
	v_mul_f64_e32 v[157:158], v[2:3], v[20:21]
	v_mul_f64_e32 v[20:21], v[4:5], v[20:21]
	v_add_f64_e32 v[153:154], v[153:154], v[165:166]
	v_add_f64_e32 v[155:156], v[155:156], v[159:160]
	s_wait_loadcnt_dscnt 0x800
	v_mul_f64_e32 v[159:160], v[6:7], v[24:25]
	v_mul_f64_e32 v[24:25], v[8:9], v[24:25]
	v_fma_f64 v[157:158], v[4:5], v[18:19], v[157:158]
	v_fma_f64 v[165:166], v[2:3], v[18:19], -v[20:21]
	ds_load_b128 v[2:5], v1 offset:1344
	scratch_load_b128 v[18:21], off, off offset:672
	v_add_f64_e32 v[153:154], v[153:154], v[163:164]
	v_add_f64_e32 v[155:156], v[155:156], v[161:162]
	v_fma_f64 v[159:160], v[8:9], v[22:23], v[159:160]
	v_fma_f64 v[163:164], v[6:7], v[22:23], -v[24:25]
	ds_load_b128 v[6:9], v1 offset:1360
	s_wait_loadcnt_dscnt 0x801
	v_mul_f64_e32 v[161:162], v[2:3], v[28:29]
	v_mul_f64_e32 v[28:29], v[4:5], v[28:29]
	scratch_load_b128 v[22:25], off, off offset:688
	v_add_f64_e32 v[153:154], v[153:154], v[165:166]
	v_add_f64_e32 v[155:156], v[155:156], v[157:158]
	s_wait_loadcnt_dscnt 0x800
	v_mul_f64_e32 v[157:158], v[6:7], v[32:33]
	v_mul_f64_e32 v[32:33], v[8:9], v[32:33]
	v_fma_f64 v[161:162], v[4:5], v[26:27], v[161:162]
	v_fma_f64 v[165:166], v[2:3], v[26:27], -v[28:29]
	ds_load_b128 v[2:5], v1 offset:1376
	scratch_load_b128 v[26:29], off, off offset:704
	v_add_f64_e32 v[153:154], v[153:154], v[163:164]
	v_add_f64_e32 v[155:156], v[155:156], v[159:160]
	v_fma_f64 v[157:158], v[8:9], v[30:31], v[157:158]
	v_fma_f64 v[163:164], v[6:7], v[30:31], -v[32:33]
	ds_load_b128 v[6:9], v1 offset:1392
	s_wait_loadcnt_dscnt 0x801
	v_mul_f64_e32 v[159:160], v[2:3], v[40:41]
	v_mul_f64_e32 v[40:41], v[4:5], v[40:41]
	scratch_load_b128 v[30:33], off, off offset:720
	v_add_f64_e32 v[153:154], v[153:154], v[165:166]
	v_add_f64_e32 v[155:156], v[155:156], v[161:162]
	s_wait_loadcnt_dscnt 0x800
	v_mul_f64_e32 v[161:162], v[6:7], v[151:152]
	v_mul_f64_e32 v[151:152], v[8:9], v[151:152]
	v_fma_f64 v[159:160], v[4:5], v[38:39], v[159:160]
	v_fma_f64 v[165:166], v[2:3], v[38:39], -v[40:41]
	ds_load_b128 v[2:5], v1 offset:1408
	scratch_load_b128 v[38:41], off, off offset:736
	v_add_f64_e32 v[153:154], v[153:154], v[163:164]
	v_add_f64_e32 v[155:156], v[155:156], v[157:158]
	v_fma_f64 v[161:162], v[8:9], v[149:150], v[161:162]
	v_fma_f64 v[163:164], v[6:7], v[149:150], -v[151:152]
	ds_load_b128 v[6:9], v1 offset:1424
	scratch_load_b128 v[149:152], off, off offset:752
	s_wait_loadcnt_dscnt 0x901
	v_mul_f64_e32 v[157:158], v[2:3], v[36:37]
	v_mul_f64_e32 v[36:37], v[4:5], v[36:37]
	v_add_f64_e32 v[153:154], v[153:154], v[165:166]
	v_add_f64_e32 v[155:156], v[155:156], v[159:160]
	s_wait_loadcnt_dscnt 0x800
	v_mul_f64_e32 v[159:160], v[6:7], v[147:148]
	v_mul_f64_e32 v[147:148], v[8:9], v[147:148]
	v_fma_f64 v[157:158], v[4:5], v[34:35], v[157:158]
	v_fma_f64 v[165:166], v[2:3], v[34:35], -v[36:37]
	ds_load_b128 v[2:5], v1 offset:1440
	scratch_load_b128 v[34:37], off, off offset:768
	v_add_f64_e32 v[153:154], v[153:154], v[163:164]
	v_add_f64_e32 v[155:156], v[155:156], v[161:162]
	v_fma_f64 v[159:160], v[8:9], v[145:146], v[159:160]
	v_fma_f64 v[163:164], v[6:7], v[145:146], -v[147:148]
	ds_load_b128 v[6:9], v1 offset:1456
	s_wait_loadcnt_dscnt 0x801
	v_mul_f64_e32 v[161:162], v[2:3], v[12:13]
	v_mul_f64_e32 v[12:13], v[4:5], v[12:13]
	scratch_load_b128 v[145:148], off, off offset:784
	v_add_f64_e32 v[153:154], v[153:154], v[165:166]
	v_add_f64_e32 v[155:156], v[155:156], v[157:158]
	s_wait_loadcnt_dscnt 0x800
	v_mul_f64_e32 v[157:158], v[6:7], v[16:17]
	v_mul_f64_e32 v[16:17], v[8:9], v[16:17]
	v_fma_f64 v[161:162], v[4:5], v[10:11], v[161:162]
	v_fma_f64 v[165:166], v[2:3], v[10:11], -v[12:13]
	ds_load_b128 v[2:5], v1 offset:1472
	scratch_load_b128 v[10:13], off, off offset:800
	v_add_f64_e32 v[153:154], v[153:154], v[163:164]
	v_add_f64_e32 v[155:156], v[155:156], v[159:160]
	v_fma_f64 v[157:158], v[8:9], v[14:15], v[157:158]
	v_fma_f64 v[163:164], v[6:7], v[14:15], -v[16:17]
	ds_load_b128 v[6:9], v1 offset:1488
	s_wait_loadcnt_dscnt 0x801
	v_mul_f64_e32 v[159:160], v[2:3], v[20:21]
	v_mul_f64_e32 v[20:21], v[4:5], v[20:21]
	scratch_load_b128 v[14:17], off, off offset:816
	v_add_f64_e32 v[153:154], v[153:154], v[165:166]
	v_add_f64_e32 v[155:156], v[155:156], v[161:162]
	s_wait_loadcnt_dscnt 0x800
	v_mul_f64_e32 v[161:162], v[6:7], v[24:25]
	v_mul_f64_e32 v[24:25], v[8:9], v[24:25]
	v_fma_f64 v[159:160], v[4:5], v[18:19], v[159:160]
	v_fma_f64 v[18:19], v[2:3], v[18:19], -v[20:21]
	ds_load_b128 v[2:5], v1 offset:1504
	v_add_f64_e32 v[20:21], v[153:154], v[163:164]
	v_add_f64_e32 v[153:154], v[155:156], v[157:158]
	v_fma_f64 v[157:158], v[8:9], v[22:23], v[161:162]
	v_fma_f64 v[22:23], v[6:7], v[22:23], -v[24:25]
	ds_load_b128 v[6:9], v1 offset:1520
	s_wait_loadcnt_dscnt 0x701
	v_mul_f64_e32 v[155:156], v[2:3], v[28:29]
	v_mul_f64_e32 v[28:29], v[4:5], v[28:29]
	v_add_f64_e32 v[18:19], v[20:21], v[18:19]
	v_add_f64_e32 v[20:21], v[153:154], v[159:160]
	s_delay_alu instid0(VALU_DEP_4) | instskip(NEXT) | instid1(VALU_DEP_4)
	v_fma_f64 v[153:154], v[4:5], v[26:27], v[155:156]
	v_fma_f64 v[26:27], v[2:3], v[26:27], -v[28:29]
	ds_load_b128 v[2:5], v1 offset:1536
	v_add_f64_e32 v[22:23], v[18:19], v[22:23]
	v_add_f64_e32 v[28:29], v[20:21], v[157:158]
	scratch_load_b128 v[18:21], off, off offset:432
	s_wait_loadcnt_dscnt 0x701
	v_mul_f64_e32 v[24:25], v[6:7], v[32:33]
	v_mul_f64_e32 v[32:33], v[8:9], v[32:33]
	v_add_f64_e32 v[22:23], v[22:23], v[26:27]
	v_add_f64_e32 v[26:27], v[28:29], v[153:154]
	s_delay_alu instid0(VALU_DEP_4) | instskip(NEXT) | instid1(VALU_DEP_4)
	v_fma_f64 v[24:25], v[8:9], v[30:31], v[24:25]
	v_fma_f64 v[30:31], v[6:7], v[30:31], -v[32:33]
	ds_load_b128 v[6:9], v1 offset:1552
	s_wait_loadcnt_dscnt 0x601
	v_mul_f64_e32 v[155:156], v[2:3], v[40:41]
	v_mul_f64_e32 v[40:41], v[4:5], v[40:41]
	s_wait_loadcnt_dscnt 0x500
	v_mul_f64_e32 v[28:29], v[6:7], v[151:152]
	v_mul_f64_e32 v[32:33], v[8:9], v[151:152]
	v_add_f64_e32 v[24:25], v[26:27], v[24:25]
	v_add_f64_e32 v[22:23], v[22:23], v[30:31]
	v_fma_f64 v[151:152], v[4:5], v[38:39], v[155:156]
	v_fma_f64 v[38:39], v[2:3], v[38:39], -v[40:41]
	ds_load_b128 v[2:5], v1 offset:1568
	v_fma_f64 v[28:29], v[8:9], v[149:150], v[28:29]
	v_fma_f64 v[32:33], v[6:7], v[149:150], -v[32:33]
	ds_load_b128 v[6:9], v1 offset:1584
	s_wait_loadcnt_dscnt 0x401
	v_mul_f64_e32 v[26:27], v[2:3], v[36:37]
	v_mul_f64_e32 v[30:31], v[4:5], v[36:37]
	v_add_f64_e32 v[24:25], v[24:25], v[151:152]
	v_add_f64_e32 v[22:23], v[22:23], v[38:39]
	s_wait_loadcnt_dscnt 0x300
	v_mul_f64_e32 v[36:37], v[6:7], v[147:148]
	v_mul_f64_e32 v[38:39], v[8:9], v[147:148]
	v_fma_f64 v[26:27], v[4:5], v[34:35], v[26:27]
	v_fma_f64 v[30:31], v[2:3], v[34:35], -v[30:31]
	ds_load_b128 v[2:5], v1 offset:1600
	v_add_f64_e32 v[24:25], v[24:25], v[28:29]
	v_add_f64_e32 v[22:23], v[22:23], v[32:33]
	v_fma_f64 v[32:33], v[8:9], v[145:146], v[36:37]
	v_fma_f64 v[34:35], v[6:7], v[145:146], -v[38:39]
	ds_load_b128 v[6:9], v1 offset:1616
	s_wait_loadcnt_dscnt 0x201
	v_mul_f64_e32 v[28:29], v[2:3], v[12:13]
	v_mul_f64_e32 v[12:13], v[4:5], v[12:13]
	v_add_f64_e32 v[24:25], v[24:25], v[26:27]
	v_add_f64_e32 v[22:23], v[22:23], v[30:31]
	s_wait_loadcnt_dscnt 0x100
	v_mul_f64_e32 v[26:27], v[6:7], v[16:17]
	v_mul_f64_e32 v[16:17], v[8:9], v[16:17]
	v_fma_f64 v[4:5], v[4:5], v[10:11], v[28:29]
	v_fma_f64 v[1:2], v[2:3], v[10:11], -v[12:13]
	v_add_f64_e32 v[12:13], v[24:25], v[32:33]
	v_add_f64_e32 v[10:11], v[22:23], v[34:35]
	v_fma_f64 v[8:9], v[8:9], v[14:15], v[26:27]
	v_fma_f64 v[6:7], v[6:7], v[14:15], -v[16:17]
	s_delay_alu instid0(VALU_DEP_4) | instskip(NEXT) | instid1(VALU_DEP_4)
	v_add_f64_e32 v[3:4], v[12:13], v[4:5]
	v_add_f64_e32 v[1:2], v[10:11], v[1:2]
	s_delay_alu instid0(VALU_DEP_2) | instskip(NEXT) | instid1(VALU_DEP_2)
	v_add_f64_e32 v[3:4], v[3:4], v[8:9]
	v_add_f64_e32 v[1:2], v[1:2], v[6:7]
	s_wait_loadcnt 0x0
	s_delay_alu instid0(VALU_DEP_2) | instskip(NEXT) | instid1(VALU_DEP_2)
	v_add_f64_e64 v[3:4], v[20:21], -v[3:4]
	v_add_f64_e64 v[1:2], v[18:19], -v[1:2]
	scratch_store_b128 off, v[1:4], off offset:432
	v_cmpx_lt_u32_e32 25, v0
	s_cbranch_execz .LBB50_269
; %bb.268:
	scratch_load_b128 v[1:4], off, s34
	v_mov_b32_e32 v5, 0
	s_delay_alu instid0(VALU_DEP_1)
	v_dual_mov_b32 v6, v5 :: v_dual_mov_b32 v7, v5
	v_mov_b32_e32 v8, v5
	scratch_store_b128 off, v[5:8], off offset:416
	s_wait_loadcnt 0x0
	ds_store_b128 v144, v[1:4]
.LBB50_269:
	s_wait_alu 0xfffe
	s_or_b32 exec_lo, exec_lo, s0
	s_wait_storecnt_dscnt 0x0
	s_barrier_signal -1
	s_barrier_wait -1
	global_inv scope:SCOPE_SE
	s_clause 0x7
	scratch_load_b128 v[2:5], off, off offset:432
	scratch_load_b128 v[6:9], off, off offset:448
	;; [unrolled: 1-line block ×8, first 2 shown]
	v_mov_b32_e32 v1, 0
	s_clause 0x1
	scratch_load_b128 v[38:41], off, off offset:560
	scratch_load_b128 v[149:152], off, off offset:576
	s_mov_b32 s0, exec_lo
	ds_load_b128 v[34:37], v1 offset:1232
	ds_load_b128 v[145:148], v1 offset:1248
	s_wait_loadcnt_dscnt 0x901
	v_mul_f64_e32 v[153:154], v[36:37], v[4:5]
	v_mul_f64_e32 v[4:5], v[34:35], v[4:5]
	s_wait_loadcnt_dscnt 0x800
	v_mul_f64_e32 v[155:156], v[145:146], v[8:9]
	v_mul_f64_e32 v[8:9], v[147:148], v[8:9]
	s_delay_alu instid0(VALU_DEP_4) | instskip(NEXT) | instid1(VALU_DEP_4)
	v_fma_f64 v[153:154], v[34:35], v[2:3], -v[153:154]
	v_fma_f64 v[157:158], v[36:37], v[2:3], v[4:5]
	ds_load_b128 v[2:5], v1 offset:1264
	scratch_load_b128 v[34:37], off, off offset:592
	v_fma_f64 v[155:156], v[147:148], v[6:7], v[155:156]
	v_fma_f64 v[161:162], v[145:146], v[6:7], -v[8:9]
	ds_load_b128 v[6:9], v1 offset:1280
	scratch_load_b128 v[145:148], off, off offset:608
	s_wait_loadcnt_dscnt 0x901
	v_mul_f64_e32 v[159:160], v[2:3], v[12:13]
	v_mul_f64_e32 v[12:13], v[4:5], v[12:13]
	s_wait_loadcnt_dscnt 0x800
	v_mul_f64_e32 v[163:164], v[6:7], v[16:17]
	v_mul_f64_e32 v[16:17], v[8:9], v[16:17]
	v_add_f64_e32 v[153:154], 0, v[153:154]
	v_add_f64_e32 v[157:158], 0, v[157:158]
	v_fma_f64 v[159:160], v[4:5], v[10:11], v[159:160]
	v_fma_f64 v[165:166], v[2:3], v[10:11], -v[12:13]
	ds_load_b128 v[2:5], v1 offset:1296
	scratch_load_b128 v[10:13], off, off offset:624
	v_add_f64_e32 v[153:154], v[153:154], v[161:162]
	v_add_f64_e32 v[155:156], v[157:158], v[155:156]
	v_fma_f64 v[161:162], v[8:9], v[14:15], v[163:164]
	v_fma_f64 v[163:164], v[6:7], v[14:15], -v[16:17]
	ds_load_b128 v[6:9], v1 offset:1312
	scratch_load_b128 v[14:17], off, off offset:640
	s_wait_loadcnt_dscnt 0x901
	v_mul_f64_e32 v[157:158], v[2:3], v[20:21]
	v_mul_f64_e32 v[20:21], v[4:5], v[20:21]
	v_add_f64_e32 v[153:154], v[153:154], v[165:166]
	v_add_f64_e32 v[155:156], v[155:156], v[159:160]
	s_wait_loadcnt_dscnt 0x800
	v_mul_f64_e32 v[159:160], v[6:7], v[24:25]
	v_mul_f64_e32 v[24:25], v[8:9], v[24:25]
	v_fma_f64 v[157:158], v[4:5], v[18:19], v[157:158]
	v_fma_f64 v[165:166], v[2:3], v[18:19], -v[20:21]
	ds_load_b128 v[2:5], v1 offset:1328
	scratch_load_b128 v[18:21], off, off offset:656
	v_add_f64_e32 v[153:154], v[153:154], v[163:164]
	v_add_f64_e32 v[155:156], v[155:156], v[161:162]
	v_fma_f64 v[159:160], v[8:9], v[22:23], v[159:160]
	v_fma_f64 v[163:164], v[6:7], v[22:23], -v[24:25]
	ds_load_b128 v[6:9], v1 offset:1344
	s_wait_loadcnt_dscnt 0x801
	v_mul_f64_e32 v[161:162], v[2:3], v[28:29]
	v_mul_f64_e32 v[28:29], v[4:5], v[28:29]
	scratch_load_b128 v[22:25], off, off offset:672
	v_add_f64_e32 v[153:154], v[153:154], v[165:166]
	v_add_f64_e32 v[155:156], v[155:156], v[157:158]
	s_wait_loadcnt_dscnt 0x800
	v_mul_f64_e32 v[157:158], v[6:7], v[32:33]
	v_mul_f64_e32 v[32:33], v[8:9], v[32:33]
	v_fma_f64 v[161:162], v[4:5], v[26:27], v[161:162]
	v_fma_f64 v[165:166], v[2:3], v[26:27], -v[28:29]
	ds_load_b128 v[2:5], v1 offset:1360
	scratch_load_b128 v[26:29], off, off offset:688
	v_add_f64_e32 v[153:154], v[153:154], v[163:164]
	v_add_f64_e32 v[155:156], v[155:156], v[159:160]
	v_fma_f64 v[157:158], v[8:9], v[30:31], v[157:158]
	v_fma_f64 v[163:164], v[6:7], v[30:31], -v[32:33]
	ds_load_b128 v[6:9], v1 offset:1376
	s_wait_loadcnt_dscnt 0x801
	v_mul_f64_e32 v[159:160], v[2:3], v[40:41]
	v_mul_f64_e32 v[40:41], v[4:5], v[40:41]
	scratch_load_b128 v[30:33], off, off offset:704
	v_add_f64_e32 v[153:154], v[153:154], v[165:166]
	v_add_f64_e32 v[155:156], v[155:156], v[161:162]
	s_wait_loadcnt_dscnt 0x800
	v_mul_f64_e32 v[161:162], v[6:7], v[151:152]
	v_mul_f64_e32 v[151:152], v[8:9], v[151:152]
	v_fma_f64 v[159:160], v[4:5], v[38:39], v[159:160]
	v_fma_f64 v[165:166], v[2:3], v[38:39], -v[40:41]
	ds_load_b128 v[2:5], v1 offset:1392
	scratch_load_b128 v[38:41], off, off offset:720
	v_add_f64_e32 v[153:154], v[153:154], v[163:164]
	v_add_f64_e32 v[155:156], v[155:156], v[157:158]
	v_fma_f64 v[161:162], v[8:9], v[149:150], v[161:162]
	v_fma_f64 v[163:164], v[6:7], v[149:150], -v[151:152]
	ds_load_b128 v[6:9], v1 offset:1408
	scratch_load_b128 v[149:152], off, off offset:736
	s_wait_loadcnt_dscnt 0x901
	v_mul_f64_e32 v[157:158], v[2:3], v[36:37]
	v_mul_f64_e32 v[36:37], v[4:5], v[36:37]
	v_add_f64_e32 v[153:154], v[153:154], v[165:166]
	v_add_f64_e32 v[155:156], v[155:156], v[159:160]
	s_wait_loadcnt_dscnt 0x800
	v_mul_f64_e32 v[159:160], v[6:7], v[147:148]
	v_mul_f64_e32 v[147:148], v[8:9], v[147:148]
	v_fma_f64 v[157:158], v[4:5], v[34:35], v[157:158]
	v_fma_f64 v[165:166], v[2:3], v[34:35], -v[36:37]
	ds_load_b128 v[2:5], v1 offset:1424
	scratch_load_b128 v[34:37], off, off offset:752
	v_add_f64_e32 v[153:154], v[153:154], v[163:164]
	v_add_f64_e32 v[155:156], v[155:156], v[161:162]
	v_fma_f64 v[159:160], v[8:9], v[145:146], v[159:160]
	v_fma_f64 v[163:164], v[6:7], v[145:146], -v[147:148]
	ds_load_b128 v[6:9], v1 offset:1440
	s_wait_loadcnt_dscnt 0x801
	v_mul_f64_e32 v[161:162], v[2:3], v[12:13]
	v_mul_f64_e32 v[12:13], v[4:5], v[12:13]
	scratch_load_b128 v[145:148], off, off offset:768
	v_add_f64_e32 v[153:154], v[153:154], v[165:166]
	v_add_f64_e32 v[155:156], v[155:156], v[157:158]
	s_wait_loadcnt_dscnt 0x800
	v_mul_f64_e32 v[157:158], v[6:7], v[16:17]
	v_mul_f64_e32 v[16:17], v[8:9], v[16:17]
	v_fma_f64 v[161:162], v[4:5], v[10:11], v[161:162]
	v_fma_f64 v[165:166], v[2:3], v[10:11], -v[12:13]
	ds_load_b128 v[2:5], v1 offset:1456
	scratch_load_b128 v[10:13], off, off offset:784
	v_add_f64_e32 v[153:154], v[153:154], v[163:164]
	v_add_f64_e32 v[155:156], v[155:156], v[159:160]
	v_fma_f64 v[157:158], v[8:9], v[14:15], v[157:158]
	v_fma_f64 v[163:164], v[6:7], v[14:15], -v[16:17]
	ds_load_b128 v[6:9], v1 offset:1472
	s_wait_loadcnt_dscnt 0x801
	v_mul_f64_e32 v[159:160], v[2:3], v[20:21]
	v_mul_f64_e32 v[20:21], v[4:5], v[20:21]
	scratch_load_b128 v[14:17], off, off offset:800
	v_add_f64_e32 v[153:154], v[153:154], v[165:166]
	v_add_f64_e32 v[155:156], v[155:156], v[161:162]
	s_wait_loadcnt_dscnt 0x800
	v_mul_f64_e32 v[161:162], v[6:7], v[24:25]
	v_mul_f64_e32 v[24:25], v[8:9], v[24:25]
	v_fma_f64 v[159:160], v[4:5], v[18:19], v[159:160]
	v_fma_f64 v[165:166], v[2:3], v[18:19], -v[20:21]
	ds_load_b128 v[2:5], v1 offset:1488
	scratch_load_b128 v[18:21], off, off offset:816
	v_add_f64_e32 v[153:154], v[153:154], v[163:164]
	v_add_f64_e32 v[155:156], v[155:156], v[157:158]
	v_fma_f64 v[161:162], v[8:9], v[22:23], v[161:162]
	v_fma_f64 v[22:23], v[6:7], v[22:23], -v[24:25]
	ds_load_b128 v[6:9], v1 offset:1504
	s_wait_loadcnt_dscnt 0x801
	v_mul_f64_e32 v[157:158], v[2:3], v[28:29]
	v_mul_f64_e32 v[28:29], v[4:5], v[28:29]
	v_add_f64_e32 v[24:25], v[153:154], v[165:166]
	v_add_f64_e32 v[153:154], v[155:156], v[159:160]
	s_wait_loadcnt_dscnt 0x700
	v_mul_f64_e32 v[155:156], v[6:7], v[32:33]
	v_mul_f64_e32 v[32:33], v[8:9], v[32:33]
	v_fma_f64 v[157:158], v[4:5], v[26:27], v[157:158]
	v_fma_f64 v[26:27], v[2:3], v[26:27], -v[28:29]
	ds_load_b128 v[2:5], v1 offset:1520
	v_add_f64_e32 v[22:23], v[24:25], v[22:23]
	v_add_f64_e32 v[24:25], v[153:154], v[161:162]
	v_fma_f64 v[153:154], v[8:9], v[30:31], v[155:156]
	v_fma_f64 v[30:31], v[6:7], v[30:31], -v[32:33]
	ds_load_b128 v[6:9], v1 offset:1536
	s_wait_loadcnt_dscnt 0x500
	v_mul_f64_e32 v[155:156], v[6:7], v[151:152]
	v_mul_f64_e32 v[151:152], v[8:9], v[151:152]
	v_add_f64_e32 v[26:27], v[22:23], v[26:27]
	v_add_f64_e32 v[32:33], v[24:25], v[157:158]
	scratch_load_b128 v[22:25], off, off offset:416
	v_mul_f64_e32 v[28:29], v[2:3], v[40:41]
	v_mul_f64_e32 v[40:41], v[4:5], v[40:41]
	v_add_f64_e32 v[26:27], v[26:27], v[30:31]
	v_add_f64_e32 v[30:31], v[32:33], v[153:154]
	s_delay_alu instid0(VALU_DEP_4) | instskip(NEXT) | instid1(VALU_DEP_4)
	v_fma_f64 v[28:29], v[4:5], v[38:39], v[28:29]
	v_fma_f64 v[38:39], v[2:3], v[38:39], -v[40:41]
	ds_load_b128 v[2:5], v1 offset:1552
	v_fma_f64 v[40:41], v[8:9], v[149:150], v[155:156]
	v_fma_f64 v[149:150], v[6:7], v[149:150], -v[151:152]
	ds_load_b128 v[6:9], v1 offset:1568
	s_wait_loadcnt_dscnt 0x501
	v_mul_f64_e32 v[32:33], v[2:3], v[36:37]
	v_mul_f64_e32 v[36:37], v[4:5], v[36:37]
	v_add_f64_e32 v[28:29], v[30:31], v[28:29]
	v_add_f64_e32 v[26:27], v[26:27], v[38:39]
	s_wait_loadcnt_dscnt 0x400
	v_mul_f64_e32 v[30:31], v[6:7], v[147:148]
	v_mul_f64_e32 v[38:39], v[8:9], v[147:148]
	v_fma_f64 v[32:33], v[4:5], v[34:35], v[32:33]
	v_fma_f64 v[34:35], v[2:3], v[34:35], -v[36:37]
	ds_load_b128 v[2:5], v1 offset:1584
	v_add_f64_e32 v[28:29], v[28:29], v[40:41]
	v_add_f64_e32 v[26:27], v[26:27], v[149:150]
	v_fma_f64 v[30:31], v[8:9], v[145:146], v[30:31]
	v_fma_f64 v[38:39], v[6:7], v[145:146], -v[38:39]
	ds_load_b128 v[6:9], v1 offset:1600
	s_wait_loadcnt_dscnt 0x301
	v_mul_f64_e32 v[36:37], v[2:3], v[12:13]
	v_mul_f64_e32 v[12:13], v[4:5], v[12:13]
	v_add_f64_e32 v[28:29], v[28:29], v[32:33]
	v_add_f64_e32 v[26:27], v[26:27], v[34:35]
	s_wait_loadcnt_dscnt 0x200
	v_mul_f64_e32 v[32:33], v[6:7], v[16:17]
	v_mul_f64_e32 v[16:17], v[8:9], v[16:17]
	v_fma_f64 v[34:35], v[4:5], v[10:11], v[36:37]
	v_fma_f64 v[10:11], v[2:3], v[10:11], -v[12:13]
	ds_load_b128 v[2:5], v1 offset:1616
	v_add_f64_e32 v[12:13], v[26:27], v[38:39]
	v_add_f64_e32 v[26:27], v[28:29], v[30:31]
	s_wait_loadcnt_dscnt 0x100
	v_mul_f64_e32 v[28:29], v[2:3], v[20:21]
	v_mul_f64_e32 v[20:21], v[4:5], v[20:21]
	v_fma_f64 v[8:9], v[8:9], v[14:15], v[32:33]
	v_fma_f64 v[6:7], v[6:7], v[14:15], -v[16:17]
	v_add_f64_e32 v[10:11], v[12:13], v[10:11]
	v_add_f64_e32 v[12:13], v[26:27], v[34:35]
	v_fma_f64 v[4:5], v[4:5], v[18:19], v[28:29]
	v_fma_f64 v[2:3], v[2:3], v[18:19], -v[20:21]
	s_delay_alu instid0(VALU_DEP_4) | instskip(NEXT) | instid1(VALU_DEP_4)
	v_add_f64_e32 v[6:7], v[10:11], v[6:7]
	v_add_f64_e32 v[8:9], v[12:13], v[8:9]
	s_delay_alu instid0(VALU_DEP_2) | instskip(NEXT) | instid1(VALU_DEP_2)
	v_add_f64_e32 v[2:3], v[6:7], v[2:3]
	v_add_f64_e32 v[4:5], v[8:9], v[4:5]
	s_wait_loadcnt 0x0
	s_delay_alu instid0(VALU_DEP_2) | instskip(NEXT) | instid1(VALU_DEP_2)
	v_add_f64_e64 v[2:3], v[22:23], -v[2:3]
	v_add_f64_e64 v[4:5], v[24:25], -v[4:5]
	scratch_store_b128 off, v[2:5], off offset:416
	v_cmpx_lt_u32_e32 24, v0
	s_cbranch_execz .LBB50_271
; %bb.270:
	scratch_load_b128 v[5:8], off, s36
	v_dual_mov_b32 v2, v1 :: v_dual_mov_b32 v3, v1
	v_mov_b32_e32 v4, v1
	scratch_store_b128 off, v[1:4], off offset:400
	s_wait_loadcnt 0x0
	ds_store_b128 v144, v[5:8]
.LBB50_271:
	s_wait_alu 0xfffe
	s_or_b32 exec_lo, exec_lo, s0
	s_wait_storecnt_dscnt 0x0
	s_barrier_signal -1
	s_barrier_wait -1
	global_inv scope:SCOPE_SE
	s_clause 0x7
	scratch_load_b128 v[2:5], off, off offset:416
	scratch_load_b128 v[6:9], off, off offset:432
	;; [unrolled: 1-line block ×8, first 2 shown]
	ds_load_b128 v[34:37], v1 offset:1216
	ds_load_b128 v[145:148], v1 offset:1232
	s_clause 0x1
	scratch_load_b128 v[38:41], off, off offset:544
	scratch_load_b128 v[149:152], off, off offset:560
	s_mov_b32 s0, exec_lo
	s_wait_loadcnt_dscnt 0x901
	v_mul_f64_e32 v[153:154], v[36:37], v[4:5]
	v_mul_f64_e32 v[4:5], v[34:35], v[4:5]
	s_wait_loadcnt_dscnt 0x800
	v_mul_f64_e32 v[155:156], v[145:146], v[8:9]
	v_mul_f64_e32 v[8:9], v[147:148], v[8:9]
	s_delay_alu instid0(VALU_DEP_4) | instskip(NEXT) | instid1(VALU_DEP_4)
	v_fma_f64 v[153:154], v[34:35], v[2:3], -v[153:154]
	v_fma_f64 v[157:158], v[36:37], v[2:3], v[4:5]
	ds_load_b128 v[2:5], v1 offset:1248
	scratch_load_b128 v[34:37], off, off offset:576
	v_fma_f64 v[155:156], v[147:148], v[6:7], v[155:156]
	v_fma_f64 v[161:162], v[145:146], v[6:7], -v[8:9]
	ds_load_b128 v[6:9], v1 offset:1264
	scratch_load_b128 v[145:148], off, off offset:592
	s_wait_loadcnt_dscnt 0x901
	v_mul_f64_e32 v[159:160], v[2:3], v[12:13]
	v_mul_f64_e32 v[12:13], v[4:5], v[12:13]
	s_wait_loadcnt_dscnt 0x800
	v_mul_f64_e32 v[163:164], v[6:7], v[16:17]
	v_mul_f64_e32 v[16:17], v[8:9], v[16:17]
	v_add_f64_e32 v[153:154], 0, v[153:154]
	v_add_f64_e32 v[157:158], 0, v[157:158]
	v_fma_f64 v[159:160], v[4:5], v[10:11], v[159:160]
	v_fma_f64 v[165:166], v[2:3], v[10:11], -v[12:13]
	ds_load_b128 v[2:5], v1 offset:1280
	scratch_load_b128 v[10:13], off, off offset:608
	v_add_f64_e32 v[153:154], v[153:154], v[161:162]
	v_add_f64_e32 v[155:156], v[157:158], v[155:156]
	v_fma_f64 v[161:162], v[8:9], v[14:15], v[163:164]
	v_fma_f64 v[163:164], v[6:7], v[14:15], -v[16:17]
	ds_load_b128 v[6:9], v1 offset:1296
	scratch_load_b128 v[14:17], off, off offset:624
	s_wait_loadcnt_dscnt 0x901
	v_mul_f64_e32 v[157:158], v[2:3], v[20:21]
	v_mul_f64_e32 v[20:21], v[4:5], v[20:21]
	v_add_f64_e32 v[153:154], v[153:154], v[165:166]
	v_add_f64_e32 v[155:156], v[155:156], v[159:160]
	s_wait_loadcnt_dscnt 0x800
	v_mul_f64_e32 v[159:160], v[6:7], v[24:25]
	v_mul_f64_e32 v[24:25], v[8:9], v[24:25]
	v_fma_f64 v[157:158], v[4:5], v[18:19], v[157:158]
	v_fma_f64 v[165:166], v[2:3], v[18:19], -v[20:21]
	ds_load_b128 v[2:5], v1 offset:1312
	scratch_load_b128 v[18:21], off, off offset:640
	v_add_f64_e32 v[153:154], v[153:154], v[163:164]
	v_add_f64_e32 v[155:156], v[155:156], v[161:162]
	v_fma_f64 v[159:160], v[8:9], v[22:23], v[159:160]
	v_fma_f64 v[163:164], v[6:7], v[22:23], -v[24:25]
	ds_load_b128 v[6:9], v1 offset:1328
	s_wait_loadcnt_dscnt 0x801
	v_mul_f64_e32 v[161:162], v[2:3], v[28:29]
	v_mul_f64_e32 v[28:29], v[4:5], v[28:29]
	scratch_load_b128 v[22:25], off, off offset:656
	v_add_f64_e32 v[153:154], v[153:154], v[165:166]
	v_add_f64_e32 v[155:156], v[155:156], v[157:158]
	s_wait_loadcnt_dscnt 0x800
	v_mul_f64_e32 v[157:158], v[6:7], v[32:33]
	v_mul_f64_e32 v[32:33], v[8:9], v[32:33]
	v_fma_f64 v[161:162], v[4:5], v[26:27], v[161:162]
	v_fma_f64 v[165:166], v[2:3], v[26:27], -v[28:29]
	ds_load_b128 v[2:5], v1 offset:1344
	scratch_load_b128 v[26:29], off, off offset:672
	v_add_f64_e32 v[153:154], v[153:154], v[163:164]
	v_add_f64_e32 v[155:156], v[155:156], v[159:160]
	v_fma_f64 v[157:158], v[8:9], v[30:31], v[157:158]
	v_fma_f64 v[163:164], v[6:7], v[30:31], -v[32:33]
	ds_load_b128 v[6:9], v1 offset:1360
	s_wait_loadcnt_dscnt 0x801
	v_mul_f64_e32 v[159:160], v[2:3], v[40:41]
	v_mul_f64_e32 v[40:41], v[4:5], v[40:41]
	scratch_load_b128 v[30:33], off, off offset:688
	v_add_f64_e32 v[153:154], v[153:154], v[165:166]
	v_add_f64_e32 v[155:156], v[155:156], v[161:162]
	s_wait_loadcnt_dscnt 0x800
	v_mul_f64_e32 v[161:162], v[6:7], v[151:152]
	v_mul_f64_e32 v[151:152], v[8:9], v[151:152]
	v_fma_f64 v[159:160], v[4:5], v[38:39], v[159:160]
	v_fma_f64 v[165:166], v[2:3], v[38:39], -v[40:41]
	ds_load_b128 v[2:5], v1 offset:1376
	scratch_load_b128 v[38:41], off, off offset:704
	v_add_f64_e32 v[153:154], v[153:154], v[163:164]
	v_add_f64_e32 v[155:156], v[155:156], v[157:158]
	v_fma_f64 v[161:162], v[8:9], v[149:150], v[161:162]
	v_fma_f64 v[163:164], v[6:7], v[149:150], -v[151:152]
	ds_load_b128 v[6:9], v1 offset:1392
	scratch_load_b128 v[149:152], off, off offset:720
	s_wait_loadcnt_dscnt 0x901
	v_mul_f64_e32 v[157:158], v[2:3], v[36:37]
	v_mul_f64_e32 v[36:37], v[4:5], v[36:37]
	v_add_f64_e32 v[153:154], v[153:154], v[165:166]
	v_add_f64_e32 v[155:156], v[155:156], v[159:160]
	s_wait_loadcnt_dscnt 0x800
	v_mul_f64_e32 v[159:160], v[6:7], v[147:148]
	v_mul_f64_e32 v[147:148], v[8:9], v[147:148]
	v_fma_f64 v[157:158], v[4:5], v[34:35], v[157:158]
	v_fma_f64 v[165:166], v[2:3], v[34:35], -v[36:37]
	ds_load_b128 v[2:5], v1 offset:1408
	scratch_load_b128 v[34:37], off, off offset:736
	v_add_f64_e32 v[153:154], v[153:154], v[163:164]
	v_add_f64_e32 v[155:156], v[155:156], v[161:162]
	v_fma_f64 v[159:160], v[8:9], v[145:146], v[159:160]
	v_fma_f64 v[163:164], v[6:7], v[145:146], -v[147:148]
	ds_load_b128 v[6:9], v1 offset:1424
	s_wait_loadcnt_dscnt 0x801
	v_mul_f64_e32 v[161:162], v[2:3], v[12:13]
	v_mul_f64_e32 v[12:13], v[4:5], v[12:13]
	scratch_load_b128 v[145:148], off, off offset:752
	v_add_f64_e32 v[153:154], v[153:154], v[165:166]
	v_add_f64_e32 v[155:156], v[155:156], v[157:158]
	s_wait_loadcnt_dscnt 0x800
	v_mul_f64_e32 v[157:158], v[6:7], v[16:17]
	v_mul_f64_e32 v[16:17], v[8:9], v[16:17]
	v_fma_f64 v[161:162], v[4:5], v[10:11], v[161:162]
	v_fma_f64 v[165:166], v[2:3], v[10:11], -v[12:13]
	ds_load_b128 v[2:5], v1 offset:1440
	scratch_load_b128 v[10:13], off, off offset:768
	v_add_f64_e32 v[153:154], v[153:154], v[163:164]
	v_add_f64_e32 v[155:156], v[155:156], v[159:160]
	v_fma_f64 v[157:158], v[8:9], v[14:15], v[157:158]
	v_fma_f64 v[163:164], v[6:7], v[14:15], -v[16:17]
	ds_load_b128 v[6:9], v1 offset:1456
	s_wait_loadcnt_dscnt 0x801
	v_mul_f64_e32 v[159:160], v[2:3], v[20:21]
	v_mul_f64_e32 v[20:21], v[4:5], v[20:21]
	scratch_load_b128 v[14:17], off, off offset:784
	;; [unrolled: 18-line block ×3, first 2 shown]
	v_add_f64_e32 v[153:154], v[153:154], v[165:166]
	v_add_f64_e32 v[155:156], v[155:156], v[159:160]
	s_wait_loadcnt_dscnt 0x800
	v_mul_f64_e32 v[159:160], v[6:7], v[32:33]
	v_mul_f64_e32 v[32:33], v[8:9], v[32:33]
	v_fma_f64 v[157:158], v[4:5], v[26:27], v[157:158]
	v_fma_f64 v[26:27], v[2:3], v[26:27], -v[28:29]
	ds_load_b128 v[2:5], v1 offset:1504
	v_add_f64_e32 v[28:29], v[153:154], v[163:164]
	v_add_f64_e32 v[153:154], v[155:156], v[161:162]
	v_fma_f64 v[159:160], v[8:9], v[30:31], v[159:160]
	v_fma_f64 v[30:31], v[6:7], v[30:31], -v[32:33]
	ds_load_b128 v[6:9], v1 offset:1520
	s_wait_loadcnt_dscnt 0x701
	v_mul_f64_e32 v[155:156], v[2:3], v[40:41]
	v_mul_f64_e32 v[40:41], v[4:5], v[40:41]
	v_add_f64_e32 v[26:27], v[28:29], v[26:27]
	v_add_f64_e32 v[28:29], v[153:154], v[157:158]
	s_delay_alu instid0(VALU_DEP_4) | instskip(NEXT) | instid1(VALU_DEP_4)
	v_fma_f64 v[153:154], v[4:5], v[38:39], v[155:156]
	v_fma_f64 v[38:39], v[2:3], v[38:39], -v[40:41]
	ds_load_b128 v[2:5], v1 offset:1536
	v_add_f64_e32 v[30:31], v[26:27], v[30:31]
	v_add_f64_e32 v[40:41], v[28:29], v[159:160]
	scratch_load_b128 v[26:29], off, off offset:400
	s_wait_loadcnt_dscnt 0x701
	v_mul_f64_e32 v[32:33], v[6:7], v[151:152]
	v_mul_f64_e32 v[151:152], v[8:9], v[151:152]
	v_add_f64_e32 v[30:31], v[30:31], v[38:39]
	v_add_f64_e32 v[38:39], v[40:41], v[153:154]
	s_delay_alu instid0(VALU_DEP_4) | instskip(NEXT) | instid1(VALU_DEP_4)
	v_fma_f64 v[32:33], v[8:9], v[149:150], v[32:33]
	v_fma_f64 v[149:150], v[6:7], v[149:150], -v[151:152]
	ds_load_b128 v[6:9], v1 offset:1552
	s_wait_loadcnt_dscnt 0x601
	v_mul_f64_e32 v[155:156], v[2:3], v[36:37]
	v_mul_f64_e32 v[36:37], v[4:5], v[36:37]
	s_wait_loadcnt_dscnt 0x500
	v_mul_f64_e32 v[40:41], v[6:7], v[147:148]
	v_mul_f64_e32 v[147:148], v[8:9], v[147:148]
	v_add_f64_e32 v[32:33], v[38:39], v[32:33]
	v_add_f64_e32 v[30:31], v[30:31], v[149:150]
	v_fma_f64 v[151:152], v[4:5], v[34:35], v[155:156]
	v_fma_f64 v[34:35], v[2:3], v[34:35], -v[36:37]
	ds_load_b128 v[2:5], v1 offset:1568
	v_fma_f64 v[38:39], v[8:9], v[145:146], v[40:41]
	v_fma_f64 v[40:41], v[6:7], v[145:146], -v[147:148]
	ds_load_b128 v[6:9], v1 offset:1584
	s_wait_loadcnt_dscnt 0x401
	v_mul_f64_e32 v[36:37], v[2:3], v[12:13]
	v_mul_f64_e32 v[12:13], v[4:5], v[12:13]
	v_add_f64_e32 v[32:33], v[32:33], v[151:152]
	v_add_f64_e32 v[30:31], v[30:31], v[34:35]
	s_wait_loadcnt_dscnt 0x300
	v_mul_f64_e32 v[34:35], v[6:7], v[16:17]
	v_mul_f64_e32 v[16:17], v[8:9], v[16:17]
	v_fma_f64 v[36:37], v[4:5], v[10:11], v[36:37]
	v_fma_f64 v[10:11], v[2:3], v[10:11], -v[12:13]
	ds_load_b128 v[2:5], v1 offset:1600
	v_add_f64_e32 v[12:13], v[30:31], v[40:41]
	v_add_f64_e32 v[30:31], v[32:33], v[38:39]
	v_fma_f64 v[34:35], v[8:9], v[14:15], v[34:35]
	v_fma_f64 v[14:15], v[6:7], v[14:15], -v[16:17]
	ds_load_b128 v[6:9], v1 offset:1616
	s_wait_loadcnt_dscnt 0x201
	v_mul_f64_e32 v[32:33], v[2:3], v[20:21]
	v_mul_f64_e32 v[20:21], v[4:5], v[20:21]
	s_wait_loadcnt_dscnt 0x100
	v_mul_f64_e32 v[16:17], v[6:7], v[24:25]
	v_mul_f64_e32 v[24:25], v[8:9], v[24:25]
	v_add_f64_e32 v[10:11], v[12:13], v[10:11]
	v_add_f64_e32 v[12:13], v[30:31], v[36:37]
	v_fma_f64 v[4:5], v[4:5], v[18:19], v[32:33]
	v_fma_f64 v[1:2], v[2:3], v[18:19], -v[20:21]
	v_fma_f64 v[8:9], v[8:9], v[22:23], v[16:17]
	v_fma_f64 v[6:7], v[6:7], v[22:23], -v[24:25]
	v_add_f64_e32 v[10:11], v[10:11], v[14:15]
	v_add_f64_e32 v[12:13], v[12:13], v[34:35]
	s_delay_alu instid0(VALU_DEP_2) | instskip(NEXT) | instid1(VALU_DEP_2)
	v_add_f64_e32 v[1:2], v[10:11], v[1:2]
	v_add_f64_e32 v[3:4], v[12:13], v[4:5]
	s_delay_alu instid0(VALU_DEP_2) | instskip(NEXT) | instid1(VALU_DEP_2)
	v_add_f64_e32 v[1:2], v[1:2], v[6:7]
	v_add_f64_e32 v[3:4], v[3:4], v[8:9]
	s_wait_loadcnt 0x0
	s_delay_alu instid0(VALU_DEP_2) | instskip(NEXT) | instid1(VALU_DEP_2)
	v_add_f64_e64 v[1:2], v[26:27], -v[1:2]
	v_add_f64_e64 v[3:4], v[28:29], -v[3:4]
	scratch_store_b128 off, v[1:4], off offset:400
	v_cmpx_lt_u32_e32 23, v0
	s_cbranch_execz .LBB50_273
; %bb.272:
	scratch_load_b128 v[1:4], off, s37
	v_mov_b32_e32 v5, 0
	s_delay_alu instid0(VALU_DEP_1)
	v_dual_mov_b32 v6, v5 :: v_dual_mov_b32 v7, v5
	v_mov_b32_e32 v8, v5
	scratch_store_b128 off, v[5:8], off offset:384
	s_wait_loadcnt 0x0
	ds_store_b128 v144, v[1:4]
.LBB50_273:
	s_wait_alu 0xfffe
	s_or_b32 exec_lo, exec_lo, s0
	s_wait_storecnt_dscnt 0x0
	s_barrier_signal -1
	s_barrier_wait -1
	global_inv scope:SCOPE_SE
	s_clause 0x7
	scratch_load_b128 v[2:5], off, off offset:400
	scratch_load_b128 v[6:9], off, off offset:416
	;; [unrolled: 1-line block ×8, first 2 shown]
	v_mov_b32_e32 v1, 0
	s_clause 0x1
	scratch_load_b128 v[38:41], off, off offset:528
	scratch_load_b128 v[149:152], off, off offset:544
	s_mov_b32 s0, exec_lo
	ds_load_b128 v[34:37], v1 offset:1200
	ds_load_b128 v[145:148], v1 offset:1216
	s_wait_loadcnt_dscnt 0x901
	v_mul_f64_e32 v[153:154], v[36:37], v[4:5]
	v_mul_f64_e32 v[4:5], v[34:35], v[4:5]
	s_wait_loadcnt_dscnt 0x800
	v_mul_f64_e32 v[155:156], v[145:146], v[8:9]
	v_mul_f64_e32 v[8:9], v[147:148], v[8:9]
	s_delay_alu instid0(VALU_DEP_4) | instskip(NEXT) | instid1(VALU_DEP_4)
	v_fma_f64 v[153:154], v[34:35], v[2:3], -v[153:154]
	v_fma_f64 v[157:158], v[36:37], v[2:3], v[4:5]
	ds_load_b128 v[2:5], v1 offset:1232
	scratch_load_b128 v[34:37], off, off offset:560
	v_fma_f64 v[155:156], v[147:148], v[6:7], v[155:156]
	v_fma_f64 v[161:162], v[145:146], v[6:7], -v[8:9]
	ds_load_b128 v[6:9], v1 offset:1248
	scratch_load_b128 v[145:148], off, off offset:576
	s_wait_loadcnt_dscnt 0x901
	v_mul_f64_e32 v[159:160], v[2:3], v[12:13]
	v_mul_f64_e32 v[12:13], v[4:5], v[12:13]
	s_wait_loadcnt_dscnt 0x800
	v_mul_f64_e32 v[163:164], v[6:7], v[16:17]
	v_mul_f64_e32 v[16:17], v[8:9], v[16:17]
	v_add_f64_e32 v[153:154], 0, v[153:154]
	v_add_f64_e32 v[157:158], 0, v[157:158]
	v_fma_f64 v[159:160], v[4:5], v[10:11], v[159:160]
	v_fma_f64 v[165:166], v[2:3], v[10:11], -v[12:13]
	ds_load_b128 v[2:5], v1 offset:1264
	scratch_load_b128 v[10:13], off, off offset:592
	v_add_f64_e32 v[153:154], v[153:154], v[161:162]
	v_add_f64_e32 v[155:156], v[157:158], v[155:156]
	v_fma_f64 v[161:162], v[8:9], v[14:15], v[163:164]
	v_fma_f64 v[163:164], v[6:7], v[14:15], -v[16:17]
	ds_load_b128 v[6:9], v1 offset:1280
	scratch_load_b128 v[14:17], off, off offset:608
	s_wait_loadcnt_dscnt 0x901
	v_mul_f64_e32 v[157:158], v[2:3], v[20:21]
	v_mul_f64_e32 v[20:21], v[4:5], v[20:21]
	v_add_f64_e32 v[153:154], v[153:154], v[165:166]
	v_add_f64_e32 v[155:156], v[155:156], v[159:160]
	s_wait_loadcnt_dscnt 0x800
	v_mul_f64_e32 v[159:160], v[6:7], v[24:25]
	v_mul_f64_e32 v[24:25], v[8:9], v[24:25]
	v_fma_f64 v[157:158], v[4:5], v[18:19], v[157:158]
	v_fma_f64 v[165:166], v[2:3], v[18:19], -v[20:21]
	ds_load_b128 v[2:5], v1 offset:1296
	scratch_load_b128 v[18:21], off, off offset:624
	v_add_f64_e32 v[153:154], v[153:154], v[163:164]
	v_add_f64_e32 v[155:156], v[155:156], v[161:162]
	v_fma_f64 v[159:160], v[8:9], v[22:23], v[159:160]
	v_fma_f64 v[163:164], v[6:7], v[22:23], -v[24:25]
	ds_load_b128 v[6:9], v1 offset:1312
	s_wait_loadcnt_dscnt 0x801
	v_mul_f64_e32 v[161:162], v[2:3], v[28:29]
	v_mul_f64_e32 v[28:29], v[4:5], v[28:29]
	scratch_load_b128 v[22:25], off, off offset:640
	v_add_f64_e32 v[153:154], v[153:154], v[165:166]
	v_add_f64_e32 v[155:156], v[155:156], v[157:158]
	s_wait_loadcnt_dscnt 0x800
	v_mul_f64_e32 v[157:158], v[6:7], v[32:33]
	v_mul_f64_e32 v[32:33], v[8:9], v[32:33]
	v_fma_f64 v[161:162], v[4:5], v[26:27], v[161:162]
	v_fma_f64 v[165:166], v[2:3], v[26:27], -v[28:29]
	ds_load_b128 v[2:5], v1 offset:1328
	scratch_load_b128 v[26:29], off, off offset:656
	v_add_f64_e32 v[153:154], v[153:154], v[163:164]
	v_add_f64_e32 v[155:156], v[155:156], v[159:160]
	v_fma_f64 v[157:158], v[8:9], v[30:31], v[157:158]
	v_fma_f64 v[163:164], v[6:7], v[30:31], -v[32:33]
	ds_load_b128 v[6:9], v1 offset:1344
	s_wait_loadcnt_dscnt 0x801
	v_mul_f64_e32 v[159:160], v[2:3], v[40:41]
	v_mul_f64_e32 v[40:41], v[4:5], v[40:41]
	scratch_load_b128 v[30:33], off, off offset:672
	v_add_f64_e32 v[153:154], v[153:154], v[165:166]
	v_add_f64_e32 v[155:156], v[155:156], v[161:162]
	s_wait_loadcnt_dscnt 0x800
	v_mul_f64_e32 v[161:162], v[6:7], v[151:152]
	v_mul_f64_e32 v[151:152], v[8:9], v[151:152]
	v_fma_f64 v[159:160], v[4:5], v[38:39], v[159:160]
	v_fma_f64 v[165:166], v[2:3], v[38:39], -v[40:41]
	ds_load_b128 v[2:5], v1 offset:1360
	scratch_load_b128 v[38:41], off, off offset:688
	v_add_f64_e32 v[153:154], v[153:154], v[163:164]
	v_add_f64_e32 v[155:156], v[155:156], v[157:158]
	v_fma_f64 v[161:162], v[8:9], v[149:150], v[161:162]
	v_fma_f64 v[163:164], v[6:7], v[149:150], -v[151:152]
	ds_load_b128 v[6:9], v1 offset:1376
	scratch_load_b128 v[149:152], off, off offset:704
	s_wait_loadcnt_dscnt 0x901
	v_mul_f64_e32 v[157:158], v[2:3], v[36:37]
	v_mul_f64_e32 v[36:37], v[4:5], v[36:37]
	v_add_f64_e32 v[153:154], v[153:154], v[165:166]
	v_add_f64_e32 v[155:156], v[155:156], v[159:160]
	s_wait_loadcnt_dscnt 0x800
	v_mul_f64_e32 v[159:160], v[6:7], v[147:148]
	v_mul_f64_e32 v[147:148], v[8:9], v[147:148]
	v_fma_f64 v[157:158], v[4:5], v[34:35], v[157:158]
	v_fma_f64 v[165:166], v[2:3], v[34:35], -v[36:37]
	ds_load_b128 v[2:5], v1 offset:1392
	scratch_load_b128 v[34:37], off, off offset:720
	v_add_f64_e32 v[153:154], v[153:154], v[163:164]
	v_add_f64_e32 v[155:156], v[155:156], v[161:162]
	v_fma_f64 v[159:160], v[8:9], v[145:146], v[159:160]
	v_fma_f64 v[163:164], v[6:7], v[145:146], -v[147:148]
	ds_load_b128 v[6:9], v1 offset:1408
	s_wait_loadcnt_dscnt 0x801
	v_mul_f64_e32 v[161:162], v[2:3], v[12:13]
	v_mul_f64_e32 v[12:13], v[4:5], v[12:13]
	scratch_load_b128 v[145:148], off, off offset:736
	v_add_f64_e32 v[153:154], v[153:154], v[165:166]
	v_add_f64_e32 v[155:156], v[155:156], v[157:158]
	s_wait_loadcnt_dscnt 0x800
	v_mul_f64_e32 v[157:158], v[6:7], v[16:17]
	v_mul_f64_e32 v[16:17], v[8:9], v[16:17]
	v_fma_f64 v[161:162], v[4:5], v[10:11], v[161:162]
	v_fma_f64 v[165:166], v[2:3], v[10:11], -v[12:13]
	ds_load_b128 v[2:5], v1 offset:1424
	scratch_load_b128 v[10:13], off, off offset:752
	v_add_f64_e32 v[153:154], v[153:154], v[163:164]
	v_add_f64_e32 v[155:156], v[155:156], v[159:160]
	v_fma_f64 v[157:158], v[8:9], v[14:15], v[157:158]
	v_fma_f64 v[163:164], v[6:7], v[14:15], -v[16:17]
	ds_load_b128 v[6:9], v1 offset:1440
	s_wait_loadcnt_dscnt 0x801
	v_mul_f64_e32 v[159:160], v[2:3], v[20:21]
	v_mul_f64_e32 v[20:21], v[4:5], v[20:21]
	scratch_load_b128 v[14:17], off, off offset:768
	v_add_f64_e32 v[153:154], v[153:154], v[165:166]
	v_add_f64_e32 v[155:156], v[155:156], v[161:162]
	s_wait_loadcnt_dscnt 0x800
	v_mul_f64_e32 v[161:162], v[6:7], v[24:25]
	v_mul_f64_e32 v[24:25], v[8:9], v[24:25]
	v_fma_f64 v[159:160], v[4:5], v[18:19], v[159:160]
	v_fma_f64 v[165:166], v[2:3], v[18:19], -v[20:21]
	ds_load_b128 v[2:5], v1 offset:1456
	scratch_load_b128 v[18:21], off, off offset:784
	v_add_f64_e32 v[153:154], v[153:154], v[163:164]
	v_add_f64_e32 v[155:156], v[155:156], v[157:158]
	v_fma_f64 v[161:162], v[8:9], v[22:23], v[161:162]
	v_fma_f64 v[163:164], v[6:7], v[22:23], -v[24:25]
	ds_load_b128 v[6:9], v1 offset:1472
	s_wait_loadcnt_dscnt 0x801
	v_mul_f64_e32 v[157:158], v[2:3], v[28:29]
	v_mul_f64_e32 v[28:29], v[4:5], v[28:29]
	scratch_load_b128 v[22:25], off, off offset:800
	v_add_f64_e32 v[153:154], v[153:154], v[165:166]
	v_add_f64_e32 v[155:156], v[155:156], v[159:160]
	s_wait_loadcnt_dscnt 0x800
	v_mul_f64_e32 v[159:160], v[6:7], v[32:33]
	v_mul_f64_e32 v[32:33], v[8:9], v[32:33]
	v_fma_f64 v[157:158], v[4:5], v[26:27], v[157:158]
	v_fma_f64 v[165:166], v[2:3], v[26:27], -v[28:29]
	ds_load_b128 v[2:5], v1 offset:1488
	scratch_load_b128 v[26:29], off, off offset:816
	v_add_f64_e32 v[153:154], v[153:154], v[163:164]
	v_add_f64_e32 v[155:156], v[155:156], v[161:162]
	v_fma_f64 v[159:160], v[8:9], v[30:31], v[159:160]
	v_fma_f64 v[30:31], v[6:7], v[30:31], -v[32:33]
	ds_load_b128 v[6:9], v1 offset:1504
	s_wait_loadcnt_dscnt 0x801
	v_mul_f64_e32 v[161:162], v[2:3], v[40:41]
	v_mul_f64_e32 v[40:41], v[4:5], v[40:41]
	v_add_f64_e32 v[32:33], v[153:154], v[165:166]
	v_add_f64_e32 v[153:154], v[155:156], v[157:158]
	s_wait_loadcnt_dscnt 0x700
	v_mul_f64_e32 v[155:156], v[6:7], v[151:152]
	v_mul_f64_e32 v[151:152], v[8:9], v[151:152]
	v_fma_f64 v[157:158], v[4:5], v[38:39], v[161:162]
	v_fma_f64 v[38:39], v[2:3], v[38:39], -v[40:41]
	ds_load_b128 v[2:5], v1 offset:1520
	v_add_f64_e32 v[30:31], v[32:33], v[30:31]
	v_add_f64_e32 v[32:33], v[153:154], v[159:160]
	v_fma_f64 v[153:154], v[8:9], v[149:150], v[155:156]
	v_fma_f64 v[149:150], v[6:7], v[149:150], -v[151:152]
	ds_load_b128 v[6:9], v1 offset:1536
	s_wait_loadcnt_dscnt 0x500
	v_mul_f64_e32 v[155:156], v[6:7], v[147:148]
	v_mul_f64_e32 v[147:148], v[8:9], v[147:148]
	v_add_f64_e32 v[38:39], v[30:31], v[38:39]
	v_add_f64_e32 v[151:152], v[32:33], v[157:158]
	scratch_load_b128 v[30:33], off, off offset:384
	v_mul_f64_e32 v[40:41], v[2:3], v[36:37]
	v_mul_f64_e32 v[36:37], v[4:5], v[36:37]
	s_delay_alu instid0(VALU_DEP_2) | instskip(NEXT) | instid1(VALU_DEP_2)
	v_fma_f64 v[40:41], v[4:5], v[34:35], v[40:41]
	v_fma_f64 v[34:35], v[2:3], v[34:35], -v[36:37]
	v_add_f64_e32 v[36:37], v[38:39], v[149:150]
	v_add_f64_e32 v[38:39], v[151:152], v[153:154]
	ds_load_b128 v[2:5], v1 offset:1552
	v_fma_f64 v[151:152], v[8:9], v[145:146], v[155:156]
	v_fma_f64 v[145:146], v[6:7], v[145:146], -v[147:148]
	ds_load_b128 v[6:9], v1 offset:1568
	s_wait_loadcnt_dscnt 0x501
	v_mul_f64_e32 v[149:150], v[2:3], v[12:13]
	v_mul_f64_e32 v[12:13], v[4:5], v[12:13]
	v_add_f64_e32 v[34:35], v[36:37], v[34:35]
	v_add_f64_e32 v[36:37], v[38:39], v[40:41]
	s_wait_loadcnt_dscnt 0x400
	v_mul_f64_e32 v[38:39], v[6:7], v[16:17]
	v_mul_f64_e32 v[16:17], v[8:9], v[16:17]
	v_fma_f64 v[40:41], v[4:5], v[10:11], v[149:150]
	v_fma_f64 v[10:11], v[2:3], v[10:11], -v[12:13]
	ds_load_b128 v[2:5], v1 offset:1584
	v_add_f64_e32 v[12:13], v[34:35], v[145:146]
	v_add_f64_e32 v[34:35], v[36:37], v[151:152]
	v_fma_f64 v[38:39], v[8:9], v[14:15], v[38:39]
	v_fma_f64 v[14:15], v[6:7], v[14:15], -v[16:17]
	ds_load_b128 v[6:9], v1 offset:1600
	s_wait_loadcnt_dscnt 0x301
	v_mul_f64_e32 v[36:37], v[2:3], v[20:21]
	v_mul_f64_e32 v[20:21], v[4:5], v[20:21]
	s_wait_loadcnt_dscnt 0x200
	v_mul_f64_e32 v[16:17], v[6:7], v[24:25]
	v_mul_f64_e32 v[24:25], v[8:9], v[24:25]
	v_add_f64_e32 v[10:11], v[12:13], v[10:11]
	v_add_f64_e32 v[12:13], v[34:35], v[40:41]
	v_fma_f64 v[34:35], v[4:5], v[18:19], v[36:37]
	v_fma_f64 v[18:19], v[2:3], v[18:19], -v[20:21]
	ds_load_b128 v[2:5], v1 offset:1616
	v_fma_f64 v[8:9], v[8:9], v[22:23], v[16:17]
	v_fma_f64 v[6:7], v[6:7], v[22:23], -v[24:25]
	s_wait_loadcnt_dscnt 0x100
	v_mul_f64_e32 v[20:21], v[4:5], v[28:29]
	v_add_f64_e32 v[10:11], v[10:11], v[14:15]
	v_add_f64_e32 v[12:13], v[12:13], v[38:39]
	v_mul_f64_e32 v[14:15], v[2:3], v[28:29]
	s_delay_alu instid0(VALU_DEP_4) | instskip(NEXT) | instid1(VALU_DEP_4)
	v_fma_f64 v[2:3], v[2:3], v[26:27], -v[20:21]
	v_add_f64_e32 v[10:11], v[10:11], v[18:19]
	s_delay_alu instid0(VALU_DEP_4) | instskip(NEXT) | instid1(VALU_DEP_4)
	v_add_f64_e32 v[12:13], v[12:13], v[34:35]
	v_fma_f64 v[4:5], v[4:5], v[26:27], v[14:15]
	s_delay_alu instid0(VALU_DEP_3) | instskip(NEXT) | instid1(VALU_DEP_3)
	v_add_f64_e32 v[6:7], v[10:11], v[6:7]
	v_add_f64_e32 v[8:9], v[12:13], v[8:9]
	s_delay_alu instid0(VALU_DEP_2) | instskip(NEXT) | instid1(VALU_DEP_2)
	v_add_f64_e32 v[2:3], v[6:7], v[2:3]
	v_add_f64_e32 v[4:5], v[8:9], v[4:5]
	s_wait_loadcnt 0x0
	s_delay_alu instid0(VALU_DEP_2) | instskip(NEXT) | instid1(VALU_DEP_2)
	v_add_f64_e64 v[2:3], v[30:31], -v[2:3]
	v_add_f64_e64 v[4:5], v[32:33], -v[4:5]
	scratch_store_b128 off, v[2:5], off offset:384
	v_cmpx_lt_u32_e32 22, v0
	s_cbranch_execz .LBB50_275
; %bb.274:
	scratch_load_b128 v[5:8], off, s38
	v_dual_mov_b32 v2, v1 :: v_dual_mov_b32 v3, v1
	v_mov_b32_e32 v4, v1
	scratch_store_b128 off, v[1:4], off offset:368
	s_wait_loadcnt 0x0
	ds_store_b128 v144, v[5:8]
.LBB50_275:
	s_wait_alu 0xfffe
	s_or_b32 exec_lo, exec_lo, s0
	s_wait_storecnt_dscnt 0x0
	s_barrier_signal -1
	s_barrier_wait -1
	global_inv scope:SCOPE_SE
	s_clause 0x7
	scratch_load_b128 v[2:5], off, off offset:384
	scratch_load_b128 v[6:9], off, off offset:400
	;; [unrolled: 1-line block ×8, first 2 shown]
	ds_load_b128 v[34:37], v1 offset:1184
	ds_load_b128 v[145:148], v1 offset:1200
	s_clause 0x1
	scratch_load_b128 v[38:41], off, off offset:512
	scratch_load_b128 v[149:152], off, off offset:528
	s_mov_b32 s0, exec_lo
	s_wait_loadcnt_dscnt 0x901
	v_mul_f64_e32 v[153:154], v[36:37], v[4:5]
	v_mul_f64_e32 v[4:5], v[34:35], v[4:5]
	s_wait_loadcnt_dscnt 0x800
	v_mul_f64_e32 v[155:156], v[145:146], v[8:9]
	v_mul_f64_e32 v[8:9], v[147:148], v[8:9]
	s_delay_alu instid0(VALU_DEP_4) | instskip(NEXT) | instid1(VALU_DEP_4)
	v_fma_f64 v[153:154], v[34:35], v[2:3], -v[153:154]
	v_fma_f64 v[157:158], v[36:37], v[2:3], v[4:5]
	scratch_load_b128 v[34:37], off, off offset:544
	ds_load_b128 v[2:5], v1 offset:1216
	v_fma_f64 v[155:156], v[147:148], v[6:7], v[155:156]
	v_fma_f64 v[161:162], v[145:146], v[6:7], -v[8:9]
	ds_load_b128 v[6:9], v1 offset:1232
	scratch_load_b128 v[145:148], off, off offset:560
	s_wait_loadcnt_dscnt 0x901
	v_mul_f64_e32 v[159:160], v[2:3], v[12:13]
	v_mul_f64_e32 v[12:13], v[4:5], v[12:13]
	s_wait_loadcnt_dscnt 0x800
	v_mul_f64_e32 v[163:164], v[6:7], v[16:17]
	v_mul_f64_e32 v[16:17], v[8:9], v[16:17]
	v_add_f64_e32 v[153:154], 0, v[153:154]
	v_add_f64_e32 v[157:158], 0, v[157:158]
	v_fma_f64 v[159:160], v[4:5], v[10:11], v[159:160]
	v_fma_f64 v[165:166], v[2:3], v[10:11], -v[12:13]
	ds_load_b128 v[2:5], v1 offset:1248
	scratch_load_b128 v[10:13], off, off offset:576
	v_add_f64_e32 v[153:154], v[153:154], v[161:162]
	v_add_f64_e32 v[155:156], v[157:158], v[155:156]
	v_fma_f64 v[161:162], v[8:9], v[14:15], v[163:164]
	v_fma_f64 v[163:164], v[6:7], v[14:15], -v[16:17]
	ds_load_b128 v[6:9], v1 offset:1264
	scratch_load_b128 v[14:17], off, off offset:592
	s_wait_loadcnt_dscnt 0x901
	v_mul_f64_e32 v[157:158], v[2:3], v[20:21]
	v_mul_f64_e32 v[20:21], v[4:5], v[20:21]
	v_add_f64_e32 v[153:154], v[153:154], v[165:166]
	v_add_f64_e32 v[155:156], v[155:156], v[159:160]
	s_wait_loadcnt_dscnt 0x800
	v_mul_f64_e32 v[159:160], v[6:7], v[24:25]
	v_mul_f64_e32 v[24:25], v[8:9], v[24:25]
	v_fma_f64 v[157:158], v[4:5], v[18:19], v[157:158]
	v_fma_f64 v[165:166], v[2:3], v[18:19], -v[20:21]
	ds_load_b128 v[2:5], v1 offset:1280
	scratch_load_b128 v[18:21], off, off offset:608
	v_add_f64_e32 v[153:154], v[153:154], v[163:164]
	v_add_f64_e32 v[155:156], v[155:156], v[161:162]
	v_fma_f64 v[159:160], v[8:9], v[22:23], v[159:160]
	v_fma_f64 v[163:164], v[6:7], v[22:23], -v[24:25]
	ds_load_b128 v[6:9], v1 offset:1296
	s_wait_loadcnt_dscnt 0x801
	v_mul_f64_e32 v[161:162], v[2:3], v[28:29]
	v_mul_f64_e32 v[28:29], v[4:5], v[28:29]
	scratch_load_b128 v[22:25], off, off offset:624
	v_add_f64_e32 v[153:154], v[153:154], v[165:166]
	v_add_f64_e32 v[155:156], v[155:156], v[157:158]
	s_wait_loadcnt_dscnt 0x800
	v_mul_f64_e32 v[157:158], v[6:7], v[32:33]
	v_mul_f64_e32 v[32:33], v[8:9], v[32:33]
	v_fma_f64 v[161:162], v[4:5], v[26:27], v[161:162]
	v_fma_f64 v[165:166], v[2:3], v[26:27], -v[28:29]
	ds_load_b128 v[2:5], v1 offset:1312
	scratch_load_b128 v[26:29], off, off offset:640
	v_add_f64_e32 v[153:154], v[153:154], v[163:164]
	v_add_f64_e32 v[155:156], v[155:156], v[159:160]
	v_fma_f64 v[157:158], v[8:9], v[30:31], v[157:158]
	v_fma_f64 v[163:164], v[6:7], v[30:31], -v[32:33]
	ds_load_b128 v[6:9], v1 offset:1328
	s_wait_loadcnt_dscnt 0x801
	v_mul_f64_e32 v[159:160], v[2:3], v[40:41]
	v_mul_f64_e32 v[40:41], v[4:5], v[40:41]
	scratch_load_b128 v[30:33], off, off offset:656
	v_add_f64_e32 v[153:154], v[153:154], v[165:166]
	v_add_f64_e32 v[155:156], v[155:156], v[161:162]
	s_wait_loadcnt_dscnt 0x800
	v_mul_f64_e32 v[161:162], v[6:7], v[151:152]
	v_mul_f64_e32 v[151:152], v[8:9], v[151:152]
	v_fma_f64 v[159:160], v[4:5], v[38:39], v[159:160]
	v_fma_f64 v[165:166], v[2:3], v[38:39], -v[40:41]
	ds_load_b128 v[2:5], v1 offset:1344
	scratch_load_b128 v[38:41], off, off offset:672
	v_add_f64_e32 v[153:154], v[153:154], v[163:164]
	v_add_f64_e32 v[155:156], v[155:156], v[157:158]
	v_fma_f64 v[161:162], v[8:9], v[149:150], v[161:162]
	v_fma_f64 v[163:164], v[6:7], v[149:150], -v[151:152]
	ds_load_b128 v[6:9], v1 offset:1360
	scratch_load_b128 v[149:152], off, off offset:688
	s_wait_loadcnt_dscnt 0x901
	v_mul_f64_e32 v[157:158], v[2:3], v[36:37]
	v_mul_f64_e32 v[36:37], v[4:5], v[36:37]
	v_add_f64_e32 v[153:154], v[153:154], v[165:166]
	v_add_f64_e32 v[155:156], v[155:156], v[159:160]
	s_wait_loadcnt_dscnt 0x800
	v_mul_f64_e32 v[159:160], v[6:7], v[147:148]
	v_mul_f64_e32 v[147:148], v[8:9], v[147:148]
	v_fma_f64 v[157:158], v[4:5], v[34:35], v[157:158]
	v_fma_f64 v[165:166], v[2:3], v[34:35], -v[36:37]
	scratch_load_b128 v[34:37], off, off offset:704
	ds_load_b128 v[2:5], v1 offset:1376
	v_add_f64_e32 v[153:154], v[153:154], v[163:164]
	v_add_f64_e32 v[155:156], v[155:156], v[161:162]
	v_fma_f64 v[159:160], v[8:9], v[145:146], v[159:160]
	v_fma_f64 v[163:164], v[6:7], v[145:146], -v[147:148]
	ds_load_b128 v[6:9], v1 offset:1392
	s_wait_loadcnt_dscnt 0x801
	v_mul_f64_e32 v[161:162], v[2:3], v[12:13]
	v_mul_f64_e32 v[12:13], v[4:5], v[12:13]
	scratch_load_b128 v[145:148], off, off offset:720
	v_add_f64_e32 v[153:154], v[153:154], v[165:166]
	v_add_f64_e32 v[155:156], v[155:156], v[157:158]
	s_wait_loadcnt_dscnt 0x800
	v_mul_f64_e32 v[157:158], v[6:7], v[16:17]
	v_mul_f64_e32 v[16:17], v[8:9], v[16:17]
	v_fma_f64 v[161:162], v[4:5], v[10:11], v[161:162]
	v_fma_f64 v[165:166], v[2:3], v[10:11], -v[12:13]
	ds_load_b128 v[2:5], v1 offset:1408
	scratch_load_b128 v[10:13], off, off offset:736
	v_add_f64_e32 v[153:154], v[153:154], v[163:164]
	v_add_f64_e32 v[155:156], v[155:156], v[159:160]
	v_fma_f64 v[157:158], v[8:9], v[14:15], v[157:158]
	v_fma_f64 v[163:164], v[6:7], v[14:15], -v[16:17]
	ds_load_b128 v[6:9], v1 offset:1424
	s_wait_loadcnt_dscnt 0x801
	v_mul_f64_e32 v[159:160], v[2:3], v[20:21]
	v_mul_f64_e32 v[20:21], v[4:5], v[20:21]
	scratch_load_b128 v[14:17], off, off offset:752
	v_add_f64_e32 v[153:154], v[153:154], v[165:166]
	v_add_f64_e32 v[155:156], v[155:156], v[161:162]
	s_wait_loadcnt_dscnt 0x800
	v_mul_f64_e32 v[161:162], v[6:7], v[24:25]
	v_mul_f64_e32 v[24:25], v[8:9], v[24:25]
	v_fma_f64 v[159:160], v[4:5], v[18:19], v[159:160]
	v_fma_f64 v[165:166], v[2:3], v[18:19], -v[20:21]
	ds_load_b128 v[2:5], v1 offset:1440
	scratch_load_b128 v[18:21], off, off offset:768
	;; [unrolled: 18-line block ×3, first 2 shown]
	v_add_f64_e32 v[153:154], v[153:154], v[163:164]
	v_add_f64_e32 v[155:156], v[155:156], v[161:162]
	v_fma_f64 v[159:160], v[8:9], v[30:31], v[159:160]
	v_fma_f64 v[163:164], v[6:7], v[30:31], -v[32:33]
	ds_load_b128 v[6:9], v1 offset:1488
	s_wait_loadcnt_dscnt 0x801
	v_mul_f64_e32 v[161:162], v[2:3], v[40:41]
	v_mul_f64_e32 v[40:41], v[4:5], v[40:41]
	scratch_load_b128 v[30:33], off, off offset:816
	v_add_f64_e32 v[153:154], v[153:154], v[165:166]
	v_add_f64_e32 v[155:156], v[155:156], v[157:158]
	v_fma_f64 v[161:162], v[4:5], v[38:39], v[161:162]
	v_fma_f64 v[38:39], v[2:3], v[38:39], -v[40:41]
	ds_load_b128 v[2:5], v1 offset:1504
	v_add_f64_e32 v[40:41], v[153:154], v[163:164]
	v_add_f64_e32 v[153:154], v[155:156], v[159:160]
	s_wait_loadcnt_dscnt 0x700
	v_mul_f64_e32 v[155:156], v[2:3], v[36:37]
	v_mul_f64_e32 v[36:37], v[4:5], v[36:37]
	s_delay_alu instid0(VALU_DEP_4) | instskip(NEXT) | instid1(VALU_DEP_4)
	v_add_f64_e32 v[38:39], v[40:41], v[38:39]
	v_add_f64_e32 v[40:41], v[153:154], v[161:162]
	s_delay_alu instid0(VALU_DEP_4) | instskip(NEXT) | instid1(VALU_DEP_4)
	v_fma_f64 v[153:154], v[4:5], v[34:35], v[155:156]
	v_fma_f64 v[155:156], v[2:3], v[34:35], -v[36:37]
	scratch_load_b128 v[34:37], off, off offset:368
	v_mul_f64_e32 v[157:158], v[6:7], v[151:152]
	v_mul_f64_e32 v[151:152], v[8:9], v[151:152]
	ds_load_b128 v[2:5], v1 offset:1536
	v_fma_f64 v[157:158], v[8:9], v[149:150], v[157:158]
	v_fma_f64 v[149:150], v[6:7], v[149:150], -v[151:152]
	ds_load_b128 v[6:9], v1 offset:1520
	s_wait_loadcnt_dscnt 0x700
	v_mul_f64_e32 v[151:152], v[6:7], v[147:148]
	v_mul_f64_e32 v[147:148], v[8:9], v[147:148]
	v_add_f64_e32 v[40:41], v[40:41], v[157:158]
	v_add_f64_e32 v[38:39], v[38:39], v[149:150]
	s_wait_loadcnt 0x6
	v_mul_f64_e32 v[149:150], v[2:3], v[12:13]
	v_mul_f64_e32 v[12:13], v[4:5], v[12:13]
	v_fma_f64 v[151:152], v[8:9], v[145:146], v[151:152]
	v_fma_f64 v[145:146], v[6:7], v[145:146], -v[147:148]
	ds_load_b128 v[6:9], v1 offset:1552
	v_add_f64_e32 v[40:41], v[40:41], v[153:154]
	v_add_f64_e32 v[38:39], v[38:39], v[155:156]
	v_fma_f64 v[149:150], v[4:5], v[10:11], v[149:150]
	v_fma_f64 v[10:11], v[2:3], v[10:11], -v[12:13]
	ds_load_b128 v[2:5], v1 offset:1568
	s_wait_loadcnt_dscnt 0x501
	v_mul_f64_e32 v[147:148], v[6:7], v[16:17]
	v_mul_f64_e32 v[16:17], v[8:9], v[16:17]
	v_add_f64_e32 v[12:13], v[38:39], v[145:146]
	v_add_f64_e32 v[38:39], v[40:41], v[151:152]
	s_wait_loadcnt_dscnt 0x400
	v_mul_f64_e32 v[40:41], v[2:3], v[20:21]
	v_mul_f64_e32 v[20:21], v[4:5], v[20:21]
	v_fma_f64 v[145:146], v[8:9], v[14:15], v[147:148]
	v_fma_f64 v[14:15], v[6:7], v[14:15], -v[16:17]
	ds_load_b128 v[6:9], v1 offset:1584
	v_add_f64_e32 v[10:11], v[12:13], v[10:11]
	v_add_f64_e32 v[12:13], v[38:39], v[149:150]
	v_fma_f64 v[38:39], v[4:5], v[18:19], v[40:41]
	v_fma_f64 v[18:19], v[2:3], v[18:19], -v[20:21]
	ds_load_b128 v[2:5], v1 offset:1600
	s_wait_loadcnt_dscnt 0x301
	v_mul_f64_e32 v[16:17], v[6:7], v[24:25]
	v_mul_f64_e32 v[24:25], v[8:9], v[24:25]
	s_wait_loadcnt_dscnt 0x200
	v_mul_f64_e32 v[20:21], v[4:5], v[28:29]
	v_add_f64_e32 v[10:11], v[10:11], v[14:15]
	v_add_f64_e32 v[12:13], v[12:13], v[145:146]
	v_mul_f64_e32 v[14:15], v[2:3], v[28:29]
	v_fma_f64 v[16:17], v[8:9], v[22:23], v[16:17]
	v_fma_f64 v[22:23], v[6:7], v[22:23], -v[24:25]
	ds_load_b128 v[6:9], v1 offset:1616
	v_fma_f64 v[1:2], v[2:3], v[26:27], -v[20:21]
	s_wait_loadcnt_dscnt 0x100
	v_mul_f64_e32 v[24:25], v[8:9], v[32:33]
	v_add_f64_e32 v[10:11], v[10:11], v[18:19]
	v_add_f64_e32 v[12:13], v[12:13], v[38:39]
	v_mul_f64_e32 v[18:19], v[6:7], v[32:33]
	v_fma_f64 v[4:5], v[4:5], v[26:27], v[14:15]
	v_fma_f64 v[6:7], v[6:7], v[30:31], -v[24:25]
	v_add_f64_e32 v[10:11], v[10:11], v[22:23]
	v_add_f64_e32 v[12:13], v[12:13], v[16:17]
	v_fma_f64 v[8:9], v[8:9], v[30:31], v[18:19]
	s_delay_alu instid0(VALU_DEP_3) | instskip(NEXT) | instid1(VALU_DEP_3)
	v_add_f64_e32 v[1:2], v[10:11], v[1:2]
	v_add_f64_e32 v[3:4], v[12:13], v[4:5]
	s_delay_alu instid0(VALU_DEP_2) | instskip(NEXT) | instid1(VALU_DEP_2)
	v_add_f64_e32 v[1:2], v[1:2], v[6:7]
	v_add_f64_e32 v[3:4], v[3:4], v[8:9]
	s_wait_loadcnt 0x0
	s_delay_alu instid0(VALU_DEP_2) | instskip(NEXT) | instid1(VALU_DEP_2)
	v_add_f64_e64 v[1:2], v[34:35], -v[1:2]
	v_add_f64_e64 v[3:4], v[36:37], -v[3:4]
	scratch_store_b128 off, v[1:4], off offset:368
	v_cmpx_lt_u32_e32 21, v0
	s_cbranch_execz .LBB50_277
; %bb.276:
	scratch_load_b128 v[1:4], off, s39
	v_mov_b32_e32 v5, 0
	s_delay_alu instid0(VALU_DEP_1)
	v_dual_mov_b32 v6, v5 :: v_dual_mov_b32 v7, v5
	v_mov_b32_e32 v8, v5
	scratch_store_b128 off, v[5:8], off offset:352
	s_wait_loadcnt 0x0
	ds_store_b128 v144, v[1:4]
.LBB50_277:
	s_wait_alu 0xfffe
	s_or_b32 exec_lo, exec_lo, s0
	s_wait_storecnt_dscnt 0x0
	s_barrier_signal -1
	s_barrier_wait -1
	global_inv scope:SCOPE_SE
	s_clause 0x7
	scratch_load_b128 v[2:5], off, off offset:368
	scratch_load_b128 v[6:9], off, off offset:384
	;; [unrolled: 1-line block ×8, first 2 shown]
	v_mov_b32_e32 v1, 0
	s_clause 0x1
	scratch_load_b128 v[38:41], off, off offset:496
	scratch_load_b128 v[149:152], off, off offset:512
	s_mov_b32 s0, exec_lo
	ds_load_b128 v[34:37], v1 offset:1168
	ds_load_b128 v[145:148], v1 offset:1184
	s_wait_loadcnt_dscnt 0x901
	v_mul_f64_e32 v[153:154], v[36:37], v[4:5]
	v_mul_f64_e32 v[4:5], v[34:35], v[4:5]
	s_wait_loadcnt_dscnt 0x800
	v_mul_f64_e32 v[155:156], v[145:146], v[8:9]
	v_mul_f64_e32 v[8:9], v[147:148], v[8:9]
	s_delay_alu instid0(VALU_DEP_4) | instskip(NEXT) | instid1(VALU_DEP_4)
	v_fma_f64 v[153:154], v[34:35], v[2:3], -v[153:154]
	v_fma_f64 v[157:158], v[36:37], v[2:3], v[4:5]
	ds_load_b128 v[2:5], v1 offset:1200
	scratch_load_b128 v[34:37], off, off offset:528
	v_fma_f64 v[155:156], v[147:148], v[6:7], v[155:156]
	v_fma_f64 v[161:162], v[145:146], v[6:7], -v[8:9]
	ds_load_b128 v[6:9], v1 offset:1216
	scratch_load_b128 v[145:148], off, off offset:544
	s_wait_loadcnt_dscnt 0x901
	v_mul_f64_e32 v[159:160], v[2:3], v[12:13]
	v_mul_f64_e32 v[12:13], v[4:5], v[12:13]
	s_wait_loadcnt_dscnt 0x800
	v_mul_f64_e32 v[163:164], v[6:7], v[16:17]
	v_mul_f64_e32 v[16:17], v[8:9], v[16:17]
	v_add_f64_e32 v[153:154], 0, v[153:154]
	v_add_f64_e32 v[157:158], 0, v[157:158]
	v_fma_f64 v[159:160], v[4:5], v[10:11], v[159:160]
	v_fma_f64 v[165:166], v[2:3], v[10:11], -v[12:13]
	ds_load_b128 v[2:5], v1 offset:1232
	scratch_load_b128 v[10:13], off, off offset:560
	v_add_f64_e32 v[153:154], v[153:154], v[161:162]
	v_add_f64_e32 v[155:156], v[157:158], v[155:156]
	v_fma_f64 v[161:162], v[8:9], v[14:15], v[163:164]
	v_fma_f64 v[163:164], v[6:7], v[14:15], -v[16:17]
	ds_load_b128 v[6:9], v1 offset:1248
	scratch_load_b128 v[14:17], off, off offset:576
	s_wait_loadcnt_dscnt 0x901
	v_mul_f64_e32 v[157:158], v[2:3], v[20:21]
	v_mul_f64_e32 v[20:21], v[4:5], v[20:21]
	v_add_f64_e32 v[153:154], v[153:154], v[165:166]
	v_add_f64_e32 v[155:156], v[155:156], v[159:160]
	s_wait_loadcnt_dscnt 0x800
	v_mul_f64_e32 v[159:160], v[6:7], v[24:25]
	v_mul_f64_e32 v[24:25], v[8:9], v[24:25]
	v_fma_f64 v[157:158], v[4:5], v[18:19], v[157:158]
	v_fma_f64 v[165:166], v[2:3], v[18:19], -v[20:21]
	ds_load_b128 v[2:5], v1 offset:1264
	scratch_load_b128 v[18:21], off, off offset:592
	v_add_f64_e32 v[153:154], v[153:154], v[163:164]
	v_add_f64_e32 v[155:156], v[155:156], v[161:162]
	v_fma_f64 v[159:160], v[8:9], v[22:23], v[159:160]
	v_fma_f64 v[163:164], v[6:7], v[22:23], -v[24:25]
	ds_load_b128 v[6:9], v1 offset:1280
	s_wait_loadcnt_dscnt 0x801
	v_mul_f64_e32 v[161:162], v[2:3], v[28:29]
	v_mul_f64_e32 v[28:29], v[4:5], v[28:29]
	scratch_load_b128 v[22:25], off, off offset:608
	v_add_f64_e32 v[153:154], v[153:154], v[165:166]
	v_add_f64_e32 v[155:156], v[155:156], v[157:158]
	s_wait_loadcnt_dscnt 0x800
	v_mul_f64_e32 v[157:158], v[6:7], v[32:33]
	v_mul_f64_e32 v[32:33], v[8:9], v[32:33]
	v_fma_f64 v[161:162], v[4:5], v[26:27], v[161:162]
	v_fma_f64 v[165:166], v[2:3], v[26:27], -v[28:29]
	ds_load_b128 v[2:5], v1 offset:1296
	scratch_load_b128 v[26:29], off, off offset:624
	v_add_f64_e32 v[153:154], v[153:154], v[163:164]
	v_add_f64_e32 v[155:156], v[155:156], v[159:160]
	v_fma_f64 v[157:158], v[8:9], v[30:31], v[157:158]
	v_fma_f64 v[163:164], v[6:7], v[30:31], -v[32:33]
	ds_load_b128 v[6:9], v1 offset:1312
	s_wait_loadcnt_dscnt 0x801
	v_mul_f64_e32 v[159:160], v[2:3], v[40:41]
	v_mul_f64_e32 v[40:41], v[4:5], v[40:41]
	scratch_load_b128 v[30:33], off, off offset:640
	v_add_f64_e32 v[153:154], v[153:154], v[165:166]
	v_add_f64_e32 v[155:156], v[155:156], v[161:162]
	s_wait_loadcnt_dscnt 0x800
	v_mul_f64_e32 v[161:162], v[6:7], v[151:152]
	v_mul_f64_e32 v[151:152], v[8:9], v[151:152]
	v_fma_f64 v[159:160], v[4:5], v[38:39], v[159:160]
	v_fma_f64 v[165:166], v[2:3], v[38:39], -v[40:41]
	ds_load_b128 v[2:5], v1 offset:1328
	scratch_load_b128 v[38:41], off, off offset:656
	v_add_f64_e32 v[153:154], v[153:154], v[163:164]
	v_add_f64_e32 v[155:156], v[155:156], v[157:158]
	v_fma_f64 v[161:162], v[8:9], v[149:150], v[161:162]
	v_fma_f64 v[163:164], v[6:7], v[149:150], -v[151:152]
	ds_load_b128 v[6:9], v1 offset:1344
	scratch_load_b128 v[149:152], off, off offset:672
	s_wait_loadcnt_dscnt 0x901
	v_mul_f64_e32 v[157:158], v[2:3], v[36:37]
	v_mul_f64_e32 v[36:37], v[4:5], v[36:37]
	v_add_f64_e32 v[153:154], v[153:154], v[165:166]
	v_add_f64_e32 v[155:156], v[155:156], v[159:160]
	s_wait_loadcnt_dscnt 0x800
	v_mul_f64_e32 v[159:160], v[6:7], v[147:148]
	v_mul_f64_e32 v[147:148], v[8:9], v[147:148]
	v_fma_f64 v[157:158], v[4:5], v[34:35], v[157:158]
	v_fma_f64 v[165:166], v[2:3], v[34:35], -v[36:37]
	ds_load_b128 v[2:5], v1 offset:1360
	scratch_load_b128 v[34:37], off, off offset:688
	v_add_f64_e32 v[153:154], v[153:154], v[163:164]
	v_add_f64_e32 v[155:156], v[155:156], v[161:162]
	v_fma_f64 v[159:160], v[8:9], v[145:146], v[159:160]
	v_fma_f64 v[163:164], v[6:7], v[145:146], -v[147:148]
	ds_load_b128 v[6:9], v1 offset:1376
	s_wait_loadcnt_dscnt 0x801
	v_mul_f64_e32 v[161:162], v[2:3], v[12:13]
	v_mul_f64_e32 v[12:13], v[4:5], v[12:13]
	scratch_load_b128 v[145:148], off, off offset:704
	v_add_f64_e32 v[153:154], v[153:154], v[165:166]
	v_add_f64_e32 v[155:156], v[155:156], v[157:158]
	s_wait_loadcnt_dscnt 0x800
	v_mul_f64_e32 v[157:158], v[6:7], v[16:17]
	v_mul_f64_e32 v[16:17], v[8:9], v[16:17]
	v_fma_f64 v[161:162], v[4:5], v[10:11], v[161:162]
	v_fma_f64 v[165:166], v[2:3], v[10:11], -v[12:13]
	ds_load_b128 v[2:5], v1 offset:1392
	scratch_load_b128 v[10:13], off, off offset:720
	v_add_f64_e32 v[153:154], v[153:154], v[163:164]
	v_add_f64_e32 v[155:156], v[155:156], v[159:160]
	v_fma_f64 v[157:158], v[8:9], v[14:15], v[157:158]
	v_fma_f64 v[163:164], v[6:7], v[14:15], -v[16:17]
	ds_load_b128 v[6:9], v1 offset:1408
	s_wait_loadcnt_dscnt 0x801
	v_mul_f64_e32 v[159:160], v[2:3], v[20:21]
	v_mul_f64_e32 v[20:21], v[4:5], v[20:21]
	scratch_load_b128 v[14:17], off, off offset:736
	;; [unrolled: 18-line block ×4, first 2 shown]
	v_add_f64_e32 v[153:154], v[153:154], v[165:166]
	v_add_f64_e32 v[155:156], v[155:156], v[157:158]
	s_wait_loadcnt_dscnt 0x800
	v_mul_f64_e32 v[157:158], v[6:7], v[151:152]
	v_mul_f64_e32 v[151:152], v[8:9], v[151:152]
	v_fma_f64 v[161:162], v[4:5], v[38:39], v[161:162]
	v_fma_f64 v[165:166], v[2:3], v[38:39], -v[40:41]
	ds_load_b128 v[2:5], v1 offset:1488
	scratch_load_b128 v[38:41], off, off offset:816
	v_add_f64_e32 v[153:154], v[153:154], v[163:164]
	v_add_f64_e32 v[155:156], v[155:156], v[159:160]
	v_fma_f64 v[157:158], v[8:9], v[149:150], v[157:158]
	v_fma_f64 v[149:150], v[6:7], v[149:150], -v[151:152]
	ds_load_b128 v[6:9], v1 offset:1504
	s_wait_loadcnt_dscnt 0x801
	v_mul_f64_e32 v[159:160], v[2:3], v[36:37]
	v_mul_f64_e32 v[36:37], v[4:5], v[36:37]
	v_add_f64_e32 v[151:152], v[153:154], v[165:166]
	v_add_f64_e32 v[153:154], v[155:156], v[161:162]
	s_wait_loadcnt_dscnt 0x700
	v_mul_f64_e32 v[155:156], v[6:7], v[147:148]
	v_mul_f64_e32 v[147:148], v[8:9], v[147:148]
	v_fma_f64 v[159:160], v[4:5], v[34:35], v[159:160]
	v_fma_f64 v[34:35], v[2:3], v[34:35], -v[36:37]
	ds_load_b128 v[2:5], v1 offset:1520
	v_add_f64_e32 v[36:37], v[151:152], v[149:150]
	v_add_f64_e32 v[149:150], v[153:154], v[157:158]
	v_fma_f64 v[153:154], v[8:9], v[145:146], v[155:156]
	v_fma_f64 v[145:146], v[6:7], v[145:146], -v[147:148]
	ds_load_b128 v[6:9], v1 offset:1536
	s_wait_loadcnt_dscnt 0x500
	v_mul_f64_e32 v[155:156], v[6:7], v[16:17]
	v_mul_f64_e32 v[16:17], v[8:9], v[16:17]
	v_add_f64_e32 v[147:148], v[36:37], v[34:35]
	v_add_f64_e32 v[149:150], v[149:150], v[159:160]
	scratch_load_b128 v[34:37], off, off offset:352
	v_mul_f64_e32 v[151:152], v[2:3], v[12:13]
	v_mul_f64_e32 v[12:13], v[4:5], v[12:13]
	s_delay_alu instid0(VALU_DEP_2) | instskip(NEXT) | instid1(VALU_DEP_2)
	v_fma_f64 v[151:152], v[4:5], v[10:11], v[151:152]
	v_fma_f64 v[10:11], v[2:3], v[10:11], -v[12:13]
	v_add_f64_e32 v[12:13], v[147:148], v[145:146]
	v_add_f64_e32 v[145:146], v[149:150], v[153:154]
	ds_load_b128 v[2:5], v1 offset:1552
	v_fma_f64 v[149:150], v[8:9], v[14:15], v[155:156]
	v_fma_f64 v[14:15], v[6:7], v[14:15], -v[16:17]
	ds_load_b128 v[6:9], v1 offset:1568
	s_wait_loadcnt_dscnt 0x501
	v_mul_f64_e32 v[147:148], v[2:3], v[20:21]
	v_mul_f64_e32 v[20:21], v[4:5], v[20:21]
	s_wait_loadcnt_dscnt 0x400
	v_mul_f64_e32 v[16:17], v[6:7], v[24:25]
	v_mul_f64_e32 v[24:25], v[8:9], v[24:25]
	v_add_f64_e32 v[10:11], v[12:13], v[10:11]
	v_add_f64_e32 v[12:13], v[145:146], v[151:152]
	v_fma_f64 v[145:146], v[4:5], v[18:19], v[147:148]
	v_fma_f64 v[18:19], v[2:3], v[18:19], -v[20:21]
	ds_load_b128 v[2:5], v1 offset:1584
	v_fma_f64 v[16:17], v[8:9], v[22:23], v[16:17]
	v_fma_f64 v[22:23], v[6:7], v[22:23], -v[24:25]
	ds_load_b128 v[6:9], v1 offset:1600
	v_add_f64_e32 v[10:11], v[10:11], v[14:15]
	v_add_f64_e32 v[12:13], v[12:13], v[149:150]
	s_wait_loadcnt_dscnt 0x301
	v_mul_f64_e32 v[14:15], v[2:3], v[28:29]
	v_mul_f64_e32 v[20:21], v[4:5], v[28:29]
	s_wait_loadcnt_dscnt 0x200
	v_mul_f64_e32 v[24:25], v[8:9], v[32:33]
	v_add_f64_e32 v[10:11], v[10:11], v[18:19]
	v_add_f64_e32 v[12:13], v[12:13], v[145:146]
	v_mul_f64_e32 v[18:19], v[6:7], v[32:33]
	v_fma_f64 v[14:15], v[4:5], v[26:27], v[14:15]
	v_fma_f64 v[20:21], v[2:3], v[26:27], -v[20:21]
	ds_load_b128 v[2:5], v1 offset:1616
	v_fma_f64 v[6:7], v[6:7], v[30:31], -v[24:25]
	v_add_f64_e32 v[10:11], v[10:11], v[22:23]
	v_add_f64_e32 v[12:13], v[12:13], v[16:17]
	s_wait_loadcnt_dscnt 0x100
	v_mul_f64_e32 v[16:17], v[2:3], v[40:41]
	v_mul_f64_e32 v[22:23], v[4:5], v[40:41]
	v_fma_f64 v[8:9], v[8:9], v[30:31], v[18:19]
	v_add_f64_e32 v[10:11], v[10:11], v[20:21]
	v_add_f64_e32 v[12:13], v[12:13], v[14:15]
	v_fma_f64 v[4:5], v[4:5], v[38:39], v[16:17]
	v_fma_f64 v[2:3], v[2:3], v[38:39], -v[22:23]
	s_delay_alu instid0(VALU_DEP_4) | instskip(NEXT) | instid1(VALU_DEP_4)
	v_add_f64_e32 v[6:7], v[10:11], v[6:7]
	v_add_f64_e32 v[8:9], v[12:13], v[8:9]
	s_delay_alu instid0(VALU_DEP_2) | instskip(NEXT) | instid1(VALU_DEP_2)
	v_add_f64_e32 v[2:3], v[6:7], v[2:3]
	v_add_f64_e32 v[4:5], v[8:9], v[4:5]
	s_wait_loadcnt 0x0
	s_delay_alu instid0(VALU_DEP_2) | instskip(NEXT) | instid1(VALU_DEP_2)
	v_add_f64_e64 v[2:3], v[34:35], -v[2:3]
	v_add_f64_e64 v[4:5], v[36:37], -v[4:5]
	scratch_store_b128 off, v[2:5], off offset:352
	v_cmpx_lt_u32_e32 20, v0
	s_cbranch_execz .LBB50_279
; %bb.278:
	scratch_load_b128 v[5:8], off, s42
	v_dual_mov_b32 v2, v1 :: v_dual_mov_b32 v3, v1
	v_mov_b32_e32 v4, v1
	scratch_store_b128 off, v[1:4], off offset:336
	s_wait_loadcnt 0x0
	ds_store_b128 v144, v[5:8]
.LBB50_279:
	s_wait_alu 0xfffe
	s_or_b32 exec_lo, exec_lo, s0
	s_wait_storecnt_dscnt 0x0
	s_barrier_signal -1
	s_barrier_wait -1
	global_inv scope:SCOPE_SE
	s_clause 0x7
	scratch_load_b128 v[2:5], off, off offset:352
	scratch_load_b128 v[6:9], off, off offset:368
	;; [unrolled: 1-line block ×8, first 2 shown]
	ds_load_b128 v[34:37], v1 offset:1152
	ds_load_b128 v[145:148], v1 offset:1168
	s_clause 0x1
	scratch_load_b128 v[38:41], off, off offset:480
	scratch_load_b128 v[149:152], off, off offset:496
	s_mov_b32 s0, exec_lo
	s_wait_loadcnt_dscnt 0x901
	v_mul_f64_e32 v[153:154], v[36:37], v[4:5]
	v_mul_f64_e32 v[4:5], v[34:35], v[4:5]
	s_wait_loadcnt_dscnt 0x800
	v_mul_f64_e32 v[155:156], v[145:146], v[8:9]
	v_mul_f64_e32 v[8:9], v[147:148], v[8:9]
	s_delay_alu instid0(VALU_DEP_4) | instskip(NEXT) | instid1(VALU_DEP_4)
	v_fma_f64 v[153:154], v[34:35], v[2:3], -v[153:154]
	v_fma_f64 v[157:158], v[36:37], v[2:3], v[4:5]
	ds_load_b128 v[2:5], v1 offset:1184
	scratch_load_b128 v[34:37], off, off offset:512
	v_fma_f64 v[155:156], v[147:148], v[6:7], v[155:156]
	v_fma_f64 v[161:162], v[145:146], v[6:7], -v[8:9]
	ds_load_b128 v[6:9], v1 offset:1200
	scratch_load_b128 v[145:148], off, off offset:528
	s_wait_loadcnt_dscnt 0x901
	v_mul_f64_e32 v[159:160], v[2:3], v[12:13]
	v_mul_f64_e32 v[12:13], v[4:5], v[12:13]
	s_wait_loadcnt_dscnt 0x800
	v_mul_f64_e32 v[163:164], v[6:7], v[16:17]
	v_mul_f64_e32 v[16:17], v[8:9], v[16:17]
	v_add_f64_e32 v[153:154], 0, v[153:154]
	v_add_f64_e32 v[157:158], 0, v[157:158]
	v_fma_f64 v[159:160], v[4:5], v[10:11], v[159:160]
	v_fma_f64 v[165:166], v[2:3], v[10:11], -v[12:13]
	scratch_load_b128 v[10:13], off, off offset:544
	ds_load_b128 v[2:5], v1 offset:1216
	v_add_f64_e32 v[153:154], v[153:154], v[161:162]
	v_add_f64_e32 v[155:156], v[157:158], v[155:156]
	v_fma_f64 v[161:162], v[8:9], v[14:15], v[163:164]
	v_fma_f64 v[163:164], v[6:7], v[14:15], -v[16:17]
	ds_load_b128 v[6:9], v1 offset:1232
	scratch_load_b128 v[14:17], off, off offset:560
	s_wait_loadcnt_dscnt 0x901
	v_mul_f64_e32 v[157:158], v[2:3], v[20:21]
	v_mul_f64_e32 v[20:21], v[4:5], v[20:21]
	v_add_f64_e32 v[153:154], v[153:154], v[165:166]
	v_add_f64_e32 v[155:156], v[155:156], v[159:160]
	s_wait_loadcnt_dscnt 0x800
	v_mul_f64_e32 v[159:160], v[6:7], v[24:25]
	v_mul_f64_e32 v[24:25], v[8:9], v[24:25]
	v_fma_f64 v[157:158], v[4:5], v[18:19], v[157:158]
	v_fma_f64 v[165:166], v[2:3], v[18:19], -v[20:21]
	ds_load_b128 v[2:5], v1 offset:1248
	scratch_load_b128 v[18:21], off, off offset:576
	v_add_f64_e32 v[153:154], v[153:154], v[163:164]
	v_add_f64_e32 v[155:156], v[155:156], v[161:162]
	v_fma_f64 v[159:160], v[8:9], v[22:23], v[159:160]
	v_fma_f64 v[163:164], v[6:7], v[22:23], -v[24:25]
	ds_load_b128 v[6:9], v1 offset:1264
	s_wait_loadcnt_dscnt 0x801
	v_mul_f64_e32 v[161:162], v[2:3], v[28:29]
	v_mul_f64_e32 v[28:29], v[4:5], v[28:29]
	scratch_load_b128 v[22:25], off, off offset:592
	v_add_f64_e32 v[153:154], v[153:154], v[165:166]
	v_add_f64_e32 v[155:156], v[155:156], v[157:158]
	s_wait_loadcnt_dscnt 0x800
	v_mul_f64_e32 v[157:158], v[6:7], v[32:33]
	v_mul_f64_e32 v[32:33], v[8:9], v[32:33]
	v_fma_f64 v[161:162], v[4:5], v[26:27], v[161:162]
	v_fma_f64 v[165:166], v[2:3], v[26:27], -v[28:29]
	ds_load_b128 v[2:5], v1 offset:1280
	scratch_load_b128 v[26:29], off, off offset:608
	v_add_f64_e32 v[153:154], v[153:154], v[163:164]
	v_add_f64_e32 v[155:156], v[155:156], v[159:160]
	v_fma_f64 v[157:158], v[8:9], v[30:31], v[157:158]
	v_fma_f64 v[163:164], v[6:7], v[30:31], -v[32:33]
	ds_load_b128 v[6:9], v1 offset:1296
	s_wait_loadcnt_dscnt 0x801
	v_mul_f64_e32 v[159:160], v[2:3], v[40:41]
	v_mul_f64_e32 v[40:41], v[4:5], v[40:41]
	scratch_load_b128 v[30:33], off, off offset:624
	v_add_f64_e32 v[153:154], v[153:154], v[165:166]
	v_add_f64_e32 v[155:156], v[155:156], v[161:162]
	s_wait_loadcnt_dscnt 0x800
	v_mul_f64_e32 v[161:162], v[6:7], v[151:152]
	v_mul_f64_e32 v[151:152], v[8:9], v[151:152]
	v_fma_f64 v[159:160], v[4:5], v[38:39], v[159:160]
	v_fma_f64 v[165:166], v[2:3], v[38:39], -v[40:41]
	ds_load_b128 v[2:5], v1 offset:1312
	scratch_load_b128 v[38:41], off, off offset:640
	v_add_f64_e32 v[153:154], v[153:154], v[163:164]
	v_add_f64_e32 v[155:156], v[155:156], v[157:158]
	v_fma_f64 v[161:162], v[8:9], v[149:150], v[161:162]
	v_fma_f64 v[163:164], v[6:7], v[149:150], -v[151:152]
	ds_load_b128 v[6:9], v1 offset:1328
	scratch_load_b128 v[149:152], off, off offset:656
	s_wait_loadcnt_dscnt 0x901
	v_mul_f64_e32 v[157:158], v[2:3], v[36:37]
	v_mul_f64_e32 v[36:37], v[4:5], v[36:37]
	v_add_f64_e32 v[153:154], v[153:154], v[165:166]
	v_add_f64_e32 v[155:156], v[155:156], v[159:160]
	s_wait_loadcnt_dscnt 0x800
	v_mul_f64_e32 v[159:160], v[6:7], v[147:148]
	v_mul_f64_e32 v[147:148], v[8:9], v[147:148]
	v_fma_f64 v[157:158], v[4:5], v[34:35], v[157:158]
	v_fma_f64 v[165:166], v[2:3], v[34:35], -v[36:37]
	ds_load_b128 v[2:5], v1 offset:1344
	scratch_load_b128 v[34:37], off, off offset:672
	v_add_f64_e32 v[153:154], v[153:154], v[163:164]
	v_add_f64_e32 v[155:156], v[155:156], v[161:162]
	v_fma_f64 v[159:160], v[8:9], v[145:146], v[159:160]
	v_fma_f64 v[163:164], v[6:7], v[145:146], -v[147:148]
	ds_load_b128 v[6:9], v1 offset:1360
	s_wait_loadcnt_dscnt 0x801
	v_mul_f64_e32 v[161:162], v[2:3], v[12:13]
	v_mul_f64_e32 v[12:13], v[4:5], v[12:13]
	scratch_load_b128 v[145:148], off, off offset:688
	v_add_f64_e32 v[153:154], v[153:154], v[165:166]
	v_add_f64_e32 v[155:156], v[155:156], v[157:158]
	s_wait_loadcnt_dscnt 0x800
	v_mul_f64_e32 v[157:158], v[6:7], v[16:17]
	v_mul_f64_e32 v[16:17], v[8:9], v[16:17]
	v_fma_f64 v[161:162], v[4:5], v[10:11], v[161:162]
	v_fma_f64 v[165:166], v[2:3], v[10:11], -v[12:13]
	scratch_load_b128 v[10:13], off, off offset:704
	ds_load_b128 v[2:5], v1 offset:1376
	v_add_f64_e32 v[153:154], v[153:154], v[163:164]
	v_add_f64_e32 v[155:156], v[155:156], v[159:160]
	v_fma_f64 v[157:158], v[8:9], v[14:15], v[157:158]
	v_fma_f64 v[163:164], v[6:7], v[14:15], -v[16:17]
	ds_load_b128 v[6:9], v1 offset:1392
	s_wait_loadcnt_dscnt 0x801
	v_mul_f64_e32 v[159:160], v[2:3], v[20:21]
	v_mul_f64_e32 v[20:21], v[4:5], v[20:21]
	scratch_load_b128 v[14:17], off, off offset:720
	v_add_f64_e32 v[153:154], v[153:154], v[165:166]
	v_add_f64_e32 v[155:156], v[155:156], v[161:162]
	s_wait_loadcnt_dscnt 0x800
	v_mul_f64_e32 v[161:162], v[6:7], v[24:25]
	v_mul_f64_e32 v[24:25], v[8:9], v[24:25]
	v_fma_f64 v[159:160], v[4:5], v[18:19], v[159:160]
	v_fma_f64 v[165:166], v[2:3], v[18:19], -v[20:21]
	ds_load_b128 v[2:5], v1 offset:1408
	scratch_load_b128 v[18:21], off, off offset:736
	v_add_f64_e32 v[153:154], v[153:154], v[163:164]
	v_add_f64_e32 v[155:156], v[155:156], v[157:158]
	v_fma_f64 v[161:162], v[8:9], v[22:23], v[161:162]
	v_fma_f64 v[163:164], v[6:7], v[22:23], -v[24:25]
	ds_load_b128 v[6:9], v1 offset:1424
	s_wait_loadcnt_dscnt 0x801
	v_mul_f64_e32 v[157:158], v[2:3], v[28:29]
	v_mul_f64_e32 v[28:29], v[4:5], v[28:29]
	scratch_load_b128 v[22:25], off, off offset:752
	v_add_f64_e32 v[153:154], v[153:154], v[165:166]
	v_add_f64_e32 v[155:156], v[155:156], v[159:160]
	s_wait_loadcnt_dscnt 0x800
	v_mul_f64_e32 v[159:160], v[6:7], v[32:33]
	v_mul_f64_e32 v[32:33], v[8:9], v[32:33]
	v_fma_f64 v[157:158], v[4:5], v[26:27], v[157:158]
	v_fma_f64 v[165:166], v[2:3], v[26:27], -v[28:29]
	ds_load_b128 v[2:5], v1 offset:1440
	scratch_load_b128 v[26:29], off, off offset:768
	;; [unrolled: 18-line block ×3, first 2 shown]
	v_add_f64_e32 v[153:154], v[153:154], v[163:164]
	v_add_f64_e32 v[155:156], v[155:156], v[159:160]
	v_fma_f64 v[157:158], v[8:9], v[149:150], v[157:158]
	v_fma_f64 v[163:164], v[6:7], v[149:150], -v[151:152]
	ds_load_b128 v[6:9], v1 offset:1488
	s_wait_loadcnt_dscnt 0x801
	v_mul_f64_e32 v[159:160], v[2:3], v[36:37]
	v_mul_f64_e32 v[36:37], v[4:5], v[36:37]
	scratch_load_b128 v[149:152], off, off offset:816
	v_add_f64_e32 v[153:154], v[153:154], v[165:166]
	v_add_f64_e32 v[155:156], v[155:156], v[161:162]
	v_fma_f64 v[159:160], v[4:5], v[34:35], v[159:160]
	v_fma_f64 v[34:35], v[2:3], v[34:35], -v[36:37]
	ds_load_b128 v[2:5], v1 offset:1504
	v_add_f64_e32 v[36:37], v[153:154], v[163:164]
	v_add_f64_e32 v[153:154], v[155:156], v[157:158]
	s_wait_loadcnt_dscnt 0x700
	v_mul_f64_e32 v[155:156], v[2:3], v[12:13]
	v_mul_f64_e32 v[12:13], v[4:5], v[12:13]
	s_delay_alu instid0(VALU_DEP_4) | instskip(NEXT) | instid1(VALU_DEP_4)
	v_add_f64_e32 v[34:35], v[36:37], v[34:35]
	v_add_f64_e32 v[36:37], v[153:154], v[159:160]
	s_delay_alu instid0(VALU_DEP_4) | instskip(NEXT) | instid1(VALU_DEP_4)
	v_fma_f64 v[153:154], v[4:5], v[10:11], v[155:156]
	v_fma_f64 v[155:156], v[2:3], v[10:11], -v[12:13]
	scratch_load_b128 v[10:13], off, off offset:336
	v_mul_f64_e32 v[161:162], v[6:7], v[147:148]
	v_mul_f64_e32 v[147:148], v[8:9], v[147:148]
	ds_load_b128 v[2:5], v1 offset:1536
	v_fma_f64 v[157:158], v[8:9], v[145:146], v[161:162]
	v_fma_f64 v[145:146], v[6:7], v[145:146], -v[147:148]
	ds_load_b128 v[6:9], v1 offset:1520
	s_wait_loadcnt_dscnt 0x700
	v_mul_f64_e32 v[147:148], v[6:7], v[16:17]
	v_mul_f64_e32 v[16:17], v[8:9], v[16:17]
	v_add_f64_e32 v[36:37], v[36:37], v[157:158]
	v_add_f64_e32 v[34:35], v[34:35], v[145:146]
	s_wait_loadcnt 0x6
	v_mul_f64_e32 v[145:146], v[2:3], v[20:21]
	v_mul_f64_e32 v[20:21], v[4:5], v[20:21]
	v_fma_f64 v[147:148], v[8:9], v[14:15], v[147:148]
	v_fma_f64 v[14:15], v[6:7], v[14:15], -v[16:17]
	ds_load_b128 v[6:9], v1 offset:1552
	v_add_f64_e32 v[16:17], v[34:35], v[155:156]
	v_add_f64_e32 v[34:35], v[36:37], v[153:154]
	v_fma_f64 v[145:146], v[4:5], v[18:19], v[145:146]
	v_fma_f64 v[18:19], v[2:3], v[18:19], -v[20:21]
	ds_load_b128 v[2:5], v1 offset:1568
	s_wait_loadcnt_dscnt 0x501
	v_mul_f64_e32 v[36:37], v[6:7], v[24:25]
	v_mul_f64_e32 v[24:25], v[8:9], v[24:25]
	s_wait_loadcnt_dscnt 0x400
	v_mul_f64_e32 v[20:21], v[2:3], v[28:29]
	v_mul_f64_e32 v[28:29], v[4:5], v[28:29]
	v_add_f64_e32 v[14:15], v[16:17], v[14:15]
	v_add_f64_e32 v[16:17], v[34:35], v[147:148]
	v_fma_f64 v[34:35], v[8:9], v[22:23], v[36:37]
	v_fma_f64 v[22:23], v[6:7], v[22:23], -v[24:25]
	ds_load_b128 v[6:9], v1 offset:1584
	v_fma_f64 v[20:21], v[4:5], v[26:27], v[20:21]
	v_fma_f64 v[26:27], v[2:3], v[26:27], -v[28:29]
	ds_load_b128 v[2:5], v1 offset:1600
	s_wait_loadcnt_dscnt 0x301
	v_mul_f64_e32 v[24:25], v[8:9], v[32:33]
	v_add_f64_e32 v[14:15], v[14:15], v[18:19]
	v_add_f64_e32 v[16:17], v[16:17], v[145:146]
	v_mul_f64_e32 v[18:19], v[6:7], v[32:33]
	s_wait_loadcnt_dscnt 0x200
	v_mul_f64_e32 v[28:29], v[4:5], v[40:41]
	v_fma_f64 v[24:25], v[6:7], v[30:31], -v[24:25]
	v_add_f64_e32 v[14:15], v[14:15], v[22:23]
	v_add_f64_e32 v[16:17], v[16:17], v[34:35]
	v_mul_f64_e32 v[22:23], v[2:3], v[40:41]
	v_fma_f64 v[18:19], v[8:9], v[30:31], v[18:19]
	ds_load_b128 v[6:9], v1 offset:1616
	v_fma_f64 v[1:2], v[2:3], v[38:39], -v[28:29]
	v_add_f64_e32 v[14:15], v[14:15], v[26:27]
	v_add_f64_e32 v[16:17], v[16:17], v[20:21]
	s_wait_loadcnt_dscnt 0x100
	v_mul_f64_e32 v[20:21], v[6:7], v[151:152]
	v_mul_f64_e32 v[26:27], v[8:9], v[151:152]
	v_fma_f64 v[4:5], v[4:5], v[38:39], v[22:23]
	v_add_f64_e32 v[14:15], v[14:15], v[24:25]
	v_add_f64_e32 v[16:17], v[16:17], v[18:19]
	v_fma_f64 v[8:9], v[8:9], v[149:150], v[20:21]
	v_fma_f64 v[6:7], v[6:7], v[149:150], -v[26:27]
	s_delay_alu instid0(VALU_DEP_4) | instskip(NEXT) | instid1(VALU_DEP_4)
	v_add_f64_e32 v[1:2], v[14:15], v[1:2]
	v_add_f64_e32 v[3:4], v[16:17], v[4:5]
	s_delay_alu instid0(VALU_DEP_2) | instskip(NEXT) | instid1(VALU_DEP_2)
	v_add_f64_e32 v[1:2], v[1:2], v[6:7]
	v_add_f64_e32 v[3:4], v[3:4], v[8:9]
	s_wait_loadcnt 0x0
	s_delay_alu instid0(VALU_DEP_2) | instskip(NEXT) | instid1(VALU_DEP_2)
	v_add_f64_e64 v[1:2], v[10:11], -v[1:2]
	v_add_f64_e64 v[3:4], v[12:13], -v[3:4]
	scratch_store_b128 off, v[1:4], off offset:336
	v_cmpx_lt_u32_e32 19, v0
	s_cbranch_execz .LBB50_281
; %bb.280:
	scratch_load_b128 v[1:4], off, s44
	v_mov_b32_e32 v5, 0
	s_delay_alu instid0(VALU_DEP_1)
	v_dual_mov_b32 v6, v5 :: v_dual_mov_b32 v7, v5
	v_mov_b32_e32 v8, v5
	scratch_store_b128 off, v[5:8], off offset:320
	s_wait_loadcnt 0x0
	ds_store_b128 v144, v[1:4]
.LBB50_281:
	s_wait_alu 0xfffe
	s_or_b32 exec_lo, exec_lo, s0
	s_wait_storecnt_dscnt 0x0
	s_barrier_signal -1
	s_barrier_wait -1
	global_inv scope:SCOPE_SE
	s_clause 0x7
	scratch_load_b128 v[2:5], off, off offset:336
	scratch_load_b128 v[6:9], off, off offset:352
	;; [unrolled: 1-line block ×8, first 2 shown]
	v_mov_b32_e32 v1, 0
	s_clause 0x1
	scratch_load_b128 v[38:41], off, off offset:464
	scratch_load_b128 v[149:152], off, off offset:480
	s_mov_b32 s0, exec_lo
	ds_load_b128 v[34:37], v1 offset:1136
	ds_load_b128 v[145:148], v1 offset:1152
	s_wait_loadcnt_dscnt 0x901
	v_mul_f64_e32 v[153:154], v[36:37], v[4:5]
	v_mul_f64_e32 v[4:5], v[34:35], v[4:5]
	s_wait_loadcnt_dscnt 0x800
	v_mul_f64_e32 v[155:156], v[145:146], v[8:9]
	v_mul_f64_e32 v[8:9], v[147:148], v[8:9]
	s_delay_alu instid0(VALU_DEP_4) | instskip(NEXT) | instid1(VALU_DEP_4)
	v_fma_f64 v[153:154], v[34:35], v[2:3], -v[153:154]
	v_fma_f64 v[157:158], v[36:37], v[2:3], v[4:5]
	ds_load_b128 v[2:5], v1 offset:1168
	scratch_load_b128 v[34:37], off, off offset:496
	v_fma_f64 v[155:156], v[147:148], v[6:7], v[155:156]
	v_fma_f64 v[161:162], v[145:146], v[6:7], -v[8:9]
	ds_load_b128 v[6:9], v1 offset:1184
	scratch_load_b128 v[145:148], off, off offset:512
	s_wait_loadcnt_dscnt 0x901
	v_mul_f64_e32 v[159:160], v[2:3], v[12:13]
	v_mul_f64_e32 v[12:13], v[4:5], v[12:13]
	s_wait_loadcnt_dscnt 0x800
	v_mul_f64_e32 v[163:164], v[6:7], v[16:17]
	v_mul_f64_e32 v[16:17], v[8:9], v[16:17]
	v_add_f64_e32 v[153:154], 0, v[153:154]
	v_add_f64_e32 v[157:158], 0, v[157:158]
	v_fma_f64 v[159:160], v[4:5], v[10:11], v[159:160]
	v_fma_f64 v[165:166], v[2:3], v[10:11], -v[12:13]
	ds_load_b128 v[2:5], v1 offset:1200
	scratch_load_b128 v[10:13], off, off offset:528
	v_add_f64_e32 v[153:154], v[153:154], v[161:162]
	v_add_f64_e32 v[155:156], v[157:158], v[155:156]
	v_fma_f64 v[161:162], v[8:9], v[14:15], v[163:164]
	v_fma_f64 v[163:164], v[6:7], v[14:15], -v[16:17]
	ds_load_b128 v[6:9], v1 offset:1216
	scratch_load_b128 v[14:17], off, off offset:544
	s_wait_loadcnt_dscnt 0x901
	v_mul_f64_e32 v[157:158], v[2:3], v[20:21]
	v_mul_f64_e32 v[20:21], v[4:5], v[20:21]
	v_add_f64_e32 v[153:154], v[153:154], v[165:166]
	v_add_f64_e32 v[155:156], v[155:156], v[159:160]
	s_wait_loadcnt_dscnt 0x800
	v_mul_f64_e32 v[159:160], v[6:7], v[24:25]
	v_mul_f64_e32 v[24:25], v[8:9], v[24:25]
	v_fma_f64 v[157:158], v[4:5], v[18:19], v[157:158]
	v_fma_f64 v[165:166], v[2:3], v[18:19], -v[20:21]
	ds_load_b128 v[2:5], v1 offset:1232
	scratch_load_b128 v[18:21], off, off offset:560
	v_add_f64_e32 v[153:154], v[153:154], v[163:164]
	v_add_f64_e32 v[155:156], v[155:156], v[161:162]
	v_fma_f64 v[159:160], v[8:9], v[22:23], v[159:160]
	v_fma_f64 v[163:164], v[6:7], v[22:23], -v[24:25]
	ds_load_b128 v[6:9], v1 offset:1248
	s_wait_loadcnt_dscnt 0x801
	v_mul_f64_e32 v[161:162], v[2:3], v[28:29]
	v_mul_f64_e32 v[28:29], v[4:5], v[28:29]
	scratch_load_b128 v[22:25], off, off offset:576
	v_add_f64_e32 v[153:154], v[153:154], v[165:166]
	v_add_f64_e32 v[155:156], v[155:156], v[157:158]
	s_wait_loadcnt_dscnt 0x800
	v_mul_f64_e32 v[157:158], v[6:7], v[32:33]
	v_mul_f64_e32 v[32:33], v[8:9], v[32:33]
	v_fma_f64 v[161:162], v[4:5], v[26:27], v[161:162]
	v_fma_f64 v[165:166], v[2:3], v[26:27], -v[28:29]
	ds_load_b128 v[2:5], v1 offset:1264
	scratch_load_b128 v[26:29], off, off offset:592
	v_add_f64_e32 v[153:154], v[153:154], v[163:164]
	v_add_f64_e32 v[155:156], v[155:156], v[159:160]
	v_fma_f64 v[157:158], v[8:9], v[30:31], v[157:158]
	v_fma_f64 v[163:164], v[6:7], v[30:31], -v[32:33]
	ds_load_b128 v[6:9], v1 offset:1280
	s_wait_loadcnt_dscnt 0x801
	v_mul_f64_e32 v[159:160], v[2:3], v[40:41]
	v_mul_f64_e32 v[40:41], v[4:5], v[40:41]
	scratch_load_b128 v[30:33], off, off offset:608
	v_add_f64_e32 v[153:154], v[153:154], v[165:166]
	v_add_f64_e32 v[155:156], v[155:156], v[161:162]
	s_wait_loadcnt_dscnt 0x800
	v_mul_f64_e32 v[161:162], v[6:7], v[151:152]
	v_mul_f64_e32 v[151:152], v[8:9], v[151:152]
	v_fma_f64 v[159:160], v[4:5], v[38:39], v[159:160]
	v_fma_f64 v[165:166], v[2:3], v[38:39], -v[40:41]
	ds_load_b128 v[2:5], v1 offset:1296
	scratch_load_b128 v[38:41], off, off offset:624
	v_add_f64_e32 v[153:154], v[153:154], v[163:164]
	v_add_f64_e32 v[155:156], v[155:156], v[157:158]
	v_fma_f64 v[161:162], v[8:9], v[149:150], v[161:162]
	v_fma_f64 v[163:164], v[6:7], v[149:150], -v[151:152]
	ds_load_b128 v[6:9], v1 offset:1312
	scratch_load_b128 v[149:152], off, off offset:640
	s_wait_loadcnt_dscnt 0x901
	v_mul_f64_e32 v[157:158], v[2:3], v[36:37]
	v_mul_f64_e32 v[36:37], v[4:5], v[36:37]
	v_add_f64_e32 v[153:154], v[153:154], v[165:166]
	v_add_f64_e32 v[155:156], v[155:156], v[159:160]
	s_wait_loadcnt_dscnt 0x800
	v_mul_f64_e32 v[159:160], v[6:7], v[147:148]
	v_mul_f64_e32 v[147:148], v[8:9], v[147:148]
	v_fma_f64 v[157:158], v[4:5], v[34:35], v[157:158]
	v_fma_f64 v[165:166], v[2:3], v[34:35], -v[36:37]
	ds_load_b128 v[2:5], v1 offset:1328
	scratch_load_b128 v[34:37], off, off offset:656
	v_add_f64_e32 v[153:154], v[153:154], v[163:164]
	v_add_f64_e32 v[155:156], v[155:156], v[161:162]
	v_fma_f64 v[159:160], v[8:9], v[145:146], v[159:160]
	v_fma_f64 v[163:164], v[6:7], v[145:146], -v[147:148]
	ds_load_b128 v[6:9], v1 offset:1344
	s_wait_loadcnt_dscnt 0x801
	v_mul_f64_e32 v[161:162], v[2:3], v[12:13]
	v_mul_f64_e32 v[12:13], v[4:5], v[12:13]
	scratch_load_b128 v[145:148], off, off offset:672
	v_add_f64_e32 v[153:154], v[153:154], v[165:166]
	v_add_f64_e32 v[155:156], v[155:156], v[157:158]
	s_wait_loadcnt_dscnt 0x800
	v_mul_f64_e32 v[157:158], v[6:7], v[16:17]
	v_mul_f64_e32 v[16:17], v[8:9], v[16:17]
	v_fma_f64 v[161:162], v[4:5], v[10:11], v[161:162]
	v_fma_f64 v[165:166], v[2:3], v[10:11], -v[12:13]
	ds_load_b128 v[2:5], v1 offset:1360
	scratch_load_b128 v[10:13], off, off offset:688
	v_add_f64_e32 v[153:154], v[153:154], v[163:164]
	v_add_f64_e32 v[155:156], v[155:156], v[159:160]
	v_fma_f64 v[157:158], v[8:9], v[14:15], v[157:158]
	v_fma_f64 v[163:164], v[6:7], v[14:15], -v[16:17]
	ds_load_b128 v[6:9], v1 offset:1376
	s_wait_loadcnt_dscnt 0x801
	v_mul_f64_e32 v[159:160], v[2:3], v[20:21]
	v_mul_f64_e32 v[20:21], v[4:5], v[20:21]
	scratch_load_b128 v[14:17], off, off offset:704
	;; [unrolled: 18-line block ×5, first 2 shown]
	v_add_f64_e32 v[153:154], v[153:154], v[165:166]
	v_add_f64_e32 v[155:156], v[155:156], v[161:162]
	s_wait_loadcnt_dscnt 0x800
	v_mul_f64_e32 v[161:162], v[6:7], v[147:148]
	v_mul_f64_e32 v[147:148], v[8:9], v[147:148]
	v_fma_f64 v[159:160], v[4:5], v[34:35], v[159:160]
	v_fma_f64 v[165:166], v[2:3], v[34:35], -v[36:37]
	ds_load_b128 v[2:5], v1 offset:1488
	scratch_load_b128 v[34:37], off, off offset:816
	v_add_f64_e32 v[153:154], v[153:154], v[163:164]
	v_add_f64_e32 v[155:156], v[155:156], v[157:158]
	v_fma_f64 v[161:162], v[8:9], v[145:146], v[161:162]
	v_fma_f64 v[145:146], v[6:7], v[145:146], -v[147:148]
	ds_load_b128 v[6:9], v1 offset:1504
	s_wait_loadcnt_dscnt 0x801
	v_mul_f64_e32 v[157:158], v[2:3], v[12:13]
	v_mul_f64_e32 v[12:13], v[4:5], v[12:13]
	v_add_f64_e32 v[147:148], v[153:154], v[165:166]
	v_add_f64_e32 v[153:154], v[155:156], v[159:160]
	s_wait_loadcnt_dscnt 0x700
	v_mul_f64_e32 v[155:156], v[6:7], v[16:17]
	v_mul_f64_e32 v[16:17], v[8:9], v[16:17]
	v_fma_f64 v[157:158], v[4:5], v[10:11], v[157:158]
	v_fma_f64 v[10:11], v[2:3], v[10:11], -v[12:13]
	ds_load_b128 v[2:5], v1 offset:1520
	v_add_f64_e32 v[12:13], v[147:148], v[145:146]
	v_add_f64_e32 v[145:146], v[153:154], v[161:162]
	v_fma_f64 v[153:154], v[8:9], v[14:15], v[155:156]
	v_fma_f64 v[14:15], v[6:7], v[14:15], -v[16:17]
	ds_load_b128 v[6:9], v1 offset:1536
	s_wait_loadcnt_dscnt 0x500
	v_mul_f64_e32 v[155:156], v[6:7], v[24:25]
	v_mul_f64_e32 v[24:25], v[8:9], v[24:25]
	v_add_f64_e32 v[16:17], v[12:13], v[10:11]
	v_add_f64_e32 v[145:146], v[145:146], v[157:158]
	scratch_load_b128 v[10:13], off, off offset:320
	v_mul_f64_e32 v[147:148], v[2:3], v[20:21]
	v_mul_f64_e32 v[20:21], v[4:5], v[20:21]
	v_add_f64_e32 v[14:15], v[16:17], v[14:15]
	v_add_f64_e32 v[16:17], v[145:146], v[153:154]
	v_fma_f64 v[145:146], v[8:9], v[22:23], v[155:156]
	v_fma_f64 v[147:148], v[4:5], v[18:19], v[147:148]
	v_fma_f64 v[18:19], v[2:3], v[18:19], -v[20:21]
	ds_load_b128 v[2:5], v1 offset:1552
	v_fma_f64 v[22:23], v[6:7], v[22:23], -v[24:25]
	ds_load_b128 v[6:9], v1 offset:1568
	s_wait_loadcnt_dscnt 0x501
	v_mul_f64_e32 v[20:21], v[2:3], v[28:29]
	v_mul_f64_e32 v[28:29], v[4:5], v[28:29]
	s_wait_loadcnt_dscnt 0x400
	v_mul_f64_e32 v[24:25], v[8:9], v[32:33]
	v_add_f64_e32 v[16:17], v[16:17], v[147:148]
	v_add_f64_e32 v[14:15], v[14:15], v[18:19]
	v_mul_f64_e32 v[18:19], v[6:7], v[32:33]
	v_fma_f64 v[20:21], v[4:5], v[26:27], v[20:21]
	v_fma_f64 v[26:27], v[2:3], v[26:27], -v[28:29]
	ds_load_b128 v[2:5], v1 offset:1584
	v_fma_f64 v[24:25], v[6:7], v[30:31], -v[24:25]
	v_add_f64_e32 v[16:17], v[16:17], v[145:146]
	v_add_f64_e32 v[14:15], v[14:15], v[22:23]
	v_fma_f64 v[18:19], v[8:9], v[30:31], v[18:19]
	ds_load_b128 v[6:9], v1 offset:1600
	s_wait_loadcnt_dscnt 0x301
	v_mul_f64_e32 v[22:23], v[2:3], v[40:41]
	v_mul_f64_e32 v[28:29], v[4:5], v[40:41]
	v_add_f64_e32 v[16:17], v[16:17], v[20:21]
	v_add_f64_e32 v[14:15], v[14:15], v[26:27]
	s_wait_loadcnt_dscnt 0x200
	v_mul_f64_e32 v[20:21], v[6:7], v[151:152]
	v_mul_f64_e32 v[26:27], v[8:9], v[151:152]
	v_fma_f64 v[22:23], v[4:5], v[38:39], v[22:23]
	v_fma_f64 v[28:29], v[2:3], v[38:39], -v[28:29]
	ds_load_b128 v[2:5], v1 offset:1616
	v_add_f64_e32 v[16:17], v[16:17], v[18:19]
	v_add_f64_e32 v[14:15], v[14:15], v[24:25]
	s_wait_loadcnt_dscnt 0x100
	v_mul_f64_e32 v[18:19], v[2:3], v[36:37]
	v_mul_f64_e32 v[24:25], v[4:5], v[36:37]
	v_fma_f64 v[8:9], v[8:9], v[149:150], v[20:21]
	v_fma_f64 v[6:7], v[6:7], v[149:150], -v[26:27]
	v_add_f64_e32 v[16:17], v[16:17], v[22:23]
	v_add_f64_e32 v[14:15], v[14:15], v[28:29]
	v_fma_f64 v[4:5], v[4:5], v[34:35], v[18:19]
	v_fma_f64 v[2:3], v[2:3], v[34:35], -v[24:25]
	s_delay_alu instid0(VALU_DEP_4) | instskip(NEXT) | instid1(VALU_DEP_4)
	v_add_f64_e32 v[8:9], v[16:17], v[8:9]
	v_add_f64_e32 v[6:7], v[14:15], v[6:7]
	s_delay_alu instid0(VALU_DEP_2) | instskip(NEXT) | instid1(VALU_DEP_2)
	v_add_f64_e32 v[4:5], v[8:9], v[4:5]
	v_add_f64_e32 v[2:3], v[6:7], v[2:3]
	s_wait_loadcnt 0x0
	s_delay_alu instid0(VALU_DEP_2) | instskip(NEXT) | instid1(VALU_DEP_2)
	v_add_f64_e64 v[4:5], v[12:13], -v[4:5]
	v_add_f64_e64 v[2:3], v[10:11], -v[2:3]
	scratch_store_b128 off, v[2:5], off offset:320
	v_cmpx_lt_u32_e32 18, v0
	s_cbranch_execz .LBB50_283
; %bb.282:
	scratch_load_b128 v[5:8], off, s46
	v_dual_mov_b32 v2, v1 :: v_dual_mov_b32 v3, v1
	v_mov_b32_e32 v4, v1
	scratch_store_b128 off, v[1:4], off offset:304
	s_wait_loadcnt 0x0
	ds_store_b128 v144, v[5:8]
.LBB50_283:
	s_wait_alu 0xfffe
	s_or_b32 exec_lo, exec_lo, s0
	s_wait_storecnt_dscnt 0x0
	s_barrier_signal -1
	s_barrier_wait -1
	global_inv scope:SCOPE_SE
	s_clause 0x7
	scratch_load_b128 v[2:5], off, off offset:320
	scratch_load_b128 v[6:9], off, off offset:336
	;; [unrolled: 1-line block ×8, first 2 shown]
	ds_load_b128 v[34:37], v1 offset:1120
	ds_load_b128 v[145:148], v1 offset:1136
	s_clause 0x1
	scratch_load_b128 v[38:41], off, off offset:448
	scratch_load_b128 v[149:152], off, off offset:464
	s_mov_b32 s0, exec_lo
	s_wait_loadcnt_dscnt 0x901
	v_mul_f64_e32 v[153:154], v[36:37], v[4:5]
	v_mul_f64_e32 v[4:5], v[34:35], v[4:5]
	s_wait_loadcnt_dscnt 0x800
	v_mul_f64_e32 v[155:156], v[145:146], v[8:9]
	v_mul_f64_e32 v[8:9], v[147:148], v[8:9]
	s_delay_alu instid0(VALU_DEP_4) | instskip(NEXT) | instid1(VALU_DEP_4)
	v_fma_f64 v[153:154], v[34:35], v[2:3], -v[153:154]
	v_fma_f64 v[157:158], v[36:37], v[2:3], v[4:5]
	ds_load_b128 v[2:5], v1 offset:1152
	scratch_load_b128 v[34:37], off, off offset:480
	v_fma_f64 v[155:156], v[147:148], v[6:7], v[155:156]
	v_fma_f64 v[161:162], v[145:146], v[6:7], -v[8:9]
	ds_load_b128 v[6:9], v1 offset:1168
	scratch_load_b128 v[145:148], off, off offset:496
	s_wait_loadcnt_dscnt 0x901
	v_mul_f64_e32 v[159:160], v[2:3], v[12:13]
	v_mul_f64_e32 v[12:13], v[4:5], v[12:13]
	s_wait_loadcnt_dscnt 0x800
	v_mul_f64_e32 v[163:164], v[6:7], v[16:17]
	v_mul_f64_e32 v[16:17], v[8:9], v[16:17]
	v_add_f64_e32 v[153:154], 0, v[153:154]
	v_add_f64_e32 v[157:158], 0, v[157:158]
	v_fma_f64 v[159:160], v[4:5], v[10:11], v[159:160]
	v_fma_f64 v[165:166], v[2:3], v[10:11], -v[12:13]
	ds_load_b128 v[2:5], v1 offset:1184
	scratch_load_b128 v[10:13], off, off offset:512
	v_add_f64_e32 v[153:154], v[153:154], v[161:162]
	v_add_f64_e32 v[155:156], v[157:158], v[155:156]
	v_fma_f64 v[161:162], v[8:9], v[14:15], v[163:164]
	v_fma_f64 v[163:164], v[6:7], v[14:15], -v[16:17]
	ds_load_b128 v[6:9], v1 offset:1200
	scratch_load_b128 v[14:17], off, off offset:528
	s_wait_loadcnt_dscnt 0x901
	v_mul_f64_e32 v[157:158], v[2:3], v[20:21]
	v_mul_f64_e32 v[20:21], v[4:5], v[20:21]
	v_add_f64_e32 v[153:154], v[153:154], v[165:166]
	v_add_f64_e32 v[155:156], v[155:156], v[159:160]
	s_wait_loadcnt_dscnt 0x800
	v_mul_f64_e32 v[159:160], v[6:7], v[24:25]
	v_mul_f64_e32 v[24:25], v[8:9], v[24:25]
	v_fma_f64 v[157:158], v[4:5], v[18:19], v[157:158]
	v_fma_f64 v[165:166], v[2:3], v[18:19], -v[20:21]
	ds_load_b128 v[2:5], v1 offset:1216
	scratch_load_b128 v[18:21], off, off offset:544
	v_add_f64_e32 v[153:154], v[153:154], v[163:164]
	v_add_f64_e32 v[155:156], v[155:156], v[161:162]
	v_fma_f64 v[159:160], v[8:9], v[22:23], v[159:160]
	v_fma_f64 v[163:164], v[6:7], v[22:23], -v[24:25]
	ds_load_b128 v[6:9], v1 offset:1232
	s_wait_loadcnt_dscnt 0x801
	v_mul_f64_e32 v[161:162], v[2:3], v[28:29]
	v_mul_f64_e32 v[28:29], v[4:5], v[28:29]
	scratch_load_b128 v[22:25], off, off offset:560
	v_add_f64_e32 v[153:154], v[153:154], v[165:166]
	v_add_f64_e32 v[155:156], v[155:156], v[157:158]
	s_wait_loadcnt_dscnt 0x800
	v_mul_f64_e32 v[157:158], v[6:7], v[32:33]
	v_mul_f64_e32 v[32:33], v[8:9], v[32:33]
	v_fma_f64 v[161:162], v[4:5], v[26:27], v[161:162]
	v_fma_f64 v[165:166], v[2:3], v[26:27], -v[28:29]
	ds_load_b128 v[2:5], v1 offset:1248
	scratch_load_b128 v[26:29], off, off offset:576
	v_add_f64_e32 v[153:154], v[153:154], v[163:164]
	v_add_f64_e32 v[155:156], v[155:156], v[159:160]
	v_fma_f64 v[157:158], v[8:9], v[30:31], v[157:158]
	v_fma_f64 v[163:164], v[6:7], v[30:31], -v[32:33]
	ds_load_b128 v[6:9], v1 offset:1264
	s_wait_loadcnt_dscnt 0x801
	v_mul_f64_e32 v[159:160], v[2:3], v[40:41]
	v_mul_f64_e32 v[40:41], v[4:5], v[40:41]
	scratch_load_b128 v[30:33], off, off offset:592
	v_add_f64_e32 v[153:154], v[153:154], v[165:166]
	v_add_f64_e32 v[155:156], v[155:156], v[161:162]
	s_wait_loadcnt_dscnt 0x800
	v_mul_f64_e32 v[161:162], v[6:7], v[151:152]
	v_mul_f64_e32 v[151:152], v[8:9], v[151:152]
	v_fma_f64 v[159:160], v[4:5], v[38:39], v[159:160]
	v_fma_f64 v[165:166], v[2:3], v[38:39], -v[40:41]
	ds_load_b128 v[2:5], v1 offset:1280
	scratch_load_b128 v[38:41], off, off offset:608
	v_add_f64_e32 v[153:154], v[153:154], v[163:164]
	v_add_f64_e32 v[155:156], v[155:156], v[157:158]
	v_fma_f64 v[161:162], v[8:9], v[149:150], v[161:162]
	v_fma_f64 v[163:164], v[6:7], v[149:150], -v[151:152]
	ds_load_b128 v[6:9], v1 offset:1296
	scratch_load_b128 v[149:152], off, off offset:624
	s_wait_loadcnt_dscnt 0x901
	v_mul_f64_e32 v[157:158], v[2:3], v[36:37]
	v_mul_f64_e32 v[36:37], v[4:5], v[36:37]
	v_add_f64_e32 v[153:154], v[153:154], v[165:166]
	v_add_f64_e32 v[155:156], v[155:156], v[159:160]
	s_wait_loadcnt_dscnt 0x800
	v_mul_f64_e32 v[159:160], v[6:7], v[147:148]
	v_mul_f64_e32 v[147:148], v[8:9], v[147:148]
	v_fma_f64 v[157:158], v[4:5], v[34:35], v[157:158]
	v_fma_f64 v[165:166], v[2:3], v[34:35], -v[36:37]
	ds_load_b128 v[2:5], v1 offset:1312
	scratch_load_b128 v[34:37], off, off offset:640
	v_add_f64_e32 v[153:154], v[153:154], v[163:164]
	v_add_f64_e32 v[155:156], v[155:156], v[161:162]
	v_fma_f64 v[159:160], v[8:9], v[145:146], v[159:160]
	v_fma_f64 v[163:164], v[6:7], v[145:146], -v[147:148]
	ds_load_b128 v[6:9], v1 offset:1328
	s_wait_loadcnt_dscnt 0x801
	v_mul_f64_e32 v[161:162], v[2:3], v[12:13]
	v_mul_f64_e32 v[12:13], v[4:5], v[12:13]
	scratch_load_b128 v[145:148], off, off offset:656
	v_add_f64_e32 v[153:154], v[153:154], v[165:166]
	v_add_f64_e32 v[155:156], v[155:156], v[157:158]
	s_wait_loadcnt_dscnt 0x800
	v_mul_f64_e32 v[157:158], v[6:7], v[16:17]
	v_mul_f64_e32 v[16:17], v[8:9], v[16:17]
	v_fma_f64 v[161:162], v[4:5], v[10:11], v[161:162]
	v_fma_f64 v[165:166], v[2:3], v[10:11], -v[12:13]
	ds_load_b128 v[2:5], v1 offset:1344
	scratch_load_b128 v[10:13], off, off offset:672
	v_add_f64_e32 v[153:154], v[153:154], v[163:164]
	v_add_f64_e32 v[155:156], v[155:156], v[159:160]
	v_fma_f64 v[157:158], v[8:9], v[14:15], v[157:158]
	v_fma_f64 v[163:164], v[6:7], v[14:15], -v[16:17]
	ds_load_b128 v[6:9], v1 offset:1360
	s_wait_loadcnt_dscnt 0x801
	v_mul_f64_e32 v[159:160], v[2:3], v[20:21]
	v_mul_f64_e32 v[20:21], v[4:5], v[20:21]
	scratch_load_b128 v[14:17], off, off offset:688
	;; [unrolled: 18-line block ×6, first 2 shown]
	v_add_f64_e32 v[153:154], v[153:154], v[165:166]
	v_add_f64_e32 v[155:156], v[155:156], v[159:160]
	s_wait_loadcnt_dscnt 0x800
	v_mul_f64_e32 v[159:160], v[6:7], v[16:17]
	v_mul_f64_e32 v[16:17], v[8:9], v[16:17]
	v_fma_f64 v[157:158], v[4:5], v[10:11], v[157:158]
	v_fma_f64 v[10:11], v[2:3], v[10:11], -v[12:13]
	ds_load_b128 v[2:5], v1 offset:1504
	v_add_f64_e32 v[12:13], v[153:154], v[163:164]
	v_add_f64_e32 v[153:154], v[155:156], v[161:162]
	v_fma_f64 v[159:160], v[8:9], v[14:15], v[159:160]
	v_fma_f64 v[14:15], v[6:7], v[14:15], -v[16:17]
	ds_load_b128 v[6:9], v1 offset:1520
	s_wait_loadcnt_dscnt 0x701
	v_mul_f64_e32 v[155:156], v[2:3], v[20:21]
	v_mul_f64_e32 v[20:21], v[4:5], v[20:21]
	v_add_f64_e32 v[10:11], v[12:13], v[10:11]
	v_add_f64_e32 v[12:13], v[153:154], v[157:158]
	s_delay_alu instid0(VALU_DEP_4) | instskip(NEXT) | instid1(VALU_DEP_4)
	v_fma_f64 v[153:154], v[4:5], v[18:19], v[155:156]
	v_fma_f64 v[18:19], v[2:3], v[18:19], -v[20:21]
	ds_load_b128 v[2:5], v1 offset:1536
	v_add_f64_e32 v[14:15], v[10:11], v[14:15]
	v_add_f64_e32 v[20:21], v[12:13], v[159:160]
	scratch_load_b128 v[10:13], off, off offset:304
	s_wait_loadcnt_dscnt 0x701
	v_mul_f64_e32 v[16:17], v[6:7], v[24:25]
	v_mul_f64_e32 v[24:25], v[8:9], v[24:25]
	v_add_f64_e32 v[14:15], v[14:15], v[18:19]
	v_add_f64_e32 v[18:19], v[20:21], v[153:154]
	s_delay_alu instid0(VALU_DEP_4) | instskip(NEXT) | instid1(VALU_DEP_4)
	v_fma_f64 v[16:17], v[8:9], v[22:23], v[16:17]
	v_fma_f64 v[22:23], v[6:7], v[22:23], -v[24:25]
	ds_load_b128 v[6:9], v1 offset:1552
	s_wait_loadcnt_dscnt 0x601
	v_mul_f64_e32 v[155:156], v[2:3], v[28:29]
	v_mul_f64_e32 v[28:29], v[4:5], v[28:29]
	s_wait_loadcnt_dscnt 0x500
	v_mul_f64_e32 v[20:21], v[6:7], v[32:33]
	v_mul_f64_e32 v[24:25], v[8:9], v[32:33]
	v_add_f64_e32 v[16:17], v[18:19], v[16:17]
	v_add_f64_e32 v[14:15], v[14:15], v[22:23]
	v_fma_f64 v[32:33], v[4:5], v[26:27], v[155:156]
	v_fma_f64 v[26:27], v[2:3], v[26:27], -v[28:29]
	ds_load_b128 v[2:5], v1 offset:1568
	v_fma_f64 v[20:21], v[8:9], v[30:31], v[20:21]
	v_fma_f64 v[24:25], v[6:7], v[30:31], -v[24:25]
	ds_load_b128 v[6:9], v1 offset:1584
	s_wait_loadcnt_dscnt 0x401
	v_mul_f64_e32 v[18:19], v[2:3], v[40:41]
	v_mul_f64_e32 v[22:23], v[4:5], v[40:41]
	v_add_f64_e32 v[16:17], v[16:17], v[32:33]
	v_add_f64_e32 v[14:15], v[14:15], v[26:27]
	s_wait_loadcnt_dscnt 0x300
	v_mul_f64_e32 v[26:27], v[6:7], v[151:152]
	v_mul_f64_e32 v[28:29], v[8:9], v[151:152]
	v_fma_f64 v[18:19], v[4:5], v[38:39], v[18:19]
	v_fma_f64 v[22:23], v[2:3], v[38:39], -v[22:23]
	ds_load_b128 v[2:5], v1 offset:1600
	v_add_f64_e32 v[16:17], v[16:17], v[20:21]
	v_add_f64_e32 v[14:15], v[14:15], v[24:25]
	v_fma_f64 v[26:27], v[8:9], v[149:150], v[26:27]
	v_fma_f64 v[28:29], v[6:7], v[149:150], -v[28:29]
	ds_load_b128 v[6:9], v1 offset:1616
	s_wait_loadcnt_dscnt 0x201
	v_mul_f64_e32 v[20:21], v[2:3], v[36:37]
	v_mul_f64_e32 v[24:25], v[4:5], v[36:37]
	v_add_f64_e32 v[16:17], v[16:17], v[18:19]
	v_add_f64_e32 v[14:15], v[14:15], v[22:23]
	s_wait_loadcnt_dscnt 0x100
	v_mul_f64_e32 v[18:19], v[6:7], v[147:148]
	v_mul_f64_e32 v[22:23], v[8:9], v[147:148]
	v_fma_f64 v[4:5], v[4:5], v[34:35], v[20:21]
	v_fma_f64 v[1:2], v[2:3], v[34:35], -v[24:25]
	v_add_f64_e32 v[16:17], v[16:17], v[26:27]
	v_add_f64_e32 v[14:15], v[14:15], v[28:29]
	v_fma_f64 v[8:9], v[8:9], v[145:146], v[18:19]
	v_fma_f64 v[6:7], v[6:7], v[145:146], -v[22:23]
	s_delay_alu instid0(VALU_DEP_4) | instskip(NEXT) | instid1(VALU_DEP_4)
	v_add_f64_e32 v[3:4], v[16:17], v[4:5]
	v_add_f64_e32 v[1:2], v[14:15], v[1:2]
	s_delay_alu instid0(VALU_DEP_2) | instskip(NEXT) | instid1(VALU_DEP_2)
	v_add_f64_e32 v[3:4], v[3:4], v[8:9]
	v_add_f64_e32 v[1:2], v[1:2], v[6:7]
	s_wait_loadcnt 0x0
	s_delay_alu instid0(VALU_DEP_2) | instskip(NEXT) | instid1(VALU_DEP_2)
	v_add_f64_e64 v[3:4], v[12:13], -v[3:4]
	v_add_f64_e64 v[1:2], v[10:11], -v[1:2]
	scratch_store_b128 off, v[1:4], off offset:304
	v_cmpx_lt_u32_e32 17, v0
	s_cbranch_execz .LBB50_285
; %bb.284:
	scratch_load_b128 v[1:4], off, s47
	v_mov_b32_e32 v5, 0
	s_delay_alu instid0(VALU_DEP_1)
	v_dual_mov_b32 v6, v5 :: v_dual_mov_b32 v7, v5
	v_mov_b32_e32 v8, v5
	scratch_store_b128 off, v[5:8], off offset:288
	s_wait_loadcnt 0x0
	ds_store_b128 v144, v[1:4]
.LBB50_285:
	s_wait_alu 0xfffe
	s_or_b32 exec_lo, exec_lo, s0
	s_wait_storecnt_dscnt 0x0
	s_barrier_signal -1
	s_barrier_wait -1
	global_inv scope:SCOPE_SE
	s_clause 0x7
	scratch_load_b128 v[2:5], off, off offset:304
	scratch_load_b128 v[6:9], off, off offset:320
	scratch_load_b128 v[10:13], off, off offset:336
	scratch_load_b128 v[14:17], off, off offset:352
	scratch_load_b128 v[18:21], off, off offset:368
	scratch_load_b128 v[22:25], off, off offset:384
	scratch_load_b128 v[26:29], off, off offset:400
	scratch_load_b128 v[30:33], off, off offset:416
	v_mov_b32_e32 v1, 0
	s_clause 0x1
	scratch_load_b128 v[38:41], off, off offset:432
	scratch_load_b128 v[149:152], off, off offset:448
	s_mov_b32 s0, exec_lo
	ds_load_b128 v[34:37], v1 offset:1104
	ds_load_b128 v[145:148], v1 offset:1120
	s_wait_loadcnt_dscnt 0x901
	v_mul_f64_e32 v[153:154], v[36:37], v[4:5]
	v_mul_f64_e32 v[4:5], v[34:35], v[4:5]
	s_wait_loadcnt_dscnt 0x800
	v_mul_f64_e32 v[155:156], v[145:146], v[8:9]
	v_mul_f64_e32 v[8:9], v[147:148], v[8:9]
	s_delay_alu instid0(VALU_DEP_4) | instskip(NEXT) | instid1(VALU_DEP_4)
	v_fma_f64 v[153:154], v[34:35], v[2:3], -v[153:154]
	v_fma_f64 v[157:158], v[36:37], v[2:3], v[4:5]
	ds_load_b128 v[2:5], v1 offset:1136
	scratch_load_b128 v[34:37], off, off offset:464
	v_fma_f64 v[155:156], v[147:148], v[6:7], v[155:156]
	v_fma_f64 v[161:162], v[145:146], v[6:7], -v[8:9]
	ds_load_b128 v[6:9], v1 offset:1152
	scratch_load_b128 v[145:148], off, off offset:480
	s_wait_loadcnt_dscnt 0x901
	v_mul_f64_e32 v[159:160], v[2:3], v[12:13]
	v_mul_f64_e32 v[12:13], v[4:5], v[12:13]
	s_wait_loadcnt_dscnt 0x800
	v_mul_f64_e32 v[163:164], v[6:7], v[16:17]
	v_mul_f64_e32 v[16:17], v[8:9], v[16:17]
	v_add_f64_e32 v[153:154], 0, v[153:154]
	v_add_f64_e32 v[157:158], 0, v[157:158]
	v_fma_f64 v[159:160], v[4:5], v[10:11], v[159:160]
	v_fma_f64 v[165:166], v[2:3], v[10:11], -v[12:13]
	ds_load_b128 v[2:5], v1 offset:1168
	scratch_load_b128 v[10:13], off, off offset:496
	v_add_f64_e32 v[153:154], v[153:154], v[161:162]
	v_add_f64_e32 v[155:156], v[157:158], v[155:156]
	v_fma_f64 v[161:162], v[8:9], v[14:15], v[163:164]
	v_fma_f64 v[163:164], v[6:7], v[14:15], -v[16:17]
	ds_load_b128 v[6:9], v1 offset:1184
	scratch_load_b128 v[14:17], off, off offset:512
	s_wait_loadcnt_dscnt 0x901
	v_mul_f64_e32 v[157:158], v[2:3], v[20:21]
	v_mul_f64_e32 v[20:21], v[4:5], v[20:21]
	v_add_f64_e32 v[153:154], v[153:154], v[165:166]
	v_add_f64_e32 v[155:156], v[155:156], v[159:160]
	s_wait_loadcnt_dscnt 0x800
	v_mul_f64_e32 v[159:160], v[6:7], v[24:25]
	v_mul_f64_e32 v[24:25], v[8:9], v[24:25]
	v_fma_f64 v[157:158], v[4:5], v[18:19], v[157:158]
	v_fma_f64 v[165:166], v[2:3], v[18:19], -v[20:21]
	ds_load_b128 v[2:5], v1 offset:1200
	scratch_load_b128 v[18:21], off, off offset:528
	v_add_f64_e32 v[153:154], v[153:154], v[163:164]
	v_add_f64_e32 v[155:156], v[155:156], v[161:162]
	v_fma_f64 v[159:160], v[8:9], v[22:23], v[159:160]
	v_fma_f64 v[163:164], v[6:7], v[22:23], -v[24:25]
	ds_load_b128 v[6:9], v1 offset:1216
	s_wait_loadcnt_dscnt 0x801
	v_mul_f64_e32 v[161:162], v[2:3], v[28:29]
	v_mul_f64_e32 v[28:29], v[4:5], v[28:29]
	scratch_load_b128 v[22:25], off, off offset:544
	v_add_f64_e32 v[153:154], v[153:154], v[165:166]
	v_add_f64_e32 v[155:156], v[155:156], v[157:158]
	s_wait_loadcnt_dscnt 0x800
	v_mul_f64_e32 v[157:158], v[6:7], v[32:33]
	v_mul_f64_e32 v[32:33], v[8:9], v[32:33]
	v_fma_f64 v[161:162], v[4:5], v[26:27], v[161:162]
	v_fma_f64 v[165:166], v[2:3], v[26:27], -v[28:29]
	ds_load_b128 v[2:5], v1 offset:1232
	scratch_load_b128 v[26:29], off, off offset:560
	v_add_f64_e32 v[153:154], v[153:154], v[163:164]
	v_add_f64_e32 v[155:156], v[155:156], v[159:160]
	v_fma_f64 v[157:158], v[8:9], v[30:31], v[157:158]
	v_fma_f64 v[163:164], v[6:7], v[30:31], -v[32:33]
	ds_load_b128 v[6:9], v1 offset:1248
	s_wait_loadcnt_dscnt 0x801
	v_mul_f64_e32 v[159:160], v[2:3], v[40:41]
	v_mul_f64_e32 v[40:41], v[4:5], v[40:41]
	scratch_load_b128 v[30:33], off, off offset:576
	v_add_f64_e32 v[153:154], v[153:154], v[165:166]
	v_add_f64_e32 v[155:156], v[155:156], v[161:162]
	s_wait_loadcnt_dscnt 0x800
	v_mul_f64_e32 v[161:162], v[6:7], v[151:152]
	v_mul_f64_e32 v[151:152], v[8:9], v[151:152]
	v_fma_f64 v[159:160], v[4:5], v[38:39], v[159:160]
	v_fma_f64 v[165:166], v[2:3], v[38:39], -v[40:41]
	ds_load_b128 v[2:5], v1 offset:1264
	scratch_load_b128 v[38:41], off, off offset:592
	v_add_f64_e32 v[153:154], v[153:154], v[163:164]
	v_add_f64_e32 v[155:156], v[155:156], v[157:158]
	v_fma_f64 v[161:162], v[8:9], v[149:150], v[161:162]
	v_fma_f64 v[163:164], v[6:7], v[149:150], -v[151:152]
	ds_load_b128 v[6:9], v1 offset:1280
	scratch_load_b128 v[149:152], off, off offset:608
	s_wait_loadcnt_dscnt 0x901
	v_mul_f64_e32 v[157:158], v[2:3], v[36:37]
	v_mul_f64_e32 v[36:37], v[4:5], v[36:37]
	v_add_f64_e32 v[153:154], v[153:154], v[165:166]
	v_add_f64_e32 v[155:156], v[155:156], v[159:160]
	s_wait_loadcnt_dscnt 0x800
	v_mul_f64_e32 v[159:160], v[6:7], v[147:148]
	v_mul_f64_e32 v[147:148], v[8:9], v[147:148]
	v_fma_f64 v[157:158], v[4:5], v[34:35], v[157:158]
	v_fma_f64 v[165:166], v[2:3], v[34:35], -v[36:37]
	ds_load_b128 v[2:5], v1 offset:1296
	scratch_load_b128 v[34:37], off, off offset:624
	v_add_f64_e32 v[153:154], v[153:154], v[163:164]
	v_add_f64_e32 v[155:156], v[155:156], v[161:162]
	v_fma_f64 v[159:160], v[8:9], v[145:146], v[159:160]
	v_fma_f64 v[163:164], v[6:7], v[145:146], -v[147:148]
	ds_load_b128 v[6:9], v1 offset:1312
	s_wait_loadcnt_dscnt 0x801
	v_mul_f64_e32 v[161:162], v[2:3], v[12:13]
	v_mul_f64_e32 v[12:13], v[4:5], v[12:13]
	scratch_load_b128 v[145:148], off, off offset:640
	v_add_f64_e32 v[153:154], v[153:154], v[165:166]
	v_add_f64_e32 v[155:156], v[155:156], v[157:158]
	s_wait_loadcnt_dscnt 0x800
	v_mul_f64_e32 v[157:158], v[6:7], v[16:17]
	v_mul_f64_e32 v[16:17], v[8:9], v[16:17]
	v_fma_f64 v[161:162], v[4:5], v[10:11], v[161:162]
	v_fma_f64 v[165:166], v[2:3], v[10:11], -v[12:13]
	ds_load_b128 v[2:5], v1 offset:1328
	scratch_load_b128 v[10:13], off, off offset:656
	v_add_f64_e32 v[153:154], v[153:154], v[163:164]
	v_add_f64_e32 v[155:156], v[155:156], v[159:160]
	v_fma_f64 v[157:158], v[8:9], v[14:15], v[157:158]
	v_fma_f64 v[163:164], v[6:7], v[14:15], -v[16:17]
	ds_load_b128 v[6:9], v1 offset:1344
	s_wait_loadcnt_dscnt 0x801
	v_mul_f64_e32 v[159:160], v[2:3], v[20:21]
	v_mul_f64_e32 v[20:21], v[4:5], v[20:21]
	scratch_load_b128 v[14:17], off, off offset:672
	;; [unrolled: 18-line block ×6, first 2 shown]
	v_add_f64_e32 v[153:154], v[153:154], v[165:166]
	v_add_f64_e32 v[155:156], v[155:156], v[159:160]
	s_wait_loadcnt_dscnt 0x800
	v_mul_f64_e32 v[159:160], v[6:7], v[16:17]
	v_mul_f64_e32 v[16:17], v[8:9], v[16:17]
	v_fma_f64 v[157:158], v[4:5], v[10:11], v[157:158]
	v_fma_f64 v[165:166], v[2:3], v[10:11], -v[12:13]
	ds_load_b128 v[2:5], v1 offset:1488
	scratch_load_b128 v[10:13], off, off offset:816
	v_add_f64_e32 v[153:154], v[153:154], v[163:164]
	v_add_f64_e32 v[155:156], v[155:156], v[161:162]
	v_fma_f64 v[159:160], v[8:9], v[14:15], v[159:160]
	v_fma_f64 v[14:15], v[6:7], v[14:15], -v[16:17]
	ds_load_b128 v[6:9], v1 offset:1504
	s_wait_loadcnt_dscnt 0x801
	v_mul_f64_e32 v[161:162], v[2:3], v[20:21]
	v_mul_f64_e32 v[20:21], v[4:5], v[20:21]
	v_add_f64_e32 v[16:17], v[153:154], v[165:166]
	v_add_f64_e32 v[153:154], v[155:156], v[157:158]
	s_wait_loadcnt_dscnt 0x700
	v_mul_f64_e32 v[155:156], v[6:7], v[24:25]
	v_mul_f64_e32 v[24:25], v[8:9], v[24:25]
	v_fma_f64 v[157:158], v[4:5], v[18:19], v[161:162]
	v_fma_f64 v[18:19], v[2:3], v[18:19], -v[20:21]
	ds_load_b128 v[2:5], v1 offset:1520
	v_add_f64_e32 v[14:15], v[16:17], v[14:15]
	v_add_f64_e32 v[16:17], v[153:154], v[159:160]
	v_fma_f64 v[153:154], v[8:9], v[22:23], v[155:156]
	v_fma_f64 v[22:23], v[6:7], v[22:23], -v[24:25]
	ds_load_b128 v[6:9], v1 offset:1536
	s_wait_loadcnt_dscnt 0x500
	v_mul_f64_e32 v[155:156], v[6:7], v[32:33]
	v_mul_f64_e32 v[32:33], v[8:9], v[32:33]
	v_add_f64_e32 v[18:19], v[14:15], v[18:19]
	v_add_f64_e32 v[24:25], v[16:17], v[157:158]
	scratch_load_b128 v[14:17], off, off offset:288
	v_mul_f64_e32 v[20:21], v[2:3], v[28:29]
	v_mul_f64_e32 v[28:29], v[4:5], v[28:29]
	v_add_f64_e32 v[18:19], v[18:19], v[22:23]
	v_add_f64_e32 v[22:23], v[24:25], v[153:154]
	s_delay_alu instid0(VALU_DEP_4) | instskip(NEXT) | instid1(VALU_DEP_4)
	v_fma_f64 v[20:21], v[4:5], v[26:27], v[20:21]
	v_fma_f64 v[26:27], v[2:3], v[26:27], -v[28:29]
	ds_load_b128 v[2:5], v1 offset:1552
	s_wait_loadcnt_dscnt 0x500
	v_mul_f64_e32 v[24:25], v[2:3], v[40:41]
	v_mul_f64_e32 v[28:29], v[4:5], v[40:41]
	v_fma_f64 v[40:41], v[8:9], v[30:31], v[155:156]
	v_fma_f64 v[30:31], v[6:7], v[30:31], -v[32:33]
	ds_load_b128 v[6:9], v1 offset:1568
	v_add_f64_e32 v[20:21], v[22:23], v[20:21]
	v_add_f64_e32 v[18:19], v[18:19], v[26:27]
	v_fma_f64 v[24:25], v[4:5], v[38:39], v[24:25]
	v_fma_f64 v[28:29], v[2:3], v[38:39], -v[28:29]
	ds_load_b128 v[2:5], v1 offset:1584
	s_wait_loadcnt_dscnt 0x401
	v_mul_f64_e32 v[22:23], v[6:7], v[151:152]
	v_mul_f64_e32 v[26:27], v[8:9], v[151:152]
	v_add_f64_e32 v[20:21], v[20:21], v[40:41]
	v_add_f64_e32 v[18:19], v[18:19], v[30:31]
	s_wait_loadcnt_dscnt 0x300
	v_mul_f64_e32 v[30:31], v[2:3], v[36:37]
	v_mul_f64_e32 v[32:33], v[4:5], v[36:37]
	v_fma_f64 v[22:23], v[8:9], v[149:150], v[22:23]
	v_fma_f64 v[26:27], v[6:7], v[149:150], -v[26:27]
	ds_load_b128 v[6:9], v1 offset:1600
	v_add_f64_e32 v[20:21], v[20:21], v[24:25]
	v_add_f64_e32 v[18:19], v[18:19], v[28:29]
	v_fma_f64 v[30:31], v[4:5], v[34:35], v[30:31]
	v_fma_f64 v[32:33], v[2:3], v[34:35], -v[32:33]
	ds_load_b128 v[2:5], v1 offset:1616
	s_wait_loadcnt_dscnt 0x201
	v_mul_f64_e32 v[24:25], v[6:7], v[147:148]
	v_mul_f64_e32 v[28:29], v[8:9], v[147:148]
	v_add_f64_e32 v[20:21], v[20:21], v[22:23]
	v_add_f64_e32 v[18:19], v[18:19], v[26:27]
	s_wait_loadcnt_dscnt 0x100
	v_mul_f64_e32 v[22:23], v[2:3], v[12:13]
	v_mul_f64_e32 v[12:13], v[4:5], v[12:13]
	v_fma_f64 v[8:9], v[8:9], v[145:146], v[24:25]
	v_fma_f64 v[6:7], v[6:7], v[145:146], -v[28:29]
	v_add_f64_e32 v[20:21], v[20:21], v[30:31]
	v_add_f64_e32 v[18:19], v[18:19], v[32:33]
	v_fma_f64 v[4:5], v[4:5], v[10:11], v[22:23]
	v_fma_f64 v[2:3], v[2:3], v[10:11], -v[12:13]
	s_delay_alu instid0(VALU_DEP_4) | instskip(NEXT) | instid1(VALU_DEP_4)
	v_add_f64_e32 v[8:9], v[20:21], v[8:9]
	v_add_f64_e32 v[6:7], v[18:19], v[6:7]
	s_delay_alu instid0(VALU_DEP_2) | instskip(NEXT) | instid1(VALU_DEP_2)
	v_add_f64_e32 v[4:5], v[8:9], v[4:5]
	v_add_f64_e32 v[2:3], v[6:7], v[2:3]
	s_wait_loadcnt 0x0
	s_delay_alu instid0(VALU_DEP_2) | instskip(NEXT) | instid1(VALU_DEP_2)
	v_add_f64_e64 v[4:5], v[16:17], -v[4:5]
	v_add_f64_e64 v[2:3], v[14:15], -v[2:3]
	scratch_store_b128 off, v[2:5], off offset:288
	v_cmpx_lt_u32_e32 16, v0
	s_cbranch_execz .LBB50_287
; %bb.286:
	scratch_load_b128 v[5:8], off, s48
	v_dual_mov_b32 v2, v1 :: v_dual_mov_b32 v3, v1
	v_mov_b32_e32 v4, v1
	scratch_store_b128 off, v[1:4], off offset:272
	s_wait_loadcnt 0x0
	ds_store_b128 v144, v[5:8]
.LBB50_287:
	s_wait_alu 0xfffe
	s_or_b32 exec_lo, exec_lo, s0
	s_wait_storecnt_dscnt 0x0
	s_barrier_signal -1
	s_barrier_wait -1
	global_inv scope:SCOPE_SE
	s_clause 0x7
	scratch_load_b128 v[2:5], off, off offset:288
	scratch_load_b128 v[6:9], off, off offset:304
	scratch_load_b128 v[10:13], off, off offset:320
	scratch_load_b128 v[14:17], off, off offset:336
	scratch_load_b128 v[18:21], off, off offset:352
	scratch_load_b128 v[22:25], off, off offset:368
	scratch_load_b128 v[26:29], off, off offset:384
	scratch_load_b128 v[30:33], off, off offset:400
	ds_load_b128 v[38:41], v1 offset:1088
	ds_load_b128 v[145:148], v1 offset:1104
	s_clause 0x1
	scratch_load_b128 v[34:37], off, off offset:416
	scratch_load_b128 v[149:152], off, off offset:432
	s_mov_b32 s0, exec_lo
	s_wait_loadcnt_dscnt 0x901
	v_mul_f64_e32 v[153:154], v[40:41], v[4:5]
	v_mul_f64_e32 v[4:5], v[38:39], v[4:5]
	s_wait_loadcnt_dscnt 0x800
	v_mul_f64_e32 v[155:156], v[145:146], v[8:9]
	v_mul_f64_e32 v[8:9], v[147:148], v[8:9]
	s_delay_alu instid0(VALU_DEP_4) | instskip(NEXT) | instid1(VALU_DEP_4)
	v_fma_f64 v[153:154], v[38:39], v[2:3], -v[153:154]
	v_fma_f64 v[157:158], v[40:41], v[2:3], v[4:5]
	ds_load_b128 v[2:5], v1 offset:1120
	scratch_load_b128 v[38:41], off, off offset:448
	v_fma_f64 v[155:156], v[147:148], v[6:7], v[155:156]
	v_fma_f64 v[161:162], v[145:146], v[6:7], -v[8:9]
	ds_load_b128 v[6:9], v1 offset:1136
	scratch_load_b128 v[145:148], off, off offset:464
	s_wait_loadcnt_dscnt 0x901
	v_mul_f64_e32 v[159:160], v[2:3], v[12:13]
	v_mul_f64_e32 v[12:13], v[4:5], v[12:13]
	s_wait_loadcnt_dscnt 0x800
	v_mul_f64_e32 v[163:164], v[6:7], v[16:17]
	v_mul_f64_e32 v[16:17], v[8:9], v[16:17]
	v_add_f64_e32 v[153:154], 0, v[153:154]
	v_add_f64_e32 v[157:158], 0, v[157:158]
	v_fma_f64 v[159:160], v[4:5], v[10:11], v[159:160]
	v_fma_f64 v[165:166], v[2:3], v[10:11], -v[12:13]
	ds_load_b128 v[2:5], v1 offset:1152
	scratch_load_b128 v[10:13], off, off offset:480
	v_add_f64_e32 v[153:154], v[153:154], v[161:162]
	v_add_f64_e32 v[155:156], v[157:158], v[155:156]
	v_fma_f64 v[161:162], v[8:9], v[14:15], v[163:164]
	v_fma_f64 v[163:164], v[6:7], v[14:15], -v[16:17]
	ds_load_b128 v[6:9], v1 offset:1168
	scratch_load_b128 v[14:17], off, off offset:496
	s_wait_loadcnt_dscnt 0x901
	v_mul_f64_e32 v[157:158], v[2:3], v[20:21]
	v_mul_f64_e32 v[20:21], v[4:5], v[20:21]
	v_add_f64_e32 v[153:154], v[153:154], v[165:166]
	v_add_f64_e32 v[155:156], v[155:156], v[159:160]
	s_wait_loadcnt_dscnt 0x800
	v_mul_f64_e32 v[159:160], v[6:7], v[24:25]
	v_mul_f64_e32 v[24:25], v[8:9], v[24:25]
	v_fma_f64 v[157:158], v[4:5], v[18:19], v[157:158]
	v_fma_f64 v[165:166], v[2:3], v[18:19], -v[20:21]
	ds_load_b128 v[2:5], v1 offset:1184
	scratch_load_b128 v[18:21], off, off offset:512
	v_add_f64_e32 v[153:154], v[153:154], v[163:164]
	v_add_f64_e32 v[155:156], v[155:156], v[161:162]
	v_fma_f64 v[159:160], v[8:9], v[22:23], v[159:160]
	v_fma_f64 v[163:164], v[6:7], v[22:23], -v[24:25]
	ds_load_b128 v[6:9], v1 offset:1200
	s_wait_loadcnt_dscnt 0x801
	v_mul_f64_e32 v[161:162], v[2:3], v[28:29]
	v_mul_f64_e32 v[28:29], v[4:5], v[28:29]
	scratch_load_b128 v[22:25], off, off offset:528
	v_add_f64_e32 v[153:154], v[153:154], v[165:166]
	v_add_f64_e32 v[155:156], v[155:156], v[157:158]
	s_wait_loadcnt_dscnt 0x800
	v_mul_f64_e32 v[157:158], v[6:7], v[32:33]
	v_mul_f64_e32 v[32:33], v[8:9], v[32:33]
	v_fma_f64 v[161:162], v[4:5], v[26:27], v[161:162]
	v_fma_f64 v[165:166], v[2:3], v[26:27], -v[28:29]
	ds_load_b128 v[2:5], v1 offset:1216
	scratch_load_b128 v[26:29], off, off offset:544
	v_add_f64_e32 v[153:154], v[153:154], v[163:164]
	v_add_f64_e32 v[155:156], v[155:156], v[159:160]
	v_fma_f64 v[157:158], v[8:9], v[30:31], v[157:158]
	v_fma_f64 v[163:164], v[6:7], v[30:31], -v[32:33]
	ds_load_b128 v[6:9], v1 offset:1232
	s_wait_loadcnt_dscnt 0x801
	v_mul_f64_e32 v[159:160], v[2:3], v[36:37]
	v_mul_f64_e32 v[36:37], v[4:5], v[36:37]
	scratch_load_b128 v[30:33], off, off offset:560
	v_add_f64_e32 v[153:154], v[153:154], v[165:166]
	v_add_f64_e32 v[155:156], v[155:156], v[161:162]
	s_wait_loadcnt_dscnt 0x800
	v_mul_f64_e32 v[161:162], v[6:7], v[151:152]
	v_mul_f64_e32 v[151:152], v[8:9], v[151:152]
	v_fma_f64 v[159:160], v[4:5], v[34:35], v[159:160]
	v_fma_f64 v[165:166], v[2:3], v[34:35], -v[36:37]
	ds_load_b128 v[2:5], v1 offset:1248
	scratch_load_b128 v[34:37], off, off offset:576
	v_add_f64_e32 v[153:154], v[153:154], v[163:164]
	v_add_f64_e32 v[155:156], v[155:156], v[157:158]
	v_fma_f64 v[161:162], v[8:9], v[149:150], v[161:162]
	v_fma_f64 v[163:164], v[6:7], v[149:150], -v[151:152]
	ds_load_b128 v[6:9], v1 offset:1264
	scratch_load_b128 v[149:152], off, off offset:592
	s_wait_loadcnt_dscnt 0x901
	v_mul_f64_e32 v[157:158], v[2:3], v[40:41]
	v_mul_f64_e32 v[40:41], v[4:5], v[40:41]
	v_add_f64_e32 v[153:154], v[153:154], v[165:166]
	v_add_f64_e32 v[155:156], v[155:156], v[159:160]
	s_wait_loadcnt_dscnt 0x800
	v_mul_f64_e32 v[159:160], v[6:7], v[147:148]
	v_mul_f64_e32 v[147:148], v[8:9], v[147:148]
	v_fma_f64 v[157:158], v[4:5], v[38:39], v[157:158]
	v_fma_f64 v[165:166], v[2:3], v[38:39], -v[40:41]
	ds_load_b128 v[2:5], v1 offset:1280
	scratch_load_b128 v[38:41], off, off offset:608
	v_add_f64_e32 v[153:154], v[153:154], v[163:164]
	v_add_f64_e32 v[155:156], v[155:156], v[161:162]
	v_fma_f64 v[159:160], v[8:9], v[145:146], v[159:160]
	v_fma_f64 v[163:164], v[6:7], v[145:146], -v[147:148]
	ds_load_b128 v[6:9], v1 offset:1296
	s_wait_loadcnt_dscnt 0x801
	v_mul_f64_e32 v[161:162], v[2:3], v[12:13]
	v_mul_f64_e32 v[12:13], v[4:5], v[12:13]
	scratch_load_b128 v[145:148], off, off offset:624
	v_add_f64_e32 v[153:154], v[153:154], v[165:166]
	v_add_f64_e32 v[155:156], v[155:156], v[157:158]
	s_wait_loadcnt_dscnt 0x800
	v_mul_f64_e32 v[157:158], v[6:7], v[16:17]
	v_mul_f64_e32 v[16:17], v[8:9], v[16:17]
	v_fma_f64 v[161:162], v[4:5], v[10:11], v[161:162]
	v_fma_f64 v[165:166], v[2:3], v[10:11], -v[12:13]
	ds_load_b128 v[2:5], v1 offset:1312
	scratch_load_b128 v[10:13], off, off offset:640
	v_add_f64_e32 v[153:154], v[153:154], v[163:164]
	v_add_f64_e32 v[155:156], v[155:156], v[159:160]
	v_fma_f64 v[157:158], v[8:9], v[14:15], v[157:158]
	v_fma_f64 v[163:164], v[6:7], v[14:15], -v[16:17]
	ds_load_b128 v[6:9], v1 offset:1328
	s_wait_loadcnt_dscnt 0x801
	v_mul_f64_e32 v[159:160], v[2:3], v[20:21]
	v_mul_f64_e32 v[20:21], v[4:5], v[20:21]
	scratch_load_b128 v[14:17], off, off offset:656
	;; [unrolled: 18-line block ×7, first 2 shown]
	v_add_f64_e32 v[153:154], v[153:154], v[165:166]
	v_add_f64_e32 v[155:156], v[155:156], v[157:158]
	s_wait_loadcnt_dscnt 0x800
	v_mul_f64_e32 v[157:158], v[6:7], v[24:25]
	v_mul_f64_e32 v[24:25], v[8:9], v[24:25]
	v_fma_f64 v[161:162], v[4:5], v[18:19], v[161:162]
	v_fma_f64 v[18:19], v[2:3], v[18:19], -v[20:21]
	ds_load_b128 v[2:5], v1 offset:1504
	v_add_f64_e32 v[20:21], v[153:154], v[163:164]
	v_add_f64_e32 v[153:154], v[155:156], v[159:160]
	v_fma_f64 v[157:158], v[8:9], v[22:23], v[157:158]
	v_fma_f64 v[22:23], v[6:7], v[22:23], -v[24:25]
	ds_load_b128 v[6:9], v1 offset:1520
	s_wait_loadcnt_dscnt 0x701
	v_mul_f64_e32 v[155:156], v[2:3], v[28:29]
	v_mul_f64_e32 v[28:29], v[4:5], v[28:29]
	v_add_f64_e32 v[18:19], v[20:21], v[18:19]
	v_add_f64_e32 v[20:21], v[153:154], v[161:162]
	s_delay_alu instid0(VALU_DEP_4) | instskip(NEXT) | instid1(VALU_DEP_4)
	v_fma_f64 v[153:154], v[4:5], v[26:27], v[155:156]
	v_fma_f64 v[26:27], v[2:3], v[26:27], -v[28:29]
	ds_load_b128 v[2:5], v1 offset:1536
	v_add_f64_e32 v[22:23], v[18:19], v[22:23]
	v_add_f64_e32 v[28:29], v[20:21], v[157:158]
	scratch_load_b128 v[18:21], off, off offset:272
	s_wait_loadcnt_dscnt 0x701
	v_mul_f64_e32 v[24:25], v[6:7], v[32:33]
	v_mul_f64_e32 v[32:33], v[8:9], v[32:33]
	v_add_f64_e32 v[22:23], v[22:23], v[26:27]
	v_add_f64_e32 v[26:27], v[28:29], v[153:154]
	s_delay_alu instid0(VALU_DEP_4) | instskip(NEXT) | instid1(VALU_DEP_4)
	v_fma_f64 v[24:25], v[8:9], v[30:31], v[24:25]
	v_fma_f64 v[30:31], v[6:7], v[30:31], -v[32:33]
	ds_load_b128 v[6:9], v1 offset:1552
	s_wait_loadcnt_dscnt 0x601
	v_mul_f64_e32 v[155:156], v[2:3], v[36:37]
	v_mul_f64_e32 v[36:37], v[4:5], v[36:37]
	s_wait_loadcnt_dscnt 0x500
	v_mul_f64_e32 v[28:29], v[6:7], v[151:152]
	v_mul_f64_e32 v[32:33], v[8:9], v[151:152]
	v_add_f64_e32 v[24:25], v[26:27], v[24:25]
	v_add_f64_e32 v[22:23], v[22:23], v[30:31]
	v_fma_f64 v[151:152], v[4:5], v[34:35], v[155:156]
	v_fma_f64 v[34:35], v[2:3], v[34:35], -v[36:37]
	ds_load_b128 v[2:5], v1 offset:1568
	v_fma_f64 v[28:29], v[8:9], v[149:150], v[28:29]
	v_fma_f64 v[32:33], v[6:7], v[149:150], -v[32:33]
	ds_load_b128 v[6:9], v1 offset:1584
	s_wait_loadcnt_dscnt 0x401
	v_mul_f64_e32 v[26:27], v[2:3], v[40:41]
	v_mul_f64_e32 v[30:31], v[4:5], v[40:41]
	v_add_f64_e32 v[24:25], v[24:25], v[151:152]
	v_add_f64_e32 v[22:23], v[22:23], v[34:35]
	s_wait_loadcnt_dscnt 0x300
	v_mul_f64_e32 v[34:35], v[6:7], v[147:148]
	v_mul_f64_e32 v[36:37], v[8:9], v[147:148]
	v_fma_f64 v[26:27], v[4:5], v[38:39], v[26:27]
	v_fma_f64 v[30:31], v[2:3], v[38:39], -v[30:31]
	ds_load_b128 v[2:5], v1 offset:1600
	v_add_f64_e32 v[24:25], v[24:25], v[28:29]
	v_add_f64_e32 v[22:23], v[22:23], v[32:33]
	v_fma_f64 v[32:33], v[8:9], v[145:146], v[34:35]
	v_fma_f64 v[34:35], v[6:7], v[145:146], -v[36:37]
	ds_load_b128 v[6:9], v1 offset:1616
	s_wait_loadcnt_dscnt 0x201
	v_mul_f64_e32 v[28:29], v[2:3], v[12:13]
	v_mul_f64_e32 v[12:13], v[4:5], v[12:13]
	v_add_f64_e32 v[24:25], v[24:25], v[26:27]
	v_add_f64_e32 v[22:23], v[22:23], v[30:31]
	s_wait_loadcnt_dscnt 0x100
	v_mul_f64_e32 v[26:27], v[6:7], v[16:17]
	v_mul_f64_e32 v[16:17], v[8:9], v[16:17]
	v_fma_f64 v[4:5], v[4:5], v[10:11], v[28:29]
	v_fma_f64 v[1:2], v[2:3], v[10:11], -v[12:13]
	v_add_f64_e32 v[12:13], v[24:25], v[32:33]
	v_add_f64_e32 v[10:11], v[22:23], v[34:35]
	v_fma_f64 v[8:9], v[8:9], v[14:15], v[26:27]
	v_fma_f64 v[6:7], v[6:7], v[14:15], -v[16:17]
	s_delay_alu instid0(VALU_DEP_4) | instskip(NEXT) | instid1(VALU_DEP_4)
	v_add_f64_e32 v[3:4], v[12:13], v[4:5]
	v_add_f64_e32 v[1:2], v[10:11], v[1:2]
	s_delay_alu instid0(VALU_DEP_2) | instskip(NEXT) | instid1(VALU_DEP_2)
	v_add_f64_e32 v[3:4], v[3:4], v[8:9]
	v_add_f64_e32 v[1:2], v[1:2], v[6:7]
	s_wait_loadcnt 0x0
	s_delay_alu instid0(VALU_DEP_2) | instskip(NEXT) | instid1(VALU_DEP_2)
	v_add_f64_e64 v[3:4], v[20:21], -v[3:4]
	v_add_f64_e64 v[1:2], v[18:19], -v[1:2]
	scratch_store_b128 off, v[1:4], off offset:272
	v_cmpx_lt_u32_e32 15, v0
	s_cbranch_execz .LBB50_289
; %bb.288:
	scratch_load_b128 v[1:4], off, s49
	v_mov_b32_e32 v5, 0
	s_delay_alu instid0(VALU_DEP_1)
	v_dual_mov_b32 v6, v5 :: v_dual_mov_b32 v7, v5
	v_mov_b32_e32 v8, v5
	scratch_store_b128 off, v[5:8], off offset:256
	s_wait_loadcnt 0x0
	ds_store_b128 v144, v[1:4]
.LBB50_289:
	s_wait_alu 0xfffe
	s_or_b32 exec_lo, exec_lo, s0
	s_wait_storecnt_dscnt 0x0
	s_barrier_signal -1
	s_barrier_wait -1
	global_inv scope:SCOPE_SE
	s_clause 0x7
	scratch_load_b128 v[2:5], off, off offset:272
	scratch_load_b128 v[6:9], off, off offset:288
	;; [unrolled: 1-line block ×8, first 2 shown]
	v_mov_b32_e32 v1, 0
	s_clause 0x1
	scratch_load_b128 v[34:37], off, off offset:400
	scratch_load_b128 v[149:152], off, off offset:416
	s_mov_b32 s0, exec_lo
	ds_load_b128 v[38:41], v1 offset:1072
	ds_load_b128 v[145:148], v1 offset:1088
	s_wait_loadcnt_dscnt 0x901
	v_mul_f64_e32 v[153:154], v[40:41], v[4:5]
	v_mul_f64_e32 v[4:5], v[38:39], v[4:5]
	s_wait_loadcnt_dscnt 0x800
	v_mul_f64_e32 v[155:156], v[145:146], v[8:9]
	v_mul_f64_e32 v[8:9], v[147:148], v[8:9]
	s_delay_alu instid0(VALU_DEP_4) | instskip(NEXT) | instid1(VALU_DEP_4)
	v_fma_f64 v[153:154], v[38:39], v[2:3], -v[153:154]
	v_fma_f64 v[157:158], v[40:41], v[2:3], v[4:5]
	ds_load_b128 v[2:5], v1 offset:1104
	scratch_load_b128 v[38:41], off, off offset:432
	v_fma_f64 v[155:156], v[147:148], v[6:7], v[155:156]
	v_fma_f64 v[161:162], v[145:146], v[6:7], -v[8:9]
	ds_load_b128 v[6:9], v1 offset:1120
	scratch_load_b128 v[145:148], off, off offset:448
	s_wait_loadcnt_dscnt 0x901
	v_mul_f64_e32 v[159:160], v[2:3], v[12:13]
	v_mul_f64_e32 v[12:13], v[4:5], v[12:13]
	s_wait_loadcnt_dscnt 0x800
	v_mul_f64_e32 v[163:164], v[6:7], v[16:17]
	v_mul_f64_e32 v[16:17], v[8:9], v[16:17]
	v_add_f64_e32 v[153:154], 0, v[153:154]
	v_add_f64_e32 v[157:158], 0, v[157:158]
	v_fma_f64 v[159:160], v[4:5], v[10:11], v[159:160]
	v_fma_f64 v[165:166], v[2:3], v[10:11], -v[12:13]
	ds_load_b128 v[2:5], v1 offset:1136
	scratch_load_b128 v[10:13], off, off offset:464
	v_add_f64_e32 v[153:154], v[153:154], v[161:162]
	v_add_f64_e32 v[155:156], v[157:158], v[155:156]
	v_fma_f64 v[161:162], v[8:9], v[14:15], v[163:164]
	v_fma_f64 v[163:164], v[6:7], v[14:15], -v[16:17]
	ds_load_b128 v[6:9], v1 offset:1152
	scratch_load_b128 v[14:17], off, off offset:480
	s_wait_loadcnt_dscnt 0x901
	v_mul_f64_e32 v[157:158], v[2:3], v[20:21]
	v_mul_f64_e32 v[20:21], v[4:5], v[20:21]
	v_add_f64_e32 v[153:154], v[153:154], v[165:166]
	v_add_f64_e32 v[155:156], v[155:156], v[159:160]
	s_wait_loadcnt_dscnt 0x800
	v_mul_f64_e32 v[159:160], v[6:7], v[24:25]
	v_mul_f64_e32 v[24:25], v[8:9], v[24:25]
	v_fma_f64 v[157:158], v[4:5], v[18:19], v[157:158]
	v_fma_f64 v[165:166], v[2:3], v[18:19], -v[20:21]
	ds_load_b128 v[2:5], v1 offset:1168
	scratch_load_b128 v[18:21], off, off offset:496
	v_add_f64_e32 v[153:154], v[153:154], v[163:164]
	v_add_f64_e32 v[155:156], v[155:156], v[161:162]
	v_fma_f64 v[159:160], v[8:9], v[22:23], v[159:160]
	v_fma_f64 v[163:164], v[6:7], v[22:23], -v[24:25]
	ds_load_b128 v[6:9], v1 offset:1184
	s_wait_loadcnt_dscnt 0x801
	v_mul_f64_e32 v[161:162], v[2:3], v[28:29]
	v_mul_f64_e32 v[28:29], v[4:5], v[28:29]
	scratch_load_b128 v[22:25], off, off offset:512
	v_add_f64_e32 v[153:154], v[153:154], v[165:166]
	v_add_f64_e32 v[155:156], v[155:156], v[157:158]
	s_wait_loadcnt_dscnt 0x800
	v_mul_f64_e32 v[157:158], v[6:7], v[32:33]
	v_mul_f64_e32 v[32:33], v[8:9], v[32:33]
	v_fma_f64 v[161:162], v[4:5], v[26:27], v[161:162]
	v_fma_f64 v[165:166], v[2:3], v[26:27], -v[28:29]
	ds_load_b128 v[2:5], v1 offset:1200
	scratch_load_b128 v[26:29], off, off offset:528
	v_add_f64_e32 v[153:154], v[153:154], v[163:164]
	v_add_f64_e32 v[155:156], v[155:156], v[159:160]
	v_fma_f64 v[157:158], v[8:9], v[30:31], v[157:158]
	v_fma_f64 v[163:164], v[6:7], v[30:31], -v[32:33]
	ds_load_b128 v[6:9], v1 offset:1216
	s_wait_loadcnt_dscnt 0x801
	v_mul_f64_e32 v[159:160], v[2:3], v[36:37]
	v_mul_f64_e32 v[36:37], v[4:5], v[36:37]
	scratch_load_b128 v[30:33], off, off offset:544
	v_add_f64_e32 v[153:154], v[153:154], v[165:166]
	v_add_f64_e32 v[155:156], v[155:156], v[161:162]
	s_wait_loadcnt_dscnt 0x800
	v_mul_f64_e32 v[161:162], v[6:7], v[151:152]
	v_mul_f64_e32 v[151:152], v[8:9], v[151:152]
	v_fma_f64 v[159:160], v[4:5], v[34:35], v[159:160]
	v_fma_f64 v[165:166], v[2:3], v[34:35], -v[36:37]
	ds_load_b128 v[2:5], v1 offset:1232
	scratch_load_b128 v[34:37], off, off offset:560
	v_add_f64_e32 v[153:154], v[153:154], v[163:164]
	v_add_f64_e32 v[155:156], v[155:156], v[157:158]
	v_fma_f64 v[161:162], v[8:9], v[149:150], v[161:162]
	v_fma_f64 v[163:164], v[6:7], v[149:150], -v[151:152]
	ds_load_b128 v[6:9], v1 offset:1248
	scratch_load_b128 v[149:152], off, off offset:576
	s_wait_loadcnt_dscnt 0x901
	v_mul_f64_e32 v[157:158], v[2:3], v[40:41]
	v_mul_f64_e32 v[40:41], v[4:5], v[40:41]
	v_add_f64_e32 v[153:154], v[153:154], v[165:166]
	v_add_f64_e32 v[155:156], v[155:156], v[159:160]
	s_wait_loadcnt_dscnt 0x800
	v_mul_f64_e32 v[159:160], v[6:7], v[147:148]
	v_mul_f64_e32 v[147:148], v[8:9], v[147:148]
	v_fma_f64 v[157:158], v[4:5], v[38:39], v[157:158]
	v_fma_f64 v[165:166], v[2:3], v[38:39], -v[40:41]
	ds_load_b128 v[2:5], v1 offset:1264
	scratch_load_b128 v[38:41], off, off offset:592
	v_add_f64_e32 v[153:154], v[153:154], v[163:164]
	v_add_f64_e32 v[155:156], v[155:156], v[161:162]
	v_fma_f64 v[159:160], v[8:9], v[145:146], v[159:160]
	v_fma_f64 v[163:164], v[6:7], v[145:146], -v[147:148]
	ds_load_b128 v[6:9], v1 offset:1280
	s_wait_loadcnt_dscnt 0x801
	v_mul_f64_e32 v[161:162], v[2:3], v[12:13]
	v_mul_f64_e32 v[12:13], v[4:5], v[12:13]
	scratch_load_b128 v[145:148], off, off offset:608
	v_add_f64_e32 v[153:154], v[153:154], v[165:166]
	v_add_f64_e32 v[155:156], v[155:156], v[157:158]
	s_wait_loadcnt_dscnt 0x800
	v_mul_f64_e32 v[157:158], v[6:7], v[16:17]
	v_mul_f64_e32 v[16:17], v[8:9], v[16:17]
	v_fma_f64 v[161:162], v[4:5], v[10:11], v[161:162]
	v_fma_f64 v[165:166], v[2:3], v[10:11], -v[12:13]
	ds_load_b128 v[2:5], v1 offset:1296
	scratch_load_b128 v[10:13], off, off offset:624
	v_add_f64_e32 v[153:154], v[153:154], v[163:164]
	v_add_f64_e32 v[155:156], v[155:156], v[159:160]
	v_fma_f64 v[157:158], v[8:9], v[14:15], v[157:158]
	v_fma_f64 v[163:164], v[6:7], v[14:15], -v[16:17]
	ds_load_b128 v[6:9], v1 offset:1312
	s_wait_loadcnt_dscnt 0x801
	v_mul_f64_e32 v[159:160], v[2:3], v[20:21]
	v_mul_f64_e32 v[20:21], v[4:5], v[20:21]
	scratch_load_b128 v[14:17], off, off offset:640
	;; [unrolled: 18-line block ×7, first 2 shown]
	v_add_f64_e32 v[153:154], v[153:154], v[165:166]
	v_add_f64_e32 v[155:156], v[155:156], v[157:158]
	s_wait_loadcnt_dscnt 0x800
	v_mul_f64_e32 v[157:158], v[6:7], v[24:25]
	v_mul_f64_e32 v[24:25], v[8:9], v[24:25]
	v_fma_f64 v[161:162], v[4:5], v[18:19], v[161:162]
	v_fma_f64 v[165:166], v[2:3], v[18:19], -v[20:21]
	ds_load_b128 v[2:5], v1 offset:1488
	scratch_load_b128 v[18:21], off, off offset:816
	v_add_f64_e32 v[153:154], v[153:154], v[163:164]
	v_add_f64_e32 v[155:156], v[155:156], v[159:160]
	v_fma_f64 v[157:158], v[8:9], v[22:23], v[157:158]
	v_fma_f64 v[22:23], v[6:7], v[22:23], -v[24:25]
	ds_load_b128 v[6:9], v1 offset:1504
	s_wait_loadcnt_dscnt 0x801
	v_mul_f64_e32 v[159:160], v[2:3], v[28:29]
	v_mul_f64_e32 v[28:29], v[4:5], v[28:29]
	v_add_f64_e32 v[24:25], v[153:154], v[165:166]
	v_add_f64_e32 v[153:154], v[155:156], v[161:162]
	s_wait_loadcnt_dscnt 0x700
	v_mul_f64_e32 v[155:156], v[6:7], v[32:33]
	v_mul_f64_e32 v[32:33], v[8:9], v[32:33]
	v_fma_f64 v[159:160], v[4:5], v[26:27], v[159:160]
	v_fma_f64 v[26:27], v[2:3], v[26:27], -v[28:29]
	ds_load_b128 v[2:5], v1 offset:1520
	v_add_f64_e32 v[22:23], v[24:25], v[22:23]
	v_add_f64_e32 v[24:25], v[153:154], v[157:158]
	v_fma_f64 v[153:154], v[8:9], v[30:31], v[155:156]
	v_fma_f64 v[30:31], v[6:7], v[30:31], -v[32:33]
	ds_load_b128 v[6:9], v1 offset:1536
	s_wait_loadcnt_dscnt 0x500
	v_mul_f64_e32 v[155:156], v[6:7], v[151:152]
	v_mul_f64_e32 v[151:152], v[8:9], v[151:152]
	v_add_f64_e32 v[26:27], v[22:23], v[26:27]
	v_add_f64_e32 v[32:33], v[24:25], v[159:160]
	scratch_load_b128 v[22:25], off, off offset:256
	v_mul_f64_e32 v[28:29], v[2:3], v[36:37]
	v_mul_f64_e32 v[36:37], v[4:5], v[36:37]
	v_add_f64_e32 v[26:27], v[26:27], v[30:31]
	v_add_f64_e32 v[30:31], v[32:33], v[153:154]
	s_delay_alu instid0(VALU_DEP_4) | instskip(NEXT) | instid1(VALU_DEP_4)
	v_fma_f64 v[28:29], v[4:5], v[34:35], v[28:29]
	v_fma_f64 v[34:35], v[2:3], v[34:35], -v[36:37]
	ds_load_b128 v[2:5], v1 offset:1552
	s_wait_loadcnt_dscnt 0x500
	v_mul_f64_e32 v[32:33], v[2:3], v[40:41]
	v_mul_f64_e32 v[36:37], v[4:5], v[40:41]
	v_fma_f64 v[40:41], v[8:9], v[149:150], v[155:156]
	v_fma_f64 v[149:150], v[6:7], v[149:150], -v[151:152]
	ds_load_b128 v[6:9], v1 offset:1568
	v_add_f64_e32 v[28:29], v[30:31], v[28:29]
	v_add_f64_e32 v[26:27], v[26:27], v[34:35]
	v_fma_f64 v[32:33], v[4:5], v[38:39], v[32:33]
	v_fma_f64 v[36:37], v[2:3], v[38:39], -v[36:37]
	ds_load_b128 v[2:5], v1 offset:1584
	s_wait_loadcnt_dscnt 0x401
	v_mul_f64_e32 v[30:31], v[6:7], v[147:148]
	v_mul_f64_e32 v[34:35], v[8:9], v[147:148]
	v_add_f64_e32 v[28:29], v[28:29], v[40:41]
	v_add_f64_e32 v[26:27], v[26:27], v[149:150]
	s_wait_loadcnt_dscnt 0x300
	v_mul_f64_e32 v[38:39], v[2:3], v[12:13]
	v_mul_f64_e32 v[12:13], v[4:5], v[12:13]
	v_fma_f64 v[30:31], v[8:9], v[145:146], v[30:31]
	v_fma_f64 v[34:35], v[6:7], v[145:146], -v[34:35]
	ds_load_b128 v[6:9], v1 offset:1600
	v_add_f64_e32 v[28:29], v[28:29], v[32:33]
	v_add_f64_e32 v[26:27], v[26:27], v[36:37]
	v_fma_f64 v[36:37], v[4:5], v[10:11], v[38:39]
	v_fma_f64 v[10:11], v[2:3], v[10:11], -v[12:13]
	ds_load_b128 v[2:5], v1 offset:1616
	s_wait_loadcnt_dscnt 0x201
	v_mul_f64_e32 v[32:33], v[6:7], v[16:17]
	v_mul_f64_e32 v[16:17], v[8:9], v[16:17]
	v_add_f64_e32 v[12:13], v[26:27], v[34:35]
	v_add_f64_e32 v[26:27], v[28:29], v[30:31]
	s_wait_loadcnt_dscnt 0x100
	v_mul_f64_e32 v[28:29], v[2:3], v[20:21]
	v_mul_f64_e32 v[20:21], v[4:5], v[20:21]
	v_fma_f64 v[8:9], v[8:9], v[14:15], v[32:33]
	v_fma_f64 v[6:7], v[6:7], v[14:15], -v[16:17]
	v_add_f64_e32 v[10:11], v[12:13], v[10:11]
	v_add_f64_e32 v[12:13], v[26:27], v[36:37]
	v_fma_f64 v[4:5], v[4:5], v[18:19], v[28:29]
	v_fma_f64 v[2:3], v[2:3], v[18:19], -v[20:21]
	s_delay_alu instid0(VALU_DEP_4) | instskip(NEXT) | instid1(VALU_DEP_4)
	v_add_f64_e32 v[6:7], v[10:11], v[6:7]
	v_add_f64_e32 v[8:9], v[12:13], v[8:9]
	s_delay_alu instid0(VALU_DEP_2) | instskip(NEXT) | instid1(VALU_DEP_2)
	v_add_f64_e32 v[2:3], v[6:7], v[2:3]
	v_add_f64_e32 v[4:5], v[8:9], v[4:5]
	s_wait_loadcnt 0x0
	s_delay_alu instid0(VALU_DEP_2) | instskip(NEXT) | instid1(VALU_DEP_2)
	v_add_f64_e64 v[2:3], v[22:23], -v[2:3]
	v_add_f64_e64 v[4:5], v[24:25], -v[4:5]
	scratch_store_b128 off, v[2:5], off offset:256
	v_cmpx_lt_u32_e32 14, v0
	s_cbranch_execz .LBB50_291
; %bb.290:
	scratch_load_b128 v[5:8], off, s51
	v_dual_mov_b32 v2, v1 :: v_dual_mov_b32 v3, v1
	v_mov_b32_e32 v4, v1
	scratch_store_b128 off, v[1:4], off offset:240
	s_wait_loadcnt 0x0
	ds_store_b128 v144, v[5:8]
.LBB50_291:
	s_wait_alu 0xfffe
	s_or_b32 exec_lo, exec_lo, s0
	s_wait_storecnt_dscnt 0x0
	s_barrier_signal -1
	s_barrier_wait -1
	global_inv scope:SCOPE_SE
	s_clause 0x7
	scratch_load_b128 v[2:5], off, off offset:256
	scratch_load_b128 v[6:9], off, off offset:272
	;; [unrolled: 1-line block ×8, first 2 shown]
	ds_load_b128 v[38:41], v1 offset:1056
	ds_load_b128 v[145:148], v1 offset:1072
	s_clause 0x1
	scratch_load_b128 v[34:37], off, off offset:384
	scratch_load_b128 v[149:152], off, off offset:400
	s_mov_b32 s0, exec_lo
	s_wait_loadcnt_dscnt 0x901
	v_mul_f64_e32 v[153:154], v[40:41], v[4:5]
	v_mul_f64_e32 v[4:5], v[38:39], v[4:5]
	s_wait_loadcnt_dscnt 0x800
	v_mul_f64_e32 v[155:156], v[145:146], v[8:9]
	v_mul_f64_e32 v[8:9], v[147:148], v[8:9]
	s_delay_alu instid0(VALU_DEP_4) | instskip(NEXT) | instid1(VALU_DEP_4)
	v_fma_f64 v[153:154], v[38:39], v[2:3], -v[153:154]
	v_fma_f64 v[157:158], v[40:41], v[2:3], v[4:5]
	ds_load_b128 v[2:5], v1 offset:1088
	scratch_load_b128 v[38:41], off, off offset:416
	v_fma_f64 v[155:156], v[147:148], v[6:7], v[155:156]
	v_fma_f64 v[161:162], v[145:146], v[6:7], -v[8:9]
	ds_load_b128 v[6:9], v1 offset:1104
	scratch_load_b128 v[145:148], off, off offset:432
	s_wait_loadcnt_dscnt 0x901
	v_mul_f64_e32 v[159:160], v[2:3], v[12:13]
	v_mul_f64_e32 v[12:13], v[4:5], v[12:13]
	s_wait_loadcnt_dscnt 0x800
	v_mul_f64_e32 v[163:164], v[6:7], v[16:17]
	v_mul_f64_e32 v[16:17], v[8:9], v[16:17]
	v_add_f64_e32 v[153:154], 0, v[153:154]
	v_add_f64_e32 v[157:158], 0, v[157:158]
	v_fma_f64 v[159:160], v[4:5], v[10:11], v[159:160]
	v_fma_f64 v[165:166], v[2:3], v[10:11], -v[12:13]
	ds_load_b128 v[2:5], v1 offset:1120
	scratch_load_b128 v[10:13], off, off offset:448
	v_add_f64_e32 v[153:154], v[153:154], v[161:162]
	v_add_f64_e32 v[155:156], v[157:158], v[155:156]
	v_fma_f64 v[161:162], v[8:9], v[14:15], v[163:164]
	v_fma_f64 v[163:164], v[6:7], v[14:15], -v[16:17]
	ds_load_b128 v[6:9], v1 offset:1136
	scratch_load_b128 v[14:17], off, off offset:464
	s_wait_loadcnt_dscnt 0x901
	v_mul_f64_e32 v[157:158], v[2:3], v[20:21]
	v_mul_f64_e32 v[20:21], v[4:5], v[20:21]
	v_add_f64_e32 v[153:154], v[153:154], v[165:166]
	v_add_f64_e32 v[155:156], v[155:156], v[159:160]
	s_wait_loadcnt_dscnt 0x800
	v_mul_f64_e32 v[159:160], v[6:7], v[24:25]
	v_mul_f64_e32 v[24:25], v[8:9], v[24:25]
	v_fma_f64 v[157:158], v[4:5], v[18:19], v[157:158]
	v_fma_f64 v[165:166], v[2:3], v[18:19], -v[20:21]
	ds_load_b128 v[2:5], v1 offset:1152
	scratch_load_b128 v[18:21], off, off offset:480
	v_add_f64_e32 v[153:154], v[153:154], v[163:164]
	v_add_f64_e32 v[155:156], v[155:156], v[161:162]
	v_fma_f64 v[159:160], v[8:9], v[22:23], v[159:160]
	v_fma_f64 v[163:164], v[6:7], v[22:23], -v[24:25]
	ds_load_b128 v[6:9], v1 offset:1168
	s_wait_loadcnt_dscnt 0x801
	v_mul_f64_e32 v[161:162], v[2:3], v[28:29]
	v_mul_f64_e32 v[28:29], v[4:5], v[28:29]
	scratch_load_b128 v[22:25], off, off offset:496
	v_add_f64_e32 v[153:154], v[153:154], v[165:166]
	v_add_f64_e32 v[155:156], v[155:156], v[157:158]
	s_wait_loadcnt_dscnt 0x800
	v_mul_f64_e32 v[157:158], v[6:7], v[32:33]
	v_mul_f64_e32 v[32:33], v[8:9], v[32:33]
	v_fma_f64 v[161:162], v[4:5], v[26:27], v[161:162]
	v_fma_f64 v[165:166], v[2:3], v[26:27], -v[28:29]
	ds_load_b128 v[2:5], v1 offset:1184
	scratch_load_b128 v[26:29], off, off offset:512
	v_add_f64_e32 v[153:154], v[153:154], v[163:164]
	v_add_f64_e32 v[155:156], v[155:156], v[159:160]
	v_fma_f64 v[157:158], v[8:9], v[30:31], v[157:158]
	v_fma_f64 v[163:164], v[6:7], v[30:31], -v[32:33]
	ds_load_b128 v[6:9], v1 offset:1200
	s_wait_loadcnt_dscnt 0x801
	v_mul_f64_e32 v[159:160], v[2:3], v[36:37]
	v_mul_f64_e32 v[36:37], v[4:5], v[36:37]
	scratch_load_b128 v[30:33], off, off offset:528
	v_add_f64_e32 v[153:154], v[153:154], v[165:166]
	v_add_f64_e32 v[155:156], v[155:156], v[161:162]
	s_wait_loadcnt_dscnt 0x800
	v_mul_f64_e32 v[161:162], v[6:7], v[151:152]
	v_mul_f64_e32 v[151:152], v[8:9], v[151:152]
	v_fma_f64 v[159:160], v[4:5], v[34:35], v[159:160]
	v_fma_f64 v[165:166], v[2:3], v[34:35], -v[36:37]
	ds_load_b128 v[2:5], v1 offset:1216
	scratch_load_b128 v[34:37], off, off offset:544
	v_add_f64_e32 v[153:154], v[153:154], v[163:164]
	v_add_f64_e32 v[155:156], v[155:156], v[157:158]
	v_fma_f64 v[161:162], v[8:9], v[149:150], v[161:162]
	v_fma_f64 v[163:164], v[6:7], v[149:150], -v[151:152]
	ds_load_b128 v[6:9], v1 offset:1232
	scratch_load_b128 v[149:152], off, off offset:560
	s_wait_loadcnt_dscnt 0x901
	v_mul_f64_e32 v[157:158], v[2:3], v[40:41]
	v_mul_f64_e32 v[40:41], v[4:5], v[40:41]
	v_add_f64_e32 v[153:154], v[153:154], v[165:166]
	v_add_f64_e32 v[155:156], v[155:156], v[159:160]
	s_wait_loadcnt_dscnt 0x800
	v_mul_f64_e32 v[159:160], v[6:7], v[147:148]
	v_mul_f64_e32 v[147:148], v[8:9], v[147:148]
	v_fma_f64 v[157:158], v[4:5], v[38:39], v[157:158]
	v_fma_f64 v[165:166], v[2:3], v[38:39], -v[40:41]
	ds_load_b128 v[2:5], v1 offset:1248
	scratch_load_b128 v[38:41], off, off offset:576
	v_add_f64_e32 v[153:154], v[153:154], v[163:164]
	v_add_f64_e32 v[155:156], v[155:156], v[161:162]
	v_fma_f64 v[159:160], v[8:9], v[145:146], v[159:160]
	v_fma_f64 v[163:164], v[6:7], v[145:146], -v[147:148]
	ds_load_b128 v[6:9], v1 offset:1264
	s_wait_loadcnt_dscnt 0x801
	v_mul_f64_e32 v[161:162], v[2:3], v[12:13]
	v_mul_f64_e32 v[12:13], v[4:5], v[12:13]
	scratch_load_b128 v[145:148], off, off offset:592
	v_add_f64_e32 v[153:154], v[153:154], v[165:166]
	v_add_f64_e32 v[155:156], v[155:156], v[157:158]
	s_wait_loadcnt_dscnt 0x800
	v_mul_f64_e32 v[157:158], v[6:7], v[16:17]
	v_mul_f64_e32 v[16:17], v[8:9], v[16:17]
	v_fma_f64 v[161:162], v[4:5], v[10:11], v[161:162]
	v_fma_f64 v[165:166], v[2:3], v[10:11], -v[12:13]
	ds_load_b128 v[2:5], v1 offset:1280
	scratch_load_b128 v[10:13], off, off offset:608
	v_add_f64_e32 v[153:154], v[153:154], v[163:164]
	v_add_f64_e32 v[155:156], v[155:156], v[159:160]
	v_fma_f64 v[157:158], v[8:9], v[14:15], v[157:158]
	v_fma_f64 v[163:164], v[6:7], v[14:15], -v[16:17]
	ds_load_b128 v[6:9], v1 offset:1296
	s_wait_loadcnt_dscnt 0x801
	v_mul_f64_e32 v[159:160], v[2:3], v[20:21]
	v_mul_f64_e32 v[20:21], v[4:5], v[20:21]
	scratch_load_b128 v[14:17], off, off offset:624
	;; [unrolled: 18-line block ×8, first 2 shown]
	v_add_f64_e32 v[153:154], v[153:154], v[165:166]
	v_add_f64_e32 v[155:156], v[155:156], v[161:162]
	s_wait_loadcnt_dscnt 0x800
	v_mul_f64_e32 v[161:162], v[6:7], v[32:33]
	v_mul_f64_e32 v[32:33], v[8:9], v[32:33]
	v_fma_f64 v[159:160], v[4:5], v[26:27], v[159:160]
	v_fma_f64 v[26:27], v[2:3], v[26:27], -v[28:29]
	ds_load_b128 v[2:5], v1 offset:1504
	v_add_f64_e32 v[28:29], v[153:154], v[163:164]
	v_add_f64_e32 v[153:154], v[155:156], v[157:158]
	v_fma_f64 v[157:158], v[8:9], v[30:31], v[161:162]
	v_fma_f64 v[30:31], v[6:7], v[30:31], -v[32:33]
	ds_load_b128 v[6:9], v1 offset:1520
	s_wait_loadcnt_dscnt 0x701
	v_mul_f64_e32 v[155:156], v[2:3], v[36:37]
	v_mul_f64_e32 v[36:37], v[4:5], v[36:37]
	v_add_f64_e32 v[26:27], v[28:29], v[26:27]
	v_add_f64_e32 v[28:29], v[153:154], v[159:160]
	s_delay_alu instid0(VALU_DEP_4) | instskip(NEXT) | instid1(VALU_DEP_4)
	v_fma_f64 v[153:154], v[4:5], v[34:35], v[155:156]
	v_fma_f64 v[34:35], v[2:3], v[34:35], -v[36:37]
	ds_load_b128 v[2:5], v1 offset:1536
	v_add_f64_e32 v[30:31], v[26:27], v[30:31]
	v_add_f64_e32 v[36:37], v[28:29], v[157:158]
	scratch_load_b128 v[26:29], off, off offset:240
	s_wait_loadcnt_dscnt 0x701
	v_mul_f64_e32 v[32:33], v[6:7], v[151:152]
	v_mul_f64_e32 v[151:152], v[8:9], v[151:152]
	v_add_f64_e32 v[30:31], v[30:31], v[34:35]
	v_add_f64_e32 v[34:35], v[36:37], v[153:154]
	s_delay_alu instid0(VALU_DEP_4) | instskip(NEXT) | instid1(VALU_DEP_4)
	v_fma_f64 v[32:33], v[8:9], v[149:150], v[32:33]
	v_fma_f64 v[149:150], v[6:7], v[149:150], -v[151:152]
	ds_load_b128 v[6:9], v1 offset:1552
	s_wait_loadcnt_dscnt 0x601
	v_mul_f64_e32 v[155:156], v[2:3], v[40:41]
	v_mul_f64_e32 v[40:41], v[4:5], v[40:41]
	s_wait_loadcnt_dscnt 0x500
	v_mul_f64_e32 v[36:37], v[6:7], v[147:148]
	v_mul_f64_e32 v[147:148], v[8:9], v[147:148]
	v_add_f64_e32 v[32:33], v[34:35], v[32:33]
	v_add_f64_e32 v[30:31], v[30:31], v[149:150]
	v_fma_f64 v[151:152], v[4:5], v[38:39], v[155:156]
	v_fma_f64 v[38:39], v[2:3], v[38:39], -v[40:41]
	ds_load_b128 v[2:5], v1 offset:1568
	v_fma_f64 v[36:37], v[8:9], v[145:146], v[36:37]
	v_fma_f64 v[40:41], v[6:7], v[145:146], -v[147:148]
	ds_load_b128 v[6:9], v1 offset:1584
	s_wait_loadcnt_dscnt 0x401
	v_mul_f64_e32 v[34:35], v[2:3], v[12:13]
	v_mul_f64_e32 v[12:13], v[4:5], v[12:13]
	v_add_f64_e32 v[32:33], v[32:33], v[151:152]
	v_add_f64_e32 v[30:31], v[30:31], v[38:39]
	s_wait_loadcnt_dscnt 0x300
	v_mul_f64_e32 v[38:39], v[6:7], v[16:17]
	v_mul_f64_e32 v[16:17], v[8:9], v[16:17]
	v_fma_f64 v[34:35], v[4:5], v[10:11], v[34:35]
	v_fma_f64 v[10:11], v[2:3], v[10:11], -v[12:13]
	ds_load_b128 v[2:5], v1 offset:1600
	v_add_f64_e32 v[12:13], v[30:31], v[40:41]
	v_add_f64_e32 v[30:31], v[32:33], v[36:37]
	v_fma_f64 v[36:37], v[8:9], v[14:15], v[38:39]
	v_fma_f64 v[14:15], v[6:7], v[14:15], -v[16:17]
	ds_load_b128 v[6:9], v1 offset:1616
	s_wait_loadcnt_dscnt 0x201
	v_mul_f64_e32 v[32:33], v[2:3], v[20:21]
	v_mul_f64_e32 v[20:21], v[4:5], v[20:21]
	s_wait_loadcnt_dscnt 0x100
	v_mul_f64_e32 v[16:17], v[6:7], v[24:25]
	v_mul_f64_e32 v[24:25], v[8:9], v[24:25]
	v_add_f64_e32 v[10:11], v[12:13], v[10:11]
	v_add_f64_e32 v[12:13], v[30:31], v[34:35]
	v_fma_f64 v[4:5], v[4:5], v[18:19], v[32:33]
	v_fma_f64 v[1:2], v[2:3], v[18:19], -v[20:21]
	v_fma_f64 v[8:9], v[8:9], v[22:23], v[16:17]
	v_fma_f64 v[6:7], v[6:7], v[22:23], -v[24:25]
	v_add_f64_e32 v[10:11], v[10:11], v[14:15]
	v_add_f64_e32 v[12:13], v[12:13], v[36:37]
	s_delay_alu instid0(VALU_DEP_2) | instskip(NEXT) | instid1(VALU_DEP_2)
	v_add_f64_e32 v[1:2], v[10:11], v[1:2]
	v_add_f64_e32 v[3:4], v[12:13], v[4:5]
	s_delay_alu instid0(VALU_DEP_2) | instskip(NEXT) | instid1(VALU_DEP_2)
	v_add_f64_e32 v[1:2], v[1:2], v[6:7]
	v_add_f64_e32 v[3:4], v[3:4], v[8:9]
	s_wait_loadcnt 0x0
	s_delay_alu instid0(VALU_DEP_2) | instskip(NEXT) | instid1(VALU_DEP_2)
	v_add_f64_e64 v[1:2], v[26:27], -v[1:2]
	v_add_f64_e64 v[3:4], v[28:29], -v[3:4]
	scratch_store_b128 off, v[1:4], off offset:240
	v_cmpx_lt_u32_e32 13, v0
	s_cbranch_execz .LBB50_293
; %bb.292:
	scratch_load_b128 v[1:4], off, s50
	v_mov_b32_e32 v5, 0
	s_delay_alu instid0(VALU_DEP_1)
	v_dual_mov_b32 v6, v5 :: v_dual_mov_b32 v7, v5
	v_mov_b32_e32 v8, v5
	scratch_store_b128 off, v[5:8], off offset:224
	s_wait_loadcnt 0x0
	ds_store_b128 v144, v[1:4]
.LBB50_293:
	s_wait_alu 0xfffe
	s_or_b32 exec_lo, exec_lo, s0
	s_wait_storecnt_dscnt 0x0
	s_barrier_signal -1
	s_barrier_wait -1
	global_inv scope:SCOPE_SE
	s_clause 0x7
	scratch_load_b128 v[2:5], off, off offset:240
	scratch_load_b128 v[6:9], off, off offset:256
	;; [unrolled: 1-line block ×8, first 2 shown]
	v_mov_b32_e32 v1, 0
	s_clause 0x1
	scratch_load_b128 v[34:37], off, off offset:368
	scratch_load_b128 v[149:152], off, off offset:384
	s_mov_b32 s0, exec_lo
	ds_load_b128 v[38:41], v1 offset:1040
	ds_load_b128 v[145:148], v1 offset:1056
	s_wait_loadcnt_dscnt 0x901
	v_mul_f64_e32 v[153:154], v[40:41], v[4:5]
	v_mul_f64_e32 v[4:5], v[38:39], v[4:5]
	s_wait_loadcnt_dscnt 0x800
	v_mul_f64_e32 v[155:156], v[145:146], v[8:9]
	v_mul_f64_e32 v[8:9], v[147:148], v[8:9]
	s_delay_alu instid0(VALU_DEP_4) | instskip(NEXT) | instid1(VALU_DEP_4)
	v_fma_f64 v[153:154], v[38:39], v[2:3], -v[153:154]
	v_fma_f64 v[157:158], v[40:41], v[2:3], v[4:5]
	ds_load_b128 v[2:5], v1 offset:1072
	scratch_load_b128 v[38:41], off, off offset:400
	v_fma_f64 v[155:156], v[147:148], v[6:7], v[155:156]
	v_fma_f64 v[161:162], v[145:146], v[6:7], -v[8:9]
	ds_load_b128 v[6:9], v1 offset:1088
	scratch_load_b128 v[145:148], off, off offset:416
	s_wait_loadcnt_dscnt 0x901
	v_mul_f64_e32 v[159:160], v[2:3], v[12:13]
	v_mul_f64_e32 v[12:13], v[4:5], v[12:13]
	s_wait_loadcnt_dscnt 0x800
	v_mul_f64_e32 v[163:164], v[6:7], v[16:17]
	v_mul_f64_e32 v[16:17], v[8:9], v[16:17]
	v_add_f64_e32 v[153:154], 0, v[153:154]
	v_add_f64_e32 v[157:158], 0, v[157:158]
	v_fma_f64 v[159:160], v[4:5], v[10:11], v[159:160]
	v_fma_f64 v[165:166], v[2:3], v[10:11], -v[12:13]
	ds_load_b128 v[2:5], v1 offset:1104
	scratch_load_b128 v[10:13], off, off offset:432
	v_add_f64_e32 v[153:154], v[153:154], v[161:162]
	v_add_f64_e32 v[155:156], v[157:158], v[155:156]
	v_fma_f64 v[161:162], v[8:9], v[14:15], v[163:164]
	v_fma_f64 v[163:164], v[6:7], v[14:15], -v[16:17]
	ds_load_b128 v[6:9], v1 offset:1120
	scratch_load_b128 v[14:17], off, off offset:448
	s_wait_loadcnt_dscnt 0x901
	v_mul_f64_e32 v[157:158], v[2:3], v[20:21]
	v_mul_f64_e32 v[20:21], v[4:5], v[20:21]
	v_add_f64_e32 v[153:154], v[153:154], v[165:166]
	v_add_f64_e32 v[155:156], v[155:156], v[159:160]
	s_wait_loadcnt_dscnt 0x800
	v_mul_f64_e32 v[159:160], v[6:7], v[24:25]
	v_mul_f64_e32 v[24:25], v[8:9], v[24:25]
	v_fma_f64 v[157:158], v[4:5], v[18:19], v[157:158]
	v_fma_f64 v[165:166], v[2:3], v[18:19], -v[20:21]
	ds_load_b128 v[2:5], v1 offset:1136
	scratch_load_b128 v[18:21], off, off offset:464
	v_add_f64_e32 v[153:154], v[153:154], v[163:164]
	v_add_f64_e32 v[155:156], v[155:156], v[161:162]
	v_fma_f64 v[159:160], v[8:9], v[22:23], v[159:160]
	v_fma_f64 v[163:164], v[6:7], v[22:23], -v[24:25]
	ds_load_b128 v[6:9], v1 offset:1152
	s_wait_loadcnt_dscnt 0x801
	v_mul_f64_e32 v[161:162], v[2:3], v[28:29]
	v_mul_f64_e32 v[28:29], v[4:5], v[28:29]
	scratch_load_b128 v[22:25], off, off offset:480
	v_add_f64_e32 v[153:154], v[153:154], v[165:166]
	v_add_f64_e32 v[155:156], v[155:156], v[157:158]
	s_wait_loadcnt_dscnt 0x800
	v_mul_f64_e32 v[157:158], v[6:7], v[32:33]
	v_mul_f64_e32 v[32:33], v[8:9], v[32:33]
	v_fma_f64 v[161:162], v[4:5], v[26:27], v[161:162]
	v_fma_f64 v[165:166], v[2:3], v[26:27], -v[28:29]
	ds_load_b128 v[2:5], v1 offset:1168
	scratch_load_b128 v[26:29], off, off offset:496
	v_add_f64_e32 v[153:154], v[153:154], v[163:164]
	v_add_f64_e32 v[155:156], v[155:156], v[159:160]
	v_fma_f64 v[157:158], v[8:9], v[30:31], v[157:158]
	v_fma_f64 v[163:164], v[6:7], v[30:31], -v[32:33]
	ds_load_b128 v[6:9], v1 offset:1184
	s_wait_loadcnt_dscnt 0x801
	v_mul_f64_e32 v[159:160], v[2:3], v[36:37]
	v_mul_f64_e32 v[36:37], v[4:5], v[36:37]
	scratch_load_b128 v[30:33], off, off offset:512
	v_add_f64_e32 v[153:154], v[153:154], v[165:166]
	v_add_f64_e32 v[155:156], v[155:156], v[161:162]
	s_wait_loadcnt_dscnt 0x800
	v_mul_f64_e32 v[161:162], v[6:7], v[151:152]
	v_mul_f64_e32 v[151:152], v[8:9], v[151:152]
	v_fma_f64 v[159:160], v[4:5], v[34:35], v[159:160]
	v_fma_f64 v[165:166], v[2:3], v[34:35], -v[36:37]
	ds_load_b128 v[2:5], v1 offset:1200
	scratch_load_b128 v[34:37], off, off offset:528
	v_add_f64_e32 v[153:154], v[153:154], v[163:164]
	v_add_f64_e32 v[155:156], v[155:156], v[157:158]
	v_fma_f64 v[161:162], v[8:9], v[149:150], v[161:162]
	v_fma_f64 v[163:164], v[6:7], v[149:150], -v[151:152]
	ds_load_b128 v[6:9], v1 offset:1216
	scratch_load_b128 v[149:152], off, off offset:544
	s_wait_loadcnt_dscnt 0x901
	v_mul_f64_e32 v[157:158], v[2:3], v[40:41]
	v_mul_f64_e32 v[40:41], v[4:5], v[40:41]
	v_add_f64_e32 v[153:154], v[153:154], v[165:166]
	v_add_f64_e32 v[155:156], v[155:156], v[159:160]
	s_wait_loadcnt_dscnt 0x800
	v_mul_f64_e32 v[159:160], v[6:7], v[147:148]
	v_mul_f64_e32 v[147:148], v[8:9], v[147:148]
	v_fma_f64 v[157:158], v[4:5], v[38:39], v[157:158]
	v_fma_f64 v[165:166], v[2:3], v[38:39], -v[40:41]
	ds_load_b128 v[2:5], v1 offset:1232
	scratch_load_b128 v[38:41], off, off offset:560
	v_add_f64_e32 v[153:154], v[153:154], v[163:164]
	v_add_f64_e32 v[155:156], v[155:156], v[161:162]
	v_fma_f64 v[159:160], v[8:9], v[145:146], v[159:160]
	v_fma_f64 v[163:164], v[6:7], v[145:146], -v[147:148]
	ds_load_b128 v[6:9], v1 offset:1248
	s_wait_loadcnt_dscnt 0x801
	v_mul_f64_e32 v[161:162], v[2:3], v[12:13]
	v_mul_f64_e32 v[12:13], v[4:5], v[12:13]
	scratch_load_b128 v[145:148], off, off offset:576
	v_add_f64_e32 v[153:154], v[153:154], v[165:166]
	v_add_f64_e32 v[155:156], v[155:156], v[157:158]
	s_wait_loadcnt_dscnt 0x800
	v_mul_f64_e32 v[157:158], v[6:7], v[16:17]
	v_mul_f64_e32 v[16:17], v[8:9], v[16:17]
	v_fma_f64 v[161:162], v[4:5], v[10:11], v[161:162]
	v_fma_f64 v[165:166], v[2:3], v[10:11], -v[12:13]
	ds_load_b128 v[2:5], v1 offset:1264
	scratch_load_b128 v[10:13], off, off offset:592
	v_add_f64_e32 v[153:154], v[153:154], v[163:164]
	v_add_f64_e32 v[155:156], v[155:156], v[159:160]
	v_fma_f64 v[157:158], v[8:9], v[14:15], v[157:158]
	v_fma_f64 v[163:164], v[6:7], v[14:15], -v[16:17]
	ds_load_b128 v[6:9], v1 offset:1280
	s_wait_loadcnt_dscnt 0x801
	v_mul_f64_e32 v[159:160], v[2:3], v[20:21]
	v_mul_f64_e32 v[20:21], v[4:5], v[20:21]
	scratch_load_b128 v[14:17], off, off offset:608
	;; [unrolled: 18-line block ×8, first 2 shown]
	v_add_f64_e32 v[153:154], v[153:154], v[165:166]
	v_add_f64_e32 v[155:156], v[155:156], v[161:162]
	s_wait_loadcnt_dscnt 0x800
	v_mul_f64_e32 v[161:162], v[6:7], v[32:33]
	v_mul_f64_e32 v[32:33], v[8:9], v[32:33]
	v_fma_f64 v[159:160], v[4:5], v[26:27], v[159:160]
	v_fma_f64 v[165:166], v[2:3], v[26:27], -v[28:29]
	ds_load_b128 v[2:5], v1 offset:1488
	scratch_load_b128 v[26:29], off, off offset:816
	v_add_f64_e32 v[153:154], v[153:154], v[163:164]
	v_add_f64_e32 v[155:156], v[155:156], v[157:158]
	v_fma_f64 v[161:162], v[8:9], v[30:31], v[161:162]
	v_fma_f64 v[30:31], v[6:7], v[30:31], -v[32:33]
	ds_load_b128 v[6:9], v1 offset:1504
	s_wait_loadcnt_dscnt 0x801
	v_mul_f64_e32 v[157:158], v[2:3], v[36:37]
	v_mul_f64_e32 v[36:37], v[4:5], v[36:37]
	v_add_f64_e32 v[32:33], v[153:154], v[165:166]
	v_add_f64_e32 v[153:154], v[155:156], v[159:160]
	s_wait_loadcnt_dscnt 0x700
	v_mul_f64_e32 v[155:156], v[6:7], v[151:152]
	v_mul_f64_e32 v[151:152], v[8:9], v[151:152]
	v_fma_f64 v[157:158], v[4:5], v[34:35], v[157:158]
	v_fma_f64 v[34:35], v[2:3], v[34:35], -v[36:37]
	ds_load_b128 v[2:5], v1 offset:1520
	v_add_f64_e32 v[30:31], v[32:33], v[30:31]
	v_add_f64_e32 v[32:33], v[153:154], v[161:162]
	v_fma_f64 v[153:154], v[8:9], v[149:150], v[155:156]
	v_fma_f64 v[149:150], v[6:7], v[149:150], -v[151:152]
	ds_load_b128 v[6:9], v1 offset:1536
	s_wait_loadcnt_dscnt 0x500
	v_mul_f64_e32 v[155:156], v[6:7], v[147:148]
	v_mul_f64_e32 v[147:148], v[8:9], v[147:148]
	v_add_f64_e32 v[34:35], v[30:31], v[34:35]
	v_add_f64_e32 v[151:152], v[32:33], v[157:158]
	scratch_load_b128 v[30:33], off, off offset:224
	v_mul_f64_e32 v[36:37], v[2:3], v[40:41]
	v_mul_f64_e32 v[40:41], v[4:5], v[40:41]
	v_add_f64_e32 v[34:35], v[34:35], v[149:150]
	s_delay_alu instid0(VALU_DEP_3) | instskip(NEXT) | instid1(VALU_DEP_3)
	v_fma_f64 v[36:37], v[4:5], v[38:39], v[36:37]
	v_fma_f64 v[38:39], v[2:3], v[38:39], -v[40:41]
	v_add_f64_e32 v[40:41], v[151:152], v[153:154]
	ds_load_b128 v[2:5], v1 offset:1552
	v_fma_f64 v[151:152], v[8:9], v[145:146], v[155:156]
	v_fma_f64 v[145:146], v[6:7], v[145:146], -v[147:148]
	ds_load_b128 v[6:9], v1 offset:1568
	s_wait_loadcnt_dscnt 0x501
	v_mul_f64_e32 v[149:150], v[2:3], v[12:13]
	v_mul_f64_e32 v[12:13], v[4:5], v[12:13]
	v_add_f64_e32 v[34:35], v[34:35], v[38:39]
	v_add_f64_e32 v[36:37], v[40:41], v[36:37]
	s_wait_loadcnt_dscnt 0x400
	v_mul_f64_e32 v[38:39], v[6:7], v[16:17]
	v_mul_f64_e32 v[16:17], v[8:9], v[16:17]
	v_fma_f64 v[40:41], v[4:5], v[10:11], v[149:150]
	v_fma_f64 v[10:11], v[2:3], v[10:11], -v[12:13]
	ds_load_b128 v[2:5], v1 offset:1584
	v_add_f64_e32 v[12:13], v[34:35], v[145:146]
	v_add_f64_e32 v[34:35], v[36:37], v[151:152]
	v_fma_f64 v[38:39], v[8:9], v[14:15], v[38:39]
	v_fma_f64 v[14:15], v[6:7], v[14:15], -v[16:17]
	ds_load_b128 v[6:9], v1 offset:1600
	s_wait_loadcnt_dscnt 0x301
	v_mul_f64_e32 v[36:37], v[2:3], v[20:21]
	v_mul_f64_e32 v[20:21], v[4:5], v[20:21]
	s_wait_loadcnt_dscnt 0x200
	v_mul_f64_e32 v[16:17], v[6:7], v[24:25]
	v_mul_f64_e32 v[24:25], v[8:9], v[24:25]
	v_add_f64_e32 v[10:11], v[12:13], v[10:11]
	v_add_f64_e32 v[12:13], v[34:35], v[40:41]
	v_fma_f64 v[34:35], v[4:5], v[18:19], v[36:37]
	v_fma_f64 v[18:19], v[2:3], v[18:19], -v[20:21]
	ds_load_b128 v[2:5], v1 offset:1616
	v_fma_f64 v[8:9], v[8:9], v[22:23], v[16:17]
	v_fma_f64 v[6:7], v[6:7], v[22:23], -v[24:25]
	s_wait_loadcnt_dscnt 0x100
	v_mul_f64_e32 v[20:21], v[4:5], v[28:29]
	v_add_f64_e32 v[10:11], v[10:11], v[14:15]
	v_add_f64_e32 v[12:13], v[12:13], v[38:39]
	v_mul_f64_e32 v[14:15], v[2:3], v[28:29]
	s_delay_alu instid0(VALU_DEP_4) | instskip(NEXT) | instid1(VALU_DEP_4)
	v_fma_f64 v[2:3], v[2:3], v[26:27], -v[20:21]
	v_add_f64_e32 v[10:11], v[10:11], v[18:19]
	s_delay_alu instid0(VALU_DEP_4) | instskip(NEXT) | instid1(VALU_DEP_4)
	v_add_f64_e32 v[12:13], v[12:13], v[34:35]
	v_fma_f64 v[4:5], v[4:5], v[26:27], v[14:15]
	s_delay_alu instid0(VALU_DEP_3) | instskip(NEXT) | instid1(VALU_DEP_3)
	v_add_f64_e32 v[6:7], v[10:11], v[6:7]
	v_add_f64_e32 v[8:9], v[12:13], v[8:9]
	s_delay_alu instid0(VALU_DEP_2) | instskip(NEXT) | instid1(VALU_DEP_2)
	v_add_f64_e32 v[2:3], v[6:7], v[2:3]
	v_add_f64_e32 v[4:5], v[8:9], v[4:5]
	s_wait_loadcnt 0x0
	s_delay_alu instid0(VALU_DEP_2) | instskip(NEXT) | instid1(VALU_DEP_2)
	v_add_f64_e64 v[2:3], v[30:31], -v[2:3]
	v_add_f64_e64 v[4:5], v[32:33], -v[4:5]
	scratch_store_b128 off, v[2:5], off offset:224
	v_cmpx_lt_u32_e32 12, v0
	s_cbranch_execz .LBB50_295
; %bb.294:
	scratch_load_b128 v[5:8], off, s52
	v_dual_mov_b32 v2, v1 :: v_dual_mov_b32 v3, v1
	v_mov_b32_e32 v4, v1
	scratch_store_b128 off, v[1:4], off offset:208
	s_wait_loadcnt 0x0
	ds_store_b128 v144, v[5:8]
.LBB50_295:
	s_wait_alu 0xfffe
	s_or_b32 exec_lo, exec_lo, s0
	s_wait_storecnt_dscnt 0x0
	s_barrier_signal -1
	s_barrier_wait -1
	global_inv scope:SCOPE_SE
	s_clause 0x7
	scratch_load_b128 v[2:5], off, off offset:224
	scratch_load_b128 v[6:9], off, off offset:240
	scratch_load_b128 v[10:13], off, off offset:256
	scratch_load_b128 v[14:17], off, off offset:272
	scratch_load_b128 v[18:21], off, off offset:288
	scratch_load_b128 v[22:25], off, off offset:304
	scratch_load_b128 v[26:29], off, off offset:320
	scratch_load_b128 v[30:33], off, off offset:336
	ds_load_b128 v[38:41], v1 offset:1024
	ds_load_b128 v[145:148], v1 offset:1040
	s_clause 0x1
	scratch_load_b128 v[34:37], off, off offset:352
	scratch_load_b128 v[149:152], off, off offset:368
	s_mov_b32 s0, exec_lo
	s_wait_loadcnt_dscnt 0x901
	v_mul_f64_e32 v[153:154], v[40:41], v[4:5]
	v_mul_f64_e32 v[4:5], v[38:39], v[4:5]
	s_wait_loadcnt_dscnt 0x800
	v_mul_f64_e32 v[155:156], v[145:146], v[8:9]
	v_mul_f64_e32 v[8:9], v[147:148], v[8:9]
	s_delay_alu instid0(VALU_DEP_4) | instskip(NEXT) | instid1(VALU_DEP_4)
	v_fma_f64 v[153:154], v[38:39], v[2:3], -v[153:154]
	v_fma_f64 v[157:158], v[40:41], v[2:3], v[4:5]
	ds_load_b128 v[2:5], v1 offset:1056
	scratch_load_b128 v[38:41], off, off offset:384
	v_fma_f64 v[155:156], v[147:148], v[6:7], v[155:156]
	v_fma_f64 v[161:162], v[145:146], v[6:7], -v[8:9]
	ds_load_b128 v[6:9], v1 offset:1072
	scratch_load_b128 v[145:148], off, off offset:400
	s_wait_loadcnt_dscnt 0x901
	v_mul_f64_e32 v[159:160], v[2:3], v[12:13]
	v_mul_f64_e32 v[12:13], v[4:5], v[12:13]
	s_wait_loadcnt_dscnt 0x800
	v_mul_f64_e32 v[163:164], v[6:7], v[16:17]
	v_mul_f64_e32 v[16:17], v[8:9], v[16:17]
	v_add_f64_e32 v[153:154], 0, v[153:154]
	v_add_f64_e32 v[157:158], 0, v[157:158]
	v_fma_f64 v[159:160], v[4:5], v[10:11], v[159:160]
	v_fma_f64 v[165:166], v[2:3], v[10:11], -v[12:13]
	ds_load_b128 v[2:5], v1 offset:1088
	scratch_load_b128 v[10:13], off, off offset:416
	v_add_f64_e32 v[153:154], v[153:154], v[161:162]
	v_add_f64_e32 v[155:156], v[157:158], v[155:156]
	v_fma_f64 v[161:162], v[8:9], v[14:15], v[163:164]
	v_fma_f64 v[163:164], v[6:7], v[14:15], -v[16:17]
	ds_load_b128 v[6:9], v1 offset:1104
	scratch_load_b128 v[14:17], off, off offset:432
	s_wait_loadcnt_dscnt 0x901
	v_mul_f64_e32 v[157:158], v[2:3], v[20:21]
	v_mul_f64_e32 v[20:21], v[4:5], v[20:21]
	v_add_f64_e32 v[153:154], v[153:154], v[165:166]
	v_add_f64_e32 v[155:156], v[155:156], v[159:160]
	s_wait_loadcnt_dscnt 0x800
	v_mul_f64_e32 v[159:160], v[6:7], v[24:25]
	v_mul_f64_e32 v[24:25], v[8:9], v[24:25]
	v_fma_f64 v[157:158], v[4:5], v[18:19], v[157:158]
	v_fma_f64 v[165:166], v[2:3], v[18:19], -v[20:21]
	ds_load_b128 v[2:5], v1 offset:1120
	scratch_load_b128 v[18:21], off, off offset:448
	v_add_f64_e32 v[153:154], v[153:154], v[163:164]
	v_add_f64_e32 v[155:156], v[155:156], v[161:162]
	v_fma_f64 v[159:160], v[8:9], v[22:23], v[159:160]
	v_fma_f64 v[163:164], v[6:7], v[22:23], -v[24:25]
	ds_load_b128 v[6:9], v1 offset:1136
	s_wait_loadcnt_dscnt 0x801
	v_mul_f64_e32 v[161:162], v[2:3], v[28:29]
	v_mul_f64_e32 v[28:29], v[4:5], v[28:29]
	scratch_load_b128 v[22:25], off, off offset:464
	v_add_f64_e32 v[153:154], v[153:154], v[165:166]
	v_add_f64_e32 v[155:156], v[155:156], v[157:158]
	s_wait_loadcnt_dscnt 0x800
	v_mul_f64_e32 v[157:158], v[6:7], v[32:33]
	v_mul_f64_e32 v[32:33], v[8:9], v[32:33]
	v_fma_f64 v[161:162], v[4:5], v[26:27], v[161:162]
	v_fma_f64 v[165:166], v[2:3], v[26:27], -v[28:29]
	ds_load_b128 v[2:5], v1 offset:1152
	scratch_load_b128 v[26:29], off, off offset:480
	v_add_f64_e32 v[153:154], v[153:154], v[163:164]
	v_add_f64_e32 v[155:156], v[155:156], v[159:160]
	v_fma_f64 v[157:158], v[8:9], v[30:31], v[157:158]
	v_fma_f64 v[163:164], v[6:7], v[30:31], -v[32:33]
	ds_load_b128 v[6:9], v1 offset:1168
	s_wait_loadcnt_dscnt 0x801
	v_mul_f64_e32 v[159:160], v[2:3], v[36:37]
	v_mul_f64_e32 v[36:37], v[4:5], v[36:37]
	scratch_load_b128 v[30:33], off, off offset:496
	v_add_f64_e32 v[153:154], v[153:154], v[165:166]
	v_add_f64_e32 v[155:156], v[155:156], v[161:162]
	s_wait_loadcnt_dscnt 0x800
	v_mul_f64_e32 v[161:162], v[6:7], v[151:152]
	v_mul_f64_e32 v[151:152], v[8:9], v[151:152]
	v_fma_f64 v[159:160], v[4:5], v[34:35], v[159:160]
	v_fma_f64 v[165:166], v[2:3], v[34:35], -v[36:37]
	ds_load_b128 v[2:5], v1 offset:1184
	scratch_load_b128 v[34:37], off, off offset:512
	v_add_f64_e32 v[153:154], v[153:154], v[163:164]
	v_add_f64_e32 v[155:156], v[155:156], v[157:158]
	v_fma_f64 v[161:162], v[8:9], v[149:150], v[161:162]
	v_fma_f64 v[163:164], v[6:7], v[149:150], -v[151:152]
	ds_load_b128 v[6:9], v1 offset:1200
	scratch_load_b128 v[149:152], off, off offset:528
	s_wait_loadcnt_dscnt 0x901
	v_mul_f64_e32 v[157:158], v[2:3], v[40:41]
	v_mul_f64_e32 v[40:41], v[4:5], v[40:41]
	v_add_f64_e32 v[153:154], v[153:154], v[165:166]
	v_add_f64_e32 v[155:156], v[155:156], v[159:160]
	s_wait_loadcnt_dscnt 0x800
	v_mul_f64_e32 v[159:160], v[6:7], v[147:148]
	v_mul_f64_e32 v[147:148], v[8:9], v[147:148]
	v_fma_f64 v[157:158], v[4:5], v[38:39], v[157:158]
	v_fma_f64 v[165:166], v[2:3], v[38:39], -v[40:41]
	ds_load_b128 v[2:5], v1 offset:1216
	scratch_load_b128 v[38:41], off, off offset:544
	v_add_f64_e32 v[153:154], v[153:154], v[163:164]
	v_add_f64_e32 v[155:156], v[155:156], v[161:162]
	v_fma_f64 v[159:160], v[8:9], v[145:146], v[159:160]
	v_fma_f64 v[163:164], v[6:7], v[145:146], -v[147:148]
	ds_load_b128 v[6:9], v1 offset:1232
	s_wait_loadcnt_dscnt 0x801
	v_mul_f64_e32 v[161:162], v[2:3], v[12:13]
	v_mul_f64_e32 v[12:13], v[4:5], v[12:13]
	scratch_load_b128 v[145:148], off, off offset:560
	v_add_f64_e32 v[153:154], v[153:154], v[165:166]
	v_add_f64_e32 v[155:156], v[155:156], v[157:158]
	s_wait_loadcnt_dscnt 0x800
	v_mul_f64_e32 v[157:158], v[6:7], v[16:17]
	v_mul_f64_e32 v[16:17], v[8:9], v[16:17]
	v_fma_f64 v[161:162], v[4:5], v[10:11], v[161:162]
	v_fma_f64 v[165:166], v[2:3], v[10:11], -v[12:13]
	ds_load_b128 v[2:5], v1 offset:1248
	scratch_load_b128 v[10:13], off, off offset:576
	v_add_f64_e32 v[153:154], v[153:154], v[163:164]
	v_add_f64_e32 v[155:156], v[155:156], v[159:160]
	v_fma_f64 v[157:158], v[8:9], v[14:15], v[157:158]
	v_fma_f64 v[163:164], v[6:7], v[14:15], -v[16:17]
	ds_load_b128 v[6:9], v1 offset:1264
	s_wait_loadcnt_dscnt 0x801
	v_mul_f64_e32 v[159:160], v[2:3], v[20:21]
	v_mul_f64_e32 v[20:21], v[4:5], v[20:21]
	scratch_load_b128 v[14:17], off, off offset:592
	;; [unrolled: 18-line block ×9, first 2 shown]
	v_add_f64_e32 v[153:154], v[153:154], v[165:166]
	v_add_f64_e32 v[155:156], v[155:156], v[159:160]
	s_wait_loadcnt_dscnt 0x800
	v_mul_f64_e32 v[159:160], v[6:7], v[151:152]
	v_mul_f64_e32 v[151:152], v[8:9], v[151:152]
	v_fma_f64 v[157:158], v[4:5], v[34:35], v[157:158]
	v_fma_f64 v[34:35], v[2:3], v[34:35], -v[36:37]
	ds_load_b128 v[2:5], v1 offset:1504
	v_add_f64_e32 v[36:37], v[153:154], v[163:164]
	v_add_f64_e32 v[153:154], v[155:156], v[161:162]
	v_fma_f64 v[159:160], v[8:9], v[149:150], v[159:160]
	v_fma_f64 v[149:150], v[6:7], v[149:150], -v[151:152]
	ds_load_b128 v[6:9], v1 offset:1520
	s_wait_loadcnt_dscnt 0x701
	v_mul_f64_e32 v[155:156], v[2:3], v[40:41]
	v_mul_f64_e32 v[40:41], v[4:5], v[40:41]
	v_add_f64_e32 v[34:35], v[36:37], v[34:35]
	v_add_f64_e32 v[36:37], v[153:154], v[157:158]
	s_delay_alu instid0(VALU_DEP_4) | instskip(NEXT) | instid1(VALU_DEP_4)
	v_fma_f64 v[153:154], v[4:5], v[38:39], v[155:156]
	v_fma_f64 v[38:39], v[2:3], v[38:39], -v[40:41]
	ds_load_b128 v[2:5], v1 offset:1536
	v_add_f64_e32 v[40:41], v[34:35], v[149:150]
	v_add_f64_e32 v[149:150], v[36:37], v[159:160]
	scratch_load_b128 v[34:37], off, off offset:208
	s_wait_loadcnt_dscnt 0x701
	v_mul_f64_e32 v[151:152], v[6:7], v[147:148]
	v_mul_f64_e32 v[147:148], v[8:9], v[147:148]
	v_add_f64_e32 v[38:39], v[40:41], v[38:39]
	v_add_f64_e32 v[40:41], v[149:150], v[153:154]
	s_delay_alu instid0(VALU_DEP_4) | instskip(NEXT) | instid1(VALU_DEP_4)
	v_fma_f64 v[151:152], v[8:9], v[145:146], v[151:152]
	v_fma_f64 v[145:146], v[6:7], v[145:146], -v[147:148]
	ds_load_b128 v[6:9], v1 offset:1552
	s_wait_loadcnt_dscnt 0x601
	v_mul_f64_e32 v[155:156], v[2:3], v[12:13]
	v_mul_f64_e32 v[12:13], v[4:5], v[12:13]
	s_wait_loadcnt_dscnt 0x500
	v_mul_f64_e32 v[147:148], v[6:7], v[16:17]
	v_mul_f64_e32 v[16:17], v[8:9], v[16:17]
	s_delay_alu instid0(VALU_DEP_4) | instskip(NEXT) | instid1(VALU_DEP_4)
	v_fma_f64 v[149:150], v[4:5], v[10:11], v[155:156]
	v_fma_f64 v[10:11], v[2:3], v[10:11], -v[12:13]
	v_add_f64_e32 v[12:13], v[38:39], v[145:146]
	v_add_f64_e32 v[38:39], v[40:41], v[151:152]
	ds_load_b128 v[2:5], v1 offset:1568
	v_fma_f64 v[145:146], v[8:9], v[14:15], v[147:148]
	v_fma_f64 v[14:15], v[6:7], v[14:15], -v[16:17]
	ds_load_b128 v[6:9], v1 offset:1584
	s_wait_loadcnt_dscnt 0x401
	v_mul_f64_e32 v[40:41], v[2:3], v[20:21]
	v_mul_f64_e32 v[20:21], v[4:5], v[20:21]
	v_add_f64_e32 v[10:11], v[12:13], v[10:11]
	v_add_f64_e32 v[12:13], v[38:39], v[149:150]
	s_wait_loadcnt_dscnt 0x300
	v_mul_f64_e32 v[16:17], v[6:7], v[24:25]
	v_mul_f64_e32 v[24:25], v[8:9], v[24:25]
	v_fma_f64 v[38:39], v[4:5], v[18:19], v[40:41]
	v_fma_f64 v[18:19], v[2:3], v[18:19], -v[20:21]
	ds_load_b128 v[2:5], v1 offset:1600
	v_add_f64_e32 v[10:11], v[10:11], v[14:15]
	v_add_f64_e32 v[12:13], v[12:13], v[145:146]
	v_fma_f64 v[16:17], v[8:9], v[22:23], v[16:17]
	v_fma_f64 v[22:23], v[6:7], v[22:23], -v[24:25]
	ds_load_b128 v[6:9], v1 offset:1616
	s_wait_loadcnt_dscnt 0x201
	v_mul_f64_e32 v[14:15], v[2:3], v[28:29]
	v_mul_f64_e32 v[20:21], v[4:5], v[28:29]
	s_wait_loadcnt_dscnt 0x100
	v_mul_f64_e32 v[24:25], v[8:9], v[32:33]
	v_add_f64_e32 v[10:11], v[10:11], v[18:19]
	v_add_f64_e32 v[12:13], v[12:13], v[38:39]
	v_mul_f64_e32 v[18:19], v[6:7], v[32:33]
	v_fma_f64 v[4:5], v[4:5], v[26:27], v[14:15]
	v_fma_f64 v[1:2], v[2:3], v[26:27], -v[20:21]
	v_fma_f64 v[6:7], v[6:7], v[30:31], -v[24:25]
	v_add_f64_e32 v[10:11], v[10:11], v[22:23]
	v_add_f64_e32 v[12:13], v[12:13], v[16:17]
	v_fma_f64 v[8:9], v[8:9], v[30:31], v[18:19]
	s_delay_alu instid0(VALU_DEP_3) | instskip(NEXT) | instid1(VALU_DEP_3)
	v_add_f64_e32 v[1:2], v[10:11], v[1:2]
	v_add_f64_e32 v[3:4], v[12:13], v[4:5]
	s_delay_alu instid0(VALU_DEP_2) | instskip(NEXT) | instid1(VALU_DEP_2)
	v_add_f64_e32 v[1:2], v[1:2], v[6:7]
	v_add_f64_e32 v[3:4], v[3:4], v[8:9]
	s_wait_loadcnt 0x0
	s_delay_alu instid0(VALU_DEP_2) | instskip(NEXT) | instid1(VALU_DEP_2)
	v_add_f64_e64 v[1:2], v[34:35], -v[1:2]
	v_add_f64_e64 v[3:4], v[36:37], -v[3:4]
	scratch_store_b128 off, v[1:4], off offset:208
	v_cmpx_lt_u32_e32 11, v0
	s_cbranch_execz .LBB50_297
; %bb.296:
	scratch_load_b128 v[1:4], off, s53
	v_mov_b32_e32 v5, 0
	s_delay_alu instid0(VALU_DEP_1)
	v_dual_mov_b32 v6, v5 :: v_dual_mov_b32 v7, v5
	v_mov_b32_e32 v8, v5
	scratch_store_b128 off, v[5:8], off offset:192
	s_wait_loadcnt 0x0
	ds_store_b128 v144, v[1:4]
.LBB50_297:
	s_wait_alu 0xfffe
	s_or_b32 exec_lo, exec_lo, s0
	s_wait_storecnt_dscnt 0x0
	s_barrier_signal -1
	s_barrier_wait -1
	global_inv scope:SCOPE_SE
	s_clause 0x7
	scratch_load_b128 v[2:5], off, off offset:208
	scratch_load_b128 v[6:9], off, off offset:224
	;; [unrolled: 1-line block ×8, first 2 shown]
	v_mov_b32_e32 v1, 0
	s_clause 0x1
	scratch_load_b128 v[34:37], off, off offset:336
	scratch_load_b128 v[149:152], off, off offset:352
	s_mov_b32 s0, exec_lo
	ds_load_b128 v[38:41], v1 offset:1008
	ds_load_b128 v[145:148], v1 offset:1024
	s_wait_loadcnt_dscnt 0x901
	v_mul_f64_e32 v[153:154], v[40:41], v[4:5]
	v_mul_f64_e32 v[4:5], v[38:39], v[4:5]
	s_wait_loadcnt_dscnt 0x800
	v_mul_f64_e32 v[155:156], v[145:146], v[8:9]
	v_mul_f64_e32 v[8:9], v[147:148], v[8:9]
	s_delay_alu instid0(VALU_DEP_4) | instskip(NEXT) | instid1(VALU_DEP_4)
	v_fma_f64 v[153:154], v[38:39], v[2:3], -v[153:154]
	v_fma_f64 v[157:158], v[40:41], v[2:3], v[4:5]
	ds_load_b128 v[2:5], v1 offset:1040
	scratch_load_b128 v[38:41], off, off offset:368
	v_fma_f64 v[155:156], v[147:148], v[6:7], v[155:156]
	v_fma_f64 v[161:162], v[145:146], v[6:7], -v[8:9]
	ds_load_b128 v[6:9], v1 offset:1056
	scratch_load_b128 v[145:148], off, off offset:384
	s_wait_loadcnt_dscnt 0x901
	v_mul_f64_e32 v[159:160], v[2:3], v[12:13]
	v_mul_f64_e32 v[12:13], v[4:5], v[12:13]
	s_wait_loadcnt_dscnt 0x800
	v_mul_f64_e32 v[163:164], v[6:7], v[16:17]
	v_mul_f64_e32 v[16:17], v[8:9], v[16:17]
	v_add_f64_e32 v[153:154], 0, v[153:154]
	v_add_f64_e32 v[157:158], 0, v[157:158]
	v_fma_f64 v[159:160], v[4:5], v[10:11], v[159:160]
	v_fma_f64 v[165:166], v[2:3], v[10:11], -v[12:13]
	ds_load_b128 v[2:5], v1 offset:1072
	scratch_load_b128 v[10:13], off, off offset:400
	v_add_f64_e32 v[153:154], v[153:154], v[161:162]
	v_add_f64_e32 v[155:156], v[157:158], v[155:156]
	v_fma_f64 v[161:162], v[8:9], v[14:15], v[163:164]
	v_fma_f64 v[163:164], v[6:7], v[14:15], -v[16:17]
	ds_load_b128 v[6:9], v1 offset:1088
	scratch_load_b128 v[14:17], off, off offset:416
	s_wait_loadcnt_dscnt 0x901
	v_mul_f64_e32 v[157:158], v[2:3], v[20:21]
	v_mul_f64_e32 v[20:21], v[4:5], v[20:21]
	v_add_f64_e32 v[153:154], v[153:154], v[165:166]
	v_add_f64_e32 v[155:156], v[155:156], v[159:160]
	s_wait_loadcnt_dscnt 0x800
	v_mul_f64_e32 v[159:160], v[6:7], v[24:25]
	v_mul_f64_e32 v[24:25], v[8:9], v[24:25]
	v_fma_f64 v[157:158], v[4:5], v[18:19], v[157:158]
	v_fma_f64 v[165:166], v[2:3], v[18:19], -v[20:21]
	ds_load_b128 v[2:5], v1 offset:1104
	scratch_load_b128 v[18:21], off, off offset:432
	v_add_f64_e32 v[153:154], v[153:154], v[163:164]
	v_add_f64_e32 v[155:156], v[155:156], v[161:162]
	v_fma_f64 v[159:160], v[8:9], v[22:23], v[159:160]
	v_fma_f64 v[163:164], v[6:7], v[22:23], -v[24:25]
	ds_load_b128 v[6:9], v1 offset:1120
	s_wait_loadcnt_dscnt 0x801
	v_mul_f64_e32 v[161:162], v[2:3], v[28:29]
	v_mul_f64_e32 v[28:29], v[4:5], v[28:29]
	scratch_load_b128 v[22:25], off, off offset:448
	v_add_f64_e32 v[153:154], v[153:154], v[165:166]
	v_add_f64_e32 v[155:156], v[155:156], v[157:158]
	s_wait_loadcnt_dscnt 0x800
	v_mul_f64_e32 v[157:158], v[6:7], v[32:33]
	v_mul_f64_e32 v[32:33], v[8:9], v[32:33]
	v_fma_f64 v[161:162], v[4:5], v[26:27], v[161:162]
	v_fma_f64 v[165:166], v[2:3], v[26:27], -v[28:29]
	ds_load_b128 v[2:5], v1 offset:1136
	scratch_load_b128 v[26:29], off, off offset:464
	v_add_f64_e32 v[153:154], v[153:154], v[163:164]
	v_add_f64_e32 v[155:156], v[155:156], v[159:160]
	v_fma_f64 v[157:158], v[8:9], v[30:31], v[157:158]
	v_fma_f64 v[163:164], v[6:7], v[30:31], -v[32:33]
	ds_load_b128 v[6:9], v1 offset:1152
	s_wait_loadcnt_dscnt 0x801
	v_mul_f64_e32 v[159:160], v[2:3], v[36:37]
	v_mul_f64_e32 v[36:37], v[4:5], v[36:37]
	scratch_load_b128 v[30:33], off, off offset:480
	v_add_f64_e32 v[153:154], v[153:154], v[165:166]
	v_add_f64_e32 v[155:156], v[155:156], v[161:162]
	s_wait_loadcnt_dscnt 0x800
	v_mul_f64_e32 v[161:162], v[6:7], v[151:152]
	v_mul_f64_e32 v[151:152], v[8:9], v[151:152]
	v_fma_f64 v[159:160], v[4:5], v[34:35], v[159:160]
	v_fma_f64 v[165:166], v[2:3], v[34:35], -v[36:37]
	ds_load_b128 v[2:5], v1 offset:1168
	scratch_load_b128 v[34:37], off, off offset:496
	v_add_f64_e32 v[153:154], v[153:154], v[163:164]
	v_add_f64_e32 v[155:156], v[155:156], v[157:158]
	v_fma_f64 v[161:162], v[8:9], v[149:150], v[161:162]
	v_fma_f64 v[163:164], v[6:7], v[149:150], -v[151:152]
	ds_load_b128 v[6:9], v1 offset:1184
	scratch_load_b128 v[149:152], off, off offset:512
	s_wait_loadcnt_dscnt 0x901
	v_mul_f64_e32 v[157:158], v[2:3], v[40:41]
	v_mul_f64_e32 v[40:41], v[4:5], v[40:41]
	v_add_f64_e32 v[153:154], v[153:154], v[165:166]
	v_add_f64_e32 v[155:156], v[155:156], v[159:160]
	s_wait_loadcnt_dscnt 0x800
	v_mul_f64_e32 v[159:160], v[6:7], v[147:148]
	v_mul_f64_e32 v[147:148], v[8:9], v[147:148]
	v_fma_f64 v[157:158], v[4:5], v[38:39], v[157:158]
	v_fma_f64 v[165:166], v[2:3], v[38:39], -v[40:41]
	ds_load_b128 v[2:5], v1 offset:1200
	scratch_load_b128 v[38:41], off, off offset:528
	v_add_f64_e32 v[153:154], v[153:154], v[163:164]
	v_add_f64_e32 v[155:156], v[155:156], v[161:162]
	v_fma_f64 v[159:160], v[8:9], v[145:146], v[159:160]
	v_fma_f64 v[163:164], v[6:7], v[145:146], -v[147:148]
	ds_load_b128 v[6:9], v1 offset:1216
	s_wait_loadcnt_dscnt 0x801
	v_mul_f64_e32 v[161:162], v[2:3], v[12:13]
	v_mul_f64_e32 v[12:13], v[4:5], v[12:13]
	scratch_load_b128 v[145:148], off, off offset:544
	v_add_f64_e32 v[153:154], v[153:154], v[165:166]
	v_add_f64_e32 v[155:156], v[155:156], v[157:158]
	s_wait_loadcnt_dscnt 0x800
	v_mul_f64_e32 v[157:158], v[6:7], v[16:17]
	v_mul_f64_e32 v[16:17], v[8:9], v[16:17]
	v_fma_f64 v[161:162], v[4:5], v[10:11], v[161:162]
	v_fma_f64 v[165:166], v[2:3], v[10:11], -v[12:13]
	ds_load_b128 v[2:5], v1 offset:1232
	scratch_load_b128 v[10:13], off, off offset:560
	v_add_f64_e32 v[153:154], v[153:154], v[163:164]
	v_add_f64_e32 v[155:156], v[155:156], v[159:160]
	v_fma_f64 v[157:158], v[8:9], v[14:15], v[157:158]
	v_fma_f64 v[163:164], v[6:7], v[14:15], -v[16:17]
	ds_load_b128 v[6:9], v1 offset:1248
	s_wait_loadcnt_dscnt 0x801
	v_mul_f64_e32 v[159:160], v[2:3], v[20:21]
	v_mul_f64_e32 v[20:21], v[4:5], v[20:21]
	scratch_load_b128 v[14:17], off, off offset:576
	;; [unrolled: 18-line block ×9, first 2 shown]
	v_add_f64_e32 v[153:154], v[153:154], v[165:166]
	v_add_f64_e32 v[155:156], v[155:156], v[159:160]
	s_wait_loadcnt_dscnt 0x800
	v_mul_f64_e32 v[159:160], v[6:7], v[151:152]
	v_mul_f64_e32 v[151:152], v[8:9], v[151:152]
	v_fma_f64 v[157:158], v[4:5], v[34:35], v[157:158]
	v_fma_f64 v[165:166], v[2:3], v[34:35], -v[36:37]
	ds_load_b128 v[2:5], v1 offset:1488
	scratch_load_b128 v[34:37], off, off offset:816
	v_add_f64_e32 v[153:154], v[153:154], v[163:164]
	v_add_f64_e32 v[155:156], v[155:156], v[161:162]
	v_fma_f64 v[159:160], v[8:9], v[149:150], v[159:160]
	v_fma_f64 v[149:150], v[6:7], v[149:150], -v[151:152]
	ds_load_b128 v[6:9], v1 offset:1504
	s_wait_loadcnt_dscnt 0x801
	v_mul_f64_e32 v[161:162], v[2:3], v[40:41]
	v_mul_f64_e32 v[40:41], v[4:5], v[40:41]
	v_add_f64_e32 v[151:152], v[153:154], v[165:166]
	v_add_f64_e32 v[153:154], v[155:156], v[157:158]
	s_wait_loadcnt_dscnt 0x700
	v_mul_f64_e32 v[155:156], v[6:7], v[147:148]
	v_mul_f64_e32 v[147:148], v[8:9], v[147:148]
	v_fma_f64 v[157:158], v[4:5], v[38:39], v[161:162]
	v_fma_f64 v[38:39], v[2:3], v[38:39], -v[40:41]
	ds_load_b128 v[2:5], v1 offset:1520
	v_add_f64_e32 v[40:41], v[151:152], v[149:150]
	v_add_f64_e32 v[149:150], v[153:154], v[159:160]
	v_fma_f64 v[153:154], v[8:9], v[145:146], v[155:156]
	v_fma_f64 v[145:146], v[6:7], v[145:146], -v[147:148]
	ds_load_b128 v[6:9], v1 offset:1536
	s_wait_loadcnt_dscnt 0x500
	v_mul_f64_e32 v[155:156], v[6:7], v[16:17]
	v_mul_f64_e32 v[16:17], v[8:9], v[16:17]
	v_add_f64_e32 v[147:148], v[40:41], v[38:39]
	v_add_f64_e32 v[149:150], v[149:150], v[157:158]
	scratch_load_b128 v[38:41], off, off offset:192
	v_mul_f64_e32 v[151:152], v[2:3], v[12:13]
	v_mul_f64_e32 v[12:13], v[4:5], v[12:13]
	s_delay_alu instid0(VALU_DEP_2) | instskip(NEXT) | instid1(VALU_DEP_2)
	v_fma_f64 v[151:152], v[4:5], v[10:11], v[151:152]
	v_fma_f64 v[10:11], v[2:3], v[10:11], -v[12:13]
	v_add_f64_e32 v[12:13], v[147:148], v[145:146]
	v_add_f64_e32 v[145:146], v[149:150], v[153:154]
	ds_load_b128 v[2:5], v1 offset:1552
	v_fma_f64 v[149:150], v[8:9], v[14:15], v[155:156]
	v_fma_f64 v[14:15], v[6:7], v[14:15], -v[16:17]
	ds_load_b128 v[6:9], v1 offset:1568
	s_wait_loadcnt_dscnt 0x501
	v_mul_f64_e32 v[147:148], v[2:3], v[20:21]
	v_mul_f64_e32 v[20:21], v[4:5], v[20:21]
	s_wait_loadcnt_dscnt 0x400
	v_mul_f64_e32 v[16:17], v[6:7], v[24:25]
	v_mul_f64_e32 v[24:25], v[8:9], v[24:25]
	v_add_f64_e32 v[10:11], v[12:13], v[10:11]
	v_add_f64_e32 v[12:13], v[145:146], v[151:152]
	v_fma_f64 v[145:146], v[4:5], v[18:19], v[147:148]
	v_fma_f64 v[18:19], v[2:3], v[18:19], -v[20:21]
	ds_load_b128 v[2:5], v1 offset:1584
	v_fma_f64 v[16:17], v[8:9], v[22:23], v[16:17]
	v_fma_f64 v[22:23], v[6:7], v[22:23], -v[24:25]
	ds_load_b128 v[6:9], v1 offset:1600
	v_add_f64_e32 v[10:11], v[10:11], v[14:15]
	v_add_f64_e32 v[12:13], v[12:13], v[149:150]
	s_wait_loadcnt_dscnt 0x301
	v_mul_f64_e32 v[14:15], v[2:3], v[28:29]
	v_mul_f64_e32 v[20:21], v[4:5], v[28:29]
	s_wait_loadcnt_dscnt 0x200
	v_mul_f64_e32 v[24:25], v[8:9], v[32:33]
	v_add_f64_e32 v[10:11], v[10:11], v[18:19]
	v_add_f64_e32 v[12:13], v[12:13], v[145:146]
	v_mul_f64_e32 v[18:19], v[6:7], v[32:33]
	v_fma_f64 v[14:15], v[4:5], v[26:27], v[14:15]
	v_fma_f64 v[20:21], v[2:3], v[26:27], -v[20:21]
	ds_load_b128 v[2:5], v1 offset:1616
	v_fma_f64 v[6:7], v[6:7], v[30:31], -v[24:25]
	v_add_f64_e32 v[10:11], v[10:11], v[22:23]
	v_add_f64_e32 v[12:13], v[12:13], v[16:17]
	s_wait_loadcnt_dscnt 0x100
	v_mul_f64_e32 v[16:17], v[2:3], v[36:37]
	v_mul_f64_e32 v[22:23], v[4:5], v[36:37]
	v_fma_f64 v[8:9], v[8:9], v[30:31], v[18:19]
	v_add_f64_e32 v[10:11], v[10:11], v[20:21]
	v_add_f64_e32 v[12:13], v[12:13], v[14:15]
	v_fma_f64 v[4:5], v[4:5], v[34:35], v[16:17]
	v_fma_f64 v[2:3], v[2:3], v[34:35], -v[22:23]
	s_delay_alu instid0(VALU_DEP_4) | instskip(NEXT) | instid1(VALU_DEP_4)
	v_add_f64_e32 v[6:7], v[10:11], v[6:7]
	v_add_f64_e32 v[8:9], v[12:13], v[8:9]
	s_delay_alu instid0(VALU_DEP_2) | instskip(NEXT) | instid1(VALU_DEP_2)
	v_add_f64_e32 v[2:3], v[6:7], v[2:3]
	v_add_f64_e32 v[4:5], v[8:9], v[4:5]
	s_wait_loadcnt 0x0
	s_delay_alu instid0(VALU_DEP_2) | instskip(NEXT) | instid1(VALU_DEP_2)
	v_add_f64_e64 v[2:3], v[38:39], -v[2:3]
	v_add_f64_e64 v[4:5], v[40:41], -v[4:5]
	scratch_store_b128 off, v[2:5], off offset:192
	v_cmpx_lt_u32_e32 10, v0
	s_cbranch_execz .LBB50_299
; %bb.298:
	scratch_load_b128 v[5:8], off, s54
	v_dual_mov_b32 v2, v1 :: v_dual_mov_b32 v3, v1
	v_mov_b32_e32 v4, v1
	scratch_store_b128 off, v[1:4], off offset:176
	s_wait_loadcnt 0x0
	ds_store_b128 v144, v[5:8]
.LBB50_299:
	s_wait_alu 0xfffe
	s_or_b32 exec_lo, exec_lo, s0
	s_wait_storecnt_dscnt 0x0
	s_barrier_signal -1
	s_barrier_wait -1
	global_inv scope:SCOPE_SE
	s_clause 0x7
	scratch_load_b128 v[2:5], off, off offset:192
	scratch_load_b128 v[6:9], off, off offset:208
	;; [unrolled: 1-line block ×8, first 2 shown]
	ds_load_b128 v[38:41], v1 offset:992
	ds_load_b128 v[145:148], v1 offset:1008
	s_clause 0x1
	scratch_load_b128 v[34:37], off, off offset:320
	scratch_load_b128 v[149:152], off, off offset:336
	s_mov_b32 s0, exec_lo
	s_wait_loadcnt_dscnt 0x901
	v_mul_f64_e32 v[153:154], v[40:41], v[4:5]
	v_mul_f64_e32 v[4:5], v[38:39], v[4:5]
	s_wait_loadcnt_dscnt 0x800
	v_mul_f64_e32 v[155:156], v[145:146], v[8:9]
	v_mul_f64_e32 v[8:9], v[147:148], v[8:9]
	s_delay_alu instid0(VALU_DEP_4) | instskip(NEXT) | instid1(VALU_DEP_4)
	v_fma_f64 v[153:154], v[38:39], v[2:3], -v[153:154]
	v_fma_f64 v[157:158], v[40:41], v[2:3], v[4:5]
	ds_load_b128 v[2:5], v1 offset:1024
	scratch_load_b128 v[38:41], off, off offset:352
	v_fma_f64 v[155:156], v[147:148], v[6:7], v[155:156]
	v_fma_f64 v[161:162], v[145:146], v[6:7], -v[8:9]
	ds_load_b128 v[6:9], v1 offset:1040
	scratch_load_b128 v[145:148], off, off offset:368
	s_wait_loadcnt_dscnt 0x901
	v_mul_f64_e32 v[159:160], v[2:3], v[12:13]
	v_mul_f64_e32 v[12:13], v[4:5], v[12:13]
	s_wait_loadcnt_dscnt 0x800
	v_mul_f64_e32 v[163:164], v[6:7], v[16:17]
	v_mul_f64_e32 v[16:17], v[8:9], v[16:17]
	v_add_f64_e32 v[153:154], 0, v[153:154]
	v_add_f64_e32 v[157:158], 0, v[157:158]
	v_fma_f64 v[159:160], v[4:5], v[10:11], v[159:160]
	v_fma_f64 v[165:166], v[2:3], v[10:11], -v[12:13]
	ds_load_b128 v[2:5], v1 offset:1056
	scratch_load_b128 v[10:13], off, off offset:384
	v_add_f64_e32 v[153:154], v[153:154], v[161:162]
	v_add_f64_e32 v[155:156], v[157:158], v[155:156]
	v_fma_f64 v[161:162], v[8:9], v[14:15], v[163:164]
	v_fma_f64 v[163:164], v[6:7], v[14:15], -v[16:17]
	ds_load_b128 v[6:9], v1 offset:1072
	scratch_load_b128 v[14:17], off, off offset:400
	s_wait_loadcnt_dscnt 0x901
	v_mul_f64_e32 v[157:158], v[2:3], v[20:21]
	v_mul_f64_e32 v[20:21], v[4:5], v[20:21]
	v_add_f64_e32 v[153:154], v[153:154], v[165:166]
	v_add_f64_e32 v[155:156], v[155:156], v[159:160]
	s_wait_loadcnt_dscnt 0x800
	v_mul_f64_e32 v[159:160], v[6:7], v[24:25]
	v_mul_f64_e32 v[24:25], v[8:9], v[24:25]
	v_fma_f64 v[157:158], v[4:5], v[18:19], v[157:158]
	v_fma_f64 v[165:166], v[2:3], v[18:19], -v[20:21]
	ds_load_b128 v[2:5], v1 offset:1088
	scratch_load_b128 v[18:21], off, off offset:416
	v_add_f64_e32 v[153:154], v[153:154], v[163:164]
	v_add_f64_e32 v[155:156], v[155:156], v[161:162]
	v_fma_f64 v[159:160], v[8:9], v[22:23], v[159:160]
	v_fma_f64 v[163:164], v[6:7], v[22:23], -v[24:25]
	ds_load_b128 v[6:9], v1 offset:1104
	s_wait_loadcnt_dscnt 0x801
	v_mul_f64_e32 v[161:162], v[2:3], v[28:29]
	v_mul_f64_e32 v[28:29], v[4:5], v[28:29]
	scratch_load_b128 v[22:25], off, off offset:432
	v_add_f64_e32 v[153:154], v[153:154], v[165:166]
	v_add_f64_e32 v[155:156], v[155:156], v[157:158]
	s_wait_loadcnt_dscnt 0x800
	v_mul_f64_e32 v[157:158], v[6:7], v[32:33]
	v_mul_f64_e32 v[32:33], v[8:9], v[32:33]
	v_fma_f64 v[161:162], v[4:5], v[26:27], v[161:162]
	v_fma_f64 v[165:166], v[2:3], v[26:27], -v[28:29]
	ds_load_b128 v[2:5], v1 offset:1120
	scratch_load_b128 v[26:29], off, off offset:448
	v_add_f64_e32 v[153:154], v[153:154], v[163:164]
	v_add_f64_e32 v[155:156], v[155:156], v[159:160]
	v_fma_f64 v[157:158], v[8:9], v[30:31], v[157:158]
	v_fma_f64 v[163:164], v[6:7], v[30:31], -v[32:33]
	ds_load_b128 v[6:9], v1 offset:1136
	s_wait_loadcnt_dscnt 0x801
	v_mul_f64_e32 v[159:160], v[2:3], v[36:37]
	v_mul_f64_e32 v[36:37], v[4:5], v[36:37]
	scratch_load_b128 v[30:33], off, off offset:464
	v_add_f64_e32 v[153:154], v[153:154], v[165:166]
	v_add_f64_e32 v[155:156], v[155:156], v[161:162]
	s_wait_loadcnt_dscnt 0x800
	v_mul_f64_e32 v[161:162], v[6:7], v[151:152]
	v_mul_f64_e32 v[151:152], v[8:9], v[151:152]
	v_fma_f64 v[159:160], v[4:5], v[34:35], v[159:160]
	v_fma_f64 v[165:166], v[2:3], v[34:35], -v[36:37]
	ds_load_b128 v[2:5], v1 offset:1152
	scratch_load_b128 v[34:37], off, off offset:480
	v_add_f64_e32 v[153:154], v[153:154], v[163:164]
	v_add_f64_e32 v[155:156], v[155:156], v[157:158]
	v_fma_f64 v[161:162], v[8:9], v[149:150], v[161:162]
	v_fma_f64 v[163:164], v[6:7], v[149:150], -v[151:152]
	ds_load_b128 v[6:9], v1 offset:1168
	scratch_load_b128 v[149:152], off, off offset:496
	s_wait_loadcnt_dscnt 0x901
	v_mul_f64_e32 v[157:158], v[2:3], v[40:41]
	v_mul_f64_e32 v[40:41], v[4:5], v[40:41]
	v_add_f64_e32 v[153:154], v[153:154], v[165:166]
	v_add_f64_e32 v[155:156], v[155:156], v[159:160]
	s_wait_loadcnt_dscnt 0x800
	v_mul_f64_e32 v[159:160], v[6:7], v[147:148]
	v_mul_f64_e32 v[147:148], v[8:9], v[147:148]
	v_fma_f64 v[157:158], v[4:5], v[38:39], v[157:158]
	v_fma_f64 v[165:166], v[2:3], v[38:39], -v[40:41]
	ds_load_b128 v[2:5], v1 offset:1184
	scratch_load_b128 v[38:41], off, off offset:512
	v_add_f64_e32 v[153:154], v[153:154], v[163:164]
	v_add_f64_e32 v[155:156], v[155:156], v[161:162]
	v_fma_f64 v[159:160], v[8:9], v[145:146], v[159:160]
	v_fma_f64 v[163:164], v[6:7], v[145:146], -v[147:148]
	ds_load_b128 v[6:9], v1 offset:1200
	s_wait_loadcnt_dscnt 0x801
	v_mul_f64_e32 v[161:162], v[2:3], v[12:13]
	v_mul_f64_e32 v[12:13], v[4:5], v[12:13]
	scratch_load_b128 v[145:148], off, off offset:528
	v_add_f64_e32 v[153:154], v[153:154], v[165:166]
	v_add_f64_e32 v[155:156], v[155:156], v[157:158]
	s_wait_loadcnt_dscnt 0x800
	v_mul_f64_e32 v[157:158], v[6:7], v[16:17]
	v_mul_f64_e32 v[16:17], v[8:9], v[16:17]
	v_fma_f64 v[161:162], v[4:5], v[10:11], v[161:162]
	v_fma_f64 v[165:166], v[2:3], v[10:11], -v[12:13]
	scratch_load_b128 v[10:13], off, off offset:544
	ds_load_b128 v[2:5], v1 offset:1216
	v_add_f64_e32 v[153:154], v[153:154], v[163:164]
	v_add_f64_e32 v[155:156], v[155:156], v[159:160]
	v_fma_f64 v[157:158], v[8:9], v[14:15], v[157:158]
	v_fma_f64 v[163:164], v[6:7], v[14:15], -v[16:17]
	ds_load_b128 v[6:9], v1 offset:1232
	s_wait_loadcnt_dscnt 0x801
	v_mul_f64_e32 v[159:160], v[2:3], v[20:21]
	v_mul_f64_e32 v[20:21], v[4:5], v[20:21]
	scratch_load_b128 v[14:17], off, off offset:560
	v_add_f64_e32 v[153:154], v[153:154], v[165:166]
	v_add_f64_e32 v[155:156], v[155:156], v[161:162]
	s_wait_loadcnt_dscnt 0x800
	v_mul_f64_e32 v[161:162], v[6:7], v[24:25]
	v_mul_f64_e32 v[24:25], v[8:9], v[24:25]
	v_fma_f64 v[159:160], v[4:5], v[18:19], v[159:160]
	v_fma_f64 v[165:166], v[2:3], v[18:19], -v[20:21]
	ds_load_b128 v[2:5], v1 offset:1248
	scratch_load_b128 v[18:21], off, off offset:576
	v_add_f64_e32 v[153:154], v[153:154], v[163:164]
	v_add_f64_e32 v[155:156], v[155:156], v[157:158]
	v_fma_f64 v[161:162], v[8:9], v[22:23], v[161:162]
	v_fma_f64 v[163:164], v[6:7], v[22:23], -v[24:25]
	ds_load_b128 v[6:9], v1 offset:1264
	s_wait_loadcnt_dscnt 0x801
	v_mul_f64_e32 v[157:158], v[2:3], v[28:29]
	v_mul_f64_e32 v[28:29], v[4:5], v[28:29]
	scratch_load_b128 v[22:25], off, off offset:592
	v_add_f64_e32 v[153:154], v[153:154], v[165:166]
	v_add_f64_e32 v[155:156], v[155:156], v[159:160]
	s_wait_loadcnt_dscnt 0x800
	v_mul_f64_e32 v[159:160], v[6:7], v[32:33]
	v_mul_f64_e32 v[32:33], v[8:9], v[32:33]
	v_fma_f64 v[157:158], v[4:5], v[26:27], v[157:158]
	v_fma_f64 v[165:166], v[2:3], v[26:27], -v[28:29]
	ds_load_b128 v[2:5], v1 offset:1280
	scratch_load_b128 v[26:29], off, off offset:608
	;; [unrolled: 18-line block ×4, first 2 shown]
	v_add_f64_e32 v[153:154], v[153:154], v[163:164]
	v_add_f64_e32 v[155:156], v[155:156], v[157:158]
	v_fma_f64 v[161:162], v[8:9], v[145:146], v[161:162]
	v_fma_f64 v[163:164], v[6:7], v[145:146], -v[147:148]
	ds_load_b128 v[6:9], v1 offset:1360
	s_wait_loadcnt_dscnt 0x801
	v_mul_f64_e32 v[157:158], v[2:3], v[12:13]
	v_mul_f64_e32 v[12:13], v[4:5], v[12:13]
	scratch_load_b128 v[145:148], off, off offset:688
	v_add_f64_e32 v[153:154], v[153:154], v[165:166]
	v_add_f64_e32 v[155:156], v[155:156], v[159:160]
	s_wait_loadcnt_dscnt 0x800
	v_mul_f64_e32 v[159:160], v[6:7], v[16:17]
	v_mul_f64_e32 v[16:17], v[8:9], v[16:17]
	v_fma_f64 v[157:158], v[4:5], v[10:11], v[157:158]
	v_fma_f64 v[165:166], v[2:3], v[10:11], -v[12:13]
	scratch_load_b128 v[10:13], off, off offset:704
	ds_load_b128 v[2:5], v1 offset:1376
	v_add_f64_e32 v[153:154], v[153:154], v[163:164]
	v_add_f64_e32 v[155:156], v[155:156], v[161:162]
	v_fma_f64 v[159:160], v[8:9], v[14:15], v[159:160]
	v_fma_f64 v[163:164], v[6:7], v[14:15], -v[16:17]
	ds_load_b128 v[6:9], v1 offset:1392
	s_wait_loadcnt_dscnt 0x801
	v_mul_f64_e32 v[161:162], v[2:3], v[20:21]
	v_mul_f64_e32 v[20:21], v[4:5], v[20:21]
	scratch_load_b128 v[14:17], off, off offset:720
	v_add_f64_e32 v[153:154], v[153:154], v[165:166]
	v_add_f64_e32 v[155:156], v[155:156], v[157:158]
	s_wait_loadcnt_dscnt 0x800
	v_mul_f64_e32 v[157:158], v[6:7], v[24:25]
	v_mul_f64_e32 v[24:25], v[8:9], v[24:25]
	v_fma_f64 v[161:162], v[4:5], v[18:19], v[161:162]
	v_fma_f64 v[165:166], v[2:3], v[18:19], -v[20:21]
	ds_load_b128 v[2:5], v1 offset:1408
	scratch_load_b128 v[18:21], off, off offset:736
	v_add_f64_e32 v[153:154], v[153:154], v[163:164]
	v_add_f64_e32 v[155:156], v[155:156], v[159:160]
	v_fma_f64 v[157:158], v[8:9], v[22:23], v[157:158]
	v_fma_f64 v[163:164], v[6:7], v[22:23], -v[24:25]
	ds_load_b128 v[6:9], v1 offset:1424
	s_wait_loadcnt_dscnt 0x801
	v_mul_f64_e32 v[159:160], v[2:3], v[28:29]
	v_mul_f64_e32 v[28:29], v[4:5], v[28:29]
	scratch_load_b128 v[22:25], off, off offset:752
	v_add_f64_e32 v[153:154], v[153:154], v[165:166]
	v_add_f64_e32 v[155:156], v[155:156], v[161:162]
	s_wait_loadcnt_dscnt 0x800
	v_mul_f64_e32 v[161:162], v[6:7], v[32:33]
	v_mul_f64_e32 v[32:33], v[8:9], v[32:33]
	v_fma_f64 v[159:160], v[4:5], v[26:27], v[159:160]
	v_fma_f64 v[165:166], v[2:3], v[26:27], -v[28:29]
	ds_load_b128 v[2:5], v1 offset:1440
	scratch_load_b128 v[26:29], off, off offset:768
	;; [unrolled: 18-line block ×3, first 2 shown]
	v_add_f64_e32 v[153:154], v[153:154], v[163:164]
	v_add_f64_e32 v[155:156], v[155:156], v[161:162]
	v_fma_f64 v[159:160], v[8:9], v[149:150], v[159:160]
	v_fma_f64 v[163:164], v[6:7], v[149:150], -v[151:152]
	ds_load_b128 v[6:9], v1 offset:1488
	s_wait_loadcnt_dscnt 0x801
	v_mul_f64_e32 v[161:162], v[2:3], v[40:41]
	v_mul_f64_e32 v[40:41], v[4:5], v[40:41]
	scratch_load_b128 v[149:152], off, off offset:816
	v_add_f64_e32 v[153:154], v[153:154], v[165:166]
	v_add_f64_e32 v[155:156], v[155:156], v[157:158]
	v_fma_f64 v[161:162], v[4:5], v[38:39], v[161:162]
	v_fma_f64 v[38:39], v[2:3], v[38:39], -v[40:41]
	ds_load_b128 v[2:5], v1 offset:1504
	v_add_f64_e32 v[40:41], v[153:154], v[163:164]
	v_add_f64_e32 v[153:154], v[155:156], v[159:160]
	s_wait_loadcnt_dscnt 0x700
	v_mul_f64_e32 v[155:156], v[2:3], v[12:13]
	v_mul_f64_e32 v[12:13], v[4:5], v[12:13]
	s_delay_alu instid0(VALU_DEP_4) | instskip(NEXT) | instid1(VALU_DEP_4)
	v_add_f64_e32 v[38:39], v[40:41], v[38:39]
	v_add_f64_e32 v[40:41], v[153:154], v[161:162]
	s_delay_alu instid0(VALU_DEP_4) | instskip(NEXT) | instid1(VALU_DEP_4)
	v_fma_f64 v[153:154], v[4:5], v[10:11], v[155:156]
	v_fma_f64 v[155:156], v[2:3], v[10:11], -v[12:13]
	scratch_load_b128 v[10:13], off, off offset:176
	v_mul_f64_e32 v[157:158], v[6:7], v[147:148]
	v_mul_f64_e32 v[147:148], v[8:9], v[147:148]
	ds_load_b128 v[2:5], v1 offset:1536
	v_fma_f64 v[157:158], v[8:9], v[145:146], v[157:158]
	v_fma_f64 v[145:146], v[6:7], v[145:146], -v[147:148]
	ds_load_b128 v[6:9], v1 offset:1520
	s_wait_loadcnt_dscnt 0x700
	v_mul_f64_e32 v[147:148], v[6:7], v[16:17]
	v_mul_f64_e32 v[16:17], v[8:9], v[16:17]
	v_add_f64_e32 v[40:41], v[40:41], v[157:158]
	v_add_f64_e32 v[38:39], v[38:39], v[145:146]
	s_wait_loadcnt 0x6
	v_mul_f64_e32 v[145:146], v[2:3], v[20:21]
	v_mul_f64_e32 v[20:21], v[4:5], v[20:21]
	v_fma_f64 v[147:148], v[8:9], v[14:15], v[147:148]
	v_fma_f64 v[14:15], v[6:7], v[14:15], -v[16:17]
	ds_load_b128 v[6:9], v1 offset:1552
	v_add_f64_e32 v[16:17], v[38:39], v[155:156]
	v_add_f64_e32 v[38:39], v[40:41], v[153:154]
	v_fma_f64 v[145:146], v[4:5], v[18:19], v[145:146]
	v_fma_f64 v[18:19], v[2:3], v[18:19], -v[20:21]
	ds_load_b128 v[2:5], v1 offset:1568
	s_wait_loadcnt_dscnt 0x501
	v_mul_f64_e32 v[40:41], v[6:7], v[24:25]
	v_mul_f64_e32 v[24:25], v[8:9], v[24:25]
	s_wait_loadcnt_dscnt 0x400
	v_mul_f64_e32 v[20:21], v[2:3], v[28:29]
	v_mul_f64_e32 v[28:29], v[4:5], v[28:29]
	v_add_f64_e32 v[14:15], v[16:17], v[14:15]
	v_add_f64_e32 v[16:17], v[38:39], v[147:148]
	v_fma_f64 v[38:39], v[8:9], v[22:23], v[40:41]
	v_fma_f64 v[22:23], v[6:7], v[22:23], -v[24:25]
	ds_load_b128 v[6:9], v1 offset:1584
	v_fma_f64 v[20:21], v[4:5], v[26:27], v[20:21]
	v_fma_f64 v[26:27], v[2:3], v[26:27], -v[28:29]
	ds_load_b128 v[2:5], v1 offset:1600
	s_wait_loadcnt_dscnt 0x301
	v_mul_f64_e32 v[24:25], v[8:9], v[32:33]
	v_add_f64_e32 v[14:15], v[14:15], v[18:19]
	v_add_f64_e32 v[16:17], v[16:17], v[145:146]
	v_mul_f64_e32 v[18:19], v[6:7], v[32:33]
	s_wait_loadcnt_dscnt 0x200
	v_mul_f64_e32 v[28:29], v[4:5], v[36:37]
	v_fma_f64 v[24:25], v[6:7], v[30:31], -v[24:25]
	v_add_f64_e32 v[14:15], v[14:15], v[22:23]
	v_add_f64_e32 v[16:17], v[16:17], v[38:39]
	v_mul_f64_e32 v[22:23], v[2:3], v[36:37]
	v_fma_f64 v[18:19], v[8:9], v[30:31], v[18:19]
	ds_load_b128 v[6:9], v1 offset:1616
	v_fma_f64 v[1:2], v[2:3], v[34:35], -v[28:29]
	v_add_f64_e32 v[14:15], v[14:15], v[26:27]
	v_add_f64_e32 v[16:17], v[16:17], v[20:21]
	s_wait_loadcnt_dscnt 0x100
	v_mul_f64_e32 v[20:21], v[6:7], v[151:152]
	v_mul_f64_e32 v[26:27], v[8:9], v[151:152]
	v_fma_f64 v[4:5], v[4:5], v[34:35], v[22:23]
	v_add_f64_e32 v[14:15], v[14:15], v[24:25]
	v_add_f64_e32 v[16:17], v[16:17], v[18:19]
	v_fma_f64 v[8:9], v[8:9], v[149:150], v[20:21]
	v_fma_f64 v[6:7], v[6:7], v[149:150], -v[26:27]
	s_delay_alu instid0(VALU_DEP_4) | instskip(NEXT) | instid1(VALU_DEP_4)
	v_add_f64_e32 v[1:2], v[14:15], v[1:2]
	v_add_f64_e32 v[3:4], v[16:17], v[4:5]
	s_delay_alu instid0(VALU_DEP_2) | instskip(NEXT) | instid1(VALU_DEP_2)
	v_add_f64_e32 v[1:2], v[1:2], v[6:7]
	v_add_f64_e32 v[3:4], v[3:4], v[8:9]
	s_wait_loadcnt 0x0
	s_delay_alu instid0(VALU_DEP_2) | instskip(NEXT) | instid1(VALU_DEP_2)
	v_add_f64_e64 v[1:2], v[10:11], -v[1:2]
	v_add_f64_e64 v[3:4], v[12:13], -v[3:4]
	scratch_store_b128 off, v[1:4], off offset:176
	v_cmpx_lt_u32_e32 9, v0
	s_cbranch_execz .LBB50_301
; %bb.300:
	scratch_load_b128 v[1:4], off, s55
	v_mov_b32_e32 v5, 0
	s_delay_alu instid0(VALU_DEP_1)
	v_dual_mov_b32 v6, v5 :: v_dual_mov_b32 v7, v5
	v_mov_b32_e32 v8, v5
	scratch_store_b128 off, v[5:8], off offset:160
	s_wait_loadcnt 0x0
	ds_store_b128 v144, v[1:4]
.LBB50_301:
	s_wait_alu 0xfffe
	s_or_b32 exec_lo, exec_lo, s0
	s_wait_storecnt_dscnt 0x0
	s_barrier_signal -1
	s_barrier_wait -1
	global_inv scope:SCOPE_SE
	s_clause 0x7
	scratch_load_b128 v[2:5], off, off offset:176
	scratch_load_b128 v[6:9], off, off offset:192
	;; [unrolled: 1-line block ×8, first 2 shown]
	v_mov_b32_e32 v1, 0
	s_clause 0x1
	scratch_load_b128 v[34:37], off, off offset:304
	scratch_load_b128 v[149:152], off, off offset:320
	s_mov_b32 s0, exec_lo
	ds_load_b128 v[38:41], v1 offset:976
	ds_load_b128 v[145:148], v1 offset:992
	s_wait_loadcnt_dscnt 0x901
	v_mul_f64_e32 v[153:154], v[40:41], v[4:5]
	v_mul_f64_e32 v[4:5], v[38:39], v[4:5]
	s_wait_loadcnt_dscnt 0x800
	v_mul_f64_e32 v[155:156], v[145:146], v[8:9]
	v_mul_f64_e32 v[8:9], v[147:148], v[8:9]
	s_delay_alu instid0(VALU_DEP_4) | instskip(NEXT) | instid1(VALU_DEP_4)
	v_fma_f64 v[153:154], v[38:39], v[2:3], -v[153:154]
	v_fma_f64 v[157:158], v[40:41], v[2:3], v[4:5]
	ds_load_b128 v[2:5], v1 offset:1008
	scratch_load_b128 v[38:41], off, off offset:336
	v_fma_f64 v[155:156], v[147:148], v[6:7], v[155:156]
	v_fma_f64 v[161:162], v[145:146], v[6:7], -v[8:9]
	ds_load_b128 v[6:9], v1 offset:1024
	scratch_load_b128 v[145:148], off, off offset:352
	s_wait_loadcnt_dscnt 0x901
	v_mul_f64_e32 v[159:160], v[2:3], v[12:13]
	v_mul_f64_e32 v[12:13], v[4:5], v[12:13]
	s_wait_loadcnt_dscnt 0x800
	v_mul_f64_e32 v[163:164], v[6:7], v[16:17]
	v_mul_f64_e32 v[16:17], v[8:9], v[16:17]
	v_add_f64_e32 v[153:154], 0, v[153:154]
	v_add_f64_e32 v[157:158], 0, v[157:158]
	v_fma_f64 v[159:160], v[4:5], v[10:11], v[159:160]
	v_fma_f64 v[165:166], v[2:3], v[10:11], -v[12:13]
	ds_load_b128 v[2:5], v1 offset:1040
	scratch_load_b128 v[10:13], off, off offset:368
	v_add_f64_e32 v[153:154], v[153:154], v[161:162]
	v_add_f64_e32 v[155:156], v[157:158], v[155:156]
	v_fma_f64 v[161:162], v[8:9], v[14:15], v[163:164]
	v_fma_f64 v[163:164], v[6:7], v[14:15], -v[16:17]
	ds_load_b128 v[6:9], v1 offset:1056
	scratch_load_b128 v[14:17], off, off offset:384
	s_wait_loadcnt_dscnt 0x901
	v_mul_f64_e32 v[157:158], v[2:3], v[20:21]
	v_mul_f64_e32 v[20:21], v[4:5], v[20:21]
	v_add_f64_e32 v[153:154], v[153:154], v[165:166]
	v_add_f64_e32 v[155:156], v[155:156], v[159:160]
	s_wait_loadcnt_dscnt 0x800
	v_mul_f64_e32 v[159:160], v[6:7], v[24:25]
	v_mul_f64_e32 v[24:25], v[8:9], v[24:25]
	v_fma_f64 v[157:158], v[4:5], v[18:19], v[157:158]
	v_fma_f64 v[165:166], v[2:3], v[18:19], -v[20:21]
	ds_load_b128 v[2:5], v1 offset:1072
	scratch_load_b128 v[18:21], off, off offset:400
	v_add_f64_e32 v[153:154], v[153:154], v[163:164]
	v_add_f64_e32 v[155:156], v[155:156], v[161:162]
	v_fma_f64 v[159:160], v[8:9], v[22:23], v[159:160]
	v_fma_f64 v[163:164], v[6:7], v[22:23], -v[24:25]
	ds_load_b128 v[6:9], v1 offset:1088
	s_wait_loadcnt_dscnt 0x801
	v_mul_f64_e32 v[161:162], v[2:3], v[28:29]
	v_mul_f64_e32 v[28:29], v[4:5], v[28:29]
	scratch_load_b128 v[22:25], off, off offset:416
	v_add_f64_e32 v[153:154], v[153:154], v[165:166]
	v_add_f64_e32 v[155:156], v[155:156], v[157:158]
	s_wait_loadcnt_dscnt 0x800
	v_mul_f64_e32 v[157:158], v[6:7], v[32:33]
	v_mul_f64_e32 v[32:33], v[8:9], v[32:33]
	v_fma_f64 v[161:162], v[4:5], v[26:27], v[161:162]
	v_fma_f64 v[165:166], v[2:3], v[26:27], -v[28:29]
	ds_load_b128 v[2:5], v1 offset:1104
	scratch_load_b128 v[26:29], off, off offset:432
	v_add_f64_e32 v[153:154], v[153:154], v[163:164]
	v_add_f64_e32 v[155:156], v[155:156], v[159:160]
	v_fma_f64 v[157:158], v[8:9], v[30:31], v[157:158]
	v_fma_f64 v[163:164], v[6:7], v[30:31], -v[32:33]
	ds_load_b128 v[6:9], v1 offset:1120
	s_wait_loadcnt_dscnt 0x801
	v_mul_f64_e32 v[159:160], v[2:3], v[36:37]
	v_mul_f64_e32 v[36:37], v[4:5], v[36:37]
	scratch_load_b128 v[30:33], off, off offset:448
	v_add_f64_e32 v[153:154], v[153:154], v[165:166]
	v_add_f64_e32 v[155:156], v[155:156], v[161:162]
	s_wait_loadcnt_dscnt 0x800
	v_mul_f64_e32 v[161:162], v[6:7], v[151:152]
	v_mul_f64_e32 v[151:152], v[8:9], v[151:152]
	v_fma_f64 v[159:160], v[4:5], v[34:35], v[159:160]
	v_fma_f64 v[165:166], v[2:3], v[34:35], -v[36:37]
	ds_load_b128 v[2:5], v1 offset:1136
	scratch_load_b128 v[34:37], off, off offset:464
	v_add_f64_e32 v[153:154], v[153:154], v[163:164]
	v_add_f64_e32 v[155:156], v[155:156], v[157:158]
	v_fma_f64 v[161:162], v[8:9], v[149:150], v[161:162]
	v_fma_f64 v[163:164], v[6:7], v[149:150], -v[151:152]
	ds_load_b128 v[6:9], v1 offset:1152
	scratch_load_b128 v[149:152], off, off offset:480
	s_wait_loadcnt_dscnt 0x901
	v_mul_f64_e32 v[157:158], v[2:3], v[40:41]
	v_mul_f64_e32 v[40:41], v[4:5], v[40:41]
	v_add_f64_e32 v[153:154], v[153:154], v[165:166]
	v_add_f64_e32 v[155:156], v[155:156], v[159:160]
	s_wait_loadcnt_dscnt 0x800
	v_mul_f64_e32 v[159:160], v[6:7], v[147:148]
	v_mul_f64_e32 v[147:148], v[8:9], v[147:148]
	v_fma_f64 v[157:158], v[4:5], v[38:39], v[157:158]
	v_fma_f64 v[165:166], v[2:3], v[38:39], -v[40:41]
	ds_load_b128 v[2:5], v1 offset:1168
	scratch_load_b128 v[38:41], off, off offset:496
	v_add_f64_e32 v[153:154], v[153:154], v[163:164]
	v_add_f64_e32 v[155:156], v[155:156], v[161:162]
	v_fma_f64 v[159:160], v[8:9], v[145:146], v[159:160]
	v_fma_f64 v[163:164], v[6:7], v[145:146], -v[147:148]
	ds_load_b128 v[6:9], v1 offset:1184
	s_wait_loadcnt_dscnt 0x801
	v_mul_f64_e32 v[161:162], v[2:3], v[12:13]
	v_mul_f64_e32 v[12:13], v[4:5], v[12:13]
	scratch_load_b128 v[145:148], off, off offset:512
	v_add_f64_e32 v[153:154], v[153:154], v[165:166]
	v_add_f64_e32 v[155:156], v[155:156], v[157:158]
	s_wait_loadcnt_dscnt 0x800
	v_mul_f64_e32 v[157:158], v[6:7], v[16:17]
	v_mul_f64_e32 v[16:17], v[8:9], v[16:17]
	v_fma_f64 v[161:162], v[4:5], v[10:11], v[161:162]
	v_fma_f64 v[165:166], v[2:3], v[10:11], -v[12:13]
	ds_load_b128 v[2:5], v1 offset:1200
	scratch_load_b128 v[10:13], off, off offset:528
	v_add_f64_e32 v[153:154], v[153:154], v[163:164]
	v_add_f64_e32 v[155:156], v[155:156], v[159:160]
	v_fma_f64 v[157:158], v[8:9], v[14:15], v[157:158]
	v_fma_f64 v[163:164], v[6:7], v[14:15], -v[16:17]
	ds_load_b128 v[6:9], v1 offset:1216
	s_wait_loadcnt_dscnt 0x801
	v_mul_f64_e32 v[159:160], v[2:3], v[20:21]
	v_mul_f64_e32 v[20:21], v[4:5], v[20:21]
	scratch_load_b128 v[14:17], off, off offset:544
	;; [unrolled: 18-line block ×10, first 2 shown]
	v_add_f64_e32 v[153:154], v[153:154], v[165:166]
	v_add_f64_e32 v[155:156], v[155:156], v[157:158]
	s_wait_loadcnt_dscnt 0x800
	v_mul_f64_e32 v[157:158], v[6:7], v[147:148]
	v_mul_f64_e32 v[147:148], v[8:9], v[147:148]
	v_fma_f64 v[161:162], v[4:5], v[38:39], v[161:162]
	v_fma_f64 v[165:166], v[2:3], v[38:39], -v[40:41]
	ds_load_b128 v[2:5], v1 offset:1488
	scratch_load_b128 v[38:41], off, off offset:816
	v_add_f64_e32 v[153:154], v[153:154], v[163:164]
	v_add_f64_e32 v[155:156], v[155:156], v[159:160]
	v_fma_f64 v[157:158], v[8:9], v[145:146], v[157:158]
	v_fma_f64 v[145:146], v[6:7], v[145:146], -v[147:148]
	ds_load_b128 v[6:9], v1 offset:1504
	s_wait_loadcnt_dscnt 0x801
	v_mul_f64_e32 v[159:160], v[2:3], v[12:13]
	v_mul_f64_e32 v[12:13], v[4:5], v[12:13]
	v_add_f64_e32 v[147:148], v[153:154], v[165:166]
	v_add_f64_e32 v[153:154], v[155:156], v[161:162]
	s_wait_loadcnt_dscnt 0x700
	v_mul_f64_e32 v[155:156], v[6:7], v[16:17]
	v_mul_f64_e32 v[16:17], v[8:9], v[16:17]
	v_fma_f64 v[159:160], v[4:5], v[10:11], v[159:160]
	v_fma_f64 v[10:11], v[2:3], v[10:11], -v[12:13]
	ds_load_b128 v[2:5], v1 offset:1520
	v_add_f64_e32 v[12:13], v[147:148], v[145:146]
	v_add_f64_e32 v[145:146], v[153:154], v[157:158]
	v_fma_f64 v[153:154], v[8:9], v[14:15], v[155:156]
	v_fma_f64 v[14:15], v[6:7], v[14:15], -v[16:17]
	ds_load_b128 v[6:9], v1 offset:1536
	s_wait_loadcnt_dscnt 0x500
	v_mul_f64_e32 v[155:156], v[6:7], v[24:25]
	v_mul_f64_e32 v[24:25], v[8:9], v[24:25]
	v_add_f64_e32 v[16:17], v[12:13], v[10:11]
	v_add_f64_e32 v[145:146], v[145:146], v[159:160]
	scratch_load_b128 v[10:13], off, off offset:160
	v_mul_f64_e32 v[147:148], v[2:3], v[20:21]
	v_mul_f64_e32 v[20:21], v[4:5], v[20:21]
	v_add_f64_e32 v[14:15], v[16:17], v[14:15]
	v_add_f64_e32 v[16:17], v[145:146], v[153:154]
	v_fma_f64 v[145:146], v[8:9], v[22:23], v[155:156]
	v_fma_f64 v[147:148], v[4:5], v[18:19], v[147:148]
	v_fma_f64 v[18:19], v[2:3], v[18:19], -v[20:21]
	ds_load_b128 v[2:5], v1 offset:1552
	v_fma_f64 v[22:23], v[6:7], v[22:23], -v[24:25]
	ds_load_b128 v[6:9], v1 offset:1568
	s_wait_loadcnt_dscnt 0x501
	v_mul_f64_e32 v[20:21], v[2:3], v[28:29]
	v_mul_f64_e32 v[28:29], v[4:5], v[28:29]
	s_wait_loadcnt_dscnt 0x400
	v_mul_f64_e32 v[24:25], v[8:9], v[32:33]
	v_add_f64_e32 v[16:17], v[16:17], v[147:148]
	v_add_f64_e32 v[14:15], v[14:15], v[18:19]
	v_mul_f64_e32 v[18:19], v[6:7], v[32:33]
	v_fma_f64 v[20:21], v[4:5], v[26:27], v[20:21]
	v_fma_f64 v[26:27], v[2:3], v[26:27], -v[28:29]
	ds_load_b128 v[2:5], v1 offset:1584
	v_fma_f64 v[24:25], v[6:7], v[30:31], -v[24:25]
	v_add_f64_e32 v[16:17], v[16:17], v[145:146]
	v_add_f64_e32 v[14:15], v[14:15], v[22:23]
	v_fma_f64 v[18:19], v[8:9], v[30:31], v[18:19]
	ds_load_b128 v[6:9], v1 offset:1600
	s_wait_loadcnt_dscnt 0x301
	v_mul_f64_e32 v[22:23], v[2:3], v[36:37]
	v_mul_f64_e32 v[28:29], v[4:5], v[36:37]
	v_add_f64_e32 v[16:17], v[16:17], v[20:21]
	v_add_f64_e32 v[14:15], v[14:15], v[26:27]
	s_wait_loadcnt_dscnt 0x200
	v_mul_f64_e32 v[20:21], v[6:7], v[151:152]
	v_mul_f64_e32 v[26:27], v[8:9], v[151:152]
	v_fma_f64 v[22:23], v[4:5], v[34:35], v[22:23]
	v_fma_f64 v[28:29], v[2:3], v[34:35], -v[28:29]
	ds_load_b128 v[2:5], v1 offset:1616
	v_add_f64_e32 v[16:17], v[16:17], v[18:19]
	v_add_f64_e32 v[14:15], v[14:15], v[24:25]
	s_wait_loadcnt_dscnt 0x100
	v_mul_f64_e32 v[18:19], v[2:3], v[40:41]
	v_mul_f64_e32 v[24:25], v[4:5], v[40:41]
	v_fma_f64 v[8:9], v[8:9], v[149:150], v[20:21]
	v_fma_f64 v[6:7], v[6:7], v[149:150], -v[26:27]
	v_add_f64_e32 v[16:17], v[16:17], v[22:23]
	v_add_f64_e32 v[14:15], v[14:15], v[28:29]
	v_fma_f64 v[4:5], v[4:5], v[38:39], v[18:19]
	v_fma_f64 v[2:3], v[2:3], v[38:39], -v[24:25]
	s_delay_alu instid0(VALU_DEP_4) | instskip(NEXT) | instid1(VALU_DEP_4)
	v_add_f64_e32 v[8:9], v[16:17], v[8:9]
	v_add_f64_e32 v[6:7], v[14:15], v[6:7]
	s_delay_alu instid0(VALU_DEP_2) | instskip(NEXT) | instid1(VALU_DEP_2)
	v_add_f64_e32 v[4:5], v[8:9], v[4:5]
	v_add_f64_e32 v[2:3], v[6:7], v[2:3]
	s_wait_loadcnt 0x0
	s_delay_alu instid0(VALU_DEP_2) | instskip(NEXT) | instid1(VALU_DEP_2)
	v_add_f64_e64 v[4:5], v[12:13], -v[4:5]
	v_add_f64_e64 v[2:3], v[10:11], -v[2:3]
	scratch_store_b128 off, v[2:5], off offset:160
	v_cmpx_lt_u32_e32 8, v0
	s_cbranch_execz .LBB50_303
; %bb.302:
	scratch_load_b128 v[5:8], off, s56
	v_dual_mov_b32 v2, v1 :: v_dual_mov_b32 v3, v1
	v_mov_b32_e32 v4, v1
	scratch_store_b128 off, v[1:4], off offset:144
	s_wait_loadcnt 0x0
	ds_store_b128 v144, v[5:8]
.LBB50_303:
	s_wait_alu 0xfffe
	s_or_b32 exec_lo, exec_lo, s0
	s_wait_storecnt_dscnt 0x0
	s_barrier_signal -1
	s_barrier_wait -1
	global_inv scope:SCOPE_SE
	s_clause 0x7
	scratch_load_b128 v[2:5], off, off offset:160
	scratch_load_b128 v[6:9], off, off offset:176
	;; [unrolled: 1-line block ×8, first 2 shown]
	ds_load_b128 v[38:41], v1 offset:960
	ds_load_b128 v[145:148], v1 offset:976
	s_clause 0x1
	scratch_load_b128 v[34:37], off, off offset:288
	scratch_load_b128 v[149:152], off, off offset:304
	s_mov_b32 s0, exec_lo
	s_wait_loadcnt_dscnt 0x901
	v_mul_f64_e32 v[153:154], v[40:41], v[4:5]
	v_mul_f64_e32 v[4:5], v[38:39], v[4:5]
	s_wait_loadcnt_dscnt 0x800
	v_mul_f64_e32 v[155:156], v[145:146], v[8:9]
	v_mul_f64_e32 v[8:9], v[147:148], v[8:9]
	s_delay_alu instid0(VALU_DEP_4) | instskip(NEXT) | instid1(VALU_DEP_4)
	v_fma_f64 v[153:154], v[38:39], v[2:3], -v[153:154]
	v_fma_f64 v[157:158], v[40:41], v[2:3], v[4:5]
	ds_load_b128 v[2:5], v1 offset:992
	scratch_load_b128 v[38:41], off, off offset:320
	v_fma_f64 v[155:156], v[147:148], v[6:7], v[155:156]
	v_fma_f64 v[161:162], v[145:146], v[6:7], -v[8:9]
	ds_load_b128 v[6:9], v1 offset:1008
	scratch_load_b128 v[145:148], off, off offset:336
	s_wait_loadcnt_dscnt 0x901
	v_mul_f64_e32 v[159:160], v[2:3], v[12:13]
	v_mul_f64_e32 v[12:13], v[4:5], v[12:13]
	s_wait_loadcnt_dscnt 0x800
	v_mul_f64_e32 v[163:164], v[6:7], v[16:17]
	v_mul_f64_e32 v[16:17], v[8:9], v[16:17]
	v_add_f64_e32 v[153:154], 0, v[153:154]
	v_add_f64_e32 v[157:158], 0, v[157:158]
	v_fma_f64 v[159:160], v[4:5], v[10:11], v[159:160]
	v_fma_f64 v[165:166], v[2:3], v[10:11], -v[12:13]
	ds_load_b128 v[2:5], v1 offset:1024
	scratch_load_b128 v[10:13], off, off offset:352
	v_add_f64_e32 v[153:154], v[153:154], v[161:162]
	v_add_f64_e32 v[155:156], v[157:158], v[155:156]
	v_fma_f64 v[161:162], v[8:9], v[14:15], v[163:164]
	v_fma_f64 v[163:164], v[6:7], v[14:15], -v[16:17]
	ds_load_b128 v[6:9], v1 offset:1040
	scratch_load_b128 v[14:17], off, off offset:368
	s_wait_loadcnt_dscnt 0x901
	v_mul_f64_e32 v[157:158], v[2:3], v[20:21]
	v_mul_f64_e32 v[20:21], v[4:5], v[20:21]
	v_add_f64_e32 v[153:154], v[153:154], v[165:166]
	v_add_f64_e32 v[155:156], v[155:156], v[159:160]
	s_wait_loadcnt_dscnt 0x800
	v_mul_f64_e32 v[159:160], v[6:7], v[24:25]
	v_mul_f64_e32 v[24:25], v[8:9], v[24:25]
	v_fma_f64 v[157:158], v[4:5], v[18:19], v[157:158]
	v_fma_f64 v[165:166], v[2:3], v[18:19], -v[20:21]
	ds_load_b128 v[2:5], v1 offset:1056
	scratch_load_b128 v[18:21], off, off offset:384
	v_add_f64_e32 v[153:154], v[153:154], v[163:164]
	v_add_f64_e32 v[155:156], v[155:156], v[161:162]
	v_fma_f64 v[159:160], v[8:9], v[22:23], v[159:160]
	v_fma_f64 v[163:164], v[6:7], v[22:23], -v[24:25]
	ds_load_b128 v[6:9], v1 offset:1072
	s_wait_loadcnt_dscnt 0x801
	v_mul_f64_e32 v[161:162], v[2:3], v[28:29]
	v_mul_f64_e32 v[28:29], v[4:5], v[28:29]
	scratch_load_b128 v[22:25], off, off offset:400
	v_add_f64_e32 v[153:154], v[153:154], v[165:166]
	v_add_f64_e32 v[155:156], v[155:156], v[157:158]
	s_wait_loadcnt_dscnt 0x800
	v_mul_f64_e32 v[157:158], v[6:7], v[32:33]
	v_mul_f64_e32 v[32:33], v[8:9], v[32:33]
	v_fma_f64 v[161:162], v[4:5], v[26:27], v[161:162]
	v_fma_f64 v[165:166], v[2:3], v[26:27], -v[28:29]
	ds_load_b128 v[2:5], v1 offset:1088
	scratch_load_b128 v[26:29], off, off offset:416
	v_add_f64_e32 v[153:154], v[153:154], v[163:164]
	v_add_f64_e32 v[155:156], v[155:156], v[159:160]
	v_fma_f64 v[157:158], v[8:9], v[30:31], v[157:158]
	v_fma_f64 v[163:164], v[6:7], v[30:31], -v[32:33]
	ds_load_b128 v[6:9], v1 offset:1104
	s_wait_loadcnt_dscnt 0x801
	v_mul_f64_e32 v[159:160], v[2:3], v[36:37]
	v_mul_f64_e32 v[36:37], v[4:5], v[36:37]
	scratch_load_b128 v[30:33], off, off offset:432
	v_add_f64_e32 v[153:154], v[153:154], v[165:166]
	v_add_f64_e32 v[155:156], v[155:156], v[161:162]
	s_wait_loadcnt_dscnt 0x800
	v_mul_f64_e32 v[161:162], v[6:7], v[151:152]
	v_mul_f64_e32 v[151:152], v[8:9], v[151:152]
	v_fma_f64 v[159:160], v[4:5], v[34:35], v[159:160]
	v_fma_f64 v[165:166], v[2:3], v[34:35], -v[36:37]
	ds_load_b128 v[2:5], v1 offset:1120
	scratch_load_b128 v[34:37], off, off offset:448
	v_add_f64_e32 v[153:154], v[153:154], v[163:164]
	v_add_f64_e32 v[155:156], v[155:156], v[157:158]
	v_fma_f64 v[161:162], v[8:9], v[149:150], v[161:162]
	v_fma_f64 v[163:164], v[6:7], v[149:150], -v[151:152]
	ds_load_b128 v[6:9], v1 offset:1136
	scratch_load_b128 v[149:152], off, off offset:464
	s_wait_loadcnt_dscnt 0x901
	v_mul_f64_e32 v[157:158], v[2:3], v[40:41]
	v_mul_f64_e32 v[40:41], v[4:5], v[40:41]
	v_add_f64_e32 v[153:154], v[153:154], v[165:166]
	v_add_f64_e32 v[155:156], v[155:156], v[159:160]
	s_wait_loadcnt_dscnt 0x800
	v_mul_f64_e32 v[159:160], v[6:7], v[147:148]
	v_mul_f64_e32 v[147:148], v[8:9], v[147:148]
	v_fma_f64 v[157:158], v[4:5], v[38:39], v[157:158]
	v_fma_f64 v[165:166], v[2:3], v[38:39], -v[40:41]
	ds_load_b128 v[2:5], v1 offset:1152
	scratch_load_b128 v[38:41], off, off offset:480
	v_add_f64_e32 v[153:154], v[153:154], v[163:164]
	v_add_f64_e32 v[155:156], v[155:156], v[161:162]
	v_fma_f64 v[159:160], v[8:9], v[145:146], v[159:160]
	v_fma_f64 v[163:164], v[6:7], v[145:146], -v[147:148]
	ds_load_b128 v[6:9], v1 offset:1168
	s_wait_loadcnt_dscnt 0x801
	v_mul_f64_e32 v[161:162], v[2:3], v[12:13]
	v_mul_f64_e32 v[12:13], v[4:5], v[12:13]
	scratch_load_b128 v[145:148], off, off offset:496
	v_add_f64_e32 v[153:154], v[153:154], v[165:166]
	v_add_f64_e32 v[155:156], v[155:156], v[157:158]
	s_wait_loadcnt_dscnt 0x800
	v_mul_f64_e32 v[157:158], v[6:7], v[16:17]
	v_mul_f64_e32 v[16:17], v[8:9], v[16:17]
	v_fma_f64 v[161:162], v[4:5], v[10:11], v[161:162]
	v_fma_f64 v[165:166], v[2:3], v[10:11], -v[12:13]
	ds_load_b128 v[2:5], v1 offset:1184
	scratch_load_b128 v[10:13], off, off offset:512
	v_add_f64_e32 v[153:154], v[153:154], v[163:164]
	v_add_f64_e32 v[155:156], v[155:156], v[159:160]
	v_fma_f64 v[157:158], v[8:9], v[14:15], v[157:158]
	v_fma_f64 v[163:164], v[6:7], v[14:15], -v[16:17]
	ds_load_b128 v[6:9], v1 offset:1200
	s_wait_loadcnt_dscnt 0x801
	v_mul_f64_e32 v[159:160], v[2:3], v[20:21]
	v_mul_f64_e32 v[20:21], v[4:5], v[20:21]
	scratch_load_b128 v[14:17], off, off offset:528
	;; [unrolled: 18-line block ×11, first 2 shown]
	v_add_f64_e32 v[153:154], v[153:154], v[165:166]
	v_add_f64_e32 v[155:156], v[155:156], v[161:162]
	s_wait_loadcnt_dscnt 0x800
	v_mul_f64_e32 v[161:162], v[6:7], v[16:17]
	v_mul_f64_e32 v[16:17], v[8:9], v[16:17]
	v_fma_f64 v[159:160], v[4:5], v[10:11], v[159:160]
	v_fma_f64 v[10:11], v[2:3], v[10:11], -v[12:13]
	ds_load_b128 v[2:5], v1 offset:1504
	v_add_f64_e32 v[12:13], v[153:154], v[163:164]
	v_add_f64_e32 v[153:154], v[155:156], v[157:158]
	v_fma_f64 v[157:158], v[8:9], v[14:15], v[161:162]
	v_fma_f64 v[14:15], v[6:7], v[14:15], -v[16:17]
	ds_load_b128 v[6:9], v1 offset:1520
	s_wait_loadcnt_dscnt 0x701
	v_mul_f64_e32 v[155:156], v[2:3], v[20:21]
	v_mul_f64_e32 v[20:21], v[4:5], v[20:21]
	v_add_f64_e32 v[10:11], v[12:13], v[10:11]
	v_add_f64_e32 v[12:13], v[153:154], v[159:160]
	s_delay_alu instid0(VALU_DEP_4) | instskip(NEXT) | instid1(VALU_DEP_4)
	v_fma_f64 v[153:154], v[4:5], v[18:19], v[155:156]
	v_fma_f64 v[18:19], v[2:3], v[18:19], -v[20:21]
	ds_load_b128 v[2:5], v1 offset:1536
	v_add_f64_e32 v[14:15], v[10:11], v[14:15]
	v_add_f64_e32 v[20:21], v[12:13], v[157:158]
	scratch_load_b128 v[10:13], off, off offset:144
	s_wait_loadcnt_dscnt 0x701
	v_mul_f64_e32 v[16:17], v[6:7], v[24:25]
	v_mul_f64_e32 v[24:25], v[8:9], v[24:25]
	v_add_f64_e32 v[14:15], v[14:15], v[18:19]
	v_add_f64_e32 v[18:19], v[20:21], v[153:154]
	s_delay_alu instid0(VALU_DEP_4) | instskip(NEXT) | instid1(VALU_DEP_4)
	v_fma_f64 v[16:17], v[8:9], v[22:23], v[16:17]
	v_fma_f64 v[22:23], v[6:7], v[22:23], -v[24:25]
	ds_load_b128 v[6:9], v1 offset:1552
	s_wait_loadcnt_dscnt 0x601
	v_mul_f64_e32 v[155:156], v[2:3], v[28:29]
	v_mul_f64_e32 v[28:29], v[4:5], v[28:29]
	s_wait_loadcnt_dscnt 0x500
	v_mul_f64_e32 v[20:21], v[6:7], v[32:33]
	v_mul_f64_e32 v[24:25], v[8:9], v[32:33]
	v_add_f64_e32 v[16:17], v[18:19], v[16:17]
	v_add_f64_e32 v[14:15], v[14:15], v[22:23]
	v_fma_f64 v[32:33], v[4:5], v[26:27], v[155:156]
	v_fma_f64 v[26:27], v[2:3], v[26:27], -v[28:29]
	ds_load_b128 v[2:5], v1 offset:1568
	v_fma_f64 v[20:21], v[8:9], v[30:31], v[20:21]
	v_fma_f64 v[24:25], v[6:7], v[30:31], -v[24:25]
	ds_load_b128 v[6:9], v1 offset:1584
	s_wait_loadcnt_dscnt 0x401
	v_mul_f64_e32 v[18:19], v[2:3], v[36:37]
	v_mul_f64_e32 v[22:23], v[4:5], v[36:37]
	v_add_f64_e32 v[16:17], v[16:17], v[32:33]
	v_add_f64_e32 v[14:15], v[14:15], v[26:27]
	s_wait_loadcnt_dscnt 0x300
	v_mul_f64_e32 v[26:27], v[6:7], v[151:152]
	v_mul_f64_e32 v[28:29], v[8:9], v[151:152]
	v_fma_f64 v[18:19], v[4:5], v[34:35], v[18:19]
	v_fma_f64 v[22:23], v[2:3], v[34:35], -v[22:23]
	ds_load_b128 v[2:5], v1 offset:1600
	v_add_f64_e32 v[16:17], v[16:17], v[20:21]
	v_add_f64_e32 v[14:15], v[14:15], v[24:25]
	v_fma_f64 v[26:27], v[8:9], v[149:150], v[26:27]
	v_fma_f64 v[28:29], v[6:7], v[149:150], -v[28:29]
	ds_load_b128 v[6:9], v1 offset:1616
	s_wait_loadcnt_dscnt 0x201
	v_mul_f64_e32 v[20:21], v[2:3], v[40:41]
	v_mul_f64_e32 v[24:25], v[4:5], v[40:41]
	v_add_f64_e32 v[16:17], v[16:17], v[18:19]
	v_add_f64_e32 v[14:15], v[14:15], v[22:23]
	s_wait_loadcnt_dscnt 0x100
	v_mul_f64_e32 v[18:19], v[6:7], v[147:148]
	v_mul_f64_e32 v[22:23], v[8:9], v[147:148]
	v_fma_f64 v[4:5], v[4:5], v[38:39], v[20:21]
	v_fma_f64 v[1:2], v[2:3], v[38:39], -v[24:25]
	v_add_f64_e32 v[16:17], v[16:17], v[26:27]
	v_add_f64_e32 v[14:15], v[14:15], v[28:29]
	v_fma_f64 v[8:9], v[8:9], v[145:146], v[18:19]
	v_fma_f64 v[6:7], v[6:7], v[145:146], -v[22:23]
	s_delay_alu instid0(VALU_DEP_4) | instskip(NEXT) | instid1(VALU_DEP_4)
	v_add_f64_e32 v[3:4], v[16:17], v[4:5]
	v_add_f64_e32 v[1:2], v[14:15], v[1:2]
	s_delay_alu instid0(VALU_DEP_2) | instskip(NEXT) | instid1(VALU_DEP_2)
	v_add_f64_e32 v[3:4], v[3:4], v[8:9]
	v_add_f64_e32 v[1:2], v[1:2], v[6:7]
	s_wait_loadcnt 0x0
	s_delay_alu instid0(VALU_DEP_2) | instskip(NEXT) | instid1(VALU_DEP_2)
	v_add_f64_e64 v[3:4], v[12:13], -v[3:4]
	v_add_f64_e64 v[1:2], v[10:11], -v[1:2]
	scratch_store_b128 off, v[1:4], off offset:144
	v_cmpx_lt_u32_e32 7, v0
	s_cbranch_execz .LBB50_305
; %bb.304:
	scratch_load_b128 v[1:4], off, s57
	v_mov_b32_e32 v5, 0
	s_delay_alu instid0(VALU_DEP_1)
	v_dual_mov_b32 v6, v5 :: v_dual_mov_b32 v7, v5
	v_mov_b32_e32 v8, v5
	scratch_store_b128 off, v[5:8], off offset:128
	s_wait_loadcnt 0x0
	ds_store_b128 v144, v[1:4]
.LBB50_305:
	s_wait_alu 0xfffe
	s_or_b32 exec_lo, exec_lo, s0
	s_wait_storecnt_dscnt 0x0
	s_barrier_signal -1
	s_barrier_wait -1
	global_inv scope:SCOPE_SE
	s_clause 0x7
	scratch_load_b128 v[2:5], off, off offset:144
	scratch_load_b128 v[6:9], off, off offset:160
	;; [unrolled: 1-line block ×8, first 2 shown]
	v_mov_b32_e32 v1, 0
	s_clause 0x1
	scratch_load_b128 v[34:37], off, off offset:272
	scratch_load_b128 v[149:152], off, off offset:288
	s_mov_b32 s0, exec_lo
	ds_load_b128 v[38:41], v1 offset:944
	ds_load_b128 v[145:148], v1 offset:960
	s_wait_loadcnt_dscnt 0x901
	v_mul_f64_e32 v[153:154], v[40:41], v[4:5]
	v_mul_f64_e32 v[4:5], v[38:39], v[4:5]
	s_wait_loadcnt_dscnt 0x800
	v_mul_f64_e32 v[155:156], v[145:146], v[8:9]
	v_mul_f64_e32 v[8:9], v[147:148], v[8:9]
	s_delay_alu instid0(VALU_DEP_4) | instskip(NEXT) | instid1(VALU_DEP_4)
	v_fma_f64 v[153:154], v[38:39], v[2:3], -v[153:154]
	v_fma_f64 v[157:158], v[40:41], v[2:3], v[4:5]
	ds_load_b128 v[2:5], v1 offset:976
	scratch_load_b128 v[38:41], off, off offset:304
	v_fma_f64 v[155:156], v[147:148], v[6:7], v[155:156]
	v_fma_f64 v[161:162], v[145:146], v[6:7], -v[8:9]
	ds_load_b128 v[6:9], v1 offset:992
	scratch_load_b128 v[145:148], off, off offset:320
	s_wait_loadcnt_dscnt 0x901
	v_mul_f64_e32 v[159:160], v[2:3], v[12:13]
	v_mul_f64_e32 v[12:13], v[4:5], v[12:13]
	s_wait_loadcnt_dscnt 0x800
	v_mul_f64_e32 v[163:164], v[6:7], v[16:17]
	v_mul_f64_e32 v[16:17], v[8:9], v[16:17]
	v_add_f64_e32 v[153:154], 0, v[153:154]
	v_add_f64_e32 v[157:158], 0, v[157:158]
	v_fma_f64 v[159:160], v[4:5], v[10:11], v[159:160]
	v_fma_f64 v[165:166], v[2:3], v[10:11], -v[12:13]
	ds_load_b128 v[2:5], v1 offset:1008
	scratch_load_b128 v[10:13], off, off offset:336
	v_add_f64_e32 v[153:154], v[153:154], v[161:162]
	v_add_f64_e32 v[155:156], v[157:158], v[155:156]
	v_fma_f64 v[161:162], v[8:9], v[14:15], v[163:164]
	v_fma_f64 v[163:164], v[6:7], v[14:15], -v[16:17]
	ds_load_b128 v[6:9], v1 offset:1024
	scratch_load_b128 v[14:17], off, off offset:352
	s_wait_loadcnt_dscnt 0x901
	v_mul_f64_e32 v[157:158], v[2:3], v[20:21]
	v_mul_f64_e32 v[20:21], v[4:5], v[20:21]
	v_add_f64_e32 v[153:154], v[153:154], v[165:166]
	v_add_f64_e32 v[155:156], v[155:156], v[159:160]
	s_wait_loadcnt_dscnt 0x800
	v_mul_f64_e32 v[159:160], v[6:7], v[24:25]
	v_mul_f64_e32 v[24:25], v[8:9], v[24:25]
	v_fma_f64 v[157:158], v[4:5], v[18:19], v[157:158]
	v_fma_f64 v[165:166], v[2:3], v[18:19], -v[20:21]
	ds_load_b128 v[2:5], v1 offset:1040
	scratch_load_b128 v[18:21], off, off offset:368
	v_add_f64_e32 v[153:154], v[153:154], v[163:164]
	v_add_f64_e32 v[155:156], v[155:156], v[161:162]
	v_fma_f64 v[159:160], v[8:9], v[22:23], v[159:160]
	v_fma_f64 v[163:164], v[6:7], v[22:23], -v[24:25]
	ds_load_b128 v[6:9], v1 offset:1056
	s_wait_loadcnt_dscnt 0x801
	v_mul_f64_e32 v[161:162], v[2:3], v[28:29]
	v_mul_f64_e32 v[28:29], v[4:5], v[28:29]
	scratch_load_b128 v[22:25], off, off offset:384
	v_add_f64_e32 v[153:154], v[153:154], v[165:166]
	v_add_f64_e32 v[155:156], v[155:156], v[157:158]
	s_wait_loadcnt_dscnt 0x800
	v_mul_f64_e32 v[157:158], v[6:7], v[32:33]
	v_mul_f64_e32 v[32:33], v[8:9], v[32:33]
	v_fma_f64 v[161:162], v[4:5], v[26:27], v[161:162]
	v_fma_f64 v[165:166], v[2:3], v[26:27], -v[28:29]
	ds_load_b128 v[2:5], v1 offset:1072
	scratch_load_b128 v[26:29], off, off offset:400
	v_add_f64_e32 v[153:154], v[153:154], v[163:164]
	v_add_f64_e32 v[155:156], v[155:156], v[159:160]
	v_fma_f64 v[157:158], v[8:9], v[30:31], v[157:158]
	v_fma_f64 v[163:164], v[6:7], v[30:31], -v[32:33]
	ds_load_b128 v[6:9], v1 offset:1088
	s_wait_loadcnt_dscnt 0x801
	v_mul_f64_e32 v[159:160], v[2:3], v[36:37]
	v_mul_f64_e32 v[36:37], v[4:5], v[36:37]
	scratch_load_b128 v[30:33], off, off offset:416
	v_add_f64_e32 v[153:154], v[153:154], v[165:166]
	v_add_f64_e32 v[155:156], v[155:156], v[161:162]
	s_wait_loadcnt_dscnt 0x800
	v_mul_f64_e32 v[161:162], v[6:7], v[151:152]
	v_mul_f64_e32 v[151:152], v[8:9], v[151:152]
	v_fma_f64 v[159:160], v[4:5], v[34:35], v[159:160]
	v_fma_f64 v[165:166], v[2:3], v[34:35], -v[36:37]
	ds_load_b128 v[2:5], v1 offset:1104
	scratch_load_b128 v[34:37], off, off offset:432
	v_add_f64_e32 v[153:154], v[153:154], v[163:164]
	v_add_f64_e32 v[155:156], v[155:156], v[157:158]
	v_fma_f64 v[161:162], v[8:9], v[149:150], v[161:162]
	v_fma_f64 v[163:164], v[6:7], v[149:150], -v[151:152]
	ds_load_b128 v[6:9], v1 offset:1120
	scratch_load_b128 v[149:152], off, off offset:448
	s_wait_loadcnt_dscnt 0x901
	v_mul_f64_e32 v[157:158], v[2:3], v[40:41]
	v_mul_f64_e32 v[40:41], v[4:5], v[40:41]
	v_add_f64_e32 v[153:154], v[153:154], v[165:166]
	v_add_f64_e32 v[155:156], v[155:156], v[159:160]
	s_wait_loadcnt_dscnt 0x800
	v_mul_f64_e32 v[159:160], v[6:7], v[147:148]
	v_mul_f64_e32 v[147:148], v[8:9], v[147:148]
	v_fma_f64 v[157:158], v[4:5], v[38:39], v[157:158]
	v_fma_f64 v[165:166], v[2:3], v[38:39], -v[40:41]
	ds_load_b128 v[2:5], v1 offset:1136
	scratch_load_b128 v[38:41], off, off offset:464
	v_add_f64_e32 v[153:154], v[153:154], v[163:164]
	v_add_f64_e32 v[155:156], v[155:156], v[161:162]
	v_fma_f64 v[159:160], v[8:9], v[145:146], v[159:160]
	v_fma_f64 v[163:164], v[6:7], v[145:146], -v[147:148]
	ds_load_b128 v[6:9], v1 offset:1152
	s_wait_loadcnt_dscnt 0x801
	v_mul_f64_e32 v[161:162], v[2:3], v[12:13]
	v_mul_f64_e32 v[12:13], v[4:5], v[12:13]
	scratch_load_b128 v[145:148], off, off offset:480
	v_add_f64_e32 v[153:154], v[153:154], v[165:166]
	v_add_f64_e32 v[155:156], v[155:156], v[157:158]
	s_wait_loadcnt_dscnt 0x800
	v_mul_f64_e32 v[157:158], v[6:7], v[16:17]
	v_mul_f64_e32 v[16:17], v[8:9], v[16:17]
	v_fma_f64 v[161:162], v[4:5], v[10:11], v[161:162]
	v_fma_f64 v[165:166], v[2:3], v[10:11], -v[12:13]
	ds_load_b128 v[2:5], v1 offset:1168
	scratch_load_b128 v[10:13], off, off offset:496
	v_add_f64_e32 v[153:154], v[153:154], v[163:164]
	v_add_f64_e32 v[155:156], v[155:156], v[159:160]
	v_fma_f64 v[157:158], v[8:9], v[14:15], v[157:158]
	v_fma_f64 v[163:164], v[6:7], v[14:15], -v[16:17]
	ds_load_b128 v[6:9], v1 offset:1184
	s_wait_loadcnt_dscnt 0x801
	v_mul_f64_e32 v[159:160], v[2:3], v[20:21]
	v_mul_f64_e32 v[20:21], v[4:5], v[20:21]
	scratch_load_b128 v[14:17], off, off offset:512
	;; [unrolled: 18-line block ×11, first 2 shown]
	v_add_f64_e32 v[153:154], v[153:154], v[165:166]
	v_add_f64_e32 v[155:156], v[155:156], v[161:162]
	s_wait_loadcnt_dscnt 0x800
	v_mul_f64_e32 v[161:162], v[6:7], v[16:17]
	v_mul_f64_e32 v[16:17], v[8:9], v[16:17]
	v_fma_f64 v[159:160], v[4:5], v[10:11], v[159:160]
	v_fma_f64 v[165:166], v[2:3], v[10:11], -v[12:13]
	ds_load_b128 v[2:5], v1 offset:1488
	scratch_load_b128 v[10:13], off, off offset:816
	v_add_f64_e32 v[153:154], v[153:154], v[163:164]
	v_add_f64_e32 v[155:156], v[155:156], v[157:158]
	v_fma_f64 v[161:162], v[8:9], v[14:15], v[161:162]
	v_fma_f64 v[14:15], v[6:7], v[14:15], -v[16:17]
	ds_load_b128 v[6:9], v1 offset:1504
	s_wait_loadcnt_dscnt 0x801
	v_mul_f64_e32 v[157:158], v[2:3], v[20:21]
	v_mul_f64_e32 v[20:21], v[4:5], v[20:21]
	v_add_f64_e32 v[16:17], v[153:154], v[165:166]
	v_add_f64_e32 v[153:154], v[155:156], v[159:160]
	s_wait_loadcnt_dscnt 0x700
	v_mul_f64_e32 v[155:156], v[6:7], v[24:25]
	v_mul_f64_e32 v[24:25], v[8:9], v[24:25]
	v_fma_f64 v[157:158], v[4:5], v[18:19], v[157:158]
	v_fma_f64 v[18:19], v[2:3], v[18:19], -v[20:21]
	ds_load_b128 v[2:5], v1 offset:1520
	v_add_f64_e32 v[14:15], v[16:17], v[14:15]
	v_add_f64_e32 v[16:17], v[153:154], v[161:162]
	v_fma_f64 v[153:154], v[8:9], v[22:23], v[155:156]
	v_fma_f64 v[22:23], v[6:7], v[22:23], -v[24:25]
	ds_load_b128 v[6:9], v1 offset:1536
	s_wait_loadcnt_dscnt 0x500
	v_mul_f64_e32 v[155:156], v[6:7], v[32:33]
	v_mul_f64_e32 v[32:33], v[8:9], v[32:33]
	v_add_f64_e32 v[18:19], v[14:15], v[18:19]
	v_add_f64_e32 v[24:25], v[16:17], v[157:158]
	scratch_load_b128 v[14:17], off, off offset:128
	v_mul_f64_e32 v[20:21], v[2:3], v[28:29]
	v_mul_f64_e32 v[28:29], v[4:5], v[28:29]
	v_add_f64_e32 v[18:19], v[18:19], v[22:23]
	v_add_f64_e32 v[22:23], v[24:25], v[153:154]
	s_delay_alu instid0(VALU_DEP_4) | instskip(NEXT) | instid1(VALU_DEP_4)
	v_fma_f64 v[20:21], v[4:5], v[26:27], v[20:21]
	v_fma_f64 v[26:27], v[2:3], v[26:27], -v[28:29]
	ds_load_b128 v[2:5], v1 offset:1552
	s_wait_loadcnt_dscnt 0x500
	v_mul_f64_e32 v[24:25], v[2:3], v[36:37]
	v_mul_f64_e32 v[28:29], v[4:5], v[36:37]
	v_fma_f64 v[36:37], v[8:9], v[30:31], v[155:156]
	v_fma_f64 v[30:31], v[6:7], v[30:31], -v[32:33]
	ds_load_b128 v[6:9], v1 offset:1568
	v_add_f64_e32 v[20:21], v[22:23], v[20:21]
	v_add_f64_e32 v[18:19], v[18:19], v[26:27]
	v_fma_f64 v[24:25], v[4:5], v[34:35], v[24:25]
	v_fma_f64 v[28:29], v[2:3], v[34:35], -v[28:29]
	ds_load_b128 v[2:5], v1 offset:1584
	s_wait_loadcnt_dscnt 0x401
	v_mul_f64_e32 v[22:23], v[6:7], v[151:152]
	v_mul_f64_e32 v[26:27], v[8:9], v[151:152]
	v_add_f64_e32 v[20:21], v[20:21], v[36:37]
	v_add_f64_e32 v[18:19], v[18:19], v[30:31]
	s_wait_loadcnt_dscnt 0x300
	v_mul_f64_e32 v[30:31], v[2:3], v[40:41]
	v_mul_f64_e32 v[32:33], v[4:5], v[40:41]
	v_fma_f64 v[22:23], v[8:9], v[149:150], v[22:23]
	v_fma_f64 v[26:27], v[6:7], v[149:150], -v[26:27]
	ds_load_b128 v[6:9], v1 offset:1600
	v_add_f64_e32 v[20:21], v[20:21], v[24:25]
	v_add_f64_e32 v[18:19], v[18:19], v[28:29]
	v_fma_f64 v[30:31], v[4:5], v[38:39], v[30:31]
	v_fma_f64 v[32:33], v[2:3], v[38:39], -v[32:33]
	ds_load_b128 v[2:5], v1 offset:1616
	s_wait_loadcnt_dscnt 0x201
	v_mul_f64_e32 v[24:25], v[6:7], v[147:148]
	v_mul_f64_e32 v[28:29], v[8:9], v[147:148]
	v_add_f64_e32 v[20:21], v[20:21], v[22:23]
	v_add_f64_e32 v[18:19], v[18:19], v[26:27]
	s_wait_loadcnt_dscnt 0x100
	v_mul_f64_e32 v[22:23], v[2:3], v[12:13]
	v_mul_f64_e32 v[12:13], v[4:5], v[12:13]
	v_fma_f64 v[8:9], v[8:9], v[145:146], v[24:25]
	v_fma_f64 v[6:7], v[6:7], v[145:146], -v[28:29]
	v_add_f64_e32 v[20:21], v[20:21], v[30:31]
	v_add_f64_e32 v[18:19], v[18:19], v[32:33]
	v_fma_f64 v[4:5], v[4:5], v[10:11], v[22:23]
	v_fma_f64 v[2:3], v[2:3], v[10:11], -v[12:13]
	s_delay_alu instid0(VALU_DEP_4) | instskip(NEXT) | instid1(VALU_DEP_4)
	v_add_f64_e32 v[8:9], v[20:21], v[8:9]
	v_add_f64_e32 v[6:7], v[18:19], v[6:7]
	s_delay_alu instid0(VALU_DEP_2) | instskip(NEXT) | instid1(VALU_DEP_2)
	v_add_f64_e32 v[4:5], v[8:9], v[4:5]
	v_add_f64_e32 v[2:3], v[6:7], v[2:3]
	s_wait_loadcnt 0x0
	s_delay_alu instid0(VALU_DEP_2) | instskip(NEXT) | instid1(VALU_DEP_2)
	v_add_f64_e64 v[4:5], v[16:17], -v[4:5]
	v_add_f64_e64 v[2:3], v[14:15], -v[2:3]
	scratch_store_b128 off, v[2:5], off offset:128
	v_cmpx_lt_u32_e32 6, v0
	s_cbranch_execz .LBB50_307
; %bb.306:
	scratch_load_b128 v[5:8], off, s58
	v_dual_mov_b32 v2, v1 :: v_dual_mov_b32 v3, v1
	v_mov_b32_e32 v4, v1
	scratch_store_b128 off, v[1:4], off offset:112
	s_wait_loadcnt 0x0
	ds_store_b128 v144, v[5:8]
.LBB50_307:
	s_wait_alu 0xfffe
	s_or_b32 exec_lo, exec_lo, s0
	s_wait_storecnt_dscnt 0x0
	s_barrier_signal -1
	s_barrier_wait -1
	global_inv scope:SCOPE_SE
	s_clause 0x7
	scratch_load_b128 v[2:5], off, off offset:128
	scratch_load_b128 v[6:9], off, off offset:144
	;; [unrolled: 1-line block ×8, first 2 shown]
	ds_load_b128 v[38:41], v1 offset:928
	ds_load_b128 v[145:148], v1 offset:944
	s_clause 0x1
	scratch_load_b128 v[34:37], off, off offset:256
	scratch_load_b128 v[149:152], off, off offset:272
	s_mov_b32 s0, exec_lo
	s_wait_loadcnt_dscnt 0x901
	v_mul_f64_e32 v[153:154], v[40:41], v[4:5]
	v_mul_f64_e32 v[4:5], v[38:39], v[4:5]
	s_wait_loadcnt_dscnt 0x800
	v_mul_f64_e32 v[155:156], v[145:146], v[8:9]
	v_mul_f64_e32 v[8:9], v[147:148], v[8:9]
	s_delay_alu instid0(VALU_DEP_4) | instskip(NEXT) | instid1(VALU_DEP_4)
	v_fma_f64 v[153:154], v[38:39], v[2:3], -v[153:154]
	v_fma_f64 v[157:158], v[40:41], v[2:3], v[4:5]
	ds_load_b128 v[2:5], v1 offset:960
	scratch_load_b128 v[38:41], off, off offset:288
	v_fma_f64 v[155:156], v[147:148], v[6:7], v[155:156]
	v_fma_f64 v[161:162], v[145:146], v[6:7], -v[8:9]
	ds_load_b128 v[6:9], v1 offset:976
	scratch_load_b128 v[145:148], off, off offset:304
	s_wait_loadcnt_dscnt 0x901
	v_mul_f64_e32 v[159:160], v[2:3], v[12:13]
	v_mul_f64_e32 v[12:13], v[4:5], v[12:13]
	s_wait_loadcnt_dscnt 0x800
	v_mul_f64_e32 v[163:164], v[6:7], v[16:17]
	v_mul_f64_e32 v[16:17], v[8:9], v[16:17]
	v_add_f64_e32 v[153:154], 0, v[153:154]
	v_add_f64_e32 v[157:158], 0, v[157:158]
	v_fma_f64 v[159:160], v[4:5], v[10:11], v[159:160]
	v_fma_f64 v[165:166], v[2:3], v[10:11], -v[12:13]
	ds_load_b128 v[2:5], v1 offset:992
	scratch_load_b128 v[10:13], off, off offset:320
	v_add_f64_e32 v[153:154], v[153:154], v[161:162]
	v_add_f64_e32 v[155:156], v[157:158], v[155:156]
	v_fma_f64 v[161:162], v[8:9], v[14:15], v[163:164]
	v_fma_f64 v[163:164], v[6:7], v[14:15], -v[16:17]
	ds_load_b128 v[6:9], v1 offset:1008
	scratch_load_b128 v[14:17], off, off offset:336
	s_wait_loadcnt_dscnt 0x901
	v_mul_f64_e32 v[157:158], v[2:3], v[20:21]
	v_mul_f64_e32 v[20:21], v[4:5], v[20:21]
	v_add_f64_e32 v[153:154], v[153:154], v[165:166]
	v_add_f64_e32 v[155:156], v[155:156], v[159:160]
	s_wait_loadcnt_dscnt 0x800
	v_mul_f64_e32 v[159:160], v[6:7], v[24:25]
	v_mul_f64_e32 v[24:25], v[8:9], v[24:25]
	v_fma_f64 v[157:158], v[4:5], v[18:19], v[157:158]
	v_fma_f64 v[165:166], v[2:3], v[18:19], -v[20:21]
	ds_load_b128 v[2:5], v1 offset:1024
	scratch_load_b128 v[18:21], off, off offset:352
	v_add_f64_e32 v[153:154], v[153:154], v[163:164]
	v_add_f64_e32 v[155:156], v[155:156], v[161:162]
	v_fma_f64 v[159:160], v[8:9], v[22:23], v[159:160]
	v_fma_f64 v[163:164], v[6:7], v[22:23], -v[24:25]
	ds_load_b128 v[6:9], v1 offset:1040
	s_wait_loadcnt_dscnt 0x801
	v_mul_f64_e32 v[161:162], v[2:3], v[28:29]
	v_mul_f64_e32 v[28:29], v[4:5], v[28:29]
	scratch_load_b128 v[22:25], off, off offset:368
	v_add_f64_e32 v[153:154], v[153:154], v[165:166]
	v_add_f64_e32 v[155:156], v[155:156], v[157:158]
	s_wait_loadcnt_dscnt 0x800
	v_mul_f64_e32 v[157:158], v[6:7], v[32:33]
	v_mul_f64_e32 v[32:33], v[8:9], v[32:33]
	v_fma_f64 v[161:162], v[4:5], v[26:27], v[161:162]
	v_fma_f64 v[165:166], v[2:3], v[26:27], -v[28:29]
	ds_load_b128 v[2:5], v1 offset:1056
	scratch_load_b128 v[26:29], off, off offset:384
	v_add_f64_e32 v[153:154], v[153:154], v[163:164]
	v_add_f64_e32 v[155:156], v[155:156], v[159:160]
	v_fma_f64 v[157:158], v[8:9], v[30:31], v[157:158]
	v_fma_f64 v[163:164], v[6:7], v[30:31], -v[32:33]
	ds_load_b128 v[6:9], v1 offset:1072
	s_wait_loadcnt_dscnt 0x801
	v_mul_f64_e32 v[159:160], v[2:3], v[36:37]
	v_mul_f64_e32 v[36:37], v[4:5], v[36:37]
	scratch_load_b128 v[30:33], off, off offset:400
	v_add_f64_e32 v[153:154], v[153:154], v[165:166]
	v_add_f64_e32 v[155:156], v[155:156], v[161:162]
	s_wait_loadcnt_dscnt 0x800
	v_mul_f64_e32 v[161:162], v[6:7], v[151:152]
	v_mul_f64_e32 v[151:152], v[8:9], v[151:152]
	v_fma_f64 v[159:160], v[4:5], v[34:35], v[159:160]
	v_fma_f64 v[165:166], v[2:3], v[34:35], -v[36:37]
	ds_load_b128 v[2:5], v1 offset:1088
	scratch_load_b128 v[34:37], off, off offset:416
	v_add_f64_e32 v[153:154], v[153:154], v[163:164]
	v_add_f64_e32 v[155:156], v[155:156], v[157:158]
	v_fma_f64 v[161:162], v[8:9], v[149:150], v[161:162]
	v_fma_f64 v[163:164], v[6:7], v[149:150], -v[151:152]
	ds_load_b128 v[6:9], v1 offset:1104
	scratch_load_b128 v[149:152], off, off offset:432
	s_wait_loadcnt_dscnt 0x901
	v_mul_f64_e32 v[157:158], v[2:3], v[40:41]
	v_mul_f64_e32 v[40:41], v[4:5], v[40:41]
	v_add_f64_e32 v[153:154], v[153:154], v[165:166]
	v_add_f64_e32 v[155:156], v[155:156], v[159:160]
	s_wait_loadcnt_dscnt 0x800
	v_mul_f64_e32 v[159:160], v[6:7], v[147:148]
	v_mul_f64_e32 v[147:148], v[8:9], v[147:148]
	v_fma_f64 v[157:158], v[4:5], v[38:39], v[157:158]
	v_fma_f64 v[165:166], v[2:3], v[38:39], -v[40:41]
	ds_load_b128 v[2:5], v1 offset:1120
	scratch_load_b128 v[38:41], off, off offset:448
	v_add_f64_e32 v[153:154], v[153:154], v[163:164]
	v_add_f64_e32 v[155:156], v[155:156], v[161:162]
	v_fma_f64 v[159:160], v[8:9], v[145:146], v[159:160]
	v_fma_f64 v[163:164], v[6:7], v[145:146], -v[147:148]
	ds_load_b128 v[6:9], v1 offset:1136
	s_wait_loadcnt_dscnt 0x801
	v_mul_f64_e32 v[161:162], v[2:3], v[12:13]
	v_mul_f64_e32 v[12:13], v[4:5], v[12:13]
	scratch_load_b128 v[145:148], off, off offset:464
	v_add_f64_e32 v[153:154], v[153:154], v[165:166]
	v_add_f64_e32 v[155:156], v[155:156], v[157:158]
	s_wait_loadcnt_dscnt 0x800
	v_mul_f64_e32 v[157:158], v[6:7], v[16:17]
	v_mul_f64_e32 v[16:17], v[8:9], v[16:17]
	v_fma_f64 v[161:162], v[4:5], v[10:11], v[161:162]
	v_fma_f64 v[165:166], v[2:3], v[10:11], -v[12:13]
	ds_load_b128 v[2:5], v1 offset:1152
	scratch_load_b128 v[10:13], off, off offset:480
	v_add_f64_e32 v[153:154], v[153:154], v[163:164]
	v_add_f64_e32 v[155:156], v[155:156], v[159:160]
	v_fma_f64 v[157:158], v[8:9], v[14:15], v[157:158]
	v_fma_f64 v[163:164], v[6:7], v[14:15], -v[16:17]
	ds_load_b128 v[6:9], v1 offset:1168
	s_wait_loadcnt_dscnt 0x801
	v_mul_f64_e32 v[159:160], v[2:3], v[20:21]
	v_mul_f64_e32 v[20:21], v[4:5], v[20:21]
	scratch_load_b128 v[14:17], off, off offset:496
	v_add_f64_e32 v[153:154], v[153:154], v[165:166]
	v_add_f64_e32 v[155:156], v[155:156], v[161:162]
	s_wait_loadcnt_dscnt 0x800
	v_mul_f64_e32 v[161:162], v[6:7], v[24:25]
	v_mul_f64_e32 v[24:25], v[8:9], v[24:25]
	v_fma_f64 v[159:160], v[4:5], v[18:19], v[159:160]
	v_fma_f64 v[165:166], v[2:3], v[18:19], -v[20:21]
	ds_load_b128 v[2:5], v1 offset:1184
	scratch_load_b128 v[18:21], off, off offset:512
	v_add_f64_e32 v[153:154], v[153:154], v[163:164]
	v_add_f64_e32 v[155:156], v[155:156], v[157:158]
	v_fma_f64 v[161:162], v[8:9], v[22:23], v[161:162]
	v_fma_f64 v[163:164], v[6:7], v[22:23], -v[24:25]
	ds_load_b128 v[6:9], v1 offset:1200
	s_wait_loadcnt_dscnt 0x801
	v_mul_f64_e32 v[157:158], v[2:3], v[28:29]
	v_mul_f64_e32 v[28:29], v[4:5], v[28:29]
	scratch_load_b128 v[22:25], off, off offset:528
	v_add_f64_e32 v[153:154], v[153:154], v[165:166]
	v_add_f64_e32 v[155:156], v[155:156], v[159:160]
	s_wait_loadcnt_dscnt 0x800
	v_mul_f64_e32 v[159:160], v[6:7], v[32:33]
	v_mul_f64_e32 v[32:33], v[8:9], v[32:33]
	v_fma_f64 v[157:158], v[4:5], v[26:27], v[157:158]
	v_fma_f64 v[165:166], v[2:3], v[26:27], -v[28:29]
	ds_load_b128 v[2:5], v1 offset:1216
	scratch_load_b128 v[26:29], off, off offset:544
	v_add_f64_e32 v[153:154], v[153:154], v[163:164]
	v_add_f64_e32 v[155:156], v[155:156], v[161:162]
	v_fma_f64 v[159:160], v[8:9], v[30:31], v[159:160]
	v_fma_f64 v[163:164], v[6:7], v[30:31], -v[32:33]
	ds_load_b128 v[6:9], v1 offset:1232
	s_wait_loadcnt_dscnt 0x801
	v_mul_f64_e32 v[161:162], v[2:3], v[36:37]
	v_mul_f64_e32 v[36:37], v[4:5], v[36:37]
	scratch_load_b128 v[30:33], off, off offset:560
	v_add_f64_e32 v[153:154], v[153:154], v[165:166]
	v_add_f64_e32 v[155:156], v[155:156], v[157:158]
	s_wait_loadcnt_dscnt 0x800
	v_mul_f64_e32 v[157:158], v[6:7], v[151:152]
	v_mul_f64_e32 v[151:152], v[8:9], v[151:152]
	v_fma_f64 v[161:162], v[4:5], v[34:35], v[161:162]
	v_fma_f64 v[165:166], v[2:3], v[34:35], -v[36:37]
	ds_load_b128 v[2:5], v1 offset:1248
	scratch_load_b128 v[34:37], off, off offset:576
	v_add_f64_e32 v[153:154], v[153:154], v[163:164]
	v_add_f64_e32 v[155:156], v[155:156], v[159:160]
	v_fma_f64 v[157:158], v[8:9], v[149:150], v[157:158]
	v_fma_f64 v[163:164], v[6:7], v[149:150], -v[151:152]
	ds_load_b128 v[6:9], v1 offset:1264
	s_wait_loadcnt_dscnt 0x801
	v_mul_f64_e32 v[159:160], v[2:3], v[40:41]
	v_mul_f64_e32 v[40:41], v[4:5], v[40:41]
	scratch_load_b128 v[149:152], off, off offset:592
	v_add_f64_e32 v[153:154], v[153:154], v[165:166]
	v_add_f64_e32 v[155:156], v[155:156], v[161:162]
	s_wait_loadcnt_dscnt 0x800
	v_mul_f64_e32 v[161:162], v[6:7], v[147:148]
	v_mul_f64_e32 v[147:148], v[8:9], v[147:148]
	v_fma_f64 v[159:160], v[4:5], v[38:39], v[159:160]
	v_fma_f64 v[165:166], v[2:3], v[38:39], -v[40:41]
	ds_load_b128 v[2:5], v1 offset:1280
	scratch_load_b128 v[38:41], off, off offset:608
	v_add_f64_e32 v[153:154], v[153:154], v[163:164]
	v_add_f64_e32 v[155:156], v[155:156], v[157:158]
	v_fma_f64 v[161:162], v[8:9], v[145:146], v[161:162]
	v_fma_f64 v[163:164], v[6:7], v[145:146], -v[147:148]
	ds_load_b128 v[6:9], v1 offset:1296
	s_wait_loadcnt_dscnt 0x801
	v_mul_f64_e32 v[157:158], v[2:3], v[12:13]
	v_mul_f64_e32 v[12:13], v[4:5], v[12:13]
	scratch_load_b128 v[145:148], off, off offset:624
	v_add_f64_e32 v[153:154], v[153:154], v[165:166]
	v_add_f64_e32 v[155:156], v[155:156], v[159:160]
	s_wait_loadcnt_dscnt 0x800
	v_mul_f64_e32 v[159:160], v[6:7], v[16:17]
	v_mul_f64_e32 v[16:17], v[8:9], v[16:17]
	v_fma_f64 v[157:158], v[4:5], v[10:11], v[157:158]
	v_fma_f64 v[165:166], v[2:3], v[10:11], -v[12:13]
	ds_load_b128 v[2:5], v1 offset:1312
	scratch_load_b128 v[10:13], off, off offset:640
	v_add_f64_e32 v[153:154], v[153:154], v[163:164]
	v_add_f64_e32 v[155:156], v[155:156], v[161:162]
	v_fma_f64 v[159:160], v[8:9], v[14:15], v[159:160]
	v_fma_f64 v[163:164], v[6:7], v[14:15], -v[16:17]
	ds_load_b128 v[6:9], v1 offset:1328
	s_wait_loadcnt_dscnt 0x801
	v_mul_f64_e32 v[161:162], v[2:3], v[20:21]
	v_mul_f64_e32 v[20:21], v[4:5], v[20:21]
	scratch_load_b128 v[14:17], off, off offset:656
	v_add_f64_e32 v[153:154], v[153:154], v[165:166]
	v_add_f64_e32 v[155:156], v[155:156], v[157:158]
	s_wait_loadcnt_dscnt 0x800
	v_mul_f64_e32 v[157:158], v[6:7], v[24:25]
	v_mul_f64_e32 v[24:25], v[8:9], v[24:25]
	v_fma_f64 v[161:162], v[4:5], v[18:19], v[161:162]
	v_fma_f64 v[165:166], v[2:3], v[18:19], -v[20:21]
	ds_load_b128 v[2:5], v1 offset:1344
	scratch_load_b128 v[18:21], off, off offset:672
	v_add_f64_e32 v[153:154], v[153:154], v[163:164]
	v_add_f64_e32 v[155:156], v[155:156], v[159:160]
	v_fma_f64 v[157:158], v[8:9], v[22:23], v[157:158]
	v_fma_f64 v[163:164], v[6:7], v[22:23], -v[24:25]
	ds_load_b128 v[6:9], v1 offset:1360
	s_wait_loadcnt_dscnt 0x801
	v_mul_f64_e32 v[159:160], v[2:3], v[28:29]
	v_mul_f64_e32 v[28:29], v[4:5], v[28:29]
	scratch_load_b128 v[22:25], off, off offset:688
	v_add_f64_e32 v[153:154], v[153:154], v[165:166]
	v_add_f64_e32 v[155:156], v[155:156], v[161:162]
	s_wait_loadcnt_dscnt 0x800
	v_mul_f64_e32 v[161:162], v[6:7], v[32:33]
	v_mul_f64_e32 v[32:33], v[8:9], v[32:33]
	v_fma_f64 v[159:160], v[4:5], v[26:27], v[159:160]
	v_fma_f64 v[165:166], v[2:3], v[26:27], -v[28:29]
	ds_load_b128 v[2:5], v1 offset:1376
	scratch_load_b128 v[26:29], off, off offset:704
	v_add_f64_e32 v[153:154], v[153:154], v[163:164]
	v_add_f64_e32 v[155:156], v[155:156], v[157:158]
	v_fma_f64 v[161:162], v[8:9], v[30:31], v[161:162]
	v_fma_f64 v[163:164], v[6:7], v[30:31], -v[32:33]
	ds_load_b128 v[6:9], v1 offset:1392
	s_wait_loadcnt_dscnt 0x801
	v_mul_f64_e32 v[157:158], v[2:3], v[36:37]
	v_mul_f64_e32 v[36:37], v[4:5], v[36:37]
	scratch_load_b128 v[30:33], off, off offset:720
	v_add_f64_e32 v[153:154], v[153:154], v[165:166]
	v_add_f64_e32 v[155:156], v[155:156], v[159:160]
	s_wait_loadcnt_dscnt 0x800
	v_mul_f64_e32 v[159:160], v[6:7], v[151:152]
	v_mul_f64_e32 v[151:152], v[8:9], v[151:152]
	v_fma_f64 v[157:158], v[4:5], v[34:35], v[157:158]
	v_fma_f64 v[165:166], v[2:3], v[34:35], -v[36:37]
	ds_load_b128 v[2:5], v1 offset:1408
	scratch_load_b128 v[34:37], off, off offset:736
	v_add_f64_e32 v[153:154], v[153:154], v[163:164]
	v_add_f64_e32 v[155:156], v[155:156], v[161:162]
	v_fma_f64 v[159:160], v[8:9], v[149:150], v[159:160]
	v_fma_f64 v[163:164], v[6:7], v[149:150], -v[151:152]
	ds_load_b128 v[6:9], v1 offset:1424
	s_wait_loadcnt_dscnt 0x801
	v_mul_f64_e32 v[161:162], v[2:3], v[40:41]
	v_mul_f64_e32 v[40:41], v[4:5], v[40:41]
	scratch_load_b128 v[149:152], off, off offset:752
	v_add_f64_e32 v[153:154], v[153:154], v[165:166]
	v_add_f64_e32 v[155:156], v[155:156], v[157:158]
	s_wait_loadcnt_dscnt 0x800
	v_mul_f64_e32 v[157:158], v[6:7], v[147:148]
	v_mul_f64_e32 v[147:148], v[8:9], v[147:148]
	v_fma_f64 v[161:162], v[4:5], v[38:39], v[161:162]
	v_fma_f64 v[165:166], v[2:3], v[38:39], -v[40:41]
	ds_load_b128 v[2:5], v1 offset:1440
	scratch_load_b128 v[38:41], off, off offset:768
	v_add_f64_e32 v[153:154], v[153:154], v[163:164]
	v_add_f64_e32 v[155:156], v[155:156], v[159:160]
	v_fma_f64 v[157:158], v[8:9], v[145:146], v[157:158]
	v_fma_f64 v[163:164], v[6:7], v[145:146], -v[147:148]
	ds_load_b128 v[6:9], v1 offset:1456
	s_wait_loadcnt_dscnt 0x801
	v_mul_f64_e32 v[159:160], v[2:3], v[12:13]
	v_mul_f64_e32 v[12:13], v[4:5], v[12:13]
	scratch_load_b128 v[145:148], off, off offset:784
	v_add_f64_e32 v[153:154], v[153:154], v[165:166]
	v_add_f64_e32 v[155:156], v[155:156], v[161:162]
	s_wait_loadcnt_dscnt 0x800
	v_mul_f64_e32 v[161:162], v[6:7], v[16:17]
	v_mul_f64_e32 v[16:17], v[8:9], v[16:17]
	v_fma_f64 v[159:160], v[4:5], v[10:11], v[159:160]
	v_fma_f64 v[165:166], v[2:3], v[10:11], -v[12:13]
	ds_load_b128 v[2:5], v1 offset:1472
	scratch_load_b128 v[10:13], off, off offset:800
	v_add_f64_e32 v[153:154], v[153:154], v[163:164]
	v_add_f64_e32 v[155:156], v[155:156], v[157:158]
	v_fma_f64 v[161:162], v[8:9], v[14:15], v[161:162]
	v_fma_f64 v[163:164], v[6:7], v[14:15], -v[16:17]
	ds_load_b128 v[6:9], v1 offset:1488
	s_wait_loadcnt_dscnt 0x801
	v_mul_f64_e32 v[157:158], v[2:3], v[20:21]
	v_mul_f64_e32 v[20:21], v[4:5], v[20:21]
	scratch_load_b128 v[14:17], off, off offset:816
	v_add_f64_e32 v[153:154], v[153:154], v[165:166]
	v_add_f64_e32 v[155:156], v[155:156], v[159:160]
	s_wait_loadcnt_dscnt 0x800
	v_mul_f64_e32 v[159:160], v[6:7], v[24:25]
	v_mul_f64_e32 v[24:25], v[8:9], v[24:25]
	v_fma_f64 v[157:158], v[4:5], v[18:19], v[157:158]
	v_fma_f64 v[18:19], v[2:3], v[18:19], -v[20:21]
	ds_load_b128 v[2:5], v1 offset:1504
	v_add_f64_e32 v[20:21], v[153:154], v[163:164]
	v_add_f64_e32 v[153:154], v[155:156], v[161:162]
	v_fma_f64 v[159:160], v[8:9], v[22:23], v[159:160]
	v_fma_f64 v[22:23], v[6:7], v[22:23], -v[24:25]
	ds_load_b128 v[6:9], v1 offset:1520
	s_wait_loadcnt_dscnt 0x701
	v_mul_f64_e32 v[155:156], v[2:3], v[28:29]
	v_mul_f64_e32 v[28:29], v[4:5], v[28:29]
	v_add_f64_e32 v[18:19], v[20:21], v[18:19]
	v_add_f64_e32 v[20:21], v[153:154], v[157:158]
	s_delay_alu instid0(VALU_DEP_4) | instskip(NEXT) | instid1(VALU_DEP_4)
	v_fma_f64 v[153:154], v[4:5], v[26:27], v[155:156]
	v_fma_f64 v[26:27], v[2:3], v[26:27], -v[28:29]
	ds_load_b128 v[2:5], v1 offset:1536
	v_add_f64_e32 v[22:23], v[18:19], v[22:23]
	v_add_f64_e32 v[28:29], v[20:21], v[159:160]
	scratch_load_b128 v[18:21], off, off offset:112
	s_wait_loadcnt_dscnt 0x701
	v_mul_f64_e32 v[24:25], v[6:7], v[32:33]
	v_mul_f64_e32 v[32:33], v[8:9], v[32:33]
	v_add_f64_e32 v[22:23], v[22:23], v[26:27]
	v_add_f64_e32 v[26:27], v[28:29], v[153:154]
	s_delay_alu instid0(VALU_DEP_4) | instskip(NEXT) | instid1(VALU_DEP_4)
	v_fma_f64 v[24:25], v[8:9], v[30:31], v[24:25]
	v_fma_f64 v[30:31], v[6:7], v[30:31], -v[32:33]
	ds_load_b128 v[6:9], v1 offset:1552
	s_wait_loadcnt_dscnt 0x601
	v_mul_f64_e32 v[155:156], v[2:3], v[36:37]
	v_mul_f64_e32 v[36:37], v[4:5], v[36:37]
	s_wait_loadcnt_dscnt 0x500
	v_mul_f64_e32 v[28:29], v[6:7], v[151:152]
	v_mul_f64_e32 v[32:33], v[8:9], v[151:152]
	v_add_f64_e32 v[24:25], v[26:27], v[24:25]
	v_add_f64_e32 v[22:23], v[22:23], v[30:31]
	v_fma_f64 v[151:152], v[4:5], v[34:35], v[155:156]
	v_fma_f64 v[34:35], v[2:3], v[34:35], -v[36:37]
	ds_load_b128 v[2:5], v1 offset:1568
	v_fma_f64 v[28:29], v[8:9], v[149:150], v[28:29]
	v_fma_f64 v[32:33], v[6:7], v[149:150], -v[32:33]
	ds_load_b128 v[6:9], v1 offset:1584
	s_wait_loadcnt_dscnt 0x401
	v_mul_f64_e32 v[26:27], v[2:3], v[40:41]
	v_mul_f64_e32 v[30:31], v[4:5], v[40:41]
	v_add_f64_e32 v[24:25], v[24:25], v[151:152]
	v_add_f64_e32 v[22:23], v[22:23], v[34:35]
	s_wait_loadcnt_dscnt 0x300
	v_mul_f64_e32 v[34:35], v[6:7], v[147:148]
	v_mul_f64_e32 v[36:37], v[8:9], v[147:148]
	v_fma_f64 v[26:27], v[4:5], v[38:39], v[26:27]
	v_fma_f64 v[30:31], v[2:3], v[38:39], -v[30:31]
	ds_load_b128 v[2:5], v1 offset:1600
	v_add_f64_e32 v[24:25], v[24:25], v[28:29]
	v_add_f64_e32 v[22:23], v[22:23], v[32:33]
	v_fma_f64 v[32:33], v[8:9], v[145:146], v[34:35]
	v_fma_f64 v[34:35], v[6:7], v[145:146], -v[36:37]
	ds_load_b128 v[6:9], v1 offset:1616
	s_wait_loadcnt_dscnt 0x201
	v_mul_f64_e32 v[28:29], v[2:3], v[12:13]
	v_mul_f64_e32 v[12:13], v[4:5], v[12:13]
	v_add_f64_e32 v[24:25], v[24:25], v[26:27]
	v_add_f64_e32 v[22:23], v[22:23], v[30:31]
	s_wait_loadcnt_dscnt 0x100
	v_mul_f64_e32 v[26:27], v[6:7], v[16:17]
	v_mul_f64_e32 v[16:17], v[8:9], v[16:17]
	v_fma_f64 v[4:5], v[4:5], v[10:11], v[28:29]
	v_fma_f64 v[1:2], v[2:3], v[10:11], -v[12:13]
	v_add_f64_e32 v[12:13], v[24:25], v[32:33]
	v_add_f64_e32 v[10:11], v[22:23], v[34:35]
	v_fma_f64 v[8:9], v[8:9], v[14:15], v[26:27]
	v_fma_f64 v[6:7], v[6:7], v[14:15], -v[16:17]
	s_delay_alu instid0(VALU_DEP_4) | instskip(NEXT) | instid1(VALU_DEP_4)
	v_add_f64_e32 v[3:4], v[12:13], v[4:5]
	v_add_f64_e32 v[1:2], v[10:11], v[1:2]
	s_delay_alu instid0(VALU_DEP_2) | instskip(NEXT) | instid1(VALU_DEP_2)
	v_add_f64_e32 v[3:4], v[3:4], v[8:9]
	v_add_f64_e32 v[1:2], v[1:2], v[6:7]
	s_wait_loadcnt 0x0
	s_delay_alu instid0(VALU_DEP_2) | instskip(NEXT) | instid1(VALU_DEP_2)
	v_add_f64_e64 v[3:4], v[20:21], -v[3:4]
	v_add_f64_e64 v[1:2], v[18:19], -v[1:2]
	scratch_store_b128 off, v[1:4], off offset:112
	v_cmpx_lt_u32_e32 5, v0
	s_cbranch_execz .LBB50_309
; %bb.308:
	scratch_load_b128 v[1:4], off, s59
	v_mov_b32_e32 v5, 0
	s_delay_alu instid0(VALU_DEP_1)
	v_dual_mov_b32 v6, v5 :: v_dual_mov_b32 v7, v5
	v_mov_b32_e32 v8, v5
	scratch_store_b128 off, v[5:8], off offset:96
	s_wait_loadcnt 0x0
	ds_store_b128 v144, v[1:4]
.LBB50_309:
	s_wait_alu 0xfffe
	s_or_b32 exec_lo, exec_lo, s0
	s_wait_storecnt_dscnt 0x0
	s_barrier_signal -1
	s_barrier_wait -1
	global_inv scope:SCOPE_SE
	s_clause 0x7
	scratch_load_b128 v[2:5], off, off offset:112
	scratch_load_b128 v[6:9], off, off offset:128
	;; [unrolled: 1-line block ×8, first 2 shown]
	v_mov_b32_e32 v1, 0
	s_clause 0x1
	scratch_load_b128 v[34:37], off, off offset:240
	scratch_load_b128 v[149:152], off, off offset:256
	s_mov_b32 s0, exec_lo
	ds_load_b128 v[38:41], v1 offset:912
	ds_load_b128 v[145:148], v1 offset:928
	s_wait_loadcnt_dscnt 0x901
	v_mul_f64_e32 v[153:154], v[40:41], v[4:5]
	v_mul_f64_e32 v[4:5], v[38:39], v[4:5]
	s_wait_loadcnt_dscnt 0x800
	v_mul_f64_e32 v[155:156], v[145:146], v[8:9]
	v_mul_f64_e32 v[8:9], v[147:148], v[8:9]
	s_delay_alu instid0(VALU_DEP_4) | instskip(NEXT) | instid1(VALU_DEP_4)
	v_fma_f64 v[153:154], v[38:39], v[2:3], -v[153:154]
	v_fma_f64 v[157:158], v[40:41], v[2:3], v[4:5]
	ds_load_b128 v[2:5], v1 offset:944
	scratch_load_b128 v[38:41], off, off offset:272
	v_fma_f64 v[155:156], v[147:148], v[6:7], v[155:156]
	v_fma_f64 v[161:162], v[145:146], v[6:7], -v[8:9]
	ds_load_b128 v[6:9], v1 offset:960
	scratch_load_b128 v[145:148], off, off offset:288
	s_wait_loadcnt_dscnt 0x901
	v_mul_f64_e32 v[159:160], v[2:3], v[12:13]
	v_mul_f64_e32 v[12:13], v[4:5], v[12:13]
	s_wait_loadcnt_dscnt 0x800
	v_mul_f64_e32 v[163:164], v[6:7], v[16:17]
	v_mul_f64_e32 v[16:17], v[8:9], v[16:17]
	v_add_f64_e32 v[153:154], 0, v[153:154]
	v_add_f64_e32 v[157:158], 0, v[157:158]
	v_fma_f64 v[159:160], v[4:5], v[10:11], v[159:160]
	v_fma_f64 v[165:166], v[2:3], v[10:11], -v[12:13]
	ds_load_b128 v[2:5], v1 offset:976
	scratch_load_b128 v[10:13], off, off offset:304
	v_add_f64_e32 v[153:154], v[153:154], v[161:162]
	v_add_f64_e32 v[155:156], v[157:158], v[155:156]
	v_fma_f64 v[161:162], v[8:9], v[14:15], v[163:164]
	v_fma_f64 v[163:164], v[6:7], v[14:15], -v[16:17]
	ds_load_b128 v[6:9], v1 offset:992
	scratch_load_b128 v[14:17], off, off offset:320
	s_wait_loadcnt_dscnt 0x901
	v_mul_f64_e32 v[157:158], v[2:3], v[20:21]
	v_mul_f64_e32 v[20:21], v[4:5], v[20:21]
	v_add_f64_e32 v[153:154], v[153:154], v[165:166]
	v_add_f64_e32 v[155:156], v[155:156], v[159:160]
	s_wait_loadcnt_dscnt 0x800
	v_mul_f64_e32 v[159:160], v[6:7], v[24:25]
	v_mul_f64_e32 v[24:25], v[8:9], v[24:25]
	v_fma_f64 v[157:158], v[4:5], v[18:19], v[157:158]
	v_fma_f64 v[165:166], v[2:3], v[18:19], -v[20:21]
	ds_load_b128 v[2:5], v1 offset:1008
	scratch_load_b128 v[18:21], off, off offset:336
	v_add_f64_e32 v[153:154], v[153:154], v[163:164]
	v_add_f64_e32 v[155:156], v[155:156], v[161:162]
	v_fma_f64 v[159:160], v[8:9], v[22:23], v[159:160]
	v_fma_f64 v[163:164], v[6:7], v[22:23], -v[24:25]
	ds_load_b128 v[6:9], v1 offset:1024
	s_wait_loadcnt_dscnt 0x801
	v_mul_f64_e32 v[161:162], v[2:3], v[28:29]
	v_mul_f64_e32 v[28:29], v[4:5], v[28:29]
	scratch_load_b128 v[22:25], off, off offset:352
	v_add_f64_e32 v[153:154], v[153:154], v[165:166]
	v_add_f64_e32 v[155:156], v[155:156], v[157:158]
	s_wait_loadcnt_dscnt 0x800
	v_mul_f64_e32 v[157:158], v[6:7], v[32:33]
	v_mul_f64_e32 v[32:33], v[8:9], v[32:33]
	v_fma_f64 v[161:162], v[4:5], v[26:27], v[161:162]
	v_fma_f64 v[165:166], v[2:3], v[26:27], -v[28:29]
	ds_load_b128 v[2:5], v1 offset:1040
	scratch_load_b128 v[26:29], off, off offset:368
	v_add_f64_e32 v[153:154], v[153:154], v[163:164]
	v_add_f64_e32 v[155:156], v[155:156], v[159:160]
	v_fma_f64 v[157:158], v[8:9], v[30:31], v[157:158]
	v_fma_f64 v[163:164], v[6:7], v[30:31], -v[32:33]
	ds_load_b128 v[6:9], v1 offset:1056
	s_wait_loadcnt_dscnt 0x801
	v_mul_f64_e32 v[159:160], v[2:3], v[36:37]
	v_mul_f64_e32 v[36:37], v[4:5], v[36:37]
	scratch_load_b128 v[30:33], off, off offset:384
	v_add_f64_e32 v[153:154], v[153:154], v[165:166]
	v_add_f64_e32 v[155:156], v[155:156], v[161:162]
	s_wait_loadcnt_dscnt 0x800
	v_mul_f64_e32 v[161:162], v[6:7], v[151:152]
	v_mul_f64_e32 v[151:152], v[8:9], v[151:152]
	v_fma_f64 v[159:160], v[4:5], v[34:35], v[159:160]
	v_fma_f64 v[165:166], v[2:3], v[34:35], -v[36:37]
	ds_load_b128 v[2:5], v1 offset:1072
	scratch_load_b128 v[34:37], off, off offset:400
	v_add_f64_e32 v[153:154], v[153:154], v[163:164]
	v_add_f64_e32 v[155:156], v[155:156], v[157:158]
	v_fma_f64 v[161:162], v[8:9], v[149:150], v[161:162]
	v_fma_f64 v[163:164], v[6:7], v[149:150], -v[151:152]
	ds_load_b128 v[6:9], v1 offset:1088
	scratch_load_b128 v[149:152], off, off offset:416
	s_wait_loadcnt_dscnt 0x901
	v_mul_f64_e32 v[157:158], v[2:3], v[40:41]
	v_mul_f64_e32 v[40:41], v[4:5], v[40:41]
	v_add_f64_e32 v[153:154], v[153:154], v[165:166]
	v_add_f64_e32 v[155:156], v[155:156], v[159:160]
	s_wait_loadcnt_dscnt 0x800
	v_mul_f64_e32 v[159:160], v[6:7], v[147:148]
	v_mul_f64_e32 v[147:148], v[8:9], v[147:148]
	v_fma_f64 v[157:158], v[4:5], v[38:39], v[157:158]
	v_fma_f64 v[165:166], v[2:3], v[38:39], -v[40:41]
	ds_load_b128 v[2:5], v1 offset:1104
	scratch_load_b128 v[38:41], off, off offset:432
	v_add_f64_e32 v[153:154], v[153:154], v[163:164]
	v_add_f64_e32 v[155:156], v[155:156], v[161:162]
	v_fma_f64 v[159:160], v[8:9], v[145:146], v[159:160]
	v_fma_f64 v[163:164], v[6:7], v[145:146], -v[147:148]
	ds_load_b128 v[6:9], v1 offset:1120
	s_wait_loadcnt_dscnt 0x801
	v_mul_f64_e32 v[161:162], v[2:3], v[12:13]
	v_mul_f64_e32 v[12:13], v[4:5], v[12:13]
	scratch_load_b128 v[145:148], off, off offset:448
	v_add_f64_e32 v[153:154], v[153:154], v[165:166]
	v_add_f64_e32 v[155:156], v[155:156], v[157:158]
	s_wait_loadcnt_dscnt 0x800
	v_mul_f64_e32 v[157:158], v[6:7], v[16:17]
	v_mul_f64_e32 v[16:17], v[8:9], v[16:17]
	v_fma_f64 v[161:162], v[4:5], v[10:11], v[161:162]
	v_fma_f64 v[165:166], v[2:3], v[10:11], -v[12:13]
	ds_load_b128 v[2:5], v1 offset:1136
	scratch_load_b128 v[10:13], off, off offset:464
	v_add_f64_e32 v[153:154], v[153:154], v[163:164]
	v_add_f64_e32 v[155:156], v[155:156], v[159:160]
	v_fma_f64 v[157:158], v[8:9], v[14:15], v[157:158]
	v_fma_f64 v[163:164], v[6:7], v[14:15], -v[16:17]
	ds_load_b128 v[6:9], v1 offset:1152
	s_wait_loadcnt_dscnt 0x801
	v_mul_f64_e32 v[159:160], v[2:3], v[20:21]
	v_mul_f64_e32 v[20:21], v[4:5], v[20:21]
	scratch_load_b128 v[14:17], off, off offset:480
	;; [unrolled: 18-line block ×12, first 2 shown]
	v_add_f64_e32 v[153:154], v[153:154], v[165:166]
	v_add_f64_e32 v[155:156], v[155:156], v[159:160]
	s_wait_loadcnt_dscnt 0x800
	v_mul_f64_e32 v[159:160], v[6:7], v[24:25]
	v_mul_f64_e32 v[24:25], v[8:9], v[24:25]
	v_fma_f64 v[157:158], v[4:5], v[18:19], v[157:158]
	v_fma_f64 v[165:166], v[2:3], v[18:19], -v[20:21]
	ds_load_b128 v[2:5], v1 offset:1488
	scratch_load_b128 v[18:21], off, off offset:816
	v_add_f64_e32 v[153:154], v[153:154], v[163:164]
	v_add_f64_e32 v[155:156], v[155:156], v[161:162]
	v_fma_f64 v[159:160], v[8:9], v[22:23], v[159:160]
	v_fma_f64 v[22:23], v[6:7], v[22:23], -v[24:25]
	ds_load_b128 v[6:9], v1 offset:1504
	s_wait_loadcnt_dscnt 0x801
	v_mul_f64_e32 v[161:162], v[2:3], v[28:29]
	v_mul_f64_e32 v[28:29], v[4:5], v[28:29]
	v_add_f64_e32 v[24:25], v[153:154], v[165:166]
	v_add_f64_e32 v[153:154], v[155:156], v[157:158]
	s_wait_loadcnt_dscnt 0x700
	v_mul_f64_e32 v[155:156], v[6:7], v[32:33]
	v_mul_f64_e32 v[32:33], v[8:9], v[32:33]
	v_fma_f64 v[157:158], v[4:5], v[26:27], v[161:162]
	v_fma_f64 v[26:27], v[2:3], v[26:27], -v[28:29]
	ds_load_b128 v[2:5], v1 offset:1520
	v_add_f64_e32 v[22:23], v[24:25], v[22:23]
	v_add_f64_e32 v[24:25], v[153:154], v[159:160]
	v_fma_f64 v[153:154], v[8:9], v[30:31], v[155:156]
	v_fma_f64 v[30:31], v[6:7], v[30:31], -v[32:33]
	ds_load_b128 v[6:9], v1 offset:1536
	s_wait_loadcnt_dscnt 0x500
	v_mul_f64_e32 v[155:156], v[6:7], v[151:152]
	v_mul_f64_e32 v[151:152], v[8:9], v[151:152]
	v_add_f64_e32 v[26:27], v[22:23], v[26:27]
	v_add_f64_e32 v[32:33], v[24:25], v[157:158]
	scratch_load_b128 v[22:25], off, off offset:96
	v_mul_f64_e32 v[28:29], v[2:3], v[36:37]
	v_mul_f64_e32 v[36:37], v[4:5], v[36:37]
	v_add_f64_e32 v[26:27], v[26:27], v[30:31]
	v_add_f64_e32 v[30:31], v[32:33], v[153:154]
	s_delay_alu instid0(VALU_DEP_4) | instskip(NEXT) | instid1(VALU_DEP_4)
	v_fma_f64 v[28:29], v[4:5], v[34:35], v[28:29]
	v_fma_f64 v[34:35], v[2:3], v[34:35], -v[36:37]
	ds_load_b128 v[2:5], v1 offset:1552
	s_wait_loadcnt_dscnt 0x500
	v_mul_f64_e32 v[32:33], v[2:3], v[40:41]
	v_mul_f64_e32 v[36:37], v[4:5], v[40:41]
	v_fma_f64 v[40:41], v[8:9], v[149:150], v[155:156]
	v_fma_f64 v[149:150], v[6:7], v[149:150], -v[151:152]
	ds_load_b128 v[6:9], v1 offset:1568
	v_add_f64_e32 v[28:29], v[30:31], v[28:29]
	v_add_f64_e32 v[26:27], v[26:27], v[34:35]
	v_fma_f64 v[32:33], v[4:5], v[38:39], v[32:33]
	v_fma_f64 v[36:37], v[2:3], v[38:39], -v[36:37]
	ds_load_b128 v[2:5], v1 offset:1584
	s_wait_loadcnt_dscnt 0x401
	v_mul_f64_e32 v[30:31], v[6:7], v[147:148]
	v_mul_f64_e32 v[34:35], v[8:9], v[147:148]
	v_add_f64_e32 v[28:29], v[28:29], v[40:41]
	v_add_f64_e32 v[26:27], v[26:27], v[149:150]
	s_wait_loadcnt_dscnt 0x300
	v_mul_f64_e32 v[38:39], v[2:3], v[12:13]
	v_mul_f64_e32 v[12:13], v[4:5], v[12:13]
	v_fma_f64 v[30:31], v[8:9], v[145:146], v[30:31]
	v_fma_f64 v[34:35], v[6:7], v[145:146], -v[34:35]
	ds_load_b128 v[6:9], v1 offset:1600
	v_add_f64_e32 v[28:29], v[28:29], v[32:33]
	v_add_f64_e32 v[26:27], v[26:27], v[36:37]
	v_fma_f64 v[36:37], v[4:5], v[10:11], v[38:39]
	v_fma_f64 v[10:11], v[2:3], v[10:11], -v[12:13]
	ds_load_b128 v[2:5], v1 offset:1616
	s_wait_loadcnt_dscnt 0x201
	v_mul_f64_e32 v[32:33], v[6:7], v[16:17]
	v_mul_f64_e32 v[16:17], v[8:9], v[16:17]
	v_add_f64_e32 v[12:13], v[26:27], v[34:35]
	v_add_f64_e32 v[26:27], v[28:29], v[30:31]
	s_wait_loadcnt_dscnt 0x100
	v_mul_f64_e32 v[28:29], v[2:3], v[20:21]
	v_mul_f64_e32 v[20:21], v[4:5], v[20:21]
	v_fma_f64 v[8:9], v[8:9], v[14:15], v[32:33]
	v_fma_f64 v[6:7], v[6:7], v[14:15], -v[16:17]
	v_add_f64_e32 v[10:11], v[12:13], v[10:11]
	v_add_f64_e32 v[12:13], v[26:27], v[36:37]
	v_fma_f64 v[4:5], v[4:5], v[18:19], v[28:29]
	v_fma_f64 v[2:3], v[2:3], v[18:19], -v[20:21]
	s_delay_alu instid0(VALU_DEP_4) | instskip(NEXT) | instid1(VALU_DEP_4)
	v_add_f64_e32 v[6:7], v[10:11], v[6:7]
	v_add_f64_e32 v[8:9], v[12:13], v[8:9]
	s_delay_alu instid0(VALU_DEP_2) | instskip(NEXT) | instid1(VALU_DEP_2)
	v_add_f64_e32 v[2:3], v[6:7], v[2:3]
	v_add_f64_e32 v[4:5], v[8:9], v[4:5]
	s_wait_loadcnt 0x0
	s_delay_alu instid0(VALU_DEP_2) | instskip(NEXT) | instid1(VALU_DEP_2)
	v_add_f64_e64 v[2:3], v[22:23], -v[2:3]
	v_add_f64_e64 v[4:5], v[24:25], -v[4:5]
	scratch_store_b128 off, v[2:5], off offset:96
	v_cmpx_lt_u32_e32 4, v0
	s_cbranch_execz .LBB50_311
; %bb.310:
	scratch_load_b128 v[5:8], off, s40
	v_dual_mov_b32 v2, v1 :: v_dual_mov_b32 v3, v1
	v_mov_b32_e32 v4, v1
	scratch_store_b128 off, v[1:4], off offset:80
	s_wait_loadcnt 0x0
	ds_store_b128 v144, v[5:8]
.LBB50_311:
	s_wait_alu 0xfffe
	s_or_b32 exec_lo, exec_lo, s0
	s_wait_storecnt_dscnt 0x0
	s_barrier_signal -1
	s_barrier_wait -1
	global_inv scope:SCOPE_SE
	s_clause 0x7
	scratch_load_b128 v[2:5], off, off offset:96
	scratch_load_b128 v[6:9], off, off offset:112
	;; [unrolled: 1-line block ×8, first 2 shown]
	ds_load_b128 v[38:41], v1 offset:896
	ds_load_b128 v[145:148], v1 offset:912
	s_clause 0x1
	scratch_load_b128 v[34:37], off, off offset:224
	scratch_load_b128 v[149:152], off, off offset:240
	s_mov_b32 s0, exec_lo
	s_wait_loadcnt_dscnt 0x901
	v_mul_f64_e32 v[153:154], v[40:41], v[4:5]
	v_mul_f64_e32 v[4:5], v[38:39], v[4:5]
	s_wait_loadcnt_dscnt 0x800
	v_mul_f64_e32 v[155:156], v[145:146], v[8:9]
	v_mul_f64_e32 v[8:9], v[147:148], v[8:9]
	s_delay_alu instid0(VALU_DEP_4) | instskip(NEXT) | instid1(VALU_DEP_4)
	v_fma_f64 v[153:154], v[38:39], v[2:3], -v[153:154]
	v_fma_f64 v[157:158], v[40:41], v[2:3], v[4:5]
	ds_load_b128 v[2:5], v1 offset:928
	scratch_load_b128 v[38:41], off, off offset:256
	v_fma_f64 v[155:156], v[147:148], v[6:7], v[155:156]
	v_fma_f64 v[161:162], v[145:146], v[6:7], -v[8:9]
	ds_load_b128 v[6:9], v1 offset:944
	scratch_load_b128 v[145:148], off, off offset:272
	s_wait_loadcnt_dscnt 0x901
	v_mul_f64_e32 v[159:160], v[2:3], v[12:13]
	v_mul_f64_e32 v[12:13], v[4:5], v[12:13]
	s_wait_loadcnt_dscnt 0x800
	v_mul_f64_e32 v[163:164], v[6:7], v[16:17]
	v_mul_f64_e32 v[16:17], v[8:9], v[16:17]
	v_add_f64_e32 v[153:154], 0, v[153:154]
	v_add_f64_e32 v[157:158], 0, v[157:158]
	v_fma_f64 v[159:160], v[4:5], v[10:11], v[159:160]
	v_fma_f64 v[165:166], v[2:3], v[10:11], -v[12:13]
	ds_load_b128 v[2:5], v1 offset:960
	scratch_load_b128 v[10:13], off, off offset:288
	v_add_f64_e32 v[153:154], v[153:154], v[161:162]
	v_add_f64_e32 v[155:156], v[157:158], v[155:156]
	v_fma_f64 v[161:162], v[8:9], v[14:15], v[163:164]
	v_fma_f64 v[163:164], v[6:7], v[14:15], -v[16:17]
	ds_load_b128 v[6:9], v1 offset:976
	scratch_load_b128 v[14:17], off, off offset:304
	s_wait_loadcnt_dscnt 0x901
	v_mul_f64_e32 v[157:158], v[2:3], v[20:21]
	v_mul_f64_e32 v[20:21], v[4:5], v[20:21]
	v_add_f64_e32 v[153:154], v[153:154], v[165:166]
	v_add_f64_e32 v[155:156], v[155:156], v[159:160]
	s_wait_loadcnt_dscnt 0x800
	v_mul_f64_e32 v[159:160], v[6:7], v[24:25]
	v_mul_f64_e32 v[24:25], v[8:9], v[24:25]
	v_fma_f64 v[157:158], v[4:5], v[18:19], v[157:158]
	v_fma_f64 v[165:166], v[2:3], v[18:19], -v[20:21]
	ds_load_b128 v[2:5], v1 offset:992
	scratch_load_b128 v[18:21], off, off offset:320
	v_add_f64_e32 v[153:154], v[153:154], v[163:164]
	v_add_f64_e32 v[155:156], v[155:156], v[161:162]
	v_fma_f64 v[159:160], v[8:9], v[22:23], v[159:160]
	v_fma_f64 v[163:164], v[6:7], v[22:23], -v[24:25]
	ds_load_b128 v[6:9], v1 offset:1008
	s_wait_loadcnt_dscnt 0x801
	v_mul_f64_e32 v[161:162], v[2:3], v[28:29]
	v_mul_f64_e32 v[28:29], v[4:5], v[28:29]
	scratch_load_b128 v[22:25], off, off offset:336
	v_add_f64_e32 v[153:154], v[153:154], v[165:166]
	v_add_f64_e32 v[155:156], v[155:156], v[157:158]
	s_wait_loadcnt_dscnt 0x800
	v_mul_f64_e32 v[157:158], v[6:7], v[32:33]
	v_mul_f64_e32 v[32:33], v[8:9], v[32:33]
	v_fma_f64 v[161:162], v[4:5], v[26:27], v[161:162]
	v_fma_f64 v[165:166], v[2:3], v[26:27], -v[28:29]
	ds_load_b128 v[2:5], v1 offset:1024
	scratch_load_b128 v[26:29], off, off offset:352
	v_add_f64_e32 v[153:154], v[153:154], v[163:164]
	v_add_f64_e32 v[155:156], v[155:156], v[159:160]
	v_fma_f64 v[157:158], v[8:9], v[30:31], v[157:158]
	v_fma_f64 v[163:164], v[6:7], v[30:31], -v[32:33]
	ds_load_b128 v[6:9], v1 offset:1040
	s_wait_loadcnt_dscnt 0x801
	v_mul_f64_e32 v[159:160], v[2:3], v[36:37]
	v_mul_f64_e32 v[36:37], v[4:5], v[36:37]
	scratch_load_b128 v[30:33], off, off offset:368
	v_add_f64_e32 v[153:154], v[153:154], v[165:166]
	v_add_f64_e32 v[155:156], v[155:156], v[161:162]
	s_wait_loadcnt_dscnt 0x800
	v_mul_f64_e32 v[161:162], v[6:7], v[151:152]
	v_mul_f64_e32 v[151:152], v[8:9], v[151:152]
	v_fma_f64 v[159:160], v[4:5], v[34:35], v[159:160]
	v_fma_f64 v[165:166], v[2:3], v[34:35], -v[36:37]
	ds_load_b128 v[2:5], v1 offset:1056
	scratch_load_b128 v[34:37], off, off offset:384
	v_add_f64_e32 v[153:154], v[153:154], v[163:164]
	v_add_f64_e32 v[155:156], v[155:156], v[157:158]
	v_fma_f64 v[161:162], v[8:9], v[149:150], v[161:162]
	v_fma_f64 v[163:164], v[6:7], v[149:150], -v[151:152]
	ds_load_b128 v[6:9], v1 offset:1072
	scratch_load_b128 v[149:152], off, off offset:400
	s_wait_loadcnt_dscnt 0x901
	v_mul_f64_e32 v[157:158], v[2:3], v[40:41]
	v_mul_f64_e32 v[40:41], v[4:5], v[40:41]
	v_add_f64_e32 v[153:154], v[153:154], v[165:166]
	v_add_f64_e32 v[155:156], v[155:156], v[159:160]
	s_wait_loadcnt_dscnt 0x800
	v_mul_f64_e32 v[159:160], v[6:7], v[147:148]
	v_mul_f64_e32 v[147:148], v[8:9], v[147:148]
	v_fma_f64 v[157:158], v[4:5], v[38:39], v[157:158]
	v_fma_f64 v[165:166], v[2:3], v[38:39], -v[40:41]
	ds_load_b128 v[2:5], v1 offset:1088
	scratch_load_b128 v[38:41], off, off offset:416
	v_add_f64_e32 v[153:154], v[153:154], v[163:164]
	v_add_f64_e32 v[155:156], v[155:156], v[161:162]
	v_fma_f64 v[159:160], v[8:9], v[145:146], v[159:160]
	v_fma_f64 v[163:164], v[6:7], v[145:146], -v[147:148]
	ds_load_b128 v[6:9], v1 offset:1104
	s_wait_loadcnt_dscnt 0x801
	v_mul_f64_e32 v[161:162], v[2:3], v[12:13]
	v_mul_f64_e32 v[12:13], v[4:5], v[12:13]
	scratch_load_b128 v[145:148], off, off offset:432
	v_add_f64_e32 v[153:154], v[153:154], v[165:166]
	v_add_f64_e32 v[155:156], v[155:156], v[157:158]
	s_wait_loadcnt_dscnt 0x800
	v_mul_f64_e32 v[157:158], v[6:7], v[16:17]
	v_mul_f64_e32 v[16:17], v[8:9], v[16:17]
	v_fma_f64 v[161:162], v[4:5], v[10:11], v[161:162]
	v_fma_f64 v[165:166], v[2:3], v[10:11], -v[12:13]
	ds_load_b128 v[2:5], v1 offset:1120
	scratch_load_b128 v[10:13], off, off offset:448
	v_add_f64_e32 v[153:154], v[153:154], v[163:164]
	v_add_f64_e32 v[155:156], v[155:156], v[159:160]
	v_fma_f64 v[157:158], v[8:9], v[14:15], v[157:158]
	v_fma_f64 v[163:164], v[6:7], v[14:15], -v[16:17]
	ds_load_b128 v[6:9], v1 offset:1136
	s_wait_loadcnt_dscnt 0x801
	v_mul_f64_e32 v[159:160], v[2:3], v[20:21]
	v_mul_f64_e32 v[20:21], v[4:5], v[20:21]
	scratch_load_b128 v[14:17], off, off offset:464
	;; [unrolled: 18-line block ×13, first 2 shown]
	v_add_f64_e32 v[153:154], v[153:154], v[165:166]
	v_add_f64_e32 v[155:156], v[155:156], v[157:158]
	s_wait_loadcnt_dscnt 0x800
	v_mul_f64_e32 v[157:158], v[6:7], v[32:33]
	v_mul_f64_e32 v[32:33], v[8:9], v[32:33]
	v_fma_f64 v[161:162], v[4:5], v[26:27], v[161:162]
	v_fma_f64 v[26:27], v[2:3], v[26:27], -v[28:29]
	ds_load_b128 v[2:5], v1 offset:1504
	v_add_f64_e32 v[28:29], v[153:154], v[163:164]
	v_add_f64_e32 v[153:154], v[155:156], v[159:160]
	v_fma_f64 v[157:158], v[8:9], v[30:31], v[157:158]
	v_fma_f64 v[30:31], v[6:7], v[30:31], -v[32:33]
	ds_load_b128 v[6:9], v1 offset:1520
	s_wait_loadcnt_dscnt 0x701
	v_mul_f64_e32 v[155:156], v[2:3], v[36:37]
	v_mul_f64_e32 v[36:37], v[4:5], v[36:37]
	v_add_f64_e32 v[26:27], v[28:29], v[26:27]
	v_add_f64_e32 v[28:29], v[153:154], v[161:162]
	s_delay_alu instid0(VALU_DEP_4) | instskip(NEXT) | instid1(VALU_DEP_4)
	v_fma_f64 v[153:154], v[4:5], v[34:35], v[155:156]
	v_fma_f64 v[34:35], v[2:3], v[34:35], -v[36:37]
	ds_load_b128 v[2:5], v1 offset:1536
	v_add_f64_e32 v[30:31], v[26:27], v[30:31]
	v_add_f64_e32 v[36:37], v[28:29], v[157:158]
	scratch_load_b128 v[26:29], off, off offset:80
	s_wait_loadcnt_dscnt 0x701
	v_mul_f64_e32 v[32:33], v[6:7], v[151:152]
	v_mul_f64_e32 v[151:152], v[8:9], v[151:152]
	v_add_f64_e32 v[30:31], v[30:31], v[34:35]
	v_add_f64_e32 v[34:35], v[36:37], v[153:154]
	s_delay_alu instid0(VALU_DEP_4) | instskip(NEXT) | instid1(VALU_DEP_4)
	v_fma_f64 v[32:33], v[8:9], v[149:150], v[32:33]
	v_fma_f64 v[149:150], v[6:7], v[149:150], -v[151:152]
	ds_load_b128 v[6:9], v1 offset:1552
	s_wait_loadcnt_dscnt 0x601
	v_mul_f64_e32 v[155:156], v[2:3], v[40:41]
	v_mul_f64_e32 v[40:41], v[4:5], v[40:41]
	s_wait_loadcnt_dscnt 0x500
	v_mul_f64_e32 v[36:37], v[6:7], v[147:148]
	v_mul_f64_e32 v[147:148], v[8:9], v[147:148]
	v_add_f64_e32 v[32:33], v[34:35], v[32:33]
	v_add_f64_e32 v[30:31], v[30:31], v[149:150]
	v_fma_f64 v[151:152], v[4:5], v[38:39], v[155:156]
	v_fma_f64 v[38:39], v[2:3], v[38:39], -v[40:41]
	ds_load_b128 v[2:5], v1 offset:1568
	v_fma_f64 v[36:37], v[8:9], v[145:146], v[36:37]
	v_fma_f64 v[40:41], v[6:7], v[145:146], -v[147:148]
	ds_load_b128 v[6:9], v1 offset:1584
	s_wait_loadcnt_dscnt 0x401
	v_mul_f64_e32 v[34:35], v[2:3], v[12:13]
	v_mul_f64_e32 v[12:13], v[4:5], v[12:13]
	v_add_f64_e32 v[32:33], v[32:33], v[151:152]
	v_add_f64_e32 v[30:31], v[30:31], v[38:39]
	s_wait_loadcnt_dscnt 0x300
	v_mul_f64_e32 v[38:39], v[6:7], v[16:17]
	v_mul_f64_e32 v[16:17], v[8:9], v[16:17]
	v_fma_f64 v[34:35], v[4:5], v[10:11], v[34:35]
	v_fma_f64 v[10:11], v[2:3], v[10:11], -v[12:13]
	ds_load_b128 v[2:5], v1 offset:1600
	v_add_f64_e32 v[12:13], v[30:31], v[40:41]
	v_add_f64_e32 v[30:31], v[32:33], v[36:37]
	v_fma_f64 v[36:37], v[8:9], v[14:15], v[38:39]
	v_fma_f64 v[14:15], v[6:7], v[14:15], -v[16:17]
	ds_load_b128 v[6:9], v1 offset:1616
	s_wait_loadcnt_dscnt 0x201
	v_mul_f64_e32 v[32:33], v[2:3], v[20:21]
	v_mul_f64_e32 v[20:21], v[4:5], v[20:21]
	s_wait_loadcnt_dscnt 0x100
	v_mul_f64_e32 v[16:17], v[6:7], v[24:25]
	v_mul_f64_e32 v[24:25], v[8:9], v[24:25]
	v_add_f64_e32 v[10:11], v[12:13], v[10:11]
	v_add_f64_e32 v[12:13], v[30:31], v[34:35]
	v_fma_f64 v[4:5], v[4:5], v[18:19], v[32:33]
	v_fma_f64 v[1:2], v[2:3], v[18:19], -v[20:21]
	v_fma_f64 v[8:9], v[8:9], v[22:23], v[16:17]
	v_fma_f64 v[6:7], v[6:7], v[22:23], -v[24:25]
	v_add_f64_e32 v[10:11], v[10:11], v[14:15]
	v_add_f64_e32 v[12:13], v[12:13], v[36:37]
	s_delay_alu instid0(VALU_DEP_2) | instskip(NEXT) | instid1(VALU_DEP_2)
	v_add_f64_e32 v[1:2], v[10:11], v[1:2]
	v_add_f64_e32 v[3:4], v[12:13], v[4:5]
	s_delay_alu instid0(VALU_DEP_2) | instskip(NEXT) | instid1(VALU_DEP_2)
	v_add_f64_e32 v[1:2], v[1:2], v[6:7]
	v_add_f64_e32 v[3:4], v[3:4], v[8:9]
	s_wait_loadcnt 0x0
	s_delay_alu instid0(VALU_DEP_2) | instskip(NEXT) | instid1(VALU_DEP_2)
	v_add_f64_e64 v[1:2], v[26:27], -v[1:2]
	v_add_f64_e64 v[3:4], v[28:29], -v[3:4]
	scratch_store_b128 off, v[1:4], off offset:80
	v_cmpx_lt_u32_e32 3, v0
	s_cbranch_execz .LBB50_313
; %bb.312:
	scratch_load_b128 v[1:4], off, s41
	v_mov_b32_e32 v5, 0
	s_delay_alu instid0(VALU_DEP_1)
	v_dual_mov_b32 v6, v5 :: v_dual_mov_b32 v7, v5
	v_mov_b32_e32 v8, v5
	scratch_store_b128 off, v[5:8], off offset:64
	s_wait_loadcnt 0x0
	ds_store_b128 v144, v[1:4]
.LBB50_313:
	s_wait_alu 0xfffe
	s_or_b32 exec_lo, exec_lo, s0
	s_wait_storecnt_dscnt 0x0
	s_barrier_signal -1
	s_barrier_wait -1
	global_inv scope:SCOPE_SE
	s_clause 0x7
	scratch_load_b128 v[2:5], off, off offset:80
	scratch_load_b128 v[6:9], off, off offset:96
	;; [unrolled: 1-line block ×8, first 2 shown]
	v_mov_b32_e32 v1, 0
	s_clause 0x1
	scratch_load_b128 v[34:37], off, off offset:208
	scratch_load_b128 v[149:152], off, off offset:224
	s_mov_b32 s0, exec_lo
	ds_load_b128 v[38:41], v1 offset:880
	ds_load_b128 v[145:148], v1 offset:896
	s_wait_loadcnt_dscnt 0x901
	v_mul_f64_e32 v[153:154], v[40:41], v[4:5]
	v_mul_f64_e32 v[4:5], v[38:39], v[4:5]
	s_wait_loadcnt_dscnt 0x800
	v_mul_f64_e32 v[155:156], v[145:146], v[8:9]
	v_mul_f64_e32 v[8:9], v[147:148], v[8:9]
	s_delay_alu instid0(VALU_DEP_4) | instskip(NEXT) | instid1(VALU_DEP_4)
	v_fma_f64 v[153:154], v[38:39], v[2:3], -v[153:154]
	v_fma_f64 v[157:158], v[40:41], v[2:3], v[4:5]
	ds_load_b128 v[2:5], v1 offset:912
	scratch_load_b128 v[38:41], off, off offset:240
	v_fma_f64 v[155:156], v[147:148], v[6:7], v[155:156]
	v_fma_f64 v[161:162], v[145:146], v[6:7], -v[8:9]
	ds_load_b128 v[6:9], v1 offset:928
	scratch_load_b128 v[145:148], off, off offset:256
	s_wait_loadcnt_dscnt 0x901
	v_mul_f64_e32 v[159:160], v[2:3], v[12:13]
	v_mul_f64_e32 v[12:13], v[4:5], v[12:13]
	s_wait_loadcnt_dscnt 0x800
	v_mul_f64_e32 v[163:164], v[6:7], v[16:17]
	v_mul_f64_e32 v[16:17], v[8:9], v[16:17]
	v_add_f64_e32 v[153:154], 0, v[153:154]
	v_add_f64_e32 v[157:158], 0, v[157:158]
	v_fma_f64 v[159:160], v[4:5], v[10:11], v[159:160]
	v_fma_f64 v[165:166], v[2:3], v[10:11], -v[12:13]
	ds_load_b128 v[2:5], v1 offset:944
	scratch_load_b128 v[10:13], off, off offset:272
	v_add_f64_e32 v[153:154], v[153:154], v[161:162]
	v_add_f64_e32 v[155:156], v[157:158], v[155:156]
	v_fma_f64 v[161:162], v[8:9], v[14:15], v[163:164]
	v_fma_f64 v[163:164], v[6:7], v[14:15], -v[16:17]
	ds_load_b128 v[6:9], v1 offset:960
	scratch_load_b128 v[14:17], off, off offset:288
	s_wait_loadcnt_dscnt 0x901
	v_mul_f64_e32 v[157:158], v[2:3], v[20:21]
	v_mul_f64_e32 v[20:21], v[4:5], v[20:21]
	v_add_f64_e32 v[153:154], v[153:154], v[165:166]
	v_add_f64_e32 v[155:156], v[155:156], v[159:160]
	s_wait_loadcnt_dscnt 0x800
	v_mul_f64_e32 v[159:160], v[6:7], v[24:25]
	v_mul_f64_e32 v[24:25], v[8:9], v[24:25]
	v_fma_f64 v[157:158], v[4:5], v[18:19], v[157:158]
	v_fma_f64 v[165:166], v[2:3], v[18:19], -v[20:21]
	ds_load_b128 v[2:5], v1 offset:976
	scratch_load_b128 v[18:21], off, off offset:304
	v_add_f64_e32 v[153:154], v[153:154], v[163:164]
	v_add_f64_e32 v[155:156], v[155:156], v[161:162]
	v_fma_f64 v[159:160], v[8:9], v[22:23], v[159:160]
	v_fma_f64 v[163:164], v[6:7], v[22:23], -v[24:25]
	ds_load_b128 v[6:9], v1 offset:992
	s_wait_loadcnt_dscnt 0x801
	v_mul_f64_e32 v[161:162], v[2:3], v[28:29]
	v_mul_f64_e32 v[28:29], v[4:5], v[28:29]
	scratch_load_b128 v[22:25], off, off offset:320
	v_add_f64_e32 v[153:154], v[153:154], v[165:166]
	v_add_f64_e32 v[155:156], v[155:156], v[157:158]
	s_wait_loadcnt_dscnt 0x800
	v_mul_f64_e32 v[157:158], v[6:7], v[32:33]
	v_mul_f64_e32 v[32:33], v[8:9], v[32:33]
	v_fma_f64 v[161:162], v[4:5], v[26:27], v[161:162]
	v_fma_f64 v[165:166], v[2:3], v[26:27], -v[28:29]
	ds_load_b128 v[2:5], v1 offset:1008
	scratch_load_b128 v[26:29], off, off offset:336
	v_add_f64_e32 v[153:154], v[153:154], v[163:164]
	v_add_f64_e32 v[155:156], v[155:156], v[159:160]
	v_fma_f64 v[157:158], v[8:9], v[30:31], v[157:158]
	v_fma_f64 v[163:164], v[6:7], v[30:31], -v[32:33]
	ds_load_b128 v[6:9], v1 offset:1024
	s_wait_loadcnt_dscnt 0x801
	v_mul_f64_e32 v[159:160], v[2:3], v[36:37]
	v_mul_f64_e32 v[36:37], v[4:5], v[36:37]
	scratch_load_b128 v[30:33], off, off offset:352
	v_add_f64_e32 v[153:154], v[153:154], v[165:166]
	v_add_f64_e32 v[155:156], v[155:156], v[161:162]
	s_wait_loadcnt_dscnt 0x800
	v_mul_f64_e32 v[161:162], v[6:7], v[151:152]
	v_mul_f64_e32 v[151:152], v[8:9], v[151:152]
	v_fma_f64 v[159:160], v[4:5], v[34:35], v[159:160]
	v_fma_f64 v[165:166], v[2:3], v[34:35], -v[36:37]
	ds_load_b128 v[2:5], v1 offset:1040
	scratch_load_b128 v[34:37], off, off offset:368
	v_add_f64_e32 v[153:154], v[153:154], v[163:164]
	v_add_f64_e32 v[155:156], v[155:156], v[157:158]
	v_fma_f64 v[161:162], v[8:9], v[149:150], v[161:162]
	v_fma_f64 v[163:164], v[6:7], v[149:150], -v[151:152]
	ds_load_b128 v[6:9], v1 offset:1056
	scratch_load_b128 v[149:152], off, off offset:384
	s_wait_loadcnt_dscnt 0x901
	v_mul_f64_e32 v[157:158], v[2:3], v[40:41]
	v_mul_f64_e32 v[40:41], v[4:5], v[40:41]
	v_add_f64_e32 v[153:154], v[153:154], v[165:166]
	v_add_f64_e32 v[155:156], v[155:156], v[159:160]
	s_wait_loadcnt_dscnt 0x800
	v_mul_f64_e32 v[159:160], v[6:7], v[147:148]
	v_mul_f64_e32 v[147:148], v[8:9], v[147:148]
	v_fma_f64 v[157:158], v[4:5], v[38:39], v[157:158]
	v_fma_f64 v[165:166], v[2:3], v[38:39], -v[40:41]
	ds_load_b128 v[2:5], v1 offset:1072
	scratch_load_b128 v[38:41], off, off offset:400
	v_add_f64_e32 v[153:154], v[153:154], v[163:164]
	v_add_f64_e32 v[155:156], v[155:156], v[161:162]
	v_fma_f64 v[159:160], v[8:9], v[145:146], v[159:160]
	v_fma_f64 v[163:164], v[6:7], v[145:146], -v[147:148]
	ds_load_b128 v[6:9], v1 offset:1088
	s_wait_loadcnt_dscnt 0x801
	v_mul_f64_e32 v[161:162], v[2:3], v[12:13]
	v_mul_f64_e32 v[12:13], v[4:5], v[12:13]
	scratch_load_b128 v[145:148], off, off offset:416
	v_add_f64_e32 v[153:154], v[153:154], v[165:166]
	v_add_f64_e32 v[155:156], v[155:156], v[157:158]
	s_wait_loadcnt_dscnt 0x800
	v_mul_f64_e32 v[157:158], v[6:7], v[16:17]
	v_mul_f64_e32 v[16:17], v[8:9], v[16:17]
	v_fma_f64 v[161:162], v[4:5], v[10:11], v[161:162]
	v_fma_f64 v[165:166], v[2:3], v[10:11], -v[12:13]
	ds_load_b128 v[2:5], v1 offset:1104
	scratch_load_b128 v[10:13], off, off offset:432
	v_add_f64_e32 v[153:154], v[153:154], v[163:164]
	v_add_f64_e32 v[155:156], v[155:156], v[159:160]
	v_fma_f64 v[157:158], v[8:9], v[14:15], v[157:158]
	v_fma_f64 v[163:164], v[6:7], v[14:15], -v[16:17]
	ds_load_b128 v[6:9], v1 offset:1120
	s_wait_loadcnt_dscnt 0x801
	v_mul_f64_e32 v[159:160], v[2:3], v[20:21]
	v_mul_f64_e32 v[20:21], v[4:5], v[20:21]
	scratch_load_b128 v[14:17], off, off offset:448
	;; [unrolled: 18-line block ×13, first 2 shown]
	v_add_f64_e32 v[153:154], v[153:154], v[165:166]
	v_add_f64_e32 v[155:156], v[155:156], v[157:158]
	s_wait_loadcnt_dscnt 0x800
	v_mul_f64_e32 v[157:158], v[6:7], v[32:33]
	v_mul_f64_e32 v[32:33], v[8:9], v[32:33]
	v_fma_f64 v[161:162], v[4:5], v[26:27], v[161:162]
	v_fma_f64 v[165:166], v[2:3], v[26:27], -v[28:29]
	ds_load_b128 v[2:5], v1 offset:1488
	scratch_load_b128 v[26:29], off, off offset:816
	v_add_f64_e32 v[153:154], v[153:154], v[163:164]
	v_add_f64_e32 v[155:156], v[155:156], v[159:160]
	v_fma_f64 v[157:158], v[8:9], v[30:31], v[157:158]
	v_fma_f64 v[30:31], v[6:7], v[30:31], -v[32:33]
	ds_load_b128 v[6:9], v1 offset:1504
	s_wait_loadcnt_dscnt 0x801
	v_mul_f64_e32 v[159:160], v[2:3], v[36:37]
	v_mul_f64_e32 v[36:37], v[4:5], v[36:37]
	v_add_f64_e32 v[32:33], v[153:154], v[165:166]
	v_add_f64_e32 v[153:154], v[155:156], v[161:162]
	s_wait_loadcnt_dscnt 0x700
	v_mul_f64_e32 v[155:156], v[6:7], v[151:152]
	v_mul_f64_e32 v[151:152], v[8:9], v[151:152]
	v_fma_f64 v[159:160], v[4:5], v[34:35], v[159:160]
	v_fma_f64 v[34:35], v[2:3], v[34:35], -v[36:37]
	ds_load_b128 v[2:5], v1 offset:1520
	v_add_f64_e32 v[30:31], v[32:33], v[30:31]
	v_add_f64_e32 v[32:33], v[153:154], v[157:158]
	v_fma_f64 v[153:154], v[8:9], v[149:150], v[155:156]
	v_fma_f64 v[149:150], v[6:7], v[149:150], -v[151:152]
	ds_load_b128 v[6:9], v1 offset:1536
	s_wait_loadcnt_dscnt 0x500
	v_mul_f64_e32 v[155:156], v[6:7], v[147:148]
	v_mul_f64_e32 v[147:148], v[8:9], v[147:148]
	v_add_f64_e32 v[34:35], v[30:31], v[34:35]
	v_add_f64_e32 v[151:152], v[32:33], v[159:160]
	scratch_load_b128 v[30:33], off, off offset:64
	v_mul_f64_e32 v[36:37], v[2:3], v[40:41]
	v_mul_f64_e32 v[40:41], v[4:5], v[40:41]
	v_add_f64_e32 v[34:35], v[34:35], v[149:150]
	s_delay_alu instid0(VALU_DEP_3) | instskip(NEXT) | instid1(VALU_DEP_3)
	v_fma_f64 v[36:37], v[4:5], v[38:39], v[36:37]
	v_fma_f64 v[38:39], v[2:3], v[38:39], -v[40:41]
	v_add_f64_e32 v[40:41], v[151:152], v[153:154]
	ds_load_b128 v[2:5], v1 offset:1552
	v_fma_f64 v[151:152], v[8:9], v[145:146], v[155:156]
	v_fma_f64 v[145:146], v[6:7], v[145:146], -v[147:148]
	ds_load_b128 v[6:9], v1 offset:1568
	s_wait_loadcnt_dscnt 0x501
	v_mul_f64_e32 v[149:150], v[2:3], v[12:13]
	v_mul_f64_e32 v[12:13], v[4:5], v[12:13]
	v_add_f64_e32 v[34:35], v[34:35], v[38:39]
	v_add_f64_e32 v[36:37], v[40:41], v[36:37]
	s_wait_loadcnt_dscnt 0x400
	v_mul_f64_e32 v[38:39], v[6:7], v[16:17]
	v_mul_f64_e32 v[16:17], v[8:9], v[16:17]
	v_fma_f64 v[40:41], v[4:5], v[10:11], v[149:150]
	v_fma_f64 v[10:11], v[2:3], v[10:11], -v[12:13]
	ds_load_b128 v[2:5], v1 offset:1584
	v_add_f64_e32 v[12:13], v[34:35], v[145:146]
	v_add_f64_e32 v[34:35], v[36:37], v[151:152]
	v_fma_f64 v[38:39], v[8:9], v[14:15], v[38:39]
	v_fma_f64 v[14:15], v[6:7], v[14:15], -v[16:17]
	ds_load_b128 v[6:9], v1 offset:1600
	s_wait_loadcnt_dscnt 0x301
	v_mul_f64_e32 v[36:37], v[2:3], v[20:21]
	v_mul_f64_e32 v[20:21], v[4:5], v[20:21]
	s_wait_loadcnt_dscnt 0x200
	v_mul_f64_e32 v[16:17], v[6:7], v[24:25]
	v_mul_f64_e32 v[24:25], v[8:9], v[24:25]
	v_add_f64_e32 v[10:11], v[12:13], v[10:11]
	v_add_f64_e32 v[12:13], v[34:35], v[40:41]
	v_fma_f64 v[34:35], v[4:5], v[18:19], v[36:37]
	v_fma_f64 v[18:19], v[2:3], v[18:19], -v[20:21]
	ds_load_b128 v[2:5], v1 offset:1616
	v_fma_f64 v[8:9], v[8:9], v[22:23], v[16:17]
	v_fma_f64 v[6:7], v[6:7], v[22:23], -v[24:25]
	s_wait_loadcnt_dscnt 0x100
	v_mul_f64_e32 v[20:21], v[4:5], v[28:29]
	v_add_f64_e32 v[10:11], v[10:11], v[14:15]
	v_add_f64_e32 v[12:13], v[12:13], v[38:39]
	v_mul_f64_e32 v[14:15], v[2:3], v[28:29]
	s_delay_alu instid0(VALU_DEP_4) | instskip(NEXT) | instid1(VALU_DEP_4)
	v_fma_f64 v[2:3], v[2:3], v[26:27], -v[20:21]
	v_add_f64_e32 v[10:11], v[10:11], v[18:19]
	s_delay_alu instid0(VALU_DEP_4) | instskip(NEXT) | instid1(VALU_DEP_4)
	v_add_f64_e32 v[12:13], v[12:13], v[34:35]
	v_fma_f64 v[4:5], v[4:5], v[26:27], v[14:15]
	s_delay_alu instid0(VALU_DEP_3) | instskip(NEXT) | instid1(VALU_DEP_3)
	v_add_f64_e32 v[6:7], v[10:11], v[6:7]
	v_add_f64_e32 v[8:9], v[12:13], v[8:9]
	s_delay_alu instid0(VALU_DEP_2) | instskip(NEXT) | instid1(VALU_DEP_2)
	v_add_f64_e32 v[2:3], v[6:7], v[2:3]
	v_add_f64_e32 v[4:5], v[8:9], v[4:5]
	s_wait_loadcnt 0x0
	s_delay_alu instid0(VALU_DEP_2) | instskip(NEXT) | instid1(VALU_DEP_2)
	v_add_f64_e64 v[2:3], v[30:31], -v[2:3]
	v_add_f64_e64 v[4:5], v[32:33], -v[4:5]
	scratch_store_b128 off, v[2:5], off offset:64
	v_cmpx_lt_u32_e32 2, v0
	s_cbranch_execz .LBB50_315
; %bb.314:
	scratch_load_b128 v[5:8], off, s43
	v_dual_mov_b32 v2, v1 :: v_dual_mov_b32 v3, v1
	v_mov_b32_e32 v4, v1
	scratch_store_b128 off, v[1:4], off offset:48
	s_wait_loadcnt 0x0
	ds_store_b128 v144, v[5:8]
.LBB50_315:
	s_wait_alu 0xfffe
	s_or_b32 exec_lo, exec_lo, s0
	s_wait_storecnt_dscnt 0x0
	s_barrier_signal -1
	s_barrier_wait -1
	global_inv scope:SCOPE_SE
	s_clause 0x7
	scratch_load_b128 v[2:5], off, off offset:64
	scratch_load_b128 v[6:9], off, off offset:80
	;; [unrolled: 1-line block ×8, first 2 shown]
	ds_load_b128 v[38:41], v1 offset:864
	ds_load_b128 v[145:148], v1 offset:880
	s_clause 0x1
	scratch_load_b128 v[34:37], off, off offset:192
	scratch_load_b128 v[149:152], off, off offset:208
	s_mov_b32 s0, exec_lo
	s_wait_loadcnt_dscnt 0x901
	v_mul_f64_e32 v[153:154], v[40:41], v[4:5]
	v_mul_f64_e32 v[4:5], v[38:39], v[4:5]
	s_wait_loadcnt_dscnt 0x800
	v_mul_f64_e32 v[155:156], v[145:146], v[8:9]
	v_mul_f64_e32 v[8:9], v[147:148], v[8:9]
	s_delay_alu instid0(VALU_DEP_4) | instskip(NEXT) | instid1(VALU_DEP_4)
	v_fma_f64 v[153:154], v[38:39], v[2:3], -v[153:154]
	v_fma_f64 v[157:158], v[40:41], v[2:3], v[4:5]
	ds_load_b128 v[2:5], v1 offset:896
	scratch_load_b128 v[38:41], off, off offset:224
	v_fma_f64 v[155:156], v[147:148], v[6:7], v[155:156]
	v_fma_f64 v[161:162], v[145:146], v[6:7], -v[8:9]
	ds_load_b128 v[6:9], v1 offset:912
	scratch_load_b128 v[145:148], off, off offset:240
	s_wait_loadcnt_dscnt 0x901
	v_mul_f64_e32 v[159:160], v[2:3], v[12:13]
	v_mul_f64_e32 v[12:13], v[4:5], v[12:13]
	s_wait_loadcnt_dscnt 0x800
	v_mul_f64_e32 v[163:164], v[6:7], v[16:17]
	v_mul_f64_e32 v[16:17], v[8:9], v[16:17]
	v_add_f64_e32 v[153:154], 0, v[153:154]
	v_add_f64_e32 v[157:158], 0, v[157:158]
	v_fma_f64 v[159:160], v[4:5], v[10:11], v[159:160]
	v_fma_f64 v[165:166], v[2:3], v[10:11], -v[12:13]
	ds_load_b128 v[2:5], v1 offset:928
	scratch_load_b128 v[10:13], off, off offset:256
	v_add_f64_e32 v[153:154], v[153:154], v[161:162]
	v_add_f64_e32 v[155:156], v[157:158], v[155:156]
	v_fma_f64 v[161:162], v[8:9], v[14:15], v[163:164]
	v_fma_f64 v[163:164], v[6:7], v[14:15], -v[16:17]
	ds_load_b128 v[6:9], v1 offset:944
	scratch_load_b128 v[14:17], off, off offset:272
	s_wait_loadcnt_dscnt 0x901
	v_mul_f64_e32 v[157:158], v[2:3], v[20:21]
	v_mul_f64_e32 v[20:21], v[4:5], v[20:21]
	v_add_f64_e32 v[153:154], v[153:154], v[165:166]
	v_add_f64_e32 v[155:156], v[155:156], v[159:160]
	s_wait_loadcnt_dscnt 0x800
	v_mul_f64_e32 v[159:160], v[6:7], v[24:25]
	v_mul_f64_e32 v[24:25], v[8:9], v[24:25]
	v_fma_f64 v[157:158], v[4:5], v[18:19], v[157:158]
	v_fma_f64 v[165:166], v[2:3], v[18:19], -v[20:21]
	ds_load_b128 v[2:5], v1 offset:960
	scratch_load_b128 v[18:21], off, off offset:288
	v_add_f64_e32 v[153:154], v[153:154], v[163:164]
	v_add_f64_e32 v[155:156], v[155:156], v[161:162]
	v_fma_f64 v[159:160], v[8:9], v[22:23], v[159:160]
	v_fma_f64 v[163:164], v[6:7], v[22:23], -v[24:25]
	ds_load_b128 v[6:9], v1 offset:976
	s_wait_loadcnt_dscnt 0x801
	v_mul_f64_e32 v[161:162], v[2:3], v[28:29]
	v_mul_f64_e32 v[28:29], v[4:5], v[28:29]
	scratch_load_b128 v[22:25], off, off offset:304
	v_add_f64_e32 v[153:154], v[153:154], v[165:166]
	v_add_f64_e32 v[155:156], v[155:156], v[157:158]
	s_wait_loadcnt_dscnt 0x800
	v_mul_f64_e32 v[157:158], v[6:7], v[32:33]
	v_mul_f64_e32 v[32:33], v[8:9], v[32:33]
	v_fma_f64 v[161:162], v[4:5], v[26:27], v[161:162]
	v_fma_f64 v[165:166], v[2:3], v[26:27], -v[28:29]
	ds_load_b128 v[2:5], v1 offset:992
	scratch_load_b128 v[26:29], off, off offset:320
	v_add_f64_e32 v[153:154], v[153:154], v[163:164]
	v_add_f64_e32 v[155:156], v[155:156], v[159:160]
	v_fma_f64 v[157:158], v[8:9], v[30:31], v[157:158]
	v_fma_f64 v[163:164], v[6:7], v[30:31], -v[32:33]
	ds_load_b128 v[6:9], v1 offset:1008
	s_wait_loadcnt_dscnt 0x801
	v_mul_f64_e32 v[159:160], v[2:3], v[36:37]
	v_mul_f64_e32 v[36:37], v[4:5], v[36:37]
	scratch_load_b128 v[30:33], off, off offset:336
	v_add_f64_e32 v[153:154], v[153:154], v[165:166]
	v_add_f64_e32 v[155:156], v[155:156], v[161:162]
	s_wait_loadcnt_dscnt 0x800
	v_mul_f64_e32 v[161:162], v[6:7], v[151:152]
	v_mul_f64_e32 v[151:152], v[8:9], v[151:152]
	v_fma_f64 v[159:160], v[4:5], v[34:35], v[159:160]
	v_fma_f64 v[165:166], v[2:3], v[34:35], -v[36:37]
	ds_load_b128 v[2:5], v1 offset:1024
	scratch_load_b128 v[34:37], off, off offset:352
	v_add_f64_e32 v[153:154], v[153:154], v[163:164]
	v_add_f64_e32 v[155:156], v[155:156], v[157:158]
	v_fma_f64 v[161:162], v[8:9], v[149:150], v[161:162]
	v_fma_f64 v[163:164], v[6:7], v[149:150], -v[151:152]
	ds_load_b128 v[6:9], v1 offset:1040
	scratch_load_b128 v[149:152], off, off offset:368
	s_wait_loadcnt_dscnt 0x901
	v_mul_f64_e32 v[157:158], v[2:3], v[40:41]
	v_mul_f64_e32 v[40:41], v[4:5], v[40:41]
	v_add_f64_e32 v[153:154], v[153:154], v[165:166]
	v_add_f64_e32 v[155:156], v[155:156], v[159:160]
	s_wait_loadcnt_dscnt 0x800
	v_mul_f64_e32 v[159:160], v[6:7], v[147:148]
	v_mul_f64_e32 v[147:148], v[8:9], v[147:148]
	v_fma_f64 v[157:158], v[4:5], v[38:39], v[157:158]
	v_fma_f64 v[165:166], v[2:3], v[38:39], -v[40:41]
	ds_load_b128 v[2:5], v1 offset:1056
	scratch_load_b128 v[38:41], off, off offset:384
	v_add_f64_e32 v[153:154], v[153:154], v[163:164]
	v_add_f64_e32 v[155:156], v[155:156], v[161:162]
	v_fma_f64 v[159:160], v[8:9], v[145:146], v[159:160]
	v_fma_f64 v[163:164], v[6:7], v[145:146], -v[147:148]
	ds_load_b128 v[6:9], v1 offset:1072
	s_wait_loadcnt_dscnt 0x801
	v_mul_f64_e32 v[161:162], v[2:3], v[12:13]
	v_mul_f64_e32 v[12:13], v[4:5], v[12:13]
	scratch_load_b128 v[145:148], off, off offset:400
	v_add_f64_e32 v[153:154], v[153:154], v[165:166]
	v_add_f64_e32 v[155:156], v[155:156], v[157:158]
	s_wait_loadcnt_dscnt 0x800
	v_mul_f64_e32 v[157:158], v[6:7], v[16:17]
	v_mul_f64_e32 v[16:17], v[8:9], v[16:17]
	v_fma_f64 v[161:162], v[4:5], v[10:11], v[161:162]
	v_fma_f64 v[165:166], v[2:3], v[10:11], -v[12:13]
	ds_load_b128 v[2:5], v1 offset:1088
	scratch_load_b128 v[10:13], off, off offset:416
	v_add_f64_e32 v[153:154], v[153:154], v[163:164]
	v_add_f64_e32 v[155:156], v[155:156], v[159:160]
	v_fma_f64 v[157:158], v[8:9], v[14:15], v[157:158]
	v_fma_f64 v[163:164], v[6:7], v[14:15], -v[16:17]
	ds_load_b128 v[6:9], v1 offset:1104
	s_wait_loadcnt_dscnt 0x801
	v_mul_f64_e32 v[159:160], v[2:3], v[20:21]
	v_mul_f64_e32 v[20:21], v[4:5], v[20:21]
	scratch_load_b128 v[14:17], off, off offset:432
	;; [unrolled: 18-line block ×14, first 2 shown]
	v_add_f64_e32 v[153:154], v[153:154], v[165:166]
	v_add_f64_e32 v[155:156], v[155:156], v[161:162]
	s_wait_loadcnt_dscnt 0x800
	v_mul_f64_e32 v[161:162], v[6:7], v[151:152]
	v_mul_f64_e32 v[151:152], v[8:9], v[151:152]
	v_fma_f64 v[159:160], v[4:5], v[34:35], v[159:160]
	v_fma_f64 v[34:35], v[2:3], v[34:35], -v[36:37]
	ds_load_b128 v[2:5], v1 offset:1504
	v_add_f64_e32 v[36:37], v[153:154], v[163:164]
	v_add_f64_e32 v[153:154], v[155:156], v[157:158]
	v_fma_f64 v[157:158], v[8:9], v[149:150], v[161:162]
	v_fma_f64 v[149:150], v[6:7], v[149:150], -v[151:152]
	ds_load_b128 v[6:9], v1 offset:1520
	s_wait_loadcnt_dscnt 0x701
	v_mul_f64_e32 v[155:156], v[2:3], v[40:41]
	v_mul_f64_e32 v[40:41], v[4:5], v[40:41]
	v_add_f64_e32 v[34:35], v[36:37], v[34:35]
	v_add_f64_e32 v[36:37], v[153:154], v[159:160]
	s_delay_alu instid0(VALU_DEP_4) | instskip(NEXT) | instid1(VALU_DEP_4)
	v_fma_f64 v[153:154], v[4:5], v[38:39], v[155:156]
	v_fma_f64 v[38:39], v[2:3], v[38:39], -v[40:41]
	ds_load_b128 v[2:5], v1 offset:1536
	v_add_f64_e32 v[40:41], v[34:35], v[149:150]
	v_add_f64_e32 v[149:150], v[36:37], v[157:158]
	scratch_load_b128 v[34:37], off, off offset:48
	s_wait_loadcnt_dscnt 0x701
	v_mul_f64_e32 v[151:152], v[6:7], v[147:148]
	v_mul_f64_e32 v[147:148], v[8:9], v[147:148]
	v_add_f64_e32 v[38:39], v[40:41], v[38:39]
	v_add_f64_e32 v[40:41], v[149:150], v[153:154]
	s_delay_alu instid0(VALU_DEP_4) | instskip(NEXT) | instid1(VALU_DEP_4)
	v_fma_f64 v[151:152], v[8:9], v[145:146], v[151:152]
	v_fma_f64 v[145:146], v[6:7], v[145:146], -v[147:148]
	ds_load_b128 v[6:9], v1 offset:1552
	s_wait_loadcnt_dscnt 0x601
	v_mul_f64_e32 v[155:156], v[2:3], v[12:13]
	v_mul_f64_e32 v[12:13], v[4:5], v[12:13]
	s_wait_loadcnt_dscnt 0x500
	v_mul_f64_e32 v[147:148], v[6:7], v[16:17]
	v_mul_f64_e32 v[16:17], v[8:9], v[16:17]
	s_delay_alu instid0(VALU_DEP_4) | instskip(NEXT) | instid1(VALU_DEP_4)
	v_fma_f64 v[149:150], v[4:5], v[10:11], v[155:156]
	v_fma_f64 v[10:11], v[2:3], v[10:11], -v[12:13]
	v_add_f64_e32 v[12:13], v[38:39], v[145:146]
	v_add_f64_e32 v[38:39], v[40:41], v[151:152]
	ds_load_b128 v[2:5], v1 offset:1568
	v_fma_f64 v[145:146], v[8:9], v[14:15], v[147:148]
	v_fma_f64 v[14:15], v[6:7], v[14:15], -v[16:17]
	ds_load_b128 v[6:9], v1 offset:1584
	s_wait_loadcnt_dscnt 0x401
	v_mul_f64_e32 v[40:41], v[2:3], v[20:21]
	v_mul_f64_e32 v[20:21], v[4:5], v[20:21]
	v_add_f64_e32 v[10:11], v[12:13], v[10:11]
	v_add_f64_e32 v[12:13], v[38:39], v[149:150]
	s_wait_loadcnt_dscnt 0x300
	v_mul_f64_e32 v[16:17], v[6:7], v[24:25]
	v_mul_f64_e32 v[24:25], v[8:9], v[24:25]
	v_fma_f64 v[38:39], v[4:5], v[18:19], v[40:41]
	v_fma_f64 v[18:19], v[2:3], v[18:19], -v[20:21]
	ds_load_b128 v[2:5], v1 offset:1600
	v_add_f64_e32 v[10:11], v[10:11], v[14:15]
	v_add_f64_e32 v[12:13], v[12:13], v[145:146]
	v_fma_f64 v[16:17], v[8:9], v[22:23], v[16:17]
	v_fma_f64 v[22:23], v[6:7], v[22:23], -v[24:25]
	ds_load_b128 v[6:9], v1 offset:1616
	s_wait_loadcnt_dscnt 0x201
	v_mul_f64_e32 v[14:15], v[2:3], v[28:29]
	v_mul_f64_e32 v[20:21], v[4:5], v[28:29]
	s_wait_loadcnt_dscnt 0x100
	v_mul_f64_e32 v[24:25], v[8:9], v[32:33]
	v_add_f64_e32 v[10:11], v[10:11], v[18:19]
	v_add_f64_e32 v[12:13], v[12:13], v[38:39]
	v_mul_f64_e32 v[18:19], v[6:7], v[32:33]
	v_fma_f64 v[4:5], v[4:5], v[26:27], v[14:15]
	v_fma_f64 v[1:2], v[2:3], v[26:27], -v[20:21]
	v_fma_f64 v[6:7], v[6:7], v[30:31], -v[24:25]
	v_add_f64_e32 v[10:11], v[10:11], v[22:23]
	v_add_f64_e32 v[12:13], v[12:13], v[16:17]
	v_fma_f64 v[8:9], v[8:9], v[30:31], v[18:19]
	s_delay_alu instid0(VALU_DEP_3) | instskip(NEXT) | instid1(VALU_DEP_3)
	v_add_f64_e32 v[1:2], v[10:11], v[1:2]
	v_add_f64_e32 v[3:4], v[12:13], v[4:5]
	s_delay_alu instid0(VALU_DEP_2) | instskip(NEXT) | instid1(VALU_DEP_2)
	v_add_f64_e32 v[1:2], v[1:2], v[6:7]
	v_add_f64_e32 v[3:4], v[3:4], v[8:9]
	s_wait_loadcnt 0x0
	s_delay_alu instid0(VALU_DEP_2) | instskip(NEXT) | instid1(VALU_DEP_2)
	v_add_f64_e64 v[1:2], v[34:35], -v[1:2]
	v_add_f64_e64 v[3:4], v[36:37], -v[3:4]
	scratch_store_b128 off, v[1:4], off offset:48
	v_cmpx_lt_u32_e32 1, v0
	s_cbranch_execz .LBB50_317
; %bb.316:
	scratch_load_b128 v[1:4], off, s45
	v_mov_b32_e32 v5, 0
	s_delay_alu instid0(VALU_DEP_1)
	v_dual_mov_b32 v6, v5 :: v_dual_mov_b32 v7, v5
	v_mov_b32_e32 v8, v5
	scratch_store_b128 off, v[5:8], off offset:32
	s_wait_loadcnt 0x0
	ds_store_b128 v144, v[1:4]
.LBB50_317:
	s_wait_alu 0xfffe
	s_or_b32 exec_lo, exec_lo, s0
	s_wait_storecnt_dscnt 0x0
	s_barrier_signal -1
	s_barrier_wait -1
	global_inv scope:SCOPE_SE
	s_clause 0x7
	scratch_load_b128 v[2:5], off, off offset:48
	scratch_load_b128 v[6:9], off, off offset:64
	;; [unrolled: 1-line block ×8, first 2 shown]
	v_mov_b32_e32 v1, 0
	s_clause 0x1
	scratch_load_b128 v[34:37], off, off offset:176
	scratch_load_b128 v[149:152], off, off offset:192
	s_mov_b32 s0, exec_lo
	ds_load_b128 v[38:41], v1 offset:848
	ds_load_b128 v[145:148], v1 offset:864
	s_wait_loadcnt_dscnt 0x901
	v_mul_f64_e32 v[153:154], v[40:41], v[4:5]
	v_mul_f64_e32 v[4:5], v[38:39], v[4:5]
	s_wait_loadcnt_dscnt 0x800
	v_mul_f64_e32 v[155:156], v[145:146], v[8:9]
	v_mul_f64_e32 v[8:9], v[147:148], v[8:9]
	s_delay_alu instid0(VALU_DEP_4) | instskip(NEXT) | instid1(VALU_DEP_4)
	v_fma_f64 v[153:154], v[38:39], v[2:3], -v[153:154]
	v_fma_f64 v[157:158], v[40:41], v[2:3], v[4:5]
	ds_load_b128 v[2:5], v1 offset:880
	scratch_load_b128 v[38:41], off, off offset:208
	v_fma_f64 v[155:156], v[147:148], v[6:7], v[155:156]
	v_fma_f64 v[161:162], v[145:146], v[6:7], -v[8:9]
	ds_load_b128 v[6:9], v1 offset:896
	scratch_load_b128 v[145:148], off, off offset:224
	s_wait_loadcnt_dscnt 0x901
	v_mul_f64_e32 v[159:160], v[2:3], v[12:13]
	v_mul_f64_e32 v[12:13], v[4:5], v[12:13]
	s_wait_loadcnt_dscnt 0x800
	v_mul_f64_e32 v[163:164], v[6:7], v[16:17]
	v_mul_f64_e32 v[16:17], v[8:9], v[16:17]
	v_add_f64_e32 v[153:154], 0, v[153:154]
	v_add_f64_e32 v[157:158], 0, v[157:158]
	v_fma_f64 v[159:160], v[4:5], v[10:11], v[159:160]
	v_fma_f64 v[165:166], v[2:3], v[10:11], -v[12:13]
	ds_load_b128 v[2:5], v1 offset:912
	scratch_load_b128 v[10:13], off, off offset:240
	v_add_f64_e32 v[153:154], v[153:154], v[161:162]
	v_add_f64_e32 v[155:156], v[157:158], v[155:156]
	v_fma_f64 v[161:162], v[8:9], v[14:15], v[163:164]
	v_fma_f64 v[163:164], v[6:7], v[14:15], -v[16:17]
	ds_load_b128 v[6:9], v1 offset:928
	scratch_load_b128 v[14:17], off, off offset:256
	s_wait_loadcnt_dscnt 0x901
	v_mul_f64_e32 v[157:158], v[2:3], v[20:21]
	v_mul_f64_e32 v[20:21], v[4:5], v[20:21]
	v_add_f64_e32 v[153:154], v[153:154], v[165:166]
	v_add_f64_e32 v[155:156], v[155:156], v[159:160]
	s_wait_loadcnt_dscnt 0x800
	v_mul_f64_e32 v[159:160], v[6:7], v[24:25]
	v_mul_f64_e32 v[24:25], v[8:9], v[24:25]
	v_fma_f64 v[157:158], v[4:5], v[18:19], v[157:158]
	v_fma_f64 v[165:166], v[2:3], v[18:19], -v[20:21]
	ds_load_b128 v[2:5], v1 offset:944
	scratch_load_b128 v[18:21], off, off offset:272
	v_add_f64_e32 v[153:154], v[153:154], v[163:164]
	v_add_f64_e32 v[155:156], v[155:156], v[161:162]
	v_fma_f64 v[159:160], v[8:9], v[22:23], v[159:160]
	v_fma_f64 v[163:164], v[6:7], v[22:23], -v[24:25]
	ds_load_b128 v[6:9], v1 offset:960
	s_wait_loadcnt_dscnt 0x801
	v_mul_f64_e32 v[161:162], v[2:3], v[28:29]
	v_mul_f64_e32 v[28:29], v[4:5], v[28:29]
	scratch_load_b128 v[22:25], off, off offset:288
	v_add_f64_e32 v[153:154], v[153:154], v[165:166]
	v_add_f64_e32 v[155:156], v[155:156], v[157:158]
	s_wait_loadcnt_dscnt 0x800
	v_mul_f64_e32 v[157:158], v[6:7], v[32:33]
	v_mul_f64_e32 v[32:33], v[8:9], v[32:33]
	v_fma_f64 v[161:162], v[4:5], v[26:27], v[161:162]
	v_fma_f64 v[165:166], v[2:3], v[26:27], -v[28:29]
	ds_load_b128 v[2:5], v1 offset:976
	scratch_load_b128 v[26:29], off, off offset:304
	v_add_f64_e32 v[153:154], v[153:154], v[163:164]
	v_add_f64_e32 v[155:156], v[155:156], v[159:160]
	v_fma_f64 v[157:158], v[8:9], v[30:31], v[157:158]
	v_fma_f64 v[163:164], v[6:7], v[30:31], -v[32:33]
	ds_load_b128 v[6:9], v1 offset:992
	s_wait_loadcnt_dscnt 0x801
	v_mul_f64_e32 v[159:160], v[2:3], v[36:37]
	v_mul_f64_e32 v[36:37], v[4:5], v[36:37]
	scratch_load_b128 v[30:33], off, off offset:320
	v_add_f64_e32 v[153:154], v[153:154], v[165:166]
	v_add_f64_e32 v[155:156], v[155:156], v[161:162]
	s_wait_loadcnt_dscnt 0x800
	v_mul_f64_e32 v[161:162], v[6:7], v[151:152]
	v_mul_f64_e32 v[151:152], v[8:9], v[151:152]
	v_fma_f64 v[159:160], v[4:5], v[34:35], v[159:160]
	v_fma_f64 v[165:166], v[2:3], v[34:35], -v[36:37]
	ds_load_b128 v[2:5], v1 offset:1008
	scratch_load_b128 v[34:37], off, off offset:336
	v_add_f64_e32 v[153:154], v[153:154], v[163:164]
	v_add_f64_e32 v[155:156], v[155:156], v[157:158]
	v_fma_f64 v[161:162], v[8:9], v[149:150], v[161:162]
	v_fma_f64 v[163:164], v[6:7], v[149:150], -v[151:152]
	ds_load_b128 v[6:9], v1 offset:1024
	scratch_load_b128 v[149:152], off, off offset:352
	s_wait_loadcnt_dscnt 0x901
	v_mul_f64_e32 v[157:158], v[2:3], v[40:41]
	v_mul_f64_e32 v[40:41], v[4:5], v[40:41]
	v_add_f64_e32 v[153:154], v[153:154], v[165:166]
	v_add_f64_e32 v[155:156], v[155:156], v[159:160]
	s_wait_loadcnt_dscnt 0x800
	v_mul_f64_e32 v[159:160], v[6:7], v[147:148]
	v_mul_f64_e32 v[147:148], v[8:9], v[147:148]
	v_fma_f64 v[157:158], v[4:5], v[38:39], v[157:158]
	v_fma_f64 v[165:166], v[2:3], v[38:39], -v[40:41]
	ds_load_b128 v[2:5], v1 offset:1040
	scratch_load_b128 v[38:41], off, off offset:368
	v_add_f64_e32 v[153:154], v[153:154], v[163:164]
	v_add_f64_e32 v[155:156], v[155:156], v[161:162]
	v_fma_f64 v[159:160], v[8:9], v[145:146], v[159:160]
	v_fma_f64 v[163:164], v[6:7], v[145:146], -v[147:148]
	ds_load_b128 v[6:9], v1 offset:1056
	s_wait_loadcnt_dscnt 0x801
	v_mul_f64_e32 v[161:162], v[2:3], v[12:13]
	v_mul_f64_e32 v[12:13], v[4:5], v[12:13]
	scratch_load_b128 v[145:148], off, off offset:384
	v_add_f64_e32 v[153:154], v[153:154], v[165:166]
	v_add_f64_e32 v[155:156], v[155:156], v[157:158]
	s_wait_loadcnt_dscnt 0x800
	v_mul_f64_e32 v[157:158], v[6:7], v[16:17]
	v_mul_f64_e32 v[16:17], v[8:9], v[16:17]
	v_fma_f64 v[161:162], v[4:5], v[10:11], v[161:162]
	v_fma_f64 v[165:166], v[2:3], v[10:11], -v[12:13]
	ds_load_b128 v[2:5], v1 offset:1072
	scratch_load_b128 v[10:13], off, off offset:400
	v_add_f64_e32 v[153:154], v[153:154], v[163:164]
	v_add_f64_e32 v[155:156], v[155:156], v[159:160]
	v_fma_f64 v[157:158], v[8:9], v[14:15], v[157:158]
	v_fma_f64 v[163:164], v[6:7], v[14:15], -v[16:17]
	ds_load_b128 v[6:9], v1 offset:1088
	s_wait_loadcnt_dscnt 0x801
	v_mul_f64_e32 v[159:160], v[2:3], v[20:21]
	v_mul_f64_e32 v[20:21], v[4:5], v[20:21]
	scratch_load_b128 v[14:17], off, off offset:416
	;; [unrolled: 18-line block ×14, first 2 shown]
	v_add_f64_e32 v[153:154], v[153:154], v[165:166]
	v_add_f64_e32 v[155:156], v[155:156], v[161:162]
	s_wait_loadcnt_dscnt 0x800
	v_mul_f64_e32 v[161:162], v[6:7], v[151:152]
	v_mul_f64_e32 v[151:152], v[8:9], v[151:152]
	v_fma_f64 v[159:160], v[4:5], v[34:35], v[159:160]
	v_fma_f64 v[165:166], v[2:3], v[34:35], -v[36:37]
	ds_load_b128 v[2:5], v1 offset:1488
	scratch_load_b128 v[34:37], off, off offset:816
	v_add_f64_e32 v[153:154], v[153:154], v[163:164]
	v_add_f64_e32 v[155:156], v[155:156], v[157:158]
	v_fma_f64 v[161:162], v[8:9], v[149:150], v[161:162]
	v_fma_f64 v[149:150], v[6:7], v[149:150], -v[151:152]
	ds_load_b128 v[6:9], v1 offset:1504
	s_wait_loadcnt_dscnt 0x801
	v_mul_f64_e32 v[157:158], v[2:3], v[40:41]
	v_mul_f64_e32 v[40:41], v[4:5], v[40:41]
	v_add_f64_e32 v[151:152], v[153:154], v[165:166]
	v_add_f64_e32 v[153:154], v[155:156], v[159:160]
	s_wait_loadcnt_dscnt 0x700
	v_mul_f64_e32 v[155:156], v[6:7], v[147:148]
	v_mul_f64_e32 v[147:148], v[8:9], v[147:148]
	v_fma_f64 v[157:158], v[4:5], v[38:39], v[157:158]
	v_fma_f64 v[38:39], v[2:3], v[38:39], -v[40:41]
	ds_load_b128 v[2:5], v1 offset:1520
	v_add_f64_e32 v[40:41], v[151:152], v[149:150]
	v_add_f64_e32 v[149:150], v[153:154], v[161:162]
	v_fma_f64 v[153:154], v[8:9], v[145:146], v[155:156]
	v_fma_f64 v[145:146], v[6:7], v[145:146], -v[147:148]
	ds_load_b128 v[6:9], v1 offset:1536
	s_wait_loadcnt_dscnt 0x500
	v_mul_f64_e32 v[155:156], v[6:7], v[16:17]
	v_mul_f64_e32 v[16:17], v[8:9], v[16:17]
	v_add_f64_e32 v[147:148], v[40:41], v[38:39]
	v_add_f64_e32 v[149:150], v[149:150], v[157:158]
	scratch_load_b128 v[38:41], off, off offset:32
	v_mul_f64_e32 v[151:152], v[2:3], v[12:13]
	v_mul_f64_e32 v[12:13], v[4:5], v[12:13]
	s_delay_alu instid0(VALU_DEP_2) | instskip(NEXT) | instid1(VALU_DEP_2)
	v_fma_f64 v[151:152], v[4:5], v[10:11], v[151:152]
	v_fma_f64 v[10:11], v[2:3], v[10:11], -v[12:13]
	v_add_f64_e32 v[12:13], v[147:148], v[145:146]
	v_add_f64_e32 v[145:146], v[149:150], v[153:154]
	ds_load_b128 v[2:5], v1 offset:1552
	v_fma_f64 v[149:150], v[8:9], v[14:15], v[155:156]
	v_fma_f64 v[14:15], v[6:7], v[14:15], -v[16:17]
	ds_load_b128 v[6:9], v1 offset:1568
	s_wait_loadcnt_dscnt 0x501
	v_mul_f64_e32 v[147:148], v[2:3], v[20:21]
	v_mul_f64_e32 v[20:21], v[4:5], v[20:21]
	s_wait_loadcnt_dscnt 0x400
	v_mul_f64_e32 v[16:17], v[6:7], v[24:25]
	v_mul_f64_e32 v[24:25], v[8:9], v[24:25]
	v_add_f64_e32 v[10:11], v[12:13], v[10:11]
	v_add_f64_e32 v[12:13], v[145:146], v[151:152]
	v_fma_f64 v[145:146], v[4:5], v[18:19], v[147:148]
	v_fma_f64 v[18:19], v[2:3], v[18:19], -v[20:21]
	ds_load_b128 v[2:5], v1 offset:1584
	v_fma_f64 v[16:17], v[8:9], v[22:23], v[16:17]
	v_fma_f64 v[22:23], v[6:7], v[22:23], -v[24:25]
	ds_load_b128 v[6:9], v1 offset:1600
	v_add_f64_e32 v[10:11], v[10:11], v[14:15]
	v_add_f64_e32 v[12:13], v[12:13], v[149:150]
	s_wait_loadcnt_dscnt 0x301
	v_mul_f64_e32 v[14:15], v[2:3], v[28:29]
	v_mul_f64_e32 v[20:21], v[4:5], v[28:29]
	s_wait_loadcnt_dscnt 0x200
	v_mul_f64_e32 v[24:25], v[8:9], v[32:33]
	v_add_f64_e32 v[10:11], v[10:11], v[18:19]
	v_add_f64_e32 v[12:13], v[12:13], v[145:146]
	v_mul_f64_e32 v[18:19], v[6:7], v[32:33]
	v_fma_f64 v[14:15], v[4:5], v[26:27], v[14:15]
	v_fma_f64 v[20:21], v[2:3], v[26:27], -v[20:21]
	ds_load_b128 v[2:5], v1 offset:1616
	v_fma_f64 v[6:7], v[6:7], v[30:31], -v[24:25]
	v_add_f64_e32 v[10:11], v[10:11], v[22:23]
	v_add_f64_e32 v[12:13], v[12:13], v[16:17]
	s_wait_loadcnt_dscnt 0x100
	v_mul_f64_e32 v[16:17], v[2:3], v[36:37]
	v_mul_f64_e32 v[22:23], v[4:5], v[36:37]
	v_fma_f64 v[8:9], v[8:9], v[30:31], v[18:19]
	v_add_f64_e32 v[10:11], v[10:11], v[20:21]
	v_add_f64_e32 v[12:13], v[12:13], v[14:15]
	v_fma_f64 v[4:5], v[4:5], v[34:35], v[16:17]
	v_fma_f64 v[2:3], v[2:3], v[34:35], -v[22:23]
	s_delay_alu instid0(VALU_DEP_4) | instskip(NEXT) | instid1(VALU_DEP_4)
	v_add_f64_e32 v[6:7], v[10:11], v[6:7]
	v_add_f64_e32 v[8:9], v[12:13], v[8:9]
	s_delay_alu instid0(VALU_DEP_2) | instskip(NEXT) | instid1(VALU_DEP_2)
	v_add_f64_e32 v[2:3], v[6:7], v[2:3]
	v_add_f64_e32 v[4:5], v[8:9], v[4:5]
	s_wait_loadcnt 0x0
	s_delay_alu instid0(VALU_DEP_2) | instskip(NEXT) | instid1(VALU_DEP_2)
	v_add_f64_e64 v[2:3], v[38:39], -v[2:3]
	v_add_f64_e64 v[4:5], v[40:41], -v[4:5]
	scratch_store_b128 off, v[2:5], off offset:32
	v_cmpx_ne_u32_e32 0, v0
	s_cbranch_execz .LBB50_319
; %bb.318:
	scratch_load_b128 v[5:8], off, off offset:16
	v_dual_mov_b32 v2, v1 :: v_dual_mov_b32 v3, v1
	v_mov_b32_e32 v4, v1
	scratch_store_b128 off, v[1:4], off offset:16
	s_wait_loadcnt 0x0
	ds_store_b128 v144, v[5:8]
.LBB50_319:
	s_wait_alu 0xfffe
	s_or_b32 exec_lo, exec_lo, s0
	s_wait_storecnt_dscnt 0x0
	s_barrier_signal -1
	s_barrier_wait -1
	global_inv scope:SCOPE_SE
	s_clause 0x7
	scratch_load_b128 v[2:5], off, off offset:32
	scratch_load_b128 v[6:9], off, off offset:48
	;; [unrolled: 1-line block ×8, first 2 shown]
	ds_load_b128 v[38:41], v1 offset:832
	ds_load_b128 v[144:147], v1 offset:848
	s_clause 0x1
	scratch_load_b128 v[34:37], off, off offset:160
	scratch_load_b128 v[148:151], off, off offset:176
	s_and_b32 vcc_lo, exec_lo, s18
	s_wait_loadcnt_dscnt 0x901
	v_mul_f64_e32 v[152:153], v[40:41], v[4:5]
	v_mul_f64_e32 v[4:5], v[38:39], v[4:5]
	s_wait_loadcnt_dscnt 0x800
	v_mul_f64_e32 v[154:155], v[144:145], v[8:9]
	v_mul_f64_e32 v[8:9], v[146:147], v[8:9]
	s_delay_alu instid0(VALU_DEP_4) | instskip(NEXT) | instid1(VALU_DEP_4)
	v_fma_f64 v[152:153], v[38:39], v[2:3], -v[152:153]
	v_fma_f64 v[156:157], v[40:41], v[2:3], v[4:5]
	ds_load_b128 v[2:5], v1 offset:864
	scratch_load_b128 v[38:41], off, off offset:192
	v_fma_f64 v[154:155], v[146:147], v[6:7], v[154:155]
	v_fma_f64 v[160:161], v[144:145], v[6:7], -v[8:9]
	ds_load_b128 v[6:9], v1 offset:880
	scratch_load_b128 v[144:147], off, off offset:208
	s_wait_loadcnt_dscnt 0x901
	v_mul_f64_e32 v[158:159], v[2:3], v[12:13]
	v_mul_f64_e32 v[12:13], v[4:5], v[12:13]
	s_wait_loadcnt_dscnt 0x800
	v_mul_f64_e32 v[162:163], v[6:7], v[16:17]
	v_mul_f64_e32 v[16:17], v[8:9], v[16:17]
	v_add_f64_e32 v[152:153], 0, v[152:153]
	v_add_f64_e32 v[156:157], 0, v[156:157]
	v_fma_f64 v[158:159], v[4:5], v[10:11], v[158:159]
	v_fma_f64 v[164:165], v[2:3], v[10:11], -v[12:13]
	ds_load_b128 v[2:5], v1 offset:896
	scratch_load_b128 v[10:13], off, off offset:224
	v_add_f64_e32 v[152:153], v[152:153], v[160:161]
	v_add_f64_e32 v[154:155], v[156:157], v[154:155]
	v_fma_f64 v[160:161], v[8:9], v[14:15], v[162:163]
	v_fma_f64 v[162:163], v[6:7], v[14:15], -v[16:17]
	ds_load_b128 v[6:9], v1 offset:912
	scratch_load_b128 v[14:17], off, off offset:240
	s_wait_loadcnt_dscnt 0x901
	v_mul_f64_e32 v[156:157], v[2:3], v[20:21]
	v_mul_f64_e32 v[20:21], v[4:5], v[20:21]
	v_add_f64_e32 v[152:153], v[152:153], v[164:165]
	v_add_f64_e32 v[154:155], v[154:155], v[158:159]
	s_wait_loadcnt_dscnt 0x800
	v_mul_f64_e32 v[158:159], v[6:7], v[24:25]
	v_mul_f64_e32 v[24:25], v[8:9], v[24:25]
	v_fma_f64 v[156:157], v[4:5], v[18:19], v[156:157]
	v_fma_f64 v[164:165], v[2:3], v[18:19], -v[20:21]
	ds_load_b128 v[2:5], v1 offset:928
	scratch_load_b128 v[18:21], off, off offset:256
	v_add_f64_e32 v[152:153], v[152:153], v[162:163]
	v_add_f64_e32 v[154:155], v[154:155], v[160:161]
	v_fma_f64 v[158:159], v[8:9], v[22:23], v[158:159]
	v_fma_f64 v[162:163], v[6:7], v[22:23], -v[24:25]
	ds_load_b128 v[6:9], v1 offset:944
	s_wait_loadcnt_dscnt 0x801
	v_mul_f64_e32 v[160:161], v[2:3], v[28:29]
	v_mul_f64_e32 v[28:29], v[4:5], v[28:29]
	scratch_load_b128 v[22:25], off, off offset:272
	v_add_f64_e32 v[152:153], v[152:153], v[164:165]
	v_add_f64_e32 v[154:155], v[154:155], v[156:157]
	s_wait_loadcnt_dscnt 0x800
	v_mul_f64_e32 v[156:157], v[6:7], v[32:33]
	v_mul_f64_e32 v[32:33], v[8:9], v[32:33]
	v_fma_f64 v[160:161], v[4:5], v[26:27], v[160:161]
	v_fma_f64 v[164:165], v[2:3], v[26:27], -v[28:29]
	ds_load_b128 v[2:5], v1 offset:960
	scratch_load_b128 v[26:29], off, off offset:288
	v_add_f64_e32 v[152:153], v[152:153], v[162:163]
	v_add_f64_e32 v[154:155], v[154:155], v[158:159]
	v_fma_f64 v[156:157], v[8:9], v[30:31], v[156:157]
	v_fma_f64 v[162:163], v[6:7], v[30:31], -v[32:33]
	ds_load_b128 v[6:9], v1 offset:976
	s_wait_loadcnt_dscnt 0x801
	v_mul_f64_e32 v[158:159], v[2:3], v[36:37]
	v_mul_f64_e32 v[36:37], v[4:5], v[36:37]
	scratch_load_b128 v[30:33], off, off offset:304
	v_add_f64_e32 v[152:153], v[152:153], v[164:165]
	v_add_f64_e32 v[154:155], v[154:155], v[160:161]
	s_wait_loadcnt_dscnt 0x800
	v_mul_f64_e32 v[160:161], v[6:7], v[150:151]
	v_mul_f64_e32 v[150:151], v[8:9], v[150:151]
	v_fma_f64 v[158:159], v[4:5], v[34:35], v[158:159]
	v_fma_f64 v[164:165], v[2:3], v[34:35], -v[36:37]
	ds_load_b128 v[2:5], v1 offset:992
	scratch_load_b128 v[34:37], off, off offset:320
	v_add_f64_e32 v[152:153], v[152:153], v[162:163]
	v_add_f64_e32 v[154:155], v[154:155], v[156:157]
	v_fma_f64 v[160:161], v[8:9], v[148:149], v[160:161]
	v_fma_f64 v[162:163], v[6:7], v[148:149], -v[150:151]
	ds_load_b128 v[6:9], v1 offset:1008
	scratch_load_b128 v[148:151], off, off offset:336
	s_wait_loadcnt_dscnt 0x901
	v_mul_f64_e32 v[156:157], v[2:3], v[40:41]
	v_mul_f64_e32 v[40:41], v[4:5], v[40:41]
	v_add_f64_e32 v[152:153], v[152:153], v[164:165]
	v_add_f64_e32 v[154:155], v[154:155], v[158:159]
	s_wait_loadcnt_dscnt 0x800
	v_mul_f64_e32 v[158:159], v[6:7], v[146:147]
	v_mul_f64_e32 v[146:147], v[8:9], v[146:147]
	v_fma_f64 v[156:157], v[4:5], v[38:39], v[156:157]
	v_fma_f64 v[164:165], v[2:3], v[38:39], -v[40:41]
	ds_load_b128 v[2:5], v1 offset:1024
	scratch_load_b128 v[38:41], off, off offset:352
	v_add_f64_e32 v[152:153], v[152:153], v[162:163]
	v_add_f64_e32 v[154:155], v[154:155], v[160:161]
	v_fma_f64 v[158:159], v[8:9], v[144:145], v[158:159]
	v_fma_f64 v[162:163], v[6:7], v[144:145], -v[146:147]
	ds_load_b128 v[6:9], v1 offset:1040
	s_wait_loadcnt_dscnt 0x801
	v_mul_f64_e32 v[160:161], v[2:3], v[12:13]
	v_mul_f64_e32 v[12:13], v[4:5], v[12:13]
	scratch_load_b128 v[144:147], off, off offset:368
	v_add_f64_e32 v[152:153], v[152:153], v[164:165]
	v_add_f64_e32 v[154:155], v[154:155], v[156:157]
	s_wait_loadcnt_dscnt 0x800
	v_mul_f64_e32 v[156:157], v[6:7], v[16:17]
	v_mul_f64_e32 v[16:17], v[8:9], v[16:17]
	v_fma_f64 v[160:161], v[4:5], v[10:11], v[160:161]
	v_fma_f64 v[164:165], v[2:3], v[10:11], -v[12:13]
	ds_load_b128 v[2:5], v1 offset:1056
	scratch_load_b128 v[10:13], off, off offset:384
	v_add_f64_e32 v[152:153], v[152:153], v[162:163]
	v_add_f64_e32 v[154:155], v[154:155], v[158:159]
	v_fma_f64 v[156:157], v[8:9], v[14:15], v[156:157]
	v_fma_f64 v[162:163], v[6:7], v[14:15], -v[16:17]
	ds_load_b128 v[6:9], v1 offset:1072
	s_wait_loadcnt_dscnt 0x801
	v_mul_f64_e32 v[158:159], v[2:3], v[20:21]
	v_mul_f64_e32 v[20:21], v[4:5], v[20:21]
	scratch_load_b128 v[14:17], off, off offset:400
	;; [unrolled: 18-line block ×6, first 2 shown]
	v_add_f64_e32 v[152:153], v[152:153], v[164:165]
	v_add_f64_e32 v[154:155], v[154:155], v[158:159]
	s_wait_loadcnt_dscnt 0x800
	v_mul_f64_e32 v[158:159], v[6:7], v[16:17]
	v_mul_f64_e32 v[16:17], v[8:9], v[16:17]
	v_fma_f64 v[156:157], v[4:5], v[10:11], v[156:157]
	v_fma_f64 v[164:165], v[2:3], v[10:11], -v[12:13]
	scratch_load_b128 v[10:13], off, off offset:544
	ds_load_b128 v[2:5], v1 offset:1216
	v_add_f64_e32 v[152:153], v[152:153], v[162:163]
	v_add_f64_e32 v[154:155], v[154:155], v[160:161]
	v_fma_f64 v[158:159], v[8:9], v[14:15], v[158:159]
	v_fma_f64 v[162:163], v[6:7], v[14:15], -v[16:17]
	ds_load_b128 v[6:9], v1 offset:1232
	s_wait_loadcnt_dscnt 0x801
	v_mul_f64_e32 v[160:161], v[2:3], v[20:21]
	v_mul_f64_e32 v[20:21], v[4:5], v[20:21]
	scratch_load_b128 v[14:17], off, off offset:560
	v_add_f64_e32 v[152:153], v[152:153], v[164:165]
	v_add_f64_e32 v[154:155], v[154:155], v[156:157]
	s_wait_loadcnt_dscnt 0x800
	v_mul_f64_e32 v[156:157], v[6:7], v[24:25]
	v_mul_f64_e32 v[24:25], v[8:9], v[24:25]
	v_fma_f64 v[160:161], v[4:5], v[18:19], v[160:161]
	v_fma_f64 v[164:165], v[2:3], v[18:19], -v[20:21]
	ds_load_b128 v[2:5], v1 offset:1248
	scratch_load_b128 v[18:21], off, off offset:576
	v_add_f64_e32 v[152:153], v[152:153], v[162:163]
	v_add_f64_e32 v[154:155], v[154:155], v[158:159]
	v_fma_f64 v[156:157], v[8:9], v[22:23], v[156:157]
	v_fma_f64 v[162:163], v[6:7], v[22:23], -v[24:25]
	ds_load_b128 v[6:9], v1 offset:1264
	s_wait_loadcnt_dscnt 0x801
	v_mul_f64_e32 v[158:159], v[2:3], v[28:29]
	v_mul_f64_e32 v[28:29], v[4:5], v[28:29]
	scratch_load_b128 v[22:25], off, off offset:592
	v_add_f64_e32 v[152:153], v[152:153], v[164:165]
	v_add_f64_e32 v[154:155], v[154:155], v[160:161]
	s_wait_loadcnt_dscnt 0x800
	v_mul_f64_e32 v[160:161], v[6:7], v[32:33]
	v_mul_f64_e32 v[32:33], v[8:9], v[32:33]
	v_fma_f64 v[158:159], v[4:5], v[26:27], v[158:159]
	v_fma_f64 v[164:165], v[2:3], v[26:27], -v[28:29]
	ds_load_b128 v[2:5], v1 offset:1280
	scratch_load_b128 v[26:29], off, off offset:608
	;; [unrolled: 18-line block ×4, first 2 shown]
	v_add_f64_e32 v[152:153], v[152:153], v[162:163]
	v_add_f64_e32 v[154:155], v[154:155], v[158:159]
	v_fma_f64 v[156:157], v[8:9], v[144:145], v[156:157]
	v_fma_f64 v[162:163], v[6:7], v[144:145], -v[146:147]
	ds_load_b128 v[6:9], v1 offset:1360
	s_wait_loadcnt_dscnt 0x801
	v_mul_f64_e32 v[158:159], v[2:3], v[12:13]
	v_mul_f64_e32 v[12:13], v[4:5], v[12:13]
	scratch_load_b128 v[144:147], off, off offset:688
	v_add_f64_e32 v[152:153], v[152:153], v[164:165]
	v_add_f64_e32 v[154:155], v[154:155], v[160:161]
	s_wait_loadcnt_dscnt 0x800
	v_mul_f64_e32 v[160:161], v[6:7], v[16:17]
	v_mul_f64_e32 v[16:17], v[8:9], v[16:17]
	v_fma_f64 v[158:159], v[4:5], v[10:11], v[158:159]
	v_fma_f64 v[164:165], v[2:3], v[10:11], -v[12:13]
	scratch_load_b128 v[10:13], off, off offset:704
	ds_load_b128 v[2:5], v1 offset:1376
	v_add_f64_e32 v[152:153], v[152:153], v[162:163]
	v_add_f64_e32 v[154:155], v[154:155], v[156:157]
	v_fma_f64 v[160:161], v[8:9], v[14:15], v[160:161]
	v_fma_f64 v[162:163], v[6:7], v[14:15], -v[16:17]
	ds_load_b128 v[6:9], v1 offset:1392
	s_wait_loadcnt_dscnt 0x801
	v_mul_f64_e32 v[156:157], v[2:3], v[20:21]
	v_mul_f64_e32 v[20:21], v[4:5], v[20:21]
	scratch_load_b128 v[14:17], off, off offset:720
	v_add_f64_e32 v[152:153], v[152:153], v[164:165]
	v_add_f64_e32 v[154:155], v[154:155], v[158:159]
	s_wait_loadcnt_dscnt 0x800
	v_mul_f64_e32 v[158:159], v[6:7], v[24:25]
	v_mul_f64_e32 v[24:25], v[8:9], v[24:25]
	v_fma_f64 v[156:157], v[4:5], v[18:19], v[156:157]
	v_fma_f64 v[164:165], v[2:3], v[18:19], -v[20:21]
	ds_load_b128 v[2:5], v1 offset:1408
	scratch_load_b128 v[18:21], off, off offset:736
	v_add_f64_e32 v[152:153], v[152:153], v[162:163]
	v_add_f64_e32 v[154:155], v[154:155], v[160:161]
	v_fma_f64 v[158:159], v[8:9], v[22:23], v[158:159]
	v_fma_f64 v[162:163], v[6:7], v[22:23], -v[24:25]
	ds_load_b128 v[6:9], v1 offset:1424
	s_wait_loadcnt_dscnt 0x801
	v_mul_f64_e32 v[160:161], v[2:3], v[28:29]
	v_mul_f64_e32 v[28:29], v[4:5], v[28:29]
	scratch_load_b128 v[22:25], off, off offset:752
	v_add_f64_e32 v[152:153], v[152:153], v[164:165]
	v_add_f64_e32 v[154:155], v[154:155], v[156:157]
	s_wait_loadcnt_dscnt 0x800
	v_mul_f64_e32 v[156:157], v[6:7], v[32:33]
	v_mul_f64_e32 v[32:33], v[8:9], v[32:33]
	v_fma_f64 v[160:161], v[4:5], v[26:27], v[160:161]
	v_fma_f64 v[164:165], v[2:3], v[26:27], -v[28:29]
	ds_load_b128 v[2:5], v1 offset:1440
	scratch_load_b128 v[26:29], off, off offset:768
	;; [unrolled: 18-line block ×3, first 2 shown]
	v_add_f64_e32 v[152:153], v[152:153], v[162:163]
	v_add_f64_e32 v[154:155], v[154:155], v[156:157]
	v_fma_f64 v[160:161], v[8:9], v[148:149], v[160:161]
	v_fma_f64 v[162:163], v[6:7], v[148:149], -v[150:151]
	ds_load_b128 v[6:9], v1 offset:1488
	s_wait_loadcnt_dscnt 0x801
	v_mul_f64_e32 v[156:157], v[2:3], v[40:41]
	v_mul_f64_e32 v[40:41], v[4:5], v[40:41]
	scratch_load_b128 v[148:151], off, off offset:816
	v_add_f64_e32 v[152:153], v[152:153], v[164:165]
	v_add_f64_e32 v[154:155], v[154:155], v[158:159]
	v_fma_f64 v[156:157], v[4:5], v[38:39], v[156:157]
	v_fma_f64 v[38:39], v[2:3], v[38:39], -v[40:41]
	ds_load_b128 v[2:5], v1 offset:1504
	v_add_f64_e32 v[40:41], v[152:153], v[162:163]
	v_add_f64_e32 v[152:153], v[154:155], v[160:161]
	s_wait_loadcnt_dscnt 0x700
	v_mul_f64_e32 v[154:155], v[2:3], v[12:13]
	v_mul_f64_e32 v[12:13], v[4:5], v[12:13]
	s_delay_alu instid0(VALU_DEP_4) | instskip(NEXT) | instid1(VALU_DEP_4)
	v_add_f64_e32 v[38:39], v[40:41], v[38:39]
	v_add_f64_e32 v[40:41], v[152:153], v[156:157]
	s_delay_alu instid0(VALU_DEP_4) | instskip(NEXT) | instid1(VALU_DEP_4)
	v_fma_f64 v[152:153], v[4:5], v[10:11], v[154:155]
	v_fma_f64 v[154:155], v[2:3], v[10:11], -v[12:13]
	scratch_load_b128 v[10:13], off, off offset:16
	v_mul_f64_e32 v[158:159], v[6:7], v[146:147]
	v_mul_f64_e32 v[146:147], v[8:9], v[146:147]
	ds_load_b128 v[2:5], v1 offset:1536
	v_fma_f64 v[158:159], v[8:9], v[144:145], v[158:159]
	v_fma_f64 v[144:145], v[6:7], v[144:145], -v[146:147]
	ds_load_b128 v[6:9], v1 offset:1520
	s_wait_loadcnt_dscnt 0x700
	v_mul_f64_e32 v[146:147], v[6:7], v[16:17]
	v_mul_f64_e32 v[16:17], v[8:9], v[16:17]
	v_add_f64_e32 v[40:41], v[40:41], v[158:159]
	v_add_f64_e32 v[38:39], v[38:39], v[144:145]
	s_wait_loadcnt 0x6
	v_mul_f64_e32 v[144:145], v[2:3], v[20:21]
	v_mul_f64_e32 v[20:21], v[4:5], v[20:21]
	v_fma_f64 v[146:147], v[8:9], v[14:15], v[146:147]
	v_fma_f64 v[14:15], v[6:7], v[14:15], -v[16:17]
	ds_load_b128 v[6:9], v1 offset:1552
	v_add_f64_e32 v[16:17], v[38:39], v[154:155]
	v_add_f64_e32 v[38:39], v[40:41], v[152:153]
	v_fma_f64 v[144:145], v[4:5], v[18:19], v[144:145]
	v_fma_f64 v[18:19], v[2:3], v[18:19], -v[20:21]
	ds_load_b128 v[2:5], v1 offset:1568
	s_wait_loadcnt_dscnt 0x501
	v_mul_f64_e32 v[40:41], v[6:7], v[24:25]
	v_mul_f64_e32 v[24:25], v[8:9], v[24:25]
	s_wait_loadcnt_dscnt 0x400
	v_mul_f64_e32 v[20:21], v[2:3], v[28:29]
	v_mul_f64_e32 v[28:29], v[4:5], v[28:29]
	v_add_f64_e32 v[14:15], v[16:17], v[14:15]
	v_add_f64_e32 v[16:17], v[38:39], v[146:147]
	v_fma_f64 v[38:39], v[8:9], v[22:23], v[40:41]
	v_fma_f64 v[22:23], v[6:7], v[22:23], -v[24:25]
	ds_load_b128 v[6:9], v1 offset:1584
	v_fma_f64 v[20:21], v[4:5], v[26:27], v[20:21]
	v_fma_f64 v[26:27], v[2:3], v[26:27], -v[28:29]
	ds_load_b128 v[2:5], v1 offset:1600
	s_wait_loadcnt_dscnt 0x301
	v_mul_f64_e32 v[24:25], v[8:9], v[32:33]
	v_add_f64_e32 v[14:15], v[14:15], v[18:19]
	v_add_f64_e32 v[16:17], v[16:17], v[144:145]
	v_mul_f64_e32 v[18:19], v[6:7], v[32:33]
	s_wait_loadcnt_dscnt 0x200
	v_mul_f64_e32 v[28:29], v[4:5], v[36:37]
	v_fma_f64 v[24:25], v[6:7], v[30:31], -v[24:25]
	v_add_f64_e32 v[14:15], v[14:15], v[22:23]
	v_add_f64_e32 v[16:17], v[16:17], v[38:39]
	v_mul_f64_e32 v[22:23], v[2:3], v[36:37]
	v_fma_f64 v[18:19], v[8:9], v[30:31], v[18:19]
	ds_load_b128 v[6:9], v1 offset:1616
	v_fma_f64 v[2:3], v[2:3], v[34:35], -v[28:29]
	s_wait_loadcnt_dscnt 0x100
	v_mul_f64_e32 v[0:1], v[6:7], v[150:151]
	v_add_f64_e32 v[14:15], v[14:15], v[26:27]
	v_add_f64_e32 v[16:17], v[16:17], v[20:21]
	v_mul_f64_e32 v[20:21], v[8:9], v[150:151]
	v_fma_f64 v[4:5], v[4:5], v[34:35], v[22:23]
	v_fma_f64 v[0:1], v[8:9], v[148:149], v[0:1]
	v_add_f64_e32 v[14:15], v[14:15], v[24:25]
	v_add_f64_e32 v[16:17], v[16:17], v[18:19]
	v_fma_f64 v[6:7], v[6:7], v[148:149], -v[20:21]
	s_delay_alu instid0(VALU_DEP_3) | instskip(NEXT) | instid1(VALU_DEP_3)
	v_add_f64_e32 v[2:3], v[14:15], v[2:3]
	v_add_f64_e32 v[4:5], v[16:17], v[4:5]
	s_delay_alu instid0(VALU_DEP_2) | instskip(NEXT) | instid1(VALU_DEP_2)
	v_add_f64_e32 v[2:3], v[2:3], v[6:7]
	v_add_f64_e32 v[4:5], v[4:5], v[0:1]
	s_wait_loadcnt 0x0
	s_delay_alu instid0(VALU_DEP_2) | instskip(NEXT) | instid1(VALU_DEP_2)
	v_add_f64_e64 v[0:1], v[10:11], -v[2:3]
	v_add_f64_e64 v[2:3], v[12:13], -v[4:5]
	scratch_store_b128 off, v[0:3], off offset:16
	s_wait_alu 0xfffe
	s_cbranch_vccz .LBB50_420
; %bb.320:
	v_mov_b32_e32 v0, 0
	global_load_b32 v1, v0, s[2:3] offset:196
	s_wait_loadcnt 0x0
	v_cmp_ne_u32_e32 vcc_lo, 50, v1
	s_cbranch_vccz .LBB50_322
; %bb.321:
	v_lshlrev_b32_e32 v1, 4, v1
	s_delay_alu instid0(VALU_DEP_1)
	v_add_nc_u32_e32 v9, 16, v1
	s_clause 0x1
	scratch_load_b128 v[1:4], v9, off offset:-16
	scratch_load_b128 v[5:8], off, s12
	s_wait_loadcnt 0x1
	scratch_store_b128 off, v[1:4], s12
	s_wait_loadcnt 0x0
	scratch_store_b128 v9, v[5:8], off offset:-16
.LBB50_322:
	global_load_b32 v0, v0, s[2:3] offset:192
	s_wait_loadcnt 0x0
	v_cmp_eq_u32_e32 vcc_lo, 49, v0
	s_cbranch_vccnz .LBB50_324
; %bb.323:
	v_lshlrev_b32_e32 v0, 4, v0
	s_delay_alu instid0(VALU_DEP_1)
	v_add_nc_u32_e32 v8, 16, v0
	s_clause 0x1
	scratch_load_b128 v[0:3], v8, off offset:-16
	scratch_load_b128 v[4:7], off, s14
	s_wait_loadcnt 0x1
	scratch_store_b128 off, v[0:3], s14
	s_wait_loadcnt 0x0
	scratch_store_b128 v8, v[4:7], off offset:-16
.LBB50_324:
	v_mov_b32_e32 v0, 0
	global_load_b32 v1, v0, s[2:3] offset:188
	s_wait_loadcnt 0x0
	v_cmp_eq_u32_e32 vcc_lo, 48, v1
	s_cbranch_vccnz .LBB50_326
; %bb.325:
	v_lshlrev_b32_e32 v1, 4, v1
	s_delay_alu instid0(VALU_DEP_1)
	v_add_nc_u32_e32 v9, 16, v1
	s_clause 0x1
	scratch_load_b128 v[1:4], v9, off offset:-16
	scratch_load_b128 v[5:8], off, s4
	s_wait_loadcnt 0x1
	scratch_store_b128 off, v[1:4], s4
	s_wait_loadcnt 0x0
	scratch_store_b128 v9, v[5:8], off offset:-16
.LBB50_326:
	global_load_b32 v0, v0, s[2:3] offset:184
	s_wait_loadcnt 0x0
	v_cmp_eq_u32_e32 vcc_lo, 47, v0
	s_cbranch_vccnz .LBB50_328
; %bb.327:
	v_lshlrev_b32_e32 v0, 4, v0
	s_delay_alu instid0(VALU_DEP_1)
	v_add_nc_u32_e32 v8, 16, v0
	s_clause 0x1
	scratch_load_b128 v[0:3], v8, off offset:-16
	scratch_load_b128 v[4:7], off, s5
	s_wait_loadcnt 0x1
	scratch_store_b128 off, v[0:3], s5
	s_wait_loadcnt 0x0
	scratch_store_b128 v8, v[4:7], off offset:-16
.LBB50_328:
	v_mov_b32_e32 v0, 0
	global_load_b32 v1, v0, s[2:3] offset:180
	s_wait_loadcnt 0x0
	v_cmp_eq_u32_e32 vcc_lo, 46, v1
	s_cbranch_vccnz .LBB50_330
; %bb.329:
	v_lshlrev_b32_e32 v1, 4, v1
	s_delay_alu instid0(VALU_DEP_1)
	v_add_nc_u32_e32 v9, 16, v1
	s_clause 0x1
	scratch_load_b128 v[1:4], v9, off offset:-16
	scratch_load_b128 v[5:8], off, s8
	s_wait_loadcnt 0x1
	scratch_store_b128 off, v[1:4], s8
	s_wait_loadcnt 0x0
	scratch_store_b128 v9, v[5:8], off offset:-16
.LBB50_330:
	;; [unrolled: 33-line block ×24, first 2 shown]
	global_load_b32 v0, v0, s[2:3]
	s_wait_loadcnt 0x0
	v_cmp_eq_u32_e32 vcc_lo, 1, v0
	s_cbranch_vccnz .LBB50_420
; %bb.419:
	v_lshlrev_b32_e32 v0, 4, v0
	s_delay_alu instid0(VALU_DEP_1)
	v_add_nc_u32_e32 v8, 16, v0
	scratch_load_b128 v[0:3], v8, off offset:-16
	scratch_load_b128 v[4:7], off, off offset:16
	s_wait_loadcnt 0x1
	scratch_store_b128 off, v[0:3], off offset:16
	s_wait_loadcnt 0x0
	scratch_store_b128 v8, v[4:7], off offset:-16
.LBB50_420:
	scratch_load_b128 v[0:3], off, off offset:16
	s_clause 0xd
	scratch_load_b128 v[4:7], off, s45
	scratch_load_b128 v[8:11], off, s43
	scratch_load_b128 v[12:15], off, s41
	scratch_load_b128 v[16:19], off, s40
	scratch_load_b128 v[20:23], off, s59
	scratch_load_b128 v[24:27], off, s58
	scratch_load_b128 v[28:31], off, s57
	scratch_load_b128 v[32:35], off, s56
	scratch_load_b128 v[36:39], off, s55
	scratch_load_b128 v[144:147], off, s54
	scratch_load_b128 v[148:151], off, s53
	scratch_load_b128 v[152:155], off, s52
	scratch_load_b128 v[156:159], off, s50
	scratch_load_b128 v[160:163], off, s51
	s_wait_loadcnt 0xe
	global_store_b128 v[42:43], v[0:3], off
	s_clause 0x1
	scratch_load_b128 v[0:3], off, s49
	scratch_load_b128 v[40:43], off, s48
	s_wait_loadcnt 0xf
	global_store_b128 v[44:45], v[4:7], off
	s_wait_loadcnt 0xe
	global_store_b128 v[46:47], v[8:11], off
	s_clause 0x2
	scratch_load_b128 v[4:7], off, s47
	scratch_load_b128 v[8:11], off, s46
	;; [unrolled: 1-line block ×3, first 2 shown]
	s_wait_loadcnt 0x10
	global_store_b128 v[48:49], v[12:15], off
	scratch_load_b128 v[12:15], off, s42
	s_wait_loadcnt 0x10
	global_store_b128 v[60:61], v[16:19], off
	s_clause 0x1
	scratch_load_b128 v[16:19], off, s39
	scratch_load_b128 v[164:167], off, s38
	s_wait_loadcnt 0x11
	global_store_b128 v[50:51], v[20:23], off
	scratch_load_b128 v[20:23], off, s37
	s_wait_loadcnt 0x11
	global_store_b128 v[76:77], v[24:27], off
	s_wait_loadcnt 0x10
	global_store_b128 v[66:67], v[28:31], off
	s_clause 0x2
	scratch_load_b128 v[24:27], off, s36
	scratch_load_b128 v[28:31], off, s34
	;; [unrolled: 1-line block ×3, first 2 shown]
	s_wait_loadcnt 0x12
	global_store_b128 v[62:63], v[32:35], off
	s_clause 0x1
	scratch_load_b128 v[32:35], off, s33
	scratch_load_b128 v[60:63], off, s31
	s_wait_loadcnt 0x13
	global_store_b128 v[52:53], v[36:39], off
	s_wait_loadcnt 0x12
	global_store_b128 v[82:83], v[144:147], off
	s_clause 0x1
	scratch_load_b128 v[36:39], off, s30
	scratch_load_b128 v[144:147], off, s29
	s_wait_loadcnt 0x13
	global_store_b128 v[68:69], v[148:151], off
	s_clause 0x1
	scratch_load_b128 v[66:69], off, s27
	scratch_load_b128 v[148:151], off, s28
	s_wait_loadcnt 0x14
	global_store_b128 v[72:73], v[152:155], off
	s_clause 0x1
	scratch_load_b128 v[152:155], off, s26
	scratch_load_b128 v[168:171], off, s25
	s_wait_loadcnt 0x15
	global_store_b128 v[54:55], v[156:159], off
	s_wait_loadcnt 0x14
	global_store_b128 v[90:91], v[160:163], off
	s_clause 0x1
	scratch_load_b128 v[52:55], off, s24
	scratch_load_b128 v[156:159], off, s23
	s_wait_loadcnt 0x15
	global_store_b128 v[78:79], v[0:3], off
	s_clause 0x1
	scratch_load_b128 v[0:3], off, s21
	scratch_load_b128 v[76:79], off, s22
	;; [unrolled: 17-line block ×4, first 2 shown]
	s_wait_loadcnt 0x1a
	global_store_b128 v[88:89], v[24:27], off
	s_wait_loadcnt 0x19
	global_store_b128 v[92:93], v[28:31], off
	;; [unrolled: 2-line block ×27, first 2 shown]
	s_nop 0
	s_sendmsg sendmsg(MSG_DEALLOC_VGPRS)
	s_endpgm
	.section	.rodata,"a",@progbits
	.p2align	6, 0x0
	.amdhsa_kernel _ZN9rocsolver6v33100L18getri_kernel_smallILi51E19rocblas_complex_numIdEPS3_EEvT1_iilPiilS6_bb
		.amdhsa_group_segment_fixed_size 1640
		.amdhsa_private_segment_fixed_size 848
		.amdhsa_kernarg_size 60
		.amdhsa_user_sgpr_count 2
		.amdhsa_user_sgpr_dispatch_ptr 0
		.amdhsa_user_sgpr_queue_ptr 0
		.amdhsa_user_sgpr_kernarg_segment_ptr 1
		.amdhsa_user_sgpr_dispatch_id 0
		.amdhsa_user_sgpr_private_segment_size 0
		.amdhsa_wavefront_size32 1
		.amdhsa_uses_dynamic_stack 0
		.amdhsa_enable_private_segment 1
		.amdhsa_system_sgpr_workgroup_id_x 1
		.amdhsa_system_sgpr_workgroup_id_y 0
		.amdhsa_system_sgpr_workgroup_id_z 0
		.amdhsa_system_sgpr_workgroup_info 0
		.amdhsa_system_vgpr_workitem_id 0
		.amdhsa_next_free_vgpr 176
		.amdhsa_next_free_sgpr 83
		.amdhsa_reserve_vcc 1
		.amdhsa_float_round_mode_32 0
		.amdhsa_float_round_mode_16_64 0
		.amdhsa_float_denorm_mode_32 3
		.amdhsa_float_denorm_mode_16_64 3
		.amdhsa_fp16_overflow 0
		.amdhsa_workgroup_processor_mode 1
		.amdhsa_memory_ordered 1
		.amdhsa_forward_progress 1
		.amdhsa_inst_pref_size 255
		.amdhsa_round_robin_scheduling 0
		.amdhsa_exception_fp_ieee_invalid_op 0
		.amdhsa_exception_fp_denorm_src 0
		.amdhsa_exception_fp_ieee_div_zero 0
		.amdhsa_exception_fp_ieee_overflow 0
		.amdhsa_exception_fp_ieee_underflow 0
		.amdhsa_exception_fp_ieee_inexact 0
		.amdhsa_exception_int_div_zero 0
	.end_amdhsa_kernel
	.section	.text._ZN9rocsolver6v33100L18getri_kernel_smallILi51E19rocblas_complex_numIdEPS3_EEvT1_iilPiilS6_bb,"axG",@progbits,_ZN9rocsolver6v33100L18getri_kernel_smallILi51E19rocblas_complex_numIdEPS3_EEvT1_iilPiilS6_bb,comdat
.Lfunc_end50:
	.size	_ZN9rocsolver6v33100L18getri_kernel_smallILi51E19rocblas_complex_numIdEPS3_EEvT1_iilPiilS6_bb, .Lfunc_end50-_ZN9rocsolver6v33100L18getri_kernel_smallILi51E19rocblas_complex_numIdEPS3_EEvT1_iilPiilS6_bb
                                        ; -- End function
	.set _ZN9rocsolver6v33100L18getri_kernel_smallILi51E19rocblas_complex_numIdEPS3_EEvT1_iilPiilS6_bb.num_vgpr, 176
	.set _ZN9rocsolver6v33100L18getri_kernel_smallILi51E19rocblas_complex_numIdEPS3_EEvT1_iilPiilS6_bb.num_agpr, 0
	.set _ZN9rocsolver6v33100L18getri_kernel_smallILi51E19rocblas_complex_numIdEPS3_EEvT1_iilPiilS6_bb.numbered_sgpr, 83
	.set _ZN9rocsolver6v33100L18getri_kernel_smallILi51E19rocblas_complex_numIdEPS3_EEvT1_iilPiilS6_bb.num_named_barrier, 0
	.set _ZN9rocsolver6v33100L18getri_kernel_smallILi51E19rocblas_complex_numIdEPS3_EEvT1_iilPiilS6_bb.private_seg_size, 848
	.set _ZN9rocsolver6v33100L18getri_kernel_smallILi51E19rocblas_complex_numIdEPS3_EEvT1_iilPiilS6_bb.uses_vcc, 1
	.set _ZN9rocsolver6v33100L18getri_kernel_smallILi51E19rocblas_complex_numIdEPS3_EEvT1_iilPiilS6_bb.uses_flat_scratch, 1
	.set _ZN9rocsolver6v33100L18getri_kernel_smallILi51E19rocblas_complex_numIdEPS3_EEvT1_iilPiilS6_bb.has_dyn_sized_stack, 0
	.set _ZN9rocsolver6v33100L18getri_kernel_smallILi51E19rocblas_complex_numIdEPS3_EEvT1_iilPiilS6_bb.has_recursion, 0
	.set _ZN9rocsolver6v33100L18getri_kernel_smallILi51E19rocblas_complex_numIdEPS3_EEvT1_iilPiilS6_bb.has_indirect_call, 0
	.section	.AMDGPU.csdata,"",@progbits
; Kernel info:
; codeLenInByte = 105668
; TotalNumSgprs: 85
; NumVgprs: 176
; ScratchSize: 848
; MemoryBound: 0
; FloatMode: 240
; IeeeMode: 1
; LDSByteSize: 1640 bytes/workgroup (compile time only)
; SGPRBlocks: 0
; VGPRBlocks: 21
; NumSGPRsForWavesPerEU: 85
; NumVGPRsForWavesPerEU: 176
; Occupancy: 8
; WaveLimiterHint : 1
; COMPUTE_PGM_RSRC2:SCRATCH_EN: 1
; COMPUTE_PGM_RSRC2:USER_SGPR: 2
; COMPUTE_PGM_RSRC2:TRAP_HANDLER: 0
; COMPUTE_PGM_RSRC2:TGID_X_EN: 1
; COMPUTE_PGM_RSRC2:TGID_Y_EN: 0
; COMPUTE_PGM_RSRC2:TGID_Z_EN: 0
; COMPUTE_PGM_RSRC2:TIDIG_COMP_CNT: 0
	.section	.text._ZN9rocsolver6v33100L18getri_kernel_smallILi52E19rocblas_complex_numIdEPS3_EEvT1_iilPiilS6_bb,"axG",@progbits,_ZN9rocsolver6v33100L18getri_kernel_smallILi52E19rocblas_complex_numIdEPS3_EEvT1_iilPiilS6_bb,comdat
	.globl	_ZN9rocsolver6v33100L18getri_kernel_smallILi52E19rocblas_complex_numIdEPS3_EEvT1_iilPiilS6_bb ; -- Begin function _ZN9rocsolver6v33100L18getri_kernel_smallILi52E19rocblas_complex_numIdEPS3_EEvT1_iilPiilS6_bb
	.p2align	8
	.type	_ZN9rocsolver6v33100L18getri_kernel_smallILi52E19rocblas_complex_numIdEPS3_EEvT1_iilPiilS6_bb,@function
_ZN9rocsolver6v33100L18getri_kernel_smallILi52E19rocblas_complex_numIdEPS3_EEvT1_iilPiilS6_bb: ; @_ZN9rocsolver6v33100L18getri_kernel_smallILi52E19rocblas_complex_numIdEPS3_EEvT1_iilPiilS6_bb
; %bb.0:
	s_mov_b32 s2, exec_lo
	v_cmpx_gt_u32_e32 52, v0
	s_cbranch_execz .LBB51_222
; %bb.1:
	s_clause 0x2
	s_load_b32 s2, s[0:1], 0x38
	s_load_b128 s[12:15], s[0:1], 0x10
	s_load_b128 s[4:7], s[0:1], 0x28
	s_mov_b32 s16, ttmp9
	s_wait_kmcnt 0x0
	s_bitcmp1_b32 s2, 8
	s_cselect_b32 s18, -1, 0
	s_bfe_u32 s2, s2, 0x10008
	s_ashr_i32 s17, ttmp9, 31
	s_cmp_eq_u32 s2, 0
                                        ; implicit-def: $sgpr2_sgpr3
	s_cbranch_scc1 .LBB51_3
; %bb.2:
	s_load_b32 s2, s[0:1], 0x20
	s_mul_u64 s[4:5], s[4:5], s[16:17]
	s_delay_alu instid0(SALU_CYCLE_1) | instskip(NEXT) | instid1(SALU_CYCLE_1)
	s_lshl_b64 s[4:5], s[4:5], 2
	s_add_nc_u64 s[4:5], s[14:15], s[4:5]
	s_wait_kmcnt 0x0
	s_ashr_i32 s3, s2, 31
	s_delay_alu instid0(SALU_CYCLE_1) | instskip(NEXT) | instid1(SALU_CYCLE_1)
	s_lshl_b64 s[2:3], s[2:3], 2
	s_add_nc_u64 s[2:3], s[4:5], s[2:3]
.LBB51_3:
	s_clause 0x1
	s_load_b128 s[8:11], s[0:1], 0x0
	s_load_b32 s61, s[0:1], 0x38
	s_mul_u64 s[0:1], s[12:13], s[16:17]
	v_lshlrev_b32_e32 v15, 4, v0
	s_lshl_b64 s[0:1], s[0:1], 4
	s_movk_i32 s12, 0xd0
	s_movk_i32 s13, 0xe0
	;; [unrolled: 1-line block ×15, first 2 shown]
	s_wait_kmcnt 0x0
	s_ashr_i32 s5, s10, 31
	s_mov_b32 s4, s10
	s_add_nc_u64 s[0:1], s[8:9], s[0:1]
	s_lshl_b64 s[4:5], s[4:5], 4
	s_ashr_i32 s9, s11, 31
	s_add_nc_u64 s[0:1], s[0:1], s[4:5]
	s_mov_b32 s8, s11
	v_add_co_u32 v46, s4, s0, v15
	s_delay_alu instid0(VALU_DEP_1) | instskip(SKIP_4) | instid1(VALU_DEP_1)
	v_add_co_ci_u32_e64 v47, null, s1, 0, s4
	s_lshl_b64 s[4:5], s[8:9], 4
	v_add3_u32 v9, s11, s11, v0
	s_wait_alu 0xfffe
	v_add_co_u32 v48, vcc_lo, v46, s4
	v_add_co_ci_u32_e64 v49, null, s5, v47, vcc_lo
	s_clause 0x1
	global_load_b128 v[1:4], v15, s[0:1]
	global_load_b128 v[5:8], v[48:49], off
	v_add_nc_u32_e32 v11, s11, v9
	v_ashrrev_i32_e32 v10, 31, v9
	s_movk_i32 s4, 0x70
	s_movk_i32 s5, 0x80
	;; [unrolled: 1-line block ×3, first 2 shown]
	v_ashrrev_i32_e32 v12, 31, v11
	v_add_nc_u32_e32 v13, s11, v11
	v_lshlrev_b64_e32 v[9:10], 4, v[9:10]
	s_movk_i32 s9, 0xa0
	s_movk_i32 s10, 0xb0
	v_lshlrev_b64_e32 v[16:17], 4, v[11:12]
	v_ashrrev_i32_e32 v14, 31, v13
	v_add_nc_u32_e32 v11, s11, v13
	v_add_co_u32 v50, vcc_lo, s0, v9
	s_wait_alu 0xfffd
	v_add_co_ci_u32_e64 v51, null, s1, v10, vcc_lo
	v_lshlrev_b64_e32 v[9:10], 4, v[13:14]
	v_add_nc_u32_e32 v13, s11, v11
	v_ashrrev_i32_e32 v12, 31, v11
	v_add_co_u32 v52, vcc_lo, s0, v16
	s_wait_alu 0xfffd
	v_add_co_ci_u32_e64 v53, null, s1, v17, vcc_lo
	v_add_nc_u32_e32 v24, s11, v13
	v_ashrrev_i32_e32 v14, 31, v13
	global_load_b128 v[16:19], v[50:51], off
	v_lshlrev_b64_e32 v[11:12], 4, v[11:12]
	v_add_co_u32 v54, vcc_lo, s0, v9
	v_add_nc_u32_e32 v26, s11, v24
	v_lshlrev_b64_e32 v[13:14], 4, v[13:14]
	v_ashrrev_i32_e32 v25, 31, v24
	s_wait_alu 0xfffd
	v_add_co_ci_u32_e64 v55, null, s1, v10, vcc_lo
	v_add_nc_u32_e32 v32, s11, v26
	v_ashrrev_i32_e32 v27, 31, v26
	v_add_co_u32 v56, vcc_lo, s0, v11
	s_wait_alu 0xfffd
	v_add_co_ci_u32_e64 v57, null, s1, v12, vcc_lo
	v_add_nc_u32_e32 v34, s11, v32
	v_lshlrev_b64_e32 v[24:25], 4, v[24:25]
	v_add_co_u32 v58, vcc_lo, s0, v13
	s_wait_alu 0xfffd
	v_add_co_ci_u32_e64 v59, null, s1, v14, vcc_lo
	v_add_nc_u32_e32 v40, s11, v34
	v_lshlrev_b64_e32 v[13:14], 4, v[26:27]
	v_ashrrev_i32_e32 v33, 31, v32
	v_ashrrev_i32_e32 v35, 31, v34
	v_add_co_u32 v60, vcc_lo, s0, v24
	v_add_nc_u32_e32 v42, s11, v40
	s_wait_alu 0xfffd
	v_add_co_ci_u32_e64 v61, null, s1, v25, vcc_lo
	v_lshlrev_b64_e32 v[32:33], 4, v[32:33]
	v_add_co_u32 v62, vcc_lo, s0, v13
	v_add_nc_u32_e32 v44, s11, v42
	s_wait_alu 0xfffd
	v_add_co_ci_u32_e64 v63, null, s1, v14, vcc_lo
	v_lshlrev_b64_e32 v[13:14], 4, v[34:35]
	s_clause 0x1
	global_load_b128 v[9:12], v[52:53], off
	global_load_b128 v[20:23], v[54:55], off
	v_add_nc_u32_e32 v72, s11, v44
	v_ashrrev_i32_e32 v41, 31, v40
	s_clause 0x1
	global_load_b128 v[24:27], v[56:57], off
	global_load_b128 v[28:31], v[58:59], off
	v_ashrrev_i32_e32 v43, 31, v42
	v_add_co_u32 v64, vcc_lo, s0, v32
	v_add_nc_u32_e32 v74, s11, v72
	v_ashrrev_i32_e32 v45, 31, v44
	s_wait_alu 0xfffd
	v_add_co_ci_u32_e64 v65, null, s1, v33, vcc_lo
	v_lshlrev_b64_e32 v[40:41], 4, v[40:41]
	v_add_nc_u32_e32 v76, s11, v74
	v_add_co_u32 v66, vcc_lo, s0, v13
	s_wait_alu 0xfffd
	v_add_co_ci_u32_e64 v67, null, s1, v14, vcc_lo
	s_delay_alu instid0(VALU_DEP_3)
	v_add_nc_u32_e32 v78, s11, v76
	v_lshlrev_b64_e32 v[13:14], 4, v[42:43]
	v_lshlrev_b64_e32 v[44:45], 4, v[44:45]
	v_ashrrev_i32_e32 v73, 31, v72
	s_clause 0x1
	global_load_b128 v[32:35], v[60:61], off
	global_load_b128 v[36:39], v[62:63], off
	v_add_nc_u32_e32 v80, s11, v78
	v_add_co_u32 v68, vcc_lo, s0, v40
	v_ashrrev_i32_e32 v75, 31, v74
	s_wait_alu 0xfffd
	v_add_co_ci_u32_e64 v69, null, s1, v41, vcc_lo
	v_add_nc_u32_e32 v82, s11, v80
	v_add_co_u32 v70, vcc_lo, s0, v13
	s_wait_alu 0xfffd
	v_add_co_ci_u32_e64 v71, null, s1, v14, vcc_lo
	v_lshlrev_b64_e32 v[13:14], 4, v[72:73]
	v_add_co_u32 v72, vcc_lo, s0, v44
	v_add_nc_u32_e32 v84, s11, v82
	s_wait_alu 0xfffd
	v_add_co_ci_u32_e64 v73, null, s1, v45, vcc_lo
	v_lshlrev_b64_e32 v[44:45], 4, v[74:75]
	v_ashrrev_i32_e32 v77, 31, v76
	s_clause 0x1
	global_load_b128 v[40:43], v[64:65], off
	global_load_b128 v[122:125], v[66:67], off
	v_ashrrev_i32_e32 v79, 31, v78
	v_add_co_u32 v74, vcc_lo, s0, v13
	v_add_nc_u32_e32 v86, s11, v84
	s_wait_alu 0xfffd
	v_add_co_ci_u32_e64 v75, null, s1, v14, vcc_lo
	v_lshlrev_b64_e32 v[13:14], 4, v[76:77]
	v_add_co_u32 v76, vcc_lo, s0, v44
	s_wait_alu 0xfffd
	v_add_co_ci_u32_e64 v77, null, s1, v45, vcc_lo
	v_lshlrev_b64_e32 v[44:45], 4, v[78:79]
	v_ashrrev_i32_e32 v81, 31, v80
	v_add_nc_u32_e32 v88, s11, v86
	v_ashrrev_i32_e32 v83, 31, v82
	v_add_co_u32 v78, vcc_lo, s0, v13
	s_wait_alu 0xfffd
	v_add_co_ci_u32_e64 v79, null, s1, v14, vcc_lo
	v_lshlrev_b64_e32 v[13:14], 4, v[80:81]
	v_add_co_u32 v80, vcc_lo, s0, v44
	v_add_nc_u32_e32 v90, s11, v88
	s_wait_alu 0xfffd
	v_add_co_ci_u32_e64 v81, null, s1, v45, vcc_lo
	v_lshlrev_b64_e32 v[44:45], 4, v[82:83]
	v_ashrrev_i32_e32 v85, 31, v84
	s_clause 0x1
	global_load_b128 v[126:129], v[68:69], off
	global_load_b128 v[130:133], v[70:71], off
	v_ashrrev_i32_e32 v87, 31, v86
	v_add_nc_u32_e32 v92, s11, v90
	s_clause 0x1
	global_load_b128 v[134:137], v[72:73], off
	global_load_b128 v[138:141], v[74:75], off
	v_add_co_u32 v82, vcc_lo, s0, v13
	s_wait_alu 0xfffd
	v_add_co_ci_u32_e64 v83, null, s1, v14, vcc_lo
	v_lshlrev_b64_e32 v[13:14], 4, v[84:85]
	v_add_co_u32 v84, vcc_lo, s0, v44
	s_wait_alu 0xfffd
	v_add_co_ci_u32_e64 v85, null, s1, v45, vcc_lo
	v_lshlrev_b64_e32 v[44:45], 4, v[86:87]
	v_add_nc_u32_e32 v94, s11, v92
	v_ashrrev_i32_e32 v89, 31, v88
	v_ashrrev_i32_e32 v91, 31, v90
	v_add_co_u32 v86, vcc_lo, s0, v13
	s_delay_alu instid0(VALU_DEP_4)
	v_add_nc_u32_e32 v96, s11, v94
	s_wait_alu 0xfffd
	v_add_co_ci_u32_e64 v87, null, s1, v14, vcc_lo
	v_lshlrev_b64_e32 v[13:14], 4, v[88:89]
	v_add_co_u32 v88, vcc_lo, s0, v44
	s_wait_alu 0xfffd
	v_add_co_ci_u32_e64 v89, null, s1, v45, vcc_lo
	v_lshlrev_b64_e32 v[44:45], 4, v[90:91]
	v_ashrrev_i32_e32 v93, 31, v92
	v_add_nc_u32_e32 v98, s11, v96
	v_ashrrev_i32_e32 v95, 31, v94
	v_add_co_u32 v90, vcc_lo, s0, v13
	s_wait_alu 0xfffd
	v_add_co_ci_u32_e64 v91, null, s1, v14, vcc_lo
	v_lshlrev_b64_e32 v[13:14], 4, v[92:93]
	v_add_co_u32 v92, vcc_lo, s0, v44
	v_add_nc_u32_e32 v100, s11, v98
	s_wait_alu 0xfffd
	v_add_co_ci_u32_e64 v93, null, s1, v45, vcc_lo
	v_lshlrev_b64_e32 v[44:45], 4, v[94:95]
	v_ashrrev_i32_e32 v97, 31, v96
	v_ashrrev_i32_e32 v99, 31, v98
	s_clause 0x1
	global_load_b128 v[142:145], v[76:77], off
	global_load_b128 v[146:149], v[78:79], off
	v_add_co_u32 v94, vcc_lo, s0, v13
	v_add_nc_u32_e32 v102, s11, v100
	s_wait_alu 0xfffd
	v_add_co_ci_u32_e64 v95, null, s1, v14, vcc_lo
	v_lshlrev_b64_e32 v[13:14], 4, v[96:97]
	v_add_co_u32 v96, vcc_lo, s0, v44
	s_wait_alu 0xfffd
	v_add_co_ci_u32_e64 v97, null, s1, v45, vcc_lo
	v_lshlrev_b64_e32 v[44:45], 4, v[98:99]
	v_ashrrev_i32_e32 v101, 31, v100
	v_add_nc_u32_e32 v104, s11, v102
	v_ashrrev_i32_e32 v103, 31, v102
	v_add_co_u32 v98, vcc_lo, s0, v13
	s_wait_alu 0xfffd
	v_add_co_ci_u32_e64 v99, null, s1, v14, vcc_lo
	v_lshlrev_b64_e32 v[13:14], 4, v[100:101]
	v_add_co_u32 v100, vcc_lo, s0, v44
	v_add_nc_u32_e32 v110, s11, v104
	s_wait_alu 0xfffd
	v_add_co_ci_u32_e64 v101, null, s1, v45, vcc_lo
	v_lshlrev_b64_e32 v[44:45], 4, v[102:103]
	v_ashrrev_i32_e32 v105, 31, v104
	v_ashrrev_i32_e32 v111, 31, v110
	v_add_co_u32 v102, vcc_lo, s0, v13
	s_wait_alu 0xfffd
	v_add_co_ci_u32_e64 v103, null, s1, v14, vcc_lo
	v_lshlrev_b64_e32 v[13:14], 4, v[104:105]
	v_add_co_u32 v104, vcc_lo, s0, v44
	s_wait_alu 0xfffd
	v_add_co_ci_u32_e64 v105, null, s1, v45, vcc_lo
	v_lshlrev_b64_e32 v[44:45], 4, v[110:111]
	s_delay_alu instid0(VALU_DEP_4)
	v_add_co_u32 v106, vcc_lo, s0, v13
	s_wait_alu 0xfffd
	v_add_co_ci_u32_e64 v107, null, s1, v14, vcc_lo
	s_clause 0x1
	global_load_b128 v[150:153], v[80:81], off
	global_load_b128 v[154:157], v[82:83], off
	v_add_co_u32 v108, vcc_lo, s0, v44
	s_wait_alu 0xfffd
	v_add_co_ci_u32_e64 v109, null, s1, v45, vcc_lo
	s_clause 0xa
	global_load_b128 v[158:161], v[84:85], off
	global_load_b128 v[162:165], v[86:87], off
	;; [unrolled: 1-line block ×11, first 2 shown]
	v_add_nc_u32_e32 v13, s11, v110
	s_movk_i32 s33, 0x1c0
	s_movk_i32 s36, 0x1d0
	;; [unrolled: 1-line block ×4, first 2 shown]
	v_ashrrev_i32_e32 v14, 31, v13
	s_movk_i32 s40, 0x200
	s_movk_i32 s45, 0x210
	;; [unrolled: 1-line block ×20, first 2 shown]
	s_wait_alu 0xfffe
	s_add_co_i32 s58, s4, 16
	s_add_co_i32 s57, s5, 16
	;; [unrolled: 1-line block ×43, first 2 shown]
	s_mov_b32 s44, 32
	s_mov_b32 s43, 48
	;; [unrolled: 1-line block ×3, first 2 shown]
	s_movk_i32 s41, 0x50
	s_wait_loadcnt 0x1d
	scratch_store_b128 off, v[1:4], off offset:16
	s_wait_loadcnt 0x1c
	scratch_store_b128 off, v[5:8], off offset:32
	s_clause 0x1
	global_load_b128 v[1:4], v[106:107], off
	global_load_b128 v[5:8], v[108:109], off
	s_wait_loadcnt 0x1d
	scratch_store_b128 off, v[16:19], off offset:48
	v_add_nc_u32_e32 v16, s11, v13
	v_lshlrev_b64_e32 v[13:14], 4, v[13:14]
	s_delay_alu instid0(VALU_DEP_2) | instskip(SKIP_1) | instid1(VALU_DEP_3)
	v_add_nc_u32_e32 v18, s11, v16
	v_ashrrev_i32_e32 v17, 31, v16
	v_add_co_u32 v110, vcc_lo, s0, v13
	s_wait_alu 0xfffd
	s_delay_alu instid0(VALU_DEP_4) | instskip(SKIP_3) | instid1(VALU_DEP_3)
	v_add_co_ci_u32_e64 v111, null, s1, v14, vcc_lo
	v_add_nc_u32_e32 v44, s11, v18
	v_lshlrev_b64_e32 v[16:17], 4, v[16:17]
	v_ashrrev_i32_e32 v19, 31, v18
	v_add_nc_u32_e32 v13, s11, v44
	v_ashrrev_i32_e32 v45, 31, v44
	s_delay_alu instid0(VALU_DEP_4)
	v_add_co_u32 v112, vcc_lo, s0, v16
	s_wait_alu 0xfffd
	v_add_co_ci_u32_e64 v113, null, s1, v17, vcc_lo
	v_lshlrev_b64_e32 v[16:17], 4, v[18:19]
	v_ashrrev_i32_e32 v14, 31, v13
	v_lshlrev_b64_e32 v[18:19], 4, v[44:45]
	s_delay_alu instid0(VALU_DEP_3) | instskip(SKIP_1) | instid1(VALU_DEP_4)
	v_add_co_u32 v114, vcc_lo, s0, v16
	s_wait_alu 0xfffd
	v_add_co_ci_u32_e64 v115, null, s1, v17, vcc_lo
	s_delay_alu instid0(VALU_DEP_3)
	v_add_co_u32 v116, vcc_lo, s0, v18
	s_wait_alu 0xfffd
	v_add_co_ci_u32_e64 v117, null, s1, v19, vcc_lo
	s_wait_loadcnt 0x1b
	s_clause 0x1
	scratch_store_b128 off, v[20:23], off offset:80
	scratch_store_b128 off, v[9:12], off offset:64
	s_wait_loadcnt 0x1a
	scratch_store_b128 off, v[24:27], off offset:96
	v_add_nc_u32_e32 v24, s11, v13
	global_load_b128 v[9:12], v[110:111], off
	s_wait_loadcnt 0x1a
	scratch_store_b128 off, v[28:31], off offset:112
	s_wait_loadcnt 0x19
	scratch_store_b128 off, v[32:35], off offset:128
	v_add_nc_u32_e32 v26, s11, v24
	v_lshlrev_b64_e32 v[13:14], 4, v[13:14]
	v_ashrrev_i32_e32 v25, 31, v24
	s_clause 0x1
	global_load_b128 v[16:19], v[112:113], off
	global_load_b128 v[20:23], v[114:115], off
	s_wait_loadcnt 0x1a
	scratch_store_b128 off, v[36:39], off offset:144
	v_add_nc_u32_e32 v32, s11, v26
	v_ashrrev_i32_e32 v27, 31, v26
	v_lshlrev_b64_e32 v[24:25], 4, v[24:25]
	v_add_co_u32 v118, vcc_lo, s0, v13
	s_delay_alu instid0(VALU_DEP_4)
	v_add_nc_u32_e32 v34, s11, v32
	s_wait_loadcnt 0x19
	scratch_store_b128 off, v[40:43], off offset:160
	s_wait_loadcnt 0x18
	scratch_store_b128 off, v[122:125], off offset:176
	v_add_nc_u32_e32 v40, s11, v34
	s_wait_alu 0xfffd
	v_add_co_ci_u32_e64 v119, null, s1, v14, vcc_lo
	v_lshlrev_b64_e32 v[13:14], 4, v[26:27]
	v_ashrrev_i32_e32 v33, 31, v32
	v_ashrrev_i32_e32 v35, 31, v34
	v_add_nc_u32_e32 v42, s11, v40
	v_add_co_u32 v120, vcc_lo, s0, v24
	s_wait_alu 0xfffd
	v_add_co_ci_u32_e64 v121, null, s1, v25, vcc_lo
	v_lshlrev_b64_e32 v[32:33], 4, v[32:33]
	v_add_co_u32 v122, vcc_lo, s0, v13
	s_wait_alu 0xfffd
	v_add_co_ci_u32_e64 v123, null, s1, v14, vcc_lo
	v_lshlrev_b64_e32 v[13:14], 4, v[34:35]
	v_add_nc_u32_e32 v44, s11, v42
	v_ashrrev_i32_e32 v41, 31, v40
	v_ashrrev_i32_e32 v43, 31, v42
	v_add_co_u32 v124, vcc_lo, s0, v32
	s_delay_alu instid0(VALU_DEP_4)
	v_ashrrev_i32_e32 v45, 31, v44
	s_clause 0x1
	global_load_b128 v[24:27], v[116:117], off
	global_load_b128 v[28:31], v[118:119], off
	s_wait_alu 0xfffd
	v_add_co_ci_u32_e64 v125, null, s1, v33, vcc_lo
	s_wait_loadcnt 0x19
	scratch_store_b128 off, v[126:129], off offset:192
	s_wait_loadcnt 0x18
	scratch_store_b128 off, v[130:133], off offset:208
	s_wait_loadcnt 0x17
	scratch_store_b128 off, v[134:137], off offset:224
	v_lshlrev_b64_e32 v[40:41], 4, v[40:41]
	v_add_co_u32 v126, vcc_lo, s0, v13
	v_add_nc_u32_e32 v132, s11, v44
	s_wait_alu 0xfffd
	v_add_co_ci_u32_e64 v127, null, s1, v14, vcc_lo
	v_lshlrev_b64_e32 v[13:14], 4, v[42:43]
	v_lshlrev_b64_e32 v[44:45], 4, v[44:45]
	v_ashrrev_i32_e32 v133, 31, v132
	v_add_nc_u32_e32 v134, s11, v132
	v_add_co_u32 v128, vcc_lo, s0, v40
	s_wait_alu 0xfffd
	v_add_co_ci_u32_e64 v129, null, s1, v41, vcc_lo
	v_add_co_u32 v130, vcc_lo, s0, v13
	s_wait_alu 0xfffd
	v_add_co_ci_u32_e64 v131, null, s1, v14, vcc_lo
	v_lshlrev_b64_e32 v[13:14], 4, v[132:133]
	v_add_co_u32 v132, vcc_lo, s0, v44
	v_add_nc_u32_e32 v44, s11, v134
	v_ashrrev_i32_e32 v135, 31, v134
	s_clause 0x1
	global_load_b128 v[32:35], v[120:121], off
	global_load_b128 v[36:39], v[122:123], off
	s_wait_loadcnt 0x18
	scratch_store_b128 off, v[138:141], off offset:240
	s_wait_alu 0xfffd
	v_add_co_ci_u32_e64 v133, null, s1, v45, vcc_lo
	v_ashrrev_i32_e32 v45, 31, v44
	v_add_nc_u32_e32 v138, s11, v44
	v_lshlrev_b64_e32 v[136:137], 4, v[134:135]
	v_add_co_u32 v134, vcc_lo, s0, v13
	s_wait_alu 0xfffd
	v_add_co_ci_u32_e64 v135, null, s1, v14, vcc_lo
	v_lshlrev_b64_e32 v[13:14], 4, v[44:45]
	v_add_nc_u32_e32 v44, s11, v138
	v_ashrrev_i32_e32 v139, 31, v138
	s_wait_loadcnt 0x17
	scratch_store_b128 off, v[142:145], off offset:256
	s_wait_loadcnt 0x16
	scratch_store_b128 off, v[146:149], off offset:272
	v_ashrrev_i32_e32 v45, 31, v44
	v_add_nc_u32_e32 v142, s11, v44
	v_add_co_u32 v136, vcc_lo, s0, v136
	s_wait_alu 0xfffd
	v_add_co_ci_u32_e64 v137, null, s1, v137, vcc_lo
	v_lshlrev_b64_e32 v[140:141], 4, v[138:139]
	v_add_co_u32 v138, vcc_lo, s0, v13
	s_wait_alu 0xfffd
	v_add_co_ci_u32_e64 v139, null, s1, v14, vcc_lo
	v_lshlrev_b64_e32 v[13:14], 4, v[44:45]
	v_add_nc_u32_e32 v44, s11, v142
	v_ashrrev_i32_e32 v143, 31, v142
	v_add_co_u32 v140, vcc_lo, s0, v140
	s_wait_alu 0xfffd
	v_add_co_ci_u32_e64 v141, null, s1, v141, vcc_lo
	v_add_nc_u32_e32 v146, s11, v44
	v_ashrrev_i32_e32 v45, 31, v44
	v_lshlrev_b64_e32 v[144:145], 4, v[142:143]
	v_add_co_u32 v142, vcc_lo, s0, v13
	s_delay_alu instid0(VALU_DEP_4)
	v_ashrrev_i32_e32 v147, 31, v146
	s_wait_alu 0xfffd
	v_add_co_ci_u32_e64 v143, null, s1, v14, vcc_lo
	v_lshlrev_b64_e32 v[13:14], 4, v[44:45]
	v_add_co_u32 v144, vcc_lo, s0, v144
	v_lshlrev_b64_e32 v[44:45], 4, v[146:147]
	s_wait_alu 0xfffd
	v_add_co_ci_u32_e64 v145, null, s1, v145, vcc_lo
	s_delay_alu instid0(VALU_DEP_4)
	v_add_co_u32 v146, vcc_lo, s0, v13
	s_wait_alu 0xfffd
	v_add_co_ci_u32_e64 v147, null, s1, v14, vcc_lo
	v_add_co_u32 v148, vcc_lo, s0, v44
	s_clause 0x1
	global_load_b128 v[40:43], v[124:125], off
	global_load_b128 v[202:205], v[126:127], off
	s_wait_alu 0xfffd
	v_add_co_ci_u32_e64 v149, null, s1, v45, vcc_lo
	s_wait_loadcnt 0x17
	scratch_store_b128 off, v[150:153], off offset:288
	s_wait_loadcnt 0x16
	scratch_store_b128 off, v[154:157], off offset:304
	s_wait_loadcnt 0x15
	scratch_store_b128 off, v[158:161], off offset:320
	s_clause 0x1
	global_load_b128 v[150:153], v[128:129], off
	global_load_b128 v[154:157], v[130:131], off
	s_wait_loadcnt 0x16
	scratch_store_b128 off, v[162:165], off offset:336
	s_wait_loadcnt 0x15
	scratch_store_b128 off, v[166:169], off offset:352
	s_wait_loadcnt 0x14
	scratch_store_b128 off, v[170:173], off offset:368
	s_clause 0x1
	global_load_b128 v[158:161], v[132:133], off
	global_load_b128 v[162:165], v[134:135], off
	;; [unrolled: 9-line block ×4, first 2 shown]
	s_wait_loadcnt 0x13
	scratch_store_b128 off, v[198:201], off offset:480
	global_load_b128 v[182:185], v[144:145], off
	s_movk_i32 s0, 0x50
	s_movk_i32 s1, 0x60
	s_movk_i32 s11, 0xc0
	s_wait_alu 0xfffe
	s_add_co_i32 s60, s0, 16
	s_add_co_i32 s59, s1, 16
	;; [unrolled: 1-line block ×4, first 2 shown]
	s_bitcmp0_b32 s61, 0
	s_mov_b32 s1, -1
	s_wait_loadcnt 0x13
	scratch_store_b128 off, v[1:4], off offset:496
	global_load_b128 v[1:4], v[146:147], off
	s_wait_loadcnt 0x13
	scratch_store_b128 off, v[5:8], off offset:512
	global_load_b128 v[5:8], v[148:149], off
	s_wait_loadcnt 0x13
	scratch_store_b128 off, v[9:12], off offset:528
	s_wait_loadcnt 0x12
	scratch_store_b128 off, v[16:19], off offset:544
	;; [unrolled: 2-line block ×20, first 2 shown]
	s_cbranch_scc1 .LBB51_220
; %bb.4:
	v_cmp_eq_u32_e64 s0, 0, v0
	s_and_saveexec_b32 s1, s0
; %bb.5:
	v_mov_b32_e32 v1, 0
	ds_store_b32 v1, v1 offset:1664
; %bb.6:
	s_wait_alu 0xfffe
	s_or_b32 exec_lo, exec_lo, s1
	s_wait_storecnt_dscnt 0x0
	s_barrier_signal -1
	s_barrier_wait -1
	global_inv scope:SCOPE_SE
	scratch_load_b128 v[1:4], v15, off offset:16
	s_wait_loadcnt 0x0
	v_cmp_eq_f64_e32 vcc_lo, 0, v[1:2]
	v_cmp_eq_f64_e64 s1, 0, v[3:4]
	s_and_b32 s1, vcc_lo, s1
	s_wait_alu 0xfffe
	s_and_saveexec_b32 s61, s1
	s_cbranch_execz .LBB51_10
; %bb.7:
	v_mov_b32_e32 v1, 0
	s_mov_b32 s62, 0
	ds_load_b32 v2, v1 offset:1664
	s_wait_dscnt 0x0
	v_readfirstlane_b32 s1, v2
	v_add_nc_u32_e32 v2, 1, v0
	s_cmp_eq_u32 s1, 0
	s_delay_alu instid0(VALU_DEP_1) | instskip(SKIP_1) | instid1(SALU_CYCLE_1)
	v_cmp_gt_i32_e32 vcc_lo, s1, v2
	s_cselect_b32 s63, -1, 0
	s_or_b32 s63, s63, vcc_lo
	s_delay_alu instid0(SALU_CYCLE_1)
	s_and_b32 exec_lo, exec_lo, s63
	s_cbranch_execz .LBB51_10
; %bb.8:
	v_mov_b32_e32 v3, s1
.LBB51_9:                               ; =>This Inner Loop Header: Depth=1
	ds_cmpstore_rtn_b32 v3, v1, v2, v3 offset:1664
	s_wait_dscnt 0x0
	v_cmp_ne_u32_e32 vcc_lo, 0, v3
	v_cmp_le_i32_e64 s1, v3, v2
	s_and_b32 s1, vcc_lo, s1
	s_wait_alu 0xfffe
	s_and_b32 s1, exec_lo, s1
	s_wait_alu 0xfffe
	s_or_b32 s62, s1, s62
	s_delay_alu instid0(SALU_CYCLE_1)
	s_and_not1_b32 exec_lo, exec_lo, s62
	s_cbranch_execnz .LBB51_9
.LBB51_10:
	s_or_b32 exec_lo, exec_lo, s61
	v_mov_b32_e32 v1, 0
	s_barrier_signal -1
	s_barrier_wait -1
	global_inv scope:SCOPE_SE
	ds_load_b32 v2, v1 offset:1664
	s_and_saveexec_b32 s1, s0
	s_cbranch_execz .LBB51_12
; %bb.11:
	s_lshl_b64 s[62:63], s[16:17], 2
	s_delay_alu instid0(SALU_CYCLE_1)
	s_add_nc_u64 s[62:63], s[6:7], s[62:63]
	s_wait_dscnt 0x0
	global_store_b32 v1, v2, s[62:63]
.LBB51_12:
	s_wait_alu 0xfffe
	s_or_b32 exec_lo, exec_lo, s1
	s_wait_dscnt 0x0
	v_cmp_ne_u32_e32 vcc_lo, 0, v2
	s_mov_b32 s1, 0
	s_cbranch_vccnz .LBB51_220
; %bb.13:
	v_add_nc_u32_e32 v13, 16, v15
                                        ; implicit-def: $vgpr1_vgpr2
                                        ; implicit-def: $vgpr9_vgpr10
	scratch_load_b128 v[5:8], v13, off
	s_wait_loadcnt 0x0
	v_cmp_ngt_f64_e64 s1, |v[5:6]|, |v[7:8]|
	s_wait_alu 0xfffe
	s_and_saveexec_b32 s61, s1
	s_delay_alu instid0(SALU_CYCLE_1)
	s_xor_b32 s1, exec_lo, s61
	s_cbranch_execz .LBB51_15
; %bb.14:
	v_div_scale_f64 v[1:2], null, v[7:8], v[7:8], v[5:6]
	v_div_scale_f64 v[11:12], vcc_lo, v[5:6], v[7:8], v[5:6]
	s_delay_alu instid0(VALU_DEP_2) | instskip(NEXT) | instid1(TRANS32_DEP_1)
	v_rcp_f64_e32 v[3:4], v[1:2]
	v_fma_f64 v[9:10], -v[1:2], v[3:4], 1.0
	s_delay_alu instid0(VALU_DEP_1) | instskip(NEXT) | instid1(VALU_DEP_1)
	v_fma_f64 v[3:4], v[3:4], v[9:10], v[3:4]
	v_fma_f64 v[9:10], -v[1:2], v[3:4], 1.0
	s_delay_alu instid0(VALU_DEP_1) | instskip(NEXT) | instid1(VALU_DEP_1)
	v_fma_f64 v[3:4], v[3:4], v[9:10], v[3:4]
	v_mul_f64_e32 v[9:10], v[11:12], v[3:4]
	s_delay_alu instid0(VALU_DEP_1) | instskip(SKIP_1) | instid1(VALU_DEP_1)
	v_fma_f64 v[1:2], -v[1:2], v[9:10], v[11:12]
	s_wait_alu 0xfffd
	v_div_fmas_f64 v[1:2], v[1:2], v[3:4], v[9:10]
	s_delay_alu instid0(VALU_DEP_1) | instskip(NEXT) | instid1(VALU_DEP_1)
	v_div_fixup_f64 v[1:2], v[1:2], v[7:8], v[5:6]
	v_fma_f64 v[3:4], v[5:6], v[1:2], v[7:8]
	s_delay_alu instid0(VALU_DEP_1) | instskip(SKIP_1) | instid1(VALU_DEP_2)
	v_div_scale_f64 v[5:6], null, v[3:4], v[3:4], 1.0
	v_div_scale_f64 v[11:12], vcc_lo, 1.0, v[3:4], 1.0
	v_rcp_f64_e32 v[7:8], v[5:6]
	s_delay_alu instid0(TRANS32_DEP_1) | instskip(NEXT) | instid1(VALU_DEP_1)
	v_fma_f64 v[9:10], -v[5:6], v[7:8], 1.0
	v_fma_f64 v[7:8], v[7:8], v[9:10], v[7:8]
	s_delay_alu instid0(VALU_DEP_1) | instskip(NEXT) | instid1(VALU_DEP_1)
	v_fma_f64 v[9:10], -v[5:6], v[7:8], 1.0
	v_fma_f64 v[7:8], v[7:8], v[9:10], v[7:8]
	s_delay_alu instid0(VALU_DEP_1) | instskip(NEXT) | instid1(VALU_DEP_1)
	v_mul_f64_e32 v[9:10], v[11:12], v[7:8]
	v_fma_f64 v[5:6], -v[5:6], v[9:10], v[11:12]
	s_wait_alu 0xfffd
	s_delay_alu instid0(VALU_DEP_1) | instskip(NEXT) | instid1(VALU_DEP_1)
	v_div_fmas_f64 v[5:6], v[5:6], v[7:8], v[9:10]
	v_div_fixup_f64 v[3:4], v[5:6], v[3:4], 1.0
                                        ; implicit-def: $vgpr5_vgpr6
	s_delay_alu instid0(VALU_DEP_1) | instskip(SKIP_1) | instid1(VALU_DEP_2)
	v_mul_f64_e32 v[1:2], v[1:2], v[3:4]
	v_xor_b32_e32 v4, 0x80000000, v4
	v_xor_b32_e32 v10, 0x80000000, v2
	s_delay_alu instid0(VALU_DEP_3)
	v_mov_b32_e32 v9, v1
.LBB51_15:
	s_wait_alu 0xfffe
	s_and_not1_saveexec_b32 s1, s1
	s_cbranch_execz .LBB51_17
; %bb.16:
	v_div_scale_f64 v[1:2], null, v[5:6], v[5:6], v[7:8]
	v_div_scale_f64 v[11:12], vcc_lo, v[7:8], v[5:6], v[7:8]
	s_delay_alu instid0(VALU_DEP_2) | instskip(NEXT) | instid1(TRANS32_DEP_1)
	v_rcp_f64_e32 v[3:4], v[1:2]
	v_fma_f64 v[9:10], -v[1:2], v[3:4], 1.0
	s_delay_alu instid0(VALU_DEP_1) | instskip(NEXT) | instid1(VALU_DEP_1)
	v_fma_f64 v[3:4], v[3:4], v[9:10], v[3:4]
	v_fma_f64 v[9:10], -v[1:2], v[3:4], 1.0
	s_delay_alu instid0(VALU_DEP_1) | instskip(NEXT) | instid1(VALU_DEP_1)
	v_fma_f64 v[3:4], v[3:4], v[9:10], v[3:4]
	v_mul_f64_e32 v[9:10], v[11:12], v[3:4]
	s_delay_alu instid0(VALU_DEP_1) | instskip(SKIP_1) | instid1(VALU_DEP_1)
	v_fma_f64 v[1:2], -v[1:2], v[9:10], v[11:12]
	s_wait_alu 0xfffd
	v_div_fmas_f64 v[1:2], v[1:2], v[3:4], v[9:10]
	s_delay_alu instid0(VALU_DEP_1) | instskip(NEXT) | instid1(VALU_DEP_1)
	v_div_fixup_f64 v[3:4], v[1:2], v[5:6], v[7:8]
	v_fma_f64 v[1:2], v[7:8], v[3:4], v[5:6]
	s_delay_alu instid0(VALU_DEP_1) | instskip(NEXT) | instid1(VALU_DEP_1)
	v_div_scale_f64 v[5:6], null, v[1:2], v[1:2], 1.0
	v_rcp_f64_e32 v[7:8], v[5:6]
	s_delay_alu instid0(TRANS32_DEP_1) | instskip(NEXT) | instid1(VALU_DEP_1)
	v_fma_f64 v[9:10], -v[5:6], v[7:8], 1.0
	v_fma_f64 v[7:8], v[7:8], v[9:10], v[7:8]
	s_delay_alu instid0(VALU_DEP_1) | instskip(NEXT) | instid1(VALU_DEP_1)
	v_fma_f64 v[9:10], -v[5:6], v[7:8], 1.0
	v_fma_f64 v[7:8], v[7:8], v[9:10], v[7:8]
	v_div_scale_f64 v[9:10], vcc_lo, 1.0, v[1:2], 1.0
	s_delay_alu instid0(VALU_DEP_1) | instskip(NEXT) | instid1(VALU_DEP_1)
	v_mul_f64_e32 v[11:12], v[9:10], v[7:8]
	v_fma_f64 v[5:6], -v[5:6], v[11:12], v[9:10]
	s_wait_alu 0xfffd
	s_delay_alu instid0(VALU_DEP_1) | instskip(NEXT) | instid1(VALU_DEP_1)
	v_div_fmas_f64 v[5:6], v[5:6], v[7:8], v[11:12]
	v_div_fixup_f64 v[1:2], v[5:6], v[1:2], 1.0
	s_delay_alu instid0(VALU_DEP_1)
	v_mul_f64_e64 v[3:4], v[3:4], -v[1:2]
	v_xor_b32_e32 v10, 0x80000000, v2
	v_mov_b32_e32 v9, v1
.LBB51_17:
	s_wait_alu 0xfffe
	s_or_b32 exec_lo, exec_lo, s1
	scratch_store_b128 v13, v[1:4], off
	scratch_load_b128 v[16:19], off, s44
	v_xor_b32_e32 v12, 0x80000000, v4
	v_mov_b32_e32 v11, v3
	v_add_nc_u32_e32 v5, 0x340, v15
	ds_store_b128 v15, v[9:12]
	s_wait_loadcnt 0x0
	ds_store_b128 v15, v[16:19] offset:832
	s_wait_storecnt_dscnt 0x0
	s_barrier_signal -1
	s_barrier_wait -1
	global_inv scope:SCOPE_SE
	s_and_saveexec_b32 s1, s0
	s_cbranch_execz .LBB51_19
; %bb.18:
	scratch_load_b128 v[1:4], v13, off
	ds_load_b128 v[6:9], v5
	v_mov_b32_e32 v10, 0
	ds_load_b128 v[16:19], v10 offset:16
	s_wait_loadcnt_dscnt 0x1
	v_mul_f64_e32 v[10:11], v[6:7], v[3:4]
	v_mul_f64_e32 v[3:4], v[8:9], v[3:4]
	s_delay_alu instid0(VALU_DEP_2) | instskip(NEXT) | instid1(VALU_DEP_2)
	v_fma_f64 v[8:9], v[8:9], v[1:2], v[10:11]
	v_fma_f64 v[1:2], v[6:7], v[1:2], -v[3:4]
	s_delay_alu instid0(VALU_DEP_2) | instskip(NEXT) | instid1(VALU_DEP_2)
	v_add_f64_e32 v[3:4], 0, v[8:9]
	v_add_f64_e32 v[1:2], 0, v[1:2]
	s_wait_dscnt 0x0
	s_delay_alu instid0(VALU_DEP_2) | instskip(NEXT) | instid1(VALU_DEP_2)
	v_mul_f64_e32 v[6:7], v[3:4], v[18:19]
	v_mul_f64_e32 v[8:9], v[1:2], v[18:19]
	s_delay_alu instid0(VALU_DEP_2) | instskip(NEXT) | instid1(VALU_DEP_2)
	v_fma_f64 v[1:2], v[1:2], v[16:17], -v[6:7]
	v_fma_f64 v[3:4], v[3:4], v[16:17], v[8:9]
	scratch_store_b128 off, v[1:4], off offset:32
.LBB51_19:
	s_wait_alu 0xfffe
	s_or_b32 exec_lo, exec_lo, s1
	s_wait_loadcnt 0x0
	s_wait_storecnt 0x0
	s_barrier_signal -1
	s_barrier_wait -1
	global_inv scope:SCOPE_SE
	scratch_load_b128 v[1:4], off, s43
	s_mov_b32 s1, exec_lo
	s_wait_loadcnt 0x0
	ds_store_b128 v5, v[1:4]
	s_wait_dscnt 0x0
	s_barrier_signal -1
	s_barrier_wait -1
	global_inv scope:SCOPE_SE
	v_cmpx_gt_u32_e32 2, v0
	s_cbranch_execz .LBB51_23
; %bb.20:
	scratch_load_b128 v[1:4], v13, off
	ds_load_b128 v[6:9], v5
	s_wait_loadcnt_dscnt 0x0
	v_mul_f64_e32 v[10:11], v[8:9], v[3:4]
	v_mul_f64_e32 v[3:4], v[6:7], v[3:4]
	s_delay_alu instid0(VALU_DEP_2) | instskip(NEXT) | instid1(VALU_DEP_2)
	v_fma_f64 v[6:7], v[6:7], v[1:2], -v[10:11]
	v_fma_f64 v[3:4], v[8:9], v[1:2], v[3:4]
	s_delay_alu instid0(VALU_DEP_2) | instskip(NEXT) | instid1(VALU_DEP_2)
	v_add_f64_e32 v[1:2], 0, v[6:7]
	v_add_f64_e32 v[3:4], 0, v[3:4]
	s_and_saveexec_b32 s61, s0
	s_cbranch_execz .LBB51_22
; %bb.21:
	scratch_load_b128 v[6:9], off, off offset:32
	v_mov_b32_e32 v10, 0
	ds_load_b128 v[16:19], v10 offset:848
	s_wait_loadcnt_dscnt 0x0
	v_mul_f64_e32 v[10:11], v[16:17], v[8:9]
	v_mul_f64_e32 v[8:9], v[18:19], v[8:9]
	s_delay_alu instid0(VALU_DEP_2) | instskip(NEXT) | instid1(VALU_DEP_2)
	v_fma_f64 v[10:11], v[18:19], v[6:7], v[10:11]
	v_fma_f64 v[6:7], v[16:17], v[6:7], -v[8:9]
	s_delay_alu instid0(VALU_DEP_2) | instskip(NEXT) | instid1(VALU_DEP_2)
	v_add_f64_e32 v[3:4], v[3:4], v[10:11]
	v_add_f64_e32 v[1:2], v[1:2], v[6:7]
.LBB51_22:
	s_or_b32 exec_lo, exec_lo, s61
	v_mov_b32_e32 v6, 0
	ds_load_b128 v[6:9], v6 offset:32
	s_wait_dscnt 0x0
	v_mul_f64_e32 v[10:11], v[3:4], v[8:9]
	v_mul_f64_e32 v[8:9], v[1:2], v[8:9]
	s_delay_alu instid0(VALU_DEP_2) | instskip(NEXT) | instid1(VALU_DEP_2)
	v_fma_f64 v[1:2], v[1:2], v[6:7], -v[10:11]
	v_fma_f64 v[3:4], v[3:4], v[6:7], v[8:9]
	scratch_store_b128 off, v[1:4], off offset:48
.LBB51_23:
	s_wait_alu 0xfffe
	s_or_b32 exec_lo, exec_lo, s1
	s_wait_loadcnt 0x0
	s_wait_storecnt 0x0
	s_barrier_signal -1
	s_barrier_wait -1
	global_inv scope:SCOPE_SE
	scratch_load_b128 v[1:4], off, s42
	v_add_nc_u32_e32 v6, -1, v0
	s_mov_b32 s0, exec_lo
	s_wait_loadcnt 0x0
	ds_store_b128 v5, v[1:4]
	s_wait_dscnt 0x0
	s_barrier_signal -1
	s_barrier_wait -1
	global_inv scope:SCOPE_SE
	v_cmpx_gt_u32_e32 3, v0
	s_cbranch_execz .LBB51_27
; %bb.24:
	v_dual_mov_b32 v1, 0 :: v_dual_add_nc_u32 v8, 0x340, v15
	v_mov_b32_e32 v3, 0
	v_dual_mov_b32 v2, 0 :: v_dual_add_nc_u32 v7, -1, v0
	v_mov_b32_e32 v4, 0
	v_or_b32_e32 v9, 8, v13
	s_mov_b32 s1, 0
.LBB51_25:                              ; =>This Inner Loop Header: Depth=1
	scratch_load_b128 v[16:19], v9, off offset:-8
	ds_load_b128 v[20:23], v8
	v_add_nc_u32_e32 v7, 1, v7
	v_add_nc_u32_e32 v8, 16, v8
	v_add_nc_u32_e32 v9, 16, v9
	s_delay_alu instid0(VALU_DEP_3)
	v_cmp_lt_u32_e32 vcc_lo, 1, v7
	s_wait_alu 0xfffe
	s_or_b32 s1, vcc_lo, s1
	s_wait_loadcnt_dscnt 0x0
	v_mul_f64_e32 v[10:11], v[22:23], v[18:19]
	v_mul_f64_e32 v[18:19], v[20:21], v[18:19]
	s_delay_alu instid0(VALU_DEP_2) | instskip(NEXT) | instid1(VALU_DEP_2)
	v_fma_f64 v[10:11], v[20:21], v[16:17], -v[10:11]
	v_fma_f64 v[16:17], v[22:23], v[16:17], v[18:19]
	s_delay_alu instid0(VALU_DEP_2) | instskip(NEXT) | instid1(VALU_DEP_2)
	v_add_f64_e32 v[3:4], v[3:4], v[10:11]
	v_add_f64_e32 v[1:2], v[1:2], v[16:17]
	s_wait_alu 0xfffe
	s_and_not1_b32 exec_lo, exec_lo, s1
	s_cbranch_execnz .LBB51_25
; %bb.26:
	s_or_b32 exec_lo, exec_lo, s1
	v_mov_b32_e32 v7, 0
	ds_load_b128 v[7:10], v7 offset:48
	s_wait_dscnt 0x0
	v_mul_f64_e32 v[11:12], v[1:2], v[9:10]
	v_mul_f64_e32 v[16:17], v[3:4], v[9:10]
	s_delay_alu instid0(VALU_DEP_2) | instskip(NEXT) | instid1(VALU_DEP_2)
	v_fma_f64 v[9:10], v[3:4], v[7:8], -v[11:12]
	v_fma_f64 v[11:12], v[1:2], v[7:8], v[16:17]
	scratch_store_b128 off, v[9:12], off offset:64
.LBB51_27:
	s_wait_alu 0xfffe
	s_or_b32 exec_lo, exec_lo, s0
	s_wait_loadcnt 0x0
	s_wait_storecnt 0x0
	s_barrier_signal -1
	s_barrier_wait -1
	global_inv scope:SCOPE_SE
	scratch_load_b128 v[1:4], off, s41
	s_mov_b32 s0, exec_lo
	s_wait_loadcnt 0x0
	ds_store_b128 v5, v[1:4]
	s_wait_dscnt 0x0
	s_barrier_signal -1
	s_barrier_wait -1
	global_inv scope:SCOPE_SE
	v_cmpx_gt_u32_e32 4, v0
	s_cbranch_execz .LBB51_31
; %bb.28:
	v_dual_mov_b32 v1, 0 :: v_dual_add_nc_u32 v8, 0x340, v15
	v_mov_b32_e32 v3, 0
	v_dual_mov_b32 v2, 0 :: v_dual_add_nc_u32 v7, -1, v0
	v_mov_b32_e32 v4, 0
	v_or_b32_e32 v9, 8, v13
	s_mov_b32 s1, 0
.LBB51_29:                              ; =>This Inner Loop Header: Depth=1
	scratch_load_b128 v[16:19], v9, off offset:-8
	ds_load_b128 v[20:23], v8
	v_add_nc_u32_e32 v7, 1, v7
	v_add_nc_u32_e32 v8, 16, v8
	v_add_nc_u32_e32 v9, 16, v9
	s_delay_alu instid0(VALU_DEP_3)
	v_cmp_lt_u32_e32 vcc_lo, 2, v7
	s_wait_alu 0xfffe
	s_or_b32 s1, vcc_lo, s1
	s_wait_loadcnt_dscnt 0x0
	v_mul_f64_e32 v[10:11], v[22:23], v[18:19]
	v_mul_f64_e32 v[18:19], v[20:21], v[18:19]
	s_delay_alu instid0(VALU_DEP_2) | instskip(NEXT) | instid1(VALU_DEP_2)
	v_fma_f64 v[10:11], v[20:21], v[16:17], -v[10:11]
	v_fma_f64 v[16:17], v[22:23], v[16:17], v[18:19]
	s_delay_alu instid0(VALU_DEP_2) | instskip(NEXT) | instid1(VALU_DEP_2)
	v_add_f64_e32 v[3:4], v[3:4], v[10:11]
	v_add_f64_e32 v[1:2], v[1:2], v[16:17]
	s_wait_alu 0xfffe
	s_and_not1_b32 exec_lo, exec_lo, s1
	s_cbranch_execnz .LBB51_29
; %bb.30:
	s_or_b32 exec_lo, exec_lo, s1
	v_mov_b32_e32 v7, 0
	ds_load_b128 v[7:10], v7 offset:64
	s_wait_dscnt 0x0
	v_mul_f64_e32 v[11:12], v[1:2], v[9:10]
	v_mul_f64_e32 v[16:17], v[3:4], v[9:10]
	s_delay_alu instid0(VALU_DEP_2) | instskip(NEXT) | instid1(VALU_DEP_2)
	v_fma_f64 v[9:10], v[3:4], v[7:8], -v[11:12]
	v_fma_f64 v[11:12], v[1:2], v[7:8], v[16:17]
	scratch_store_b128 off, v[9:12], off offset:80
.LBB51_31:
	s_wait_alu 0xfffe
	s_or_b32 exec_lo, exec_lo, s0
	s_wait_loadcnt 0x0
	s_wait_storecnt 0x0
	s_barrier_signal -1
	s_barrier_wait -1
	global_inv scope:SCOPE_SE
	scratch_load_b128 v[1:4], off, s60
	;; [unrolled: 58-line block ×19, first 2 shown]
	s_mov_b32 s0, exec_lo
	s_wait_loadcnt 0x0
	ds_store_b128 v5, v[1:4]
	s_wait_dscnt 0x0
	s_barrier_signal -1
	s_barrier_wait -1
	global_inv scope:SCOPE_SE
	v_cmpx_gt_u32_e32 22, v0
	s_cbranch_execz .LBB51_103
; %bb.100:
	v_dual_mov_b32 v1, 0 :: v_dual_add_nc_u32 v8, 0x340, v15
	v_mov_b32_e32 v3, 0
	v_dual_mov_b32 v2, 0 :: v_dual_add_nc_u32 v7, -1, v0
	v_mov_b32_e32 v4, 0
	v_or_b32_e32 v9, 8, v13
	s_mov_b32 s1, 0
.LBB51_101:                             ; =>This Inner Loop Header: Depth=1
	scratch_load_b128 v[16:19], v9, off offset:-8
	ds_load_b128 v[20:23], v8
	v_add_nc_u32_e32 v7, 1, v7
	v_add_nc_u32_e32 v8, 16, v8
	v_add_nc_u32_e32 v9, 16, v9
	s_delay_alu instid0(VALU_DEP_3)
	v_cmp_lt_u32_e32 vcc_lo, 20, v7
	s_wait_alu 0xfffe
	s_or_b32 s1, vcc_lo, s1
	s_wait_loadcnt_dscnt 0x0
	v_mul_f64_e32 v[10:11], v[22:23], v[18:19]
	v_mul_f64_e32 v[18:19], v[20:21], v[18:19]
	s_delay_alu instid0(VALU_DEP_2) | instskip(NEXT) | instid1(VALU_DEP_2)
	v_fma_f64 v[10:11], v[20:21], v[16:17], -v[10:11]
	v_fma_f64 v[16:17], v[22:23], v[16:17], v[18:19]
	s_delay_alu instid0(VALU_DEP_2) | instskip(NEXT) | instid1(VALU_DEP_2)
	v_add_f64_e32 v[3:4], v[3:4], v[10:11]
	v_add_f64_e32 v[1:2], v[1:2], v[16:17]
	s_wait_alu 0xfffe
	s_and_not1_b32 exec_lo, exec_lo, s1
	s_cbranch_execnz .LBB51_101
; %bb.102:
	s_or_b32 exec_lo, exec_lo, s1
	v_mov_b32_e32 v7, 0
	ds_load_b128 v[7:10], v7 offset:352
	s_wait_dscnt 0x0
	v_mul_f64_e32 v[11:12], v[1:2], v[9:10]
	v_mul_f64_e32 v[16:17], v[3:4], v[9:10]
	s_delay_alu instid0(VALU_DEP_2) | instskip(NEXT) | instid1(VALU_DEP_2)
	v_fma_f64 v[9:10], v[3:4], v[7:8], -v[11:12]
	v_fma_f64 v[11:12], v[1:2], v[7:8], v[16:17]
	scratch_store_b128 off, v[9:12], off offset:368
.LBB51_103:
	s_wait_alu 0xfffe
	s_or_b32 exec_lo, exec_lo, s0
	s_wait_loadcnt 0x0
	s_wait_storecnt 0x0
	s_barrier_signal -1
	s_barrier_wait -1
	global_inv scope:SCOPE_SE
	scratch_load_b128 v[1:4], off, s29
	s_mov_b32 s0, exec_lo
	s_wait_loadcnt 0x0
	ds_store_b128 v5, v[1:4]
	s_wait_dscnt 0x0
	s_barrier_signal -1
	s_barrier_wait -1
	global_inv scope:SCOPE_SE
	v_cmpx_gt_u32_e32 23, v0
	s_cbranch_execz .LBB51_107
; %bb.104:
	v_dual_mov_b32 v1, 0 :: v_dual_add_nc_u32 v8, 0x340, v15
	v_mov_b32_e32 v3, 0
	v_dual_mov_b32 v2, 0 :: v_dual_add_nc_u32 v7, -1, v0
	v_mov_b32_e32 v4, 0
	v_or_b32_e32 v9, 8, v13
	s_mov_b32 s1, 0
.LBB51_105:                             ; =>This Inner Loop Header: Depth=1
	scratch_load_b128 v[16:19], v9, off offset:-8
	ds_load_b128 v[20:23], v8
	v_add_nc_u32_e32 v7, 1, v7
	v_add_nc_u32_e32 v8, 16, v8
	v_add_nc_u32_e32 v9, 16, v9
	s_delay_alu instid0(VALU_DEP_3)
	v_cmp_lt_u32_e32 vcc_lo, 21, v7
	s_wait_alu 0xfffe
	s_or_b32 s1, vcc_lo, s1
	s_wait_loadcnt_dscnt 0x0
	v_mul_f64_e32 v[10:11], v[22:23], v[18:19]
	v_mul_f64_e32 v[18:19], v[20:21], v[18:19]
	s_delay_alu instid0(VALU_DEP_2) | instskip(NEXT) | instid1(VALU_DEP_2)
	v_fma_f64 v[10:11], v[20:21], v[16:17], -v[10:11]
	v_fma_f64 v[16:17], v[22:23], v[16:17], v[18:19]
	s_delay_alu instid0(VALU_DEP_2) | instskip(NEXT) | instid1(VALU_DEP_2)
	v_add_f64_e32 v[3:4], v[3:4], v[10:11]
	v_add_f64_e32 v[1:2], v[1:2], v[16:17]
	s_wait_alu 0xfffe
	s_and_not1_b32 exec_lo, exec_lo, s1
	s_cbranch_execnz .LBB51_105
; %bb.106:
	s_or_b32 exec_lo, exec_lo, s1
	v_mov_b32_e32 v7, 0
	ds_load_b128 v[7:10], v7 offset:368
	s_wait_dscnt 0x0
	v_mul_f64_e32 v[11:12], v[1:2], v[9:10]
	v_mul_f64_e32 v[16:17], v[3:4], v[9:10]
	s_delay_alu instid0(VALU_DEP_2) | instskip(NEXT) | instid1(VALU_DEP_2)
	v_fma_f64 v[9:10], v[3:4], v[7:8], -v[11:12]
	v_fma_f64 v[11:12], v[1:2], v[7:8], v[16:17]
	scratch_store_b128 off, v[9:12], off offset:384
.LBB51_107:
	s_wait_alu 0xfffe
	s_or_b32 exec_lo, exec_lo, s0
	s_wait_loadcnt 0x0
	s_wait_storecnt 0x0
	s_barrier_signal -1
	s_barrier_wait -1
	global_inv scope:SCOPE_SE
	scratch_load_b128 v[1:4], off, s30
	;; [unrolled: 58-line block ×29, first 2 shown]
	s_mov_b32 s0, exec_lo
	s_wait_loadcnt 0x0
	ds_store_b128 v5, v[1:4]
	s_wait_dscnt 0x0
	s_barrier_signal -1
	s_barrier_wait -1
	global_inv scope:SCOPE_SE
	v_cmpx_ne_u32_e32 51, v0
	s_cbranch_execz .LBB51_219
; %bb.216:
	v_mov_b32_e32 v1, 0
	v_dual_mov_b32 v2, 0 :: v_dual_mov_b32 v3, 0
	v_mov_b32_e32 v4, 0
	v_or_b32_e32 v7, 8, v13
	s_mov_b32 s1, 0
.LBB51_217:                             ; =>This Inner Loop Header: Depth=1
	scratch_load_b128 v[8:11], v7, off offset:-8
	ds_load_b128 v[12:15], v5
	v_add_nc_u32_e32 v6, 1, v6
	v_add_nc_u32_e32 v5, 16, v5
	;; [unrolled: 1-line block ×3, first 2 shown]
	s_delay_alu instid0(VALU_DEP_3)
	v_cmp_lt_u32_e32 vcc_lo, 49, v6
	s_wait_alu 0xfffe
	s_or_b32 s1, vcc_lo, s1
	s_wait_loadcnt_dscnt 0x0
	v_mul_f64_e32 v[16:17], v[14:15], v[10:11]
	v_mul_f64_e32 v[10:11], v[12:13], v[10:11]
	s_delay_alu instid0(VALU_DEP_2) | instskip(NEXT) | instid1(VALU_DEP_2)
	v_fma_f64 v[12:13], v[12:13], v[8:9], -v[16:17]
	v_fma_f64 v[8:9], v[14:15], v[8:9], v[10:11]
	s_delay_alu instid0(VALU_DEP_2) | instskip(NEXT) | instid1(VALU_DEP_2)
	v_add_f64_e32 v[3:4], v[3:4], v[12:13]
	v_add_f64_e32 v[1:2], v[1:2], v[8:9]
	s_wait_alu 0xfffe
	s_and_not1_b32 exec_lo, exec_lo, s1
	s_cbranch_execnz .LBB51_217
; %bb.218:
	s_or_b32 exec_lo, exec_lo, s1
	v_mov_b32_e32 v5, 0
	ds_load_b128 v[5:8], v5 offset:816
	s_wait_dscnt 0x0
	v_mul_f64_e32 v[9:10], v[1:2], v[7:8]
	v_mul_f64_e32 v[7:8], v[3:4], v[7:8]
	s_delay_alu instid0(VALU_DEP_2) | instskip(NEXT) | instid1(VALU_DEP_2)
	v_fma_f64 v[3:4], v[3:4], v[5:6], -v[9:10]
	v_fma_f64 v[5:6], v[1:2], v[5:6], v[7:8]
	scratch_store_b128 off, v[3:6], off offset:832
.LBB51_219:
	s_wait_alu 0xfffe
	s_or_b32 exec_lo, exec_lo, s0
	s_mov_b32 s1, -1
	s_wait_loadcnt 0x0
	s_wait_storecnt 0x0
	s_barrier_signal -1
	s_barrier_wait -1
	global_inv scope:SCOPE_SE
.LBB51_220:
	s_wait_alu 0xfffe
	s_and_b32 vcc_lo, exec_lo, s1
	s_wait_alu 0xfffe
	s_cbranch_vccz .LBB51_222
; %bb.221:
	v_mov_b32_e32 v1, 0
	s_lshl_b64 s[0:1], s[16:17], 2
	s_wait_alu 0xfffe
	s_add_nc_u64 s[0:1], s[6:7], s[0:1]
	global_load_b32 v1, v1, s[0:1]
	s_wait_loadcnt 0x0
	v_cmp_ne_u32_e32 vcc_lo, 0, v1
	s_cbranch_vccz .LBB51_223
.LBB51_222:
	s_nop 0
	s_sendmsg sendmsg(MSG_DEALLOC_VGPRS)
	s_endpgm
.LBB51_223:
	v_lshl_add_u32 v150, v0, 4, 0x340
	s_mov_b32 s0, exec_lo
	v_cmpx_eq_u32_e32 51, v0
	s_cbranch_execz .LBB51_225
; %bb.224:
	scratch_load_b128 v[1:4], off, s33
	v_mov_b32_e32 v5, 0
	s_delay_alu instid0(VALU_DEP_1)
	v_dual_mov_b32 v6, v5 :: v_dual_mov_b32 v7, v5
	v_mov_b32_e32 v8, v5
	scratch_store_b128 off, v[5:8], off offset:816
	s_wait_loadcnt 0x0
	ds_store_b128 v150, v[1:4]
.LBB51_225:
	s_wait_alu 0xfffe
	s_or_b32 exec_lo, exec_lo, s0
	s_wait_storecnt_dscnt 0x0
	s_barrier_signal -1
	s_barrier_wait -1
	global_inv scope:SCOPE_SE
	s_clause 0x1
	scratch_load_b128 v[2:5], off, off offset:832
	scratch_load_b128 v[6:9], off, off offset:816
	v_mov_b32_e32 v1, 0
	s_mov_b32 s0, exec_lo
	ds_load_b128 v[10:13], v1 offset:1648
	s_wait_loadcnt_dscnt 0x100
	v_mul_f64_e32 v[14:15], v[12:13], v[4:5]
	v_mul_f64_e32 v[4:5], v[10:11], v[4:5]
	s_delay_alu instid0(VALU_DEP_2) | instskip(NEXT) | instid1(VALU_DEP_2)
	v_fma_f64 v[10:11], v[10:11], v[2:3], -v[14:15]
	v_fma_f64 v[2:3], v[12:13], v[2:3], v[4:5]
	s_delay_alu instid0(VALU_DEP_2) | instskip(NEXT) | instid1(VALU_DEP_2)
	v_add_f64_e32 v[4:5], 0, v[10:11]
	v_add_f64_e32 v[10:11], 0, v[2:3]
	s_wait_loadcnt 0x0
	s_delay_alu instid0(VALU_DEP_2) | instskip(NEXT) | instid1(VALU_DEP_2)
	v_add_f64_e64 v[2:3], v[6:7], -v[4:5]
	v_add_f64_e64 v[4:5], v[8:9], -v[10:11]
	scratch_store_b128 off, v[2:5], off offset:816
	v_cmpx_lt_u32_e32 49, v0
	s_cbranch_execz .LBB51_227
; %bb.226:
	scratch_load_b128 v[5:8], off, s31
	v_dual_mov_b32 v2, v1 :: v_dual_mov_b32 v3, v1
	v_mov_b32_e32 v4, v1
	scratch_store_b128 off, v[1:4], off offset:800
	s_wait_loadcnt 0x0
	ds_store_b128 v150, v[5:8]
.LBB51_227:
	s_wait_alu 0xfffe
	s_or_b32 exec_lo, exec_lo, s0
	s_wait_storecnt_dscnt 0x0
	s_barrier_signal -1
	s_barrier_wait -1
	global_inv scope:SCOPE_SE
	s_clause 0x2
	scratch_load_b128 v[2:5], off, off offset:816
	scratch_load_b128 v[6:9], off, off offset:832
	;; [unrolled: 1-line block ×3, first 2 shown]
	ds_load_b128 v[14:17], v1 offset:1632
	ds_load_b128 v[18:21], v1 offset:1648
	s_mov_b32 s0, exec_lo
	s_wait_loadcnt_dscnt 0x201
	v_mul_f64_e32 v[22:23], v[16:17], v[4:5]
	v_mul_f64_e32 v[4:5], v[14:15], v[4:5]
	s_wait_loadcnt_dscnt 0x100
	v_mul_f64_e32 v[24:25], v[18:19], v[8:9]
	v_mul_f64_e32 v[8:9], v[20:21], v[8:9]
	s_delay_alu instid0(VALU_DEP_4) | instskip(NEXT) | instid1(VALU_DEP_4)
	v_fma_f64 v[14:15], v[14:15], v[2:3], -v[22:23]
	v_fma_f64 v[1:2], v[16:17], v[2:3], v[4:5]
	s_delay_alu instid0(VALU_DEP_4) | instskip(NEXT) | instid1(VALU_DEP_4)
	v_fma_f64 v[3:4], v[20:21], v[6:7], v[24:25]
	v_fma_f64 v[5:6], v[18:19], v[6:7], -v[8:9]
	s_delay_alu instid0(VALU_DEP_4) | instskip(NEXT) | instid1(VALU_DEP_4)
	v_add_f64_e32 v[7:8], 0, v[14:15]
	v_add_f64_e32 v[1:2], 0, v[1:2]
	s_delay_alu instid0(VALU_DEP_2) | instskip(NEXT) | instid1(VALU_DEP_2)
	v_add_f64_e32 v[5:6], v[7:8], v[5:6]
	v_add_f64_e32 v[3:4], v[1:2], v[3:4]
	s_wait_loadcnt 0x0
	s_delay_alu instid0(VALU_DEP_2) | instskip(NEXT) | instid1(VALU_DEP_2)
	v_add_f64_e64 v[1:2], v[10:11], -v[5:6]
	v_add_f64_e64 v[3:4], v[12:13], -v[3:4]
	scratch_store_b128 off, v[1:4], off offset:800
	v_cmpx_lt_u32_e32 48, v0
	s_cbranch_execz .LBB51_229
; %bb.228:
	scratch_load_b128 v[1:4], off, s37
	v_mov_b32_e32 v5, 0
	s_delay_alu instid0(VALU_DEP_1)
	v_dual_mov_b32 v6, v5 :: v_dual_mov_b32 v7, v5
	v_mov_b32_e32 v8, v5
	scratch_store_b128 off, v[5:8], off offset:784
	s_wait_loadcnt 0x0
	ds_store_b128 v150, v[1:4]
.LBB51_229:
	s_wait_alu 0xfffe
	s_or_b32 exec_lo, exec_lo, s0
	s_wait_storecnt_dscnt 0x0
	s_barrier_signal -1
	s_barrier_wait -1
	global_inv scope:SCOPE_SE
	s_clause 0x3
	scratch_load_b128 v[2:5], off, off offset:800
	scratch_load_b128 v[6:9], off, off offset:816
	scratch_load_b128 v[10:13], off, off offset:832
	scratch_load_b128 v[14:17], off, off offset:784
	v_mov_b32_e32 v1, 0
	ds_load_b128 v[18:21], v1 offset:1616
	ds_load_b128 v[22:25], v1 offset:1632
	s_mov_b32 s0, exec_lo
	s_wait_loadcnt_dscnt 0x301
	v_mul_f64_e32 v[26:27], v[20:21], v[4:5]
	v_mul_f64_e32 v[4:5], v[18:19], v[4:5]
	s_wait_loadcnt_dscnt 0x200
	v_mul_f64_e32 v[28:29], v[22:23], v[8:9]
	v_mul_f64_e32 v[8:9], v[24:25], v[8:9]
	s_delay_alu instid0(VALU_DEP_4) | instskip(NEXT) | instid1(VALU_DEP_4)
	v_fma_f64 v[18:19], v[18:19], v[2:3], -v[26:27]
	v_fma_f64 v[20:21], v[20:21], v[2:3], v[4:5]
	ds_load_b128 v[2:5], v1 offset:1648
	v_fma_f64 v[24:25], v[24:25], v[6:7], v[28:29]
	v_fma_f64 v[6:7], v[22:23], v[6:7], -v[8:9]
	s_wait_loadcnt_dscnt 0x100
	v_mul_f64_e32 v[26:27], v[2:3], v[12:13]
	v_mul_f64_e32 v[12:13], v[4:5], v[12:13]
	v_add_f64_e32 v[8:9], 0, v[18:19]
	v_add_f64_e32 v[18:19], 0, v[20:21]
	s_delay_alu instid0(VALU_DEP_4) | instskip(NEXT) | instid1(VALU_DEP_4)
	v_fma_f64 v[4:5], v[4:5], v[10:11], v[26:27]
	v_fma_f64 v[2:3], v[2:3], v[10:11], -v[12:13]
	s_delay_alu instid0(VALU_DEP_4) | instskip(NEXT) | instid1(VALU_DEP_4)
	v_add_f64_e32 v[6:7], v[8:9], v[6:7]
	v_add_f64_e32 v[8:9], v[18:19], v[24:25]
	s_delay_alu instid0(VALU_DEP_2) | instskip(NEXT) | instid1(VALU_DEP_2)
	v_add_f64_e32 v[2:3], v[6:7], v[2:3]
	v_add_f64_e32 v[4:5], v[8:9], v[4:5]
	s_wait_loadcnt 0x0
	s_delay_alu instid0(VALU_DEP_2) | instskip(NEXT) | instid1(VALU_DEP_2)
	v_add_f64_e64 v[2:3], v[14:15], -v[2:3]
	v_add_f64_e64 v[4:5], v[16:17], -v[4:5]
	scratch_store_b128 off, v[2:5], off offset:784
	v_cmpx_lt_u32_e32 47, v0
	s_cbranch_execz .LBB51_231
; %bb.230:
	scratch_load_b128 v[5:8], off, s36
	v_dual_mov_b32 v2, v1 :: v_dual_mov_b32 v3, v1
	v_mov_b32_e32 v4, v1
	scratch_store_b128 off, v[1:4], off offset:768
	s_wait_loadcnt 0x0
	ds_store_b128 v150, v[5:8]
.LBB51_231:
	s_wait_alu 0xfffe
	s_or_b32 exec_lo, exec_lo, s0
	s_wait_storecnt_dscnt 0x0
	s_barrier_signal -1
	s_barrier_wait -1
	global_inv scope:SCOPE_SE
	s_clause 0x4
	scratch_load_b128 v[2:5], off, off offset:784
	scratch_load_b128 v[6:9], off, off offset:800
	;; [unrolled: 1-line block ×5, first 2 shown]
	ds_load_b128 v[22:25], v1 offset:1600
	ds_load_b128 v[26:29], v1 offset:1616
	s_mov_b32 s0, exec_lo
	s_wait_loadcnt_dscnt 0x401
	v_mul_f64_e32 v[30:31], v[24:25], v[4:5]
	v_mul_f64_e32 v[4:5], v[22:23], v[4:5]
	s_wait_loadcnt_dscnt 0x300
	v_mul_f64_e32 v[32:33], v[26:27], v[8:9]
	v_mul_f64_e32 v[8:9], v[28:29], v[8:9]
	s_delay_alu instid0(VALU_DEP_4) | instskip(NEXT) | instid1(VALU_DEP_4)
	v_fma_f64 v[30:31], v[22:23], v[2:3], -v[30:31]
	v_fma_f64 v[34:35], v[24:25], v[2:3], v[4:5]
	ds_load_b128 v[2:5], v1 offset:1632
	ds_load_b128 v[22:25], v1 offset:1648
	v_fma_f64 v[28:29], v[28:29], v[6:7], v[32:33]
	v_fma_f64 v[6:7], v[26:27], v[6:7], -v[8:9]
	s_wait_loadcnt_dscnt 0x201
	v_mul_f64_e32 v[36:37], v[2:3], v[12:13]
	v_mul_f64_e32 v[12:13], v[4:5], v[12:13]
	v_add_f64_e32 v[8:9], 0, v[30:31]
	v_add_f64_e32 v[26:27], 0, v[34:35]
	s_wait_loadcnt_dscnt 0x100
	v_mul_f64_e32 v[30:31], v[22:23], v[16:17]
	v_mul_f64_e32 v[16:17], v[24:25], v[16:17]
	v_fma_f64 v[4:5], v[4:5], v[10:11], v[36:37]
	v_fma_f64 v[1:2], v[2:3], v[10:11], -v[12:13]
	v_add_f64_e32 v[6:7], v[8:9], v[6:7]
	v_add_f64_e32 v[8:9], v[26:27], v[28:29]
	v_fma_f64 v[10:11], v[24:25], v[14:15], v[30:31]
	v_fma_f64 v[12:13], v[22:23], v[14:15], -v[16:17]
	s_delay_alu instid0(VALU_DEP_4) | instskip(NEXT) | instid1(VALU_DEP_4)
	v_add_f64_e32 v[1:2], v[6:7], v[1:2]
	v_add_f64_e32 v[3:4], v[8:9], v[4:5]
	s_delay_alu instid0(VALU_DEP_2) | instskip(NEXT) | instid1(VALU_DEP_2)
	v_add_f64_e32 v[1:2], v[1:2], v[12:13]
	v_add_f64_e32 v[3:4], v[3:4], v[10:11]
	s_wait_loadcnt 0x0
	s_delay_alu instid0(VALU_DEP_2) | instskip(NEXT) | instid1(VALU_DEP_2)
	v_add_f64_e64 v[1:2], v[18:19], -v[1:2]
	v_add_f64_e64 v[3:4], v[20:21], -v[3:4]
	scratch_store_b128 off, v[1:4], off offset:768
	v_cmpx_lt_u32_e32 46, v0
	s_cbranch_execz .LBB51_233
; %bb.232:
	scratch_load_b128 v[1:4], off, s40
	v_mov_b32_e32 v5, 0
	s_delay_alu instid0(VALU_DEP_1)
	v_dual_mov_b32 v6, v5 :: v_dual_mov_b32 v7, v5
	v_mov_b32_e32 v8, v5
	scratch_store_b128 off, v[5:8], off offset:752
	s_wait_loadcnt 0x0
	ds_store_b128 v150, v[1:4]
.LBB51_233:
	s_wait_alu 0xfffe
	s_or_b32 exec_lo, exec_lo, s0
	s_wait_storecnt_dscnt 0x0
	s_barrier_signal -1
	s_barrier_wait -1
	global_inv scope:SCOPE_SE
	s_clause 0x5
	scratch_load_b128 v[2:5], off, off offset:768
	scratch_load_b128 v[6:9], off, off offset:784
	;; [unrolled: 1-line block ×6, first 2 shown]
	v_mov_b32_e32 v1, 0
	ds_load_b128 v[26:29], v1 offset:1584
	ds_load_b128 v[30:33], v1 offset:1600
	s_mov_b32 s0, exec_lo
	s_wait_loadcnt_dscnt 0x501
	v_mul_f64_e32 v[34:35], v[28:29], v[4:5]
	v_mul_f64_e32 v[4:5], v[26:27], v[4:5]
	s_wait_loadcnt_dscnt 0x400
	v_mul_f64_e32 v[36:37], v[30:31], v[8:9]
	v_mul_f64_e32 v[8:9], v[32:33], v[8:9]
	s_delay_alu instid0(VALU_DEP_4) | instskip(NEXT) | instid1(VALU_DEP_4)
	v_fma_f64 v[34:35], v[26:27], v[2:3], -v[34:35]
	v_fma_f64 v[38:39], v[28:29], v[2:3], v[4:5]
	ds_load_b128 v[2:5], v1 offset:1616
	ds_load_b128 v[26:29], v1 offset:1632
	v_fma_f64 v[32:33], v[32:33], v[6:7], v[36:37]
	v_fma_f64 v[6:7], v[30:31], v[6:7], -v[8:9]
	s_wait_loadcnt_dscnt 0x301
	v_mul_f64_e32 v[40:41], v[2:3], v[12:13]
	v_mul_f64_e32 v[12:13], v[4:5], v[12:13]
	v_add_f64_e32 v[8:9], 0, v[34:35]
	v_add_f64_e32 v[30:31], 0, v[38:39]
	s_wait_loadcnt_dscnt 0x200
	v_mul_f64_e32 v[34:35], v[26:27], v[16:17]
	v_mul_f64_e32 v[16:17], v[28:29], v[16:17]
	v_fma_f64 v[36:37], v[4:5], v[10:11], v[40:41]
	v_fma_f64 v[10:11], v[2:3], v[10:11], -v[12:13]
	ds_load_b128 v[2:5], v1 offset:1648
	v_add_f64_e32 v[6:7], v[8:9], v[6:7]
	v_add_f64_e32 v[8:9], v[30:31], v[32:33]
	v_fma_f64 v[28:29], v[28:29], v[14:15], v[34:35]
	v_fma_f64 v[14:15], v[26:27], v[14:15], -v[16:17]
	s_wait_loadcnt_dscnt 0x100
	v_mul_f64_e32 v[12:13], v[2:3], v[20:21]
	v_mul_f64_e32 v[20:21], v[4:5], v[20:21]
	v_add_f64_e32 v[6:7], v[6:7], v[10:11]
	v_add_f64_e32 v[8:9], v[8:9], v[36:37]
	s_delay_alu instid0(VALU_DEP_4) | instskip(NEXT) | instid1(VALU_DEP_4)
	v_fma_f64 v[4:5], v[4:5], v[18:19], v[12:13]
	v_fma_f64 v[2:3], v[2:3], v[18:19], -v[20:21]
	s_delay_alu instid0(VALU_DEP_4) | instskip(NEXT) | instid1(VALU_DEP_4)
	v_add_f64_e32 v[6:7], v[6:7], v[14:15]
	v_add_f64_e32 v[8:9], v[8:9], v[28:29]
	s_delay_alu instid0(VALU_DEP_2) | instskip(NEXT) | instid1(VALU_DEP_2)
	v_add_f64_e32 v[2:3], v[6:7], v[2:3]
	v_add_f64_e32 v[4:5], v[8:9], v[4:5]
	s_wait_loadcnt 0x0
	s_delay_alu instid0(VALU_DEP_2) | instskip(NEXT) | instid1(VALU_DEP_2)
	v_add_f64_e64 v[2:3], v[22:23], -v[2:3]
	v_add_f64_e64 v[4:5], v[24:25], -v[4:5]
	scratch_store_b128 off, v[2:5], off offset:752
	v_cmpx_lt_u32_e32 45, v0
	s_cbranch_execz .LBB51_235
; %bb.234:
	scratch_load_b128 v[5:8], off, s39
	v_dual_mov_b32 v2, v1 :: v_dual_mov_b32 v3, v1
	v_mov_b32_e32 v4, v1
	scratch_store_b128 off, v[1:4], off offset:736
	s_wait_loadcnt 0x0
	ds_store_b128 v150, v[5:8]
.LBB51_235:
	s_wait_alu 0xfffe
	s_or_b32 exec_lo, exec_lo, s0
	s_wait_storecnt_dscnt 0x0
	s_barrier_signal -1
	s_barrier_wait -1
	global_inv scope:SCOPE_SE
	s_clause 0x5
	scratch_load_b128 v[2:5], off, off offset:752
	scratch_load_b128 v[6:9], off, off offset:768
	;; [unrolled: 1-line block ×6, first 2 shown]
	ds_load_b128 v[26:29], v1 offset:1568
	ds_load_b128 v[34:37], v1 offset:1584
	scratch_load_b128 v[30:33], off, off offset:736
	s_mov_b32 s0, exec_lo
	s_wait_loadcnt_dscnt 0x601
	v_mul_f64_e32 v[38:39], v[28:29], v[4:5]
	v_mul_f64_e32 v[4:5], v[26:27], v[4:5]
	s_wait_loadcnt_dscnt 0x500
	v_mul_f64_e32 v[40:41], v[34:35], v[8:9]
	v_mul_f64_e32 v[8:9], v[36:37], v[8:9]
	s_delay_alu instid0(VALU_DEP_4) | instskip(NEXT) | instid1(VALU_DEP_4)
	v_fma_f64 v[38:39], v[26:27], v[2:3], -v[38:39]
	v_fma_f64 v[42:43], v[28:29], v[2:3], v[4:5]
	ds_load_b128 v[2:5], v1 offset:1600
	ds_load_b128 v[26:29], v1 offset:1616
	v_fma_f64 v[36:37], v[36:37], v[6:7], v[40:41]
	v_fma_f64 v[6:7], v[34:35], v[6:7], -v[8:9]
	s_wait_loadcnt_dscnt 0x401
	v_mul_f64_e32 v[44:45], v[2:3], v[12:13]
	v_mul_f64_e32 v[12:13], v[4:5], v[12:13]
	v_add_f64_e32 v[8:9], 0, v[38:39]
	v_add_f64_e32 v[34:35], 0, v[42:43]
	s_wait_loadcnt_dscnt 0x300
	v_mul_f64_e32 v[38:39], v[26:27], v[16:17]
	v_mul_f64_e32 v[16:17], v[28:29], v[16:17]
	v_fma_f64 v[40:41], v[4:5], v[10:11], v[44:45]
	v_fma_f64 v[10:11], v[2:3], v[10:11], -v[12:13]
	v_add_f64_e32 v[12:13], v[8:9], v[6:7]
	v_add_f64_e32 v[34:35], v[34:35], v[36:37]
	ds_load_b128 v[2:5], v1 offset:1632
	ds_load_b128 v[6:9], v1 offset:1648
	v_fma_f64 v[28:29], v[28:29], v[14:15], v[38:39]
	v_fma_f64 v[14:15], v[26:27], v[14:15], -v[16:17]
	s_wait_loadcnt_dscnt 0x201
	v_mul_f64_e32 v[36:37], v[2:3], v[20:21]
	v_mul_f64_e32 v[20:21], v[4:5], v[20:21]
	s_wait_loadcnt_dscnt 0x100
	v_mul_f64_e32 v[16:17], v[6:7], v[24:25]
	v_mul_f64_e32 v[24:25], v[8:9], v[24:25]
	v_add_f64_e32 v[10:11], v[12:13], v[10:11]
	v_add_f64_e32 v[12:13], v[34:35], v[40:41]
	v_fma_f64 v[4:5], v[4:5], v[18:19], v[36:37]
	v_fma_f64 v[1:2], v[2:3], v[18:19], -v[20:21]
	v_fma_f64 v[8:9], v[8:9], v[22:23], v[16:17]
	v_fma_f64 v[6:7], v[6:7], v[22:23], -v[24:25]
	v_add_f64_e32 v[10:11], v[10:11], v[14:15]
	v_add_f64_e32 v[12:13], v[12:13], v[28:29]
	s_delay_alu instid0(VALU_DEP_2) | instskip(NEXT) | instid1(VALU_DEP_2)
	v_add_f64_e32 v[1:2], v[10:11], v[1:2]
	v_add_f64_e32 v[3:4], v[12:13], v[4:5]
	s_delay_alu instid0(VALU_DEP_2) | instskip(NEXT) | instid1(VALU_DEP_2)
	v_add_f64_e32 v[1:2], v[1:2], v[6:7]
	v_add_f64_e32 v[3:4], v[3:4], v[8:9]
	s_wait_loadcnt 0x0
	s_delay_alu instid0(VALU_DEP_2) | instskip(NEXT) | instid1(VALU_DEP_2)
	v_add_f64_e64 v[1:2], v[30:31], -v[1:2]
	v_add_f64_e64 v[3:4], v[32:33], -v[3:4]
	scratch_store_b128 off, v[1:4], off offset:736
	v_cmpx_lt_u32_e32 44, v0
	s_cbranch_execz .LBB51_237
; %bb.236:
	scratch_load_b128 v[1:4], off, s5
	v_mov_b32_e32 v5, 0
	s_delay_alu instid0(VALU_DEP_1)
	v_dual_mov_b32 v6, v5 :: v_dual_mov_b32 v7, v5
	v_mov_b32_e32 v8, v5
	scratch_store_b128 off, v[5:8], off offset:720
	s_wait_loadcnt 0x0
	ds_store_b128 v150, v[1:4]
.LBB51_237:
	s_wait_alu 0xfffe
	s_or_b32 exec_lo, exec_lo, s0
	s_wait_storecnt_dscnt 0x0
	s_barrier_signal -1
	s_barrier_wait -1
	global_inv scope:SCOPE_SE
	s_clause 0x6
	scratch_load_b128 v[2:5], off, off offset:736
	scratch_load_b128 v[6:9], off, off offset:752
	;; [unrolled: 1-line block ×7, first 2 shown]
	v_mov_b32_e32 v1, 0
	scratch_load_b128 v[34:37], off, off offset:720
	s_mov_b32 s0, exec_lo
	ds_load_b128 v[30:33], v1 offset:1552
	ds_load_b128 v[38:41], v1 offset:1568
	s_wait_loadcnt_dscnt 0x701
	v_mul_f64_e32 v[42:43], v[32:33], v[4:5]
	v_mul_f64_e32 v[4:5], v[30:31], v[4:5]
	s_wait_loadcnt_dscnt 0x600
	v_mul_f64_e32 v[44:45], v[38:39], v[8:9]
	v_mul_f64_e32 v[8:9], v[40:41], v[8:9]
	s_delay_alu instid0(VALU_DEP_4) | instskip(NEXT) | instid1(VALU_DEP_4)
	v_fma_f64 v[42:43], v[30:31], v[2:3], -v[42:43]
	v_fma_f64 v[151:152], v[32:33], v[2:3], v[4:5]
	ds_load_b128 v[2:5], v1 offset:1584
	ds_load_b128 v[30:33], v1 offset:1600
	v_fma_f64 v[40:41], v[40:41], v[6:7], v[44:45]
	v_fma_f64 v[6:7], v[38:39], v[6:7], -v[8:9]
	s_wait_loadcnt_dscnt 0x501
	v_mul_f64_e32 v[153:154], v[2:3], v[12:13]
	v_mul_f64_e32 v[12:13], v[4:5], v[12:13]
	v_add_f64_e32 v[8:9], 0, v[42:43]
	v_add_f64_e32 v[38:39], 0, v[151:152]
	s_wait_loadcnt_dscnt 0x400
	v_mul_f64_e32 v[42:43], v[30:31], v[16:17]
	v_mul_f64_e32 v[16:17], v[32:33], v[16:17]
	v_fma_f64 v[44:45], v[4:5], v[10:11], v[153:154]
	v_fma_f64 v[10:11], v[2:3], v[10:11], -v[12:13]
	v_add_f64_e32 v[12:13], v[8:9], v[6:7]
	v_add_f64_e32 v[38:39], v[38:39], v[40:41]
	ds_load_b128 v[2:5], v1 offset:1616
	ds_load_b128 v[6:9], v1 offset:1632
	v_fma_f64 v[32:33], v[32:33], v[14:15], v[42:43]
	v_fma_f64 v[14:15], v[30:31], v[14:15], -v[16:17]
	s_wait_loadcnt_dscnt 0x301
	v_mul_f64_e32 v[40:41], v[2:3], v[20:21]
	v_mul_f64_e32 v[20:21], v[4:5], v[20:21]
	s_wait_loadcnt_dscnt 0x200
	v_mul_f64_e32 v[16:17], v[6:7], v[24:25]
	v_mul_f64_e32 v[24:25], v[8:9], v[24:25]
	v_add_f64_e32 v[10:11], v[12:13], v[10:11]
	v_add_f64_e32 v[12:13], v[38:39], v[44:45]
	v_fma_f64 v[30:31], v[4:5], v[18:19], v[40:41]
	v_fma_f64 v[18:19], v[2:3], v[18:19], -v[20:21]
	ds_load_b128 v[2:5], v1 offset:1648
	v_fma_f64 v[8:9], v[8:9], v[22:23], v[16:17]
	v_fma_f64 v[6:7], v[6:7], v[22:23], -v[24:25]
	v_add_f64_e32 v[10:11], v[10:11], v[14:15]
	v_add_f64_e32 v[12:13], v[12:13], v[32:33]
	s_wait_loadcnt_dscnt 0x100
	v_mul_f64_e32 v[14:15], v[2:3], v[28:29]
	v_mul_f64_e32 v[20:21], v[4:5], v[28:29]
	s_delay_alu instid0(VALU_DEP_4) | instskip(NEXT) | instid1(VALU_DEP_4)
	v_add_f64_e32 v[10:11], v[10:11], v[18:19]
	v_add_f64_e32 v[12:13], v[12:13], v[30:31]
	s_delay_alu instid0(VALU_DEP_4) | instskip(NEXT) | instid1(VALU_DEP_4)
	v_fma_f64 v[4:5], v[4:5], v[26:27], v[14:15]
	v_fma_f64 v[2:3], v[2:3], v[26:27], -v[20:21]
	s_delay_alu instid0(VALU_DEP_4) | instskip(NEXT) | instid1(VALU_DEP_4)
	v_add_f64_e32 v[6:7], v[10:11], v[6:7]
	v_add_f64_e32 v[8:9], v[12:13], v[8:9]
	s_delay_alu instid0(VALU_DEP_2) | instskip(NEXT) | instid1(VALU_DEP_2)
	v_add_f64_e32 v[2:3], v[6:7], v[2:3]
	v_add_f64_e32 v[4:5], v[8:9], v[4:5]
	s_wait_loadcnt 0x0
	s_delay_alu instid0(VALU_DEP_2) | instskip(NEXT) | instid1(VALU_DEP_2)
	v_add_f64_e64 v[2:3], v[34:35], -v[2:3]
	v_add_f64_e64 v[4:5], v[36:37], -v[4:5]
	scratch_store_b128 off, v[2:5], off offset:720
	v_cmpx_lt_u32_e32 43, v0
	s_cbranch_execz .LBB51_239
; %bb.238:
	scratch_load_b128 v[5:8], off, s4
	v_dual_mov_b32 v2, v1 :: v_dual_mov_b32 v3, v1
	v_mov_b32_e32 v4, v1
	scratch_store_b128 off, v[1:4], off offset:704
	s_wait_loadcnt 0x0
	ds_store_b128 v150, v[5:8]
.LBB51_239:
	s_wait_alu 0xfffe
	s_or_b32 exec_lo, exec_lo, s0
	s_wait_storecnt_dscnt 0x0
	s_barrier_signal -1
	s_barrier_wait -1
	global_inv scope:SCOPE_SE
	s_clause 0x7
	scratch_load_b128 v[2:5], off, off offset:720
	scratch_load_b128 v[6:9], off, off offset:736
	;; [unrolled: 1-line block ×8, first 2 shown]
	ds_load_b128 v[34:37], v1 offset:1536
	ds_load_b128 v[38:41], v1 offset:1552
	scratch_load_b128 v[42:45], off, off offset:704
	s_mov_b32 s0, exec_lo
	s_wait_loadcnt_dscnt 0x801
	v_mul_f64_e32 v[151:152], v[36:37], v[4:5]
	v_mul_f64_e32 v[4:5], v[34:35], v[4:5]
	s_wait_loadcnt_dscnt 0x700
	v_mul_f64_e32 v[153:154], v[38:39], v[8:9]
	v_mul_f64_e32 v[8:9], v[40:41], v[8:9]
	s_delay_alu instid0(VALU_DEP_4) | instskip(NEXT) | instid1(VALU_DEP_4)
	v_fma_f64 v[151:152], v[34:35], v[2:3], -v[151:152]
	v_fma_f64 v[155:156], v[36:37], v[2:3], v[4:5]
	ds_load_b128 v[2:5], v1 offset:1568
	ds_load_b128 v[34:37], v1 offset:1584
	v_fma_f64 v[40:41], v[40:41], v[6:7], v[153:154]
	v_fma_f64 v[6:7], v[38:39], v[6:7], -v[8:9]
	s_wait_loadcnt_dscnt 0x601
	v_mul_f64_e32 v[157:158], v[2:3], v[12:13]
	v_mul_f64_e32 v[12:13], v[4:5], v[12:13]
	v_add_f64_e32 v[8:9], 0, v[151:152]
	v_add_f64_e32 v[38:39], 0, v[155:156]
	s_wait_loadcnt_dscnt 0x500
	v_mul_f64_e32 v[151:152], v[34:35], v[16:17]
	v_mul_f64_e32 v[16:17], v[36:37], v[16:17]
	v_fma_f64 v[153:154], v[4:5], v[10:11], v[157:158]
	v_fma_f64 v[10:11], v[2:3], v[10:11], -v[12:13]
	v_add_f64_e32 v[12:13], v[8:9], v[6:7]
	v_add_f64_e32 v[38:39], v[38:39], v[40:41]
	ds_load_b128 v[2:5], v1 offset:1600
	ds_load_b128 v[6:9], v1 offset:1616
	v_fma_f64 v[36:37], v[36:37], v[14:15], v[151:152]
	v_fma_f64 v[14:15], v[34:35], v[14:15], -v[16:17]
	s_wait_loadcnt_dscnt 0x401
	v_mul_f64_e32 v[40:41], v[2:3], v[20:21]
	v_mul_f64_e32 v[20:21], v[4:5], v[20:21]
	s_wait_loadcnt_dscnt 0x300
	v_mul_f64_e32 v[16:17], v[6:7], v[24:25]
	v_mul_f64_e32 v[24:25], v[8:9], v[24:25]
	v_add_f64_e32 v[10:11], v[12:13], v[10:11]
	v_add_f64_e32 v[12:13], v[38:39], v[153:154]
	v_fma_f64 v[34:35], v[4:5], v[18:19], v[40:41]
	v_fma_f64 v[18:19], v[2:3], v[18:19], -v[20:21]
	v_fma_f64 v[8:9], v[8:9], v[22:23], v[16:17]
	v_fma_f64 v[6:7], v[6:7], v[22:23], -v[24:25]
	v_add_f64_e32 v[14:15], v[10:11], v[14:15]
	v_add_f64_e32 v[20:21], v[12:13], v[36:37]
	ds_load_b128 v[2:5], v1 offset:1632
	ds_load_b128 v[10:13], v1 offset:1648
	s_wait_loadcnt_dscnt 0x201
	v_mul_f64_e32 v[36:37], v[2:3], v[28:29]
	v_mul_f64_e32 v[28:29], v[4:5], v[28:29]
	v_add_f64_e32 v[14:15], v[14:15], v[18:19]
	v_add_f64_e32 v[16:17], v[20:21], v[34:35]
	s_wait_loadcnt_dscnt 0x100
	v_mul_f64_e32 v[18:19], v[10:11], v[32:33]
	v_mul_f64_e32 v[20:21], v[12:13], v[32:33]
	v_fma_f64 v[4:5], v[4:5], v[26:27], v[36:37]
	v_fma_f64 v[1:2], v[2:3], v[26:27], -v[28:29]
	v_add_f64_e32 v[6:7], v[14:15], v[6:7]
	v_add_f64_e32 v[8:9], v[16:17], v[8:9]
	v_fma_f64 v[12:13], v[12:13], v[30:31], v[18:19]
	v_fma_f64 v[10:11], v[10:11], v[30:31], -v[20:21]
	s_delay_alu instid0(VALU_DEP_4) | instskip(NEXT) | instid1(VALU_DEP_4)
	v_add_f64_e32 v[1:2], v[6:7], v[1:2]
	v_add_f64_e32 v[3:4], v[8:9], v[4:5]
	s_delay_alu instid0(VALU_DEP_2) | instskip(NEXT) | instid1(VALU_DEP_2)
	v_add_f64_e32 v[1:2], v[1:2], v[10:11]
	v_add_f64_e32 v[3:4], v[3:4], v[12:13]
	s_wait_loadcnt 0x0
	s_delay_alu instid0(VALU_DEP_2) | instskip(NEXT) | instid1(VALU_DEP_2)
	v_add_f64_e64 v[1:2], v[42:43], -v[1:2]
	v_add_f64_e64 v[3:4], v[44:45], -v[3:4]
	scratch_store_b128 off, v[1:4], off offset:704
	v_cmpx_lt_u32_e32 42, v0
	s_cbranch_execz .LBB51_241
; %bb.240:
	scratch_load_b128 v[1:4], off, s9
	v_mov_b32_e32 v5, 0
	s_delay_alu instid0(VALU_DEP_1)
	v_dual_mov_b32 v6, v5 :: v_dual_mov_b32 v7, v5
	v_mov_b32_e32 v8, v5
	scratch_store_b128 off, v[5:8], off offset:688
	s_wait_loadcnt 0x0
	ds_store_b128 v150, v[1:4]
.LBB51_241:
	s_wait_alu 0xfffe
	s_or_b32 exec_lo, exec_lo, s0
	s_wait_storecnt_dscnt 0x0
	s_barrier_signal -1
	s_barrier_wait -1
	global_inv scope:SCOPE_SE
	s_clause 0x7
	scratch_load_b128 v[2:5], off, off offset:704
	scratch_load_b128 v[6:9], off, off offset:720
	;; [unrolled: 1-line block ×8, first 2 shown]
	v_mov_b32_e32 v1, 0
	s_mov_b32 s0, exec_lo
	ds_load_b128 v[34:37], v1 offset:1520
	s_clause 0x1
	scratch_load_b128 v[38:41], off, off offset:832
	scratch_load_b128 v[42:45], off, off offset:688
	ds_load_b128 v[151:154], v1 offset:1536
	s_wait_loadcnt_dscnt 0x901
	v_mul_f64_e32 v[155:156], v[36:37], v[4:5]
	v_mul_f64_e32 v[4:5], v[34:35], v[4:5]
	s_wait_loadcnt_dscnt 0x800
	v_mul_f64_e32 v[157:158], v[151:152], v[8:9]
	v_mul_f64_e32 v[8:9], v[153:154], v[8:9]
	s_delay_alu instid0(VALU_DEP_4) | instskip(NEXT) | instid1(VALU_DEP_4)
	v_fma_f64 v[155:156], v[34:35], v[2:3], -v[155:156]
	v_fma_f64 v[159:160], v[36:37], v[2:3], v[4:5]
	ds_load_b128 v[2:5], v1 offset:1552
	ds_load_b128 v[34:37], v1 offset:1568
	v_fma_f64 v[153:154], v[153:154], v[6:7], v[157:158]
	v_fma_f64 v[6:7], v[151:152], v[6:7], -v[8:9]
	s_wait_loadcnt_dscnt 0x701
	v_mul_f64_e32 v[161:162], v[2:3], v[12:13]
	v_mul_f64_e32 v[12:13], v[4:5], v[12:13]
	v_add_f64_e32 v[8:9], 0, v[155:156]
	v_add_f64_e32 v[151:152], 0, v[159:160]
	s_wait_loadcnt_dscnt 0x600
	v_mul_f64_e32 v[155:156], v[34:35], v[16:17]
	v_mul_f64_e32 v[16:17], v[36:37], v[16:17]
	v_fma_f64 v[157:158], v[4:5], v[10:11], v[161:162]
	v_fma_f64 v[10:11], v[2:3], v[10:11], -v[12:13]
	v_add_f64_e32 v[12:13], v[8:9], v[6:7]
	v_add_f64_e32 v[151:152], v[151:152], v[153:154]
	ds_load_b128 v[2:5], v1 offset:1584
	ds_load_b128 v[6:9], v1 offset:1600
	v_fma_f64 v[36:37], v[36:37], v[14:15], v[155:156]
	v_fma_f64 v[14:15], v[34:35], v[14:15], -v[16:17]
	s_wait_loadcnt_dscnt 0x501
	v_mul_f64_e32 v[153:154], v[2:3], v[20:21]
	v_mul_f64_e32 v[20:21], v[4:5], v[20:21]
	s_wait_loadcnt_dscnt 0x400
	v_mul_f64_e32 v[16:17], v[6:7], v[24:25]
	v_mul_f64_e32 v[24:25], v[8:9], v[24:25]
	v_add_f64_e32 v[10:11], v[12:13], v[10:11]
	v_add_f64_e32 v[12:13], v[151:152], v[157:158]
	v_fma_f64 v[34:35], v[4:5], v[18:19], v[153:154]
	v_fma_f64 v[18:19], v[2:3], v[18:19], -v[20:21]
	v_fma_f64 v[8:9], v[8:9], v[22:23], v[16:17]
	v_fma_f64 v[6:7], v[6:7], v[22:23], -v[24:25]
	v_add_f64_e32 v[14:15], v[10:11], v[14:15]
	v_add_f64_e32 v[20:21], v[12:13], v[36:37]
	ds_load_b128 v[2:5], v1 offset:1616
	ds_load_b128 v[10:13], v1 offset:1632
	s_wait_loadcnt_dscnt 0x301
	v_mul_f64_e32 v[36:37], v[2:3], v[28:29]
	v_mul_f64_e32 v[28:29], v[4:5], v[28:29]
	v_add_f64_e32 v[14:15], v[14:15], v[18:19]
	v_add_f64_e32 v[16:17], v[20:21], v[34:35]
	s_wait_loadcnt_dscnt 0x200
	v_mul_f64_e32 v[18:19], v[10:11], v[32:33]
	v_mul_f64_e32 v[20:21], v[12:13], v[32:33]
	v_fma_f64 v[22:23], v[4:5], v[26:27], v[36:37]
	v_fma_f64 v[24:25], v[2:3], v[26:27], -v[28:29]
	ds_load_b128 v[2:5], v1 offset:1648
	v_add_f64_e32 v[6:7], v[14:15], v[6:7]
	v_add_f64_e32 v[8:9], v[16:17], v[8:9]
	v_fma_f64 v[12:13], v[12:13], v[30:31], v[18:19]
	v_fma_f64 v[10:11], v[10:11], v[30:31], -v[20:21]
	s_wait_loadcnt_dscnt 0x100
	v_mul_f64_e32 v[14:15], v[2:3], v[40:41]
	v_mul_f64_e32 v[16:17], v[4:5], v[40:41]
	v_add_f64_e32 v[6:7], v[6:7], v[24:25]
	v_add_f64_e32 v[8:9], v[8:9], v[22:23]
	s_delay_alu instid0(VALU_DEP_4) | instskip(NEXT) | instid1(VALU_DEP_4)
	v_fma_f64 v[4:5], v[4:5], v[38:39], v[14:15]
	v_fma_f64 v[2:3], v[2:3], v[38:39], -v[16:17]
	s_delay_alu instid0(VALU_DEP_4) | instskip(NEXT) | instid1(VALU_DEP_4)
	v_add_f64_e32 v[6:7], v[6:7], v[10:11]
	v_add_f64_e32 v[8:9], v[8:9], v[12:13]
	s_delay_alu instid0(VALU_DEP_2) | instskip(NEXT) | instid1(VALU_DEP_2)
	v_add_f64_e32 v[2:3], v[6:7], v[2:3]
	v_add_f64_e32 v[4:5], v[8:9], v[4:5]
	s_wait_loadcnt 0x0
	s_delay_alu instid0(VALU_DEP_2) | instskip(NEXT) | instid1(VALU_DEP_2)
	v_add_f64_e64 v[2:3], v[42:43], -v[2:3]
	v_add_f64_e64 v[4:5], v[44:45], -v[4:5]
	scratch_store_b128 off, v[2:5], off offset:688
	v_cmpx_lt_u32_e32 41, v0
	s_cbranch_execz .LBB51_243
; %bb.242:
	scratch_load_b128 v[5:8], off, s8
	v_dual_mov_b32 v2, v1 :: v_dual_mov_b32 v3, v1
	v_mov_b32_e32 v4, v1
	scratch_store_b128 off, v[1:4], off offset:672
	s_wait_loadcnt 0x0
	ds_store_b128 v150, v[5:8]
.LBB51_243:
	s_wait_alu 0xfffe
	s_or_b32 exec_lo, exec_lo, s0
	s_wait_storecnt_dscnt 0x0
	s_barrier_signal -1
	s_barrier_wait -1
	global_inv scope:SCOPE_SE
	s_clause 0x7
	scratch_load_b128 v[2:5], off, off offset:688
	scratch_load_b128 v[6:9], off, off offset:704
	;; [unrolled: 1-line block ×8, first 2 shown]
	ds_load_b128 v[34:37], v1 offset:1504
	ds_load_b128 v[42:45], v1 offset:1520
	s_clause 0x1
	scratch_load_b128 v[38:41], off, off offset:816
	scratch_load_b128 v[151:154], off, off offset:832
	s_mov_b32 s0, exec_lo
	s_wait_loadcnt_dscnt 0x901
	v_mul_f64_e32 v[155:156], v[36:37], v[4:5]
	v_mul_f64_e32 v[4:5], v[34:35], v[4:5]
	s_wait_loadcnt_dscnt 0x800
	v_mul_f64_e32 v[157:158], v[42:43], v[8:9]
	v_mul_f64_e32 v[8:9], v[44:45], v[8:9]
	s_delay_alu instid0(VALU_DEP_4) | instskip(NEXT) | instid1(VALU_DEP_4)
	v_fma_f64 v[34:35], v[34:35], v[2:3], -v[155:156]
	v_fma_f64 v[36:37], v[36:37], v[2:3], v[4:5]
	ds_load_b128 v[2:5], v1 offset:1536
	v_fma_f64 v[44:45], v[44:45], v[6:7], v[157:158]
	v_fma_f64 v[42:43], v[42:43], v[6:7], -v[8:9]
	ds_load_b128 v[6:9], v1 offset:1552
	s_wait_loadcnt_dscnt 0x701
	v_mul_f64_e32 v[155:156], v[2:3], v[12:13]
	v_mul_f64_e32 v[12:13], v[4:5], v[12:13]
	s_wait_loadcnt_dscnt 0x600
	v_mul_f64_e32 v[157:158], v[6:7], v[16:17]
	v_mul_f64_e32 v[16:17], v[8:9], v[16:17]
	v_add_f64_e32 v[34:35], 0, v[34:35]
	v_add_f64_e32 v[36:37], 0, v[36:37]
	v_fma_f64 v[155:156], v[4:5], v[10:11], v[155:156]
	v_fma_f64 v[159:160], v[2:3], v[10:11], -v[12:13]
	ds_load_b128 v[2:5], v1 offset:1568
	scratch_load_b128 v[10:13], off, off offset:672
	v_add_f64_e32 v[34:35], v[34:35], v[42:43]
	v_add_f64_e32 v[36:37], v[36:37], v[44:45]
	v_fma_f64 v[44:45], v[8:9], v[14:15], v[157:158]
	v_fma_f64 v[14:15], v[6:7], v[14:15], -v[16:17]
	ds_load_b128 v[6:9], v1 offset:1584
	s_wait_loadcnt_dscnt 0x601
	v_mul_f64_e32 v[42:43], v[2:3], v[20:21]
	v_mul_f64_e32 v[20:21], v[4:5], v[20:21]
	v_add_f64_e32 v[16:17], v[34:35], v[159:160]
	v_add_f64_e32 v[34:35], v[36:37], v[155:156]
	s_wait_loadcnt_dscnt 0x500
	v_mul_f64_e32 v[36:37], v[6:7], v[24:25]
	v_mul_f64_e32 v[24:25], v[8:9], v[24:25]
	v_fma_f64 v[42:43], v[4:5], v[18:19], v[42:43]
	v_fma_f64 v[18:19], v[2:3], v[18:19], -v[20:21]
	ds_load_b128 v[2:5], v1 offset:1600
	v_add_f64_e32 v[14:15], v[16:17], v[14:15]
	v_add_f64_e32 v[16:17], v[34:35], v[44:45]
	v_fma_f64 v[34:35], v[8:9], v[22:23], v[36:37]
	v_fma_f64 v[22:23], v[6:7], v[22:23], -v[24:25]
	ds_load_b128 v[6:9], v1 offset:1616
	s_wait_loadcnt_dscnt 0x401
	v_mul_f64_e32 v[20:21], v[2:3], v[28:29]
	v_mul_f64_e32 v[28:29], v[4:5], v[28:29]
	s_wait_loadcnt_dscnt 0x300
	v_mul_f64_e32 v[24:25], v[8:9], v[32:33]
	v_add_f64_e32 v[14:15], v[14:15], v[18:19]
	v_add_f64_e32 v[16:17], v[16:17], v[42:43]
	v_mul_f64_e32 v[18:19], v[6:7], v[32:33]
	v_fma_f64 v[20:21], v[4:5], v[26:27], v[20:21]
	v_fma_f64 v[26:27], v[2:3], v[26:27], -v[28:29]
	ds_load_b128 v[2:5], v1 offset:1632
	v_fma_f64 v[24:25], v[6:7], v[30:31], -v[24:25]
	v_add_f64_e32 v[14:15], v[14:15], v[22:23]
	v_add_f64_e32 v[16:17], v[16:17], v[34:35]
	v_fma_f64 v[18:19], v[8:9], v[30:31], v[18:19]
	ds_load_b128 v[6:9], v1 offset:1648
	s_wait_loadcnt_dscnt 0x201
	v_mul_f64_e32 v[22:23], v[2:3], v[40:41]
	v_mul_f64_e32 v[28:29], v[4:5], v[40:41]
	v_add_f64_e32 v[14:15], v[14:15], v[26:27]
	v_add_f64_e32 v[16:17], v[16:17], v[20:21]
	s_wait_loadcnt_dscnt 0x100
	v_mul_f64_e32 v[20:21], v[6:7], v[153:154]
	v_mul_f64_e32 v[26:27], v[8:9], v[153:154]
	v_fma_f64 v[4:5], v[4:5], v[38:39], v[22:23]
	v_fma_f64 v[1:2], v[2:3], v[38:39], -v[28:29]
	v_add_f64_e32 v[14:15], v[14:15], v[24:25]
	v_add_f64_e32 v[16:17], v[16:17], v[18:19]
	v_fma_f64 v[8:9], v[8:9], v[151:152], v[20:21]
	v_fma_f64 v[6:7], v[6:7], v[151:152], -v[26:27]
	s_delay_alu instid0(VALU_DEP_4) | instskip(NEXT) | instid1(VALU_DEP_4)
	v_add_f64_e32 v[1:2], v[14:15], v[1:2]
	v_add_f64_e32 v[3:4], v[16:17], v[4:5]
	s_delay_alu instid0(VALU_DEP_2) | instskip(NEXT) | instid1(VALU_DEP_2)
	v_add_f64_e32 v[1:2], v[1:2], v[6:7]
	v_add_f64_e32 v[3:4], v[3:4], v[8:9]
	s_wait_loadcnt 0x0
	s_delay_alu instid0(VALU_DEP_2) | instskip(NEXT) | instid1(VALU_DEP_2)
	v_add_f64_e64 v[1:2], v[10:11], -v[1:2]
	v_add_f64_e64 v[3:4], v[12:13], -v[3:4]
	scratch_store_b128 off, v[1:4], off offset:672
	v_cmpx_lt_u32_e32 40, v0
	s_cbranch_execz .LBB51_245
; %bb.244:
	scratch_load_b128 v[1:4], off, s11
	v_mov_b32_e32 v5, 0
	s_delay_alu instid0(VALU_DEP_1)
	v_dual_mov_b32 v6, v5 :: v_dual_mov_b32 v7, v5
	v_mov_b32_e32 v8, v5
	scratch_store_b128 off, v[5:8], off offset:656
	s_wait_loadcnt 0x0
	ds_store_b128 v150, v[1:4]
.LBB51_245:
	s_wait_alu 0xfffe
	s_or_b32 exec_lo, exec_lo, s0
	s_wait_storecnt_dscnt 0x0
	s_barrier_signal -1
	s_barrier_wait -1
	global_inv scope:SCOPE_SE
	s_clause 0x7
	scratch_load_b128 v[2:5], off, off offset:672
	scratch_load_b128 v[6:9], off, off offset:688
	scratch_load_b128 v[10:13], off, off offset:704
	scratch_load_b128 v[14:17], off, off offset:720
	scratch_load_b128 v[18:21], off, off offset:736
	scratch_load_b128 v[22:25], off, off offset:752
	scratch_load_b128 v[26:29], off, off offset:768
	scratch_load_b128 v[30:33], off, off offset:784
	v_mov_b32_e32 v1, 0
	s_clause 0x1
	scratch_load_b128 v[38:41], off, off offset:800
	scratch_load_b128 v[151:154], off, off offset:816
	s_mov_b32 s0, exec_lo
	ds_load_b128 v[34:37], v1 offset:1488
	ds_load_b128 v[42:45], v1 offset:1504
	s_wait_loadcnt_dscnt 0x901
	v_mul_f64_e32 v[155:156], v[36:37], v[4:5]
	v_mul_f64_e32 v[4:5], v[34:35], v[4:5]
	s_wait_loadcnt_dscnt 0x800
	v_mul_f64_e32 v[157:158], v[42:43], v[8:9]
	v_mul_f64_e32 v[8:9], v[44:45], v[8:9]
	s_delay_alu instid0(VALU_DEP_4) | instskip(NEXT) | instid1(VALU_DEP_4)
	v_fma_f64 v[155:156], v[34:35], v[2:3], -v[155:156]
	v_fma_f64 v[159:160], v[36:37], v[2:3], v[4:5]
	ds_load_b128 v[2:5], v1 offset:1520
	scratch_load_b128 v[34:37], off, off offset:832
	v_fma_f64 v[44:45], v[44:45], v[6:7], v[157:158]
	v_fma_f64 v[42:43], v[42:43], v[6:7], -v[8:9]
	ds_load_b128 v[6:9], v1 offset:1536
	s_wait_loadcnt_dscnt 0x801
	v_mul_f64_e32 v[161:162], v[2:3], v[12:13]
	v_mul_f64_e32 v[12:13], v[4:5], v[12:13]
	v_add_f64_e32 v[155:156], 0, v[155:156]
	v_add_f64_e32 v[157:158], 0, v[159:160]
	s_wait_loadcnt_dscnt 0x700
	v_mul_f64_e32 v[159:160], v[6:7], v[16:17]
	v_mul_f64_e32 v[16:17], v[8:9], v[16:17]
	v_fma_f64 v[161:162], v[4:5], v[10:11], v[161:162]
	v_fma_f64 v[10:11], v[2:3], v[10:11], -v[12:13]
	ds_load_b128 v[2:5], v1 offset:1552
	v_add_f64_e32 v[12:13], v[155:156], v[42:43]
	v_add_f64_e32 v[42:43], v[157:158], v[44:45]
	v_fma_f64 v[155:156], v[8:9], v[14:15], v[159:160]
	v_fma_f64 v[14:15], v[6:7], v[14:15], -v[16:17]
	ds_load_b128 v[6:9], v1 offset:1568
	s_wait_loadcnt_dscnt 0x601
	v_mul_f64_e32 v[44:45], v[2:3], v[20:21]
	v_mul_f64_e32 v[20:21], v[4:5], v[20:21]
	s_wait_loadcnt_dscnt 0x500
	v_mul_f64_e32 v[157:158], v[6:7], v[24:25]
	v_mul_f64_e32 v[24:25], v[8:9], v[24:25]
	v_add_f64_e32 v[16:17], v[12:13], v[10:11]
	v_add_f64_e32 v[42:43], v[42:43], v[161:162]
	scratch_load_b128 v[10:13], off, off offset:656
	v_fma_f64 v[44:45], v[4:5], v[18:19], v[44:45]
	v_fma_f64 v[18:19], v[2:3], v[18:19], -v[20:21]
	ds_load_b128 v[2:5], v1 offset:1584
	v_add_f64_e32 v[14:15], v[16:17], v[14:15]
	v_add_f64_e32 v[16:17], v[42:43], v[155:156]
	v_fma_f64 v[42:43], v[8:9], v[22:23], v[157:158]
	v_fma_f64 v[22:23], v[6:7], v[22:23], -v[24:25]
	ds_load_b128 v[6:9], v1 offset:1600
	s_wait_loadcnt_dscnt 0x501
	v_mul_f64_e32 v[20:21], v[2:3], v[28:29]
	v_mul_f64_e32 v[28:29], v[4:5], v[28:29]
	s_wait_loadcnt_dscnt 0x400
	v_mul_f64_e32 v[24:25], v[8:9], v[32:33]
	v_add_f64_e32 v[14:15], v[14:15], v[18:19]
	v_add_f64_e32 v[16:17], v[16:17], v[44:45]
	v_mul_f64_e32 v[18:19], v[6:7], v[32:33]
	v_fma_f64 v[20:21], v[4:5], v[26:27], v[20:21]
	v_fma_f64 v[26:27], v[2:3], v[26:27], -v[28:29]
	ds_load_b128 v[2:5], v1 offset:1616
	v_fma_f64 v[24:25], v[6:7], v[30:31], -v[24:25]
	v_add_f64_e32 v[14:15], v[14:15], v[22:23]
	v_add_f64_e32 v[16:17], v[16:17], v[42:43]
	v_fma_f64 v[18:19], v[8:9], v[30:31], v[18:19]
	ds_load_b128 v[6:9], v1 offset:1632
	s_wait_loadcnt_dscnt 0x301
	v_mul_f64_e32 v[22:23], v[2:3], v[40:41]
	v_mul_f64_e32 v[28:29], v[4:5], v[40:41]
	v_add_f64_e32 v[14:15], v[14:15], v[26:27]
	v_add_f64_e32 v[16:17], v[16:17], v[20:21]
	s_wait_loadcnt_dscnt 0x200
	v_mul_f64_e32 v[20:21], v[6:7], v[153:154]
	v_mul_f64_e32 v[26:27], v[8:9], v[153:154]
	v_fma_f64 v[22:23], v[4:5], v[38:39], v[22:23]
	v_fma_f64 v[28:29], v[2:3], v[38:39], -v[28:29]
	ds_load_b128 v[2:5], v1 offset:1648
	v_add_f64_e32 v[14:15], v[14:15], v[24:25]
	v_add_f64_e32 v[16:17], v[16:17], v[18:19]
	v_fma_f64 v[8:9], v[8:9], v[151:152], v[20:21]
	v_fma_f64 v[6:7], v[6:7], v[151:152], -v[26:27]
	s_wait_loadcnt_dscnt 0x100
	v_mul_f64_e32 v[18:19], v[2:3], v[36:37]
	v_mul_f64_e32 v[24:25], v[4:5], v[36:37]
	v_add_f64_e32 v[14:15], v[14:15], v[28:29]
	v_add_f64_e32 v[16:17], v[16:17], v[22:23]
	s_delay_alu instid0(VALU_DEP_4) | instskip(NEXT) | instid1(VALU_DEP_4)
	v_fma_f64 v[4:5], v[4:5], v[34:35], v[18:19]
	v_fma_f64 v[2:3], v[2:3], v[34:35], -v[24:25]
	s_delay_alu instid0(VALU_DEP_4) | instskip(NEXT) | instid1(VALU_DEP_4)
	v_add_f64_e32 v[6:7], v[14:15], v[6:7]
	v_add_f64_e32 v[8:9], v[16:17], v[8:9]
	s_delay_alu instid0(VALU_DEP_2) | instskip(NEXT) | instid1(VALU_DEP_2)
	v_add_f64_e32 v[2:3], v[6:7], v[2:3]
	v_add_f64_e32 v[4:5], v[8:9], v[4:5]
	s_wait_loadcnt 0x0
	s_delay_alu instid0(VALU_DEP_2) | instskip(NEXT) | instid1(VALU_DEP_2)
	v_add_f64_e64 v[2:3], v[10:11], -v[2:3]
	v_add_f64_e64 v[4:5], v[12:13], -v[4:5]
	scratch_store_b128 off, v[2:5], off offset:656
	v_cmpx_lt_u32_e32 39, v0
	s_cbranch_execz .LBB51_247
; %bb.246:
	scratch_load_b128 v[5:8], off, s10
	v_dual_mov_b32 v2, v1 :: v_dual_mov_b32 v3, v1
	v_mov_b32_e32 v4, v1
	scratch_store_b128 off, v[1:4], off offset:640
	s_wait_loadcnt 0x0
	ds_store_b128 v150, v[5:8]
.LBB51_247:
	s_wait_alu 0xfffe
	s_or_b32 exec_lo, exec_lo, s0
	s_wait_storecnt_dscnt 0x0
	s_barrier_signal -1
	s_barrier_wait -1
	global_inv scope:SCOPE_SE
	s_clause 0x7
	scratch_load_b128 v[2:5], off, off offset:656
	scratch_load_b128 v[6:9], off, off offset:672
	;; [unrolled: 1-line block ×8, first 2 shown]
	ds_load_b128 v[34:37], v1 offset:1472
	ds_load_b128 v[42:45], v1 offset:1488
	s_clause 0x1
	scratch_load_b128 v[38:41], off, off offset:784
	scratch_load_b128 v[151:154], off, off offset:800
	s_mov_b32 s0, exec_lo
	s_wait_loadcnt_dscnt 0x901
	v_mul_f64_e32 v[155:156], v[36:37], v[4:5]
	v_mul_f64_e32 v[4:5], v[34:35], v[4:5]
	s_wait_loadcnt_dscnt 0x800
	v_mul_f64_e32 v[157:158], v[42:43], v[8:9]
	v_mul_f64_e32 v[8:9], v[44:45], v[8:9]
	s_delay_alu instid0(VALU_DEP_4) | instskip(NEXT) | instid1(VALU_DEP_4)
	v_fma_f64 v[155:156], v[34:35], v[2:3], -v[155:156]
	v_fma_f64 v[159:160], v[36:37], v[2:3], v[4:5]
	ds_load_b128 v[2:5], v1 offset:1504
	scratch_load_b128 v[34:37], off, off offset:816
	v_fma_f64 v[157:158], v[44:45], v[6:7], v[157:158]
	v_fma_f64 v[163:164], v[42:43], v[6:7], -v[8:9]
	ds_load_b128 v[6:9], v1 offset:1520
	scratch_load_b128 v[42:45], off, off offset:832
	s_wait_loadcnt_dscnt 0x901
	v_mul_f64_e32 v[161:162], v[2:3], v[12:13]
	v_mul_f64_e32 v[12:13], v[4:5], v[12:13]
	s_wait_loadcnt_dscnt 0x800
	v_mul_f64_e32 v[165:166], v[6:7], v[16:17]
	v_mul_f64_e32 v[16:17], v[8:9], v[16:17]
	v_add_f64_e32 v[155:156], 0, v[155:156]
	v_add_f64_e32 v[159:160], 0, v[159:160]
	v_fma_f64 v[161:162], v[4:5], v[10:11], v[161:162]
	v_fma_f64 v[10:11], v[2:3], v[10:11], -v[12:13]
	ds_load_b128 v[2:5], v1 offset:1536
	v_add_f64_e32 v[12:13], v[155:156], v[163:164]
	v_add_f64_e32 v[155:156], v[159:160], v[157:158]
	v_fma_f64 v[159:160], v[8:9], v[14:15], v[165:166]
	v_fma_f64 v[14:15], v[6:7], v[14:15], -v[16:17]
	ds_load_b128 v[6:9], v1 offset:1552
	s_wait_loadcnt_dscnt 0x701
	v_mul_f64_e32 v[157:158], v[2:3], v[20:21]
	v_mul_f64_e32 v[20:21], v[4:5], v[20:21]
	s_wait_loadcnt_dscnt 0x600
	v_mul_f64_e32 v[16:17], v[6:7], v[24:25]
	v_mul_f64_e32 v[24:25], v[8:9], v[24:25]
	v_add_f64_e32 v[10:11], v[12:13], v[10:11]
	v_add_f64_e32 v[12:13], v[155:156], v[161:162]
	v_fma_f64 v[155:156], v[4:5], v[18:19], v[157:158]
	v_fma_f64 v[18:19], v[2:3], v[18:19], -v[20:21]
	ds_load_b128 v[2:5], v1 offset:1568
	v_fma_f64 v[16:17], v[8:9], v[22:23], v[16:17]
	v_fma_f64 v[22:23], v[6:7], v[22:23], -v[24:25]
	ds_load_b128 v[6:9], v1 offset:1584
	s_wait_loadcnt_dscnt 0x501
	v_mul_f64_e32 v[157:158], v[2:3], v[28:29]
	v_mul_f64_e32 v[28:29], v[4:5], v[28:29]
	v_add_f64_e32 v[14:15], v[10:11], v[14:15]
	v_add_f64_e32 v[20:21], v[12:13], v[159:160]
	scratch_load_b128 v[10:13], off, off offset:640
	s_wait_loadcnt_dscnt 0x500
	v_mul_f64_e32 v[24:25], v[8:9], v[32:33]
	v_add_f64_e32 v[14:15], v[14:15], v[18:19]
	v_add_f64_e32 v[18:19], v[20:21], v[155:156]
	v_mul_f64_e32 v[20:21], v[6:7], v[32:33]
	v_fma_f64 v[32:33], v[4:5], v[26:27], v[157:158]
	v_fma_f64 v[26:27], v[2:3], v[26:27], -v[28:29]
	ds_load_b128 v[2:5], v1 offset:1600
	v_fma_f64 v[24:25], v[6:7], v[30:31], -v[24:25]
	v_add_f64_e32 v[14:15], v[14:15], v[22:23]
	v_add_f64_e32 v[16:17], v[18:19], v[16:17]
	v_fma_f64 v[20:21], v[8:9], v[30:31], v[20:21]
	ds_load_b128 v[6:9], v1 offset:1616
	s_wait_loadcnt_dscnt 0x401
	v_mul_f64_e32 v[18:19], v[2:3], v[40:41]
	v_mul_f64_e32 v[22:23], v[4:5], v[40:41]
	s_wait_loadcnt_dscnt 0x300
	v_mul_f64_e32 v[28:29], v[8:9], v[153:154]
	v_add_f64_e32 v[14:15], v[14:15], v[26:27]
	v_add_f64_e32 v[16:17], v[16:17], v[32:33]
	v_mul_f64_e32 v[26:27], v[6:7], v[153:154]
	v_fma_f64 v[18:19], v[4:5], v[38:39], v[18:19]
	v_fma_f64 v[22:23], v[2:3], v[38:39], -v[22:23]
	ds_load_b128 v[2:5], v1 offset:1632
	v_fma_f64 v[28:29], v[6:7], v[151:152], -v[28:29]
	v_add_f64_e32 v[14:15], v[14:15], v[24:25]
	v_add_f64_e32 v[16:17], v[16:17], v[20:21]
	v_fma_f64 v[26:27], v[8:9], v[151:152], v[26:27]
	ds_load_b128 v[6:9], v1 offset:1648
	s_wait_loadcnt_dscnt 0x201
	v_mul_f64_e32 v[20:21], v[2:3], v[36:37]
	v_mul_f64_e32 v[24:25], v[4:5], v[36:37]
	v_add_f64_e32 v[14:15], v[14:15], v[22:23]
	v_add_f64_e32 v[16:17], v[16:17], v[18:19]
	s_wait_loadcnt_dscnt 0x100
	v_mul_f64_e32 v[18:19], v[6:7], v[44:45]
	v_mul_f64_e32 v[22:23], v[8:9], v[44:45]
	v_fma_f64 v[4:5], v[4:5], v[34:35], v[20:21]
	v_fma_f64 v[1:2], v[2:3], v[34:35], -v[24:25]
	v_add_f64_e32 v[14:15], v[14:15], v[28:29]
	v_add_f64_e32 v[16:17], v[16:17], v[26:27]
	v_fma_f64 v[8:9], v[8:9], v[42:43], v[18:19]
	v_fma_f64 v[6:7], v[6:7], v[42:43], -v[22:23]
	s_delay_alu instid0(VALU_DEP_4) | instskip(NEXT) | instid1(VALU_DEP_4)
	v_add_f64_e32 v[1:2], v[14:15], v[1:2]
	v_add_f64_e32 v[3:4], v[16:17], v[4:5]
	s_delay_alu instid0(VALU_DEP_2) | instskip(NEXT) | instid1(VALU_DEP_2)
	v_add_f64_e32 v[1:2], v[1:2], v[6:7]
	v_add_f64_e32 v[3:4], v[3:4], v[8:9]
	s_wait_loadcnt 0x0
	s_delay_alu instid0(VALU_DEP_2) | instskip(NEXT) | instid1(VALU_DEP_2)
	v_add_f64_e64 v[1:2], v[10:11], -v[1:2]
	v_add_f64_e64 v[3:4], v[12:13], -v[3:4]
	scratch_store_b128 off, v[1:4], off offset:640
	v_cmpx_lt_u32_e32 38, v0
	s_cbranch_execz .LBB51_249
; %bb.248:
	scratch_load_b128 v[1:4], off, s13
	v_mov_b32_e32 v5, 0
	s_delay_alu instid0(VALU_DEP_1)
	v_dual_mov_b32 v6, v5 :: v_dual_mov_b32 v7, v5
	v_mov_b32_e32 v8, v5
	scratch_store_b128 off, v[5:8], off offset:624
	s_wait_loadcnt 0x0
	ds_store_b128 v150, v[1:4]
.LBB51_249:
	s_wait_alu 0xfffe
	s_or_b32 exec_lo, exec_lo, s0
	s_wait_storecnt_dscnt 0x0
	s_barrier_signal -1
	s_barrier_wait -1
	global_inv scope:SCOPE_SE
	s_clause 0x7
	scratch_load_b128 v[2:5], off, off offset:640
	scratch_load_b128 v[6:9], off, off offset:656
	;; [unrolled: 1-line block ×8, first 2 shown]
	v_mov_b32_e32 v1, 0
	s_mov_b32 s0, exec_lo
	ds_load_b128 v[34:37], v1 offset:1456
	s_clause 0x1
	scratch_load_b128 v[38:41], off, off offset:768
	scratch_load_b128 v[42:45], off, off offset:624
	ds_load_b128 v[151:154], v1 offset:1472
	scratch_load_b128 v[155:158], off, off offset:784
	s_wait_loadcnt_dscnt 0xa01
	v_mul_f64_e32 v[159:160], v[36:37], v[4:5]
	v_mul_f64_e32 v[4:5], v[34:35], v[4:5]
	s_delay_alu instid0(VALU_DEP_2) | instskip(NEXT) | instid1(VALU_DEP_2)
	v_fma_f64 v[165:166], v[34:35], v[2:3], -v[159:160]
	v_fma_f64 v[167:168], v[36:37], v[2:3], v[4:5]
	ds_load_b128 v[2:5], v1 offset:1488
	s_wait_loadcnt_dscnt 0x901
	v_mul_f64_e32 v[163:164], v[151:152], v[8:9]
	v_mul_f64_e32 v[8:9], v[153:154], v[8:9]
	scratch_load_b128 v[34:37], off, off offset:800
	ds_load_b128 v[159:162], v1 offset:1504
	s_wait_loadcnt_dscnt 0x901
	v_mul_f64_e32 v[169:170], v[2:3], v[12:13]
	v_mul_f64_e32 v[12:13], v[4:5], v[12:13]
	v_fma_f64 v[153:154], v[153:154], v[6:7], v[163:164]
	v_fma_f64 v[151:152], v[151:152], v[6:7], -v[8:9]
	v_add_f64_e32 v[163:164], 0, v[165:166]
	v_add_f64_e32 v[165:166], 0, v[167:168]
	scratch_load_b128 v[6:9], off, off offset:816
	v_fma_f64 v[169:170], v[4:5], v[10:11], v[169:170]
	v_fma_f64 v[171:172], v[2:3], v[10:11], -v[12:13]
	ds_load_b128 v[2:5], v1 offset:1520
	s_wait_loadcnt_dscnt 0x901
	v_mul_f64_e32 v[167:168], v[159:160], v[16:17]
	v_mul_f64_e32 v[16:17], v[161:162], v[16:17]
	scratch_load_b128 v[10:13], off, off offset:832
	v_add_f64_e32 v[163:164], v[163:164], v[151:152]
	v_add_f64_e32 v[165:166], v[165:166], v[153:154]
	s_wait_loadcnt_dscnt 0x900
	v_mul_f64_e32 v[173:174], v[2:3], v[20:21]
	v_mul_f64_e32 v[20:21], v[4:5], v[20:21]
	ds_load_b128 v[151:154], v1 offset:1536
	v_fma_f64 v[161:162], v[161:162], v[14:15], v[167:168]
	v_fma_f64 v[14:15], v[159:160], v[14:15], -v[16:17]
	v_add_f64_e32 v[16:17], v[163:164], v[171:172]
	v_add_f64_e32 v[159:160], v[165:166], v[169:170]
	s_wait_loadcnt_dscnt 0x800
	v_mul_f64_e32 v[163:164], v[151:152], v[24:25]
	v_mul_f64_e32 v[24:25], v[153:154], v[24:25]
	v_fma_f64 v[165:166], v[4:5], v[18:19], v[173:174]
	v_fma_f64 v[18:19], v[2:3], v[18:19], -v[20:21]
	v_add_f64_e32 v[20:21], v[16:17], v[14:15]
	v_add_f64_e32 v[159:160], v[159:160], v[161:162]
	ds_load_b128 v[2:5], v1 offset:1552
	ds_load_b128 v[14:17], v1 offset:1568
	v_fma_f64 v[153:154], v[153:154], v[22:23], v[163:164]
	v_fma_f64 v[22:23], v[151:152], v[22:23], -v[24:25]
	s_wait_loadcnt_dscnt 0x701
	v_mul_f64_e32 v[161:162], v[2:3], v[28:29]
	v_mul_f64_e32 v[28:29], v[4:5], v[28:29]
	s_wait_loadcnt_dscnt 0x600
	v_mul_f64_e32 v[24:25], v[14:15], v[32:33]
	v_mul_f64_e32 v[32:33], v[16:17], v[32:33]
	v_add_f64_e32 v[18:19], v[20:21], v[18:19]
	v_add_f64_e32 v[20:21], v[159:160], v[165:166]
	v_fma_f64 v[151:152], v[4:5], v[26:27], v[161:162]
	v_fma_f64 v[26:27], v[2:3], v[26:27], -v[28:29]
	v_fma_f64 v[16:17], v[16:17], v[30:31], v[24:25]
	v_fma_f64 v[14:15], v[14:15], v[30:31], -v[32:33]
	v_add_f64_e32 v[22:23], v[18:19], v[22:23]
	v_add_f64_e32 v[28:29], v[20:21], v[153:154]
	ds_load_b128 v[2:5], v1 offset:1584
	ds_load_b128 v[18:21], v1 offset:1600
	s_wait_loadcnt_dscnt 0x501
	v_mul_f64_e32 v[153:154], v[2:3], v[40:41]
	v_mul_f64_e32 v[40:41], v[4:5], v[40:41]
	v_add_f64_e32 v[22:23], v[22:23], v[26:27]
	v_add_f64_e32 v[24:25], v[28:29], v[151:152]
	s_wait_loadcnt_dscnt 0x300
	v_mul_f64_e32 v[26:27], v[18:19], v[157:158]
	v_mul_f64_e32 v[28:29], v[20:21], v[157:158]
	v_fma_f64 v[30:31], v[4:5], v[38:39], v[153:154]
	v_fma_f64 v[32:33], v[2:3], v[38:39], -v[40:41]
	v_add_f64_e32 v[22:23], v[22:23], v[14:15]
	v_add_f64_e32 v[24:25], v[24:25], v[16:17]
	ds_load_b128 v[2:5], v1 offset:1616
	ds_load_b128 v[14:17], v1 offset:1632
	v_fma_f64 v[20:21], v[20:21], v[155:156], v[26:27]
	v_fma_f64 v[18:19], v[18:19], v[155:156], -v[28:29]
	s_wait_loadcnt_dscnt 0x201
	v_mul_f64_e32 v[38:39], v[2:3], v[36:37]
	v_mul_f64_e32 v[36:37], v[4:5], v[36:37]
	v_add_f64_e32 v[22:23], v[22:23], v[32:33]
	v_add_f64_e32 v[24:25], v[24:25], v[30:31]
	s_wait_loadcnt_dscnt 0x100
	v_mul_f64_e32 v[26:27], v[14:15], v[8:9]
	v_mul_f64_e32 v[8:9], v[16:17], v[8:9]
	v_fma_f64 v[28:29], v[4:5], v[34:35], v[38:39]
	v_fma_f64 v[30:31], v[2:3], v[34:35], -v[36:37]
	ds_load_b128 v[2:5], v1 offset:1648
	v_add_f64_e32 v[18:19], v[22:23], v[18:19]
	v_add_f64_e32 v[20:21], v[24:25], v[20:21]
	s_wait_loadcnt_dscnt 0x0
	v_mul_f64_e32 v[22:23], v[2:3], v[12:13]
	v_mul_f64_e32 v[12:13], v[4:5], v[12:13]
	v_fma_f64 v[16:17], v[16:17], v[6:7], v[26:27]
	v_fma_f64 v[6:7], v[14:15], v[6:7], -v[8:9]
	v_add_f64_e32 v[8:9], v[18:19], v[30:31]
	v_add_f64_e32 v[14:15], v[20:21], v[28:29]
	v_fma_f64 v[4:5], v[4:5], v[10:11], v[22:23]
	v_fma_f64 v[2:3], v[2:3], v[10:11], -v[12:13]
	s_delay_alu instid0(VALU_DEP_4) | instskip(NEXT) | instid1(VALU_DEP_4)
	v_add_f64_e32 v[6:7], v[8:9], v[6:7]
	v_add_f64_e32 v[8:9], v[14:15], v[16:17]
	s_delay_alu instid0(VALU_DEP_2) | instskip(NEXT) | instid1(VALU_DEP_2)
	v_add_f64_e32 v[2:3], v[6:7], v[2:3]
	v_add_f64_e32 v[4:5], v[8:9], v[4:5]
	s_delay_alu instid0(VALU_DEP_2) | instskip(NEXT) | instid1(VALU_DEP_2)
	v_add_f64_e64 v[2:3], v[42:43], -v[2:3]
	v_add_f64_e64 v[4:5], v[44:45], -v[4:5]
	scratch_store_b128 off, v[2:5], off offset:624
	v_cmpx_lt_u32_e32 37, v0
	s_cbranch_execz .LBB51_251
; %bb.250:
	scratch_load_b128 v[5:8], off, s12
	v_dual_mov_b32 v2, v1 :: v_dual_mov_b32 v3, v1
	v_mov_b32_e32 v4, v1
	scratch_store_b128 off, v[1:4], off offset:608
	s_wait_loadcnt 0x0
	ds_store_b128 v150, v[5:8]
.LBB51_251:
	s_wait_alu 0xfffe
	s_or_b32 exec_lo, exec_lo, s0
	s_wait_storecnt_dscnt 0x0
	s_barrier_signal -1
	s_barrier_wait -1
	global_inv scope:SCOPE_SE
	s_clause 0x8
	scratch_load_b128 v[2:5], off, off offset:624
	scratch_load_b128 v[6:9], off, off offset:640
	;; [unrolled: 1-line block ×9, first 2 shown]
	ds_load_b128 v[38:41], v1 offset:1440
	ds_load_b128 v[42:45], v1 offset:1456
	s_clause 0x1
	scratch_load_b128 v[151:154], off, off offset:608
	scratch_load_b128 v[155:158], off, off offset:768
	s_mov_b32 s0, exec_lo
	s_wait_loadcnt_dscnt 0xa01
	v_mul_f64_e32 v[159:160], v[40:41], v[4:5]
	v_mul_f64_e32 v[4:5], v[38:39], v[4:5]
	s_wait_loadcnt_dscnt 0x900
	v_mul_f64_e32 v[163:164], v[42:43], v[8:9]
	v_mul_f64_e32 v[8:9], v[44:45], v[8:9]
	s_delay_alu instid0(VALU_DEP_4) | instskip(NEXT) | instid1(VALU_DEP_4)
	v_fma_f64 v[165:166], v[38:39], v[2:3], -v[159:160]
	v_fma_f64 v[167:168], v[40:41], v[2:3], v[4:5]
	ds_load_b128 v[2:5], v1 offset:1472
	ds_load_b128 v[159:162], v1 offset:1488
	scratch_load_b128 v[38:41], off, off offset:784
	v_fma_f64 v[44:45], v[44:45], v[6:7], v[163:164]
	v_fma_f64 v[42:43], v[42:43], v[6:7], -v[8:9]
	scratch_load_b128 v[6:9], off, off offset:800
	s_wait_loadcnt_dscnt 0xa01
	v_mul_f64_e32 v[169:170], v[2:3], v[12:13]
	v_mul_f64_e32 v[12:13], v[4:5], v[12:13]
	v_add_f64_e32 v[163:164], 0, v[165:166]
	v_add_f64_e32 v[165:166], 0, v[167:168]
	s_wait_loadcnt_dscnt 0x900
	v_mul_f64_e32 v[167:168], v[159:160], v[16:17]
	v_mul_f64_e32 v[16:17], v[161:162], v[16:17]
	v_fma_f64 v[169:170], v[4:5], v[10:11], v[169:170]
	v_fma_f64 v[171:172], v[2:3], v[10:11], -v[12:13]
	ds_load_b128 v[2:5], v1 offset:1504
	scratch_load_b128 v[10:13], off, off offset:816
	v_add_f64_e32 v[163:164], v[163:164], v[42:43]
	v_add_f64_e32 v[165:166], v[165:166], v[44:45]
	ds_load_b128 v[42:45], v1 offset:1520
	v_fma_f64 v[161:162], v[161:162], v[14:15], v[167:168]
	v_fma_f64 v[159:160], v[159:160], v[14:15], -v[16:17]
	scratch_load_b128 v[14:17], off, off offset:832
	s_wait_loadcnt_dscnt 0xa01
	v_mul_f64_e32 v[173:174], v[2:3], v[20:21]
	v_mul_f64_e32 v[20:21], v[4:5], v[20:21]
	s_wait_loadcnt_dscnt 0x900
	v_mul_f64_e32 v[167:168], v[42:43], v[24:25]
	v_mul_f64_e32 v[24:25], v[44:45], v[24:25]
	v_add_f64_e32 v[163:164], v[163:164], v[171:172]
	v_add_f64_e32 v[165:166], v[165:166], v[169:170]
	v_fma_f64 v[169:170], v[4:5], v[18:19], v[173:174]
	v_fma_f64 v[171:172], v[2:3], v[18:19], -v[20:21]
	ds_load_b128 v[2:5], v1 offset:1536
	ds_load_b128 v[18:21], v1 offset:1552
	v_fma_f64 v[44:45], v[44:45], v[22:23], v[167:168]
	v_fma_f64 v[22:23], v[42:43], v[22:23], -v[24:25]
	v_add_f64_e32 v[159:160], v[163:164], v[159:160]
	v_add_f64_e32 v[161:162], v[165:166], v[161:162]
	s_wait_loadcnt_dscnt 0x801
	v_mul_f64_e32 v[163:164], v[2:3], v[28:29]
	v_mul_f64_e32 v[28:29], v[4:5], v[28:29]
	s_delay_alu instid0(VALU_DEP_4) | instskip(NEXT) | instid1(VALU_DEP_4)
	v_add_f64_e32 v[24:25], v[159:160], v[171:172]
	v_add_f64_e32 v[42:43], v[161:162], v[169:170]
	s_wait_loadcnt_dscnt 0x700
	v_mul_f64_e32 v[159:160], v[18:19], v[32:33]
	v_mul_f64_e32 v[32:33], v[20:21], v[32:33]
	v_fma_f64 v[161:162], v[4:5], v[26:27], v[163:164]
	v_fma_f64 v[26:27], v[2:3], v[26:27], -v[28:29]
	v_add_f64_e32 v[28:29], v[24:25], v[22:23]
	v_add_f64_e32 v[42:43], v[42:43], v[44:45]
	ds_load_b128 v[2:5], v1 offset:1568
	ds_load_b128 v[22:25], v1 offset:1584
	v_fma_f64 v[20:21], v[20:21], v[30:31], v[159:160]
	v_fma_f64 v[18:19], v[18:19], v[30:31], -v[32:33]
	s_wait_loadcnt_dscnt 0x601
	v_mul_f64_e32 v[44:45], v[2:3], v[36:37]
	v_mul_f64_e32 v[36:37], v[4:5], v[36:37]
	s_wait_loadcnt_dscnt 0x400
	v_mul_f64_e32 v[30:31], v[22:23], v[157:158]
	v_mul_f64_e32 v[32:33], v[24:25], v[157:158]
	v_add_f64_e32 v[26:27], v[28:29], v[26:27]
	v_add_f64_e32 v[28:29], v[42:43], v[161:162]
	v_fma_f64 v[42:43], v[4:5], v[34:35], v[44:45]
	v_fma_f64 v[34:35], v[2:3], v[34:35], -v[36:37]
	v_fma_f64 v[24:25], v[24:25], v[155:156], v[30:31]
	v_fma_f64 v[22:23], v[22:23], v[155:156], -v[32:33]
	v_add_f64_e32 v[26:27], v[26:27], v[18:19]
	v_add_f64_e32 v[28:29], v[28:29], v[20:21]
	ds_load_b128 v[2:5], v1 offset:1600
	ds_load_b128 v[18:21], v1 offset:1616
	s_wait_loadcnt_dscnt 0x301
	v_mul_f64_e32 v[36:37], v[2:3], v[40:41]
	v_mul_f64_e32 v[40:41], v[4:5], v[40:41]
	s_wait_loadcnt_dscnt 0x200
	v_mul_f64_e32 v[30:31], v[18:19], v[8:9]
	v_mul_f64_e32 v[8:9], v[20:21], v[8:9]
	v_add_f64_e32 v[26:27], v[26:27], v[34:35]
	v_add_f64_e32 v[28:29], v[28:29], v[42:43]
	v_fma_f64 v[32:33], v[4:5], v[38:39], v[36:37]
	v_fma_f64 v[34:35], v[2:3], v[38:39], -v[40:41]
	v_fma_f64 v[20:21], v[20:21], v[6:7], v[30:31]
	v_fma_f64 v[6:7], v[18:19], v[6:7], -v[8:9]
	v_add_f64_e32 v[26:27], v[26:27], v[22:23]
	v_add_f64_e32 v[28:29], v[28:29], v[24:25]
	ds_load_b128 v[2:5], v1 offset:1632
	ds_load_b128 v[22:25], v1 offset:1648
	s_wait_loadcnt_dscnt 0x101
	v_mul_f64_e32 v[36:37], v[2:3], v[12:13]
	v_mul_f64_e32 v[12:13], v[4:5], v[12:13]
	v_add_f64_e32 v[8:9], v[26:27], v[34:35]
	v_add_f64_e32 v[18:19], v[28:29], v[32:33]
	s_wait_loadcnt_dscnt 0x0
	v_mul_f64_e32 v[26:27], v[22:23], v[16:17]
	v_mul_f64_e32 v[16:17], v[24:25], v[16:17]
	v_fma_f64 v[4:5], v[4:5], v[10:11], v[36:37]
	v_fma_f64 v[1:2], v[2:3], v[10:11], -v[12:13]
	v_add_f64_e32 v[6:7], v[8:9], v[6:7]
	v_add_f64_e32 v[8:9], v[18:19], v[20:21]
	v_fma_f64 v[10:11], v[24:25], v[14:15], v[26:27]
	v_fma_f64 v[12:13], v[22:23], v[14:15], -v[16:17]
	s_delay_alu instid0(VALU_DEP_4) | instskip(NEXT) | instid1(VALU_DEP_4)
	v_add_f64_e32 v[1:2], v[6:7], v[1:2]
	v_add_f64_e32 v[3:4], v[8:9], v[4:5]
	s_delay_alu instid0(VALU_DEP_2) | instskip(NEXT) | instid1(VALU_DEP_2)
	v_add_f64_e32 v[1:2], v[1:2], v[12:13]
	v_add_f64_e32 v[3:4], v[3:4], v[10:11]
	s_delay_alu instid0(VALU_DEP_2) | instskip(NEXT) | instid1(VALU_DEP_2)
	v_add_f64_e64 v[1:2], v[151:152], -v[1:2]
	v_add_f64_e64 v[3:4], v[153:154], -v[3:4]
	scratch_store_b128 off, v[1:4], off offset:608
	v_cmpx_lt_u32_e32 36, v0
	s_cbranch_execz .LBB51_253
; %bb.252:
	scratch_load_b128 v[1:4], off, s15
	v_mov_b32_e32 v5, 0
	s_delay_alu instid0(VALU_DEP_1)
	v_dual_mov_b32 v6, v5 :: v_dual_mov_b32 v7, v5
	v_mov_b32_e32 v8, v5
	scratch_store_b128 off, v[5:8], off offset:592
	s_wait_loadcnt 0x0
	ds_store_b128 v150, v[1:4]
.LBB51_253:
	s_wait_alu 0xfffe
	s_or_b32 exec_lo, exec_lo, s0
	s_wait_storecnt_dscnt 0x0
	s_barrier_signal -1
	s_barrier_wait -1
	global_inv scope:SCOPE_SE
	s_clause 0x7
	scratch_load_b128 v[2:5], off, off offset:608
	scratch_load_b128 v[6:9], off, off offset:624
	;; [unrolled: 1-line block ×8, first 2 shown]
	v_mov_b32_e32 v1, 0
	s_mov_b32 s0, exec_lo
	ds_load_b128 v[34:37], v1 offset:1424
	s_clause 0x1
	scratch_load_b128 v[38:41], off, off offset:736
	scratch_load_b128 v[42:45], off, off offset:592
	ds_load_b128 v[151:154], v1 offset:1440
	scratch_load_b128 v[155:158], off, off offset:752
	s_wait_loadcnt_dscnt 0xa01
	v_mul_f64_e32 v[159:160], v[36:37], v[4:5]
	v_mul_f64_e32 v[4:5], v[34:35], v[4:5]
	s_delay_alu instid0(VALU_DEP_2) | instskip(NEXT) | instid1(VALU_DEP_2)
	v_fma_f64 v[165:166], v[34:35], v[2:3], -v[159:160]
	v_fma_f64 v[167:168], v[36:37], v[2:3], v[4:5]
	ds_load_b128 v[2:5], v1 offset:1456
	s_wait_loadcnt_dscnt 0x901
	v_mul_f64_e32 v[163:164], v[151:152], v[8:9]
	v_mul_f64_e32 v[8:9], v[153:154], v[8:9]
	scratch_load_b128 v[34:37], off, off offset:768
	ds_load_b128 v[159:162], v1 offset:1472
	s_wait_loadcnt_dscnt 0x901
	v_mul_f64_e32 v[169:170], v[2:3], v[12:13]
	v_mul_f64_e32 v[12:13], v[4:5], v[12:13]
	v_fma_f64 v[153:154], v[153:154], v[6:7], v[163:164]
	v_fma_f64 v[151:152], v[151:152], v[6:7], -v[8:9]
	v_add_f64_e32 v[163:164], 0, v[165:166]
	v_add_f64_e32 v[165:166], 0, v[167:168]
	scratch_load_b128 v[6:9], off, off offset:784
	v_fma_f64 v[169:170], v[4:5], v[10:11], v[169:170]
	v_fma_f64 v[171:172], v[2:3], v[10:11], -v[12:13]
	ds_load_b128 v[2:5], v1 offset:1488
	s_wait_loadcnt_dscnt 0x901
	v_mul_f64_e32 v[167:168], v[159:160], v[16:17]
	v_mul_f64_e32 v[16:17], v[161:162], v[16:17]
	scratch_load_b128 v[10:13], off, off offset:800
	v_add_f64_e32 v[163:164], v[163:164], v[151:152]
	v_add_f64_e32 v[165:166], v[165:166], v[153:154]
	s_wait_loadcnt_dscnt 0x900
	v_mul_f64_e32 v[173:174], v[2:3], v[20:21]
	v_mul_f64_e32 v[20:21], v[4:5], v[20:21]
	ds_load_b128 v[151:154], v1 offset:1504
	v_fma_f64 v[161:162], v[161:162], v[14:15], v[167:168]
	v_fma_f64 v[159:160], v[159:160], v[14:15], -v[16:17]
	scratch_load_b128 v[14:17], off, off offset:816
	v_add_f64_e32 v[163:164], v[163:164], v[171:172]
	v_add_f64_e32 v[165:166], v[165:166], v[169:170]
	v_fma_f64 v[169:170], v[4:5], v[18:19], v[173:174]
	v_fma_f64 v[171:172], v[2:3], v[18:19], -v[20:21]
	ds_load_b128 v[2:5], v1 offset:1520
	s_wait_loadcnt_dscnt 0x901
	v_mul_f64_e32 v[167:168], v[151:152], v[24:25]
	v_mul_f64_e32 v[24:25], v[153:154], v[24:25]
	scratch_load_b128 v[18:21], off, off offset:832
	s_wait_loadcnt_dscnt 0x900
	v_mul_f64_e32 v[173:174], v[2:3], v[28:29]
	v_mul_f64_e32 v[28:29], v[4:5], v[28:29]
	v_add_f64_e32 v[163:164], v[163:164], v[159:160]
	v_add_f64_e32 v[165:166], v[165:166], v[161:162]
	ds_load_b128 v[159:162], v1 offset:1536
	v_fma_f64 v[153:154], v[153:154], v[22:23], v[167:168]
	v_fma_f64 v[22:23], v[151:152], v[22:23], -v[24:25]
	v_add_f64_e32 v[24:25], v[163:164], v[171:172]
	v_add_f64_e32 v[151:152], v[165:166], v[169:170]
	s_wait_loadcnt_dscnt 0x800
	v_mul_f64_e32 v[163:164], v[159:160], v[32:33]
	v_mul_f64_e32 v[32:33], v[161:162], v[32:33]
	v_fma_f64 v[165:166], v[4:5], v[26:27], v[173:174]
	v_fma_f64 v[26:27], v[2:3], v[26:27], -v[28:29]
	v_add_f64_e32 v[28:29], v[24:25], v[22:23]
	v_add_f64_e32 v[151:152], v[151:152], v[153:154]
	ds_load_b128 v[2:5], v1 offset:1552
	ds_load_b128 v[22:25], v1 offset:1568
	v_fma_f64 v[161:162], v[161:162], v[30:31], v[163:164]
	v_fma_f64 v[30:31], v[159:160], v[30:31], -v[32:33]
	s_wait_loadcnt_dscnt 0x701
	v_mul_f64_e32 v[153:154], v[2:3], v[40:41]
	v_mul_f64_e32 v[40:41], v[4:5], v[40:41]
	s_wait_loadcnt_dscnt 0x500
	v_mul_f64_e32 v[32:33], v[22:23], v[157:158]
	v_add_f64_e32 v[26:27], v[28:29], v[26:27]
	v_add_f64_e32 v[28:29], v[151:152], v[165:166]
	v_mul_f64_e32 v[151:152], v[24:25], v[157:158]
	v_fma_f64 v[153:154], v[4:5], v[38:39], v[153:154]
	v_fma_f64 v[38:39], v[2:3], v[38:39], -v[40:41]
	v_fma_f64 v[24:25], v[24:25], v[155:156], v[32:33]
	v_add_f64_e32 v[30:31], v[26:27], v[30:31]
	v_add_f64_e32 v[40:41], v[28:29], v[161:162]
	ds_load_b128 v[2:5], v1 offset:1584
	ds_load_b128 v[26:29], v1 offset:1600
	v_fma_f64 v[22:23], v[22:23], v[155:156], -v[151:152]
	s_wait_loadcnt_dscnt 0x401
	v_mul_f64_e32 v[157:158], v[2:3], v[36:37]
	v_mul_f64_e32 v[36:37], v[4:5], v[36:37]
	v_add_f64_e32 v[30:31], v[30:31], v[38:39]
	v_add_f64_e32 v[32:33], v[40:41], v[153:154]
	s_wait_loadcnt_dscnt 0x300
	v_mul_f64_e32 v[38:39], v[26:27], v[8:9]
	v_mul_f64_e32 v[8:9], v[28:29], v[8:9]
	v_fma_f64 v[40:41], v[4:5], v[34:35], v[157:158]
	v_fma_f64 v[34:35], v[2:3], v[34:35], -v[36:37]
	v_add_f64_e32 v[30:31], v[30:31], v[22:23]
	v_add_f64_e32 v[32:33], v[32:33], v[24:25]
	ds_load_b128 v[2:5], v1 offset:1616
	ds_load_b128 v[22:25], v1 offset:1632
	v_fma_f64 v[28:29], v[28:29], v[6:7], v[38:39]
	v_fma_f64 v[6:7], v[26:27], v[6:7], -v[8:9]
	s_wait_loadcnt_dscnt 0x201
	v_mul_f64_e32 v[36:37], v[2:3], v[12:13]
	v_mul_f64_e32 v[12:13], v[4:5], v[12:13]
	v_add_f64_e32 v[8:9], v[30:31], v[34:35]
	v_add_f64_e32 v[26:27], v[32:33], v[40:41]
	s_wait_loadcnt_dscnt 0x100
	v_mul_f64_e32 v[30:31], v[22:23], v[16:17]
	v_mul_f64_e32 v[16:17], v[24:25], v[16:17]
	v_fma_f64 v[32:33], v[4:5], v[10:11], v[36:37]
	v_fma_f64 v[10:11], v[2:3], v[10:11], -v[12:13]
	ds_load_b128 v[2:5], v1 offset:1648
	v_add_f64_e32 v[6:7], v[8:9], v[6:7]
	v_add_f64_e32 v[8:9], v[26:27], v[28:29]
	v_fma_f64 v[24:25], v[24:25], v[14:15], v[30:31]
	v_fma_f64 v[14:15], v[22:23], v[14:15], -v[16:17]
	s_wait_loadcnt_dscnt 0x0
	v_mul_f64_e32 v[12:13], v[2:3], v[20:21]
	v_mul_f64_e32 v[20:21], v[4:5], v[20:21]
	v_add_f64_e32 v[6:7], v[6:7], v[10:11]
	v_add_f64_e32 v[8:9], v[8:9], v[32:33]
	s_delay_alu instid0(VALU_DEP_4) | instskip(NEXT) | instid1(VALU_DEP_4)
	v_fma_f64 v[4:5], v[4:5], v[18:19], v[12:13]
	v_fma_f64 v[2:3], v[2:3], v[18:19], -v[20:21]
	s_delay_alu instid0(VALU_DEP_4) | instskip(NEXT) | instid1(VALU_DEP_4)
	v_add_f64_e32 v[6:7], v[6:7], v[14:15]
	v_add_f64_e32 v[8:9], v[8:9], v[24:25]
	s_delay_alu instid0(VALU_DEP_2) | instskip(NEXT) | instid1(VALU_DEP_2)
	v_add_f64_e32 v[2:3], v[6:7], v[2:3]
	v_add_f64_e32 v[4:5], v[8:9], v[4:5]
	s_delay_alu instid0(VALU_DEP_2) | instskip(NEXT) | instid1(VALU_DEP_2)
	v_add_f64_e64 v[2:3], v[42:43], -v[2:3]
	v_add_f64_e64 v[4:5], v[44:45], -v[4:5]
	scratch_store_b128 off, v[2:5], off offset:592
	v_cmpx_lt_u32_e32 35, v0
	s_cbranch_execz .LBB51_255
; %bb.254:
	scratch_load_b128 v[5:8], off, s14
	v_dual_mov_b32 v2, v1 :: v_dual_mov_b32 v3, v1
	v_mov_b32_e32 v4, v1
	scratch_store_b128 off, v[1:4], off offset:576
	s_wait_loadcnt 0x0
	ds_store_b128 v150, v[5:8]
.LBB51_255:
	s_wait_alu 0xfffe
	s_or_b32 exec_lo, exec_lo, s0
	s_wait_storecnt_dscnt 0x0
	s_barrier_signal -1
	s_barrier_wait -1
	global_inv scope:SCOPE_SE
	s_clause 0x8
	scratch_load_b128 v[2:5], off, off offset:592
	scratch_load_b128 v[6:9], off, off offset:608
	scratch_load_b128 v[10:13], off, off offset:624
	scratch_load_b128 v[14:17], off, off offset:640
	scratch_load_b128 v[18:21], off, off offset:656
	scratch_load_b128 v[22:25], off, off offset:672
	scratch_load_b128 v[26:29], off, off offset:688
	scratch_load_b128 v[30:33], off, off offset:704
	scratch_load_b128 v[34:37], off, off offset:720
	ds_load_b128 v[38:41], v1 offset:1408
	ds_load_b128 v[42:45], v1 offset:1424
	s_clause 0x1
	scratch_load_b128 v[151:154], off, off offset:576
	scratch_load_b128 v[155:158], off, off offset:736
	s_mov_b32 s0, exec_lo
	s_wait_loadcnt_dscnt 0xa01
	v_mul_f64_e32 v[159:160], v[40:41], v[4:5]
	v_mul_f64_e32 v[4:5], v[38:39], v[4:5]
	s_wait_loadcnt_dscnt 0x900
	v_mul_f64_e32 v[163:164], v[42:43], v[8:9]
	v_mul_f64_e32 v[8:9], v[44:45], v[8:9]
	s_delay_alu instid0(VALU_DEP_4) | instskip(NEXT) | instid1(VALU_DEP_4)
	v_fma_f64 v[165:166], v[38:39], v[2:3], -v[159:160]
	v_fma_f64 v[167:168], v[40:41], v[2:3], v[4:5]
	ds_load_b128 v[2:5], v1 offset:1440
	ds_load_b128 v[159:162], v1 offset:1456
	scratch_load_b128 v[38:41], off, off offset:752
	v_fma_f64 v[44:45], v[44:45], v[6:7], v[163:164]
	v_fma_f64 v[42:43], v[42:43], v[6:7], -v[8:9]
	scratch_load_b128 v[6:9], off, off offset:768
	s_wait_loadcnt_dscnt 0xa01
	v_mul_f64_e32 v[169:170], v[2:3], v[12:13]
	v_mul_f64_e32 v[12:13], v[4:5], v[12:13]
	v_add_f64_e32 v[163:164], 0, v[165:166]
	v_add_f64_e32 v[165:166], 0, v[167:168]
	s_wait_loadcnt_dscnt 0x900
	v_mul_f64_e32 v[167:168], v[159:160], v[16:17]
	v_mul_f64_e32 v[16:17], v[161:162], v[16:17]
	v_fma_f64 v[169:170], v[4:5], v[10:11], v[169:170]
	v_fma_f64 v[171:172], v[2:3], v[10:11], -v[12:13]
	ds_load_b128 v[2:5], v1 offset:1472
	scratch_load_b128 v[10:13], off, off offset:784
	v_add_f64_e32 v[163:164], v[163:164], v[42:43]
	v_add_f64_e32 v[165:166], v[165:166], v[44:45]
	ds_load_b128 v[42:45], v1 offset:1488
	v_fma_f64 v[161:162], v[161:162], v[14:15], v[167:168]
	v_fma_f64 v[159:160], v[159:160], v[14:15], -v[16:17]
	scratch_load_b128 v[14:17], off, off offset:800
	s_wait_loadcnt_dscnt 0xa01
	v_mul_f64_e32 v[173:174], v[2:3], v[20:21]
	v_mul_f64_e32 v[20:21], v[4:5], v[20:21]
	s_wait_loadcnt_dscnt 0x900
	v_mul_f64_e32 v[167:168], v[42:43], v[24:25]
	v_mul_f64_e32 v[24:25], v[44:45], v[24:25]
	v_add_f64_e32 v[163:164], v[163:164], v[171:172]
	v_add_f64_e32 v[165:166], v[165:166], v[169:170]
	v_fma_f64 v[169:170], v[4:5], v[18:19], v[173:174]
	v_fma_f64 v[171:172], v[2:3], v[18:19], -v[20:21]
	ds_load_b128 v[2:5], v1 offset:1504
	scratch_load_b128 v[18:21], off, off offset:816
	v_fma_f64 v[44:45], v[44:45], v[22:23], v[167:168]
	v_fma_f64 v[42:43], v[42:43], v[22:23], -v[24:25]
	scratch_load_b128 v[22:25], off, off offset:832
	v_add_f64_e32 v[163:164], v[163:164], v[159:160]
	v_add_f64_e32 v[165:166], v[165:166], v[161:162]
	ds_load_b128 v[159:162], v1 offset:1520
	s_wait_loadcnt_dscnt 0xa01
	v_mul_f64_e32 v[173:174], v[2:3], v[28:29]
	v_mul_f64_e32 v[28:29], v[4:5], v[28:29]
	s_wait_loadcnt_dscnt 0x900
	v_mul_f64_e32 v[167:168], v[159:160], v[32:33]
	v_mul_f64_e32 v[32:33], v[161:162], v[32:33]
	v_add_f64_e32 v[163:164], v[163:164], v[171:172]
	v_add_f64_e32 v[165:166], v[165:166], v[169:170]
	v_fma_f64 v[169:170], v[4:5], v[26:27], v[173:174]
	v_fma_f64 v[171:172], v[2:3], v[26:27], -v[28:29]
	ds_load_b128 v[2:5], v1 offset:1536
	ds_load_b128 v[26:29], v1 offset:1552
	v_fma_f64 v[161:162], v[161:162], v[30:31], v[167:168]
	v_fma_f64 v[30:31], v[159:160], v[30:31], -v[32:33]
	v_add_f64_e32 v[42:43], v[163:164], v[42:43]
	v_add_f64_e32 v[44:45], v[165:166], v[44:45]
	s_wait_loadcnt_dscnt 0x801
	v_mul_f64_e32 v[163:164], v[2:3], v[36:37]
	v_mul_f64_e32 v[36:37], v[4:5], v[36:37]
	s_delay_alu instid0(VALU_DEP_4) | instskip(NEXT) | instid1(VALU_DEP_4)
	v_add_f64_e32 v[32:33], v[42:43], v[171:172]
	v_add_f64_e32 v[42:43], v[44:45], v[169:170]
	s_wait_loadcnt_dscnt 0x600
	v_mul_f64_e32 v[44:45], v[26:27], v[157:158]
	v_mul_f64_e32 v[157:158], v[28:29], v[157:158]
	v_fma_f64 v[159:160], v[4:5], v[34:35], v[163:164]
	v_fma_f64 v[34:35], v[2:3], v[34:35], -v[36:37]
	v_add_f64_e32 v[36:37], v[32:33], v[30:31]
	v_add_f64_e32 v[42:43], v[42:43], v[161:162]
	ds_load_b128 v[2:5], v1 offset:1568
	ds_load_b128 v[30:33], v1 offset:1584
	v_fma_f64 v[28:29], v[28:29], v[155:156], v[44:45]
	v_fma_f64 v[26:27], v[26:27], v[155:156], -v[157:158]
	s_wait_loadcnt_dscnt 0x501
	v_mul_f64_e32 v[161:162], v[2:3], v[40:41]
	v_mul_f64_e32 v[40:41], v[4:5], v[40:41]
	v_add_f64_e32 v[34:35], v[36:37], v[34:35]
	v_add_f64_e32 v[36:37], v[42:43], v[159:160]
	s_wait_loadcnt_dscnt 0x400
	v_mul_f64_e32 v[42:43], v[30:31], v[8:9]
	v_mul_f64_e32 v[8:9], v[32:33], v[8:9]
	v_fma_f64 v[44:45], v[4:5], v[38:39], v[161:162]
	v_fma_f64 v[38:39], v[2:3], v[38:39], -v[40:41]
	v_add_f64_e32 v[34:35], v[34:35], v[26:27]
	v_add_f64_e32 v[36:37], v[36:37], v[28:29]
	ds_load_b128 v[2:5], v1 offset:1600
	ds_load_b128 v[26:29], v1 offset:1616
	v_fma_f64 v[32:33], v[32:33], v[6:7], v[42:43]
	v_fma_f64 v[6:7], v[30:31], v[6:7], -v[8:9]
	s_wait_loadcnt_dscnt 0x301
	v_mul_f64_e32 v[40:41], v[2:3], v[12:13]
	v_mul_f64_e32 v[12:13], v[4:5], v[12:13]
	;; [unrolled: 16-line block ×3, first 2 shown]
	s_wait_loadcnt_dscnt 0x0
	v_mul_f64_e32 v[16:17], v[6:7], v[24:25]
	v_mul_f64_e32 v[24:25], v[8:9], v[24:25]
	v_add_f64_e32 v[10:11], v[12:13], v[10:11]
	v_add_f64_e32 v[12:13], v[30:31], v[36:37]
	v_fma_f64 v[4:5], v[4:5], v[18:19], v[32:33]
	v_fma_f64 v[1:2], v[2:3], v[18:19], -v[20:21]
	v_fma_f64 v[8:9], v[8:9], v[22:23], v[16:17]
	v_fma_f64 v[6:7], v[6:7], v[22:23], -v[24:25]
	v_add_f64_e32 v[10:11], v[10:11], v[14:15]
	v_add_f64_e32 v[12:13], v[12:13], v[28:29]
	s_delay_alu instid0(VALU_DEP_2) | instskip(NEXT) | instid1(VALU_DEP_2)
	v_add_f64_e32 v[1:2], v[10:11], v[1:2]
	v_add_f64_e32 v[3:4], v[12:13], v[4:5]
	s_delay_alu instid0(VALU_DEP_2) | instskip(NEXT) | instid1(VALU_DEP_2)
	;; [unrolled: 3-line block ×3, first 2 shown]
	v_add_f64_e64 v[1:2], v[151:152], -v[1:2]
	v_add_f64_e64 v[3:4], v[153:154], -v[3:4]
	scratch_store_b128 off, v[1:4], off offset:576
	v_cmpx_lt_u32_e32 34, v0
	s_cbranch_execz .LBB51_257
; %bb.256:
	scratch_load_b128 v[1:4], off, s20
	v_mov_b32_e32 v5, 0
	s_delay_alu instid0(VALU_DEP_1)
	v_dual_mov_b32 v6, v5 :: v_dual_mov_b32 v7, v5
	v_mov_b32_e32 v8, v5
	scratch_store_b128 off, v[5:8], off offset:560
	s_wait_loadcnt 0x0
	ds_store_b128 v150, v[1:4]
.LBB51_257:
	s_wait_alu 0xfffe
	s_or_b32 exec_lo, exec_lo, s0
	s_wait_storecnt_dscnt 0x0
	s_barrier_signal -1
	s_barrier_wait -1
	global_inv scope:SCOPE_SE
	s_clause 0x7
	scratch_load_b128 v[2:5], off, off offset:576
	scratch_load_b128 v[6:9], off, off offset:592
	;; [unrolled: 1-line block ×8, first 2 shown]
	v_mov_b32_e32 v1, 0
	s_mov_b32 s0, exec_lo
	ds_load_b128 v[34:37], v1 offset:1392
	s_clause 0x1
	scratch_load_b128 v[38:41], off, off offset:704
	scratch_load_b128 v[42:45], off, off offset:560
	ds_load_b128 v[151:154], v1 offset:1408
	scratch_load_b128 v[155:158], off, off offset:720
	s_wait_loadcnt_dscnt 0xa01
	v_mul_f64_e32 v[159:160], v[36:37], v[4:5]
	v_mul_f64_e32 v[4:5], v[34:35], v[4:5]
	s_delay_alu instid0(VALU_DEP_2) | instskip(NEXT) | instid1(VALU_DEP_2)
	v_fma_f64 v[165:166], v[34:35], v[2:3], -v[159:160]
	v_fma_f64 v[167:168], v[36:37], v[2:3], v[4:5]
	ds_load_b128 v[2:5], v1 offset:1424
	s_wait_loadcnt_dscnt 0x901
	v_mul_f64_e32 v[163:164], v[151:152], v[8:9]
	v_mul_f64_e32 v[8:9], v[153:154], v[8:9]
	scratch_load_b128 v[34:37], off, off offset:736
	ds_load_b128 v[159:162], v1 offset:1440
	s_wait_loadcnt_dscnt 0x901
	v_mul_f64_e32 v[169:170], v[2:3], v[12:13]
	v_mul_f64_e32 v[12:13], v[4:5], v[12:13]
	v_fma_f64 v[153:154], v[153:154], v[6:7], v[163:164]
	v_fma_f64 v[151:152], v[151:152], v[6:7], -v[8:9]
	v_add_f64_e32 v[163:164], 0, v[165:166]
	v_add_f64_e32 v[165:166], 0, v[167:168]
	scratch_load_b128 v[6:9], off, off offset:752
	v_fma_f64 v[169:170], v[4:5], v[10:11], v[169:170]
	v_fma_f64 v[171:172], v[2:3], v[10:11], -v[12:13]
	ds_load_b128 v[2:5], v1 offset:1456
	s_wait_loadcnt_dscnt 0x901
	v_mul_f64_e32 v[167:168], v[159:160], v[16:17]
	v_mul_f64_e32 v[16:17], v[161:162], v[16:17]
	scratch_load_b128 v[10:13], off, off offset:768
	v_add_f64_e32 v[163:164], v[163:164], v[151:152]
	v_add_f64_e32 v[165:166], v[165:166], v[153:154]
	s_wait_loadcnt_dscnt 0x900
	v_mul_f64_e32 v[173:174], v[2:3], v[20:21]
	v_mul_f64_e32 v[20:21], v[4:5], v[20:21]
	ds_load_b128 v[151:154], v1 offset:1472
	v_fma_f64 v[161:162], v[161:162], v[14:15], v[167:168]
	v_fma_f64 v[159:160], v[159:160], v[14:15], -v[16:17]
	scratch_load_b128 v[14:17], off, off offset:784
	v_add_f64_e32 v[163:164], v[163:164], v[171:172]
	v_add_f64_e32 v[165:166], v[165:166], v[169:170]
	v_fma_f64 v[169:170], v[4:5], v[18:19], v[173:174]
	v_fma_f64 v[171:172], v[2:3], v[18:19], -v[20:21]
	ds_load_b128 v[2:5], v1 offset:1488
	s_wait_loadcnt_dscnt 0x901
	v_mul_f64_e32 v[167:168], v[151:152], v[24:25]
	v_mul_f64_e32 v[24:25], v[153:154], v[24:25]
	scratch_load_b128 v[18:21], off, off offset:800
	s_wait_loadcnt_dscnt 0x900
	v_mul_f64_e32 v[173:174], v[2:3], v[28:29]
	v_mul_f64_e32 v[28:29], v[4:5], v[28:29]
	v_add_f64_e32 v[163:164], v[163:164], v[159:160]
	v_add_f64_e32 v[165:166], v[165:166], v[161:162]
	ds_load_b128 v[159:162], v1 offset:1504
	v_fma_f64 v[153:154], v[153:154], v[22:23], v[167:168]
	v_fma_f64 v[151:152], v[151:152], v[22:23], -v[24:25]
	scratch_load_b128 v[22:25], off, off offset:816
	v_add_f64_e32 v[163:164], v[163:164], v[171:172]
	v_add_f64_e32 v[165:166], v[165:166], v[169:170]
	v_fma_f64 v[169:170], v[4:5], v[26:27], v[173:174]
	v_fma_f64 v[171:172], v[2:3], v[26:27], -v[28:29]
	ds_load_b128 v[2:5], v1 offset:1520
	s_wait_loadcnt_dscnt 0x901
	v_mul_f64_e32 v[167:168], v[159:160], v[32:33]
	v_mul_f64_e32 v[32:33], v[161:162], v[32:33]
	scratch_load_b128 v[26:29], off, off offset:832
	s_wait_loadcnt_dscnt 0x900
	v_mul_f64_e32 v[173:174], v[2:3], v[40:41]
	v_mul_f64_e32 v[40:41], v[4:5], v[40:41]
	v_add_f64_e32 v[163:164], v[163:164], v[151:152]
	v_add_f64_e32 v[165:166], v[165:166], v[153:154]
	ds_load_b128 v[151:154], v1 offset:1536
	v_fma_f64 v[161:162], v[161:162], v[30:31], v[167:168]
	v_fma_f64 v[30:31], v[159:160], v[30:31], -v[32:33]
	v_add_f64_e32 v[32:33], v[163:164], v[171:172]
	v_add_f64_e32 v[159:160], v[165:166], v[169:170]
	s_wait_loadcnt_dscnt 0x700
	v_mul_f64_e32 v[163:164], v[151:152], v[157:158]
	v_mul_f64_e32 v[157:158], v[153:154], v[157:158]
	v_fma_f64 v[165:166], v[4:5], v[38:39], v[173:174]
	v_fma_f64 v[38:39], v[2:3], v[38:39], -v[40:41]
	v_add_f64_e32 v[40:41], v[32:33], v[30:31]
	v_add_f64_e32 v[159:160], v[159:160], v[161:162]
	ds_load_b128 v[2:5], v1 offset:1552
	ds_load_b128 v[30:33], v1 offset:1568
	v_fma_f64 v[153:154], v[153:154], v[155:156], v[163:164]
	v_fma_f64 v[151:152], v[151:152], v[155:156], -v[157:158]
	s_wait_loadcnt_dscnt 0x601
	v_mul_f64_e32 v[161:162], v[2:3], v[36:37]
	v_mul_f64_e32 v[36:37], v[4:5], v[36:37]
	v_add_f64_e32 v[38:39], v[40:41], v[38:39]
	v_add_f64_e32 v[40:41], v[159:160], v[165:166]
	s_wait_loadcnt_dscnt 0x500
	v_mul_f64_e32 v[155:156], v[30:31], v[8:9]
	v_mul_f64_e32 v[8:9], v[32:33], v[8:9]
	v_fma_f64 v[157:158], v[4:5], v[34:35], v[161:162]
	v_fma_f64 v[159:160], v[2:3], v[34:35], -v[36:37]
	ds_load_b128 v[2:5], v1 offset:1584
	ds_load_b128 v[34:37], v1 offset:1600
	v_add_f64_e32 v[38:39], v[38:39], v[151:152]
	v_add_f64_e32 v[40:41], v[40:41], v[153:154]
	s_wait_loadcnt_dscnt 0x401
	v_mul_f64_e32 v[151:152], v[2:3], v[12:13]
	v_mul_f64_e32 v[12:13], v[4:5], v[12:13]
	v_fma_f64 v[32:33], v[32:33], v[6:7], v[155:156]
	v_fma_f64 v[6:7], v[30:31], v[6:7], -v[8:9]
	v_add_f64_e32 v[8:9], v[38:39], v[159:160]
	v_add_f64_e32 v[30:31], v[40:41], v[157:158]
	s_wait_loadcnt_dscnt 0x300
	v_mul_f64_e32 v[38:39], v[34:35], v[16:17]
	v_mul_f64_e32 v[16:17], v[36:37], v[16:17]
	v_fma_f64 v[40:41], v[4:5], v[10:11], v[151:152]
	v_fma_f64 v[10:11], v[2:3], v[10:11], -v[12:13]
	v_add_f64_e32 v[12:13], v[8:9], v[6:7]
	v_add_f64_e32 v[30:31], v[30:31], v[32:33]
	ds_load_b128 v[2:5], v1 offset:1616
	ds_load_b128 v[6:9], v1 offset:1632
	v_fma_f64 v[36:37], v[36:37], v[14:15], v[38:39]
	v_fma_f64 v[14:15], v[34:35], v[14:15], -v[16:17]
	s_wait_loadcnt_dscnt 0x201
	v_mul_f64_e32 v[32:33], v[2:3], v[20:21]
	v_mul_f64_e32 v[20:21], v[4:5], v[20:21]
	s_wait_loadcnt_dscnt 0x100
	v_mul_f64_e32 v[16:17], v[6:7], v[24:25]
	v_mul_f64_e32 v[24:25], v[8:9], v[24:25]
	v_add_f64_e32 v[10:11], v[12:13], v[10:11]
	v_add_f64_e32 v[12:13], v[30:31], v[40:41]
	v_fma_f64 v[30:31], v[4:5], v[18:19], v[32:33]
	v_fma_f64 v[18:19], v[2:3], v[18:19], -v[20:21]
	ds_load_b128 v[2:5], v1 offset:1648
	v_fma_f64 v[8:9], v[8:9], v[22:23], v[16:17]
	v_fma_f64 v[6:7], v[6:7], v[22:23], -v[24:25]
	v_add_f64_e32 v[10:11], v[10:11], v[14:15]
	v_add_f64_e32 v[12:13], v[12:13], v[36:37]
	s_wait_loadcnt_dscnt 0x0
	v_mul_f64_e32 v[14:15], v[2:3], v[28:29]
	v_mul_f64_e32 v[20:21], v[4:5], v[28:29]
	s_delay_alu instid0(VALU_DEP_4) | instskip(NEXT) | instid1(VALU_DEP_4)
	v_add_f64_e32 v[10:11], v[10:11], v[18:19]
	v_add_f64_e32 v[12:13], v[12:13], v[30:31]
	s_delay_alu instid0(VALU_DEP_4) | instskip(NEXT) | instid1(VALU_DEP_4)
	v_fma_f64 v[4:5], v[4:5], v[26:27], v[14:15]
	v_fma_f64 v[2:3], v[2:3], v[26:27], -v[20:21]
	s_delay_alu instid0(VALU_DEP_4) | instskip(NEXT) | instid1(VALU_DEP_4)
	v_add_f64_e32 v[6:7], v[10:11], v[6:7]
	v_add_f64_e32 v[8:9], v[12:13], v[8:9]
	s_delay_alu instid0(VALU_DEP_2) | instskip(NEXT) | instid1(VALU_DEP_2)
	v_add_f64_e32 v[2:3], v[6:7], v[2:3]
	v_add_f64_e32 v[4:5], v[8:9], v[4:5]
	s_delay_alu instid0(VALU_DEP_2) | instskip(NEXT) | instid1(VALU_DEP_2)
	v_add_f64_e64 v[2:3], v[42:43], -v[2:3]
	v_add_f64_e64 v[4:5], v[44:45], -v[4:5]
	scratch_store_b128 off, v[2:5], off offset:560
	v_cmpx_lt_u32_e32 33, v0
	s_cbranch_execz .LBB51_259
; %bb.258:
	scratch_load_b128 v[5:8], off, s19
	v_dual_mov_b32 v2, v1 :: v_dual_mov_b32 v3, v1
	v_mov_b32_e32 v4, v1
	scratch_store_b128 off, v[1:4], off offset:544
	s_wait_loadcnt 0x0
	ds_store_b128 v150, v[5:8]
.LBB51_259:
	s_wait_alu 0xfffe
	s_or_b32 exec_lo, exec_lo, s0
	s_wait_storecnt_dscnt 0x0
	s_barrier_signal -1
	s_barrier_wait -1
	global_inv scope:SCOPE_SE
	s_clause 0x8
	scratch_load_b128 v[2:5], off, off offset:560
	scratch_load_b128 v[6:9], off, off offset:576
	;; [unrolled: 1-line block ×9, first 2 shown]
	ds_load_b128 v[38:41], v1 offset:1376
	ds_load_b128 v[42:45], v1 offset:1392
	s_clause 0x1
	scratch_load_b128 v[151:154], off, off offset:544
	scratch_load_b128 v[155:158], off, off offset:704
	s_mov_b32 s0, exec_lo
	s_wait_loadcnt_dscnt 0xa01
	v_mul_f64_e32 v[159:160], v[40:41], v[4:5]
	v_mul_f64_e32 v[4:5], v[38:39], v[4:5]
	s_wait_loadcnt_dscnt 0x900
	v_mul_f64_e32 v[163:164], v[42:43], v[8:9]
	v_mul_f64_e32 v[8:9], v[44:45], v[8:9]
	s_delay_alu instid0(VALU_DEP_4) | instskip(NEXT) | instid1(VALU_DEP_4)
	v_fma_f64 v[165:166], v[38:39], v[2:3], -v[159:160]
	v_fma_f64 v[167:168], v[40:41], v[2:3], v[4:5]
	ds_load_b128 v[2:5], v1 offset:1408
	ds_load_b128 v[159:162], v1 offset:1424
	scratch_load_b128 v[38:41], off, off offset:720
	v_fma_f64 v[44:45], v[44:45], v[6:7], v[163:164]
	v_fma_f64 v[42:43], v[42:43], v[6:7], -v[8:9]
	scratch_load_b128 v[6:9], off, off offset:736
	s_wait_loadcnt_dscnt 0xa01
	v_mul_f64_e32 v[169:170], v[2:3], v[12:13]
	v_mul_f64_e32 v[12:13], v[4:5], v[12:13]
	v_add_f64_e32 v[163:164], 0, v[165:166]
	v_add_f64_e32 v[165:166], 0, v[167:168]
	s_wait_loadcnt_dscnt 0x900
	v_mul_f64_e32 v[167:168], v[159:160], v[16:17]
	v_mul_f64_e32 v[16:17], v[161:162], v[16:17]
	v_fma_f64 v[169:170], v[4:5], v[10:11], v[169:170]
	v_fma_f64 v[171:172], v[2:3], v[10:11], -v[12:13]
	ds_load_b128 v[2:5], v1 offset:1440
	scratch_load_b128 v[10:13], off, off offset:752
	v_add_f64_e32 v[163:164], v[163:164], v[42:43]
	v_add_f64_e32 v[165:166], v[165:166], v[44:45]
	ds_load_b128 v[42:45], v1 offset:1456
	v_fma_f64 v[161:162], v[161:162], v[14:15], v[167:168]
	v_fma_f64 v[159:160], v[159:160], v[14:15], -v[16:17]
	scratch_load_b128 v[14:17], off, off offset:768
	s_wait_loadcnt_dscnt 0xa01
	v_mul_f64_e32 v[173:174], v[2:3], v[20:21]
	v_mul_f64_e32 v[20:21], v[4:5], v[20:21]
	s_wait_loadcnt_dscnt 0x900
	v_mul_f64_e32 v[167:168], v[42:43], v[24:25]
	v_mul_f64_e32 v[24:25], v[44:45], v[24:25]
	v_add_f64_e32 v[163:164], v[163:164], v[171:172]
	v_add_f64_e32 v[165:166], v[165:166], v[169:170]
	v_fma_f64 v[169:170], v[4:5], v[18:19], v[173:174]
	v_fma_f64 v[171:172], v[2:3], v[18:19], -v[20:21]
	ds_load_b128 v[2:5], v1 offset:1472
	scratch_load_b128 v[18:21], off, off offset:784
	v_fma_f64 v[44:45], v[44:45], v[22:23], v[167:168]
	v_fma_f64 v[42:43], v[42:43], v[22:23], -v[24:25]
	scratch_load_b128 v[22:25], off, off offset:800
	v_add_f64_e32 v[163:164], v[163:164], v[159:160]
	v_add_f64_e32 v[165:166], v[165:166], v[161:162]
	ds_load_b128 v[159:162], v1 offset:1488
	s_wait_loadcnt_dscnt 0xa01
	v_mul_f64_e32 v[173:174], v[2:3], v[28:29]
	v_mul_f64_e32 v[28:29], v[4:5], v[28:29]
	s_wait_loadcnt_dscnt 0x900
	v_mul_f64_e32 v[167:168], v[159:160], v[32:33]
	v_mul_f64_e32 v[32:33], v[161:162], v[32:33]
	v_add_f64_e32 v[163:164], v[163:164], v[171:172]
	v_add_f64_e32 v[165:166], v[165:166], v[169:170]
	v_fma_f64 v[169:170], v[4:5], v[26:27], v[173:174]
	v_fma_f64 v[171:172], v[2:3], v[26:27], -v[28:29]
	ds_load_b128 v[2:5], v1 offset:1504
	scratch_load_b128 v[26:29], off, off offset:816
	v_fma_f64 v[161:162], v[161:162], v[30:31], v[167:168]
	v_fma_f64 v[159:160], v[159:160], v[30:31], -v[32:33]
	scratch_load_b128 v[30:33], off, off offset:832
	v_add_f64_e32 v[163:164], v[163:164], v[42:43]
	v_add_f64_e32 v[165:166], v[165:166], v[44:45]
	ds_load_b128 v[42:45], v1 offset:1520
	s_wait_loadcnt_dscnt 0xa01
	v_mul_f64_e32 v[173:174], v[2:3], v[36:37]
	v_mul_f64_e32 v[36:37], v[4:5], v[36:37]
	s_wait_loadcnt_dscnt 0x800
	v_mul_f64_e32 v[167:168], v[42:43], v[157:158]
	v_mul_f64_e32 v[157:158], v[44:45], v[157:158]
	v_add_f64_e32 v[163:164], v[163:164], v[171:172]
	v_add_f64_e32 v[165:166], v[165:166], v[169:170]
	v_fma_f64 v[169:170], v[4:5], v[34:35], v[173:174]
	v_fma_f64 v[171:172], v[2:3], v[34:35], -v[36:37]
	ds_load_b128 v[2:5], v1 offset:1536
	ds_load_b128 v[34:37], v1 offset:1552
	v_fma_f64 v[44:45], v[44:45], v[155:156], v[167:168]
	v_fma_f64 v[42:43], v[42:43], v[155:156], -v[157:158]
	v_add_f64_e32 v[159:160], v[163:164], v[159:160]
	v_add_f64_e32 v[161:162], v[165:166], v[161:162]
	s_wait_loadcnt_dscnt 0x701
	v_mul_f64_e32 v[163:164], v[2:3], v[40:41]
	v_mul_f64_e32 v[40:41], v[4:5], v[40:41]
	s_delay_alu instid0(VALU_DEP_4) | instskip(NEXT) | instid1(VALU_DEP_4)
	v_add_f64_e32 v[155:156], v[159:160], v[171:172]
	v_add_f64_e32 v[157:158], v[161:162], v[169:170]
	s_wait_loadcnt_dscnt 0x600
	v_mul_f64_e32 v[159:160], v[34:35], v[8:9]
	v_mul_f64_e32 v[8:9], v[36:37], v[8:9]
	v_fma_f64 v[161:162], v[4:5], v[38:39], v[163:164]
	v_fma_f64 v[163:164], v[2:3], v[38:39], -v[40:41]
	ds_load_b128 v[2:5], v1 offset:1568
	ds_load_b128 v[38:41], v1 offset:1584
	v_add_f64_e32 v[42:43], v[155:156], v[42:43]
	v_add_f64_e32 v[44:45], v[157:158], v[44:45]
	v_fma_f64 v[36:37], v[36:37], v[6:7], v[159:160]
	s_wait_loadcnt_dscnt 0x501
	v_mul_f64_e32 v[155:156], v[2:3], v[12:13]
	v_mul_f64_e32 v[12:13], v[4:5], v[12:13]
	v_fma_f64 v[6:7], v[34:35], v[6:7], -v[8:9]
	v_add_f64_e32 v[8:9], v[42:43], v[163:164]
	v_add_f64_e32 v[34:35], v[44:45], v[161:162]
	s_wait_loadcnt_dscnt 0x400
	v_mul_f64_e32 v[42:43], v[38:39], v[16:17]
	v_mul_f64_e32 v[16:17], v[40:41], v[16:17]
	v_fma_f64 v[44:45], v[4:5], v[10:11], v[155:156]
	v_fma_f64 v[10:11], v[2:3], v[10:11], -v[12:13]
	v_add_f64_e32 v[12:13], v[8:9], v[6:7]
	v_add_f64_e32 v[34:35], v[34:35], v[36:37]
	ds_load_b128 v[2:5], v1 offset:1600
	ds_load_b128 v[6:9], v1 offset:1616
	v_fma_f64 v[40:41], v[40:41], v[14:15], v[42:43]
	v_fma_f64 v[14:15], v[38:39], v[14:15], -v[16:17]
	s_wait_loadcnt_dscnt 0x301
	v_mul_f64_e32 v[36:37], v[2:3], v[20:21]
	v_mul_f64_e32 v[20:21], v[4:5], v[20:21]
	s_wait_loadcnt_dscnt 0x200
	v_mul_f64_e32 v[16:17], v[6:7], v[24:25]
	v_mul_f64_e32 v[24:25], v[8:9], v[24:25]
	v_add_f64_e32 v[10:11], v[12:13], v[10:11]
	v_add_f64_e32 v[12:13], v[34:35], v[44:45]
	v_fma_f64 v[34:35], v[4:5], v[18:19], v[36:37]
	v_fma_f64 v[18:19], v[2:3], v[18:19], -v[20:21]
	v_fma_f64 v[8:9], v[8:9], v[22:23], v[16:17]
	v_fma_f64 v[6:7], v[6:7], v[22:23], -v[24:25]
	v_add_f64_e32 v[14:15], v[10:11], v[14:15]
	v_add_f64_e32 v[20:21], v[12:13], v[40:41]
	ds_load_b128 v[2:5], v1 offset:1632
	ds_load_b128 v[10:13], v1 offset:1648
	s_wait_loadcnt_dscnt 0x101
	v_mul_f64_e32 v[36:37], v[2:3], v[28:29]
	v_mul_f64_e32 v[28:29], v[4:5], v[28:29]
	v_add_f64_e32 v[14:15], v[14:15], v[18:19]
	v_add_f64_e32 v[16:17], v[20:21], v[34:35]
	s_wait_loadcnt_dscnt 0x0
	v_mul_f64_e32 v[18:19], v[10:11], v[32:33]
	v_mul_f64_e32 v[20:21], v[12:13], v[32:33]
	v_fma_f64 v[4:5], v[4:5], v[26:27], v[36:37]
	v_fma_f64 v[1:2], v[2:3], v[26:27], -v[28:29]
	v_add_f64_e32 v[6:7], v[14:15], v[6:7]
	v_add_f64_e32 v[8:9], v[16:17], v[8:9]
	v_fma_f64 v[12:13], v[12:13], v[30:31], v[18:19]
	v_fma_f64 v[10:11], v[10:11], v[30:31], -v[20:21]
	s_delay_alu instid0(VALU_DEP_4) | instskip(NEXT) | instid1(VALU_DEP_4)
	v_add_f64_e32 v[1:2], v[6:7], v[1:2]
	v_add_f64_e32 v[3:4], v[8:9], v[4:5]
	s_delay_alu instid0(VALU_DEP_2) | instskip(NEXT) | instid1(VALU_DEP_2)
	v_add_f64_e32 v[1:2], v[1:2], v[10:11]
	v_add_f64_e32 v[3:4], v[3:4], v[12:13]
	s_delay_alu instid0(VALU_DEP_2) | instskip(NEXT) | instid1(VALU_DEP_2)
	v_add_f64_e64 v[1:2], v[151:152], -v[1:2]
	v_add_f64_e64 v[3:4], v[153:154], -v[3:4]
	scratch_store_b128 off, v[1:4], off offset:544
	v_cmpx_lt_u32_e32 32, v0
	s_cbranch_execz .LBB51_261
; %bb.260:
	scratch_load_b128 v[1:4], off, s22
	v_mov_b32_e32 v5, 0
	s_delay_alu instid0(VALU_DEP_1)
	v_dual_mov_b32 v6, v5 :: v_dual_mov_b32 v7, v5
	v_mov_b32_e32 v8, v5
	scratch_store_b128 off, v[5:8], off offset:528
	s_wait_loadcnt 0x0
	ds_store_b128 v150, v[1:4]
.LBB51_261:
	s_wait_alu 0xfffe
	s_or_b32 exec_lo, exec_lo, s0
	s_wait_storecnt_dscnt 0x0
	s_barrier_signal -1
	s_barrier_wait -1
	global_inv scope:SCOPE_SE
	s_clause 0x7
	scratch_load_b128 v[2:5], off, off offset:544
	scratch_load_b128 v[6:9], off, off offset:560
	;; [unrolled: 1-line block ×8, first 2 shown]
	v_mov_b32_e32 v1, 0
	s_mov_b32 s0, exec_lo
	ds_load_b128 v[34:37], v1 offset:1360
	s_clause 0x1
	scratch_load_b128 v[38:41], off, off offset:672
	scratch_load_b128 v[42:45], off, off offset:528
	ds_load_b128 v[151:154], v1 offset:1376
	scratch_load_b128 v[155:158], off, off offset:688
	s_wait_loadcnt_dscnt 0xa01
	v_mul_f64_e32 v[159:160], v[36:37], v[4:5]
	v_mul_f64_e32 v[4:5], v[34:35], v[4:5]
	s_delay_alu instid0(VALU_DEP_2) | instskip(NEXT) | instid1(VALU_DEP_2)
	v_fma_f64 v[165:166], v[34:35], v[2:3], -v[159:160]
	v_fma_f64 v[167:168], v[36:37], v[2:3], v[4:5]
	ds_load_b128 v[2:5], v1 offset:1392
	s_wait_loadcnt_dscnt 0x901
	v_mul_f64_e32 v[163:164], v[151:152], v[8:9]
	v_mul_f64_e32 v[8:9], v[153:154], v[8:9]
	scratch_load_b128 v[34:37], off, off offset:704
	ds_load_b128 v[159:162], v1 offset:1408
	s_wait_loadcnt_dscnt 0x901
	v_mul_f64_e32 v[169:170], v[2:3], v[12:13]
	v_mul_f64_e32 v[12:13], v[4:5], v[12:13]
	v_fma_f64 v[153:154], v[153:154], v[6:7], v[163:164]
	v_fma_f64 v[151:152], v[151:152], v[6:7], -v[8:9]
	v_add_f64_e32 v[163:164], 0, v[165:166]
	v_add_f64_e32 v[165:166], 0, v[167:168]
	scratch_load_b128 v[6:9], off, off offset:720
	v_fma_f64 v[169:170], v[4:5], v[10:11], v[169:170]
	v_fma_f64 v[171:172], v[2:3], v[10:11], -v[12:13]
	ds_load_b128 v[2:5], v1 offset:1424
	s_wait_loadcnt_dscnt 0x901
	v_mul_f64_e32 v[167:168], v[159:160], v[16:17]
	v_mul_f64_e32 v[16:17], v[161:162], v[16:17]
	scratch_load_b128 v[10:13], off, off offset:736
	v_add_f64_e32 v[163:164], v[163:164], v[151:152]
	v_add_f64_e32 v[165:166], v[165:166], v[153:154]
	s_wait_loadcnt_dscnt 0x900
	v_mul_f64_e32 v[173:174], v[2:3], v[20:21]
	v_mul_f64_e32 v[20:21], v[4:5], v[20:21]
	ds_load_b128 v[151:154], v1 offset:1440
	v_fma_f64 v[161:162], v[161:162], v[14:15], v[167:168]
	v_fma_f64 v[159:160], v[159:160], v[14:15], -v[16:17]
	scratch_load_b128 v[14:17], off, off offset:752
	v_add_f64_e32 v[163:164], v[163:164], v[171:172]
	v_add_f64_e32 v[165:166], v[165:166], v[169:170]
	v_fma_f64 v[169:170], v[4:5], v[18:19], v[173:174]
	v_fma_f64 v[171:172], v[2:3], v[18:19], -v[20:21]
	ds_load_b128 v[2:5], v1 offset:1456
	s_wait_loadcnt_dscnt 0x901
	v_mul_f64_e32 v[167:168], v[151:152], v[24:25]
	v_mul_f64_e32 v[24:25], v[153:154], v[24:25]
	scratch_load_b128 v[18:21], off, off offset:768
	s_wait_loadcnt_dscnt 0x900
	v_mul_f64_e32 v[173:174], v[2:3], v[28:29]
	v_mul_f64_e32 v[28:29], v[4:5], v[28:29]
	v_add_f64_e32 v[163:164], v[163:164], v[159:160]
	v_add_f64_e32 v[165:166], v[165:166], v[161:162]
	ds_load_b128 v[159:162], v1 offset:1472
	v_fma_f64 v[153:154], v[153:154], v[22:23], v[167:168]
	v_fma_f64 v[151:152], v[151:152], v[22:23], -v[24:25]
	scratch_load_b128 v[22:25], off, off offset:784
	v_add_f64_e32 v[163:164], v[163:164], v[171:172]
	v_add_f64_e32 v[165:166], v[165:166], v[169:170]
	v_fma_f64 v[169:170], v[4:5], v[26:27], v[173:174]
	v_fma_f64 v[171:172], v[2:3], v[26:27], -v[28:29]
	ds_load_b128 v[2:5], v1 offset:1488
	s_wait_loadcnt_dscnt 0x901
	v_mul_f64_e32 v[167:168], v[159:160], v[32:33]
	v_mul_f64_e32 v[32:33], v[161:162], v[32:33]
	scratch_load_b128 v[26:29], off, off offset:800
	s_wait_loadcnt_dscnt 0x900
	v_mul_f64_e32 v[173:174], v[2:3], v[40:41]
	v_mul_f64_e32 v[40:41], v[4:5], v[40:41]
	v_add_f64_e32 v[163:164], v[163:164], v[151:152]
	v_add_f64_e32 v[165:166], v[165:166], v[153:154]
	ds_load_b128 v[151:154], v1 offset:1504
	v_fma_f64 v[161:162], v[161:162], v[30:31], v[167:168]
	v_fma_f64 v[159:160], v[159:160], v[30:31], -v[32:33]
	scratch_load_b128 v[30:33], off, off offset:816
	v_add_f64_e32 v[163:164], v[163:164], v[171:172]
	v_add_f64_e32 v[165:166], v[165:166], v[169:170]
	v_fma_f64 v[171:172], v[4:5], v[38:39], v[173:174]
	v_fma_f64 v[173:174], v[2:3], v[38:39], -v[40:41]
	ds_load_b128 v[2:5], v1 offset:1520
	s_wait_loadcnt_dscnt 0x801
	v_mul_f64_e32 v[167:168], v[151:152], v[157:158]
	v_mul_f64_e32 v[169:170], v[153:154], v[157:158]
	scratch_load_b128 v[38:41], off, off offset:832
	v_add_f64_e32 v[163:164], v[163:164], v[159:160]
	v_add_f64_e32 v[161:162], v[165:166], v[161:162]
	ds_load_b128 v[157:160], v1 offset:1536
	v_fma_f64 v[153:154], v[153:154], v[155:156], v[167:168]
	v_fma_f64 v[151:152], v[151:152], v[155:156], -v[169:170]
	s_wait_loadcnt_dscnt 0x801
	v_mul_f64_e32 v[165:166], v[2:3], v[36:37]
	v_mul_f64_e32 v[36:37], v[4:5], v[36:37]
	v_add_f64_e32 v[155:156], v[163:164], v[173:174]
	v_add_f64_e32 v[161:162], v[161:162], v[171:172]
	s_delay_alu instid0(VALU_DEP_4) | instskip(NEXT) | instid1(VALU_DEP_4)
	v_fma_f64 v[165:166], v[4:5], v[34:35], v[165:166]
	v_fma_f64 v[167:168], v[2:3], v[34:35], -v[36:37]
	s_wait_loadcnt_dscnt 0x700
	v_mul_f64_e32 v[163:164], v[157:158], v[8:9]
	v_mul_f64_e32 v[8:9], v[159:160], v[8:9]
	ds_load_b128 v[2:5], v1 offset:1552
	ds_load_b128 v[34:37], v1 offset:1568
	v_add_f64_e32 v[151:152], v[155:156], v[151:152]
	v_add_f64_e32 v[153:154], v[161:162], v[153:154]
	s_wait_loadcnt_dscnt 0x601
	v_mul_f64_e32 v[155:156], v[2:3], v[12:13]
	v_mul_f64_e32 v[12:13], v[4:5], v[12:13]
	v_fma_f64 v[159:160], v[159:160], v[6:7], v[163:164]
	v_fma_f64 v[6:7], v[157:158], v[6:7], -v[8:9]
	v_add_f64_e32 v[8:9], v[151:152], v[167:168]
	v_add_f64_e32 v[151:152], v[153:154], v[165:166]
	s_wait_loadcnt_dscnt 0x500
	v_mul_f64_e32 v[153:154], v[34:35], v[16:17]
	v_mul_f64_e32 v[16:17], v[36:37], v[16:17]
	v_fma_f64 v[155:156], v[4:5], v[10:11], v[155:156]
	v_fma_f64 v[10:11], v[2:3], v[10:11], -v[12:13]
	v_add_f64_e32 v[12:13], v[8:9], v[6:7]
	v_add_f64_e32 v[151:152], v[151:152], v[159:160]
	ds_load_b128 v[2:5], v1 offset:1584
	ds_load_b128 v[6:9], v1 offset:1600
	v_fma_f64 v[36:37], v[36:37], v[14:15], v[153:154]
	v_fma_f64 v[14:15], v[34:35], v[14:15], -v[16:17]
	s_wait_loadcnt_dscnt 0x401
	v_mul_f64_e32 v[157:158], v[2:3], v[20:21]
	v_mul_f64_e32 v[20:21], v[4:5], v[20:21]
	s_wait_loadcnt_dscnt 0x300
	v_mul_f64_e32 v[16:17], v[6:7], v[24:25]
	v_mul_f64_e32 v[24:25], v[8:9], v[24:25]
	v_add_f64_e32 v[10:11], v[12:13], v[10:11]
	v_add_f64_e32 v[12:13], v[151:152], v[155:156]
	v_fma_f64 v[34:35], v[4:5], v[18:19], v[157:158]
	v_fma_f64 v[18:19], v[2:3], v[18:19], -v[20:21]
	v_fma_f64 v[8:9], v[8:9], v[22:23], v[16:17]
	v_fma_f64 v[6:7], v[6:7], v[22:23], -v[24:25]
	v_add_f64_e32 v[14:15], v[10:11], v[14:15]
	v_add_f64_e32 v[20:21], v[12:13], v[36:37]
	ds_load_b128 v[2:5], v1 offset:1616
	ds_load_b128 v[10:13], v1 offset:1632
	s_wait_loadcnt_dscnt 0x201
	v_mul_f64_e32 v[36:37], v[2:3], v[28:29]
	v_mul_f64_e32 v[28:29], v[4:5], v[28:29]
	v_add_f64_e32 v[14:15], v[14:15], v[18:19]
	v_add_f64_e32 v[16:17], v[20:21], v[34:35]
	s_wait_loadcnt_dscnt 0x100
	v_mul_f64_e32 v[18:19], v[10:11], v[32:33]
	v_mul_f64_e32 v[20:21], v[12:13], v[32:33]
	v_fma_f64 v[22:23], v[4:5], v[26:27], v[36:37]
	v_fma_f64 v[24:25], v[2:3], v[26:27], -v[28:29]
	ds_load_b128 v[2:5], v1 offset:1648
	v_add_f64_e32 v[6:7], v[14:15], v[6:7]
	v_add_f64_e32 v[8:9], v[16:17], v[8:9]
	v_fma_f64 v[12:13], v[12:13], v[30:31], v[18:19]
	v_fma_f64 v[10:11], v[10:11], v[30:31], -v[20:21]
	s_wait_loadcnt_dscnt 0x0
	v_mul_f64_e32 v[14:15], v[2:3], v[40:41]
	v_mul_f64_e32 v[16:17], v[4:5], v[40:41]
	v_add_f64_e32 v[6:7], v[6:7], v[24:25]
	v_add_f64_e32 v[8:9], v[8:9], v[22:23]
	s_delay_alu instid0(VALU_DEP_4) | instskip(NEXT) | instid1(VALU_DEP_4)
	v_fma_f64 v[4:5], v[4:5], v[38:39], v[14:15]
	v_fma_f64 v[2:3], v[2:3], v[38:39], -v[16:17]
	s_delay_alu instid0(VALU_DEP_4) | instskip(NEXT) | instid1(VALU_DEP_4)
	v_add_f64_e32 v[6:7], v[6:7], v[10:11]
	v_add_f64_e32 v[8:9], v[8:9], v[12:13]
	s_delay_alu instid0(VALU_DEP_2) | instskip(NEXT) | instid1(VALU_DEP_2)
	v_add_f64_e32 v[2:3], v[6:7], v[2:3]
	v_add_f64_e32 v[4:5], v[8:9], v[4:5]
	s_delay_alu instid0(VALU_DEP_2) | instskip(NEXT) | instid1(VALU_DEP_2)
	v_add_f64_e64 v[2:3], v[42:43], -v[2:3]
	v_add_f64_e64 v[4:5], v[44:45], -v[4:5]
	scratch_store_b128 off, v[2:5], off offset:528
	v_cmpx_lt_u32_e32 31, v0
	s_cbranch_execz .LBB51_263
; %bb.262:
	scratch_load_b128 v[5:8], off, s21
	v_dual_mov_b32 v2, v1 :: v_dual_mov_b32 v3, v1
	v_mov_b32_e32 v4, v1
	scratch_store_b128 off, v[1:4], off offset:512
	s_wait_loadcnt 0x0
	ds_store_b128 v150, v[5:8]
.LBB51_263:
	s_wait_alu 0xfffe
	s_or_b32 exec_lo, exec_lo, s0
	s_wait_storecnt_dscnt 0x0
	s_barrier_signal -1
	s_barrier_wait -1
	global_inv scope:SCOPE_SE
	s_clause 0x8
	scratch_load_b128 v[2:5], off, off offset:528
	scratch_load_b128 v[6:9], off, off offset:544
	;; [unrolled: 1-line block ×9, first 2 shown]
	ds_load_b128 v[38:41], v1 offset:1344
	ds_load_b128 v[42:45], v1 offset:1360
	s_clause 0x1
	scratch_load_b128 v[151:154], off, off offset:512
	scratch_load_b128 v[155:158], off, off offset:672
	s_mov_b32 s0, exec_lo
	s_wait_loadcnt_dscnt 0xa01
	v_mul_f64_e32 v[159:160], v[40:41], v[4:5]
	v_mul_f64_e32 v[4:5], v[38:39], v[4:5]
	s_wait_loadcnt_dscnt 0x900
	v_mul_f64_e32 v[163:164], v[42:43], v[8:9]
	v_mul_f64_e32 v[8:9], v[44:45], v[8:9]
	s_delay_alu instid0(VALU_DEP_4) | instskip(NEXT) | instid1(VALU_DEP_4)
	v_fma_f64 v[165:166], v[38:39], v[2:3], -v[159:160]
	v_fma_f64 v[167:168], v[40:41], v[2:3], v[4:5]
	ds_load_b128 v[2:5], v1 offset:1376
	ds_load_b128 v[159:162], v1 offset:1392
	scratch_load_b128 v[38:41], off, off offset:688
	v_fma_f64 v[44:45], v[44:45], v[6:7], v[163:164]
	v_fma_f64 v[42:43], v[42:43], v[6:7], -v[8:9]
	scratch_load_b128 v[6:9], off, off offset:704
	s_wait_loadcnt_dscnt 0xa01
	v_mul_f64_e32 v[169:170], v[2:3], v[12:13]
	v_mul_f64_e32 v[12:13], v[4:5], v[12:13]
	v_add_f64_e32 v[163:164], 0, v[165:166]
	v_add_f64_e32 v[165:166], 0, v[167:168]
	s_wait_loadcnt_dscnt 0x900
	v_mul_f64_e32 v[167:168], v[159:160], v[16:17]
	v_mul_f64_e32 v[16:17], v[161:162], v[16:17]
	v_fma_f64 v[169:170], v[4:5], v[10:11], v[169:170]
	v_fma_f64 v[171:172], v[2:3], v[10:11], -v[12:13]
	ds_load_b128 v[2:5], v1 offset:1408
	scratch_load_b128 v[10:13], off, off offset:720
	v_add_f64_e32 v[163:164], v[163:164], v[42:43]
	v_add_f64_e32 v[165:166], v[165:166], v[44:45]
	ds_load_b128 v[42:45], v1 offset:1424
	v_fma_f64 v[161:162], v[161:162], v[14:15], v[167:168]
	v_fma_f64 v[159:160], v[159:160], v[14:15], -v[16:17]
	scratch_load_b128 v[14:17], off, off offset:736
	s_wait_loadcnt_dscnt 0xa01
	v_mul_f64_e32 v[173:174], v[2:3], v[20:21]
	v_mul_f64_e32 v[20:21], v[4:5], v[20:21]
	s_wait_loadcnt_dscnt 0x900
	v_mul_f64_e32 v[167:168], v[42:43], v[24:25]
	v_mul_f64_e32 v[24:25], v[44:45], v[24:25]
	v_add_f64_e32 v[163:164], v[163:164], v[171:172]
	v_add_f64_e32 v[165:166], v[165:166], v[169:170]
	v_fma_f64 v[169:170], v[4:5], v[18:19], v[173:174]
	v_fma_f64 v[171:172], v[2:3], v[18:19], -v[20:21]
	ds_load_b128 v[2:5], v1 offset:1440
	scratch_load_b128 v[18:21], off, off offset:752
	v_fma_f64 v[44:45], v[44:45], v[22:23], v[167:168]
	v_fma_f64 v[42:43], v[42:43], v[22:23], -v[24:25]
	scratch_load_b128 v[22:25], off, off offset:768
	v_add_f64_e32 v[163:164], v[163:164], v[159:160]
	v_add_f64_e32 v[165:166], v[165:166], v[161:162]
	ds_load_b128 v[159:162], v1 offset:1456
	s_wait_loadcnt_dscnt 0xa01
	v_mul_f64_e32 v[173:174], v[2:3], v[28:29]
	v_mul_f64_e32 v[28:29], v[4:5], v[28:29]
	s_wait_loadcnt_dscnt 0x900
	v_mul_f64_e32 v[167:168], v[159:160], v[32:33]
	v_mul_f64_e32 v[32:33], v[161:162], v[32:33]
	v_add_f64_e32 v[163:164], v[163:164], v[171:172]
	v_add_f64_e32 v[165:166], v[165:166], v[169:170]
	v_fma_f64 v[169:170], v[4:5], v[26:27], v[173:174]
	v_fma_f64 v[171:172], v[2:3], v[26:27], -v[28:29]
	ds_load_b128 v[2:5], v1 offset:1472
	scratch_load_b128 v[26:29], off, off offset:784
	v_fma_f64 v[161:162], v[161:162], v[30:31], v[167:168]
	v_fma_f64 v[159:160], v[159:160], v[30:31], -v[32:33]
	scratch_load_b128 v[30:33], off, off offset:800
	v_add_f64_e32 v[163:164], v[163:164], v[42:43]
	v_add_f64_e32 v[165:166], v[165:166], v[44:45]
	ds_load_b128 v[42:45], v1 offset:1488
	s_wait_loadcnt_dscnt 0xa01
	v_mul_f64_e32 v[173:174], v[2:3], v[36:37]
	v_mul_f64_e32 v[36:37], v[4:5], v[36:37]
	s_wait_loadcnt_dscnt 0x800
	v_mul_f64_e32 v[167:168], v[42:43], v[157:158]
	v_add_f64_e32 v[163:164], v[163:164], v[171:172]
	v_add_f64_e32 v[165:166], v[165:166], v[169:170]
	v_mul_f64_e32 v[169:170], v[44:45], v[157:158]
	v_fma_f64 v[171:172], v[4:5], v[34:35], v[173:174]
	v_fma_f64 v[173:174], v[2:3], v[34:35], -v[36:37]
	ds_load_b128 v[2:5], v1 offset:1504
	scratch_load_b128 v[34:37], off, off offset:816
	v_fma_f64 v[44:45], v[44:45], v[155:156], v[167:168]
	v_add_f64_e32 v[163:164], v[163:164], v[159:160]
	v_add_f64_e32 v[161:162], v[165:166], v[161:162]
	ds_load_b128 v[157:160], v1 offset:1520
	v_fma_f64 v[155:156], v[42:43], v[155:156], -v[169:170]
	s_wait_loadcnt_dscnt 0x801
	v_mul_f64_e32 v[165:166], v[2:3], v[40:41]
	v_mul_f64_e32 v[175:176], v[4:5], v[40:41]
	scratch_load_b128 v[40:43], off, off offset:832
	s_wait_loadcnt_dscnt 0x800
	v_mul_f64_e32 v[167:168], v[157:158], v[8:9]
	v_mul_f64_e32 v[8:9], v[159:160], v[8:9]
	v_add_f64_e32 v[163:164], v[163:164], v[173:174]
	v_add_f64_e32 v[161:162], v[161:162], v[171:172]
	v_fma_f64 v[165:166], v[4:5], v[38:39], v[165:166]
	v_fma_f64 v[38:39], v[2:3], v[38:39], -v[175:176]
	v_fma_f64 v[159:160], v[159:160], v[6:7], v[167:168]
	v_fma_f64 v[6:7], v[157:158], v[6:7], -v[8:9]
	v_add_f64_e32 v[155:156], v[163:164], v[155:156]
	v_add_f64_e32 v[44:45], v[161:162], v[44:45]
	ds_load_b128 v[2:5], v1 offset:1536
	ds_load_b128 v[161:164], v1 offset:1552
	s_wait_loadcnt_dscnt 0x701
	v_mul_f64_e32 v[169:170], v[2:3], v[12:13]
	v_mul_f64_e32 v[12:13], v[4:5], v[12:13]
	v_add_f64_e32 v[8:9], v[155:156], v[38:39]
	v_add_f64_e32 v[38:39], v[44:45], v[165:166]
	s_wait_loadcnt_dscnt 0x600
	v_mul_f64_e32 v[44:45], v[161:162], v[16:17]
	v_mul_f64_e32 v[16:17], v[163:164], v[16:17]
	v_fma_f64 v[155:156], v[4:5], v[10:11], v[169:170]
	v_fma_f64 v[10:11], v[2:3], v[10:11], -v[12:13]
	v_add_f64_e32 v[12:13], v[8:9], v[6:7]
	v_add_f64_e32 v[38:39], v[38:39], v[159:160]
	ds_load_b128 v[2:5], v1 offset:1568
	ds_load_b128 v[6:9], v1 offset:1584
	v_fma_f64 v[44:45], v[163:164], v[14:15], v[44:45]
	v_fma_f64 v[14:15], v[161:162], v[14:15], -v[16:17]
	s_wait_loadcnt_dscnt 0x501
	v_mul_f64_e32 v[157:158], v[2:3], v[20:21]
	v_mul_f64_e32 v[20:21], v[4:5], v[20:21]
	s_wait_loadcnt_dscnt 0x400
	v_mul_f64_e32 v[16:17], v[6:7], v[24:25]
	v_mul_f64_e32 v[24:25], v[8:9], v[24:25]
	v_add_f64_e32 v[10:11], v[12:13], v[10:11]
	v_add_f64_e32 v[12:13], v[38:39], v[155:156]
	v_fma_f64 v[38:39], v[4:5], v[18:19], v[157:158]
	v_fma_f64 v[18:19], v[2:3], v[18:19], -v[20:21]
	v_fma_f64 v[8:9], v[8:9], v[22:23], v[16:17]
	v_fma_f64 v[6:7], v[6:7], v[22:23], -v[24:25]
	v_add_f64_e32 v[14:15], v[10:11], v[14:15]
	v_add_f64_e32 v[20:21], v[12:13], v[44:45]
	ds_load_b128 v[2:5], v1 offset:1600
	ds_load_b128 v[10:13], v1 offset:1616
	s_wait_loadcnt_dscnt 0x301
	v_mul_f64_e32 v[44:45], v[2:3], v[28:29]
	v_mul_f64_e32 v[28:29], v[4:5], v[28:29]
	v_add_f64_e32 v[14:15], v[14:15], v[18:19]
	v_add_f64_e32 v[16:17], v[20:21], v[38:39]
	s_wait_loadcnt_dscnt 0x200
	v_mul_f64_e32 v[18:19], v[10:11], v[32:33]
	v_mul_f64_e32 v[20:21], v[12:13], v[32:33]
	v_fma_f64 v[22:23], v[4:5], v[26:27], v[44:45]
	v_fma_f64 v[24:25], v[2:3], v[26:27], -v[28:29]
	v_add_f64_e32 v[14:15], v[14:15], v[6:7]
	v_add_f64_e32 v[16:17], v[16:17], v[8:9]
	ds_load_b128 v[2:5], v1 offset:1632
	ds_load_b128 v[6:9], v1 offset:1648
	v_fma_f64 v[12:13], v[12:13], v[30:31], v[18:19]
	v_fma_f64 v[10:11], v[10:11], v[30:31], -v[20:21]
	s_wait_loadcnt_dscnt 0x101
	v_mul_f64_e32 v[26:27], v[2:3], v[36:37]
	v_mul_f64_e32 v[28:29], v[4:5], v[36:37]
	s_wait_loadcnt_dscnt 0x0
	v_mul_f64_e32 v[18:19], v[6:7], v[42:43]
	v_add_f64_e32 v[14:15], v[14:15], v[24:25]
	v_add_f64_e32 v[16:17], v[16:17], v[22:23]
	v_mul_f64_e32 v[20:21], v[8:9], v[42:43]
	v_fma_f64 v[4:5], v[4:5], v[34:35], v[26:27]
	v_fma_f64 v[1:2], v[2:3], v[34:35], -v[28:29]
	v_fma_f64 v[8:9], v[8:9], v[40:41], v[18:19]
	v_add_f64_e32 v[10:11], v[14:15], v[10:11]
	v_add_f64_e32 v[12:13], v[16:17], v[12:13]
	v_fma_f64 v[6:7], v[6:7], v[40:41], -v[20:21]
	s_delay_alu instid0(VALU_DEP_3) | instskip(NEXT) | instid1(VALU_DEP_3)
	v_add_f64_e32 v[1:2], v[10:11], v[1:2]
	v_add_f64_e32 v[3:4], v[12:13], v[4:5]
	s_delay_alu instid0(VALU_DEP_2) | instskip(NEXT) | instid1(VALU_DEP_2)
	v_add_f64_e32 v[1:2], v[1:2], v[6:7]
	v_add_f64_e32 v[3:4], v[3:4], v[8:9]
	s_delay_alu instid0(VALU_DEP_2) | instskip(NEXT) | instid1(VALU_DEP_2)
	v_add_f64_e64 v[1:2], v[151:152], -v[1:2]
	v_add_f64_e64 v[3:4], v[153:154], -v[3:4]
	scratch_store_b128 off, v[1:4], off offset:512
	v_cmpx_lt_u32_e32 30, v0
	s_cbranch_execz .LBB51_265
; %bb.264:
	scratch_load_b128 v[1:4], off, s24
	v_mov_b32_e32 v5, 0
	s_delay_alu instid0(VALU_DEP_1)
	v_dual_mov_b32 v6, v5 :: v_dual_mov_b32 v7, v5
	v_mov_b32_e32 v8, v5
	scratch_store_b128 off, v[5:8], off offset:496
	s_wait_loadcnt 0x0
	ds_store_b128 v150, v[1:4]
.LBB51_265:
	s_wait_alu 0xfffe
	s_or_b32 exec_lo, exec_lo, s0
	s_wait_storecnt_dscnt 0x0
	s_barrier_signal -1
	s_barrier_wait -1
	global_inv scope:SCOPE_SE
	s_clause 0x7
	scratch_load_b128 v[2:5], off, off offset:512
	scratch_load_b128 v[6:9], off, off offset:528
	;; [unrolled: 1-line block ×8, first 2 shown]
	v_mov_b32_e32 v1, 0
	s_mov_b32 s0, exec_lo
	ds_load_b128 v[34:37], v1 offset:1328
	s_clause 0x1
	scratch_load_b128 v[38:41], off, off offset:640
	scratch_load_b128 v[42:45], off, off offset:496
	ds_load_b128 v[151:154], v1 offset:1344
	scratch_load_b128 v[155:158], off, off offset:656
	s_wait_loadcnt_dscnt 0xa01
	v_mul_f64_e32 v[159:160], v[36:37], v[4:5]
	v_mul_f64_e32 v[4:5], v[34:35], v[4:5]
	s_delay_alu instid0(VALU_DEP_2) | instskip(NEXT) | instid1(VALU_DEP_2)
	v_fma_f64 v[165:166], v[34:35], v[2:3], -v[159:160]
	v_fma_f64 v[167:168], v[36:37], v[2:3], v[4:5]
	ds_load_b128 v[2:5], v1 offset:1360
	s_wait_loadcnt_dscnt 0x901
	v_mul_f64_e32 v[163:164], v[151:152], v[8:9]
	v_mul_f64_e32 v[8:9], v[153:154], v[8:9]
	scratch_load_b128 v[34:37], off, off offset:672
	ds_load_b128 v[159:162], v1 offset:1376
	s_wait_loadcnt_dscnt 0x901
	v_mul_f64_e32 v[169:170], v[2:3], v[12:13]
	v_mul_f64_e32 v[12:13], v[4:5], v[12:13]
	v_fma_f64 v[153:154], v[153:154], v[6:7], v[163:164]
	v_fma_f64 v[151:152], v[151:152], v[6:7], -v[8:9]
	v_add_f64_e32 v[163:164], 0, v[165:166]
	v_add_f64_e32 v[165:166], 0, v[167:168]
	scratch_load_b128 v[6:9], off, off offset:688
	v_fma_f64 v[169:170], v[4:5], v[10:11], v[169:170]
	v_fma_f64 v[171:172], v[2:3], v[10:11], -v[12:13]
	ds_load_b128 v[2:5], v1 offset:1392
	s_wait_loadcnt_dscnt 0x901
	v_mul_f64_e32 v[167:168], v[159:160], v[16:17]
	v_mul_f64_e32 v[16:17], v[161:162], v[16:17]
	scratch_load_b128 v[10:13], off, off offset:704
	v_add_f64_e32 v[163:164], v[163:164], v[151:152]
	v_add_f64_e32 v[165:166], v[165:166], v[153:154]
	s_wait_loadcnt_dscnt 0x900
	v_mul_f64_e32 v[173:174], v[2:3], v[20:21]
	v_mul_f64_e32 v[20:21], v[4:5], v[20:21]
	ds_load_b128 v[151:154], v1 offset:1408
	v_fma_f64 v[161:162], v[161:162], v[14:15], v[167:168]
	v_fma_f64 v[159:160], v[159:160], v[14:15], -v[16:17]
	scratch_load_b128 v[14:17], off, off offset:720
	v_add_f64_e32 v[163:164], v[163:164], v[171:172]
	v_add_f64_e32 v[165:166], v[165:166], v[169:170]
	v_fma_f64 v[169:170], v[4:5], v[18:19], v[173:174]
	v_fma_f64 v[171:172], v[2:3], v[18:19], -v[20:21]
	ds_load_b128 v[2:5], v1 offset:1424
	s_wait_loadcnt_dscnt 0x901
	v_mul_f64_e32 v[167:168], v[151:152], v[24:25]
	v_mul_f64_e32 v[24:25], v[153:154], v[24:25]
	scratch_load_b128 v[18:21], off, off offset:736
	s_wait_loadcnt_dscnt 0x900
	v_mul_f64_e32 v[173:174], v[2:3], v[28:29]
	v_mul_f64_e32 v[28:29], v[4:5], v[28:29]
	v_add_f64_e32 v[163:164], v[163:164], v[159:160]
	v_add_f64_e32 v[165:166], v[165:166], v[161:162]
	ds_load_b128 v[159:162], v1 offset:1440
	v_fma_f64 v[153:154], v[153:154], v[22:23], v[167:168]
	v_fma_f64 v[151:152], v[151:152], v[22:23], -v[24:25]
	scratch_load_b128 v[22:25], off, off offset:752
	v_add_f64_e32 v[163:164], v[163:164], v[171:172]
	v_add_f64_e32 v[165:166], v[165:166], v[169:170]
	v_fma_f64 v[169:170], v[4:5], v[26:27], v[173:174]
	v_fma_f64 v[171:172], v[2:3], v[26:27], -v[28:29]
	ds_load_b128 v[2:5], v1 offset:1456
	s_wait_loadcnt_dscnt 0x901
	v_mul_f64_e32 v[167:168], v[159:160], v[32:33]
	v_mul_f64_e32 v[32:33], v[161:162], v[32:33]
	scratch_load_b128 v[26:29], off, off offset:768
	s_wait_loadcnt_dscnt 0x900
	v_mul_f64_e32 v[173:174], v[2:3], v[40:41]
	v_mul_f64_e32 v[40:41], v[4:5], v[40:41]
	v_add_f64_e32 v[163:164], v[163:164], v[151:152]
	v_add_f64_e32 v[165:166], v[165:166], v[153:154]
	ds_load_b128 v[151:154], v1 offset:1472
	v_fma_f64 v[161:162], v[161:162], v[30:31], v[167:168]
	v_fma_f64 v[159:160], v[159:160], v[30:31], -v[32:33]
	scratch_load_b128 v[30:33], off, off offset:784
	v_add_f64_e32 v[163:164], v[163:164], v[171:172]
	v_add_f64_e32 v[165:166], v[165:166], v[169:170]
	v_fma_f64 v[171:172], v[4:5], v[38:39], v[173:174]
	v_fma_f64 v[173:174], v[2:3], v[38:39], -v[40:41]
	ds_load_b128 v[2:5], v1 offset:1488
	s_wait_loadcnt_dscnt 0x801
	v_mul_f64_e32 v[167:168], v[151:152], v[157:158]
	v_mul_f64_e32 v[169:170], v[153:154], v[157:158]
	scratch_load_b128 v[38:41], off, off offset:800
	v_add_f64_e32 v[163:164], v[163:164], v[159:160]
	v_add_f64_e32 v[161:162], v[165:166], v[161:162]
	ds_load_b128 v[157:160], v1 offset:1504
	v_fma_f64 v[167:168], v[153:154], v[155:156], v[167:168]
	v_fma_f64 v[155:156], v[151:152], v[155:156], -v[169:170]
	scratch_load_b128 v[151:154], off, off offset:816
	s_wait_loadcnt_dscnt 0x901
	v_mul_f64_e32 v[165:166], v[2:3], v[36:37]
	v_mul_f64_e32 v[36:37], v[4:5], v[36:37]
	v_add_f64_e32 v[163:164], v[163:164], v[173:174]
	v_add_f64_e32 v[161:162], v[161:162], v[171:172]
	s_delay_alu instid0(VALU_DEP_4) | instskip(NEXT) | instid1(VALU_DEP_4)
	v_fma_f64 v[165:166], v[4:5], v[34:35], v[165:166]
	v_fma_f64 v[171:172], v[2:3], v[34:35], -v[36:37]
	ds_load_b128 v[2:5], v1 offset:1520
	s_wait_loadcnt_dscnt 0x801
	v_mul_f64_e32 v[169:170], v[157:158], v[8:9]
	v_mul_f64_e32 v[8:9], v[159:160], v[8:9]
	scratch_load_b128 v[34:37], off, off offset:832
	s_wait_loadcnt_dscnt 0x800
	v_mul_f64_e32 v[173:174], v[2:3], v[12:13]
	v_add_f64_e32 v[155:156], v[163:164], v[155:156]
	v_add_f64_e32 v[167:168], v[161:162], v[167:168]
	v_mul_f64_e32 v[12:13], v[4:5], v[12:13]
	ds_load_b128 v[161:164], v1 offset:1536
	v_fma_f64 v[159:160], v[159:160], v[6:7], v[169:170]
	v_fma_f64 v[6:7], v[157:158], v[6:7], -v[8:9]
	s_wait_loadcnt_dscnt 0x700
	v_mul_f64_e32 v[157:158], v[161:162], v[16:17]
	v_add_f64_e32 v[8:9], v[155:156], v[171:172]
	v_add_f64_e32 v[155:156], v[167:168], v[165:166]
	v_mul_f64_e32 v[16:17], v[163:164], v[16:17]
	v_fma_f64 v[165:166], v[4:5], v[10:11], v[173:174]
	v_fma_f64 v[10:11], v[2:3], v[10:11], -v[12:13]
	v_fma_f64 v[157:158], v[163:164], v[14:15], v[157:158]
	v_add_f64_e32 v[12:13], v[8:9], v[6:7]
	v_add_f64_e32 v[155:156], v[155:156], v[159:160]
	ds_load_b128 v[2:5], v1 offset:1552
	ds_load_b128 v[6:9], v1 offset:1568
	v_fma_f64 v[14:15], v[161:162], v[14:15], -v[16:17]
	s_wait_loadcnt_dscnt 0x601
	v_mul_f64_e32 v[159:160], v[2:3], v[20:21]
	v_mul_f64_e32 v[20:21], v[4:5], v[20:21]
	s_wait_loadcnt_dscnt 0x500
	v_mul_f64_e32 v[16:17], v[6:7], v[24:25]
	v_mul_f64_e32 v[24:25], v[8:9], v[24:25]
	v_add_f64_e32 v[10:11], v[12:13], v[10:11]
	v_add_f64_e32 v[12:13], v[155:156], v[165:166]
	v_fma_f64 v[155:156], v[4:5], v[18:19], v[159:160]
	v_fma_f64 v[18:19], v[2:3], v[18:19], -v[20:21]
	v_fma_f64 v[8:9], v[8:9], v[22:23], v[16:17]
	v_fma_f64 v[6:7], v[6:7], v[22:23], -v[24:25]
	v_add_f64_e32 v[14:15], v[10:11], v[14:15]
	v_add_f64_e32 v[20:21], v[12:13], v[157:158]
	ds_load_b128 v[2:5], v1 offset:1584
	ds_load_b128 v[10:13], v1 offset:1600
	s_wait_loadcnt_dscnt 0x401
	v_mul_f64_e32 v[157:158], v[2:3], v[28:29]
	v_mul_f64_e32 v[28:29], v[4:5], v[28:29]
	v_add_f64_e32 v[14:15], v[14:15], v[18:19]
	v_add_f64_e32 v[16:17], v[20:21], v[155:156]
	s_wait_loadcnt_dscnt 0x300
	v_mul_f64_e32 v[18:19], v[10:11], v[32:33]
	v_mul_f64_e32 v[20:21], v[12:13], v[32:33]
	v_fma_f64 v[22:23], v[4:5], v[26:27], v[157:158]
	v_fma_f64 v[24:25], v[2:3], v[26:27], -v[28:29]
	v_add_f64_e32 v[14:15], v[14:15], v[6:7]
	v_add_f64_e32 v[16:17], v[16:17], v[8:9]
	ds_load_b128 v[2:5], v1 offset:1616
	ds_load_b128 v[6:9], v1 offset:1632
	v_fma_f64 v[12:13], v[12:13], v[30:31], v[18:19]
	v_fma_f64 v[10:11], v[10:11], v[30:31], -v[20:21]
	s_wait_loadcnt_dscnt 0x201
	v_mul_f64_e32 v[26:27], v[2:3], v[40:41]
	v_mul_f64_e32 v[28:29], v[4:5], v[40:41]
	s_wait_loadcnt_dscnt 0x100
	v_mul_f64_e32 v[18:19], v[6:7], v[153:154]
	v_mul_f64_e32 v[20:21], v[8:9], v[153:154]
	v_add_f64_e32 v[14:15], v[14:15], v[24:25]
	v_add_f64_e32 v[16:17], v[16:17], v[22:23]
	v_fma_f64 v[22:23], v[4:5], v[38:39], v[26:27]
	v_fma_f64 v[24:25], v[2:3], v[38:39], -v[28:29]
	ds_load_b128 v[2:5], v1 offset:1648
	v_fma_f64 v[8:9], v[8:9], v[151:152], v[18:19]
	v_fma_f64 v[6:7], v[6:7], v[151:152], -v[20:21]
	v_add_f64_e32 v[10:11], v[14:15], v[10:11]
	v_add_f64_e32 v[12:13], v[16:17], v[12:13]
	s_wait_loadcnt_dscnt 0x0
	v_mul_f64_e32 v[14:15], v[2:3], v[36:37]
	v_mul_f64_e32 v[16:17], v[4:5], v[36:37]
	s_delay_alu instid0(VALU_DEP_4) | instskip(NEXT) | instid1(VALU_DEP_4)
	v_add_f64_e32 v[10:11], v[10:11], v[24:25]
	v_add_f64_e32 v[12:13], v[12:13], v[22:23]
	s_delay_alu instid0(VALU_DEP_4) | instskip(NEXT) | instid1(VALU_DEP_4)
	v_fma_f64 v[4:5], v[4:5], v[34:35], v[14:15]
	v_fma_f64 v[2:3], v[2:3], v[34:35], -v[16:17]
	s_delay_alu instid0(VALU_DEP_4) | instskip(NEXT) | instid1(VALU_DEP_4)
	v_add_f64_e32 v[6:7], v[10:11], v[6:7]
	v_add_f64_e32 v[8:9], v[12:13], v[8:9]
	s_delay_alu instid0(VALU_DEP_2) | instskip(NEXT) | instid1(VALU_DEP_2)
	v_add_f64_e32 v[2:3], v[6:7], v[2:3]
	v_add_f64_e32 v[4:5], v[8:9], v[4:5]
	s_delay_alu instid0(VALU_DEP_2) | instskip(NEXT) | instid1(VALU_DEP_2)
	v_add_f64_e64 v[2:3], v[42:43], -v[2:3]
	v_add_f64_e64 v[4:5], v[44:45], -v[4:5]
	scratch_store_b128 off, v[2:5], off offset:496
	v_cmpx_lt_u32_e32 29, v0
	s_cbranch_execz .LBB51_267
; %bb.266:
	scratch_load_b128 v[5:8], off, s23
	v_dual_mov_b32 v2, v1 :: v_dual_mov_b32 v3, v1
	v_mov_b32_e32 v4, v1
	scratch_store_b128 off, v[1:4], off offset:480
	s_wait_loadcnt 0x0
	ds_store_b128 v150, v[5:8]
.LBB51_267:
	s_wait_alu 0xfffe
	s_or_b32 exec_lo, exec_lo, s0
	s_wait_storecnt_dscnt 0x0
	s_barrier_signal -1
	s_barrier_wait -1
	global_inv scope:SCOPE_SE
	s_clause 0x8
	scratch_load_b128 v[2:5], off, off offset:496
	scratch_load_b128 v[6:9], off, off offset:512
	;; [unrolled: 1-line block ×9, first 2 shown]
	ds_load_b128 v[38:41], v1 offset:1312
	ds_load_b128 v[42:45], v1 offset:1328
	s_clause 0x1
	scratch_load_b128 v[151:154], off, off offset:480
	scratch_load_b128 v[155:158], off, off offset:640
	s_mov_b32 s0, exec_lo
	s_wait_loadcnt_dscnt 0xa01
	v_mul_f64_e32 v[159:160], v[40:41], v[4:5]
	v_mul_f64_e32 v[4:5], v[38:39], v[4:5]
	s_wait_loadcnt_dscnt 0x900
	v_mul_f64_e32 v[163:164], v[42:43], v[8:9]
	v_mul_f64_e32 v[8:9], v[44:45], v[8:9]
	s_delay_alu instid0(VALU_DEP_4) | instskip(NEXT) | instid1(VALU_DEP_4)
	v_fma_f64 v[165:166], v[38:39], v[2:3], -v[159:160]
	v_fma_f64 v[167:168], v[40:41], v[2:3], v[4:5]
	ds_load_b128 v[2:5], v1 offset:1344
	ds_load_b128 v[159:162], v1 offset:1360
	scratch_load_b128 v[38:41], off, off offset:656
	v_fma_f64 v[44:45], v[44:45], v[6:7], v[163:164]
	v_fma_f64 v[42:43], v[42:43], v[6:7], -v[8:9]
	scratch_load_b128 v[6:9], off, off offset:672
	s_wait_loadcnt_dscnt 0xa01
	v_mul_f64_e32 v[169:170], v[2:3], v[12:13]
	v_mul_f64_e32 v[12:13], v[4:5], v[12:13]
	v_add_f64_e32 v[163:164], 0, v[165:166]
	v_add_f64_e32 v[165:166], 0, v[167:168]
	s_wait_loadcnt_dscnt 0x900
	v_mul_f64_e32 v[167:168], v[159:160], v[16:17]
	v_mul_f64_e32 v[16:17], v[161:162], v[16:17]
	v_fma_f64 v[169:170], v[4:5], v[10:11], v[169:170]
	v_fma_f64 v[171:172], v[2:3], v[10:11], -v[12:13]
	ds_load_b128 v[2:5], v1 offset:1376
	scratch_load_b128 v[10:13], off, off offset:688
	v_add_f64_e32 v[163:164], v[163:164], v[42:43]
	v_add_f64_e32 v[165:166], v[165:166], v[44:45]
	ds_load_b128 v[42:45], v1 offset:1392
	v_fma_f64 v[161:162], v[161:162], v[14:15], v[167:168]
	v_fma_f64 v[159:160], v[159:160], v[14:15], -v[16:17]
	scratch_load_b128 v[14:17], off, off offset:704
	s_wait_loadcnt_dscnt 0xa01
	v_mul_f64_e32 v[173:174], v[2:3], v[20:21]
	v_mul_f64_e32 v[20:21], v[4:5], v[20:21]
	s_wait_loadcnt_dscnt 0x900
	v_mul_f64_e32 v[167:168], v[42:43], v[24:25]
	v_mul_f64_e32 v[24:25], v[44:45], v[24:25]
	v_add_f64_e32 v[163:164], v[163:164], v[171:172]
	v_add_f64_e32 v[165:166], v[165:166], v[169:170]
	v_fma_f64 v[169:170], v[4:5], v[18:19], v[173:174]
	v_fma_f64 v[171:172], v[2:3], v[18:19], -v[20:21]
	ds_load_b128 v[2:5], v1 offset:1408
	scratch_load_b128 v[18:21], off, off offset:720
	v_fma_f64 v[44:45], v[44:45], v[22:23], v[167:168]
	v_fma_f64 v[42:43], v[42:43], v[22:23], -v[24:25]
	scratch_load_b128 v[22:25], off, off offset:736
	v_add_f64_e32 v[163:164], v[163:164], v[159:160]
	v_add_f64_e32 v[165:166], v[165:166], v[161:162]
	ds_load_b128 v[159:162], v1 offset:1424
	s_wait_loadcnt_dscnt 0xa01
	v_mul_f64_e32 v[173:174], v[2:3], v[28:29]
	v_mul_f64_e32 v[28:29], v[4:5], v[28:29]
	s_wait_loadcnt_dscnt 0x900
	v_mul_f64_e32 v[167:168], v[159:160], v[32:33]
	v_mul_f64_e32 v[32:33], v[161:162], v[32:33]
	v_add_f64_e32 v[163:164], v[163:164], v[171:172]
	v_add_f64_e32 v[165:166], v[165:166], v[169:170]
	v_fma_f64 v[169:170], v[4:5], v[26:27], v[173:174]
	v_fma_f64 v[171:172], v[2:3], v[26:27], -v[28:29]
	ds_load_b128 v[2:5], v1 offset:1440
	scratch_load_b128 v[26:29], off, off offset:752
	v_fma_f64 v[161:162], v[161:162], v[30:31], v[167:168]
	v_fma_f64 v[159:160], v[159:160], v[30:31], -v[32:33]
	scratch_load_b128 v[30:33], off, off offset:768
	v_add_f64_e32 v[163:164], v[163:164], v[42:43]
	v_add_f64_e32 v[165:166], v[165:166], v[44:45]
	ds_load_b128 v[42:45], v1 offset:1456
	s_wait_loadcnt_dscnt 0xa01
	v_mul_f64_e32 v[173:174], v[2:3], v[36:37]
	v_mul_f64_e32 v[36:37], v[4:5], v[36:37]
	s_wait_loadcnt_dscnt 0x800
	v_mul_f64_e32 v[167:168], v[42:43], v[157:158]
	v_add_f64_e32 v[163:164], v[163:164], v[171:172]
	v_add_f64_e32 v[165:166], v[165:166], v[169:170]
	v_mul_f64_e32 v[169:170], v[44:45], v[157:158]
	v_fma_f64 v[171:172], v[4:5], v[34:35], v[173:174]
	v_fma_f64 v[173:174], v[2:3], v[34:35], -v[36:37]
	ds_load_b128 v[2:5], v1 offset:1472
	scratch_load_b128 v[34:37], off, off offset:784
	v_fma_f64 v[44:45], v[44:45], v[155:156], v[167:168]
	v_add_f64_e32 v[163:164], v[163:164], v[159:160]
	v_add_f64_e32 v[161:162], v[165:166], v[161:162]
	ds_load_b128 v[157:160], v1 offset:1488
	v_fma_f64 v[155:156], v[42:43], v[155:156], -v[169:170]
	s_wait_loadcnt_dscnt 0x801
	v_mul_f64_e32 v[165:166], v[2:3], v[40:41]
	v_mul_f64_e32 v[175:176], v[4:5], v[40:41]
	scratch_load_b128 v[40:43], off, off offset:800
	s_wait_loadcnt_dscnt 0x800
	v_mul_f64_e32 v[169:170], v[157:158], v[8:9]
	v_mul_f64_e32 v[8:9], v[159:160], v[8:9]
	v_add_f64_e32 v[163:164], v[163:164], v[173:174]
	v_add_f64_e32 v[161:162], v[161:162], v[171:172]
	v_fma_f64 v[171:172], v[4:5], v[38:39], v[165:166]
	v_fma_f64 v[38:39], v[2:3], v[38:39], -v[175:176]
	ds_load_b128 v[2:5], v1 offset:1504
	ds_load_b128 v[165:168], v1 offset:1520
	v_fma_f64 v[159:160], v[159:160], v[6:7], v[169:170]
	v_fma_f64 v[157:158], v[157:158], v[6:7], -v[8:9]
	scratch_load_b128 v[6:9], off, off offset:832
	v_add_f64_e32 v[155:156], v[163:164], v[155:156]
	v_add_f64_e32 v[44:45], v[161:162], v[44:45]
	scratch_load_b128 v[161:164], off, off offset:816
	s_wait_loadcnt_dscnt 0x901
	v_mul_f64_e32 v[173:174], v[2:3], v[12:13]
	v_mul_f64_e32 v[12:13], v[4:5], v[12:13]
	v_add_f64_e32 v[38:39], v[155:156], v[38:39]
	v_add_f64_e32 v[44:45], v[44:45], v[171:172]
	s_wait_loadcnt_dscnt 0x800
	v_mul_f64_e32 v[155:156], v[165:166], v[16:17]
	v_mul_f64_e32 v[16:17], v[167:168], v[16:17]
	v_fma_f64 v[169:170], v[4:5], v[10:11], v[173:174]
	v_fma_f64 v[171:172], v[2:3], v[10:11], -v[12:13]
	ds_load_b128 v[2:5], v1 offset:1536
	ds_load_b128 v[10:13], v1 offset:1552
	v_add_f64_e32 v[38:39], v[38:39], v[157:158]
	v_add_f64_e32 v[44:45], v[44:45], v[159:160]
	s_wait_loadcnt_dscnt 0x701
	v_mul_f64_e32 v[157:158], v[2:3], v[20:21]
	v_mul_f64_e32 v[20:21], v[4:5], v[20:21]
	v_fma_f64 v[155:156], v[167:168], v[14:15], v[155:156]
	v_fma_f64 v[14:15], v[165:166], v[14:15], -v[16:17]
	v_add_f64_e32 v[16:17], v[38:39], v[171:172]
	v_add_f64_e32 v[38:39], v[44:45], v[169:170]
	s_wait_loadcnt_dscnt 0x600
	v_mul_f64_e32 v[44:45], v[10:11], v[24:25]
	v_mul_f64_e32 v[24:25], v[12:13], v[24:25]
	v_fma_f64 v[157:158], v[4:5], v[18:19], v[157:158]
	v_fma_f64 v[18:19], v[2:3], v[18:19], -v[20:21]
	v_add_f64_e32 v[20:21], v[16:17], v[14:15]
	v_add_f64_e32 v[38:39], v[38:39], v[155:156]
	ds_load_b128 v[2:5], v1 offset:1568
	ds_load_b128 v[14:17], v1 offset:1584
	v_fma_f64 v[12:13], v[12:13], v[22:23], v[44:45]
	v_fma_f64 v[10:11], v[10:11], v[22:23], -v[24:25]
	s_wait_loadcnt_dscnt 0x501
	v_mul_f64_e32 v[155:156], v[2:3], v[28:29]
	v_mul_f64_e32 v[28:29], v[4:5], v[28:29]
	s_wait_loadcnt_dscnt 0x400
	v_mul_f64_e32 v[22:23], v[14:15], v[32:33]
	v_mul_f64_e32 v[24:25], v[16:17], v[32:33]
	v_add_f64_e32 v[18:19], v[20:21], v[18:19]
	v_add_f64_e32 v[20:21], v[38:39], v[157:158]
	v_fma_f64 v[32:33], v[4:5], v[26:27], v[155:156]
	v_fma_f64 v[26:27], v[2:3], v[26:27], -v[28:29]
	v_fma_f64 v[16:17], v[16:17], v[30:31], v[22:23]
	v_fma_f64 v[14:15], v[14:15], v[30:31], -v[24:25]
	v_add_f64_e32 v[18:19], v[18:19], v[10:11]
	v_add_f64_e32 v[20:21], v[20:21], v[12:13]
	ds_load_b128 v[2:5], v1 offset:1600
	ds_load_b128 v[10:13], v1 offset:1616
	s_wait_loadcnt_dscnt 0x301
	v_mul_f64_e32 v[28:29], v[2:3], v[36:37]
	v_mul_f64_e32 v[36:37], v[4:5], v[36:37]
	s_wait_loadcnt_dscnt 0x200
	v_mul_f64_e32 v[22:23], v[10:11], v[42:43]
	v_add_f64_e32 v[18:19], v[18:19], v[26:27]
	v_add_f64_e32 v[20:21], v[20:21], v[32:33]
	v_mul_f64_e32 v[24:25], v[12:13], v[42:43]
	v_fma_f64 v[26:27], v[4:5], v[34:35], v[28:29]
	v_fma_f64 v[28:29], v[2:3], v[34:35], -v[36:37]
	v_fma_f64 v[12:13], v[12:13], v[40:41], v[22:23]
	v_add_f64_e32 v[18:19], v[18:19], v[14:15]
	v_add_f64_e32 v[20:21], v[20:21], v[16:17]
	ds_load_b128 v[2:5], v1 offset:1632
	ds_load_b128 v[14:17], v1 offset:1648
	v_fma_f64 v[10:11], v[10:11], v[40:41], -v[24:25]
	s_wait_loadcnt_dscnt 0x1
	v_mul_f64_e32 v[30:31], v[2:3], v[163:164]
	v_mul_f64_e32 v[32:33], v[4:5], v[163:164]
	s_wait_dscnt 0x0
	v_mul_f64_e32 v[22:23], v[14:15], v[8:9]
	v_mul_f64_e32 v[8:9], v[16:17], v[8:9]
	v_add_f64_e32 v[18:19], v[18:19], v[28:29]
	v_add_f64_e32 v[20:21], v[20:21], v[26:27]
	v_fma_f64 v[4:5], v[4:5], v[161:162], v[30:31]
	v_fma_f64 v[1:2], v[2:3], v[161:162], -v[32:33]
	v_fma_f64 v[16:17], v[16:17], v[6:7], v[22:23]
	v_fma_f64 v[6:7], v[14:15], v[6:7], -v[8:9]
	v_add_f64_e32 v[10:11], v[18:19], v[10:11]
	v_add_f64_e32 v[12:13], v[20:21], v[12:13]
	s_delay_alu instid0(VALU_DEP_2) | instskip(NEXT) | instid1(VALU_DEP_2)
	v_add_f64_e32 v[1:2], v[10:11], v[1:2]
	v_add_f64_e32 v[3:4], v[12:13], v[4:5]
	s_delay_alu instid0(VALU_DEP_2) | instskip(NEXT) | instid1(VALU_DEP_2)
	v_add_f64_e32 v[1:2], v[1:2], v[6:7]
	v_add_f64_e32 v[3:4], v[3:4], v[16:17]
	s_delay_alu instid0(VALU_DEP_2) | instskip(NEXT) | instid1(VALU_DEP_2)
	v_add_f64_e64 v[1:2], v[151:152], -v[1:2]
	v_add_f64_e64 v[3:4], v[153:154], -v[3:4]
	scratch_store_b128 off, v[1:4], off offset:480
	v_cmpx_lt_u32_e32 28, v0
	s_cbranch_execz .LBB51_269
; %bb.268:
	scratch_load_b128 v[1:4], off, s26
	v_mov_b32_e32 v5, 0
	s_delay_alu instid0(VALU_DEP_1)
	v_dual_mov_b32 v6, v5 :: v_dual_mov_b32 v7, v5
	v_mov_b32_e32 v8, v5
	scratch_store_b128 off, v[5:8], off offset:464
	s_wait_loadcnt 0x0
	ds_store_b128 v150, v[1:4]
.LBB51_269:
	s_wait_alu 0xfffe
	s_or_b32 exec_lo, exec_lo, s0
	s_wait_storecnt_dscnt 0x0
	s_barrier_signal -1
	s_barrier_wait -1
	global_inv scope:SCOPE_SE
	s_clause 0x7
	scratch_load_b128 v[2:5], off, off offset:480
	scratch_load_b128 v[6:9], off, off offset:496
	;; [unrolled: 1-line block ×8, first 2 shown]
	v_mov_b32_e32 v1, 0
	s_mov_b32 s0, exec_lo
	ds_load_b128 v[34:37], v1 offset:1296
	s_clause 0x1
	scratch_load_b128 v[38:41], off, off offset:608
	scratch_load_b128 v[42:45], off, off offset:464
	ds_load_b128 v[151:154], v1 offset:1312
	scratch_load_b128 v[155:158], off, off offset:624
	s_wait_loadcnt_dscnt 0xa01
	v_mul_f64_e32 v[159:160], v[36:37], v[4:5]
	v_mul_f64_e32 v[4:5], v[34:35], v[4:5]
	s_delay_alu instid0(VALU_DEP_2) | instskip(NEXT) | instid1(VALU_DEP_2)
	v_fma_f64 v[165:166], v[34:35], v[2:3], -v[159:160]
	v_fma_f64 v[167:168], v[36:37], v[2:3], v[4:5]
	ds_load_b128 v[2:5], v1 offset:1328
	s_wait_loadcnt_dscnt 0x901
	v_mul_f64_e32 v[163:164], v[151:152], v[8:9]
	v_mul_f64_e32 v[8:9], v[153:154], v[8:9]
	scratch_load_b128 v[34:37], off, off offset:640
	ds_load_b128 v[159:162], v1 offset:1344
	s_wait_loadcnt_dscnt 0x901
	v_mul_f64_e32 v[169:170], v[2:3], v[12:13]
	v_mul_f64_e32 v[12:13], v[4:5], v[12:13]
	v_fma_f64 v[153:154], v[153:154], v[6:7], v[163:164]
	v_fma_f64 v[151:152], v[151:152], v[6:7], -v[8:9]
	v_add_f64_e32 v[163:164], 0, v[165:166]
	v_add_f64_e32 v[165:166], 0, v[167:168]
	scratch_load_b128 v[6:9], off, off offset:656
	v_fma_f64 v[169:170], v[4:5], v[10:11], v[169:170]
	v_fma_f64 v[171:172], v[2:3], v[10:11], -v[12:13]
	ds_load_b128 v[2:5], v1 offset:1360
	s_wait_loadcnt_dscnt 0x901
	v_mul_f64_e32 v[167:168], v[159:160], v[16:17]
	v_mul_f64_e32 v[16:17], v[161:162], v[16:17]
	scratch_load_b128 v[10:13], off, off offset:672
	v_add_f64_e32 v[163:164], v[163:164], v[151:152]
	v_add_f64_e32 v[165:166], v[165:166], v[153:154]
	s_wait_loadcnt_dscnt 0x900
	v_mul_f64_e32 v[173:174], v[2:3], v[20:21]
	v_mul_f64_e32 v[20:21], v[4:5], v[20:21]
	ds_load_b128 v[151:154], v1 offset:1376
	v_fma_f64 v[161:162], v[161:162], v[14:15], v[167:168]
	v_fma_f64 v[159:160], v[159:160], v[14:15], -v[16:17]
	scratch_load_b128 v[14:17], off, off offset:688
	v_add_f64_e32 v[163:164], v[163:164], v[171:172]
	v_add_f64_e32 v[165:166], v[165:166], v[169:170]
	v_fma_f64 v[169:170], v[4:5], v[18:19], v[173:174]
	v_fma_f64 v[171:172], v[2:3], v[18:19], -v[20:21]
	ds_load_b128 v[2:5], v1 offset:1392
	s_wait_loadcnt_dscnt 0x901
	v_mul_f64_e32 v[167:168], v[151:152], v[24:25]
	v_mul_f64_e32 v[24:25], v[153:154], v[24:25]
	scratch_load_b128 v[18:21], off, off offset:704
	s_wait_loadcnt_dscnt 0x900
	v_mul_f64_e32 v[173:174], v[2:3], v[28:29]
	v_mul_f64_e32 v[28:29], v[4:5], v[28:29]
	v_add_f64_e32 v[163:164], v[163:164], v[159:160]
	v_add_f64_e32 v[165:166], v[165:166], v[161:162]
	ds_load_b128 v[159:162], v1 offset:1408
	v_fma_f64 v[153:154], v[153:154], v[22:23], v[167:168]
	v_fma_f64 v[151:152], v[151:152], v[22:23], -v[24:25]
	scratch_load_b128 v[22:25], off, off offset:720
	v_add_f64_e32 v[163:164], v[163:164], v[171:172]
	v_add_f64_e32 v[165:166], v[165:166], v[169:170]
	v_fma_f64 v[169:170], v[4:5], v[26:27], v[173:174]
	v_fma_f64 v[171:172], v[2:3], v[26:27], -v[28:29]
	ds_load_b128 v[2:5], v1 offset:1424
	s_wait_loadcnt_dscnt 0x901
	v_mul_f64_e32 v[167:168], v[159:160], v[32:33]
	v_mul_f64_e32 v[32:33], v[161:162], v[32:33]
	scratch_load_b128 v[26:29], off, off offset:736
	s_wait_loadcnt_dscnt 0x900
	v_mul_f64_e32 v[173:174], v[2:3], v[40:41]
	v_mul_f64_e32 v[40:41], v[4:5], v[40:41]
	v_add_f64_e32 v[163:164], v[163:164], v[151:152]
	v_add_f64_e32 v[165:166], v[165:166], v[153:154]
	ds_load_b128 v[151:154], v1 offset:1440
	v_fma_f64 v[161:162], v[161:162], v[30:31], v[167:168]
	v_fma_f64 v[159:160], v[159:160], v[30:31], -v[32:33]
	scratch_load_b128 v[30:33], off, off offset:752
	v_add_f64_e32 v[163:164], v[163:164], v[171:172]
	v_add_f64_e32 v[165:166], v[165:166], v[169:170]
	v_fma_f64 v[171:172], v[4:5], v[38:39], v[173:174]
	v_fma_f64 v[173:174], v[2:3], v[38:39], -v[40:41]
	ds_load_b128 v[2:5], v1 offset:1456
	s_wait_loadcnt_dscnt 0x801
	v_mul_f64_e32 v[167:168], v[151:152], v[157:158]
	v_mul_f64_e32 v[169:170], v[153:154], v[157:158]
	scratch_load_b128 v[38:41], off, off offset:768
	v_add_f64_e32 v[163:164], v[163:164], v[159:160]
	v_add_f64_e32 v[161:162], v[165:166], v[161:162]
	ds_load_b128 v[157:160], v1 offset:1472
	v_fma_f64 v[167:168], v[153:154], v[155:156], v[167:168]
	v_fma_f64 v[155:156], v[151:152], v[155:156], -v[169:170]
	scratch_load_b128 v[151:154], off, off offset:784
	s_wait_loadcnt_dscnt 0x901
	v_mul_f64_e32 v[165:166], v[2:3], v[36:37]
	v_mul_f64_e32 v[36:37], v[4:5], v[36:37]
	v_add_f64_e32 v[163:164], v[163:164], v[173:174]
	v_add_f64_e32 v[161:162], v[161:162], v[171:172]
	s_delay_alu instid0(VALU_DEP_4) | instskip(NEXT) | instid1(VALU_DEP_4)
	v_fma_f64 v[165:166], v[4:5], v[34:35], v[165:166]
	v_fma_f64 v[171:172], v[2:3], v[34:35], -v[36:37]
	ds_load_b128 v[2:5], v1 offset:1488
	s_wait_loadcnt_dscnt 0x801
	v_mul_f64_e32 v[169:170], v[157:158], v[8:9]
	v_mul_f64_e32 v[8:9], v[159:160], v[8:9]
	scratch_load_b128 v[34:37], off, off offset:800
	s_wait_loadcnt_dscnt 0x800
	v_mul_f64_e32 v[173:174], v[2:3], v[12:13]
	v_add_f64_e32 v[155:156], v[163:164], v[155:156]
	v_add_f64_e32 v[167:168], v[161:162], v[167:168]
	v_mul_f64_e32 v[12:13], v[4:5], v[12:13]
	ds_load_b128 v[161:164], v1 offset:1504
	v_fma_f64 v[159:160], v[159:160], v[6:7], v[169:170]
	v_fma_f64 v[157:158], v[157:158], v[6:7], -v[8:9]
	scratch_load_b128 v[6:9], off, off offset:816
	v_fma_f64 v[169:170], v[4:5], v[10:11], v[173:174]
	v_add_f64_e32 v[155:156], v[155:156], v[171:172]
	v_add_f64_e32 v[165:166], v[167:168], v[165:166]
	v_fma_f64 v[171:172], v[2:3], v[10:11], -v[12:13]
	ds_load_b128 v[2:5], v1 offset:1520
	s_wait_loadcnt_dscnt 0x801
	v_mul_f64_e32 v[167:168], v[161:162], v[16:17]
	v_mul_f64_e32 v[16:17], v[163:164], v[16:17]
	scratch_load_b128 v[10:13], off, off offset:832
	v_add_f64_e32 v[173:174], v[155:156], v[157:158]
	v_add_f64_e32 v[159:160], v[165:166], v[159:160]
	s_wait_loadcnt_dscnt 0x800
	v_mul_f64_e32 v[165:166], v[2:3], v[20:21]
	v_mul_f64_e32 v[20:21], v[4:5], v[20:21]
	v_fma_f64 v[163:164], v[163:164], v[14:15], v[167:168]
	v_fma_f64 v[14:15], v[161:162], v[14:15], -v[16:17]
	ds_load_b128 v[155:158], v1 offset:1536
	s_wait_loadcnt_dscnt 0x700
	v_mul_f64_e32 v[161:162], v[155:156], v[24:25]
	v_mul_f64_e32 v[24:25], v[157:158], v[24:25]
	v_add_f64_e32 v[16:17], v[173:174], v[171:172]
	v_add_f64_e32 v[159:160], v[159:160], v[169:170]
	v_fma_f64 v[165:166], v[4:5], v[18:19], v[165:166]
	v_fma_f64 v[18:19], v[2:3], v[18:19], -v[20:21]
	v_fma_f64 v[157:158], v[157:158], v[22:23], v[161:162]
	v_fma_f64 v[22:23], v[155:156], v[22:23], -v[24:25]
	v_add_f64_e32 v[20:21], v[16:17], v[14:15]
	v_add_f64_e32 v[159:160], v[159:160], v[163:164]
	ds_load_b128 v[2:5], v1 offset:1552
	ds_load_b128 v[14:17], v1 offset:1568
	s_wait_loadcnt_dscnt 0x601
	v_mul_f64_e32 v[163:164], v[2:3], v[28:29]
	v_mul_f64_e32 v[28:29], v[4:5], v[28:29]
	s_wait_loadcnt_dscnt 0x500
	v_mul_f64_e32 v[24:25], v[14:15], v[32:33]
	v_mul_f64_e32 v[32:33], v[16:17], v[32:33]
	v_add_f64_e32 v[18:19], v[20:21], v[18:19]
	v_add_f64_e32 v[20:21], v[159:160], v[165:166]
	v_fma_f64 v[155:156], v[4:5], v[26:27], v[163:164]
	v_fma_f64 v[26:27], v[2:3], v[26:27], -v[28:29]
	v_fma_f64 v[16:17], v[16:17], v[30:31], v[24:25]
	v_fma_f64 v[14:15], v[14:15], v[30:31], -v[32:33]
	v_add_f64_e32 v[22:23], v[18:19], v[22:23]
	v_add_f64_e32 v[28:29], v[20:21], v[157:158]
	ds_load_b128 v[2:5], v1 offset:1584
	ds_load_b128 v[18:21], v1 offset:1600
	s_wait_loadcnt_dscnt 0x401
	v_mul_f64_e32 v[157:158], v[2:3], v[40:41]
	v_mul_f64_e32 v[40:41], v[4:5], v[40:41]
	v_add_f64_e32 v[22:23], v[22:23], v[26:27]
	v_add_f64_e32 v[24:25], v[28:29], v[155:156]
	s_wait_loadcnt_dscnt 0x300
	v_mul_f64_e32 v[26:27], v[18:19], v[153:154]
	v_mul_f64_e32 v[28:29], v[20:21], v[153:154]
	v_fma_f64 v[30:31], v[4:5], v[38:39], v[157:158]
	v_fma_f64 v[32:33], v[2:3], v[38:39], -v[40:41]
	v_add_f64_e32 v[22:23], v[22:23], v[14:15]
	v_add_f64_e32 v[24:25], v[24:25], v[16:17]
	ds_load_b128 v[2:5], v1 offset:1616
	ds_load_b128 v[14:17], v1 offset:1632
	v_fma_f64 v[20:21], v[20:21], v[151:152], v[26:27]
	v_fma_f64 v[18:19], v[18:19], v[151:152], -v[28:29]
	s_wait_loadcnt_dscnt 0x201
	v_mul_f64_e32 v[38:39], v[2:3], v[36:37]
	v_mul_f64_e32 v[36:37], v[4:5], v[36:37]
	s_wait_loadcnt_dscnt 0x100
	v_mul_f64_e32 v[26:27], v[14:15], v[8:9]
	v_mul_f64_e32 v[8:9], v[16:17], v[8:9]
	v_add_f64_e32 v[22:23], v[22:23], v[32:33]
	v_add_f64_e32 v[24:25], v[24:25], v[30:31]
	v_fma_f64 v[28:29], v[4:5], v[34:35], v[38:39]
	v_fma_f64 v[30:31], v[2:3], v[34:35], -v[36:37]
	ds_load_b128 v[2:5], v1 offset:1648
	v_fma_f64 v[16:17], v[16:17], v[6:7], v[26:27]
	v_fma_f64 v[6:7], v[14:15], v[6:7], -v[8:9]
	v_add_f64_e32 v[18:19], v[22:23], v[18:19]
	v_add_f64_e32 v[20:21], v[24:25], v[20:21]
	s_wait_loadcnt_dscnt 0x0
	v_mul_f64_e32 v[22:23], v[2:3], v[12:13]
	v_mul_f64_e32 v[12:13], v[4:5], v[12:13]
	s_delay_alu instid0(VALU_DEP_4) | instskip(NEXT) | instid1(VALU_DEP_4)
	v_add_f64_e32 v[8:9], v[18:19], v[30:31]
	v_add_f64_e32 v[14:15], v[20:21], v[28:29]
	s_delay_alu instid0(VALU_DEP_4) | instskip(NEXT) | instid1(VALU_DEP_4)
	v_fma_f64 v[4:5], v[4:5], v[10:11], v[22:23]
	v_fma_f64 v[2:3], v[2:3], v[10:11], -v[12:13]
	s_delay_alu instid0(VALU_DEP_4) | instskip(NEXT) | instid1(VALU_DEP_4)
	v_add_f64_e32 v[6:7], v[8:9], v[6:7]
	v_add_f64_e32 v[8:9], v[14:15], v[16:17]
	s_delay_alu instid0(VALU_DEP_2) | instskip(NEXT) | instid1(VALU_DEP_2)
	v_add_f64_e32 v[2:3], v[6:7], v[2:3]
	v_add_f64_e32 v[4:5], v[8:9], v[4:5]
	s_delay_alu instid0(VALU_DEP_2) | instskip(NEXT) | instid1(VALU_DEP_2)
	v_add_f64_e64 v[2:3], v[42:43], -v[2:3]
	v_add_f64_e64 v[4:5], v[44:45], -v[4:5]
	scratch_store_b128 off, v[2:5], off offset:464
	v_cmpx_lt_u32_e32 27, v0
	s_cbranch_execz .LBB51_271
; %bb.270:
	scratch_load_b128 v[5:8], off, s25
	v_dual_mov_b32 v2, v1 :: v_dual_mov_b32 v3, v1
	v_mov_b32_e32 v4, v1
	scratch_store_b128 off, v[1:4], off offset:448
	s_wait_loadcnt 0x0
	ds_store_b128 v150, v[5:8]
.LBB51_271:
	s_wait_alu 0xfffe
	s_or_b32 exec_lo, exec_lo, s0
	s_wait_storecnt_dscnt 0x0
	s_barrier_signal -1
	s_barrier_wait -1
	global_inv scope:SCOPE_SE
	s_clause 0x8
	scratch_load_b128 v[2:5], off, off offset:464
	scratch_load_b128 v[6:9], off, off offset:480
	;; [unrolled: 1-line block ×9, first 2 shown]
	ds_load_b128 v[38:41], v1 offset:1280
	ds_load_b128 v[42:45], v1 offset:1296
	s_clause 0x1
	scratch_load_b128 v[151:154], off, off offset:448
	scratch_load_b128 v[155:158], off, off offset:608
	s_mov_b32 s0, exec_lo
	s_wait_loadcnt_dscnt 0xa01
	v_mul_f64_e32 v[159:160], v[40:41], v[4:5]
	v_mul_f64_e32 v[4:5], v[38:39], v[4:5]
	s_wait_loadcnt_dscnt 0x900
	v_mul_f64_e32 v[163:164], v[42:43], v[8:9]
	v_mul_f64_e32 v[8:9], v[44:45], v[8:9]
	s_delay_alu instid0(VALU_DEP_4) | instskip(NEXT) | instid1(VALU_DEP_4)
	v_fma_f64 v[165:166], v[38:39], v[2:3], -v[159:160]
	v_fma_f64 v[167:168], v[40:41], v[2:3], v[4:5]
	ds_load_b128 v[2:5], v1 offset:1312
	ds_load_b128 v[159:162], v1 offset:1328
	scratch_load_b128 v[38:41], off, off offset:624
	v_fma_f64 v[44:45], v[44:45], v[6:7], v[163:164]
	v_fma_f64 v[42:43], v[42:43], v[6:7], -v[8:9]
	scratch_load_b128 v[6:9], off, off offset:640
	s_wait_loadcnt_dscnt 0xa01
	v_mul_f64_e32 v[169:170], v[2:3], v[12:13]
	v_mul_f64_e32 v[12:13], v[4:5], v[12:13]
	v_add_f64_e32 v[163:164], 0, v[165:166]
	v_add_f64_e32 v[165:166], 0, v[167:168]
	s_wait_loadcnt_dscnt 0x900
	v_mul_f64_e32 v[167:168], v[159:160], v[16:17]
	v_mul_f64_e32 v[16:17], v[161:162], v[16:17]
	v_fma_f64 v[169:170], v[4:5], v[10:11], v[169:170]
	v_fma_f64 v[171:172], v[2:3], v[10:11], -v[12:13]
	ds_load_b128 v[2:5], v1 offset:1344
	scratch_load_b128 v[10:13], off, off offset:656
	v_add_f64_e32 v[163:164], v[163:164], v[42:43]
	v_add_f64_e32 v[165:166], v[165:166], v[44:45]
	ds_load_b128 v[42:45], v1 offset:1360
	v_fma_f64 v[161:162], v[161:162], v[14:15], v[167:168]
	v_fma_f64 v[159:160], v[159:160], v[14:15], -v[16:17]
	scratch_load_b128 v[14:17], off, off offset:672
	s_wait_loadcnt_dscnt 0xa01
	v_mul_f64_e32 v[173:174], v[2:3], v[20:21]
	v_mul_f64_e32 v[20:21], v[4:5], v[20:21]
	s_wait_loadcnt_dscnt 0x900
	v_mul_f64_e32 v[167:168], v[42:43], v[24:25]
	v_mul_f64_e32 v[24:25], v[44:45], v[24:25]
	v_add_f64_e32 v[163:164], v[163:164], v[171:172]
	v_add_f64_e32 v[165:166], v[165:166], v[169:170]
	v_fma_f64 v[169:170], v[4:5], v[18:19], v[173:174]
	v_fma_f64 v[171:172], v[2:3], v[18:19], -v[20:21]
	ds_load_b128 v[2:5], v1 offset:1376
	scratch_load_b128 v[18:21], off, off offset:688
	v_fma_f64 v[44:45], v[44:45], v[22:23], v[167:168]
	v_fma_f64 v[42:43], v[42:43], v[22:23], -v[24:25]
	scratch_load_b128 v[22:25], off, off offset:704
	v_add_f64_e32 v[163:164], v[163:164], v[159:160]
	v_add_f64_e32 v[165:166], v[165:166], v[161:162]
	ds_load_b128 v[159:162], v1 offset:1392
	s_wait_loadcnt_dscnt 0xa01
	v_mul_f64_e32 v[173:174], v[2:3], v[28:29]
	v_mul_f64_e32 v[28:29], v[4:5], v[28:29]
	s_wait_loadcnt_dscnt 0x900
	v_mul_f64_e32 v[167:168], v[159:160], v[32:33]
	v_mul_f64_e32 v[32:33], v[161:162], v[32:33]
	v_add_f64_e32 v[163:164], v[163:164], v[171:172]
	v_add_f64_e32 v[165:166], v[165:166], v[169:170]
	v_fma_f64 v[169:170], v[4:5], v[26:27], v[173:174]
	v_fma_f64 v[171:172], v[2:3], v[26:27], -v[28:29]
	ds_load_b128 v[2:5], v1 offset:1408
	scratch_load_b128 v[26:29], off, off offset:720
	v_fma_f64 v[161:162], v[161:162], v[30:31], v[167:168]
	v_fma_f64 v[159:160], v[159:160], v[30:31], -v[32:33]
	scratch_load_b128 v[30:33], off, off offset:736
	v_add_f64_e32 v[163:164], v[163:164], v[42:43]
	v_add_f64_e32 v[165:166], v[165:166], v[44:45]
	ds_load_b128 v[42:45], v1 offset:1424
	s_wait_loadcnt_dscnt 0xa01
	v_mul_f64_e32 v[173:174], v[2:3], v[36:37]
	v_mul_f64_e32 v[36:37], v[4:5], v[36:37]
	s_wait_loadcnt_dscnt 0x800
	v_mul_f64_e32 v[167:168], v[42:43], v[157:158]
	v_add_f64_e32 v[163:164], v[163:164], v[171:172]
	v_add_f64_e32 v[165:166], v[165:166], v[169:170]
	v_mul_f64_e32 v[169:170], v[44:45], v[157:158]
	v_fma_f64 v[171:172], v[4:5], v[34:35], v[173:174]
	v_fma_f64 v[173:174], v[2:3], v[34:35], -v[36:37]
	ds_load_b128 v[2:5], v1 offset:1440
	scratch_load_b128 v[34:37], off, off offset:752
	v_fma_f64 v[44:45], v[44:45], v[155:156], v[167:168]
	v_add_f64_e32 v[163:164], v[163:164], v[159:160]
	v_add_f64_e32 v[161:162], v[165:166], v[161:162]
	ds_load_b128 v[157:160], v1 offset:1456
	v_fma_f64 v[155:156], v[42:43], v[155:156], -v[169:170]
	s_wait_loadcnt_dscnt 0x801
	v_mul_f64_e32 v[165:166], v[2:3], v[40:41]
	v_mul_f64_e32 v[175:176], v[4:5], v[40:41]
	scratch_load_b128 v[40:43], off, off offset:768
	s_wait_loadcnt_dscnt 0x800
	v_mul_f64_e32 v[169:170], v[157:158], v[8:9]
	v_mul_f64_e32 v[8:9], v[159:160], v[8:9]
	v_add_f64_e32 v[163:164], v[163:164], v[173:174]
	v_add_f64_e32 v[161:162], v[161:162], v[171:172]
	v_fma_f64 v[171:172], v[4:5], v[38:39], v[165:166]
	v_fma_f64 v[38:39], v[2:3], v[38:39], -v[175:176]
	ds_load_b128 v[2:5], v1 offset:1472
	ds_load_b128 v[165:168], v1 offset:1488
	v_fma_f64 v[159:160], v[159:160], v[6:7], v[169:170]
	v_fma_f64 v[157:158], v[157:158], v[6:7], -v[8:9]
	scratch_load_b128 v[6:9], off, off offset:800
	v_add_f64_e32 v[155:156], v[163:164], v[155:156]
	v_add_f64_e32 v[44:45], v[161:162], v[44:45]
	scratch_load_b128 v[161:164], off, off offset:784
	s_wait_loadcnt_dscnt 0x901
	v_mul_f64_e32 v[173:174], v[2:3], v[12:13]
	v_mul_f64_e32 v[12:13], v[4:5], v[12:13]
	s_wait_loadcnt_dscnt 0x800
	v_mul_f64_e32 v[169:170], v[165:166], v[16:17]
	v_mul_f64_e32 v[16:17], v[167:168], v[16:17]
	v_add_f64_e32 v[38:39], v[155:156], v[38:39]
	v_add_f64_e32 v[44:45], v[44:45], v[171:172]
	v_fma_f64 v[171:172], v[4:5], v[10:11], v[173:174]
	v_fma_f64 v[173:174], v[2:3], v[10:11], -v[12:13]
	ds_load_b128 v[2:5], v1 offset:1504
	scratch_load_b128 v[10:13], off, off offset:816
	v_fma_f64 v[167:168], v[167:168], v[14:15], v[169:170]
	v_fma_f64 v[165:166], v[165:166], v[14:15], -v[16:17]
	scratch_load_b128 v[14:17], off, off offset:832
	v_add_f64_e32 v[38:39], v[38:39], v[157:158]
	v_add_f64_e32 v[44:45], v[44:45], v[159:160]
	ds_load_b128 v[155:158], v1 offset:1520
	s_wait_loadcnt_dscnt 0x901
	v_mul_f64_e32 v[159:160], v[2:3], v[20:21]
	v_mul_f64_e32 v[20:21], v[4:5], v[20:21]
	s_wait_loadcnt_dscnt 0x800
	v_mul_f64_e32 v[169:170], v[155:156], v[24:25]
	v_mul_f64_e32 v[24:25], v[157:158], v[24:25]
	v_add_f64_e32 v[38:39], v[38:39], v[173:174]
	v_add_f64_e32 v[44:45], v[44:45], v[171:172]
	v_fma_f64 v[159:160], v[4:5], v[18:19], v[159:160]
	v_fma_f64 v[171:172], v[2:3], v[18:19], -v[20:21]
	ds_load_b128 v[2:5], v1 offset:1536
	ds_load_b128 v[18:21], v1 offset:1552
	v_fma_f64 v[157:158], v[157:158], v[22:23], v[169:170]
	v_fma_f64 v[22:23], v[155:156], v[22:23], -v[24:25]
	v_add_f64_e32 v[38:39], v[38:39], v[165:166]
	v_add_f64_e32 v[44:45], v[44:45], v[167:168]
	s_wait_loadcnt_dscnt 0x701
	v_mul_f64_e32 v[165:166], v[2:3], v[28:29]
	v_mul_f64_e32 v[28:29], v[4:5], v[28:29]
	s_delay_alu instid0(VALU_DEP_4) | instskip(NEXT) | instid1(VALU_DEP_4)
	v_add_f64_e32 v[24:25], v[38:39], v[171:172]
	v_add_f64_e32 v[38:39], v[44:45], v[159:160]
	s_wait_loadcnt_dscnt 0x600
	v_mul_f64_e32 v[44:45], v[18:19], v[32:33]
	v_mul_f64_e32 v[32:33], v[20:21], v[32:33]
	v_fma_f64 v[155:156], v[4:5], v[26:27], v[165:166]
	v_fma_f64 v[26:27], v[2:3], v[26:27], -v[28:29]
	v_add_f64_e32 v[28:29], v[24:25], v[22:23]
	v_add_f64_e32 v[38:39], v[38:39], v[157:158]
	ds_load_b128 v[2:5], v1 offset:1568
	ds_load_b128 v[22:25], v1 offset:1584
	v_fma_f64 v[20:21], v[20:21], v[30:31], v[44:45]
	v_fma_f64 v[18:19], v[18:19], v[30:31], -v[32:33]
	s_wait_loadcnt_dscnt 0x501
	v_mul_f64_e32 v[157:158], v[2:3], v[36:37]
	v_mul_f64_e32 v[36:37], v[4:5], v[36:37]
	s_wait_loadcnt_dscnt 0x400
	v_mul_f64_e32 v[30:31], v[22:23], v[42:43]
	v_add_f64_e32 v[26:27], v[28:29], v[26:27]
	v_add_f64_e32 v[28:29], v[38:39], v[155:156]
	v_mul_f64_e32 v[32:33], v[24:25], v[42:43]
	v_fma_f64 v[38:39], v[4:5], v[34:35], v[157:158]
	v_fma_f64 v[34:35], v[2:3], v[34:35], -v[36:37]
	v_fma_f64 v[24:25], v[24:25], v[40:41], v[30:31]
	v_add_f64_e32 v[26:27], v[26:27], v[18:19]
	v_add_f64_e32 v[28:29], v[28:29], v[20:21]
	ds_load_b128 v[2:5], v1 offset:1600
	ds_load_b128 v[18:21], v1 offset:1616
	v_fma_f64 v[22:23], v[22:23], v[40:41], -v[32:33]
	s_wait_loadcnt_dscnt 0x201
	v_mul_f64_e32 v[36:37], v[2:3], v[163:164]
	v_mul_f64_e32 v[42:43], v[4:5], v[163:164]
	s_wait_dscnt 0x0
	v_mul_f64_e32 v[30:31], v[18:19], v[8:9]
	v_mul_f64_e32 v[8:9], v[20:21], v[8:9]
	v_add_f64_e32 v[26:27], v[26:27], v[34:35]
	v_add_f64_e32 v[28:29], v[28:29], v[38:39]
	v_fma_f64 v[32:33], v[4:5], v[161:162], v[36:37]
	v_fma_f64 v[34:35], v[2:3], v[161:162], -v[42:43]
	v_fma_f64 v[20:21], v[20:21], v[6:7], v[30:31]
	v_fma_f64 v[6:7], v[18:19], v[6:7], -v[8:9]
	v_add_f64_e32 v[26:27], v[26:27], v[22:23]
	v_add_f64_e32 v[28:29], v[28:29], v[24:25]
	ds_load_b128 v[2:5], v1 offset:1632
	ds_load_b128 v[22:25], v1 offset:1648
	s_wait_loadcnt_dscnt 0x101
	v_mul_f64_e32 v[36:37], v[2:3], v[12:13]
	v_mul_f64_e32 v[12:13], v[4:5], v[12:13]
	v_add_f64_e32 v[8:9], v[26:27], v[34:35]
	v_add_f64_e32 v[18:19], v[28:29], v[32:33]
	s_wait_loadcnt_dscnt 0x0
	v_mul_f64_e32 v[26:27], v[22:23], v[16:17]
	v_mul_f64_e32 v[16:17], v[24:25], v[16:17]
	v_fma_f64 v[4:5], v[4:5], v[10:11], v[36:37]
	v_fma_f64 v[1:2], v[2:3], v[10:11], -v[12:13]
	v_add_f64_e32 v[6:7], v[8:9], v[6:7]
	v_add_f64_e32 v[8:9], v[18:19], v[20:21]
	v_fma_f64 v[10:11], v[24:25], v[14:15], v[26:27]
	v_fma_f64 v[12:13], v[22:23], v[14:15], -v[16:17]
	s_delay_alu instid0(VALU_DEP_4) | instskip(NEXT) | instid1(VALU_DEP_4)
	v_add_f64_e32 v[1:2], v[6:7], v[1:2]
	v_add_f64_e32 v[3:4], v[8:9], v[4:5]
	s_delay_alu instid0(VALU_DEP_2) | instskip(NEXT) | instid1(VALU_DEP_2)
	v_add_f64_e32 v[1:2], v[1:2], v[12:13]
	v_add_f64_e32 v[3:4], v[3:4], v[10:11]
	s_delay_alu instid0(VALU_DEP_2) | instskip(NEXT) | instid1(VALU_DEP_2)
	v_add_f64_e64 v[1:2], v[151:152], -v[1:2]
	v_add_f64_e64 v[3:4], v[153:154], -v[3:4]
	scratch_store_b128 off, v[1:4], off offset:448
	v_cmpx_lt_u32_e32 26, v0
	s_cbranch_execz .LBB51_273
; %bb.272:
	scratch_load_b128 v[1:4], off, s28
	v_mov_b32_e32 v5, 0
	s_delay_alu instid0(VALU_DEP_1)
	v_dual_mov_b32 v6, v5 :: v_dual_mov_b32 v7, v5
	v_mov_b32_e32 v8, v5
	scratch_store_b128 off, v[5:8], off offset:432
	s_wait_loadcnt 0x0
	ds_store_b128 v150, v[1:4]
.LBB51_273:
	s_wait_alu 0xfffe
	s_or_b32 exec_lo, exec_lo, s0
	s_wait_storecnt_dscnt 0x0
	s_barrier_signal -1
	s_barrier_wait -1
	global_inv scope:SCOPE_SE
	s_clause 0x7
	scratch_load_b128 v[2:5], off, off offset:448
	scratch_load_b128 v[6:9], off, off offset:464
	;; [unrolled: 1-line block ×8, first 2 shown]
	v_mov_b32_e32 v1, 0
	s_mov_b32 s0, exec_lo
	ds_load_b128 v[34:37], v1 offset:1264
	s_clause 0x1
	scratch_load_b128 v[38:41], off, off offset:576
	scratch_load_b128 v[42:45], off, off offset:432
	ds_load_b128 v[151:154], v1 offset:1280
	scratch_load_b128 v[155:158], off, off offset:592
	s_wait_loadcnt_dscnt 0xa01
	v_mul_f64_e32 v[159:160], v[36:37], v[4:5]
	v_mul_f64_e32 v[4:5], v[34:35], v[4:5]
	s_delay_alu instid0(VALU_DEP_2) | instskip(NEXT) | instid1(VALU_DEP_2)
	v_fma_f64 v[165:166], v[34:35], v[2:3], -v[159:160]
	v_fma_f64 v[167:168], v[36:37], v[2:3], v[4:5]
	ds_load_b128 v[2:5], v1 offset:1296
	s_wait_loadcnt_dscnt 0x901
	v_mul_f64_e32 v[163:164], v[151:152], v[8:9]
	v_mul_f64_e32 v[8:9], v[153:154], v[8:9]
	scratch_load_b128 v[34:37], off, off offset:608
	ds_load_b128 v[159:162], v1 offset:1312
	s_wait_loadcnt_dscnt 0x901
	v_mul_f64_e32 v[169:170], v[2:3], v[12:13]
	v_mul_f64_e32 v[12:13], v[4:5], v[12:13]
	v_fma_f64 v[153:154], v[153:154], v[6:7], v[163:164]
	v_fma_f64 v[151:152], v[151:152], v[6:7], -v[8:9]
	v_add_f64_e32 v[163:164], 0, v[165:166]
	v_add_f64_e32 v[165:166], 0, v[167:168]
	scratch_load_b128 v[6:9], off, off offset:624
	v_fma_f64 v[169:170], v[4:5], v[10:11], v[169:170]
	v_fma_f64 v[171:172], v[2:3], v[10:11], -v[12:13]
	ds_load_b128 v[2:5], v1 offset:1328
	s_wait_loadcnt_dscnt 0x901
	v_mul_f64_e32 v[167:168], v[159:160], v[16:17]
	v_mul_f64_e32 v[16:17], v[161:162], v[16:17]
	scratch_load_b128 v[10:13], off, off offset:640
	v_add_f64_e32 v[163:164], v[163:164], v[151:152]
	v_add_f64_e32 v[165:166], v[165:166], v[153:154]
	s_wait_loadcnt_dscnt 0x900
	v_mul_f64_e32 v[173:174], v[2:3], v[20:21]
	v_mul_f64_e32 v[20:21], v[4:5], v[20:21]
	ds_load_b128 v[151:154], v1 offset:1344
	v_fma_f64 v[161:162], v[161:162], v[14:15], v[167:168]
	v_fma_f64 v[159:160], v[159:160], v[14:15], -v[16:17]
	scratch_load_b128 v[14:17], off, off offset:656
	v_add_f64_e32 v[163:164], v[163:164], v[171:172]
	v_add_f64_e32 v[165:166], v[165:166], v[169:170]
	v_fma_f64 v[169:170], v[4:5], v[18:19], v[173:174]
	v_fma_f64 v[171:172], v[2:3], v[18:19], -v[20:21]
	ds_load_b128 v[2:5], v1 offset:1360
	s_wait_loadcnt_dscnt 0x901
	v_mul_f64_e32 v[167:168], v[151:152], v[24:25]
	v_mul_f64_e32 v[24:25], v[153:154], v[24:25]
	scratch_load_b128 v[18:21], off, off offset:672
	s_wait_loadcnt_dscnt 0x900
	v_mul_f64_e32 v[173:174], v[2:3], v[28:29]
	v_mul_f64_e32 v[28:29], v[4:5], v[28:29]
	v_add_f64_e32 v[163:164], v[163:164], v[159:160]
	v_add_f64_e32 v[165:166], v[165:166], v[161:162]
	ds_load_b128 v[159:162], v1 offset:1376
	v_fma_f64 v[153:154], v[153:154], v[22:23], v[167:168]
	v_fma_f64 v[151:152], v[151:152], v[22:23], -v[24:25]
	scratch_load_b128 v[22:25], off, off offset:688
	v_add_f64_e32 v[163:164], v[163:164], v[171:172]
	v_add_f64_e32 v[165:166], v[165:166], v[169:170]
	v_fma_f64 v[169:170], v[4:5], v[26:27], v[173:174]
	v_fma_f64 v[171:172], v[2:3], v[26:27], -v[28:29]
	ds_load_b128 v[2:5], v1 offset:1392
	s_wait_loadcnt_dscnt 0x901
	v_mul_f64_e32 v[167:168], v[159:160], v[32:33]
	v_mul_f64_e32 v[32:33], v[161:162], v[32:33]
	scratch_load_b128 v[26:29], off, off offset:704
	s_wait_loadcnt_dscnt 0x900
	v_mul_f64_e32 v[173:174], v[2:3], v[40:41]
	v_mul_f64_e32 v[40:41], v[4:5], v[40:41]
	v_add_f64_e32 v[163:164], v[163:164], v[151:152]
	v_add_f64_e32 v[165:166], v[165:166], v[153:154]
	ds_load_b128 v[151:154], v1 offset:1408
	v_fma_f64 v[161:162], v[161:162], v[30:31], v[167:168]
	v_fma_f64 v[159:160], v[159:160], v[30:31], -v[32:33]
	scratch_load_b128 v[30:33], off, off offset:720
	v_add_f64_e32 v[163:164], v[163:164], v[171:172]
	v_add_f64_e32 v[165:166], v[165:166], v[169:170]
	v_fma_f64 v[171:172], v[4:5], v[38:39], v[173:174]
	v_fma_f64 v[173:174], v[2:3], v[38:39], -v[40:41]
	ds_load_b128 v[2:5], v1 offset:1424
	s_wait_loadcnt_dscnt 0x801
	v_mul_f64_e32 v[167:168], v[151:152], v[157:158]
	v_mul_f64_e32 v[169:170], v[153:154], v[157:158]
	scratch_load_b128 v[38:41], off, off offset:736
	v_add_f64_e32 v[163:164], v[163:164], v[159:160]
	v_add_f64_e32 v[161:162], v[165:166], v[161:162]
	ds_load_b128 v[157:160], v1 offset:1440
	v_fma_f64 v[167:168], v[153:154], v[155:156], v[167:168]
	v_fma_f64 v[155:156], v[151:152], v[155:156], -v[169:170]
	scratch_load_b128 v[151:154], off, off offset:752
	s_wait_loadcnt_dscnt 0x901
	v_mul_f64_e32 v[165:166], v[2:3], v[36:37]
	v_mul_f64_e32 v[36:37], v[4:5], v[36:37]
	v_add_f64_e32 v[163:164], v[163:164], v[173:174]
	v_add_f64_e32 v[161:162], v[161:162], v[171:172]
	s_delay_alu instid0(VALU_DEP_4) | instskip(NEXT) | instid1(VALU_DEP_4)
	v_fma_f64 v[165:166], v[4:5], v[34:35], v[165:166]
	v_fma_f64 v[171:172], v[2:3], v[34:35], -v[36:37]
	ds_load_b128 v[2:5], v1 offset:1456
	s_wait_loadcnt_dscnt 0x801
	v_mul_f64_e32 v[169:170], v[157:158], v[8:9]
	v_mul_f64_e32 v[8:9], v[159:160], v[8:9]
	scratch_load_b128 v[34:37], off, off offset:768
	s_wait_loadcnt_dscnt 0x800
	v_mul_f64_e32 v[173:174], v[2:3], v[12:13]
	v_add_f64_e32 v[155:156], v[163:164], v[155:156]
	v_add_f64_e32 v[167:168], v[161:162], v[167:168]
	v_mul_f64_e32 v[12:13], v[4:5], v[12:13]
	ds_load_b128 v[161:164], v1 offset:1472
	v_fma_f64 v[159:160], v[159:160], v[6:7], v[169:170]
	v_fma_f64 v[157:158], v[157:158], v[6:7], -v[8:9]
	scratch_load_b128 v[6:9], off, off offset:784
	v_fma_f64 v[169:170], v[4:5], v[10:11], v[173:174]
	v_add_f64_e32 v[155:156], v[155:156], v[171:172]
	v_add_f64_e32 v[165:166], v[167:168], v[165:166]
	v_fma_f64 v[171:172], v[2:3], v[10:11], -v[12:13]
	ds_load_b128 v[2:5], v1 offset:1488
	s_wait_loadcnt_dscnt 0x801
	v_mul_f64_e32 v[167:168], v[161:162], v[16:17]
	v_mul_f64_e32 v[16:17], v[163:164], v[16:17]
	scratch_load_b128 v[10:13], off, off offset:800
	v_add_f64_e32 v[173:174], v[155:156], v[157:158]
	v_add_f64_e32 v[159:160], v[165:166], v[159:160]
	s_wait_loadcnt_dscnt 0x800
	v_mul_f64_e32 v[165:166], v[2:3], v[20:21]
	v_mul_f64_e32 v[20:21], v[4:5], v[20:21]
	v_fma_f64 v[163:164], v[163:164], v[14:15], v[167:168]
	v_fma_f64 v[161:162], v[161:162], v[14:15], -v[16:17]
	ds_load_b128 v[155:158], v1 offset:1504
	scratch_load_b128 v[14:17], off, off offset:816
	v_add_f64_e32 v[167:168], v[173:174], v[171:172]
	v_add_f64_e32 v[159:160], v[159:160], v[169:170]
	v_fma_f64 v[165:166], v[4:5], v[18:19], v[165:166]
	v_fma_f64 v[171:172], v[2:3], v[18:19], -v[20:21]
	ds_load_b128 v[2:5], v1 offset:1520
	s_wait_loadcnt_dscnt 0x801
	v_mul_f64_e32 v[169:170], v[155:156], v[24:25]
	v_mul_f64_e32 v[24:25], v[157:158], v[24:25]
	scratch_load_b128 v[18:21], off, off offset:832
	s_wait_loadcnt_dscnt 0x800
	v_mul_f64_e32 v[173:174], v[2:3], v[28:29]
	v_mul_f64_e32 v[28:29], v[4:5], v[28:29]
	v_add_f64_e32 v[167:168], v[167:168], v[161:162]
	v_add_f64_e32 v[163:164], v[159:160], v[163:164]
	ds_load_b128 v[159:162], v1 offset:1536
	v_fma_f64 v[157:158], v[157:158], v[22:23], v[169:170]
	v_fma_f64 v[22:23], v[155:156], v[22:23], -v[24:25]
	v_add_f64_e32 v[24:25], v[167:168], v[171:172]
	v_add_f64_e32 v[155:156], v[163:164], v[165:166]
	s_wait_loadcnt_dscnt 0x700
	v_mul_f64_e32 v[163:164], v[159:160], v[32:33]
	v_mul_f64_e32 v[32:33], v[161:162], v[32:33]
	v_fma_f64 v[165:166], v[4:5], v[26:27], v[173:174]
	v_fma_f64 v[26:27], v[2:3], v[26:27], -v[28:29]
	v_add_f64_e32 v[28:29], v[24:25], v[22:23]
	v_add_f64_e32 v[155:156], v[155:156], v[157:158]
	ds_load_b128 v[2:5], v1 offset:1552
	ds_load_b128 v[22:25], v1 offset:1568
	v_fma_f64 v[161:162], v[161:162], v[30:31], v[163:164]
	v_fma_f64 v[30:31], v[159:160], v[30:31], -v[32:33]
	s_wait_loadcnt_dscnt 0x601
	v_mul_f64_e32 v[157:158], v[2:3], v[40:41]
	v_mul_f64_e32 v[40:41], v[4:5], v[40:41]
	s_wait_loadcnt_dscnt 0x500
	v_mul_f64_e32 v[32:33], v[22:23], v[153:154]
	v_mul_f64_e32 v[153:154], v[24:25], v[153:154]
	v_add_f64_e32 v[26:27], v[28:29], v[26:27]
	v_add_f64_e32 v[28:29], v[155:156], v[165:166]
	v_fma_f64 v[155:156], v[4:5], v[38:39], v[157:158]
	v_fma_f64 v[38:39], v[2:3], v[38:39], -v[40:41]
	v_fma_f64 v[24:25], v[24:25], v[151:152], v[32:33]
	v_fma_f64 v[22:23], v[22:23], v[151:152], -v[153:154]
	v_add_f64_e32 v[30:31], v[26:27], v[30:31]
	v_add_f64_e32 v[40:41], v[28:29], v[161:162]
	ds_load_b128 v[2:5], v1 offset:1584
	ds_load_b128 v[26:29], v1 offset:1600
	s_wait_loadcnt_dscnt 0x401
	v_mul_f64_e32 v[157:158], v[2:3], v[36:37]
	v_mul_f64_e32 v[36:37], v[4:5], v[36:37]
	v_add_f64_e32 v[30:31], v[30:31], v[38:39]
	v_add_f64_e32 v[32:33], v[40:41], v[155:156]
	s_wait_loadcnt_dscnt 0x300
	v_mul_f64_e32 v[38:39], v[26:27], v[8:9]
	v_mul_f64_e32 v[8:9], v[28:29], v[8:9]
	v_fma_f64 v[40:41], v[4:5], v[34:35], v[157:158]
	v_fma_f64 v[34:35], v[2:3], v[34:35], -v[36:37]
	v_add_f64_e32 v[30:31], v[30:31], v[22:23]
	v_add_f64_e32 v[32:33], v[32:33], v[24:25]
	ds_load_b128 v[2:5], v1 offset:1616
	ds_load_b128 v[22:25], v1 offset:1632
	v_fma_f64 v[28:29], v[28:29], v[6:7], v[38:39]
	v_fma_f64 v[6:7], v[26:27], v[6:7], -v[8:9]
	s_wait_loadcnt_dscnt 0x201
	v_mul_f64_e32 v[36:37], v[2:3], v[12:13]
	v_mul_f64_e32 v[12:13], v[4:5], v[12:13]
	v_add_f64_e32 v[8:9], v[30:31], v[34:35]
	v_add_f64_e32 v[26:27], v[32:33], v[40:41]
	s_wait_loadcnt_dscnt 0x100
	v_mul_f64_e32 v[30:31], v[22:23], v[16:17]
	v_mul_f64_e32 v[16:17], v[24:25], v[16:17]
	v_fma_f64 v[32:33], v[4:5], v[10:11], v[36:37]
	v_fma_f64 v[10:11], v[2:3], v[10:11], -v[12:13]
	ds_load_b128 v[2:5], v1 offset:1648
	v_add_f64_e32 v[6:7], v[8:9], v[6:7]
	v_add_f64_e32 v[8:9], v[26:27], v[28:29]
	v_fma_f64 v[24:25], v[24:25], v[14:15], v[30:31]
	v_fma_f64 v[14:15], v[22:23], v[14:15], -v[16:17]
	s_wait_loadcnt_dscnt 0x0
	v_mul_f64_e32 v[12:13], v[2:3], v[20:21]
	v_mul_f64_e32 v[20:21], v[4:5], v[20:21]
	v_add_f64_e32 v[6:7], v[6:7], v[10:11]
	v_add_f64_e32 v[8:9], v[8:9], v[32:33]
	s_delay_alu instid0(VALU_DEP_4) | instskip(NEXT) | instid1(VALU_DEP_4)
	v_fma_f64 v[4:5], v[4:5], v[18:19], v[12:13]
	v_fma_f64 v[2:3], v[2:3], v[18:19], -v[20:21]
	s_delay_alu instid0(VALU_DEP_4) | instskip(NEXT) | instid1(VALU_DEP_4)
	v_add_f64_e32 v[6:7], v[6:7], v[14:15]
	v_add_f64_e32 v[8:9], v[8:9], v[24:25]
	s_delay_alu instid0(VALU_DEP_2) | instskip(NEXT) | instid1(VALU_DEP_2)
	v_add_f64_e32 v[2:3], v[6:7], v[2:3]
	v_add_f64_e32 v[4:5], v[8:9], v[4:5]
	s_delay_alu instid0(VALU_DEP_2) | instskip(NEXT) | instid1(VALU_DEP_2)
	v_add_f64_e64 v[2:3], v[42:43], -v[2:3]
	v_add_f64_e64 v[4:5], v[44:45], -v[4:5]
	scratch_store_b128 off, v[2:5], off offset:432
	v_cmpx_lt_u32_e32 25, v0
	s_cbranch_execz .LBB51_275
; %bb.274:
	scratch_load_b128 v[5:8], off, s27
	v_dual_mov_b32 v2, v1 :: v_dual_mov_b32 v3, v1
	v_mov_b32_e32 v4, v1
	scratch_store_b128 off, v[1:4], off offset:416
	s_wait_loadcnt 0x0
	ds_store_b128 v150, v[5:8]
.LBB51_275:
	s_wait_alu 0xfffe
	s_or_b32 exec_lo, exec_lo, s0
	s_wait_storecnt_dscnt 0x0
	s_barrier_signal -1
	s_barrier_wait -1
	global_inv scope:SCOPE_SE
	s_clause 0x8
	scratch_load_b128 v[2:5], off, off offset:432
	scratch_load_b128 v[6:9], off, off offset:448
	;; [unrolled: 1-line block ×9, first 2 shown]
	ds_load_b128 v[38:41], v1 offset:1248
	ds_load_b128 v[42:45], v1 offset:1264
	s_clause 0x1
	scratch_load_b128 v[151:154], off, off offset:416
	scratch_load_b128 v[155:158], off, off offset:576
	s_mov_b32 s0, exec_lo
	s_wait_loadcnt_dscnt 0xa01
	v_mul_f64_e32 v[159:160], v[40:41], v[4:5]
	v_mul_f64_e32 v[4:5], v[38:39], v[4:5]
	s_wait_loadcnt_dscnt 0x900
	v_mul_f64_e32 v[163:164], v[42:43], v[8:9]
	v_mul_f64_e32 v[8:9], v[44:45], v[8:9]
	s_delay_alu instid0(VALU_DEP_4) | instskip(NEXT) | instid1(VALU_DEP_4)
	v_fma_f64 v[165:166], v[38:39], v[2:3], -v[159:160]
	v_fma_f64 v[167:168], v[40:41], v[2:3], v[4:5]
	ds_load_b128 v[2:5], v1 offset:1280
	ds_load_b128 v[159:162], v1 offset:1296
	scratch_load_b128 v[38:41], off, off offset:592
	v_fma_f64 v[44:45], v[44:45], v[6:7], v[163:164]
	v_fma_f64 v[42:43], v[42:43], v[6:7], -v[8:9]
	scratch_load_b128 v[6:9], off, off offset:608
	s_wait_loadcnt_dscnt 0xa01
	v_mul_f64_e32 v[169:170], v[2:3], v[12:13]
	v_mul_f64_e32 v[12:13], v[4:5], v[12:13]
	v_add_f64_e32 v[163:164], 0, v[165:166]
	v_add_f64_e32 v[165:166], 0, v[167:168]
	s_wait_loadcnt_dscnt 0x900
	v_mul_f64_e32 v[167:168], v[159:160], v[16:17]
	v_mul_f64_e32 v[16:17], v[161:162], v[16:17]
	v_fma_f64 v[169:170], v[4:5], v[10:11], v[169:170]
	v_fma_f64 v[171:172], v[2:3], v[10:11], -v[12:13]
	ds_load_b128 v[2:5], v1 offset:1312
	scratch_load_b128 v[10:13], off, off offset:624
	v_add_f64_e32 v[163:164], v[163:164], v[42:43]
	v_add_f64_e32 v[165:166], v[165:166], v[44:45]
	ds_load_b128 v[42:45], v1 offset:1328
	v_fma_f64 v[161:162], v[161:162], v[14:15], v[167:168]
	v_fma_f64 v[159:160], v[159:160], v[14:15], -v[16:17]
	scratch_load_b128 v[14:17], off, off offset:640
	s_wait_loadcnt_dscnt 0xa01
	v_mul_f64_e32 v[173:174], v[2:3], v[20:21]
	v_mul_f64_e32 v[20:21], v[4:5], v[20:21]
	s_wait_loadcnt_dscnt 0x900
	v_mul_f64_e32 v[167:168], v[42:43], v[24:25]
	v_mul_f64_e32 v[24:25], v[44:45], v[24:25]
	v_add_f64_e32 v[163:164], v[163:164], v[171:172]
	v_add_f64_e32 v[165:166], v[165:166], v[169:170]
	v_fma_f64 v[169:170], v[4:5], v[18:19], v[173:174]
	v_fma_f64 v[171:172], v[2:3], v[18:19], -v[20:21]
	ds_load_b128 v[2:5], v1 offset:1344
	scratch_load_b128 v[18:21], off, off offset:656
	v_fma_f64 v[44:45], v[44:45], v[22:23], v[167:168]
	v_fma_f64 v[42:43], v[42:43], v[22:23], -v[24:25]
	scratch_load_b128 v[22:25], off, off offset:672
	v_add_f64_e32 v[163:164], v[163:164], v[159:160]
	v_add_f64_e32 v[165:166], v[165:166], v[161:162]
	ds_load_b128 v[159:162], v1 offset:1360
	s_wait_loadcnt_dscnt 0xa01
	v_mul_f64_e32 v[173:174], v[2:3], v[28:29]
	v_mul_f64_e32 v[28:29], v[4:5], v[28:29]
	s_wait_loadcnt_dscnt 0x900
	v_mul_f64_e32 v[167:168], v[159:160], v[32:33]
	v_mul_f64_e32 v[32:33], v[161:162], v[32:33]
	v_add_f64_e32 v[163:164], v[163:164], v[171:172]
	v_add_f64_e32 v[165:166], v[165:166], v[169:170]
	v_fma_f64 v[169:170], v[4:5], v[26:27], v[173:174]
	v_fma_f64 v[171:172], v[2:3], v[26:27], -v[28:29]
	ds_load_b128 v[2:5], v1 offset:1376
	scratch_load_b128 v[26:29], off, off offset:688
	v_fma_f64 v[161:162], v[161:162], v[30:31], v[167:168]
	v_fma_f64 v[159:160], v[159:160], v[30:31], -v[32:33]
	scratch_load_b128 v[30:33], off, off offset:704
	v_add_f64_e32 v[163:164], v[163:164], v[42:43]
	v_add_f64_e32 v[165:166], v[165:166], v[44:45]
	ds_load_b128 v[42:45], v1 offset:1392
	s_wait_loadcnt_dscnt 0xa01
	v_mul_f64_e32 v[173:174], v[2:3], v[36:37]
	v_mul_f64_e32 v[36:37], v[4:5], v[36:37]
	s_wait_loadcnt_dscnt 0x800
	v_mul_f64_e32 v[167:168], v[42:43], v[157:158]
	v_add_f64_e32 v[163:164], v[163:164], v[171:172]
	v_add_f64_e32 v[165:166], v[165:166], v[169:170]
	v_mul_f64_e32 v[169:170], v[44:45], v[157:158]
	v_fma_f64 v[171:172], v[4:5], v[34:35], v[173:174]
	v_fma_f64 v[173:174], v[2:3], v[34:35], -v[36:37]
	ds_load_b128 v[2:5], v1 offset:1408
	scratch_load_b128 v[34:37], off, off offset:720
	v_fma_f64 v[44:45], v[44:45], v[155:156], v[167:168]
	v_add_f64_e32 v[163:164], v[163:164], v[159:160]
	v_add_f64_e32 v[161:162], v[165:166], v[161:162]
	ds_load_b128 v[157:160], v1 offset:1424
	v_fma_f64 v[155:156], v[42:43], v[155:156], -v[169:170]
	s_wait_loadcnt_dscnt 0x801
	v_mul_f64_e32 v[165:166], v[2:3], v[40:41]
	v_mul_f64_e32 v[175:176], v[4:5], v[40:41]
	scratch_load_b128 v[40:43], off, off offset:736
	s_wait_loadcnt_dscnt 0x800
	v_mul_f64_e32 v[169:170], v[157:158], v[8:9]
	v_mul_f64_e32 v[8:9], v[159:160], v[8:9]
	v_add_f64_e32 v[163:164], v[163:164], v[173:174]
	v_add_f64_e32 v[161:162], v[161:162], v[171:172]
	v_fma_f64 v[171:172], v[4:5], v[38:39], v[165:166]
	v_fma_f64 v[38:39], v[2:3], v[38:39], -v[175:176]
	ds_load_b128 v[2:5], v1 offset:1440
	ds_load_b128 v[165:168], v1 offset:1456
	v_fma_f64 v[159:160], v[159:160], v[6:7], v[169:170]
	v_fma_f64 v[157:158], v[157:158], v[6:7], -v[8:9]
	scratch_load_b128 v[6:9], off, off offset:768
	v_add_f64_e32 v[155:156], v[163:164], v[155:156]
	v_add_f64_e32 v[44:45], v[161:162], v[44:45]
	scratch_load_b128 v[161:164], off, off offset:752
	s_wait_loadcnt_dscnt 0x901
	v_mul_f64_e32 v[173:174], v[2:3], v[12:13]
	v_mul_f64_e32 v[12:13], v[4:5], v[12:13]
	s_wait_loadcnt_dscnt 0x800
	v_mul_f64_e32 v[169:170], v[165:166], v[16:17]
	v_mul_f64_e32 v[16:17], v[167:168], v[16:17]
	v_add_f64_e32 v[38:39], v[155:156], v[38:39]
	v_add_f64_e32 v[44:45], v[44:45], v[171:172]
	v_fma_f64 v[171:172], v[4:5], v[10:11], v[173:174]
	v_fma_f64 v[173:174], v[2:3], v[10:11], -v[12:13]
	ds_load_b128 v[2:5], v1 offset:1472
	scratch_load_b128 v[10:13], off, off offset:784
	v_fma_f64 v[167:168], v[167:168], v[14:15], v[169:170]
	v_fma_f64 v[165:166], v[165:166], v[14:15], -v[16:17]
	scratch_load_b128 v[14:17], off, off offset:800
	v_add_f64_e32 v[38:39], v[38:39], v[157:158]
	v_add_f64_e32 v[44:45], v[44:45], v[159:160]
	ds_load_b128 v[155:158], v1 offset:1488
	s_wait_loadcnt_dscnt 0x901
	v_mul_f64_e32 v[159:160], v[2:3], v[20:21]
	v_mul_f64_e32 v[20:21], v[4:5], v[20:21]
	s_wait_loadcnt_dscnt 0x800
	v_mul_f64_e32 v[169:170], v[155:156], v[24:25]
	v_mul_f64_e32 v[24:25], v[157:158], v[24:25]
	v_add_f64_e32 v[38:39], v[38:39], v[173:174]
	v_add_f64_e32 v[44:45], v[44:45], v[171:172]
	v_fma_f64 v[159:160], v[4:5], v[18:19], v[159:160]
	v_fma_f64 v[171:172], v[2:3], v[18:19], -v[20:21]
	ds_load_b128 v[2:5], v1 offset:1504
	scratch_load_b128 v[18:21], off, off offset:816
	v_fma_f64 v[157:158], v[157:158], v[22:23], v[169:170]
	v_fma_f64 v[155:156], v[155:156], v[22:23], -v[24:25]
	scratch_load_b128 v[22:25], off, off offset:832
	v_add_f64_e32 v[38:39], v[38:39], v[165:166]
	v_add_f64_e32 v[44:45], v[44:45], v[167:168]
	ds_load_b128 v[165:168], v1 offset:1520
	s_wait_loadcnt_dscnt 0x901
	v_mul_f64_e32 v[173:174], v[2:3], v[28:29]
	v_mul_f64_e32 v[28:29], v[4:5], v[28:29]
	v_add_f64_e32 v[38:39], v[38:39], v[171:172]
	v_add_f64_e32 v[44:45], v[44:45], v[159:160]
	s_wait_loadcnt_dscnt 0x800
	v_mul_f64_e32 v[159:160], v[165:166], v[32:33]
	v_mul_f64_e32 v[32:33], v[167:168], v[32:33]
	v_fma_f64 v[169:170], v[4:5], v[26:27], v[173:174]
	v_fma_f64 v[171:172], v[2:3], v[26:27], -v[28:29]
	ds_load_b128 v[2:5], v1 offset:1536
	ds_load_b128 v[26:29], v1 offset:1552
	v_add_f64_e32 v[38:39], v[38:39], v[155:156]
	v_add_f64_e32 v[44:45], v[44:45], v[157:158]
	s_wait_loadcnt_dscnt 0x701
	v_mul_f64_e32 v[155:156], v[2:3], v[36:37]
	v_mul_f64_e32 v[36:37], v[4:5], v[36:37]
	v_fma_f64 v[157:158], v[167:168], v[30:31], v[159:160]
	v_fma_f64 v[30:31], v[165:166], v[30:31], -v[32:33]
	v_add_f64_e32 v[32:33], v[38:39], v[171:172]
	v_add_f64_e32 v[38:39], v[44:45], v[169:170]
	s_wait_loadcnt_dscnt 0x600
	v_mul_f64_e32 v[44:45], v[26:27], v[42:43]
	v_mul_f64_e32 v[42:43], v[28:29], v[42:43]
	v_fma_f64 v[155:156], v[4:5], v[34:35], v[155:156]
	v_fma_f64 v[34:35], v[2:3], v[34:35], -v[36:37]
	v_add_f64_e32 v[36:37], v[32:33], v[30:31]
	v_add_f64_e32 v[38:39], v[38:39], v[157:158]
	ds_load_b128 v[2:5], v1 offset:1568
	ds_load_b128 v[30:33], v1 offset:1584
	v_fma_f64 v[28:29], v[28:29], v[40:41], v[44:45]
	v_fma_f64 v[26:27], v[26:27], v[40:41], -v[42:43]
	s_wait_loadcnt_dscnt 0x401
	v_mul_f64_e32 v[157:158], v[2:3], v[163:164]
	v_mul_f64_e32 v[159:160], v[4:5], v[163:164]
	v_add_f64_e32 v[34:35], v[36:37], v[34:35]
	v_add_f64_e32 v[36:37], v[38:39], v[155:156]
	s_wait_dscnt 0x0
	v_mul_f64_e32 v[38:39], v[30:31], v[8:9]
	v_mul_f64_e32 v[8:9], v[32:33], v[8:9]
	v_fma_f64 v[40:41], v[4:5], v[161:162], v[157:158]
	v_fma_f64 v[42:43], v[2:3], v[161:162], -v[159:160]
	v_add_f64_e32 v[34:35], v[34:35], v[26:27]
	v_add_f64_e32 v[36:37], v[36:37], v[28:29]
	ds_load_b128 v[2:5], v1 offset:1600
	ds_load_b128 v[26:29], v1 offset:1616
	v_fma_f64 v[32:33], v[32:33], v[6:7], v[38:39]
	v_fma_f64 v[6:7], v[30:31], v[6:7], -v[8:9]
	s_wait_loadcnt_dscnt 0x301
	v_mul_f64_e32 v[44:45], v[2:3], v[12:13]
	v_mul_f64_e32 v[12:13], v[4:5], v[12:13]
	v_add_f64_e32 v[8:9], v[34:35], v[42:43]
	v_add_f64_e32 v[30:31], v[36:37], v[40:41]
	s_wait_loadcnt_dscnt 0x200
	v_mul_f64_e32 v[34:35], v[26:27], v[16:17]
	v_mul_f64_e32 v[16:17], v[28:29], v[16:17]
	v_fma_f64 v[36:37], v[4:5], v[10:11], v[44:45]
	v_fma_f64 v[10:11], v[2:3], v[10:11], -v[12:13]
	v_add_f64_e32 v[12:13], v[8:9], v[6:7]
	v_add_f64_e32 v[30:31], v[30:31], v[32:33]
	ds_load_b128 v[2:5], v1 offset:1632
	ds_load_b128 v[6:9], v1 offset:1648
	v_fma_f64 v[28:29], v[28:29], v[14:15], v[34:35]
	v_fma_f64 v[14:15], v[26:27], v[14:15], -v[16:17]
	s_wait_loadcnt_dscnt 0x101
	v_mul_f64_e32 v[32:33], v[2:3], v[20:21]
	v_mul_f64_e32 v[20:21], v[4:5], v[20:21]
	s_wait_loadcnt_dscnt 0x0
	v_mul_f64_e32 v[16:17], v[6:7], v[24:25]
	v_mul_f64_e32 v[24:25], v[8:9], v[24:25]
	v_add_f64_e32 v[10:11], v[12:13], v[10:11]
	v_add_f64_e32 v[12:13], v[30:31], v[36:37]
	v_fma_f64 v[4:5], v[4:5], v[18:19], v[32:33]
	v_fma_f64 v[1:2], v[2:3], v[18:19], -v[20:21]
	v_fma_f64 v[8:9], v[8:9], v[22:23], v[16:17]
	v_fma_f64 v[6:7], v[6:7], v[22:23], -v[24:25]
	v_add_f64_e32 v[10:11], v[10:11], v[14:15]
	v_add_f64_e32 v[12:13], v[12:13], v[28:29]
	s_delay_alu instid0(VALU_DEP_2) | instskip(NEXT) | instid1(VALU_DEP_2)
	v_add_f64_e32 v[1:2], v[10:11], v[1:2]
	v_add_f64_e32 v[3:4], v[12:13], v[4:5]
	s_delay_alu instid0(VALU_DEP_2) | instskip(NEXT) | instid1(VALU_DEP_2)
	;; [unrolled: 3-line block ×3, first 2 shown]
	v_add_f64_e64 v[1:2], v[151:152], -v[1:2]
	v_add_f64_e64 v[3:4], v[153:154], -v[3:4]
	scratch_store_b128 off, v[1:4], off offset:416
	v_cmpx_lt_u32_e32 24, v0
	s_cbranch_execz .LBB51_277
; %bb.276:
	scratch_load_b128 v[1:4], off, s30
	v_mov_b32_e32 v5, 0
	s_delay_alu instid0(VALU_DEP_1)
	v_dual_mov_b32 v6, v5 :: v_dual_mov_b32 v7, v5
	v_mov_b32_e32 v8, v5
	scratch_store_b128 off, v[5:8], off offset:400
	s_wait_loadcnt 0x0
	ds_store_b128 v150, v[1:4]
.LBB51_277:
	s_wait_alu 0xfffe
	s_or_b32 exec_lo, exec_lo, s0
	s_wait_storecnt_dscnt 0x0
	s_barrier_signal -1
	s_barrier_wait -1
	global_inv scope:SCOPE_SE
	s_clause 0x7
	scratch_load_b128 v[2:5], off, off offset:416
	scratch_load_b128 v[6:9], off, off offset:432
	;; [unrolled: 1-line block ×8, first 2 shown]
	v_mov_b32_e32 v1, 0
	s_mov_b32 s0, exec_lo
	ds_load_b128 v[34:37], v1 offset:1232
	s_clause 0x1
	scratch_load_b128 v[38:41], off, off offset:544
	scratch_load_b128 v[42:45], off, off offset:400
	ds_load_b128 v[151:154], v1 offset:1248
	scratch_load_b128 v[155:158], off, off offset:560
	s_wait_loadcnt_dscnt 0xa01
	v_mul_f64_e32 v[159:160], v[36:37], v[4:5]
	v_mul_f64_e32 v[4:5], v[34:35], v[4:5]
	s_delay_alu instid0(VALU_DEP_2) | instskip(NEXT) | instid1(VALU_DEP_2)
	v_fma_f64 v[165:166], v[34:35], v[2:3], -v[159:160]
	v_fma_f64 v[167:168], v[36:37], v[2:3], v[4:5]
	ds_load_b128 v[2:5], v1 offset:1264
	s_wait_loadcnt_dscnt 0x901
	v_mul_f64_e32 v[163:164], v[151:152], v[8:9]
	v_mul_f64_e32 v[8:9], v[153:154], v[8:9]
	scratch_load_b128 v[34:37], off, off offset:576
	ds_load_b128 v[159:162], v1 offset:1280
	s_wait_loadcnt_dscnt 0x901
	v_mul_f64_e32 v[169:170], v[2:3], v[12:13]
	v_mul_f64_e32 v[12:13], v[4:5], v[12:13]
	v_fma_f64 v[153:154], v[153:154], v[6:7], v[163:164]
	v_fma_f64 v[151:152], v[151:152], v[6:7], -v[8:9]
	v_add_f64_e32 v[163:164], 0, v[165:166]
	v_add_f64_e32 v[165:166], 0, v[167:168]
	scratch_load_b128 v[6:9], off, off offset:592
	v_fma_f64 v[169:170], v[4:5], v[10:11], v[169:170]
	v_fma_f64 v[171:172], v[2:3], v[10:11], -v[12:13]
	ds_load_b128 v[2:5], v1 offset:1296
	s_wait_loadcnt_dscnt 0x901
	v_mul_f64_e32 v[167:168], v[159:160], v[16:17]
	v_mul_f64_e32 v[16:17], v[161:162], v[16:17]
	scratch_load_b128 v[10:13], off, off offset:608
	v_add_f64_e32 v[163:164], v[163:164], v[151:152]
	v_add_f64_e32 v[165:166], v[165:166], v[153:154]
	s_wait_loadcnt_dscnt 0x900
	v_mul_f64_e32 v[173:174], v[2:3], v[20:21]
	v_mul_f64_e32 v[20:21], v[4:5], v[20:21]
	ds_load_b128 v[151:154], v1 offset:1312
	v_fma_f64 v[161:162], v[161:162], v[14:15], v[167:168]
	v_fma_f64 v[159:160], v[159:160], v[14:15], -v[16:17]
	scratch_load_b128 v[14:17], off, off offset:624
	v_add_f64_e32 v[163:164], v[163:164], v[171:172]
	v_add_f64_e32 v[165:166], v[165:166], v[169:170]
	v_fma_f64 v[169:170], v[4:5], v[18:19], v[173:174]
	v_fma_f64 v[171:172], v[2:3], v[18:19], -v[20:21]
	ds_load_b128 v[2:5], v1 offset:1328
	s_wait_loadcnt_dscnt 0x901
	v_mul_f64_e32 v[167:168], v[151:152], v[24:25]
	v_mul_f64_e32 v[24:25], v[153:154], v[24:25]
	scratch_load_b128 v[18:21], off, off offset:640
	s_wait_loadcnt_dscnt 0x900
	v_mul_f64_e32 v[173:174], v[2:3], v[28:29]
	v_mul_f64_e32 v[28:29], v[4:5], v[28:29]
	v_add_f64_e32 v[163:164], v[163:164], v[159:160]
	v_add_f64_e32 v[165:166], v[165:166], v[161:162]
	ds_load_b128 v[159:162], v1 offset:1344
	v_fma_f64 v[153:154], v[153:154], v[22:23], v[167:168]
	v_fma_f64 v[151:152], v[151:152], v[22:23], -v[24:25]
	scratch_load_b128 v[22:25], off, off offset:656
	v_add_f64_e32 v[163:164], v[163:164], v[171:172]
	v_add_f64_e32 v[165:166], v[165:166], v[169:170]
	v_fma_f64 v[169:170], v[4:5], v[26:27], v[173:174]
	v_fma_f64 v[171:172], v[2:3], v[26:27], -v[28:29]
	ds_load_b128 v[2:5], v1 offset:1360
	s_wait_loadcnt_dscnt 0x901
	v_mul_f64_e32 v[167:168], v[159:160], v[32:33]
	v_mul_f64_e32 v[32:33], v[161:162], v[32:33]
	scratch_load_b128 v[26:29], off, off offset:672
	s_wait_loadcnt_dscnt 0x900
	v_mul_f64_e32 v[173:174], v[2:3], v[40:41]
	v_mul_f64_e32 v[40:41], v[4:5], v[40:41]
	v_add_f64_e32 v[163:164], v[163:164], v[151:152]
	v_add_f64_e32 v[165:166], v[165:166], v[153:154]
	ds_load_b128 v[151:154], v1 offset:1376
	v_fma_f64 v[161:162], v[161:162], v[30:31], v[167:168]
	v_fma_f64 v[159:160], v[159:160], v[30:31], -v[32:33]
	scratch_load_b128 v[30:33], off, off offset:688
	v_add_f64_e32 v[163:164], v[163:164], v[171:172]
	v_add_f64_e32 v[165:166], v[165:166], v[169:170]
	v_fma_f64 v[171:172], v[4:5], v[38:39], v[173:174]
	v_fma_f64 v[173:174], v[2:3], v[38:39], -v[40:41]
	ds_load_b128 v[2:5], v1 offset:1392
	s_wait_loadcnt_dscnt 0x801
	v_mul_f64_e32 v[167:168], v[151:152], v[157:158]
	v_mul_f64_e32 v[169:170], v[153:154], v[157:158]
	scratch_load_b128 v[38:41], off, off offset:704
	v_add_f64_e32 v[163:164], v[163:164], v[159:160]
	v_add_f64_e32 v[161:162], v[165:166], v[161:162]
	ds_load_b128 v[157:160], v1 offset:1408
	v_fma_f64 v[167:168], v[153:154], v[155:156], v[167:168]
	v_fma_f64 v[155:156], v[151:152], v[155:156], -v[169:170]
	scratch_load_b128 v[151:154], off, off offset:720
	s_wait_loadcnt_dscnt 0x901
	v_mul_f64_e32 v[165:166], v[2:3], v[36:37]
	v_mul_f64_e32 v[36:37], v[4:5], v[36:37]
	v_add_f64_e32 v[163:164], v[163:164], v[173:174]
	v_add_f64_e32 v[161:162], v[161:162], v[171:172]
	s_delay_alu instid0(VALU_DEP_4) | instskip(NEXT) | instid1(VALU_DEP_4)
	v_fma_f64 v[165:166], v[4:5], v[34:35], v[165:166]
	v_fma_f64 v[171:172], v[2:3], v[34:35], -v[36:37]
	ds_load_b128 v[2:5], v1 offset:1424
	s_wait_loadcnt_dscnt 0x801
	v_mul_f64_e32 v[169:170], v[157:158], v[8:9]
	v_mul_f64_e32 v[8:9], v[159:160], v[8:9]
	scratch_load_b128 v[34:37], off, off offset:736
	s_wait_loadcnt_dscnt 0x800
	v_mul_f64_e32 v[173:174], v[2:3], v[12:13]
	v_add_f64_e32 v[155:156], v[163:164], v[155:156]
	v_add_f64_e32 v[167:168], v[161:162], v[167:168]
	v_mul_f64_e32 v[12:13], v[4:5], v[12:13]
	ds_load_b128 v[161:164], v1 offset:1440
	v_fma_f64 v[159:160], v[159:160], v[6:7], v[169:170]
	v_fma_f64 v[157:158], v[157:158], v[6:7], -v[8:9]
	scratch_load_b128 v[6:9], off, off offset:752
	v_fma_f64 v[169:170], v[4:5], v[10:11], v[173:174]
	v_add_f64_e32 v[155:156], v[155:156], v[171:172]
	v_add_f64_e32 v[165:166], v[167:168], v[165:166]
	v_fma_f64 v[171:172], v[2:3], v[10:11], -v[12:13]
	ds_load_b128 v[2:5], v1 offset:1456
	s_wait_loadcnt_dscnt 0x801
	v_mul_f64_e32 v[167:168], v[161:162], v[16:17]
	v_mul_f64_e32 v[16:17], v[163:164], v[16:17]
	scratch_load_b128 v[10:13], off, off offset:768
	v_add_f64_e32 v[173:174], v[155:156], v[157:158]
	v_add_f64_e32 v[159:160], v[165:166], v[159:160]
	s_wait_loadcnt_dscnt 0x800
	v_mul_f64_e32 v[165:166], v[2:3], v[20:21]
	v_mul_f64_e32 v[20:21], v[4:5], v[20:21]
	v_fma_f64 v[163:164], v[163:164], v[14:15], v[167:168]
	v_fma_f64 v[161:162], v[161:162], v[14:15], -v[16:17]
	ds_load_b128 v[155:158], v1 offset:1472
	scratch_load_b128 v[14:17], off, off offset:784
	v_add_f64_e32 v[167:168], v[173:174], v[171:172]
	v_add_f64_e32 v[159:160], v[159:160], v[169:170]
	v_fma_f64 v[165:166], v[4:5], v[18:19], v[165:166]
	v_fma_f64 v[171:172], v[2:3], v[18:19], -v[20:21]
	ds_load_b128 v[2:5], v1 offset:1488
	s_wait_loadcnt_dscnt 0x801
	v_mul_f64_e32 v[169:170], v[155:156], v[24:25]
	v_mul_f64_e32 v[24:25], v[157:158], v[24:25]
	scratch_load_b128 v[18:21], off, off offset:800
	s_wait_loadcnt_dscnt 0x800
	v_mul_f64_e32 v[173:174], v[2:3], v[28:29]
	v_mul_f64_e32 v[28:29], v[4:5], v[28:29]
	v_add_f64_e32 v[167:168], v[167:168], v[161:162]
	v_add_f64_e32 v[163:164], v[159:160], v[163:164]
	ds_load_b128 v[159:162], v1 offset:1504
	v_fma_f64 v[157:158], v[157:158], v[22:23], v[169:170]
	v_fma_f64 v[155:156], v[155:156], v[22:23], -v[24:25]
	scratch_load_b128 v[22:25], off, off offset:816
	v_fma_f64 v[169:170], v[4:5], v[26:27], v[173:174]
	v_add_f64_e32 v[167:168], v[167:168], v[171:172]
	v_add_f64_e32 v[163:164], v[163:164], v[165:166]
	v_fma_f64 v[171:172], v[2:3], v[26:27], -v[28:29]
	ds_load_b128 v[2:5], v1 offset:1520
	s_wait_loadcnt_dscnt 0x801
	v_mul_f64_e32 v[165:166], v[159:160], v[32:33]
	v_mul_f64_e32 v[32:33], v[161:162], v[32:33]
	scratch_load_b128 v[26:29], off, off offset:832
	s_wait_loadcnt_dscnt 0x800
	v_mul_f64_e32 v[173:174], v[2:3], v[40:41]
	v_mul_f64_e32 v[40:41], v[4:5], v[40:41]
	v_add_f64_e32 v[167:168], v[167:168], v[155:156]
	v_add_f64_e32 v[163:164], v[163:164], v[157:158]
	ds_load_b128 v[155:158], v1 offset:1536
	v_fma_f64 v[161:162], v[161:162], v[30:31], v[165:166]
	v_fma_f64 v[30:31], v[159:160], v[30:31], -v[32:33]
	v_fma_f64 v[165:166], v[4:5], v[38:39], v[173:174]
	v_fma_f64 v[38:39], v[2:3], v[38:39], -v[40:41]
	v_add_f64_e32 v[32:33], v[167:168], v[171:172]
	v_add_f64_e32 v[159:160], v[163:164], v[169:170]
	s_wait_loadcnt_dscnt 0x700
	v_mul_f64_e32 v[163:164], v[155:156], v[153:154]
	v_mul_f64_e32 v[153:154], v[157:158], v[153:154]
	s_delay_alu instid0(VALU_DEP_4) | instskip(NEXT) | instid1(VALU_DEP_4)
	v_add_f64_e32 v[40:41], v[32:33], v[30:31]
	v_add_f64_e32 v[159:160], v[159:160], v[161:162]
	ds_load_b128 v[2:5], v1 offset:1552
	ds_load_b128 v[30:33], v1 offset:1568
	v_fma_f64 v[157:158], v[157:158], v[151:152], v[163:164]
	v_fma_f64 v[151:152], v[155:156], v[151:152], -v[153:154]
	s_wait_loadcnt_dscnt 0x601
	v_mul_f64_e32 v[161:162], v[2:3], v[36:37]
	v_mul_f64_e32 v[36:37], v[4:5], v[36:37]
	s_wait_loadcnt_dscnt 0x500
	v_mul_f64_e32 v[153:154], v[30:31], v[8:9]
	v_mul_f64_e32 v[8:9], v[32:33], v[8:9]
	v_add_f64_e32 v[38:39], v[40:41], v[38:39]
	v_add_f64_e32 v[40:41], v[159:160], v[165:166]
	v_fma_f64 v[155:156], v[4:5], v[34:35], v[161:162]
	v_fma_f64 v[159:160], v[2:3], v[34:35], -v[36:37]
	ds_load_b128 v[2:5], v1 offset:1584
	ds_load_b128 v[34:37], v1 offset:1600
	v_fma_f64 v[32:33], v[32:33], v[6:7], v[153:154]
	v_fma_f64 v[6:7], v[30:31], v[6:7], -v[8:9]
	v_add_f64_e32 v[38:39], v[38:39], v[151:152]
	v_add_f64_e32 v[40:41], v[40:41], v[157:158]
	s_wait_loadcnt_dscnt 0x401
	v_mul_f64_e32 v[151:152], v[2:3], v[12:13]
	v_mul_f64_e32 v[12:13], v[4:5], v[12:13]
	s_delay_alu instid0(VALU_DEP_4) | instskip(NEXT) | instid1(VALU_DEP_4)
	v_add_f64_e32 v[8:9], v[38:39], v[159:160]
	v_add_f64_e32 v[30:31], v[40:41], v[155:156]
	s_wait_loadcnt_dscnt 0x300
	v_mul_f64_e32 v[38:39], v[34:35], v[16:17]
	v_mul_f64_e32 v[16:17], v[36:37], v[16:17]
	v_fma_f64 v[40:41], v[4:5], v[10:11], v[151:152]
	v_fma_f64 v[10:11], v[2:3], v[10:11], -v[12:13]
	v_add_f64_e32 v[12:13], v[8:9], v[6:7]
	v_add_f64_e32 v[30:31], v[30:31], v[32:33]
	ds_load_b128 v[2:5], v1 offset:1616
	ds_load_b128 v[6:9], v1 offset:1632
	v_fma_f64 v[36:37], v[36:37], v[14:15], v[38:39]
	v_fma_f64 v[14:15], v[34:35], v[14:15], -v[16:17]
	s_wait_loadcnt_dscnt 0x201
	v_mul_f64_e32 v[32:33], v[2:3], v[20:21]
	v_mul_f64_e32 v[20:21], v[4:5], v[20:21]
	s_wait_loadcnt_dscnt 0x100
	v_mul_f64_e32 v[16:17], v[6:7], v[24:25]
	v_mul_f64_e32 v[24:25], v[8:9], v[24:25]
	v_add_f64_e32 v[10:11], v[12:13], v[10:11]
	v_add_f64_e32 v[12:13], v[30:31], v[40:41]
	v_fma_f64 v[30:31], v[4:5], v[18:19], v[32:33]
	v_fma_f64 v[18:19], v[2:3], v[18:19], -v[20:21]
	ds_load_b128 v[2:5], v1 offset:1648
	v_fma_f64 v[8:9], v[8:9], v[22:23], v[16:17]
	v_fma_f64 v[6:7], v[6:7], v[22:23], -v[24:25]
	v_add_f64_e32 v[10:11], v[10:11], v[14:15]
	v_add_f64_e32 v[12:13], v[12:13], v[36:37]
	s_wait_loadcnt_dscnt 0x0
	v_mul_f64_e32 v[14:15], v[2:3], v[28:29]
	v_mul_f64_e32 v[20:21], v[4:5], v[28:29]
	s_delay_alu instid0(VALU_DEP_4) | instskip(NEXT) | instid1(VALU_DEP_4)
	v_add_f64_e32 v[10:11], v[10:11], v[18:19]
	v_add_f64_e32 v[12:13], v[12:13], v[30:31]
	s_delay_alu instid0(VALU_DEP_4) | instskip(NEXT) | instid1(VALU_DEP_4)
	v_fma_f64 v[4:5], v[4:5], v[26:27], v[14:15]
	v_fma_f64 v[2:3], v[2:3], v[26:27], -v[20:21]
	s_delay_alu instid0(VALU_DEP_4) | instskip(NEXT) | instid1(VALU_DEP_4)
	v_add_f64_e32 v[6:7], v[10:11], v[6:7]
	v_add_f64_e32 v[8:9], v[12:13], v[8:9]
	s_delay_alu instid0(VALU_DEP_2) | instskip(NEXT) | instid1(VALU_DEP_2)
	v_add_f64_e32 v[2:3], v[6:7], v[2:3]
	v_add_f64_e32 v[4:5], v[8:9], v[4:5]
	s_delay_alu instid0(VALU_DEP_2) | instskip(NEXT) | instid1(VALU_DEP_2)
	v_add_f64_e64 v[2:3], v[42:43], -v[2:3]
	v_add_f64_e64 v[4:5], v[44:45], -v[4:5]
	scratch_store_b128 off, v[2:5], off offset:400
	v_cmpx_lt_u32_e32 23, v0
	s_cbranch_execz .LBB51_279
; %bb.278:
	scratch_load_b128 v[5:8], off, s29
	v_dual_mov_b32 v2, v1 :: v_dual_mov_b32 v3, v1
	v_mov_b32_e32 v4, v1
	scratch_store_b128 off, v[1:4], off offset:384
	s_wait_loadcnt 0x0
	ds_store_b128 v150, v[5:8]
.LBB51_279:
	s_wait_alu 0xfffe
	s_or_b32 exec_lo, exec_lo, s0
	s_wait_storecnt_dscnt 0x0
	s_barrier_signal -1
	s_barrier_wait -1
	global_inv scope:SCOPE_SE
	s_clause 0x8
	scratch_load_b128 v[2:5], off, off offset:400
	scratch_load_b128 v[6:9], off, off offset:416
	;; [unrolled: 1-line block ×9, first 2 shown]
	ds_load_b128 v[38:41], v1 offset:1216
	ds_load_b128 v[42:45], v1 offset:1232
	s_clause 0x1
	scratch_load_b128 v[151:154], off, off offset:384
	scratch_load_b128 v[155:158], off, off offset:544
	s_mov_b32 s0, exec_lo
	s_wait_loadcnt_dscnt 0xa01
	v_mul_f64_e32 v[159:160], v[40:41], v[4:5]
	v_mul_f64_e32 v[4:5], v[38:39], v[4:5]
	s_wait_loadcnt_dscnt 0x900
	v_mul_f64_e32 v[163:164], v[42:43], v[8:9]
	v_mul_f64_e32 v[8:9], v[44:45], v[8:9]
	s_delay_alu instid0(VALU_DEP_4) | instskip(NEXT) | instid1(VALU_DEP_4)
	v_fma_f64 v[165:166], v[38:39], v[2:3], -v[159:160]
	v_fma_f64 v[167:168], v[40:41], v[2:3], v[4:5]
	ds_load_b128 v[2:5], v1 offset:1248
	ds_load_b128 v[159:162], v1 offset:1264
	scratch_load_b128 v[38:41], off, off offset:560
	v_fma_f64 v[44:45], v[44:45], v[6:7], v[163:164]
	v_fma_f64 v[42:43], v[42:43], v[6:7], -v[8:9]
	scratch_load_b128 v[6:9], off, off offset:576
	s_wait_loadcnt_dscnt 0xa01
	v_mul_f64_e32 v[169:170], v[2:3], v[12:13]
	v_mul_f64_e32 v[12:13], v[4:5], v[12:13]
	v_add_f64_e32 v[163:164], 0, v[165:166]
	v_add_f64_e32 v[165:166], 0, v[167:168]
	s_wait_loadcnt_dscnt 0x900
	v_mul_f64_e32 v[167:168], v[159:160], v[16:17]
	v_mul_f64_e32 v[16:17], v[161:162], v[16:17]
	v_fma_f64 v[169:170], v[4:5], v[10:11], v[169:170]
	v_fma_f64 v[171:172], v[2:3], v[10:11], -v[12:13]
	ds_load_b128 v[2:5], v1 offset:1280
	scratch_load_b128 v[10:13], off, off offset:592
	v_add_f64_e32 v[163:164], v[163:164], v[42:43]
	v_add_f64_e32 v[165:166], v[165:166], v[44:45]
	ds_load_b128 v[42:45], v1 offset:1296
	v_fma_f64 v[161:162], v[161:162], v[14:15], v[167:168]
	v_fma_f64 v[159:160], v[159:160], v[14:15], -v[16:17]
	scratch_load_b128 v[14:17], off, off offset:608
	s_wait_loadcnt_dscnt 0xa01
	v_mul_f64_e32 v[173:174], v[2:3], v[20:21]
	v_mul_f64_e32 v[20:21], v[4:5], v[20:21]
	s_wait_loadcnt_dscnt 0x900
	v_mul_f64_e32 v[167:168], v[42:43], v[24:25]
	v_mul_f64_e32 v[24:25], v[44:45], v[24:25]
	v_add_f64_e32 v[163:164], v[163:164], v[171:172]
	v_add_f64_e32 v[165:166], v[165:166], v[169:170]
	v_fma_f64 v[169:170], v[4:5], v[18:19], v[173:174]
	v_fma_f64 v[171:172], v[2:3], v[18:19], -v[20:21]
	ds_load_b128 v[2:5], v1 offset:1312
	scratch_load_b128 v[18:21], off, off offset:624
	v_fma_f64 v[44:45], v[44:45], v[22:23], v[167:168]
	v_fma_f64 v[42:43], v[42:43], v[22:23], -v[24:25]
	scratch_load_b128 v[22:25], off, off offset:640
	v_add_f64_e32 v[163:164], v[163:164], v[159:160]
	v_add_f64_e32 v[165:166], v[165:166], v[161:162]
	ds_load_b128 v[159:162], v1 offset:1328
	s_wait_loadcnt_dscnt 0xa01
	v_mul_f64_e32 v[173:174], v[2:3], v[28:29]
	v_mul_f64_e32 v[28:29], v[4:5], v[28:29]
	s_wait_loadcnt_dscnt 0x900
	v_mul_f64_e32 v[167:168], v[159:160], v[32:33]
	v_mul_f64_e32 v[32:33], v[161:162], v[32:33]
	v_add_f64_e32 v[163:164], v[163:164], v[171:172]
	v_add_f64_e32 v[165:166], v[165:166], v[169:170]
	v_fma_f64 v[169:170], v[4:5], v[26:27], v[173:174]
	v_fma_f64 v[171:172], v[2:3], v[26:27], -v[28:29]
	ds_load_b128 v[2:5], v1 offset:1344
	scratch_load_b128 v[26:29], off, off offset:656
	v_fma_f64 v[161:162], v[161:162], v[30:31], v[167:168]
	v_fma_f64 v[159:160], v[159:160], v[30:31], -v[32:33]
	scratch_load_b128 v[30:33], off, off offset:672
	v_add_f64_e32 v[163:164], v[163:164], v[42:43]
	v_add_f64_e32 v[165:166], v[165:166], v[44:45]
	ds_load_b128 v[42:45], v1 offset:1360
	s_wait_loadcnt_dscnt 0xa01
	v_mul_f64_e32 v[173:174], v[2:3], v[36:37]
	v_mul_f64_e32 v[36:37], v[4:5], v[36:37]
	s_wait_loadcnt_dscnt 0x800
	v_mul_f64_e32 v[167:168], v[42:43], v[157:158]
	v_add_f64_e32 v[163:164], v[163:164], v[171:172]
	v_add_f64_e32 v[165:166], v[165:166], v[169:170]
	v_mul_f64_e32 v[169:170], v[44:45], v[157:158]
	v_fma_f64 v[171:172], v[4:5], v[34:35], v[173:174]
	v_fma_f64 v[173:174], v[2:3], v[34:35], -v[36:37]
	ds_load_b128 v[2:5], v1 offset:1376
	scratch_load_b128 v[34:37], off, off offset:688
	v_fma_f64 v[44:45], v[44:45], v[155:156], v[167:168]
	v_add_f64_e32 v[163:164], v[163:164], v[159:160]
	v_add_f64_e32 v[161:162], v[165:166], v[161:162]
	ds_load_b128 v[157:160], v1 offset:1392
	v_fma_f64 v[155:156], v[42:43], v[155:156], -v[169:170]
	s_wait_loadcnt_dscnt 0x801
	v_mul_f64_e32 v[165:166], v[2:3], v[40:41]
	v_mul_f64_e32 v[175:176], v[4:5], v[40:41]
	scratch_load_b128 v[40:43], off, off offset:704
	s_wait_loadcnt_dscnt 0x800
	v_mul_f64_e32 v[169:170], v[157:158], v[8:9]
	v_mul_f64_e32 v[8:9], v[159:160], v[8:9]
	v_add_f64_e32 v[163:164], v[163:164], v[173:174]
	v_add_f64_e32 v[161:162], v[161:162], v[171:172]
	v_fma_f64 v[171:172], v[4:5], v[38:39], v[165:166]
	v_fma_f64 v[38:39], v[2:3], v[38:39], -v[175:176]
	ds_load_b128 v[2:5], v1 offset:1408
	ds_load_b128 v[165:168], v1 offset:1424
	v_fma_f64 v[159:160], v[159:160], v[6:7], v[169:170]
	v_fma_f64 v[157:158], v[157:158], v[6:7], -v[8:9]
	scratch_load_b128 v[6:9], off, off offset:736
	v_add_f64_e32 v[155:156], v[163:164], v[155:156]
	v_add_f64_e32 v[44:45], v[161:162], v[44:45]
	scratch_load_b128 v[161:164], off, off offset:720
	s_wait_loadcnt_dscnt 0x901
	v_mul_f64_e32 v[173:174], v[2:3], v[12:13]
	v_mul_f64_e32 v[12:13], v[4:5], v[12:13]
	s_wait_loadcnt_dscnt 0x800
	v_mul_f64_e32 v[169:170], v[165:166], v[16:17]
	v_mul_f64_e32 v[16:17], v[167:168], v[16:17]
	v_add_f64_e32 v[38:39], v[155:156], v[38:39]
	v_add_f64_e32 v[44:45], v[44:45], v[171:172]
	v_fma_f64 v[171:172], v[4:5], v[10:11], v[173:174]
	v_fma_f64 v[173:174], v[2:3], v[10:11], -v[12:13]
	ds_load_b128 v[2:5], v1 offset:1440
	scratch_load_b128 v[10:13], off, off offset:752
	v_fma_f64 v[167:168], v[167:168], v[14:15], v[169:170]
	v_fma_f64 v[165:166], v[165:166], v[14:15], -v[16:17]
	scratch_load_b128 v[14:17], off, off offset:768
	v_add_f64_e32 v[38:39], v[38:39], v[157:158]
	v_add_f64_e32 v[44:45], v[44:45], v[159:160]
	ds_load_b128 v[155:158], v1 offset:1456
	s_wait_loadcnt_dscnt 0x901
	v_mul_f64_e32 v[159:160], v[2:3], v[20:21]
	v_mul_f64_e32 v[20:21], v[4:5], v[20:21]
	s_wait_loadcnt_dscnt 0x800
	v_mul_f64_e32 v[169:170], v[155:156], v[24:25]
	v_mul_f64_e32 v[24:25], v[157:158], v[24:25]
	v_add_f64_e32 v[38:39], v[38:39], v[173:174]
	v_add_f64_e32 v[44:45], v[44:45], v[171:172]
	v_fma_f64 v[159:160], v[4:5], v[18:19], v[159:160]
	v_fma_f64 v[171:172], v[2:3], v[18:19], -v[20:21]
	ds_load_b128 v[2:5], v1 offset:1472
	scratch_load_b128 v[18:21], off, off offset:784
	v_fma_f64 v[157:158], v[157:158], v[22:23], v[169:170]
	v_fma_f64 v[155:156], v[155:156], v[22:23], -v[24:25]
	scratch_load_b128 v[22:25], off, off offset:800
	v_add_f64_e32 v[38:39], v[38:39], v[165:166]
	v_add_f64_e32 v[44:45], v[44:45], v[167:168]
	ds_load_b128 v[165:168], v1 offset:1488
	s_wait_loadcnt_dscnt 0x901
	v_mul_f64_e32 v[173:174], v[2:3], v[28:29]
	v_mul_f64_e32 v[28:29], v[4:5], v[28:29]
	v_add_f64_e32 v[38:39], v[38:39], v[171:172]
	v_add_f64_e32 v[44:45], v[44:45], v[159:160]
	s_wait_loadcnt_dscnt 0x800
	v_mul_f64_e32 v[159:160], v[165:166], v[32:33]
	v_mul_f64_e32 v[32:33], v[167:168], v[32:33]
	v_fma_f64 v[169:170], v[4:5], v[26:27], v[173:174]
	v_fma_f64 v[171:172], v[2:3], v[26:27], -v[28:29]
	ds_load_b128 v[2:5], v1 offset:1504
	scratch_load_b128 v[26:29], off, off offset:816
	v_add_f64_e32 v[38:39], v[38:39], v[155:156]
	v_add_f64_e32 v[44:45], v[44:45], v[157:158]
	ds_load_b128 v[155:158], v1 offset:1520
	s_wait_loadcnt_dscnt 0x801
	v_mul_f64_e32 v[173:174], v[2:3], v[36:37]
	v_mul_f64_e32 v[36:37], v[4:5], v[36:37]
	v_fma_f64 v[159:160], v[167:168], v[30:31], v[159:160]
	v_fma_f64 v[165:166], v[165:166], v[30:31], -v[32:33]
	scratch_load_b128 v[30:33], off, off offset:832
	s_wait_loadcnt_dscnt 0x800
	v_mul_f64_e32 v[167:168], v[155:156], v[42:43]
	v_add_f64_e32 v[38:39], v[38:39], v[171:172]
	v_add_f64_e32 v[44:45], v[44:45], v[169:170]
	v_mul_f64_e32 v[42:43], v[157:158], v[42:43]
	v_fma_f64 v[169:170], v[4:5], v[34:35], v[173:174]
	v_fma_f64 v[171:172], v[2:3], v[34:35], -v[36:37]
	ds_load_b128 v[2:5], v1 offset:1536
	ds_load_b128 v[34:37], v1 offset:1552
	v_fma_f64 v[157:158], v[157:158], v[40:41], v[167:168]
	v_add_f64_e32 v[38:39], v[38:39], v[165:166]
	v_add_f64_e32 v[44:45], v[44:45], v[159:160]
	v_fma_f64 v[40:41], v[155:156], v[40:41], -v[42:43]
	s_wait_loadcnt_dscnt 0x601
	v_mul_f64_e32 v[159:160], v[2:3], v[163:164]
	v_mul_f64_e32 v[163:164], v[4:5], v[163:164]
	v_add_f64_e32 v[38:39], v[38:39], v[171:172]
	v_add_f64_e32 v[42:43], v[44:45], v[169:170]
	s_wait_dscnt 0x0
	v_mul_f64_e32 v[44:45], v[34:35], v[8:9]
	v_mul_f64_e32 v[8:9], v[36:37], v[8:9]
	v_fma_f64 v[155:156], v[4:5], v[161:162], v[159:160]
	v_fma_f64 v[159:160], v[2:3], v[161:162], -v[163:164]
	v_add_f64_e32 v[161:162], v[38:39], v[40:41]
	v_add_f64_e32 v[42:43], v[42:43], v[157:158]
	ds_load_b128 v[2:5], v1 offset:1568
	ds_load_b128 v[38:41], v1 offset:1584
	v_fma_f64 v[36:37], v[36:37], v[6:7], v[44:45]
	v_fma_f64 v[6:7], v[34:35], v[6:7], -v[8:9]
	s_wait_loadcnt_dscnt 0x501
	v_mul_f64_e32 v[157:158], v[2:3], v[12:13]
	v_mul_f64_e32 v[12:13], v[4:5], v[12:13]
	v_add_f64_e32 v[8:9], v[161:162], v[159:160]
	v_add_f64_e32 v[34:35], v[42:43], v[155:156]
	s_wait_loadcnt_dscnt 0x400
	v_mul_f64_e32 v[42:43], v[38:39], v[16:17]
	v_mul_f64_e32 v[16:17], v[40:41], v[16:17]
	v_fma_f64 v[44:45], v[4:5], v[10:11], v[157:158]
	v_fma_f64 v[10:11], v[2:3], v[10:11], -v[12:13]
	v_add_f64_e32 v[12:13], v[8:9], v[6:7]
	v_add_f64_e32 v[34:35], v[34:35], v[36:37]
	ds_load_b128 v[2:5], v1 offset:1600
	ds_load_b128 v[6:9], v1 offset:1616
	v_fma_f64 v[40:41], v[40:41], v[14:15], v[42:43]
	v_fma_f64 v[14:15], v[38:39], v[14:15], -v[16:17]
	s_wait_loadcnt_dscnt 0x301
	v_mul_f64_e32 v[36:37], v[2:3], v[20:21]
	v_mul_f64_e32 v[20:21], v[4:5], v[20:21]
	s_wait_loadcnt_dscnt 0x200
	v_mul_f64_e32 v[16:17], v[6:7], v[24:25]
	v_mul_f64_e32 v[24:25], v[8:9], v[24:25]
	v_add_f64_e32 v[10:11], v[12:13], v[10:11]
	v_add_f64_e32 v[12:13], v[34:35], v[44:45]
	v_fma_f64 v[34:35], v[4:5], v[18:19], v[36:37]
	v_fma_f64 v[18:19], v[2:3], v[18:19], -v[20:21]
	v_fma_f64 v[8:9], v[8:9], v[22:23], v[16:17]
	v_fma_f64 v[6:7], v[6:7], v[22:23], -v[24:25]
	v_add_f64_e32 v[14:15], v[10:11], v[14:15]
	v_add_f64_e32 v[20:21], v[12:13], v[40:41]
	ds_load_b128 v[2:5], v1 offset:1632
	ds_load_b128 v[10:13], v1 offset:1648
	s_wait_loadcnt_dscnt 0x101
	v_mul_f64_e32 v[36:37], v[2:3], v[28:29]
	v_mul_f64_e32 v[28:29], v[4:5], v[28:29]
	v_add_f64_e32 v[14:15], v[14:15], v[18:19]
	v_add_f64_e32 v[16:17], v[20:21], v[34:35]
	s_wait_loadcnt_dscnt 0x0
	v_mul_f64_e32 v[18:19], v[10:11], v[32:33]
	v_mul_f64_e32 v[20:21], v[12:13], v[32:33]
	v_fma_f64 v[4:5], v[4:5], v[26:27], v[36:37]
	v_fma_f64 v[1:2], v[2:3], v[26:27], -v[28:29]
	v_add_f64_e32 v[6:7], v[14:15], v[6:7]
	v_add_f64_e32 v[8:9], v[16:17], v[8:9]
	v_fma_f64 v[12:13], v[12:13], v[30:31], v[18:19]
	v_fma_f64 v[10:11], v[10:11], v[30:31], -v[20:21]
	s_delay_alu instid0(VALU_DEP_4) | instskip(NEXT) | instid1(VALU_DEP_4)
	v_add_f64_e32 v[1:2], v[6:7], v[1:2]
	v_add_f64_e32 v[3:4], v[8:9], v[4:5]
	s_delay_alu instid0(VALU_DEP_2) | instskip(NEXT) | instid1(VALU_DEP_2)
	v_add_f64_e32 v[1:2], v[1:2], v[10:11]
	v_add_f64_e32 v[3:4], v[3:4], v[12:13]
	s_delay_alu instid0(VALU_DEP_2) | instskip(NEXT) | instid1(VALU_DEP_2)
	v_add_f64_e64 v[1:2], v[151:152], -v[1:2]
	v_add_f64_e64 v[3:4], v[153:154], -v[3:4]
	scratch_store_b128 off, v[1:4], off offset:384
	v_cmpx_lt_u32_e32 22, v0
	s_cbranch_execz .LBB51_281
; %bb.280:
	scratch_load_b128 v[1:4], off, s35
	v_mov_b32_e32 v5, 0
	s_delay_alu instid0(VALU_DEP_1)
	v_dual_mov_b32 v6, v5 :: v_dual_mov_b32 v7, v5
	v_mov_b32_e32 v8, v5
	scratch_store_b128 off, v[5:8], off offset:368
	s_wait_loadcnt 0x0
	ds_store_b128 v150, v[1:4]
.LBB51_281:
	s_wait_alu 0xfffe
	s_or_b32 exec_lo, exec_lo, s0
	s_wait_storecnt_dscnt 0x0
	s_barrier_signal -1
	s_barrier_wait -1
	global_inv scope:SCOPE_SE
	s_clause 0x7
	scratch_load_b128 v[2:5], off, off offset:384
	scratch_load_b128 v[6:9], off, off offset:400
	;; [unrolled: 1-line block ×8, first 2 shown]
	v_mov_b32_e32 v1, 0
	s_mov_b32 s0, exec_lo
	ds_load_b128 v[34:37], v1 offset:1200
	s_clause 0x1
	scratch_load_b128 v[38:41], off, off offset:512
	scratch_load_b128 v[42:45], off, off offset:368
	ds_load_b128 v[151:154], v1 offset:1216
	scratch_load_b128 v[155:158], off, off offset:528
	s_wait_loadcnt_dscnt 0xa01
	v_mul_f64_e32 v[159:160], v[36:37], v[4:5]
	v_mul_f64_e32 v[4:5], v[34:35], v[4:5]
	s_delay_alu instid0(VALU_DEP_2) | instskip(NEXT) | instid1(VALU_DEP_2)
	v_fma_f64 v[165:166], v[34:35], v[2:3], -v[159:160]
	v_fma_f64 v[167:168], v[36:37], v[2:3], v[4:5]
	ds_load_b128 v[2:5], v1 offset:1232
	s_wait_loadcnt_dscnt 0x901
	v_mul_f64_e32 v[163:164], v[151:152], v[8:9]
	v_mul_f64_e32 v[8:9], v[153:154], v[8:9]
	scratch_load_b128 v[34:37], off, off offset:544
	ds_load_b128 v[159:162], v1 offset:1248
	s_wait_loadcnt_dscnt 0x901
	v_mul_f64_e32 v[169:170], v[2:3], v[12:13]
	v_mul_f64_e32 v[12:13], v[4:5], v[12:13]
	v_fma_f64 v[153:154], v[153:154], v[6:7], v[163:164]
	v_fma_f64 v[151:152], v[151:152], v[6:7], -v[8:9]
	v_add_f64_e32 v[163:164], 0, v[165:166]
	v_add_f64_e32 v[165:166], 0, v[167:168]
	scratch_load_b128 v[6:9], off, off offset:560
	v_fma_f64 v[169:170], v[4:5], v[10:11], v[169:170]
	v_fma_f64 v[171:172], v[2:3], v[10:11], -v[12:13]
	ds_load_b128 v[2:5], v1 offset:1264
	s_wait_loadcnt_dscnt 0x901
	v_mul_f64_e32 v[167:168], v[159:160], v[16:17]
	v_mul_f64_e32 v[16:17], v[161:162], v[16:17]
	scratch_load_b128 v[10:13], off, off offset:576
	v_add_f64_e32 v[163:164], v[163:164], v[151:152]
	v_add_f64_e32 v[165:166], v[165:166], v[153:154]
	s_wait_loadcnt_dscnt 0x900
	v_mul_f64_e32 v[173:174], v[2:3], v[20:21]
	v_mul_f64_e32 v[20:21], v[4:5], v[20:21]
	ds_load_b128 v[151:154], v1 offset:1280
	v_fma_f64 v[161:162], v[161:162], v[14:15], v[167:168]
	v_fma_f64 v[159:160], v[159:160], v[14:15], -v[16:17]
	scratch_load_b128 v[14:17], off, off offset:592
	v_add_f64_e32 v[163:164], v[163:164], v[171:172]
	v_add_f64_e32 v[165:166], v[165:166], v[169:170]
	v_fma_f64 v[169:170], v[4:5], v[18:19], v[173:174]
	v_fma_f64 v[171:172], v[2:3], v[18:19], -v[20:21]
	ds_load_b128 v[2:5], v1 offset:1296
	s_wait_loadcnt_dscnt 0x901
	v_mul_f64_e32 v[167:168], v[151:152], v[24:25]
	v_mul_f64_e32 v[24:25], v[153:154], v[24:25]
	scratch_load_b128 v[18:21], off, off offset:608
	s_wait_loadcnt_dscnt 0x900
	v_mul_f64_e32 v[173:174], v[2:3], v[28:29]
	v_mul_f64_e32 v[28:29], v[4:5], v[28:29]
	v_add_f64_e32 v[163:164], v[163:164], v[159:160]
	v_add_f64_e32 v[165:166], v[165:166], v[161:162]
	ds_load_b128 v[159:162], v1 offset:1312
	v_fma_f64 v[153:154], v[153:154], v[22:23], v[167:168]
	v_fma_f64 v[151:152], v[151:152], v[22:23], -v[24:25]
	scratch_load_b128 v[22:25], off, off offset:624
	v_add_f64_e32 v[163:164], v[163:164], v[171:172]
	v_add_f64_e32 v[165:166], v[165:166], v[169:170]
	v_fma_f64 v[169:170], v[4:5], v[26:27], v[173:174]
	v_fma_f64 v[171:172], v[2:3], v[26:27], -v[28:29]
	ds_load_b128 v[2:5], v1 offset:1328
	s_wait_loadcnt_dscnt 0x901
	v_mul_f64_e32 v[167:168], v[159:160], v[32:33]
	v_mul_f64_e32 v[32:33], v[161:162], v[32:33]
	scratch_load_b128 v[26:29], off, off offset:640
	s_wait_loadcnt_dscnt 0x900
	v_mul_f64_e32 v[173:174], v[2:3], v[40:41]
	v_mul_f64_e32 v[40:41], v[4:5], v[40:41]
	v_add_f64_e32 v[163:164], v[163:164], v[151:152]
	v_add_f64_e32 v[165:166], v[165:166], v[153:154]
	ds_load_b128 v[151:154], v1 offset:1344
	v_fma_f64 v[161:162], v[161:162], v[30:31], v[167:168]
	v_fma_f64 v[159:160], v[159:160], v[30:31], -v[32:33]
	scratch_load_b128 v[30:33], off, off offset:656
	v_add_f64_e32 v[163:164], v[163:164], v[171:172]
	v_add_f64_e32 v[165:166], v[165:166], v[169:170]
	v_fma_f64 v[171:172], v[4:5], v[38:39], v[173:174]
	v_fma_f64 v[173:174], v[2:3], v[38:39], -v[40:41]
	ds_load_b128 v[2:5], v1 offset:1360
	s_wait_loadcnt_dscnt 0x801
	v_mul_f64_e32 v[167:168], v[151:152], v[157:158]
	v_mul_f64_e32 v[169:170], v[153:154], v[157:158]
	scratch_load_b128 v[38:41], off, off offset:672
	v_add_f64_e32 v[163:164], v[163:164], v[159:160]
	v_add_f64_e32 v[161:162], v[165:166], v[161:162]
	ds_load_b128 v[157:160], v1 offset:1376
	v_fma_f64 v[167:168], v[153:154], v[155:156], v[167:168]
	v_fma_f64 v[155:156], v[151:152], v[155:156], -v[169:170]
	scratch_load_b128 v[151:154], off, off offset:688
	s_wait_loadcnt_dscnt 0x901
	v_mul_f64_e32 v[165:166], v[2:3], v[36:37]
	v_mul_f64_e32 v[36:37], v[4:5], v[36:37]
	v_add_f64_e32 v[163:164], v[163:164], v[173:174]
	v_add_f64_e32 v[161:162], v[161:162], v[171:172]
	s_delay_alu instid0(VALU_DEP_4) | instskip(NEXT) | instid1(VALU_DEP_4)
	v_fma_f64 v[165:166], v[4:5], v[34:35], v[165:166]
	v_fma_f64 v[171:172], v[2:3], v[34:35], -v[36:37]
	ds_load_b128 v[2:5], v1 offset:1392
	s_wait_loadcnt_dscnt 0x801
	v_mul_f64_e32 v[169:170], v[157:158], v[8:9]
	v_mul_f64_e32 v[8:9], v[159:160], v[8:9]
	scratch_load_b128 v[34:37], off, off offset:704
	s_wait_loadcnt_dscnt 0x800
	v_mul_f64_e32 v[173:174], v[2:3], v[12:13]
	v_add_f64_e32 v[155:156], v[163:164], v[155:156]
	v_add_f64_e32 v[167:168], v[161:162], v[167:168]
	v_mul_f64_e32 v[12:13], v[4:5], v[12:13]
	ds_load_b128 v[161:164], v1 offset:1408
	v_fma_f64 v[159:160], v[159:160], v[6:7], v[169:170]
	v_fma_f64 v[157:158], v[157:158], v[6:7], -v[8:9]
	scratch_load_b128 v[6:9], off, off offset:720
	v_fma_f64 v[169:170], v[4:5], v[10:11], v[173:174]
	v_add_f64_e32 v[155:156], v[155:156], v[171:172]
	v_add_f64_e32 v[165:166], v[167:168], v[165:166]
	v_fma_f64 v[171:172], v[2:3], v[10:11], -v[12:13]
	ds_load_b128 v[2:5], v1 offset:1424
	s_wait_loadcnt_dscnt 0x801
	v_mul_f64_e32 v[167:168], v[161:162], v[16:17]
	v_mul_f64_e32 v[16:17], v[163:164], v[16:17]
	scratch_load_b128 v[10:13], off, off offset:736
	v_add_f64_e32 v[173:174], v[155:156], v[157:158]
	v_add_f64_e32 v[159:160], v[165:166], v[159:160]
	s_wait_loadcnt_dscnt 0x800
	v_mul_f64_e32 v[165:166], v[2:3], v[20:21]
	v_mul_f64_e32 v[20:21], v[4:5], v[20:21]
	v_fma_f64 v[163:164], v[163:164], v[14:15], v[167:168]
	v_fma_f64 v[161:162], v[161:162], v[14:15], -v[16:17]
	ds_load_b128 v[155:158], v1 offset:1440
	scratch_load_b128 v[14:17], off, off offset:752
	v_add_f64_e32 v[167:168], v[173:174], v[171:172]
	v_add_f64_e32 v[159:160], v[159:160], v[169:170]
	v_fma_f64 v[165:166], v[4:5], v[18:19], v[165:166]
	v_fma_f64 v[171:172], v[2:3], v[18:19], -v[20:21]
	ds_load_b128 v[2:5], v1 offset:1456
	s_wait_loadcnt_dscnt 0x801
	v_mul_f64_e32 v[169:170], v[155:156], v[24:25]
	v_mul_f64_e32 v[24:25], v[157:158], v[24:25]
	scratch_load_b128 v[18:21], off, off offset:768
	s_wait_loadcnt_dscnt 0x800
	v_mul_f64_e32 v[173:174], v[2:3], v[28:29]
	v_mul_f64_e32 v[28:29], v[4:5], v[28:29]
	v_add_f64_e32 v[167:168], v[167:168], v[161:162]
	v_add_f64_e32 v[163:164], v[159:160], v[163:164]
	ds_load_b128 v[159:162], v1 offset:1472
	v_fma_f64 v[157:158], v[157:158], v[22:23], v[169:170]
	v_fma_f64 v[155:156], v[155:156], v[22:23], -v[24:25]
	scratch_load_b128 v[22:25], off, off offset:784
	v_fma_f64 v[169:170], v[4:5], v[26:27], v[173:174]
	v_add_f64_e32 v[167:168], v[167:168], v[171:172]
	v_add_f64_e32 v[163:164], v[163:164], v[165:166]
	v_fma_f64 v[171:172], v[2:3], v[26:27], -v[28:29]
	ds_load_b128 v[2:5], v1 offset:1488
	s_wait_loadcnt_dscnt 0x801
	v_mul_f64_e32 v[165:166], v[159:160], v[32:33]
	v_mul_f64_e32 v[32:33], v[161:162], v[32:33]
	scratch_load_b128 v[26:29], off, off offset:800
	s_wait_loadcnt_dscnt 0x800
	v_mul_f64_e32 v[173:174], v[2:3], v[40:41]
	v_mul_f64_e32 v[40:41], v[4:5], v[40:41]
	v_add_f64_e32 v[167:168], v[167:168], v[155:156]
	v_add_f64_e32 v[163:164], v[163:164], v[157:158]
	ds_load_b128 v[155:158], v1 offset:1504
	v_fma_f64 v[161:162], v[161:162], v[30:31], v[165:166]
	v_fma_f64 v[159:160], v[159:160], v[30:31], -v[32:33]
	scratch_load_b128 v[30:33], off, off offset:816
	v_add_f64_e32 v[165:166], v[167:168], v[171:172]
	v_add_f64_e32 v[163:164], v[163:164], v[169:170]
	v_fma_f64 v[169:170], v[4:5], v[38:39], v[173:174]
	v_fma_f64 v[171:172], v[2:3], v[38:39], -v[40:41]
	ds_load_b128 v[2:5], v1 offset:1520
	s_wait_loadcnt_dscnt 0x801
	v_mul_f64_e32 v[167:168], v[155:156], v[153:154]
	v_mul_f64_e32 v[153:154], v[157:158], v[153:154]
	scratch_load_b128 v[38:41], off, off offset:832
	s_wait_loadcnt_dscnt 0x800
	v_mul_f64_e32 v[173:174], v[2:3], v[36:37]
	v_mul_f64_e32 v[36:37], v[4:5], v[36:37]
	v_add_f64_e32 v[165:166], v[165:166], v[159:160]
	v_add_f64_e32 v[163:164], v[163:164], v[161:162]
	ds_load_b128 v[159:162], v1 offset:1536
	v_fma_f64 v[157:158], v[157:158], v[151:152], v[167:168]
	v_fma_f64 v[151:152], v[155:156], v[151:152], -v[153:154]
	v_fma_f64 v[167:168], v[2:3], v[34:35], -v[36:37]
	v_add_f64_e32 v[153:154], v[165:166], v[171:172]
	v_add_f64_e32 v[155:156], v[163:164], v[169:170]
	s_wait_loadcnt_dscnt 0x700
	v_mul_f64_e32 v[163:164], v[159:160], v[8:9]
	v_mul_f64_e32 v[8:9], v[161:162], v[8:9]
	v_fma_f64 v[165:166], v[4:5], v[34:35], v[173:174]
	ds_load_b128 v[2:5], v1 offset:1552
	ds_load_b128 v[34:37], v1 offset:1568
	v_add_f64_e32 v[151:152], v[153:154], v[151:152]
	v_add_f64_e32 v[153:154], v[155:156], v[157:158]
	s_wait_loadcnt_dscnt 0x601
	v_mul_f64_e32 v[155:156], v[2:3], v[12:13]
	v_mul_f64_e32 v[12:13], v[4:5], v[12:13]
	v_fma_f64 v[157:158], v[161:162], v[6:7], v[163:164]
	v_fma_f64 v[6:7], v[159:160], v[6:7], -v[8:9]
	v_add_f64_e32 v[8:9], v[151:152], v[167:168]
	v_add_f64_e32 v[151:152], v[153:154], v[165:166]
	s_wait_loadcnt_dscnt 0x500
	v_mul_f64_e32 v[153:154], v[34:35], v[16:17]
	v_mul_f64_e32 v[16:17], v[36:37], v[16:17]
	v_fma_f64 v[155:156], v[4:5], v[10:11], v[155:156]
	v_fma_f64 v[10:11], v[2:3], v[10:11], -v[12:13]
	v_add_f64_e32 v[12:13], v[8:9], v[6:7]
	v_add_f64_e32 v[151:152], v[151:152], v[157:158]
	ds_load_b128 v[2:5], v1 offset:1584
	ds_load_b128 v[6:9], v1 offset:1600
	v_fma_f64 v[36:37], v[36:37], v[14:15], v[153:154]
	v_fma_f64 v[14:15], v[34:35], v[14:15], -v[16:17]
	s_wait_loadcnt_dscnt 0x401
	v_mul_f64_e32 v[157:158], v[2:3], v[20:21]
	v_mul_f64_e32 v[20:21], v[4:5], v[20:21]
	s_wait_loadcnt_dscnt 0x300
	v_mul_f64_e32 v[16:17], v[6:7], v[24:25]
	v_mul_f64_e32 v[24:25], v[8:9], v[24:25]
	v_add_f64_e32 v[10:11], v[12:13], v[10:11]
	v_add_f64_e32 v[12:13], v[151:152], v[155:156]
	v_fma_f64 v[34:35], v[4:5], v[18:19], v[157:158]
	v_fma_f64 v[18:19], v[2:3], v[18:19], -v[20:21]
	v_fma_f64 v[8:9], v[8:9], v[22:23], v[16:17]
	v_fma_f64 v[6:7], v[6:7], v[22:23], -v[24:25]
	v_add_f64_e32 v[14:15], v[10:11], v[14:15]
	v_add_f64_e32 v[20:21], v[12:13], v[36:37]
	ds_load_b128 v[2:5], v1 offset:1616
	ds_load_b128 v[10:13], v1 offset:1632
	s_wait_loadcnt_dscnt 0x201
	v_mul_f64_e32 v[36:37], v[2:3], v[28:29]
	v_mul_f64_e32 v[28:29], v[4:5], v[28:29]
	v_add_f64_e32 v[14:15], v[14:15], v[18:19]
	v_add_f64_e32 v[16:17], v[20:21], v[34:35]
	s_wait_loadcnt_dscnt 0x100
	v_mul_f64_e32 v[18:19], v[10:11], v[32:33]
	v_mul_f64_e32 v[20:21], v[12:13], v[32:33]
	v_fma_f64 v[22:23], v[4:5], v[26:27], v[36:37]
	v_fma_f64 v[24:25], v[2:3], v[26:27], -v[28:29]
	ds_load_b128 v[2:5], v1 offset:1648
	v_add_f64_e32 v[6:7], v[14:15], v[6:7]
	v_add_f64_e32 v[8:9], v[16:17], v[8:9]
	v_fma_f64 v[12:13], v[12:13], v[30:31], v[18:19]
	v_fma_f64 v[10:11], v[10:11], v[30:31], -v[20:21]
	s_wait_loadcnt_dscnt 0x0
	v_mul_f64_e32 v[14:15], v[2:3], v[40:41]
	v_mul_f64_e32 v[16:17], v[4:5], v[40:41]
	v_add_f64_e32 v[6:7], v[6:7], v[24:25]
	v_add_f64_e32 v[8:9], v[8:9], v[22:23]
	s_delay_alu instid0(VALU_DEP_4) | instskip(NEXT) | instid1(VALU_DEP_4)
	v_fma_f64 v[4:5], v[4:5], v[38:39], v[14:15]
	v_fma_f64 v[2:3], v[2:3], v[38:39], -v[16:17]
	s_delay_alu instid0(VALU_DEP_4) | instskip(NEXT) | instid1(VALU_DEP_4)
	v_add_f64_e32 v[6:7], v[6:7], v[10:11]
	v_add_f64_e32 v[8:9], v[8:9], v[12:13]
	s_delay_alu instid0(VALU_DEP_2) | instskip(NEXT) | instid1(VALU_DEP_2)
	v_add_f64_e32 v[2:3], v[6:7], v[2:3]
	v_add_f64_e32 v[4:5], v[8:9], v[4:5]
	s_delay_alu instid0(VALU_DEP_2) | instskip(NEXT) | instid1(VALU_DEP_2)
	v_add_f64_e64 v[2:3], v[42:43], -v[2:3]
	v_add_f64_e64 v[4:5], v[44:45], -v[4:5]
	scratch_store_b128 off, v[2:5], off offset:368
	v_cmpx_lt_u32_e32 21, v0
	s_cbranch_execz .LBB51_283
; %bb.282:
	scratch_load_b128 v[5:8], off, s34
	v_dual_mov_b32 v2, v1 :: v_dual_mov_b32 v3, v1
	v_mov_b32_e32 v4, v1
	scratch_store_b128 off, v[1:4], off offset:352
	s_wait_loadcnt 0x0
	ds_store_b128 v150, v[5:8]
.LBB51_283:
	s_wait_alu 0xfffe
	s_or_b32 exec_lo, exec_lo, s0
	s_wait_storecnt_dscnt 0x0
	s_barrier_signal -1
	s_barrier_wait -1
	global_inv scope:SCOPE_SE
	s_clause 0x8
	scratch_load_b128 v[2:5], off, off offset:368
	scratch_load_b128 v[6:9], off, off offset:384
	scratch_load_b128 v[10:13], off, off offset:400
	scratch_load_b128 v[14:17], off, off offset:416
	scratch_load_b128 v[18:21], off, off offset:432
	scratch_load_b128 v[22:25], off, off offset:448
	scratch_load_b128 v[26:29], off, off offset:464
	scratch_load_b128 v[30:33], off, off offset:480
	scratch_load_b128 v[34:37], off, off offset:496
	ds_load_b128 v[38:41], v1 offset:1184
	ds_load_b128 v[42:45], v1 offset:1200
	s_clause 0x1
	scratch_load_b128 v[151:154], off, off offset:352
	scratch_load_b128 v[155:158], off, off offset:512
	s_mov_b32 s0, exec_lo
	s_wait_loadcnt_dscnt 0xa01
	v_mul_f64_e32 v[159:160], v[40:41], v[4:5]
	v_mul_f64_e32 v[4:5], v[38:39], v[4:5]
	s_wait_loadcnt_dscnt 0x900
	v_mul_f64_e32 v[163:164], v[42:43], v[8:9]
	v_mul_f64_e32 v[8:9], v[44:45], v[8:9]
	s_delay_alu instid0(VALU_DEP_4) | instskip(NEXT) | instid1(VALU_DEP_4)
	v_fma_f64 v[165:166], v[38:39], v[2:3], -v[159:160]
	v_fma_f64 v[167:168], v[40:41], v[2:3], v[4:5]
	ds_load_b128 v[2:5], v1 offset:1216
	ds_load_b128 v[159:162], v1 offset:1232
	scratch_load_b128 v[38:41], off, off offset:528
	v_fma_f64 v[44:45], v[44:45], v[6:7], v[163:164]
	v_fma_f64 v[42:43], v[42:43], v[6:7], -v[8:9]
	scratch_load_b128 v[6:9], off, off offset:544
	s_wait_loadcnt_dscnt 0xa01
	v_mul_f64_e32 v[169:170], v[2:3], v[12:13]
	v_mul_f64_e32 v[12:13], v[4:5], v[12:13]
	v_add_f64_e32 v[163:164], 0, v[165:166]
	v_add_f64_e32 v[165:166], 0, v[167:168]
	s_wait_loadcnt_dscnt 0x900
	v_mul_f64_e32 v[167:168], v[159:160], v[16:17]
	v_mul_f64_e32 v[16:17], v[161:162], v[16:17]
	v_fma_f64 v[169:170], v[4:5], v[10:11], v[169:170]
	v_fma_f64 v[171:172], v[2:3], v[10:11], -v[12:13]
	ds_load_b128 v[2:5], v1 offset:1248
	scratch_load_b128 v[10:13], off, off offset:560
	v_add_f64_e32 v[163:164], v[163:164], v[42:43]
	v_add_f64_e32 v[165:166], v[165:166], v[44:45]
	ds_load_b128 v[42:45], v1 offset:1264
	v_fma_f64 v[161:162], v[161:162], v[14:15], v[167:168]
	v_fma_f64 v[159:160], v[159:160], v[14:15], -v[16:17]
	scratch_load_b128 v[14:17], off, off offset:576
	s_wait_loadcnt_dscnt 0xa01
	v_mul_f64_e32 v[173:174], v[2:3], v[20:21]
	v_mul_f64_e32 v[20:21], v[4:5], v[20:21]
	s_wait_loadcnt_dscnt 0x900
	v_mul_f64_e32 v[167:168], v[42:43], v[24:25]
	v_mul_f64_e32 v[24:25], v[44:45], v[24:25]
	v_add_f64_e32 v[163:164], v[163:164], v[171:172]
	v_add_f64_e32 v[165:166], v[165:166], v[169:170]
	v_fma_f64 v[169:170], v[4:5], v[18:19], v[173:174]
	v_fma_f64 v[171:172], v[2:3], v[18:19], -v[20:21]
	ds_load_b128 v[2:5], v1 offset:1280
	scratch_load_b128 v[18:21], off, off offset:592
	v_fma_f64 v[44:45], v[44:45], v[22:23], v[167:168]
	v_fma_f64 v[42:43], v[42:43], v[22:23], -v[24:25]
	scratch_load_b128 v[22:25], off, off offset:608
	v_add_f64_e32 v[163:164], v[163:164], v[159:160]
	v_add_f64_e32 v[165:166], v[165:166], v[161:162]
	ds_load_b128 v[159:162], v1 offset:1296
	s_wait_loadcnt_dscnt 0xa01
	v_mul_f64_e32 v[173:174], v[2:3], v[28:29]
	v_mul_f64_e32 v[28:29], v[4:5], v[28:29]
	s_wait_loadcnt_dscnt 0x900
	v_mul_f64_e32 v[167:168], v[159:160], v[32:33]
	v_mul_f64_e32 v[32:33], v[161:162], v[32:33]
	v_add_f64_e32 v[163:164], v[163:164], v[171:172]
	v_add_f64_e32 v[165:166], v[165:166], v[169:170]
	v_fma_f64 v[169:170], v[4:5], v[26:27], v[173:174]
	v_fma_f64 v[171:172], v[2:3], v[26:27], -v[28:29]
	ds_load_b128 v[2:5], v1 offset:1312
	scratch_load_b128 v[26:29], off, off offset:624
	v_fma_f64 v[161:162], v[161:162], v[30:31], v[167:168]
	v_fma_f64 v[159:160], v[159:160], v[30:31], -v[32:33]
	scratch_load_b128 v[30:33], off, off offset:640
	v_add_f64_e32 v[163:164], v[163:164], v[42:43]
	v_add_f64_e32 v[165:166], v[165:166], v[44:45]
	ds_load_b128 v[42:45], v1 offset:1328
	s_wait_loadcnt_dscnt 0xa01
	v_mul_f64_e32 v[173:174], v[2:3], v[36:37]
	v_mul_f64_e32 v[36:37], v[4:5], v[36:37]
	s_wait_loadcnt_dscnt 0x800
	v_mul_f64_e32 v[167:168], v[42:43], v[157:158]
	v_add_f64_e32 v[163:164], v[163:164], v[171:172]
	v_add_f64_e32 v[165:166], v[165:166], v[169:170]
	v_mul_f64_e32 v[169:170], v[44:45], v[157:158]
	v_fma_f64 v[171:172], v[4:5], v[34:35], v[173:174]
	v_fma_f64 v[173:174], v[2:3], v[34:35], -v[36:37]
	ds_load_b128 v[2:5], v1 offset:1344
	scratch_load_b128 v[34:37], off, off offset:656
	v_fma_f64 v[44:45], v[44:45], v[155:156], v[167:168]
	v_add_f64_e32 v[163:164], v[163:164], v[159:160]
	v_add_f64_e32 v[161:162], v[165:166], v[161:162]
	ds_load_b128 v[157:160], v1 offset:1360
	v_fma_f64 v[155:156], v[42:43], v[155:156], -v[169:170]
	s_wait_loadcnt_dscnt 0x801
	v_mul_f64_e32 v[165:166], v[2:3], v[40:41]
	v_mul_f64_e32 v[175:176], v[4:5], v[40:41]
	scratch_load_b128 v[40:43], off, off offset:672
	s_wait_loadcnt_dscnt 0x800
	v_mul_f64_e32 v[169:170], v[157:158], v[8:9]
	v_mul_f64_e32 v[8:9], v[159:160], v[8:9]
	v_add_f64_e32 v[163:164], v[163:164], v[173:174]
	v_add_f64_e32 v[161:162], v[161:162], v[171:172]
	v_fma_f64 v[171:172], v[4:5], v[38:39], v[165:166]
	v_fma_f64 v[38:39], v[2:3], v[38:39], -v[175:176]
	ds_load_b128 v[2:5], v1 offset:1376
	ds_load_b128 v[165:168], v1 offset:1392
	v_fma_f64 v[159:160], v[159:160], v[6:7], v[169:170]
	v_fma_f64 v[157:158], v[157:158], v[6:7], -v[8:9]
	scratch_load_b128 v[6:9], off, off offset:704
	v_add_f64_e32 v[155:156], v[163:164], v[155:156]
	v_add_f64_e32 v[44:45], v[161:162], v[44:45]
	scratch_load_b128 v[161:164], off, off offset:688
	s_wait_loadcnt_dscnt 0x901
	v_mul_f64_e32 v[173:174], v[2:3], v[12:13]
	v_mul_f64_e32 v[12:13], v[4:5], v[12:13]
	s_wait_loadcnt_dscnt 0x800
	v_mul_f64_e32 v[169:170], v[165:166], v[16:17]
	v_mul_f64_e32 v[16:17], v[167:168], v[16:17]
	v_add_f64_e32 v[38:39], v[155:156], v[38:39]
	v_add_f64_e32 v[44:45], v[44:45], v[171:172]
	v_fma_f64 v[171:172], v[4:5], v[10:11], v[173:174]
	v_fma_f64 v[173:174], v[2:3], v[10:11], -v[12:13]
	ds_load_b128 v[2:5], v1 offset:1408
	scratch_load_b128 v[10:13], off, off offset:720
	v_fma_f64 v[167:168], v[167:168], v[14:15], v[169:170]
	v_fma_f64 v[165:166], v[165:166], v[14:15], -v[16:17]
	scratch_load_b128 v[14:17], off, off offset:736
	v_add_f64_e32 v[38:39], v[38:39], v[157:158]
	v_add_f64_e32 v[44:45], v[44:45], v[159:160]
	ds_load_b128 v[155:158], v1 offset:1424
	s_wait_loadcnt_dscnt 0x901
	v_mul_f64_e32 v[159:160], v[2:3], v[20:21]
	v_mul_f64_e32 v[20:21], v[4:5], v[20:21]
	s_wait_loadcnt_dscnt 0x800
	v_mul_f64_e32 v[169:170], v[155:156], v[24:25]
	v_mul_f64_e32 v[24:25], v[157:158], v[24:25]
	v_add_f64_e32 v[38:39], v[38:39], v[173:174]
	v_add_f64_e32 v[44:45], v[44:45], v[171:172]
	v_fma_f64 v[159:160], v[4:5], v[18:19], v[159:160]
	v_fma_f64 v[171:172], v[2:3], v[18:19], -v[20:21]
	ds_load_b128 v[2:5], v1 offset:1440
	scratch_load_b128 v[18:21], off, off offset:752
	v_fma_f64 v[157:158], v[157:158], v[22:23], v[169:170]
	v_fma_f64 v[155:156], v[155:156], v[22:23], -v[24:25]
	scratch_load_b128 v[22:25], off, off offset:768
	v_add_f64_e32 v[38:39], v[38:39], v[165:166]
	v_add_f64_e32 v[44:45], v[44:45], v[167:168]
	ds_load_b128 v[165:168], v1 offset:1456
	s_wait_loadcnt_dscnt 0x901
	v_mul_f64_e32 v[173:174], v[2:3], v[28:29]
	v_mul_f64_e32 v[28:29], v[4:5], v[28:29]
	v_add_f64_e32 v[38:39], v[38:39], v[171:172]
	v_add_f64_e32 v[44:45], v[44:45], v[159:160]
	s_wait_loadcnt_dscnt 0x800
	v_mul_f64_e32 v[159:160], v[165:166], v[32:33]
	v_mul_f64_e32 v[32:33], v[167:168], v[32:33]
	v_fma_f64 v[169:170], v[4:5], v[26:27], v[173:174]
	v_fma_f64 v[171:172], v[2:3], v[26:27], -v[28:29]
	ds_load_b128 v[2:5], v1 offset:1472
	scratch_load_b128 v[26:29], off, off offset:784
	v_add_f64_e32 v[38:39], v[38:39], v[155:156]
	v_add_f64_e32 v[44:45], v[44:45], v[157:158]
	ds_load_b128 v[155:158], v1 offset:1488
	s_wait_loadcnt_dscnt 0x801
	v_mul_f64_e32 v[173:174], v[2:3], v[36:37]
	v_mul_f64_e32 v[36:37], v[4:5], v[36:37]
	v_fma_f64 v[159:160], v[167:168], v[30:31], v[159:160]
	v_fma_f64 v[165:166], v[165:166], v[30:31], -v[32:33]
	scratch_load_b128 v[30:33], off, off offset:800
	s_wait_loadcnt_dscnt 0x800
	v_mul_f64_e32 v[167:168], v[155:156], v[42:43]
	v_add_f64_e32 v[38:39], v[38:39], v[171:172]
	v_add_f64_e32 v[44:45], v[44:45], v[169:170]
	v_mul_f64_e32 v[169:170], v[157:158], v[42:43]
	v_fma_f64 v[171:172], v[4:5], v[34:35], v[173:174]
	v_fma_f64 v[173:174], v[2:3], v[34:35], -v[36:37]
	ds_load_b128 v[2:5], v1 offset:1504
	scratch_load_b128 v[34:37], off, off offset:816
	v_fma_f64 v[157:158], v[157:158], v[40:41], v[167:168]
	v_add_f64_e32 v[38:39], v[38:39], v[165:166]
	v_add_f64_e32 v[159:160], v[44:45], v[159:160]
	ds_load_b128 v[42:45], v1 offset:1520
	v_fma_f64 v[155:156], v[155:156], v[40:41], -v[169:170]
	s_wait_loadcnt_dscnt 0x701
	v_mul_f64_e32 v[165:166], v[2:3], v[163:164]
	v_mul_f64_e32 v[163:164], v[4:5], v[163:164]
	s_wait_dscnt 0x0
	v_mul_f64_e32 v[169:170], v[42:43], v[8:9]
	v_mul_f64_e32 v[8:9], v[44:45], v[8:9]
	v_add_f64_e32 v[167:168], v[38:39], v[173:174]
	v_add_f64_e32 v[159:160], v[159:160], v[171:172]
	scratch_load_b128 v[38:41], off, off offset:832
	v_fma_f64 v[165:166], v[4:5], v[161:162], v[165:166]
	v_fma_f64 v[161:162], v[2:3], v[161:162], -v[163:164]
	v_fma_f64 v[44:45], v[44:45], v[6:7], v[169:170]
	v_fma_f64 v[6:7], v[42:43], v[6:7], -v[8:9]
	v_add_f64_e32 v[163:164], v[167:168], v[155:156]
	v_add_f64_e32 v[159:160], v[159:160], v[157:158]
	ds_load_b128 v[2:5], v1 offset:1536
	ds_load_b128 v[155:158], v1 offset:1552
	s_wait_loadcnt_dscnt 0x701
	v_mul_f64_e32 v[167:168], v[2:3], v[12:13]
	v_mul_f64_e32 v[12:13], v[4:5], v[12:13]
	v_add_f64_e32 v[8:9], v[163:164], v[161:162]
	v_add_f64_e32 v[42:43], v[159:160], v[165:166]
	s_wait_loadcnt_dscnt 0x600
	v_mul_f64_e32 v[159:160], v[155:156], v[16:17]
	v_mul_f64_e32 v[16:17], v[157:158], v[16:17]
	v_fma_f64 v[161:162], v[4:5], v[10:11], v[167:168]
	v_fma_f64 v[10:11], v[2:3], v[10:11], -v[12:13]
	v_add_f64_e32 v[12:13], v[8:9], v[6:7]
	v_add_f64_e32 v[42:43], v[42:43], v[44:45]
	ds_load_b128 v[2:5], v1 offset:1568
	ds_load_b128 v[6:9], v1 offset:1584
	v_fma_f64 v[157:158], v[157:158], v[14:15], v[159:160]
	v_fma_f64 v[14:15], v[155:156], v[14:15], -v[16:17]
	s_wait_loadcnt_dscnt 0x501
	v_mul_f64_e32 v[44:45], v[2:3], v[20:21]
	v_mul_f64_e32 v[20:21], v[4:5], v[20:21]
	s_wait_loadcnt_dscnt 0x400
	v_mul_f64_e32 v[16:17], v[6:7], v[24:25]
	v_mul_f64_e32 v[24:25], v[8:9], v[24:25]
	v_add_f64_e32 v[10:11], v[12:13], v[10:11]
	v_add_f64_e32 v[12:13], v[42:43], v[161:162]
	v_fma_f64 v[42:43], v[4:5], v[18:19], v[44:45]
	v_fma_f64 v[18:19], v[2:3], v[18:19], -v[20:21]
	v_fma_f64 v[8:9], v[8:9], v[22:23], v[16:17]
	v_fma_f64 v[6:7], v[6:7], v[22:23], -v[24:25]
	v_add_f64_e32 v[14:15], v[10:11], v[14:15]
	v_add_f64_e32 v[20:21], v[12:13], v[157:158]
	ds_load_b128 v[2:5], v1 offset:1600
	ds_load_b128 v[10:13], v1 offset:1616
	s_wait_loadcnt_dscnt 0x301
	v_mul_f64_e32 v[44:45], v[2:3], v[28:29]
	v_mul_f64_e32 v[28:29], v[4:5], v[28:29]
	v_add_f64_e32 v[14:15], v[14:15], v[18:19]
	v_add_f64_e32 v[16:17], v[20:21], v[42:43]
	s_wait_loadcnt_dscnt 0x200
	v_mul_f64_e32 v[18:19], v[10:11], v[32:33]
	v_mul_f64_e32 v[20:21], v[12:13], v[32:33]
	v_fma_f64 v[22:23], v[4:5], v[26:27], v[44:45]
	v_fma_f64 v[24:25], v[2:3], v[26:27], -v[28:29]
	v_add_f64_e32 v[14:15], v[14:15], v[6:7]
	v_add_f64_e32 v[16:17], v[16:17], v[8:9]
	ds_load_b128 v[2:5], v1 offset:1632
	ds_load_b128 v[6:9], v1 offset:1648
	v_fma_f64 v[12:13], v[12:13], v[30:31], v[18:19]
	v_fma_f64 v[10:11], v[10:11], v[30:31], -v[20:21]
	s_wait_loadcnt_dscnt 0x101
	v_mul_f64_e32 v[26:27], v[2:3], v[36:37]
	v_mul_f64_e32 v[28:29], v[4:5], v[36:37]
	v_add_f64_e32 v[14:15], v[14:15], v[24:25]
	v_add_f64_e32 v[16:17], v[16:17], v[22:23]
	s_wait_loadcnt_dscnt 0x0
	v_mul_f64_e32 v[18:19], v[6:7], v[40:41]
	v_mul_f64_e32 v[20:21], v[8:9], v[40:41]
	v_fma_f64 v[4:5], v[4:5], v[34:35], v[26:27]
	v_fma_f64 v[1:2], v[2:3], v[34:35], -v[28:29]
	v_add_f64_e32 v[10:11], v[14:15], v[10:11]
	v_add_f64_e32 v[12:13], v[16:17], v[12:13]
	v_fma_f64 v[8:9], v[8:9], v[38:39], v[18:19]
	v_fma_f64 v[6:7], v[6:7], v[38:39], -v[20:21]
	s_delay_alu instid0(VALU_DEP_4) | instskip(NEXT) | instid1(VALU_DEP_4)
	v_add_f64_e32 v[1:2], v[10:11], v[1:2]
	v_add_f64_e32 v[3:4], v[12:13], v[4:5]
	s_delay_alu instid0(VALU_DEP_2) | instskip(NEXT) | instid1(VALU_DEP_2)
	v_add_f64_e32 v[1:2], v[1:2], v[6:7]
	v_add_f64_e32 v[3:4], v[3:4], v[8:9]
	s_delay_alu instid0(VALU_DEP_2) | instskip(NEXT) | instid1(VALU_DEP_2)
	v_add_f64_e64 v[1:2], v[151:152], -v[1:2]
	v_add_f64_e64 v[3:4], v[153:154], -v[3:4]
	scratch_store_b128 off, v[1:4], off offset:352
	v_cmpx_lt_u32_e32 20, v0
	s_cbranch_execz .LBB51_285
; %bb.284:
	scratch_load_b128 v[1:4], off, s38
	v_mov_b32_e32 v5, 0
	s_delay_alu instid0(VALU_DEP_1)
	v_dual_mov_b32 v6, v5 :: v_dual_mov_b32 v7, v5
	v_mov_b32_e32 v8, v5
	scratch_store_b128 off, v[5:8], off offset:336
	s_wait_loadcnt 0x0
	ds_store_b128 v150, v[1:4]
.LBB51_285:
	s_wait_alu 0xfffe
	s_or_b32 exec_lo, exec_lo, s0
	s_wait_storecnt_dscnt 0x0
	s_barrier_signal -1
	s_barrier_wait -1
	global_inv scope:SCOPE_SE
	s_clause 0x7
	scratch_load_b128 v[2:5], off, off offset:352
	scratch_load_b128 v[6:9], off, off offset:368
	;; [unrolled: 1-line block ×8, first 2 shown]
	v_mov_b32_e32 v1, 0
	s_mov_b32 s0, exec_lo
	ds_load_b128 v[34:37], v1 offset:1168
	s_clause 0x1
	scratch_load_b128 v[38:41], off, off offset:480
	scratch_load_b128 v[42:45], off, off offset:336
	ds_load_b128 v[151:154], v1 offset:1184
	scratch_load_b128 v[155:158], off, off offset:496
	s_wait_loadcnt_dscnt 0xa01
	v_mul_f64_e32 v[159:160], v[36:37], v[4:5]
	v_mul_f64_e32 v[4:5], v[34:35], v[4:5]
	s_delay_alu instid0(VALU_DEP_2) | instskip(NEXT) | instid1(VALU_DEP_2)
	v_fma_f64 v[165:166], v[34:35], v[2:3], -v[159:160]
	v_fma_f64 v[167:168], v[36:37], v[2:3], v[4:5]
	ds_load_b128 v[2:5], v1 offset:1200
	s_wait_loadcnt_dscnt 0x901
	v_mul_f64_e32 v[163:164], v[151:152], v[8:9]
	v_mul_f64_e32 v[8:9], v[153:154], v[8:9]
	scratch_load_b128 v[34:37], off, off offset:512
	ds_load_b128 v[159:162], v1 offset:1216
	s_wait_loadcnt_dscnt 0x901
	v_mul_f64_e32 v[169:170], v[2:3], v[12:13]
	v_mul_f64_e32 v[12:13], v[4:5], v[12:13]
	v_fma_f64 v[153:154], v[153:154], v[6:7], v[163:164]
	v_fma_f64 v[151:152], v[151:152], v[6:7], -v[8:9]
	v_add_f64_e32 v[163:164], 0, v[165:166]
	v_add_f64_e32 v[165:166], 0, v[167:168]
	scratch_load_b128 v[6:9], off, off offset:528
	v_fma_f64 v[169:170], v[4:5], v[10:11], v[169:170]
	v_fma_f64 v[171:172], v[2:3], v[10:11], -v[12:13]
	ds_load_b128 v[2:5], v1 offset:1232
	s_wait_loadcnt_dscnt 0x901
	v_mul_f64_e32 v[167:168], v[159:160], v[16:17]
	v_mul_f64_e32 v[16:17], v[161:162], v[16:17]
	scratch_load_b128 v[10:13], off, off offset:544
	v_add_f64_e32 v[163:164], v[163:164], v[151:152]
	v_add_f64_e32 v[165:166], v[165:166], v[153:154]
	s_wait_loadcnt_dscnt 0x900
	v_mul_f64_e32 v[173:174], v[2:3], v[20:21]
	v_mul_f64_e32 v[20:21], v[4:5], v[20:21]
	ds_load_b128 v[151:154], v1 offset:1248
	v_fma_f64 v[161:162], v[161:162], v[14:15], v[167:168]
	v_fma_f64 v[159:160], v[159:160], v[14:15], -v[16:17]
	scratch_load_b128 v[14:17], off, off offset:560
	v_add_f64_e32 v[163:164], v[163:164], v[171:172]
	v_add_f64_e32 v[165:166], v[165:166], v[169:170]
	v_fma_f64 v[169:170], v[4:5], v[18:19], v[173:174]
	v_fma_f64 v[171:172], v[2:3], v[18:19], -v[20:21]
	ds_load_b128 v[2:5], v1 offset:1264
	s_wait_loadcnt_dscnt 0x901
	v_mul_f64_e32 v[167:168], v[151:152], v[24:25]
	v_mul_f64_e32 v[24:25], v[153:154], v[24:25]
	scratch_load_b128 v[18:21], off, off offset:576
	s_wait_loadcnt_dscnt 0x900
	v_mul_f64_e32 v[173:174], v[2:3], v[28:29]
	v_mul_f64_e32 v[28:29], v[4:5], v[28:29]
	v_add_f64_e32 v[163:164], v[163:164], v[159:160]
	v_add_f64_e32 v[165:166], v[165:166], v[161:162]
	ds_load_b128 v[159:162], v1 offset:1280
	v_fma_f64 v[153:154], v[153:154], v[22:23], v[167:168]
	v_fma_f64 v[151:152], v[151:152], v[22:23], -v[24:25]
	scratch_load_b128 v[22:25], off, off offset:592
	v_add_f64_e32 v[163:164], v[163:164], v[171:172]
	v_add_f64_e32 v[165:166], v[165:166], v[169:170]
	v_fma_f64 v[169:170], v[4:5], v[26:27], v[173:174]
	v_fma_f64 v[171:172], v[2:3], v[26:27], -v[28:29]
	ds_load_b128 v[2:5], v1 offset:1296
	s_wait_loadcnt_dscnt 0x901
	v_mul_f64_e32 v[167:168], v[159:160], v[32:33]
	v_mul_f64_e32 v[32:33], v[161:162], v[32:33]
	scratch_load_b128 v[26:29], off, off offset:608
	s_wait_loadcnt_dscnt 0x900
	v_mul_f64_e32 v[173:174], v[2:3], v[40:41]
	v_mul_f64_e32 v[40:41], v[4:5], v[40:41]
	v_add_f64_e32 v[163:164], v[163:164], v[151:152]
	v_add_f64_e32 v[165:166], v[165:166], v[153:154]
	ds_load_b128 v[151:154], v1 offset:1312
	v_fma_f64 v[161:162], v[161:162], v[30:31], v[167:168]
	v_fma_f64 v[159:160], v[159:160], v[30:31], -v[32:33]
	scratch_load_b128 v[30:33], off, off offset:624
	v_add_f64_e32 v[163:164], v[163:164], v[171:172]
	v_add_f64_e32 v[165:166], v[165:166], v[169:170]
	v_fma_f64 v[171:172], v[4:5], v[38:39], v[173:174]
	v_fma_f64 v[173:174], v[2:3], v[38:39], -v[40:41]
	ds_load_b128 v[2:5], v1 offset:1328
	s_wait_loadcnt_dscnt 0x801
	v_mul_f64_e32 v[167:168], v[151:152], v[157:158]
	v_mul_f64_e32 v[169:170], v[153:154], v[157:158]
	scratch_load_b128 v[38:41], off, off offset:640
	v_add_f64_e32 v[163:164], v[163:164], v[159:160]
	v_add_f64_e32 v[161:162], v[165:166], v[161:162]
	ds_load_b128 v[157:160], v1 offset:1344
	v_fma_f64 v[167:168], v[153:154], v[155:156], v[167:168]
	v_fma_f64 v[155:156], v[151:152], v[155:156], -v[169:170]
	scratch_load_b128 v[151:154], off, off offset:656
	s_wait_loadcnt_dscnt 0x901
	v_mul_f64_e32 v[165:166], v[2:3], v[36:37]
	v_mul_f64_e32 v[36:37], v[4:5], v[36:37]
	v_add_f64_e32 v[163:164], v[163:164], v[173:174]
	v_add_f64_e32 v[161:162], v[161:162], v[171:172]
	s_delay_alu instid0(VALU_DEP_4) | instskip(NEXT) | instid1(VALU_DEP_4)
	v_fma_f64 v[165:166], v[4:5], v[34:35], v[165:166]
	v_fma_f64 v[171:172], v[2:3], v[34:35], -v[36:37]
	ds_load_b128 v[2:5], v1 offset:1360
	s_wait_loadcnt_dscnt 0x801
	v_mul_f64_e32 v[169:170], v[157:158], v[8:9]
	v_mul_f64_e32 v[8:9], v[159:160], v[8:9]
	scratch_load_b128 v[34:37], off, off offset:672
	s_wait_loadcnt_dscnt 0x800
	v_mul_f64_e32 v[173:174], v[2:3], v[12:13]
	v_add_f64_e32 v[155:156], v[163:164], v[155:156]
	v_add_f64_e32 v[167:168], v[161:162], v[167:168]
	v_mul_f64_e32 v[12:13], v[4:5], v[12:13]
	ds_load_b128 v[161:164], v1 offset:1376
	v_fma_f64 v[159:160], v[159:160], v[6:7], v[169:170]
	v_fma_f64 v[157:158], v[157:158], v[6:7], -v[8:9]
	scratch_load_b128 v[6:9], off, off offset:688
	v_fma_f64 v[169:170], v[4:5], v[10:11], v[173:174]
	v_add_f64_e32 v[155:156], v[155:156], v[171:172]
	v_add_f64_e32 v[165:166], v[167:168], v[165:166]
	v_fma_f64 v[171:172], v[2:3], v[10:11], -v[12:13]
	ds_load_b128 v[2:5], v1 offset:1392
	s_wait_loadcnt_dscnt 0x801
	v_mul_f64_e32 v[167:168], v[161:162], v[16:17]
	v_mul_f64_e32 v[16:17], v[163:164], v[16:17]
	scratch_load_b128 v[10:13], off, off offset:704
	v_add_f64_e32 v[173:174], v[155:156], v[157:158]
	v_add_f64_e32 v[159:160], v[165:166], v[159:160]
	s_wait_loadcnt_dscnt 0x800
	v_mul_f64_e32 v[165:166], v[2:3], v[20:21]
	v_mul_f64_e32 v[20:21], v[4:5], v[20:21]
	v_fma_f64 v[163:164], v[163:164], v[14:15], v[167:168]
	v_fma_f64 v[161:162], v[161:162], v[14:15], -v[16:17]
	ds_load_b128 v[155:158], v1 offset:1408
	scratch_load_b128 v[14:17], off, off offset:720
	v_add_f64_e32 v[167:168], v[173:174], v[171:172]
	v_add_f64_e32 v[159:160], v[159:160], v[169:170]
	v_fma_f64 v[165:166], v[4:5], v[18:19], v[165:166]
	v_fma_f64 v[171:172], v[2:3], v[18:19], -v[20:21]
	ds_load_b128 v[2:5], v1 offset:1424
	s_wait_loadcnt_dscnt 0x801
	v_mul_f64_e32 v[169:170], v[155:156], v[24:25]
	v_mul_f64_e32 v[24:25], v[157:158], v[24:25]
	scratch_load_b128 v[18:21], off, off offset:736
	s_wait_loadcnt_dscnt 0x800
	v_mul_f64_e32 v[173:174], v[2:3], v[28:29]
	v_mul_f64_e32 v[28:29], v[4:5], v[28:29]
	v_add_f64_e32 v[167:168], v[167:168], v[161:162]
	v_add_f64_e32 v[163:164], v[159:160], v[163:164]
	ds_load_b128 v[159:162], v1 offset:1440
	v_fma_f64 v[157:158], v[157:158], v[22:23], v[169:170]
	v_fma_f64 v[155:156], v[155:156], v[22:23], -v[24:25]
	scratch_load_b128 v[22:25], off, off offset:752
	v_fma_f64 v[169:170], v[4:5], v[26:27], v[173:174]
	v_add_f64_e32 v[167:168], v[167:168], v[171:172]
	v_add_f64_e32 v[163:164], v[163:164], v[165:166]
	v_fma_f64 v[171:172], v[2:3], v[26:27], -v[28:29]
	ds_load_b128 v[2:5], v1 offset:1456
	s_wait_loadcnt_dscnt 0x801
	v_mul_f64_e32 v[165:166], v[159:160], v[32:33]
	v_mul_f64_e32 v[32:33], v[161:162], v[32:33]
	scratch_load_b128 v[26:29], off, off offset:768
	s_wait_loadcnt_dscnt 0x800
	v_mul_f64_e32 v[173:174], v[2:3], v[40:41]
	v_mul_f64_e32 v[40:41], v[4:5], v[40:41]
	v_add_f64_e32 v[167:168], v[167:168], v[155:156]
	v_add_f64_e32 v[163:164], v[163:164], v[157:158]
	ds_load_b128 v[155:158], v1 offset:1472
	v_fma_f64 v[161:162], v[161:162], v[30:31], v[165:166]
	v_fma_f64 v[159:160], v[159:160], v[30:31], -v[32:33]
	scratch_load_b128 v[30:33], off, off offset:784
	v_add_f64_e32 v[165:166], v[167:168], v[171:172]
	v_add_f64_e32 v[163:164], v[163:164], v[169:170]
	v_fma_f64 v[169:170], v[4:5], v[38:39], v[173:174]
	v_fma_f64 v[171:172], v[2:3], v[38:39], -v[40:41]
	ds_load_b128 v[2:5], v1 offset:1488
	s_wait_loadcnt_dscnt 0x801
	v_mul_f64_e32 v[167:168], v[155:156], v[153:154]
	v_mul_f64_e32 v[153:154], v[157:158], v[153:154]
	scratch_load_b128 v[38:41], off, off offset:800
	s_wait_loadcnt_dscnt 0x800
	v_mul_f64_e32 v[173:174], v[2:3], v[36:37]
	v_mul_f64_e32 v[36:37], v[4:5], v[36:37]
	v_add_f64_e32 v[165:166], v[165:166], v[159:160]
	v_add_f64_e32 v[163:164], v[163:164], v[161:162]
	ds_load_b128 v[159:162], v1 offset:1504
	v_fma_f64 v[157:158], v[157:158], v[151:152], v[167:168]
	v_fma_f64 v[155:156], v[155:156], v[151:152], -v[153:154]
	scratch_load_b128 v[151:154], off, off offset:816
	v_add_f64_e32 v[165:166], v[165:166], v[171:172]
	v_add_f64_e32 v[163:164], v[163:164], v[169:170]
	v_fma_f64 v[169:170], v[4:5], v[34:35], v[173:174]
	v_fma_f64 v[171:172], v[2:3], v[34:35], -v[36:37]
	ds_load_b128 v[2:5], v1 offset:1520
	s_wait_loadcnt_dscnt 0x801
	v_mul_f64_e32 v[167:168], v[159:160], v[8:9]
	v_mul_f64_e32 v[8:9], v[161:162], v[8:9]
	scratch_load_b128 v[34:37], off, off offset:832
	s_wait_loadcnt_dscnt 0x800
	v_mul_f64_e32 v[173:174], v[2:3], v[12:13]
	v_mul_f64_e32 v[12:13], v[4:5], v[12:13]
	v_add_f64_e32 v[165:166], v[165:166], v[155:156]
	v_add_f64_e32 v[163:164], v[163:164], v[157:158]
	ds_load_b128 v[155:158], v1 offset:1536
	v_fma_f64 v[161:162], v[161:162], v[6:7], v[167:168]
	v_fma_f64 v[6:7], v[159:160], v[6:7], -v[8:9]
	v_add_f64_e32 v[8:9], v[165:166], v[171:172]
	v_add_f64_e32 v[159:160], v[163:164], v[169:170]
	s_wait_loadcnt_dscnt 0x700
	v_mul_f64_e32 v[163:164], v[155:156], v[16:17]
	v_mul_f64_e32 v[16:17], v[157:158], v[16:17]
	v_fma_f64 v[165:166], v[4:5], v[10:11], v[173:174]
	v_fma_f64 v[10:11], v[2:3], v[10:11], -v[12:13]
	v_add_f64_e32 v[12:13], v[8:9], v[6:7]
	v_add_f64_e32 v[159:160], v[159:160], v[161:162]
	ds_load_b128 v[2:5], v1 offset:1552
	ds_load_b128 v[6:9], v1 offset:1568
	v_fma_f64 v[157:158], v[157:158], v[14:15], v[163:164]
	v_fma_f64 v[14:15], v[155:156], v[14:15], -v[16:17]
	s_wait_loadcnt_dscnt 0x601
	v_mul_f64_e32 v[161:162], v[2:3], v[20:21]
	v_mul_f64_e32 v[20:21], v[4:5], v[20:21]
	s_wait_loadcnt_dscnt 0x500
	v_mul_f64_e32 v[16:17], v[6:7], v[24:25]
	v_mul_f64_e32 v[24:25], v[8:9], v[24:25]
	v_add_f64_e32 v[10:11], v[12:13], v[10:11]
	v_add_f64_e32 v[12:13], v[159:160], v[165:166]
	v_fma_f64 v[155:156], v[4:5], v[18:19], v[161:162]
	v_fma_f64 v[18:19], v[2:3], v[18:19], -v[20:21]
	v_fma_f64 v[8:9], v[8:9], v[22:23], v[16:17]
	v_fma_f64 v[6:7], v[6:7], v[22:23], -v[24:25]
	v_add_f64_e32 v[14:15], v[10:11], v[14:15]
	v_add_f64_e32 v[20:21], v[12:13], v[157:158]
	ds_load_b128 v[2:5], v1 offset:1584
	ds_load_b128 v[10:13], v1 offset:1600
	s_wait_loadcnt_dscnt 0x401
	v_mul_f64_e32 v[157:158], v[2:3], v[28:29]
	v_mul_f64_e32 v[28:29], v[4:5], v[28:29]
	v_add_f64_e32 v[14:15], v[14:15], v[18:19]
	v_add_f64_e32 v[16:17], v[20:21], v[155:156]
	s_wait_loadcnt_dscnt 0x300
	v_mul_f64_e32 v[18:19], v[10:11], v[32:33]
	v_mul_f64_e32 v[20:21], v[12:13], v[32:33]
	v_fma_f64 v[22:23], v[4:5], v[26:27], v[157:158]
	v_fma_f64 v[24:25], v[2:3], v[26:27], -v[28:29]
	v_add_f64_e32 v[14:15], v[14:15], v[6:7]
	v_add_f64_e32 v[16:17], v[16:17], v[8:9]
	ds_load_b128 v[2:5], v1 offset:1616
	ds_load_b128 v[6:9], v1 offset:1632
	v_fma_f64 v[12:13], v[12:13], v[30:31], v[18:19]
	v_fma_f64 v[10:11], v[10:11], v[30:31], -v[20:21]
	s_wait_loadcnt_dscnt 0x201
	v_mul_f64_e32 v[26:27], v[2:3], v[40:41]
	v_mul_f64_e32 v[28:29], v[4:5], v[40:41]
	s_wait_loadcnt_dscnt 0x100
	v_mul_f64_e32 v[18:19], v[6:7], v[153:154]
	v_mul_f64_e32 v[20:21], v[8:9], v[153:154]
	v_add_f64_e32 v[14:15], v[14:15], v[24:25]
	v_add_f64_e32 v[16:17], v[16:17], v[22:23]
	v_fma_f64 v[22:23], v[4:5], v[38:39], v[26:27]
	v_fma_f64 v[24:25], v[2:3], v[38:39], -v[28:29]
	ds_load_b128 v[2:5], v1 offset:1648
	v_fma_f64 v[8:9], v[8:9], v[151:152], v[18:19]
	v_fma_f64 v[6:7], v[6:7], v[151:152], -v[20:21]
	v_add_f64_e32 v[10:11], v[14:15], v[10:11]
	v_add_f64_e32 v[12:13], v[16:17], v[12:13]
	s_wait_loadcnt_dscnt 0x0
	v_mul_f64_e32 v[14:15], v[2:3], v[36:37]
	v_mul_f64_e32 v[16:17], v[4:5], v[36:37]
	s_delay_alu instid0(VALU_DEP_4) | instskip(NEXT) | instid1(VALU_DEP_4)
	v_add_f64_e32 v[10:11], v[10:11], v[24:25]
	v_add_f64_e32 v[12:13], v[12:13], v[22:23]
	s_delay_alu instid0(VALU_DEP_4) | instskip(NEXT) | instid1(VALU_DEP_4)
	v_fma_f64 v[4:5], v[4:5], v[34:35], v[14:15]
	v_fma_f64 v[2:3], v[2:3], v[34:35], -v[16:17]
	s_delay_alu instid0(VALU_DEP_4) | instskip(NEXT) | instid1(VALU_DEP_4)
	v_add_f64_e32 v[6:7], v[10:11], v[6:7]
	v_add_f64_e32 v[8:9], v[12:13], v[8:9]
	s_delay_alu instid0(VALU_DEP_2) | instskip(NEXT) | instid1(VALU_DEP_2)
	v_add_f64_e32 v[2:3], v[6:7], v[2:3]
	v_add_f64_e32 v[4:5], v[8:9], v[4:5]
	s_delay_alu instid0(VALU_DEP_2) | instskip(NEXT) | instid1(VALU_DEP_2)
	v_add_f64_e64 v[2:3], v[42:43], -v[2:3]
	v_add_f64_e64 v[4:5], v[44:45], -v[4:5]
	scratch_store_b128 off, v[2:5], off offset:336
	v_cmpx_lt_u32_e32 19, v0
	s_cbranch_execz .LBB51_287
; %bb.286:
	scratch_load_b128 v[5:8], off, s46
	v_dual_mov_b32 v2, v1 :: v_dual_mov_b32 v3, v1
	v_mov_b32_e32 v4, v1
	scratch_store_b128 off, v[1:4], off offset:320
	s_wait_loadcnt 0x0
	ds_store_b128 v150, v[5:8]
.LBB51_287:
	s_wait_alu 0xfffe
	s_or_b32 exec_lo, exec_lo, s0
	s_wait_storecnt_dscnt 0x0
	s_barrier_signal -1
	s_barrier_wait -1
	global_inv scope:SCOPE_SE
	s_clause 0x8
	scratch_load_b128 v[2:5], off, off offset:336
	scratch_load_b128 v[6:9], off, off offset:352
	;; [unrolled: 1-line block ×9, first 2 shown]
	ds_load_b128 v[38:41], v1 offset:1152
	ds_load_b128 v[42:45], v1 offset:1168
	s_clause 0x1
	scratch_load_b128 v[151:154], off, off offset:320
	scratch_load_b128 v[155:158], off, off offset:480
	s_mov_b32 s0, exec_lo
	s_wait_loadcnt_dscnt 0xa01
	v_mul_f64_e32 v[159:160], v[40:41], v[4:5]
	v_mul_f64_e32 v[4:5], v[38:39], v[4:5]
	s_wait_loadcnt_dscnt 0x900
	v_mul_f64_e32 v[163:164], v[42:43], v[8:9]
	v_mul_f64_e32 v[8:9], v[44:45], v[8:9]
	s_delay_alu instid0(VALU_DEP_4) | instskip(NEXT) | instid1(VALU_DEP_4)
	v_fma_f64 v[165:166], v[38:39], v[2:3], -v[159:160]
	v_fma_f64 v[167:168], v[40:41], v[2:3], v[4:5]
	ds_load_b128 v[2:5], v1 offset:1184
	ds_load_b128 v[159:162], v1 offset:1200
	scratch_load_b128 v[38:41], off, off offset:496
	v_fma_f64 v[44:45], v[44:45], v[6:7], v[163:164]
	v_fma_f64 v[42:43], v[42:43], v[6:7], -v[8:9]
	scratch_load_b128 v[6:9], off, off offset:512
	s_wait_loadcnt_dscnt 0xa01
	v_mul_f64_e32 v[169:170], v[2:3], v[12:13]
	v_mul_f64_e32 v[12:13], v[4:5], v[12:13]
	v_add_f64_e32 v[163:164], 0, v[165:166]
	v_add_f64_e32 v[165:166], 0, v[167:168]
	s_wait_loadcnt_dscnt 0x900
	v_mul_f64_e32 v[167:168], v[159:160], v[16:17]
	v_mul_f64_e32 v[16:17], v[161:162], v[16:17]
	v_fma_f64 v[169:170], v[4:5], v[10:11], v[169:170]
	v_fma_f64 v[171:172], v[2:3], v[10:11], -v[12:13]
	ds_load_b128 v[2:5], v1 offset:1216
	scratch_load_b128 v[10:13], off, off offset:528
	v_add_f64_e32 v[163:164], v[163:164], v[42:43]
	v_add_f64_e32 v[165:166], v[165:166], v[44:45]
	ds_load_b128 v[42:45], v1 offset:1232
	v_fma_f64 v[161:162], v[161:162], v[14:15], v[167:168]
	v_fma_f64 v[159:160], v[159:160], v[14:15], -v[16:17]
	scratch_load_b128 v[14:17], off, off offset:544
	s_wait_loadcnt_dscnt 0xa01
	v_mul_f64_e32 v[173:174], v[2:3], v[20:21]
	v_mul_f64_e32 v[20:21], v[4:5], v[20:21]
	s_wait_loadcnt_dscnt 0x900
	v_mul_f64_e32 v[167:168], v[42:43], v[24:25]
	v_mul_f64_e32 v[24:25], v[44:45], v[24:25]
	v_add_f64_e32 v[163:164], v[163:164], v[171:172]
	v_add_f64_e32 v[165:166], v[165:166], v[169:170]
	v_fma_f64 v[169:170], v[4:5], v[18:19], v[173:174]
	v_fma_f64 v[171:172], v[2:3], v[18:19], -v[20:21]
	ds_load_b128 v[2:5], v1 offset:1248
	scratch_load_b128 v[18:21], off, off offset:560
	v_fma_f64 v[44:45], v[44:45], v[22:23], v[167:168]
	v_fma_f64 v[42:43], v[42:43], v[22:23], -v[24:25]
	scratch_load_b128 v[22:25], off, off offset:576
	v_add_f64_e32 v[163:164], v[163:164], v[159:160]
	v_add_f64_e32 v[165:166], v[165:166], v[161:162]
	ds_load_b128 v[159:162], v1 offset:1264
	s_wait_loadcnt_dscnt 0xa01
	v_mul_f64_e32 v[173:174], v[2:3], v[28:29]
	v_mul_f64_e32 v[28:29], v[4:5], v[28:29]
	s_wait_loadcnt_dscnt 0x900
	v_mul_f64_e32 v[167:168], v[159:160], v[32:33]
	v_mul_f64_e32 v[32:33], v[161:162], v[32:33]
	v_add_f64_e32 v[163:164], v[163:164], v[171:172]
	v_add_f64_e32 v[165:166], v[165:166], v[169:170]
	v_fma_f64 v[169:170], v[4:5], v[26:27], v[173:174]
	v_fma_f64 v[171:172], v[2:3], v[26:27], -v[28:29]
	ds_load_b128 v[2:5], v1 offset:1280
	scratch_load_b128 v[26:29], off, off offset:592
	v_fma_f64 v[161:162], v[161:162], v[30:31], v[167:168]
	v_fma_f64 v[159:160], v[159:160], v[30:31], -v[32:33]
	scratch_load_b128 v[30:33], off, off offset:608
	v_add_f64_e32 v[163:164], v[163:164], v[42:43]
	v_add_f64_e32 v[165:166], v[165:166], v[44:45]
	ds_load_b128 v[42:45], v1 offset:1296
	s_wait_loadcnt_dscnt 0xa01
	v_mul_f64_e32 v[173:174], v[2:3], v[36:37]
	v_mul_f64_e32 v[36:37], v[4:5], v[36:37]
	s_wait_loadcnt_dscnt 0x800
	v_mul_f64_e32 v[167:168], v[42:43], v[157:158]
	v_add_f64_e32 v[163:164], v[163:164], v[171:172]
	v_add_f64_e32 v[165:166], v[165:166], v[169:170]
	v_mul_f64_e32 v[169:170], v[44:45], v[157:158]
	v_fma_f64 v[171:172], v[4:5], v[34:35], v[173:174]
	v_fma_f64 v[173:174], v[2:3], v[34:35], -v[36:37]
	ds_load_b128 v[2:5], v1 offset:1312
	scratch_load_b128 v[34:37], off, off offset:624
	v_fma_f64 v[44:45], v[44:45], v[155:156], v[167:168]
	v_add_f64_e32 v[163:164], v[163:164], v[159:160]
	v_add_f64_e32 v[161:162], v[165:166], v[161:162]
	ds_load_b128 v[157:160], v1 offset:1328
	v_fma_f64 v[155:156], v[42:43], v[155:156], -v[169:170]
	s_wait_loadcnt_dscnt 0x801
	v_mul_f64_e32 v[165:166], v[2:3], v[40:41]
	v_mul_f64_e32 v[175:176], v[4:5], v[40:41]
	scratch_load_b128 v[40:43], off, off offset:640
	s_wait_loadcnt_dscnt 0x800
	v_mul_f64_e32 v[169:170], v[157:158], v[8:9]
	v_mul_f64_e32 v[8:9], v[159:160], v[8:9]
	v_add_f64_e32 v[163:164], v[163:164], v[173:174]
	v_add_f64_e32 v[161:162], v[161:162], v[171:172]
	v_fma_f64 v[171:172], v[4:5], v[38:39], v[165:166]
	v_fma_f64 v[38:39], v[2:3], v[38:39], -v[175:176]
	ds_load_b128 v[2:5], v1 offset:1344
	ds_load_b128 v[165:168], v1 offset:1360
	v_fma_f64 v[159:160], v[159:160], v[6:7], v[169:170]
	v_fma_f64 v[157:158], v[157:158], v[6:7], -v[8:9]
	scratch_load_b128 v[6:9], off, off offset:672
	v_add_f64_e32 v[155:156], v[163:164], v[155:156]
	v_add_f64_e32 v[44:45], v[161:162], v[44:45]
	scratch_load_b128 v[161:164], off, off offset:656
	s_wait_loadcnt_dscnt 0x901
	v_mul_f64_e32 v[173:174], v[2:3], v[12:13]
	v_mul_f64_e32 v[12:13], v[4:5], v[12:13]
	s_wait_loadcnt_dscnt 0x800
	v_mul_f64_e32 v[169:170], v[165:166], v[16:17]
	v_mul_f64_e32 v[16:17], v[167:168], v[16:17]
	v_add_f64_e32 v[38:39], v[155:156], v[38:39]
	v_add_f64_e32 v[44:45], v[44:45], v[171:172]
	v_fma_f64 v[171:172], v[4:5], v[10:11], v[173:174]
	v_fma_f64 v[173:174], v[2:3], v[10:11], -v[12:13]
	ds_load_b128 v[2:5], v1 offset:1376
	scratch_load_b128 v[10:13], off, off offset:688
	v_fma_f64 v[167:168], v[167:168], v[14:15], v[169:170]
	v_fma_f64 v[165:166], v[165:166], v[14:15], -v[16:17]
	scratch_load_b128 v[14:17], off, off offset:704
	v_add_f64_e32 v[38:39], v[38:39], v[157:158]
	v_add_f64_e32 v[44:45], v[44:45], v[159:160]
	ds_load_b128 v[155:158], v1 offset:1392
	s_wait_loadcnt_dscnt 0x901
	v_mul_f64_e32 v[159:160], v[2:3], v[20:21]
	v_mul_f64_e32 v[20:21], v[4:5], v[20:21]
	s_wait_loadcnt_dscnt 0x800
	v_mul_f64_e32 v[169:170], v[155:156], v[24:25]
	v_mul_f64_e32 v[24:25], v[157:158], v[24:25]
	v_add_f64_e32 v[38:39], v[38:39], v[173:174]
	v_add_f64_e32 v[44:45], v[44:45], v[171:172]
	v_fma_f64 v[159:160], v[4:5], v[18:19], v[159:160]
	v_fma_f64 v[171:172], v[2:3], v[18:19], -v[20:21]
	ds_load_b128 v[2:5], v1 offset:1408
	scratch_load_b128 v[18:21], off, off offset:720
	v_fma_f64 v[157:158], v[157:158], v[22:23], v[169:170]
	v_fma_f64 v[155:156], v[155:156], v[22:23], -v[24:25]
	scratch_load_b128 v[22:25], off, off offset:736
	v_add_f64_e32 v[38:39], v[38:39], v[165:166]
	v_add_f64_e32 v[44:45], v[44:45], v[167:168]
	ds_load_b128 v[165:168], v1 offset:1424
	s_wait_loadcnt_dscnt 0x901
	v_mul_f64_e32 v[173:174], v[2:3], v[28:29]
	v_mul_f64_e32 v[28:29], v[4:5], v[28:29]
	v_add_f64_e32 v[38:39], v[38:39], v[171:172]
	v_add_f64_e32 v[44:45], v[44:45], v[159:160]
	s_wait_loadcnt_dscnt 0x800
	v_mul_f64_e32 v[159:160], v[165:166], v[32:33]
	v_mul_f64_e32 v[32:33], v[167:168], v[32:33]
	v_fma_f64 v[169:170], v[4:5], v[26:27], v[173:174]
	v_fma_f64 v[171:172], v[2:3], v[26:27], -v[28:29]
	ds_load_b128 v[2:5], v1 offset:1440
	scratch_load_b128 v[26:29], off, off offset:752
	v_add_f64_e32 v[38:39], v[38:39], v[155:156]
	v_add_f64_e32 v[44:45], v[44:45], v[157:158]
	ds_load_b128 v[155:158], v1 offset:1456
	s_wait_loadcnt_dscnt 0x801
	v_mul_f64_e32 v[173:174], v[2:3], v[36:37]
	v_mul_f64_e32 v[36:37], v[4:5], v[36:37]
	v_fma_f64 v[159:160], v[167:168], v[30:31], v[159:160]
	v_fma_f64 v[165:166], v[165:166], v[30:31], -v[32:33]
	scratch_load_b128 v[30:33], off, off offset:768
	s_wait_loadcnt_dscnt 0x800
	v_mul_f64_e32 v[167:168], v[155:156], v[42:43]
	v_add_f64_e32 v[38:39], v[38:39], v[171:172]
	v_add_f64_e32 v[44:45], v[44:45], v[169:170]
	v_mul_f64_e32 v[169:170], v[157:158], v[42:43]
	v_fma_f64 v[171:172], v[4:5], v[34:35], v[173:174]
	v_fma_f64 v[173:174], v[2:3], v[34:35], -v[36:37]
	ds_load_b128 v[2:5], v1 offset:1472
	scratch_load_b128 v[34:37], off, off offset:784
	v_fma_f64 v[157:158], v[157:158], v[40:41], v[167:168]
	v_add_f64_e32 v[38:39], v[38:39], v[165:166]
	v_add_f64_e32 v[159:160], v[44:45], v[159:160]
	ds_load_b128 v[42:45], v1 offset:1488
	v_fma_f64 v[155:156], v[155:156], v[40:41], -v[169:170]
	s_wait_loadcnt_dscnt 0x701
	v_mul_f64_e32 v[165:166], v[2:3], v[163:164]
	v_mul_f64_e32 v[163:164], v[4:5], v[163:164]
	s_wait_dscnt 0x0
	v_mul_f64_e32 v[169:170], v[42:43], v[8:9]
	v_mul_f64_e32 v[8:9], v[44:45], v[8:9]
	v_add_f64_e32 v[167:168], v[38:39], v[173:174]
	v_add_f64_e32 v[159:160], v[159:160], v[171:172]
	scratch_load_b128 v[38:41], off, off offset:800
	v_fma_f64 v[165:166], v[4:5], v[161:162], v[165:166]
	v_fma_f64 v[163:164], v[2:3], v[161:162], -v[163:164]
	ds_load_b128 v[2:5], v1 offset:1504
	v_fma_f64 v[44:45], v[44:45], v[6:7], v[169:170]
	v_fma_f64 v[42:43], v[42:43], v[6:7], -v[8:9]
	scratch_load_b128 v[6:9], off, off offset:832
	v_add_f64_e32 v[167:168], v[167:168], v[155:156]
	v_add_f64_e32 v[171:172], v[159:160], v[157:158]
	scratch_load_b128 v[155:158], off, off offset:816
	ds_load_b128 v[159:162], v1 offset:1520
	s_wait_loadcnt_dscnt 0x901
	v_mul_f64_e32 v[173:174], v[2:3], v[12:13]
	v_mul_f64_e32 v[12:13], v[4:5], v[12:13]
	v_add_f64_e32 v[163:164], v[167:168], v[163:164]
	v_add_f64_e32 v[165:166], v[171:172], v[165:166]
	s_wait_loadcnt_dscnt 0x800
	v_mul_f64_e32 v[167:168], v[159:160], v[16:17]
	v_mul_f64_e32 v[16:17], v[161:162], v[16:17]
	v_fma_f64 v[169:170], v[4:5], v[10:11], v[173:174]
	v_fma_f64 v[171:172], v[2:3], v[10:11], -v[12:13]
	ds_load_b128 v[2:5], v1 offset:1536
	ds_load_b128 v[10:13], v1 offset:1552
	v_add_f64_e32 v[42:43], v[163:164], v[42:43]
	v_add_f64_e32 v[44:45], v[165:166], v[44:45]
	s_wait_loadcnt_dscnt 0x701
	v_mul_f64_e32 v[163:164], v[2:3], v[20:21]
	v_mul_f64_e32 v[20:21], v[4:5], v[20:21]
	v_fma_f64 v[161:162], v[161:162], v[14:15], v[167:168]
	v_fma_f64 v[14:15], v[159:160], v[14:15], -v[16:17]
	v_add_f64_e32 v[16:17], v[42:43], v[171:172]
	v_add_f64_e32 v[42:43], v[44:45], v[169:170]
	s_wait_loadcnt_dscnt 0x600
	v_mul_f64_e32 v[44:45], v[10:11], v[24:25]
	v_mul_f64_e32 v[24:25], v[12:13], v[24:25]
	v_fma_f64 v[159:160], v[4:5], v[18:19], v[163:164]
	v_fma_f64 v[18:19], v[2:3], v[18:19], -v[20:21]
	v_add_f64_e32 v[20:21], v[16:17], v[14:15]
	v_add_f64_e32 v[42:43], v[42:43], v[161:162]
	ds_load_b128 v[2:5], v1 offset:1568
	ds_load_b128 v[14:17], v1 offset:1584
	v_fma_f64 v[12:13], v[12:13], v[22:23], v[44:45]
	v_fma_f64 v[10:11], v[10:11], v[22:23], -v[24:25]
	s_wait_loadcnt_dscnt 0x501
	v_mul_f64_e32 v[161:162], v[2:3], v[28:29]
	v_mul_f64_e32 v[28:29], v[4:5], v[28:29]
	s_wait_loadcnt_dscnt 0x400
	v_mul_f64_e32 v[22:23], v[14:15], v[32:33]
	v_mul_f64_e32 v[24:25], v[16:17], v[32:33]
	v_add_f64_e32 v[18:19], v[20:21], v[18:19]
	v_add_f64_e32 v[20:21], v[42:43], v[159:160]
	v_fma_f64 v[32:33], v[4:5], v[26:27], v[161:162]
	v_fma_f64 v[26:27], v[2:3], v[26:27], -v[28:29]
	v_fma_f64 v[16:17], v[16:17], v[30:31], v[22:23]
	v_fma_f64 v[14:15], v[14:15], v[30:31], -v[24:25]
	v_add_f64_e32 v[18:19], v[18:19], v[10:11]
	v_add_f64_e32 v[20:21], v[20:21], v[12:13]
	ds_load_b128 v[2:5], v1 offset:1600
	ds_load_b128 v[10:13], v1 offset:1616
	s_wait_loadcnt_dscnt 0x301
	v_mul_f64_e32 v[28:29], v[2:3], v[36:37]
	v_mul_f64_e32 v[36:37], v[4:5], v[36:37]
	v_add_f64_e32 v[18:19], v[18:19], v[26:27]
	v_add_f64_e32 v[20:21], v[20:21], v[32:33]
	s_wait_loadcnt_dscnt 0x200
	v_mul_f64_e32 v[22:23], v[10:11], v[40:41]
	v_mul_f64_e32 v[24:25], v[12:13], v[40:41]
	v_fma_f64 v[26:27], v[4:5], v[34:35], v[28:29]
	v_fma_f64 v[28:29], v[2:3], v[34:35], -v[36:37]
	v_add_f64_e32 v[18:19], v[18:19], v[14:15]
	v_add_f64_e32 v[20:21], v[20:21], v[16:17]
	ds_load_b128 v[2:5], v1 offset:1632
	ds_load_b128 v[14:17], v1 offset:1648
	v_fma_f64 v[12:13], v[12:13], v[38:39], v[22:23]
	v_fma_f64 v[10:11], v[10:11], v[38:39], -v[24:25]
	s_wait_loadcnt_dscnt 0x1
	v_mul_f64_e32 v[30:31], v[2:3], v[157:158]
	v_mul_f64_e32 v[32:33], v[4:5], v[157:158]
	s_wait_dscnt 0x0
	v_mul_f64_e32 v[22:23], v[14:15], v[8:9]
	v_mul_f64_e32 v[8:9], v[16:17], v[8:9]
	v_add_f64_e32 v[18:19], v[18:19], v[28:29]
	v_add_f64_e32 v[20:21], v[20:21], v[26:27]
	v_fma_f64 v[4:5], v[4:5], v[155:156], v[30:31]
	v_fma_f64 v[1:2], v[2:3], v[155:156], -v[32:33]
	v_fma_f64 v[16:17], v[16:17], v[6:7], v[22:23]
	v_fma_f64 v[6:7], v[14:15], v[6:7], -v[8:9]
	v_add_f64_e32 v[10:11], v[18:19], v[10:11]
	v_add_f64_e32 v[12:13], v[20:21], v[12:13]
	s_delay_alu instid0(VALU_DEP_2) | instskip(NEXT) | instid1(VALU_DEP_2)
	v_add_f64_e32 v[1:2], v[10:11], v[1:2]
	v_add_f64_e32 v[3:4], v[12:13], v[4:5]
	s_delay_alu instid0(VALU_DEP_2) | instskip(NEXT) | instid1(VALU_DEP_2)
	;; [unrolled: 3-line block ×3, first 2 shown]
	v_add_f64_e64 v[1:2], v[151:152], -v[1:2]
	v_add_f64_e64 v[3:4], v[153:154], -v[3:4]
	scratch_store_b128 off, v[1:4], off offset:320
	v_cmpx_lt_u32_e32 18, v0
	s_cbranch_execz .LBB51_289
; %bb.288:
	scratch_load_b128 v[1:4], off, s47
	v_mov_b32_e32 v5, 0
	s_delay_alu instid0(VALU_DEP_1)
	v_dual_mov_b32 v6, v5 :: v_dual_mov_b32 v7, v5
	v_mov_b32_e32 v8, v5
	scratch_store_b128 off, v[5:8], off offset:304
	s_wait_loadcnt 0x0
	ds_store_b128 v150, v[1:4]
.LBB51_289:
	s_wait_alu 0xfffe
	s_or_b32 exec_lo, exec_lo, s0
	s_wait_storecnt_dscnt 0x0
	s_barrier_signal -1
	s_barrier_wait -1
	global_inv scope:SCOPE_SE
	s_clause 0x7
	scratch_load_b128 v[2:5], off, off offset:320
	scratch_load_b128 v[6:9], off, off offset:336
	;; [unrolled: 1-line block ×8, first 2 shown]
	v_mov_b32_e32 v1, 0
	s_mov_b32 s0, exec_lo
	ds_load_b128 v[34:37], v1 offset:1136
	s_clause 0x1
	scratch_load_b128 v[38:41], off, off offset:448
	scratch_load_b128 v[42:45], off, off offset:304
	ds_load_b128 v[151:154], v1 offset:1152
	scratch_load_b128 v[155:158], off, off offset:464
	s_wait_loadcnt_dscnt 0xa01
	v_mul_f64_e32 v[159:160], v[36:37], v[4:5]
	v_mul_f64_e32 v[4:5], v[34:35], v[4:5]
	s_delay_alu instid0(VALU_DEP_2) | instskip(NEXT) | instid1(VALU_DEP_2)
	v_fma_f64 v[165:166], v[34:35], v[2:3], -v[159:160]
	v_fma_f64 v[167:168], v[36:37], v[2:3], v[4:5]
	ds_load_b128 v[2:5], v1 offset:1168
	s_wait_loadcnt_dscnt 0x901
	v_mul_f64_e32 v[163:164], v[151:152], v[8:9]
	v_mul_f64_e32 v[8:9], v[153:154], v[8:9]
	scratch_load_b128 v[34:37], off, off offset:480
	ds_load_b128 v[159:162], v1 offset:1184
	s_wait_loadcnt_dscnt 0x901
	v_mul_f64_e32 v[169:170], v[2:3], v[12:13]
	v_mul_f64_e32 v[12:13], v[4:5], v[12:13]
	v_fma_f64 v[153:154], v[153:154], v[6:7], v[163:164]
	v_fma_f64 v[151:152], v[151:152], v[6:7], -v[8:9]
	v_add_f64_e32 v[163:164], 0, v[165:166]
	v_add_f64_e32 v[165:166], 0, v[167:168]
	scratch_load_b128 v[6:9], off, off offset:496
	v_fma_f64 v[169:170], v[4:5], v[10:11], v[169:170]
	v_fma_f64 v[171:172], v[2:3], v[10:11], -v[12:13]
	ds_load_b128 v[2:5], v1 offset:1200
	s_wait_loadcnt_dscnt 0x901
	v_mul_f64_e32 v[167:168], v[159:160], v[16:17]
	v_mul_f64_e32 v[16:17], v[161:162], v[16:17]
	scratch_load_b128 v[10:13], off, off offset:512
	v_add_f64_e32 v[163:164], v[163:164], v[151:152]
	v_add_f64_e32 v[165:166], v[165:166], v[153:154]
	s_wait_loadcnt_dscnt 0x900
	v_mul_f64_e32 v[173:174], v[2:3], v[20:21]
	v_mul_f64_e32 v[20:21], v[4:5], v[20:21]
	ds_load_b128 v[151:154], v1 offset:1216
	v_fma_f64 v[161:162], v[161:162], v[14:15], v[167:168]
	v_fma_f64 v[159:160], v[159:160], v[14:15], -v[16:17]
	scratch_load_b128 v[14:17], off, off offset:528
	v_add_f64_e32 v[163:164], v[163:164], v[171:172]
	v_add_f64_e32 v[165:166], v[165:166], v[169:170]
	v_fma_f64 v[169:170], v[4:5], v[18:19], v[173:174]
	v_fma_f64 v[171:172], v[2:3], v[18:19], -v[20:21]
	ds_load_b128 v[2:5], v1 offset:1232
	s_wait_loadcnt_dscnt 0x901
	v_mul_f64_e32 v[167:168], v[151:152], v[24:25]
	v_mul_f64_e32 v[24:25], v[153:154], v[24:25]
	scratch_load_b128 v[18:21], off, off offset:544
	s_wait_loadcnt_dscnt 0x900
	v_mul_f64_e32 v[173:174], v[2:3], v[28:29]
	v_mul_f64_e32 v[28:29], v[4:5], v[28:29]
	v_add_f64_e32 v[163:164], v[163:164], v[159:160]
	v_add_f64_e32 v[165:166], v[165:166], v[161:162]
	ds_load_b128 v[159:162], v1 offset:1248
	v_fma_f64 v[153:154], v[153:154], v[22:23], v[167:168]
	v_fma_f64 v[151:152], v[151:152], v[22:23], -v[24:25]
	scratch_load_b128 v[22:25], off, off offset:560
	v_add_f64_e32 v[163:164], v[163:164], v[171:172]
	v_add_f64_e32 v[165:166], v[165:166], v[169:170]
	v_fma_f64 v[169:170], v[4:5], v[26:27], v[173:174]
	v_fma_f64 v[171:172], v[2:3], v[26:27], -v[28:29]
	ds_load_b128 v[2:5], v1 offset:1264
	s_wait_loadcnt_dscnt 0x901
	v_mul_f64_e32 v[167:168], v[159:160], v[32:33]
	v_mul_f64_e32 v[32:33], v[161:162], v[32:33]
	scratch_load_b128 v[26:29], off, off offset:576
	s_wait_loadcnt_dscnt 0x900
	v_mul_f64_e32 v[173:174], v[2:3], v[40:41]
	v_mul_f64_e32 v[40:41], v[4:5], v[40:41]
	v_add_f64_e32 v[163:164], v[163:164], v[151:152]
	v_add_f64_e32 v[165:166], v[165:166], v[153:154]
	ds_load_b128 v[151:154], v1 offset:1280
	v_fma_f64 v[161:162], v[161:162], v[30:31], v[167:168]
	v_fma_f64 v[159:160], v[159:160], v[30:31], -v[32:33]
	scratch_load_b128 v[30:33], off, off offset:592
	v_add_f64_e32 v[163:164], v[163:164], v[171:172]
	v_add_f64_e32 v[165:166], v[165:166], v[169:170]
	v_fma_f64 v[171:172], v[4:5], v[38:39], v[173:174]
	v_fma_f64 v[173:174], v[2:3], v[38:39], -v[40:41]
	ds_load_b128 v[2:5], v1 offset:1296
	s_wait_loadcnt_dscnt 0x801
	v_mul_f64_e32 v[167:168], v[151:152], v[157:158]
	v_mul_f64_e32 v[169:170], v[153:154], v[157:158]
	scratch_load_b128 v[38:41], off, off offset:608
	v_add_f64_e32 v[163:164], v[163:164], v[159:160]
	v_add_f64_e32 v[161:162], v[165:166], v[161:162]
	ds_load_b128 v[157:160], v1 offset:1312
	v_fma_f64 v[167:168], v[153:154], v[155:156], v[167:168]
	v_fma_f64 v[155:156], v[151:152], v[155:156], -v[169:170]
	scratch_load_b128 v[151:154], off, off offset:624
	s_wait_loadcnt_dscnt 0x901
	v_mul_f64_e32 v[165:166], v[2:3], v[36:37]
	v_mul_f64_e32 v[36:37], v[4:5], v[36:37]
	v_add_f64_e32 v[163:164], v[163:164], v[173:174]
	v_add_f64_e32 v[161:162], v[161:162], v[171:172]
	s_delay_alu instid0(VALU_DEP_4) | instskip(NEXT) | instid1(VALU_DEP_4)
	v_fma_f64 v[165:166], v[4:5], v[34:35], v[165:166]
	v_fma_f64 v[171:172], v[2:3], v[34:35], -v[36:37]
	ds_load_b128 v[2:5], v1 offset:1328
	s_wait_loadcnt_dscnt 0x801
	v_mul_f64_e32 v[169:170], v[157:158], v[8:9]
	v_mul_f64_e32 v[8:9], v[159:160], v[8:9]
	scratch_load_b128 v[34:37], off, off offset:640
	s_wait_loadcnt_dscnt 0x800
	v_mul_f64_e32 v[173:174], v[2:3], v[12:13]
	v_add_f64_e32 v[155:156], v[163:164], v[155:156]
	v_add_f64_e32 v[167:168], v[161:162], v[167:168]
	v_mul_f64_e32 v[12:13], v[4:5], v[12:13]
	ds_load_b128 v[161:164], v1 offset:1344
	v_fma_f64 v[159:160], v[159:160], v[6:7], v[169:170]
	v_fma_f64 v[157:158], v[157:158], v[6:7], -v[8:9]
	scratch_load_b128 v[6:9], off, off offset:656
	v_fma_f64 v[169:170], v[4:5], v[10:11], v[173:174]
	v_add_f64_e32 v[155:156], v[155:156], v[171:172]
	v_add_f64_e32 v[165:166], v[167:168], v[165:166]
	v_fma_f64 v[171:172], v[2:3], v[10:11], -v[12:13]
	ds_load_b128 v[2:5], v1 offset:1360
	s_wait_loadcnt_dscnt 0x801
	v_mul_f64_e32 v[167:168], v[161:162], v[16:17]
	v_mul_f64_e32 v[16:17], v[163:164], v[16:17]
	scratch_load_b128 v[10:13], off, off offset:672
	v_add_f64_e32 v[173:174], v[155:156], v[157:158]
	v_add_f64_e32 v[159:160], v[165:166], v[159:160]
	s_wait_loadcnt_dscnt 0x800
	v_mul_f64_e32 v[165:166], v[2:3], v[20:21]
	v_mul_f64_e32 v[20:21], v[4:5], v[20:21]
	v_fma_f64 v[163:164], v[163:164], v[14:15], v[167:168]
	v_fma_f64 v[161:162], v[161:162], v[14:15], -v[16:17]
	ds_load_b128 v[155:158], v1 offset:1376
	scratch_load_b128 v[14:17], off, off offset:688
	v_add_f64_e32 v[167:168], v[173:174], v[171:172]
	v_add_f64_e32 v[159:160], v[159:160], v[169:170]
	v_fma_f64 v[165:166], v[4:5], v[18:19], v[165:166]
	v_fma_f64 v[171:172], v[2:3], v[18:19], -v[20:21]
	ds_load_b128 v[2:5], v1 offset:1392
	s_wait_loadcnt_dscnt 0x801
	v_mul_f64_e32 v[169:170], v[155:156], v[24:25]
	v_mul_f64_e32 v[24:25], v[157:158], v[24:25]
	scratch_load_b128 v[18:21], off, off offset:704
	s_wait_loadcnt_dscnt 0x800
	v_mul_f64_e32 v[173:174], v[2:3], v[28:29]
	v_mul_f64_e32 v[28:29], v[4:5], v[28:29]
	v_add_f64_e32 v[167:168], v[167:168], v[161:162]
	v_add_f64_e32 v[163:164], v[159:160], v[163:164]
	ds_load_b128 v[159:162], v1 offset:1408
	v_fma_f64 v[157:158], v[157:158], v[22:23], v[169:170]
	v_fma_f64 v[155:156], v[155:156], v[22:23], -v[24:25]
	scratch_load_b128 v[22:25], off, off offset:720
	v_fma_f64 v[169:170], v[4:5], v[26:27], v[173:174]
	v_add_f64_e32 v[167:168], v[167:168], v[171:172]
	v_add_f64_e32 v[163:164], v[163:164], v[165:166]
	v_fma_f64 v[171:172], v[2:3], v[26:27], -v[28:29]
	ds_load_b128 v[2:5], v1 offset:1424
	s_wait_loadcnt_dscnt 0x801
	v_mul_f64_e32 v[165:166], v[159:160], v[32:33]
	v_mul_f64_e32 v[32:33], v[161:162], v[32:33]
	scratch_load_b128 v[26:29], off, off offset:736
	s_wait_loadcnt_dscnt 0x800
	v_mul_f64_e32 v[173:174], v[2:3], v[40:41]
	v_mul_f64_e32 v[40:41], v[4:5], v[40:41]
	v_add_f64_e32 v[167:168], v[167:168], v[155:156]
	v_add_f64_e32 v[163:164], v[163:164], v[157:158]
	ds_load_b128 v[155:158], v1 offset:1440
	v_fma_f64 v[161:162], v[161:162], v[30:31], v[165:166]
	v_fma_f64 v[159:160], v[159:160], v[30:31], -v[32:33]
	scratch_load_b128 v[30:33], off, off offset:752
	v_add_f64_e32 v[165:166], v[167:168], v[171:172]
	v_add_f64_e32 v[163:164], v[163:164], v[169:170]
	v_fma_f64 v[169:170], v[4:5], v[38:39], v[173:174]
	v_fma_f64 v[171:172], v[2:3], v[38:39], -v[40:41]
	ds_load_b128 v[2:5], v1 offset:1456
	s_wait_loadcnt_dscnt 0x801
	v_mul_f64_e32 v[167:168], v[155:156], v[153:154]
	v_mul_f64_e32 v[153:154], v[157:158], v[153:154]
	scratch_load_b128 v[38:41], off, off offset:768
	s_wait_loadcnt_dscnt 0x800
	v_mul_f64_e32 v[173:174], v[2:3], v[36:37]
	v_mul_f64_e32 v[36:37], v[4:5], v[36:37]
	v_add_f64_e32 v[165:166], v[165:166], v[159:160]
	v_add_f64_e32 v[163:164], v[163:164], v[161:162]
	ds_load_b128 v[159:162], v1 offset:1472
	v_fma_f64 v[157:158], v[157:158], v[151:152], v[167:168]
	v_fma_f64 v[155:156], v[155:156], v[151:152], -v[153:154]
	scratch_load_b128 v[151:154], off, off offset:784
	v_add_f64_e32 v[165:166], v[165:166], v[171:172]
	v_add_f64_e32 v[163:164], v[163:164], v[169:170]
	v_fma_f64 v[169:170], v[4:5], v[34:35], v[173:174]
	;; [unrolled: 18-line block ×3, first 2 shown]
	v_fma_f64 v[171:172], v[2:3], v[10:11], -v[12:13]
	ds_load_b128 v[2:5], v1 offset:1520
	s_wait_loadcnt_dscnt 0x801
	v_mul_f64_e32 v[167:168], v[155:156], v[16:17]
	v_mul_f64_e32 v[16:17], v[157:158], v[16:17]
	scratch_load_b128 v[10:13], off, off offset:832
	s_wait_loadcnt_dscnt 0x800
	v_mul_f64_e32 v[173:174], v[2:3], v[20:21]
	v_mul_f64_e32 v[20:21], v[4:5], v[20:21]
	v_add_f64_e32 v[165:166], v[165:166], v[159:160]
	v_add_f64_e32 v[163:164], v[163:164], v[161:162]
	ds_load_b128 v[159:162], v1 offset:1536
	v_fma_f64 v[157:158], v[157:158], v[14:15], v[167:168]
	v_fma_f64 v[14:15], v[155:156], v[14:15], -v[16:17]
	v_add_f64_e32 v[16:17], v[165:166], v[171:172]
	v_add_f64_e32 v[155:156], v[163:164], v[169:170]
	s_wait_loadcnt_dscnt 0x700
	v_mul_f64_e32 v[163:164], v[159:160], v[24:25]
	v_mul_f64_e32 v[24:25], v[161:162], v[24:25]
	v_fma_f64 v[165:166], v[4:5], v[18:19], v[173:174]
	v_fma_f64 v[18:19], v[2:3], v[18:19], -v[20:21]
	v_add_f64_e32 v[20:21], v[16:17], v[14:15]
	v_add_f64_e32 v[155:156], v[155:156], v[157:158]
	ds_load_b128 v[2:5], v1 offset:1552
	ds_load_b128 v[14:17], v1 offset:1568
	v_fma_f64 v[161:162], v[161:162], v[22:23], v[163:164]
	v_fma_f64 v[22:23], v[159:160], v[22:23], -v[24:25]
	s_wait_loadcnt_dscnt 0x601
	v_mul_f64_e32 v[157:158], v[2:3], v[28:29]
	v_mul_f64_e32 v[28:29], v[4:5], v[28:29]
	s_wait_loadcnt_dscnt 0x500
	v_mul_f64_e32 v[24:25], v[14:15], v[32:33]
	v_mul_f64_e32 v[32:33], v[16:17], v[32:33]
	v_add_f64_e32 v[18:19], v[20:21], v[18:19]
	v_add_f64_e32 v[20:21], v[155:156], v[165:166]
	v_fma_f64 v[155:156], v[4:5], v[26:27], v[157:158]
	v_fma_f64 v[26:27], v[2:3], v[26:27], -v[28:29]
	v_fma_f64 v[16:17], v[16:17], v[30:31], v[24:25]
	v_fma_f64 v[14:15], v[14:15], v[30:31], -v[32:33]
	v_add_f64_e32 v[22:23], v[18:19], v[22:23]
	v_add_f64_e32 v[28:29], v[20:21], v[161:162]
	ds_load_b128 v[2:5], v1 offset:1584
	ds_load_b128 v[18:21], v1 offset:1600
	s_wait_loadcnt_dscnt 0x401
	v_mul_f64_e32 v[157:158], v[2:3], v[40:41]
	v_mul_f64_e32 v[40:41], v[4:5], v[40:41]
	v_add_f64_e32 v[22:23], v[22:23], v[26:27]
	v_add_f64_e32 v[24:25], v[28:29], v[155:156]
	s_wait_loadcnt_dscnt 0x300
	v_mul_f64_e32 v[26:27], v[18:19], v[153:154]
	v_mul_f64_e32 v[28:29], v[20:21], v[153:154]
	v_fma_f64 v[30:31], v[4:5], v[38:39], v[157:158]
	v_fma_f64 v[32:33], v[2:3], v[38:39], -v[40:41]
	v_add_f64_e32 v[22:23], v[22:23], v[14:15]
	v_add_f64_e32 v[24:25], v[24:25], v[16:17]
	ds_load_b128 v[2:5], v1 offset:1616
	ds_load_b128 v[14:17], v1 offset:1632
	v_fma_f64 v[20:21], v[20:21], v[151:152], v[26:27]
	v_fma_f64 v[18:19], v[18:19], v[151:152], -v[28:29]
	s_wait_loadcnt_dscnt 0x201
	v_mul_f64_e32 v[38:39], v[2:3], v[36:37]
	v_mul_f64_e32 v[36:37], v[4:5], v[36:37]
	s_wait_loadcnt_dscnt 0x100
	v_mul_f64_e32 v[26:27], v[14:15], v[8:9]
	v_mul_f64_e32 v[8:9], v[16:17], v[8:9]
	v_add_f64_e32 v[22:23], v[22:23], v[32:33]
	v_add_f64_e32 v[24:25], v[24:25], v[30:31]
	v_fma_f64 v[28:29], v[4:5], v[34:35], v[38:39]
	v_fma_f64 v[30:31], v[2:3], v[34:35], -v[36:37]
	ds_load_b128 v[2:5], v1 offset:1648
	v_fma_f64 v[16:17], v[16:17], v[6:7], v[26:27]
	v_fma_f64 v[6:7], v[14:15], v[6:7], -v[8:9]
	v_add_f64_e32 v[18:19], v[22:23], v[18:19]
	v_add_f64_e32 v[20:21], v[24:25], v[20:21]
	s_wait_loadcnt_dscnt 0x0
	v_mul_f64_e32 v[22:23], v[2:3], v[12:13]
	v_mul_f64_e32 v[12:13], v[4:5], v[12:13]
	s_delay_alu instid0(VALU_DEP_4) | instskip(NEXT) | instid1(VALU_DEP_4)
	v_add_f64_e32 v[8:9], v[18:19], v[30:31]
	v_add_f64_e32 v[14:15], v[20:21], v[28:29]
	s_delay_alu instid0(VALU_DEP_4) | instskip(NEXT) | instid1(VALU_DEP_4)
	v_fma_f64 v[4:5], v[4:5], v[10:11], v[22:23]
	v_fma_f64 v[2:3], v[2:3], v[10:11], -v[12:13]
	s_delay_alu instid0(VALU_DEP_4) | instskip(NEXT) | instid1(VALU_DEP_4)
	v_add_f64_e32 v[6:7], v[8:9], v[6:7]
	v_add_f64_e32 v[8:9], v[14:15], v[16:17]
	s_delay_alu instid0(VALU_DEP_2) | instskip(NEXT) | instid1(VALU_DEP_2)
	v_add_f64_e32 v[2:3], v[6:7], v[2:3]
	v_add_f64_e32 v[4:5], v[8:9], v[4:5]
	s_delay_alu instid0(VALU_DEP_2) | instskip(NEXT) | instid1(VALU_DEP_2)
	v_add_f64_e64 v[2:3], v[42:43], -v[2:3]
	v_add_f64_e64 v[4:5], v[44:45], -v[4:5]
	scratch_store_b128 off, v[2:5], off offset:304
	v_cmpx_lt_u32_e32 17, v0
	s_cbranch_execz .LBB51_291
; %bb.290:
	scratch_load_b128 v[5:8], off, s48
	v_dual_mov_b32 v2, v1 :: v_dual_mov_b32 v3, v1
	v_mov_b32_e32 v4, v1
	scratch_store_b128 off, v[1:4], off offset:288
	s_wait_loadcnt 0x0
	ds_store_b128 v150, v[5:8]
.LBB51_291:
	s_wait_alu 0xfffe
	s_or_b32 exec_lo, exec_lo, s0
	s_wait_storecnt_dscnt 0x0
	s_barrier_signal -1
	s_barrier_wait -1
	global_inv scope:SCOPE_SE
	s_clause 0x8
	scratch_load_b128 v[2:5], off, off offset:304
	scratch_load_b128 v[6:9], off, off offset:320
	;; [unrolled: 1-line block ×9, first 2 shown]
	ds_load_b128 v[38:41], v1 offset:1120
	ds_load_b128 v[42:45], v1 offset:1136
	s_clause 0x1
	scratch_load_b128 v[151:154], off, off offset:288
	scratch_load_b128 v[155:158], off, off offset:448
	s_mov_b32 s0, exec_lo
	s_wait_loadcnt_dscnt 0xa01
	v_mul_f64_e32 v[159:160], v[40:41], v[4:5]
	v_mul_f64_e32 v[4:5], v[38:39], v[4:5]
	s_wait_loadcnt_dscnt 0x900
	v_mul_f64_e32 v[163:164], v[42:43], v[8:9]
	v_mul_f64_e32 v[8:9], v[44:45], v[8:9]
	s_delay_alu instid0(VALU_DEP_4) | instskip(NEXT) | instid1(VALU_DEP_4)
	v_fma_f64 v[165:166], v[38:39], v[2:3], -v[159:160]
	v_fma_f64 v[167:168], v[40:41], v[2:3], v[4:5]
	ds_load_b128 v[2:5], v1 offset:1152
	ds_load_b128 v[159:162], v1 offset:1168
	scratch_load_b128 v[38:41], off, off offset:464
	v_fma_f64 v[44:45], v[44:45], v[6:7], v[163:164]
	v_fma_f64 v[42:43], v[42:43], v[6:7], -v[8:9]
	scratch_load_b128 v[6:9], off, off offset:480
	s_wait_loadcnt_dscnt 0xa01
	v_mul_f64_e32 v[169:170], v[2:3], v[12:13]
	v_mul_f64_e32 v[12:13], v[4:5], v[12:13]
	v_add_f64_e32 v[163:164], 0, v[165:166]
	v_add_f64_e32 v[165:166], 0, v[167:168]
	s_wait_loadcnt_dscnt 0x900
	v_mul_f64_e32 v[167:168], v[159:160], v[16:17]
	v_mul_f64_e32 v[16:17], v[161:162], v[16:17]
	v_fma_f64 v[169:170], v[4:5], v[10:11], v[169:170]
	v_fma_f64 v[171:172], v[2:3], v[10:11], -v[12:13]
	ds_load_b128 v[2:5], v1 offset:1184
	scratch_load_b128 v[10:13], off, off offset:496
	v_add_f64_e32 v[163:164], v[163:164], v[42:43]
	v_add_f64_e32 v[165:166], v[165:166], v[44:45]
	ds_load_b128 v[42:45], v1 offset:1200
	v_fma_f64 v[161:162], v[161:162], v[14:15], v[167:168]
	v_fma_f64 v[159:160], v[159:160], v[14:15], -v[16:17]
	scratch_load_b128 v[14:17], off, off offset:512
	s_wait_loadcnt_dscnt 0xa01
	v_mul_f64_e32 v[173:174], v[2:3], v[20:21]
	v_mul_f64_e32 v[20:21], v[4:5], v[20:21]
	s_wait_loadcnt_dscnt 0x900
	v_mul_f64_e32 v[167:168], v[42:43], v[24:25]
	v_mul_f64_e32 v[24:25], v[44:45], v[24:25]
	v_add_f64_e32 v[163:164], v[163:164], v[171:172]
	v_add_f64_e32 v[165:166], v[165:166], v[169:170]
	v_fma_f64 v[169:170], v[4:5], v[18:19], v[173:174]
	v_fma_f64 v[171:172], v[2:3], v[18:19], -v[20:21]
	ds_load_b128 v[2:5], v1 offset:1216
	scratch_load_b128 v[18:21], off, off offset:528
	v_fma_f64 v[44:45], v[44:45], v[22:23], v[167:168]
	v_fma_f64 v[42:43], v[42:43], v[22:23], -v[24:25]
	scratch_load_b128 v[22:25], off, off offset:544
	v_add_f64_e32 v[163:164], v[163:164], v[159:160]
	v_add_f64_e32 v[165:166], v[165:166], v[161:162]
	ds_load_b128 v[159:162], v1 offset:1232
	s_wait_loadcnt_dscnt 0xa01
	v_mul_f64_e32 v[173:174], v[2:3], v[28:29]
	v_mul_f64_e32 v[28:29], v[4:5], v[28:29]
	s_wait_loadcnt_dscnt 0x900
	v_mul_f64_e32 v[167:168], v[159:160], v[32:33]
	v_mul_f64_e32 v[32:33], v[161:162], v[32:33]
	v_add_f64_e32 v[163:164], v[163:164], v[171:172]
	v_add_f64_e32 v[165:166], v[165:166], v[169:170]
	v_fma_f64 v[169:170], v[4:5], v[26:27], v[173:174]
	v_fma_f64 v[171:172], v[2:3], v[26:27], -v[28:29]
	ds_load_b128 v[2:5], v1 offset:1248
	scratch_load_b128 v[26:29], off, off offset:560
	v_fma_f64 v[161:162], v[161:162], v[30:31], v[167:168]
	v_fma_f64 v[159:160], v[159:160], v[30:31], -v[32:33]
	scratch_load_b128 v[30:33], off, off offset:576
	v_add_f64_e32 v[163:164], v[163:164], v[42:43]
	v_add_f64_e32 v[165:166], v[165:166], v[44:45]
	ds_load_b128 v[42:45], v1 offset:1264
	s_wait_loadcnt_dscnt 0xa01
	v_mul_f64_e32 v[173:174], v[2:3], v[36:37]
	v_mul_f64_e32 v[36:37], v[4:5], v[36:37]
	s_wait_loadcnt_dscnt 0x800
	v_mul_f64_e32 v[167:168], v[42:43], v[157:158]
	v_add_f64_e32 v[163:164], v[163:164], v[171:172]
	v_add_f64_e32 v[165:166], v[165:166], v[169:170]
	v_mul_f64_e32 v[169:170], v[44:45], v[157:158]
	v_fma_f64 v[171:172], v[4:5], v[34:35], v[173:174]
	v_fma_f64 v[173:174], v[2:3], v[34:35], -v[36:37]
	ds_load_b128 v[2:5], v1 offset:1280
	scratch_load_b128 v[34:37], off, off offset:592
	v_fma_f64 v[44:45], v[44:45], v[155:156], v[167:168]
	v_add_f64_e32 v[163:164], v[163:164], v[159:160]
	v_add_f64_e32 v[161:162], v[165:166], v[161:162]
	ds_load_b128 v[157:160], v1 offset:1296
	v_fma_f64 v[155:156], v[42:43], v[155:156], -v[169:170]
	s_wait_loadcnt_dscnt 0x801
	v_mul_f64_e32 v[165:166], v[2:3], v[40:41]
	v_mul_f64_e32 v[175:176], v[4:5], v[40:41]
	scratch_load_b128 v[40:43], off, off offset:608
	s_wait_loadcnt_dscnt 0x800
	v_mul_f64_e32 v[169:170], v[157:158], v[8:9]
	v_mul_f64_e32 v[8:9], v[159:160], v[8:9]
	v_add_f64_e32 v[163:164], v[163:164], v[173:174]
	v_add_f64_e32 v[161:162], v[161:162], v[171:172]
	v_fma_f64 v[171:172], v[4:5], v[38:39], v[165:166]
	v_fma_f64 v[38:39], v[2:3], v[38:39], -v[175:176]
	ds_load_b128 v[2:5], v1 offset:1312
	ds_load_b128 v[165:168], v1 offset:1328
	v_fma_f64 v[159:160], v[159:160], v[6:7], v[169:170]
	v_fma_f64 v[157:158], v[157:158], v[6:7], -v[8:9]
	scratch_load_b128 v[6:9], off, off offset:640
	v_add_f64_e32 v[155:156], v[163:164], v[155:156]
	v_add_f64_e32 v[44:45], v[161:162], v[44:45]
	scratch_load_b128 v[161:164], off, off offset:624
	s_wait_loadcnt_dscnt 0x901
	v_mul_f64_e32 v[173:174], v[2:3], v[12:13]
	v_mul_f64_e32 v[12:13], v[4:5], v[12:13]
	s_wait_loadcnt_dscnt 0x800
	v_mul_f64_e32 v[169:170], v[165:166], v[16:17]
	v_mul_f64_e32 v[16:17], v[167:168], v[16:17]
	v_add_f64_e32 v[38:39], v[155:156], v[38:39]
	v_add_f64_e32 v[44:45], v[44:45], v[171:172]
	v_fma_f64 v[171:172], v[4:5], v[10:11], v[173:174]
	v_fma_f64 v[173:174], v[2:3], v[10:11], -v[12:13]
	ds_load_b128 v[2:5], v1 offset:1344
	scratch_load_b128 v[10:13], off, off offset:656
	v_fma_f64 v[167:168], v[167:168], v[14:15], v[169:170]
	v_fma_f64 v[165:166], v[165:166], v[14:15], -v[16:17]
	scratch_load_b128 v[14:17], off, off offset:672
	v_add_f64_e32 v[38:39], v[38:39], v[157:158]
	v_add_f64_e32 v[44:45], v[44:45], v[159:160]
	ds_load_b128 v[155:158], v1 offset:1360
	s_wait_loadcnt_dscnt 0x901
	v_mul_f64_e32 v[159:160], v[2:3], v[20:21]
	v_mul_f64_e32 v[20:21], v[4:5], v[20:21]
	s_wait_loadcnt_dscnt 0x800
	v_mul_f64_e32 v[169:170], v[155:156], v[24:25]
	v_mul_f64_e32 v[24:25], v[157:158], v[24:25]
	v_add_f64_e32 v[38:39], v[38:39], v[173:174]
	v_add_f64_e32 v[44:45], v[44:45], v[171:172]
	v_fma_f64 v[159:160], v[4:5], v[18:19], v[159:160]
	v_fma_f64 v[171:172], v[2:3], v[18:19], -v[20:21]
	ds_load_b128 v[2:5], v1 offset:1376
	scratch_load_b128 v[18:21], off, off offset:688
	v_fma_f64 v[157:158], v[157:158], v[22:23], v[169:170]
	v_fma_f64 v[155:156], v[155:156], v[22:23], -v[24:25]
	scratch_load_b128 v[22:25], off, off offset:704
	v_add_f64_e32 v[38:39], v[38:39], v[165:166]
	v_add_f64_e32 v[44:45], v[44:45], v[167:168]
	ds_load_b128 v[165:168], v1 offset:1392
	s_wait_loadcnt_dscnt 0x901
	v_mul_f64_e32 v[173:174], v[2:3], v[28:29]
	v_mul_f64_e32 v[28:29], v[4:5], v[28:29]
	v_add_f64_e32 v[38:39], v[38:39], v[171:172]
	v_add_f64_e32 v[44:45], v[44:45], v[159:160]
	s_wait_loadcnt_dscnt 0x800
	v_mul_f64_e32 v[159:160], v[165:166], v[32:33]
	v_mul_f64_e32 v[32:33], v[167:168], v[32:33]
	v_fma_f64 v[169:170], v[4:5], v[26:27], v[173:174]
	v_fma_f64 v[171:172], v[2:3], v[26:27], -v[28:29]
	ds_load_b128 v[2:5], v1 offset:1408
	scratch_load_b128 v[26:29], off, off offset:720
	v_add_f64_e32 v[38:39], v[38:39], v[155:156]
	v_add_f64_e32 v[44:45], v[44:45], v[157:158]
	ds_load_b128 v[155:158], v1 offset:1424
	s_wait_loadcnt_dscnt 0x801
	v_mul_f64_e32 v[173:174], v[2:3], v[36:37]
	v_mul_f64_e32 v[36:37], v[4:5], v[36:37]
	v_fma_f64 v[159:160], v[167:168], v[30:31], v[159:160]
	v_fma_f64 v[165:166], v[165:166], v[30:31], -v[32:33]
	scratch_load_b128 v[30:33], off, off offset:736
	s_wait_loadcnt_dscnt 0x800
	v_mul_f64_e32 v[167:168], v[155:156], v[42:43]
	v_add_f64_e32 v[38:39], v[38:39], v[171:172]
	v_add_f64_e32 v[44:45], v[44:45], v[169:170]
	v_mul_f64_e32 v[169:170], v[157:158], v[42:43]
	v_fma_f64 v[171:172], v[4:5], v[34:35], v[173:174]
	v_fma_f64 v[173:174], v[2:3], v[34:35], -v[36:37]
	ds_load_b128 v[2:5], v1 offset:1440
	scratch_load_b128 v[34:37], off, off offset:752
	v_fma_f64 v[157:158], v[157:158], v[40:41], v[167:168]
	v_add_f64_e32 v[38:39], v[38:39], v[165:166]
	v_add_f64_e32 v[159:160], v[44:45], v[159:160]
	ds_load_b128 v[42:45], v1 offset:1456
	v_fma_f64 v[155:156], v[155:156], v[40:41], -v[169:170]
	s_wait_loadcnt_dscnt 0x701
	v_mul_f64_e32 v[165:166], v[2:3], v[163:164]
	v_mul_f64_e32 v[163:164], v[4:5], v[163:164]
	s_wait_dscnt 0x0
	v_mul_f64_e32 v[169:170], v[42:43], v[8:9]
	v_mul_f64_e32 v[8:9], v[44:45], v[8:9]
	v_add_f64_e32 v[167:168], v[38:39], v[173:174]
	v_add_f64_e32 v[159:160], v[159:160], v[171:172]
	scratch_load_b128 v[38:41], off, off offset:768
	v_fma_f64 v[165:166], v[4:5], v[161:162], v[165:166]
	v_fma_f64 v[163:164], v[2:3], v[161:162], -v[163:164]
	ds_load_b128 v[2:5], v1 offset:1472
	v_fma_f64 v[44:45], v[44:45], v[6:7], v[169:170]
	v_fma_f64 v[42:43], v[42:43], v[6:7], -v[8:9]
	scratch_load_b128 v[6:9], off, off offset:800
	v_add_f64_e32 v[167:168], v[167:168], v[155:156]
	v_add_f64_e32 v[171:172], v[159:160], v[157:158]
	scratch_load_b128 v[155:158], off, off offset:784
	ds_load_b128 v[159:162], v1 offset:1488
	s_wait_loadcnt_dscnt 0x901
	v_mul_f64_e32 v[173:174], v[2:3], v[12:13]
	v_mul_f64_e32 v[12:13], v[4:5], v[12:13]
	v_add_f64_e32 v[163:164], v[167:168], v[163:164]
	v_add_f64_e32 v[165:166], v[171:172], v[165:166]
	s_wait_loadcnt_dscnt 0x800
	v_mul_f64_e32 v[167:168], v[159:160], v[16:17]
	v_mul_f64_e32 v[16:17], v[161:162], v[16:17]
	v_fma_f64 v[169:170], v[4:5], v[10:11], v[173:174]
	v_fma_f64 v[171:172], v[2:3], v[10:11], -v[12:13]
	ds_load_b128 v[2:5], v1 offset:1504
	scratch_load_b128 v[10:13], off, off offset:816
	v_add_f64_e32 v[163:164], v[163:164], v[42:43]
	v_add_f64_e32 v[165:166], v[165:166], v[44:45]
	ds_load_b128 v[42:45], v1 offset:1520
	s_wait_loadcnt_dscnt 0x801
	v_mul_f64_e32 v[173:174], v[2:3], v[20:21]
	v_mul_f64_e32 v[20:21], v[4:5], v[20:21]
	v_fma_f64 v[161:162], v[161:162], v[14:15], v[167:168]
	v_fma_f64 v[159:160], v[159:160], v[14:15], -v[16:17]
	scratch_load_b128 v[14:17], off, off offset:832
	s_wait_loadcnt_dscnt 0x800
	v_mul_f64_e32 v[167:168], v[42:43], v[24:25]
	v_mul_f64_e32 v[24:25], v[44:45], v[24:25]
	v_add_f64_e32 v[163:164], v[163:164], v[171:172]
	v_add_f64_e32 v[165:166], v[165:166], v[169:170]
	v_fma_f64 v[169:170], v[4:5], v[18:19], v[173:174]
	v_fma_f64 v[171:172], v[2:3], v[18:19], -v[20:21]
	ds_load_b128 v[2:5], v1 offset:1536
	ds_load_b128 v[18:21], v1 offset:1552
	v_fma_f64 v[44:45], v[44:45], v[22:23], v[167:168]
	v_fma_f64 v[22:23], v[42:43], v[22:23], -v[24:25]
	v_add_f64_e32 v[159:160], v[163:164], v[159:160]
	v_add_f64_e32 v[161:162], v[165:166], v[161:162]
	s_wait_loadcnt_dscnt 0x701
	v_mul_f64_e32 v[163:164], v[2:3], v[28:29]
	v_mul_f64_e32 v[28:29], v[4:5], v[28:29]
	s_delay_alu instid0(VALU_DEP_4) | instskip(NEXT) | instid1(VALU_DEP_4)
	v_add_f64_e32 v[24:25], v[159:160], v[171:172]
	v_add_f64_e32 v[42:43], v[161:162], v[169:170]
	s_wait_loadcnt_dscnt 0x600
	v_mul_f64_e32 v[159:160], v[18:19], v[32:33]
	v_mul_f64_e32 v[32:33], v[20:21], v[32:33]
	v_fma_f64 v[161:162], v[4:5], v[26:27], v[163:164]
	v_fma_f64 v[26:27], v[2:3], v[26:27], -v[28:29]
	v_add_f64_e32 v[28:29], v[24:25], v[22:23]
	v_add_f64_e32 v[42:43], v[42:43], v[44:45]
	ds_load_b128 v[2:5], v1 offset:1568
	ds_load_b128 v[22:25], v1 offset:1584
	v_fma_f64 v[20:21], v[20:21], v[30:31], v[159:160]
	v_fma_f64 v[18:19], v[18:19], v[30:31], -v[32:33]
	s_wait_loadcnt_dscnt 0x501
	v_mul_f64_e32 v[44:45], v[2:3], v[36:37]
	v_mul_f64_e32 v[36:37], v[4:5], v[36:37]
	v_add_f64_e32 v[26:27], v[28:29], v[26:27]
	v_add_f64_e32 v[28:29], v[42:43], v[161:162]
	s_wait_loadcnt_dscnt 0x400
	v_mul_f64_e32 v[30:31], v[22:23], v[40:41]
	v_mul_f64_e32 v[32:33], v[24:25], v[40:41]
	v_fma_f64 v[40:41], v[4:5], v[34:35], v[44:45]
	v_fma_f64 v[34:35], v[2:3], v[34:35], -v[36:37]
	v_add_f64_e32 v[26:27], v[26:27], v[18:19]
	v_add_f64_e32 v[28:29], v[28:29], v[20:21]
	ds_load_b128 v[2:5], v1 offset:1600
	ds_load_b128 v[18:21], v1 offset:1616
	v_fma_f64 v[24:25], v[24:25], v[38:39], v[30:31]
	v_fma_f64 v[22:23], v[22:23], v[38:39], -v[32:33]
	s_wait_loadcnt_dscnt 0x201
	v_mul_f64_e32 v[36:37], v[2:3], v[157:158]
	v_mul_f64_e32 v[42:43], v[4:5], v[157:158]
	s_wait_dscnt 0x0
	v_mul_f64_e32 v[30:31], v[18:19], v[8:9]
	v_mul_f64_e32 v[8:9], v[20:21], v[8:9]
	v_add_f64_e32 v[26:27], v[26:27], v[34:35]
	v_add_f64_e32 v[28:29], v[28:29], v[40:41]
	v_fma_f64 v[32:33], v[4:5], v[155:156], v[36:37]
	v_fma_f64 v[34:35], v[2:3], v[155:156], -v[42:43]
	v_fma_f64 v[20:21], v[20:21], v[6:7], v[30:31]
	v_fma_f64 v[6:7], v[18:19], v[6:7], -v[8:9]
	v_add_f64_e32 v[26:27], v[26:27], v[22:23]
	v_add_f64_e32 v[28:29], v[28:29], v[24:25]
	ds_load_b128 v[2:5], v1 offset:1632
	ds_load_b128 v[22:25], v1 offset:1648
	s_wait_loadcnt_dscnt 0x101
	v_mul_f64_e32 v[36:37], v[2:3], v[12:13]
	v_mul_f64_e32 v[12:13], v[4:5], v[12:13]
	v_add_f64_e32 v[8:9], v[26:27], v[34:35]
	v_add_f64_e32 v[18:19], v[28:29], v[32:33]
	s_wait_loadcnt_dscnt 0x0
	v_mul_f64_e32 v[26:27], v[22:23], v[16:17]
	v_mul_f64_e32 v[16:17], v[24:25], v[16:17]
	v_fma_f64 v[4:5], v[4:5], v[10:11], v[36:37]
	v_fma_f64 v[1:2], v[2:3], v[10:11], -v[12:13]
	v_add_f64_e32 v[6:7], v[8:9], v[6:7]
	v_add_f64_e32 v[8:9], v[18:19], v[20:21]
	v_fma_f64 v[10:11], v[24:25], v[14:15], v[26:27]
	v_fma_f64 v[12:13], v[22:23], v[14:15], -v[16:17]
	s_delay_alu instid0(VALU_DEP_4) | instskip(NEXT) | instid1(VALU_DEP_4)
	v_add_f64_e32 v[1:2], v[6:7], v[1:2]
	v_add_f64_e32 v[3:4], v[8:9], v[4:5]
	s_delay_alu instid0(VALU_DEP_2) | instskip(NEXT) | instid1(VALU_DEP_2)
	v_add_f64_e32 v[1:2], v[1:2], v[12:13]
	v_add_f64_e32 v[3:4], v[3:4], v[10:11]
	s_delay_alu instid0(VALU_DEP_2) | instskip(NEXT) | instid1(VALU_DEP_2)
	v_add_f64_e64 v[1:2], v[151:152], -v[1:2]
	v_add_f64_e64 v[3:4], v[153:154], -v[3:4]
	scratch_store_b128 off, v[1:4], off offset:288
	v_cmpx_lt_u32_e32 16, v0
	s_cbranch_execz .LBB51_293
; %bb.292:
	scratch_load_b128 v[1:4], off, s49
	v_mov_b32_e32 v5, 0
	s_delay_alu instid0(VALU_DEP_1)
	v_dual_mov_b32 v6, v5 :: v_dual_mov_b32 v7, v5
	v_mov_b32_e32 v8, v5
	scratch_store_b128 off, v[5:8], off offset:272
	s_wait_loadcnt 0x0
	ds_store_b128 v150, v[1:4]
.LBB51_293:
	s_wait_alu 0xfffe
	s_or_b32 exec_lo, exec_lo, s0
	s_wait_storecnt_dscnt 0x0
	s_barrier_signal -1
	s_barrier_wait -1
	global_inv scope:SCOPE_SE
	s_clause 0x7
	scratch_load_b128 v[2:5], off, off offset:288
	scratch_load_b128 v[6:9], off, off offset:304
	;; [unrolled: 1-line block ×8, first 2 shown]
	v_mov_b32_e32 v1, 0
	s_mov_b32 s0, exec_lo
	ds_load_b128 v[38:41], v1 offset:1104
	s_clause 0x1
	scratch_load_b128 v[34:37], off, off offset:416
	scratch_load_b128 v[42:45], off, off offset:272
	ds_load_b128 v[151:154], v1 offset:1120
	scratch_load_b128 v[155:158], off, off offset:432
	s_wait_loadcnt_dscnt 0xa01
	v_mul_f64_e32 v[159:160], v[40:41], v[4:5]
	v_mul_f64_e32 v[4:5], v[38:39], v[4:5]
	s_delay_alu instid0(VALU_DEP_2) | instskip(NEXT) | instid1(VALU_DEP_2)
	v_fma_f64 v[165:166], v[38:39], v[2:3], -v[159:160]
	v_fma_f64 v[167:168], v[40:41], v[2:3], v[4:5]
	ds_load_b128 v[2:5], v1 offset:1136
	s_wait_loadcnt_dscnt 0x901
	v_mul_f64_e32 v[163:164], v[151:152], v[8:9]
	v_mul_f64_e32 v[8:9], v[153:154], v[8:9]
	scratch_load_b128 v[38:41], off, off offset:448
	ds_load_b128 v[159:162], v1 offset:1152
	s_wait_loadcnt_dscnt 0x901
	v_mul_f64_e32 v[169:170], v[2:3], v[12:13]
	v_mul_f64_e32 v[12:13], v[4:5], v[12:13]
	v_fma_f64 v[153:154], v[153:154], v[6:7], v[163:164]
	v_fma_f64 v[151:152], v[151:152], v[6:7], -v[8:9]
	v_add_f64_e32 v[163:164], 0, v[165:166]
	v_add_f64_e32 v[165:166], 0, v[167:168]
	scratch_load_b128 v[6:9], off, off offset:464
	v_fma_f64 v[169:170], v[4:5], v[10:11], v[169:170]
	v_fma_f64 v[171:172], v[2:3], v[10:11], -v[12:13]
	ds_load_b128 v[2:5], v1 offset:1168
	s_wait_loadcnt_dscnt 0x901
	v_mul_f64_e32 v[167:168], v[159:160], v[16:17]
	v_mul_f64_e32 v[16:17], v[161:162], v[16:17]
	scratch_load_b128 v[10:13], off, off offset:480
	v_add_f64_e32 v[163:164], v[163:164], v[151:152]
	v_add_f64_e32 v[165:166], v[165:166], v[153:154]
	s_wait_loadcnt_dscnt 0x900
	v_mul_f64_e32 v[173:174], v[2:3], v[20:21]
	v_mul_f64_e32 v[20:21], v[4:5], v[20:21]
	ds_load_b128 v[151:154], v1 offset:1184
	v_fma_f64 v[161:162], v[161:162], v[14:15], v[167:168]
	v_fma_f64 v[159:160], v[159:160], v[14:15], -v[16:17]
	scratch_load_b128 v[14:17], off, off offset:496
	v_add_f64_e32 v[163:164], v[163:164], v[171:172]
	v_add_f64_e32 v[165:166], v[165:166], v[169:170]
	v_fma_f64 v[169:170], v[4:5], v[18:19], v[173:174]
	v_fma_f64 v[171:172], v[2:3], v[18:19], -v[20:21]
	ds_load_b128 v[2:5], v1 offset:1200
	s_wait_loadcnt_dscnt 0x901
	v_mul_f64_e32 v[167:168], v[151:152], v[24:25]
	v_mul_f64_e32 v[24:25], v[153:154], v[24:25]
	scratch_load_b128 v[18:21], off, off offset:512
	s_wait_loadcnt_dscnt 0x900
	v_mul_f64_e32 v[173:174], v[2:3], v[28:29]
	v_mul_f64_e32 v[28:29], v[4:5], v[28:29]
	v_add_f64_e32 v[163:164], v[163:164], v[159:160]
	v_add_f64_e32 v[165:166], v[165:166], v[161:162]
	ds_load_b128 v[159:162], v1 offset:1216
	v_fma_f64 v[153:154], v[153:154], v[22:23], v[167:168]
	v_fma_f64 v[151:152], v[151:152], v[22:23], -v[24:25]
	scratch_load_b128 v[22:25], off, off offset:528
	v_add_f64_e32 v[163:164], v[163:164], v[171:172]
	v_add_f64_e32 v[165:166], v[165:166], v[169:170]
	v_fma_f64 v[169:170], v[4:5], v[26:27], v[173:174]
	v_fma_f64 v[171:172], v[2:3], v[26:27], -v[28:29]
	ds_load_b128 v[2:5], v1 offset:1232
	s_wait_loadcnt_dscnt 0x901
	v_mul_f64_e32 v[167:168], v[159:160], v[32:33]
	v_mul_f64_e32 v[32:33], v[161:162], v[32:33]
	scratch_load_b128 v[26:29], off, off offset:544
	s_wait_loadcnt_dscnt 0x900
	v_mul_f64_e32 v[173:174], v[2:3], v[36:37]
	v_mul_f64_e32 v[36:37], v[4:5], v[36:37]
	v_add_f64_e32 v[163:164], v[163:164], v[151:152]
	v_add_f64_e32 v[165:166], v[165:166], v[153:154]
	ds_load_b128 v[151:154], v1 offset:1248
	v_fma_f64 v[161:162], v[161:162], v[30:31], v[167:168]
	v_fma_f64 v[159:160], v[159:160], v[30:31], -v[32:33]
	scratch_load_b128 v[30:33], off, off offset:560
	v_add_f64_e32 v[163:164], v[163:164], v[171:172]
	v_add_f64_e32 v[165:166], v[165:166], v[169:170]
	v_fma_f64 v[171:172], v[4:5], v[34:35], v[173:174]
	v_fma_f64 v[173:174], v[2:3], v[34:35], -v[36:37]
	ds_load_b128 v[2:5], v1 offset:1264
	s_wait_loadcnt_dscnt 0x801
	v_mul_f64_e32 v[167:168], v[151:152], v[157:158]
	v_mul_f64_e32 v[169:170], v[153:154], v[157:158]
	scratch_load_b128 v[34:37], off, off offset:576
	v_add_f64_e32 v[163:164], v[163:164], v[159:160]
	v_add_f64_e32 v[161:162], v[165:166], v[161:162]
	ds_load_b128 v[157:160], v1 offset:1280
	v_fma_f64 v[167:168], v[153:154], v[155:156], v[167:168]
	v_fma_f64 v[155:156], v[151:152], v[155:156], -v[169:170]
	scratch_load_b128 v[151:154], off, off offset:592
	s_wait_loadcnt_dscnt 0x901
	v_mul_f64_e32 v[165:166], v[2:3], v[40:41]
	v_mul_f64_e32 v[40:41], v[4:5], v[40:41]
	v_add_f64_e32 v[163:164], v[163:164], v[173:174]
	v_add_f64_e32 v[161:162], v[161:162], v[171:172]
	s_delay_alu instid0(VALU_DEP_4) | instskip(NEXT) | instid1(VALU_DEP_4)
	v_fma_f64 v[165:166], v[4:5], v[38:39], v[165:166]
	v_fma_f64 v[171:172], v[2:3], v[38:39], -v[40:41]
	ds_load_b128 v[2:5], v1 offset:1296
	s_wait_loadcnt_dscnt 0x801
	v_mul_f64_e32 v[169:170], v[157:158], v[8:9]
	v_mul_f64_e32 v[8:9], v[159:160], v[8:9]
	scratch_load_b128 v[38:41], off, off offset:608
	s_wait_loadcnt_dscnt 0x800
	v_mul_f64_e32 v[173:174], v[2:3], v[12:13]
	v_add_f64_e32 v[155:156], v[163:164], v[155:156]
	v_add_f64_e32 v[167:168], v[161:162], v[167:168]
	v_mul_f64_e32 v[12:13], v[4:5], v[12:13]
	ds_load_b128 v[161:164], v1 offset:1312
	v_fma_f64 v[159:160], v[159:160], v[6:7], v[169:170]
	v_fma_f64 v[157:158], v[157:158], v[6:7], -v[8:9]
	scratch_load_b128 v[6:9], off, off offset:624
	v_fma_f64 v[169:170], v[4:5], v[10:11], v[173:174]
	v_add_f64_e32 v[155:156], v[155:156], v[171:172]
	v_add_f64_e32 v[165:166], v[167:168], v[165:166]
	v_fma_f64 v[171:172], v[2:3], v[10:11], -v[12:13]
	ds_load_b128 v[2:5], v1 offset:1328
	s_wait_loadcnt_dscnt 0x801
	v_mul_f64_e32 v[167:168], v[161:162], v[16:17]
	v_mul_f64_e32 v[16:17], v[163:164], v[16:17]
	scratch_load_b128 v[10:13], off, off offset:640
	v_add_f64_e32 v[173:174], v[155:156], v[157:158]
	v_add_f64_e32 v[159:160], v[165:166], v[159:160]
	s_wait_loadcnt_dscnt 0x800
	v_mul_f64_e32 v[165:166], v[2:3], v[20:21]
	v_mul_f64_e32 v[20:21], v[4:5], v[20:21]
	v_fma_f64 v[163:164], v[163:164], v[14:15], v[167:168]
	v_fma_f64 v[161:162], v[161:162], v[14:15], -v[16:17]
	ds_load_b128 v[155:158], v1 offset:1344
	scratch_load_b128 v[14:17], off, off offset:656
	v_add_f64_e32 v[167:168], v[173:174], v[171:172]
	v_add_f64_e32 v[159:160], v[159:160], v[169:170]
	v_fma_f64 v[165:166], v[4:5], v[18:19], v[165:166]
	v_fma_f64 v[171:172], v[2:3], v[18:19], -v[20:21]
	ds_load_b128 v[2:5], v1 offset:1360
	s_wait_loadcnt_dscnt 0x801
	v_mul_f64_e32 v[169:170], v[155:156], v[24:25]
	v_mul_f64_e32 v[24:25], v[157:158], v[24:25]
	scratch_load_b128 v[18:21], off, off offset:672
	s_wait_loadcnt_dscnt 0x800
	v_mul_f64_e32 v[173:174], v[2:3], v[28:29]
	v_mul_f64_e32 v[28:29], v[4:5], v[28:29]
	v_add_f64_e32 v[167:168], v[167:168], v[161:162]
	v_add_f64_e32 v[163:164], v[159:160], v[163:164]
	ds_load_b128 v[159:162], v1 offset:1376
	v_fma_f64 v[157:158], v[157:158], v[22:23], v[169:170]
	v_fma_f64 v[155:156], v[155:156], v[22:23], -v[24:25]
	scratch_load_b128 v[22:25], off, off offset:688
	v_fma_f64 v[169:170], v[4:5], v[26:27], v[173:174]
	v_add_f64_e32 v[167:168], v[167:168], v[171:172]
	v_add_f64_e32 v[163:164], v[163:164], v[165:166]
	v_fma_f64 v[171:172], v[2:3], v[26:27], -v[28:29]
	ds_load_b128 v[2:5], v1 offset:1392
	s_wait_loadcnt_dscnt 0x801
	v_mul_f64_e32 v[165:166], v[159:160], v[32:33]
	v_mul_f64_e32 v[32:33], v[161:162], v[32:33]
	scratch_load_b128 v[26:29], off, off offset:704
	s_wait_loadcnt_dscnt 0x800
	v_mul_f64_e32 v[173:174], v[2:3], v[36:37]
	v_mul_f64_e32 v[36:37], v[4:5], v[36:37]
	v_add_f64_e32 v[167:168], v[167:168], v[155:156]
	v_add_f64_e32 v[163:164], v[163:164], v[157:158]
	ds_load_b128 v[155:158], v1 offset:1408
	v_fma_f64 v[161:162], v[161:162], v[30:31], v[165:166]
	v_fma_f64 v[159:160], v[159:160], v[30:31], -v[32:33]
	scratch_load_b128 v[30:33], off, off offset:720
	v_add_f64_e32 v[165:166], v[167:168], v[171:172]
	v_add_f64_e32 v[163:164], v[163:164], v[169:170]
	v_fma_f64 v[169:170], v[4:5], v[34:35], v[173:174]
	v_fma_f64 v[171:172], v[2:3], v[34:35], -v[36:37]
	ds_load_b128 v[2:5], v1 offset:1424
	s_wait_loadcnt_dscnt 0x801
	v_mul_f64_e32 v[167:168], v[155:156], v[153:154]
	v_mul_f64_e32 v[153:154], v[157:158], v[153:154]
	scratch_load_b128 v[34:37], off, off offset:736
	s_wait_loadcnt_dscnt 0x800
	v_mul_f64_e32 v[173:174], v[2:3], v[40:41]
	v_mul_f64_e32 v[40:41], v[4:5], v[40:41]
	v_add_f64_e32 v[165:166], v[165:166], v[159:160]
	v_add_f64_e32 v[163:164], v[163:164], v[161:162]
	ds_load_b128 v[159:162], v1 offset:1440
	v_fma_f64 v[157:158], v[157:158], v[151:152], v[167:168]
	v_fma_f64 v[155:156], v[155:156], v[151:152], -v[153:154]
	scratch_load_b128 v[151:154], off, off offset:752
	v_add_f64_e32 v[165:166], v[165:166], v[171:172]
	v_add_f64_e32 v[163:164], v[163:164], v[169:170]
	v_fma_f64 v[169:170], v[4:5], v[38:39], v[173:174]
	;; [unrolled: 18-line block ×4, first 2 shown]
	v_fma_f64 v[171:172], v[2:3], v[18:19], -v[20:21]
	ds_load_b128 v[2:5], v1 offset:1520
	s_wait_loadcnt_dscnt 0x801
	v_mul_f64_e32 v[167:168], v[159:160], v[24:25]
	v_mul_f64_e32 v[24:25], v[161:162], v[24:25]
	scratch_load_b128 v[18:21], off, off offset:832
	s_wait_loadcnt_dscnt 0x800
	v_mul_f64_e32 v[173:174], v[2:3], v[28:29]
	v_mul_f64_e32 v[28:29], v[4:5], v[28:29]
	v_add_f64_e32 v[165:166], v[165:166], v[155:156]
	v_add_f64_e32 v[163:164], v[163:164], v[157:158]
	ds_load_b128 v[155:158], v1 offset:1536
	v_fma_f64 v[161:162], v[161:162], v[22:23], v[167:168]
	v_fma_f64 v[22:23], v[159:160], v[22:23], -v[24:25]
	v_add_f64_e32 v[24:25], v[165:166], v[171:172]
	v_add_f64_e32 v[159:160], v[163:164], v[169:170]
	s_wait_loadcnt_dscnt 0x700
	v_mul_f64_e32 v[163:164], v[155:156], v[32:33]
	v_mul_f64_e32 v[32:33], v[157:158], v[32:33]
	v_fma_f64 v[165:166], v[4:5], v[26:27], v[173:174]
	v_fma_f64 v[26:27], v[2:3], v[26:27], -v[28:29]
	v_add_f64_e32 v[28:29], v[24:25], v[22:23]
	v_add_f64_e32 v[159:160], v[159:160], v[161:162]
	ds_load_b128 v[2:5], v1 offset:1552
	ds_load_b128 v[22:25], v1 offset:1568
	v_fma_f64 v[157:158], v[157:158], v[30:31], v[163:164]
	v_fma_f64 v[30:31], v[155:156], v[30:31], -v[32:33]
	s_wait_loadcnt_dscnt 0x601
	v_mul_f64_e32 v[161:162], v[2:3], v[36:37]
	v_mul_f64_e32 v[36:37], v[4:5], v[36:37]
	s_wait_loadcnt_dscnt 0x500
	v_mul_f64_e32 v[32:33], v[22:23], v[153:154]
	v_mul_f64_e32 v[153:154], v[24:25], v[153:154]
	v_add_f64_e32 v[26:27], v[28:29], v[26:27]
	v_add_f64_e32 v[28:29], v[159:160], v[165:166]
	v_fma_f64 v[155:156], v[4:5], v[34:35], v[161:162]
	v_fma_f64 v[34:35], v[2:3], v[34:35], -v[36:37]
	v_fma_f64 v[24:25], v[24:25], v[151:152], v[32:33]
	v_fma_f64 v[22:23], v[22:23], v[151:152], -v[153:154]
	v_add_f64_e32 v[30:31], v[26:27], v[30:31]
	v_add_f64_e32 v[36:37], v[28:29], v[157:158]
	ds_load_b128 v[2:5], v1 offset:1584
	ds_load_b128 v[26:29], v1 offset:1600
	s_wait_loadcnt_dscnt 0x401
	v_mul_f64_e32 v[157:158], v[2:3], v[40:41]
	v_mul_f64_e32 v[40:41], v[4:5], v[40:41]
	v_add_f64_e32 v[30:31], v[30:31], v[34:35]
	v_add_f64_e32 v[32:33], v[36:37], v[155:156]
	s_wait_loadcnt_dscnt 0x300
	v_mul_f64_e32 v[34:35], v[26:27], v[8:9]
	v_mul_f64_e32 v[8:9], v[28:29], v[8:9]
	v_fma_f64 v[36:37], v[4:5], v[38:39], v[157:158]
	v_fma_f64 v[38:39], v[2:3], v[38:39], -v[40:41]
	v_add_f64_e32 v[30:31], v[30:31], v[22:23]
	v_add_f64_e32 v[32:33], v[32:33], v[24:25]
	ds_load_b128 v[2:5], v1 offset:1616
	ds_load_b128 v[22:25], v1 offset:1632
	v_fma_f64 v[28:29], v[28:29], v[6:7], v[34:35]
	v_fma_f64 v[6:7], v[26:27], v[6:7], -v[8:9]
	s_wait_loadcnt_dscnt 0x201
	v_mul_f64_e32 v[40:41], v[2:3], v[12:13]
	v_mul_f64_e32 v[12:13], v[4:5], v[12:13]
	v_add_f64_e32 v[8:9], v[30:31], v[38:39]
	v_add_f64_e32 v[26:27], v[32:33], v[36:37]
	s_wait_loadcnt_dscnt 0x100
	v_mul_f64_e32 v[30:31], v[22:23], v[16:17]
	v_mul_f64_e32 v[16:17], v[24:25], v[16:17]
	v_fma_f64 v[32:33], v[4:5], v[10:11], v[40:41]
	v_fma_f64 v[10:11], v[2:3], v[10:11], -v[12:13]
	ds_load_b128 v[2:5], v1 offset:1648
	v_add_f64_e32 v[6:7], v[8:9], v[6:7]
	v_add_f64_e32 v[8:9], v[26:27], v[28:29]
	v_fma_f64 v[24:25], v[24:25], v[14:15], v[30:31]
	v_fma_f64 v[14:15], v[22:23], v[14:15], -v[16:17]
	s_wait_loadcnt_dscnt 0x0
	v_mul_f64_e32 v[12:13], v[2:3], v[20:21]
	v_mul_f64_e32 v[20:21], v[4:5], v[20:21]
	v_add_f64_e32 v[6:7], v[6:7], v[10:11]
	v_add_f64_e32 v[8:9], v[8:9], v[32:33]
	s_delay_alu instid0(VALU_DEP_4) | instskip(NEXT) | instid1(VALU_DEP_4)
	v_fma_f64 v[4:5], v[4:5], v[18:19], v[12:13]
	v_fma_f64 v[2:3], v[2:3], v[18:19], -v[20:21]
	s_delay_alu instid0(VALU_DEP_4) | instskip(NEXT) | instid1(VALU_DEP_4)
	v_add_f64_e32 v[6:7], v[6:7], v[14:15]
	v_add_f64_e32 v[8:9], v[8:9], v[24:25]
	s_delay_alu instid0(VALU_DEP_2) | instskip(NEXT) | instid1(VALU_DEP_2)
	v_add_f64_e32 v[2:3], v[6:7], v[2:3]
	v_add_f64_e32 v[4:5], v[8:9], v[4:5]
	s_delay_alu instid0(VALU_DEP_2) | instskip(NEXT) | instid1(VALU_DEP_2)
	v_add_f64_e64 v[2:3], v[42:43], -v[2:3]
	v_add_f64_e64 v[4:5], v[44:45], -v[4:5]
	scratch_store_b128 off, v[2:5], off offset:272
	v_cmpx_lt_u32_e32 15, v0
	s_cbranch_execz .LBB51_295
; %bb.294:
	scratch_load_b128 v[5:8], off, s50
	v_dual_mov_b32 v2, v1 :: v_dual_mov_b32 v3, v1
	v_mov_b32_e32 v4, v1
	scratch_store_b128 off, v[1:4], off offset:256
	s_wait_loadcnt 0x0
	ds_store_b128 v150, v[5:8]
.LBB51_295:
	s_wait_alu 0xfffe
	s_or_b32 exec_lo, exec_lo, s0
	s_wait_storecnt_dscnt 0x0
	s_barrier_signal -1
	s_barrier_wait -1
	global_inv scope:SCOPE_SE
	s_clause 0x8
	scratch_load_b128 v[2:5], off, off offset:272
	scratch_load_b128 v[6:9], off, off offset:288
	;; [unrolled: 1-line block ×9, first 2 shown]
	ds_load_b128 v[38:41], v1 offset:1088
	ds_load_b128 v[42:45], v1 offset:1104
	s_clause 0x1
	scratch_load_b128 v[151:154], off, off offset:256
	scratch_load_b128 v[155:158], off, off offset:416
	s_mov_b32 s0, exec_lo
	s_wait_loadcnt_dscnt 0xa01
	v_mul_f64_e32 v[159:160], v[40:41], v[4:5]
	v_mul_f64_e32 v[4:5], v[38:39], v[4:5]
	s_wait_loadcnt_dscnt 0x900
	v_mul_f64_e32 v[163:164], v[42:43], v[8:9]
	v_mul_f64_e32 v[8:9], v[44:45], v[8:9]
	s_delay_alu instid0(VALU_DEP_4) | instskip(NEXT) | instid1(VALU_DEP_4)
	v_fma_f64 v[165:166], v[38:39], v[2:3], -v[159:160]
	v_fma_f64 v[167:168], v[40:41], v[2:3], v[4:5]
	ds_load_b128 v[2:5], v1 offset:1120
	ds_load_b128 v[159:162], v1 offset:1136
	scratch_load_b128 v[38:41], off, off offset:432
	v_fma_f64 v[44:45], v[44:45], v[6:7], v[163:164]
	v_fma_f64 v[42:43], v[42:43], v[6:7], -v[8:9]
	scratch_load_b128 v[6:9], off, off offset:448
	s_wait_loadcnt_dscnt 0xa01
	v_mul_f64_e32 v[169:170], v[2:3], v[12:13]
	v_mul_f64_e32 v[12:13], v[4:5], v[12:13]
	v_add_f64_e32 v[163:164], 0, v[165:166]
	v_add_f64_e32 v[165:166], 0, v[167:168]
	s_wait_loadcnt_dscnt 0x900
	v_mul_f64_e32 v[167:168], v[159:160], v[16:17]
	v_mul_f64_e32 v[16:17], v[161:162], v[16:17]
	v_fma_f64 v[169:170], v[4:5], v[10:11], v[169:170]
	v_fma_f64 v[171:172], v[2:3], v[10:11], -v[12:13]
	ds_load_b128 v[2:5], v1 offset:1152
	scratch_load_b128 v[10:13], off, off offset:464
	v_add_f64_e32 v[163:164], v[163:164], v[42:43]
	v_add_f64_e32 v[165:166], v[165:166], v[44:45]
	ds_load_b128 v[42:45], v1 offset:1168
	v_fma_f64 v[161:162], v[161:162], v[14:15], v[167:168]
	v_fma_f64 v[159:160], v[159:160], v[14:15], -v[16:17]
	scratch_load_b128 v[14:17], off, off offset:480
	s_wait_loadcnt_dscnt 0xa01
	v_mul_f64_e32 v[173:174], v[2:3], v[20:21]
	v_mul_f64_e32 v[20:21], v[4:5], v[20:21]
	s_wait_loadcnt_dscnt 0x900
	v_mul_f64_e32 v[167:168], v[42:43], v[24:25]
	v_mul_f64_e32 v[24:25], v[44:45], v[24:25]
	v_add_f64_e32 v[163:164], v[163:164], v[171:172]
	v_add_f64_e32 v[165:166], v[165:166], v[169:170]
	v_fma_f64 v[169:170], v[4:5], v[18:19], v[173:174]
	v_fma_f64 v[171:172], v[2:3], v[18:19], -v[20:21]
	ds_load_b128 v[2:5], v1 offset:1184
	scratch_load_b128 v[18:21], off, off offset:496
	v_fma_f64 v[44:45], v[44:45], v[22:23], v[167:168]
	v_fma_f64 v[42:43], v[42:43], v[22:23], -v[24:25]
	scratch_load_b128 v[22:25], off, off offset:512
	v_add_f64_e32 v[163:164], v[163:164], v[159:160]
	v_add_f64_e32 v[165:166], v[165:166], v[161:162]
	ds_load_b128 v[159:162], v1 offset:1200
	s_wait_loadcnt_dscnt 0xa01
	v_mul_f64_e32 v[173:174], v[2:3], v[28:29]
	v_mul_f64_e32 v[28:29], v[4:5], v[28:29]
	s_wait_loadcnt_dscnt 0x900
	v_mul_f64_e32 v[167:168], v[159:160], v[32:33]
	v_mul_f64_e32 v[32:33], v[161:162], v[32:33]
	v_add_f64_e32 v[163:164], v[163:164], v[171:172]
	v_add_f64_e32 v[165:166], v[165:166], v[169:170]
	v_fma_f64 v[169:170], v[4:5], v[26:27], v[173:174]
	v_fma_f64 v[171:172], v[2:3], v[26:27], -v[28:29]
	ds_load_b128 v[2:5], v1 offset:1216
	scratch_load_b128 v[26:29], off, off offset:528
	v_fma_f64 v[161:162], v[161:162], v[30:31], v[167:168]
	v_fma_f64 v[159:160], v[159:160], v[30:31], -v[32:33]
	scratch_load_b128 v[30:33], off, off offset:544
	v_add_f64_e32 v[163:164], v[163:164], v[42:43]
	v_add_f64_e32 v[165:166], v[165:166], v[44:45]
	ds_load_b128 v[42:45], v1 offset:1232
	s_wait_loadcnt_dscnt 0xa01
	v_mul_f64_e32 v[173:174], v[2:3], v[36:37]
	v_mul_f64_e32 v[36:37], v[4:5], v[36:37]
	s_wait_loadcnt_dscnt 0x800
	v_mul_f64_e32 v[167:168], v[42:43], v[157:158]
	v_add_f64_e32 v[163:164], v[163:164], v[171:172]
	v_add_f64_e32 v[165:166], v[165:166], v[169:170]
	v_mul_f64_e32 v[169:170], v[44:45], v[157:158]
	v_fma_f64 v[171:172], v[4:5], v[34:35], v[173:174]
	v_fma_f64 v[173:174], v[2:3], v[34:35], -v[36:37]
	ds_load_b128 v[2:5], v1 offset:1248
	scratch_load_b128 v[34:37], off, off offset:560
	v_fma_f64 v[44:45], v[44:45], v[155:156], v[167:168]
	v_add_f64_e32 v[163:164], v[163:164], v[159:160]
	v_add_f64_e32 v[161:162], v[165:166], v[161:162]
	ds_load_b128 v[157:160], v1 offset:1264
	v_fma_f64 v[155:156], v[42:43], v[155:156], -v[169:170]
	s_wait_loadcnt_dscnt 0x801
	v_mul_f64_e32 v[165:166], v[2:3], v[40:41]
	v_mul_f64_e32 v[175:176], v[4:5], v[40:41]
	scratch_load_b128 v[40:43], off, off offset:576
	s_wait_loadcnt_dscnt 0x800
	v_mul_f64_e32 v[169:170], v[157:158], v[8:9]
	v_mul_f64_e32 v[8:9], v[159:160], v[8:9]
	v_add_f64_e32 v[163:164], v[163:164], v[173:174]
	v_add_f64_e32 v[161:162], v[161:162], v[171:172]
	v_fma_f64 v[171:172], v[4:5], v[38:39], v[165:166]
	v_fma_f64 v[38:39], v[2:3], v[38:39], -v[175:176]
	ds_load_b128 v[2:5], v1 offset:1280
	ds_load_b128 v[165:168], v1 offset:1296
	v_fma_f64 v[159:160], v[159:160], v[6:7], v[169:170]
	v_fma_f64 v[157:158], v[157:158], v[6:7], -v[8:9]
	scratch_load_b128 v[6:9], off, off offset:608
	v_add_f64_e32 v[155:156], v[163:164], v[155:156]
	v_add_f64_e32 v[44:45], v[161:162], v[44:45]
	scratch_load_b128 v[161:164], off, off offset:592
	s_wait_loadcnt_dscnt 0x901
	v_mul_f64_e32 v[173:174], v[2:3], v[12:13]
	v_mul_f64_e32 v[12:13], v[4:5], v[12:13]
	s_wait_loadcnt_dscnt 0x800
	v_mul_f64_e32 v[169:170], v[165:166], v[16:17]
	v_mul_f64_e32 v[16:17], v[167:168], v[16:17]
	v_add_f64_e32 v[38:39], v[155:156], v[38:39]
	v_add_f64_e32 v[44:45], v[44:45], v[171:172]
	v_fma_f64 v[171:172], v[4:5], v[10:11], v[173:174]
	v_fma_f64 v[173:174], v[2:3], v[10:11], -v[12:13]
	ds_load_b128 v[2:5], v1 offset:1312
	scratch_load_b128 v[10:13], off, off offset:624
	v_fma_f64 v[167:168], v[167:168], v[14:15], v[169:170]
	v_fma_f64 v[165:166], v[165:166], v[14:15], -v[16:17]
	scratch_load_b128 v[14:17], off, off offset:640
	v_add_f64_e32 v[38:39], v[38:39], v[157:158]
	v_add_f64_e32 v[44:45], v[44:45], v[159:160]
	ds_load_b128 v[155:158], v1 offset:1328
	s_wait_loadcnt_dscnt 0x901
	v_mul_f64_e32 v[159:160], v[2:3], v[20:21]
	v_mul_f64_e32 v[20:21], v[4:5], v[20:21]
	s_wait_loadcnt_dscnt 0x800
	v_mul_f64_e32 v[169:170], v[155:156], v[24:25]
	v_mul_f64_e32 v[24:25], v[157:158], v[24:25]
	v_add_f64_e32 v[38:39], v[38:39], v[173:174]
	v_add_f64_e32 v[44:45], v[44:45], v[171:172]
	v_fma_f64 v[159:160], v[4:5], v[18:19], v[159:160]
	v_fma_f64 v[171:172], v[2:3], v[18:19], -v[20:21]
	ds_load_b128 v[2:5], v1 offset:1344
	scratch_load_b128 v[18:21], off, off offset:656
	v_fma_f64 v[157:158], v[157:158], v[22:23], v[169:170]
	v_fma_f64 v[155:156], v[155:156], v[22:23], -v[24:25]
	scratch_load_b128 v[22:25], off, off offset:672
	v_add_f64_e32 v[38:39], v[38:39], v[165:166]
	v_add_f64_e32 v[44:45], v[44:45], v[167:168]
	ds_load_b128 v[165:168], v1 offset:1360
	s_wait_loadcnt_dscnt 0x901
	v_mul_f64_e32 v[173:174], v[2:3], v[28:29]
	v_mul_f64_e32 v[28:29], v[4:5], v[28:29]
	v_add_f64_e32 v[38:39], v[38:39], v[171:172]
	v_add_f64_e32 v[44:45], v[44:45], v[159:160]
	s_wait_loadcnt_dscnt 0x800
	v_mul_f64_e32 v[159:160], v[165:166], v[32:33]
	v_mul_f64_e32 v[32:33], v[167:168], v[32:33]
	v_fma_f64 v[169:170], v[4:5], v[26:27], v[173:174]
	v_fma_f64 v[171:172], v[2:3], v[26:27], -v[28:29]
	ds_load_b128 v[2:5], v1 offset:1376
	scratch_load_b128 v[26:29], off, off offset:688
	v_add_f64_e32 v[38:39], v[38:39], v[155:156]
	v_add_f64_e32 v[44:45], v[44:45], v[157:158]
	ds_load_b128 v[155:158], v1 offset:1392
	s_wait_loadcnt_dscnt 0x801
	v_mul_f64_e32 v[173:174], v[2:3], v[36:37]
	v_mul_f64_e32 v[36:37], v[4:5], v[36:37]
	v_fma_f64 v[159:160], v[167:168], v[30:31], v[159:160]
	v_fma_f64 v[165:166], v[165:166], v[30:31], -v[32:33]
	scratch_load_b128 v[30:33], off, off offset:704
	s_wait_loadcnt_dscnt 0x800
	v_mul_f64_e32 v[167:168], v[155:156], v[42:43]
	v_add_f64_e32 v[38:39], v[38:39], v[171:172]
	v_add_f64_e32 v[44:45], v[44:45], v[169:170]
	v_mul_f64_e32 v[169:170], v[157:158], v[42:43]
	v_fma_f64 v[171:172], v[4:5], v[34:35], v[173:174]
	v_fma_f64 v[173:174], v[2:3], v[34:35], -v[36:37]
	ds_load_b128 v[2:5], v1 offset:1408
	scratch_load_b128 v[34:37], off, off offset:720
	v_fma_f64 v[157:158], v[157:158], v[40:41], v[167:168]
	v_add_f64_e32 v[38:39], v[38:39], v[165:166]
	v_add_f64_e32 v[159:160], v[44:45], v[159:160]
	ds_load_b128 v[42:45], v1 offset:1424
	v_fma_f64 v[155:156], v[155:156], v[40:41], -v[169:170]
	s_wait_loadcnt_dscnt 0x701
	v_mul_f64_e32 v[165:166], v[2:3], v[163:164]
	v_mul_f64_e32 v[163:164], v[4:5], v[163:164]
	s_wait_dscnt 0x0
	v_mul_f64_e32 v[169:170], v[42:43], v[8:9]
	v_mul_f64_e32 v[8:9], v[44:45], v[8:9]
	v_add_f64_e32 v[167:168], v[38:39], v[173:174]
	v_add_f64_e32 v[159:160], v[159:160], v[171:172]
	scratch_load_b128 v[38:41], off, off offset:736
	v_fma_f64 v[165:166], v[4:5], v[161:162], v[165:166]
	v_fma_f64 v[163:164], v[2:3], v[161:162], -v[163:164]
	ds_load_b128 v[2:5], v1 offset:1440
	v_fma_f64 v[44:45], v[44:45], v[6:7], v[169:170]
	v_fma_f64 v[42:43], v[42:43], v[6:7], -v[8:9]
	scratch_load_b128 v[6:9], off, off offset:768
	v_add_f64_e32 v[167:168], v[167:168], v[155:156]
	v_add_f64_e32 v[171:172], v[159:160], v[157:158]
	scratch_load_b128 v[155:158], off, off offset:752
	ds_load_b128 v[159:162], v1 offset:1456
	s_wait_loadcnt_dscnt 0x901
	v_mul_f64_e32 v[173:174], v[2:3], v[12:13]
	v_mul_f64_e32 v[12:13], v[4:5], v[12:13]
	v_add_f64_e32 v[163:164], v[167:168], v[163:164]
	v_add_f64_e32 v[165:166], v[171:172], v[165:166]
	s_wait_loadcnt_dscnt 0x800
	v_mul_f64_e32 v[167:168], v[159:160], v[16:17]
	v_mul_f64_e32 v[16:17], v[161:162], v[16:17]
	v_fma_f64 v[169:170], v[4:5], v[10:11], v[173:174]
	v_fma_f64 v[171:172], v[2:3], v[10:11], -v[12:13]
	ds_load_b128 v[2:5], v1 offset:1472
	scratch_load_b128 v[10:13], off, off offset:784
	v_add_f64_e32 v[163:164], v[163:164], v[42:43]
	v_add_f64_e32 v[165:166], v[165:166], v[44:45]
	ds_load_b128 v[42:45], v1 offset:1488
	s_wait_loadcnt_dscnt 0x801
	v_mul_f64_e32 v[173:174], v[2:3], v[20:21]
	v_mul_f64_e32 v[20:21], v[4:5], v[20:21]
	v_fma_f64 v[161:162], v[161:162], v[14:15], v[167:168]
	v_fma_f64 v[159:160], v[159:160], v[14:15], -v[16:17]
	scratch_load_b128 v[14:17], off, off offset:800
	s_wait_loadcnt_dscnt 0x800
	v_mul_f64_e32 v[167:168], v[42:43], v[24:25]
	v_mul_f64_e32 v[24:25], v[44:45], v[24:25]
	v_add_f64_e32 v[163:164], v[163:164], v[171:172]
	v_add_f64_e32 v[165:166], v[165:166], v[169:170]
	v_fma_f64 v[169:170], v[4:5], v[18:19], v[173:174]
	v_fma_f64 v[171:172], v[2:3], v[18:19], -v[20:21]
	ds_load_b128 v[2:5], v1 offset:1504
	scratch_load_b128 v[18:21], off, off offset:816
	v_fma_f64 v[44:45], v[44:45], v[22:23], v[167:168]
	v_fma_f64 v[42:43], v[42:43], v[22:23], -v[24:25]
	scratch_load_b128 v[22:25], off, off offset:832
	v_add_f64_e32 v[163:164], v[163:164], v[159:160]
	v_add_f64_e32 v[165:166], v[165:166], v[161:162]
	ds_load_b128 v[159:162], v1 offset:1520
	s_wait_loadcnt_dscnt 0x901
	v_mul_f64_e32 v[173:174], v[2:3], v[28:29]
	v_mul_f64_e32 v[28:29], v[4:5], v[28:29]
	s_wait_loadcnt_dscnt 0x800
	v_mul_f64_e32 v[167:168], v[159:160], v[32:33]
	v_mul_f64_e32 v[32:33], v[161:162], v[32:33]
	v_add_f64_e32 v[163:164], v[163:164], v[171:172]
	v_add_f64_e32 v[165:166], v[165:166], v[169:170]
	v_fma_f64 v[169:170], v[4:5], v[26:27], v[173:174]
	v_fma_f64 v[171:172], v[2:3], v[26:27], -v[28:29]
	ds_load_b128 v[2:5], v1 offset:1536
	ds_load_b128 v[26:29], v1 offset:1552
	v_fma_f64 v[161:162], v[161:162], v[30:31], v[167:168]
	v_fma_f64 v[30:31], v[159:160], v[30:31], -v[32:33]
	v_add_f64_e32 v[42:43], v[163:164], v[42:43]
	v_add_f64_e32 v[44:45], v[165:166], v[44:45]
	s_wait_loadcnt_dscnt 0x701
	v_mul_f64_e32 v[163:164], v[2:3], v[36:37]
	v_mul_f64_e32 v[36:37], v[4:5], v[36:37]
	s_delay_alu instid0(VALU_DEP_4) | instskip(NEXT) | instid1(VALU_DEP_4)
	v_add_f64_e32 v[32:33], v[42:43], v[171:172]
	v_add_f64_e32 v[42:43], v[44:45], v[169:170]
	s_delay_alu instid0(VALU_DEP_4) | instskip(NEXT) | instid1(VALU_DEP_4)
	v_fma_f64 v[159:160], v[4:5], v[34:35], v[163:164]
	v_fma_f64 v[34:35], v[2:3], v[34:35], -v[36:37]
	s_wait_loadcnt_dscnt 0x600
	v_mul_f64_e32 v[44:45], v[26:27], v[40:41]
	v_mul_f64_e32 v[40:41], v[28:29], v[40:41]
	v_add_f64_e32 v[36:37], v[32:33], v[30:31]
	v_add_f64_e32 v[42:43], v[42:43], v[161:162]
	ds_load_b128 v[2:5], v1 offset:1568
	ds_load_b128 v[30:33], v1 offset:1584
	v_fma_f64 v[28:29], v[28:29], v[38:39], v[44:45]
	v_fma_f64 v[26:27], v[26:27], v[38:39], -v[40:41]
	s_wait_loadcnt_dscnt 0x401
	v_mul_f64_e32 v[161:162], v[2:3], v[157:158]
	v_mul_f64_e32 v[157:158], v[4:5], v[157:158]
	s_wait_dscnt 0x0
	v_mul_f64_e32 v[38:39], v[30:31], v[8:9]
	v_mul_f64_e32 v[8:9], v[32:33], v[8:9]
	v_add_f64_e32 v[34:35], v[36:37], v[34:35]
	v_add_f64_e32 v[36:37], v[42:43], v[159:160]
	v_fma_f64 v[40:41], v[4:5], v[155:156], v[161:162]
	v_fma_f64 v[42:43], v[2:3], v[155:156], -v[157:158]
	v_fma_f64 v[32:33], v[32:33], v[6:7], v[38:39]
	v_fma_f64 v[6:7], v[30:31], v[6:7], -v[8:9]
	v_add_f64_e32 v[34:35], v[34:35], v[26:27]
	v_add_f64_e32 v[36:37], v[36:37], v[28:29]
	ds_load_b128 v[2:5], v1 offset:1600
	ds_load_b128 v[26:29], v1 offset:1616
	s_wait_loadcnt_dscnt 0x301
	v_mul_f64_e32 v[44:45], v[2:3], v[12:13]
	v_mul_f64_e32 v[12:13], v[4:5], v[12:13]
	v_add_f64_e32 v[8:9], v[34:35], v[42:43]
	v_add_f64_e32 v[30:31], v[36:37], v[40:41]
	s_wait_loadcnt_dscnt 0x200
	v_mul_f64_e32 v[34:35], v[26:27], v[16:17]
	v_mul_f64_e32 v[16:17], v[28:29], v[16:17]
	v_fma_f64 v[36:37], v[4:5], v[10:11], v[44:45]
	v_fma_f64 v[10:11], v[2:3], v[10:11], -v[12:13]
	v_add_f64_e32 v[12:13], v[8:9], v[6:7]
	v_add_f64_e32 v[30:31], v[30:31], v[32:33]
	ds_load_b128 v[2:5], v1 offset:1632
	ds_load_b128 v[6:9], v1 offset:1648
	v_fma_f64 v[28:29], v[28:29], v[14:15], v[34:35]
	v_fma_f64 v[14:15], v[26:27], v[14:15], -v[16:17]
	s_wait_loadcnt_dscnt 0x101
	v_mul_f64_e32 v[32:33], v[2:3], v[20:21]
	v_mul_f64_e32 v[20:21], v[4:5], v[20:21]
	s_wait_loadcnt_dscnt 0x0
	v_mul_f64_e32 v[16:17], v[6:7], v[24:25]
	v_mul_f64_e32 v[24:25], v[8:9], v[24:25]
	v_add_f64_e32 v[10:11], v[12:13], v[10:11]
	v_add_f64_e32 v[12:13], v[30:31], v[36:37]
	v_fma_f64 v[4:5], v[4:5], v[18:19], v[32:33]
	v_fma_f64 v[1:2], v[2:3], v[18:19], -v[20:21]
	v_fma_f64 v[8:9], v[8:9], v[22:23], v[16:17]
	v_fma_f64 v[6:7], v[6:7], v[22:23], -v[24:25]
	v_add_f64_e32 v[10:11], v[10:11], v[14:15]
	v_add_f64_e32 v[12:13], v[12:13], v[28:29]
	s_delay_alu instid0(VALU_DEP_2) | instskip(NEXT) | instid1(VALU_DEP_2)
	v_add_f64_e32 v[1:2], v[10:11], v[1:2]
	v_add_f64_e32 v[3:4], v[12:13], v[4:5]
	s_delay_alu instid0(VALU_DEP_2) | instskip(NEXT) | instid1(VALU_DEP_2)
	;; [unrolled: 3-line block ×3, first 2 shown]
	v_add_f64_e64 v[1:2], v[151:152], -v[1:2]
	v_add_f64_e64 v[3:4], v[153:154], -v[3:4]
	scratch_store_b128 off, v[1:4], off offset:256
	v_cmpx_lt_u32_e32 14, v0
	s_cbranch_execz .LBB51_297
; %bb.296:
	scratch_load_b128 v[1:4], off, s51
	v_mov_b32_e32 v5, 0
	s_delay_alu instid0(VALU_DEP_1)
	v_dual_mov_b32 v6, v5 :: v_dual_mov_b32 v7, v5
	v_mov_b32_e32 v8, v5
	scratch_store_b128 off, v[5:8], off offset:240
	s_wait_loadcnt 0x0
	ds_store_b128 v150, v[1:4]
.LBB51_297:
	s_wait_alu 0xfffe
	s_or_b32 exec_lo, exec_lo, s0
	s_wait_storecnt_dscnt 0x0
	s_barrier_signal -1
	s_barrier_wait -1
	global_inv scope:SCOPE_SE
	s_clause 0x7
	scratch_load_b128 v[2:5], off, off offset:256
	scratch_load_b128 v[6:9], off, off offset:272
	;; [unrolled: 1-line block ×8, first 2 shown]
	v_mov_b32_e32 v1, 0
	s_mov_b32 s0, exec_lo
	ds_load_b128 v[38:41], v1 offset:1072
	s_clause 0x1
	scratch_load_b128 v[34:37], off, off offset:384
	scratch_load_b128 v[42:45], off, off offset:240
	ds_load_b128 v[151:154], v1 offset:1088
	scratch_load_b128 v[155:158], off, off offset:400
	s_wait_loadcnt_dscnt 0xa01
	v_mul_f64_e32 v[159:160], v[40:41], v[4:5]
	v_mul_f64_e32 v[4:5], v[38:39], v[4:5]
	s_delay_alu instid0(VALU_DEP_2) | instskip(NEXT) | instid1(VALU_DEP_2)
	v_fma_f64 v[165:166], v[38:39], v[2:3], -v[159:160]
	v_fma_f64 v[167:168], v[40:41], v[2:3], v[4:5]
	ds_load_b128 v[2:5], v1 offset:1104
	s_wait_loadcnt_dscnt 0x901
	v_mul_f64_e32 v[163:164], v[151:152], v[8:9]
	v_mul_f64_e32 v[8:9], v[153:154], v[8:9]
	scratch_load_b128 v[38:41], off, off offset:416
	ds_load_b128 v[159:162], v1 offset:1120
	s_wait_loadcnt_dscnt 0x901
	v_mul_f64_e32 v[169:170], v[2:3], v[12:13]
	v_mul_f64_e32 v[12:13], v[4:5], v[12:13]
	v_fma_f64 v[153:154], v[153:154], v[6:7], v[163:164]
	v_fma_f64 v[151:152], v[151:152], v[6:7], -v[8:9]
	v_add_f64_e32 v[163:164], 0, v[165:166]
	v_add_f64_e32 v[165:166], 0, v[167:168]
	scratch_load_b128 v[6:9], off, off offset:432
	v_fma_f64 v[169:170], v[4:5], v[10:11], v[169:170]
	v_fma_f64 v[171:172], v[2:3], v[10:11], -v[12:13]
	ds_load_b128 v[2:5], v1 offset:1136
	s_wait_loadcnt_dscnt 0x901
	v_mul_f64_e32 v[167:168], v[159:160], v[16:17]
	v_mul_f64_e32 v[16:17], v[161:162], v[16:17]
	scratch_load_b128 v[10:13], off, off offset:448
	v_add_f64_e32 v[163:164], v[163:164], v[151:152]
	v_add_f64_e32 v[165:166], v[165:166], v[153:154]
	s_wait_loadcnt_dscnt 0x900
	v_mul_f64_e32 v[173:174], v[2:3], v[20:21]
	v_mul_f64_e32 v[20:21], v[4:5], v[20:21]
	ds_load_b128 v[151:154], v1 offset:1152
	v_fma_f64 v[161:162], v[161:162], v[14:15], v[167:168]
	v_fma_f64 v[159:160], v[159:160], v[14:15], -v[16:17]
	scratch_load_b128 v[14:17], off, off offset:464
	v_add_f64_e32 v[163:164], v[163:164], v[171:172]
	v_add_f64_e32 v[165:166], v[165:166], v[169:170]
	v_fma_f64 v[169:170], v[4:5], v[18:19], v[173:174]
	v_fma_f64 v[171:172], v[2:3], v[18:19], -v[20:21]
	ds_load_b128 v[2:5], v1 offset:1168
	s_wait_loadcnt_dscnt 0x901
	v_mul_f64_e32 v[167:168], v[151:152], v[24:25]
	v_mul_f64_e32 v[24:25], v[153:154], v[24:25]
	scratch_load_b128 v[18:21], off, off offset:480
	s_wait_loadcnt_dscnt 0x900
	v_mul_f64_e32 v[173:174], v[2:3], v[28:29]
	v_mul_f64_e32 v[28:29], v[4:5], v[28:29]
	v_add_f64_e32 v[163:164], v[163:164], v[159:160]
	v_add_f64_e32 v[165:166], v[165:166], v[161:162]
	ds_load_b128 v[159:162], v1 offset:1184
	v_fma_f64 v[153:154], v[153:154], v[22:23], v[167:168]
	v_fma_f64 v[151:152], v[151:152], v[22:23], -v[24:25]
	scratch_load_b128 v[22:25], off, off offset:496
	v_add_f64_e32 v[163:164], v[163:164], v[171:172]
	v_add_f64_e32 v[165:166], v[165:166], v[169:170]
	v_fma_f64 v[169:170], v[4:5], v[26:27], v[173:174]
	v_fma_f64 v[171:172], v[2:3], v[26:27], -v[28:29]
	ds_load_b128 v[2:5], v1 offset:1200
	s_wait_loadcnt_dscnt 0x901
	v_mul_f64_e32 v[167:168], v[159:160], v[32:33]
	v_mul_f64_e32 v[32:33], v[161:162], v[32:33]
	scratch_load_b128 v[26:29], off, off offset:512
	s_wait_loadcnt_dscnt 0x900
	v_mul_f64_e32 v[173:174], v[2:3], v[36:37]
	v_mul_f64_e32 v[36:37], v[4:5], v[36:37]
	v_add_f64_e32 v[163:164], v[163:164], v[151:152]
	v_add_f64_e32 v[165:166], v[165:166], v[153:154]
	ds_load_b128 v[151:154], v1 offset:1216
	v_fma_f64 v[161:162], v[161:162], v[30:31], v[167:168]
	v_fma_f64 v[159:160], v[159:160], v[30:31], -v[32:33]
	scratch_load_b128 v[30:33], off, off offset:528
	v_add_f64_e32 v[163:164], v[163:164], v[171:172]
	v_add_f64_e32 v[165:166], v[165:166], v[169:170]
	v_fma_f64 v[171:172], v[4:5], v[34:35], v[173:174]
	v_fma_f64 v[173:174], v[2:3], v[34:35], -v[36:37]
	ds_load_b128 v[2:5], v1 offset:1232
	s_wait_loadcnt_dscnt 0x801
	v_mul_f64_e32 v[167:168], v[151:152], v[157:158]
	v_mul_f64_e32 v[169:170], v[153:154], v[157:158]
	scratch_load_b128 v[34:37], off, off offset:544
	v_add_f64_e32 v[163:164], v[163:164], v[159:160]
	v_add_f64_e32 v[161:162], v[165:166], v[161:162]
	ds_load_b128 v[157:160], v1 offset:1248
	v_fma_f64 v[167:168], v[153:154], v[155:156], v[167:168]
	v_fma_f64 v[155:156], v[151:152], v[155:156], -v[169:170]
	scratch_load_b128 v[151:154], off, off offset:560
	s_wait_loadcnt_dscnt 0x901
	v_mul_f64_e32 v[165:166], v[2:3], v[40:41]
	v_mul_f64_e32 v[40:41], v[4:5], v[40:41]
	v_add_f64_e32 v[163:164], v[163:164], v[173:174]
	v_add_f64_e32 v[161:162], v[161:162], v[171:172]
	s_delay_alu instid0(VALU_DEP_4) | instskip(NEXT) | instid1(VALU_DEP_4)
	v_fma_f64 v[165:166], v[4:5], v[38:39], v[165:166]
	v_fma_f64 v[171:172], v[2:3], v[38:39], -v[40:41]
	ds_load_b128 v[2:5], v1 offset:1264
	s_wait_loadcnt_dscnt 0x801
	v_mul_f64_e32 v[169:170], v[157:158], v[8:9]
	v_mul_f64_e32 v[8:9], v[159:160], v[8:9]
	scratch_load_b128 v[38:41], off, off offset:576
	s_wait_loadcnt_dscnt 0x800
	v_mul_f64_e32 v[173:174], v[2:3], v[12:13]
	v_add_f64_e32 v[155:156], v[163:164], v[155:156]
	v_add_f64_e32 v[167:168], v[161:162], v[167:168]
	v_mul_f64_e32 v[12:13], v[4:5], v[12:13]
	ds_load_b128 v[161:164], v1 offset:1280
	v_fma_f64 v[159:160], v[159:160], v[6:7], v[169:170]
	v_fma_f64 v[157:158], v[157:158], v[6:7], -v[8:9]
	scratch_load_b128 v[6:9], off, off offset:592
	v_fma_f64 v[169:170], v[4:5], v[10:11], v[173:174]
	v_add_f64_e32 v[155:156], v[155:156], v[171:172]
	v_add_f64_e32 v[165:166], v[167:168], v[165:166]
	v_fma_f64 v[171:172], v[2:3], v[10:11], -v[12:13]
	ds_load_b128 v[2:5], v1 offset:1296
	s_wait_loadcnt_dscnt 0x801
	v_mul_f64_e32 v[167:168], v[161:162], v[16:17]
	v_mul_f64_e32 v[16:17], v[163:164], v[16:17]
	scratch_load_b128 v[10:13], off, off offset:608
	v_add_f64_e32 v[173:174], v[155:156], v[157:158]
	v_add_f64_e32 v[159:160], v[165:166], v[159:160]
	s_wait_loadcnt_dscnt 0x800
	v_mul_f64_e32 v[165:166], v[2:3], v[20:21]
	v_mul_f64_e32 v[20:21], v[4:5], v[20:21]
	v_fma_f64 v[163:164], v[163:164], v[14:15], v[167:168]
	v_fma_f64 v[161:162], v[161:162], v[14:15], -v[16:17]
	ds_load_b128 v[155:158], v1 offset:1312
	scratch_load_b128 v[14:17], off, off offset:624
	v_add_f64_e32 v[167:168], v[173:174], v[171:172]
	v_add_f64_e32 v[159:160], v[159:160], v[169:170]
	v_fma_f64 v[165:166], v[4:5], v[18:19], v[165:166]
	v_fma_f64 v[171:172], v[2:3], v[18:19], -v[20:21]
	ds_load_b128 v[2:5], v1 offset:1328
	s_wait_loadcnt_dscnt 0x801
	v_mul_f64_e32 v[169:170], v[155:156], v[24:25]
	v_mul_f64_e32 v[24:25], v[157:158], v[24:25]
	scratch_load_b128 v[18:21], off, off offset:640
	s_wait_loadcnt_dscnt 0x800
	v_mul_f64_e32 v[173:174], v[2:3], v[28:29]
	v_mul_f64_e32 v[28:29], v[4:5], v[28:29]
	v_add_f64_e32 v[167:168], v[167:168], v[161:162]
	v_add_f64_e32 v[163:164], v[159:160], v[163:164]
	ds_load_b128 v[159:162], v1 offset:1344
	v_fma_f64 v[157:158], v[157:158], v[22:23], v[169:170]
	v_fma_f64 v[155:156], v[155:156], v[22:23], -v[24:25]
	scratch_load_b128 v[22:25], off, off offset:656
	v_fma_f64 v[169:170], v[4:5], v[26:27], v[173:174]
	v_add_f64_e32 v[167:168], v[167:168], v[171:172]
	v_add_f64_e32 v[163:164], v[163:164], v[165:166]
	v_fma_f64 v[171:172], v[2:3], v[26:27], -v[28:29]
	ds_load_b128 v[2:5], v1 offset:1360
	s_wait_loadcnt_dscnt 0x801
	v_mul_f64_e32 v[165:166], v[159:160], v[32:33]
	v_mul_f64_e32 v[32:33], v[161:162], v[32:33]
	scratch_load_b128 v[26:29], off, off offset:672
	s_wait_loadcnt_dscnt 0x800
	v_mul_f64_e32 v[173:174], v[2:3], v[36:37]
	v_mul_f64_e32 v[36:37], v[4:5], v[36:37]
	v_add_f64_e32 v[167:168], v[167:168], v[155:156]
	v_add_f64_e32 v[163:164], v[163:164], v[157:158]
	ds_load_b128 v[155:158], v1 offset:1376
	v_fma_f64 v[161:162], v[161:162], v[30:31], v[165:166]
	v_fma_f64 v[159:160], v[159:160], v[30:31], -v[32:33]
	scratch_load_b128 v[30:33], off, off offset:688
	v_add_f64_e32 v[165:166], v[167:168], v[171:172]
	v_add_f64_e32 v[163:164], v[163:164], v[169:170]
	v_fma_f64 v[169:170], v[4:5], v[34:35], v[173:174]
	v_fma_f64 v[171:172], v[2:3], v[34:35], -v[36:37]
	ds_load_b128 v[2:5], v1 offset:1392
	s_wait_loadcnt_dscnt 0x801
	v_mul_f64_e32 v[167:168], v[155:156], v[153:154]
	v_mul_f64_e32 v[153:154], v[157:158], v[153:154]
	scratch_load_b128 v[34:37], off, off offset:704
	s_wait_loadcnt_dscnt 0x800
	v_mul_f64_e32 v[173:174], v[2:3], v[40:41]
	v_mul_f64_e32 v[40:41], v[4:5], v[40:41]
	v_add_f64_e32 v[165:166], v[165:166], v[159:160]
	v_add_f64_e32 v[163:164], v[163:164], v[161:162]
	ds_load_b128 v[159:162], v1 offset:1408
	v_fma_f64 v[157:158], v[157:158], v[151:152], v[167:168]
	v_fma_f64 v[155:156], v[155:156], v[151:152], -v[153:154]
	scratch_load_b128 v[151:154], off, off offset:720
	v_add_f64_e32 v[165:166], v[165:166], v[171:172]
	v_add_f64_e32 v[163:164], v[163:164], v[169:170]
	v_fma_f64 v[169:170], v[4:5], v[38:39], v[173:174]
	;; [unrolled: 18-line block ×5, first 2 shown]
	v_fma_f64 v[171:172], v[2:3], v[26:27], -v[28:29]
	ds_load_b128 v[2:5], v1 offset:1520
	s_wait_loadcnt_dscnt 0x801
	v_mul_f64_e32 v[167:168], v[155:156], v[32:33]
	v_mul_f64_e32 v[32:33], v[157:158], v[32:33]
	scratch_load_b128 v[26:29], off, off offset:832
	s_wait_loadcnt_dscnt 0x800
	v_mul_f64_e32 v[173:174], v[2:3], v[36:37]
	v_mul_f64_e32 v[36:37], v[4:5], v[36:37]
	v_add_f64_e32 v[165:166], v[165:166], v[159:160]
	v_add_f64_e32 v[163:164], v[163:164], v[161:162]
	ds_load_b128 v[159:162], v1 offset:1536
	v_fma_f64 v[157:158], v[157:158], v[30:31], v[167:168]
	v_fma_f64 v[30:31], v[155:156], v[30:31], -v[32:33]
	v_add_f64_e32 v[32:33], v[165:166], v[171:172]
	v_add_f64_e32 v[155:156], v[163:164], v[169:170]
	s_wait_loadcnt_dscnt 0x700
	v_mul_f64_e32 v[163:164], v[159:160], v[153:154]
	v_mul_f64_e32 v[153:154], v[161:162], v[153:154]
	v_fma_f64 v[165:166], v[4:5], v[34:35], v[173:174]
	v_fma_f64 v[34:35], v[2:3], v[34:35], -v[36:37]
	v_add_f64_e32 v[36:37], v[32:33], v[30:31]
	v_add_f64_e32 v[155:156], v[155:156], v[157:158]
	ds_load_b128 v[2:5], v1 offset:1552
	ds_load_b128 v[30:33], v1 offset:1568
	v_fma_f64 v[161:162], v[161:162], v[151:152], v[163:164]
	v_fma_f64 v[151:152], v[159:160], v[151:152], -v[153:154]
	s_wait_loadcnt_dscnt 0x601
	v_mul_f64_e32 v[157:158], v[2:3], v[40:41]
	v_mul_f64_e32 v[40:41], v[4:5], v[40:41]
	s_wait_loadcnt_dscnt 0x500
	v_mul_f64_e32 v[153:154], v[30:31], v[8:9]
	v_mul_f64_e32 v[8:9], v[32:33], v[8:9]
	v_add_f64_e32 v[34:35], v[36:37], v[34:35]
	v_add_f64_e32 v[36:37], v[155:156], v[165:166]
	v_fma_f64 v[155:156], v[4:5], v[38:39], v[157:158]
	v_fma_f64 v[38:39], v[2:3], v[38:39], -v[40:41]
	v_fma_f64 v[32:33], v[32:33], v[6:7], v[153:154]
	v_fma_f64 v[6:7], v[30:31], v[6:7], -v[8:9]
	v_add_f64_e32 v[40:41], v[34:35], v[151:152]
	v_add_f64_e32 v[151:152], v[36:37], v[161:162]
	ds_load_b128 v[2:5], v1 offset:1584
	ds_load_b128 v[34:37], v1 offset:1600
	s_wait_loadcnt_dscnt 0x401
	v_mul_f64_e32 v[157:158], v[2:3], v[12:13]
	v_mul_f64_e32 v[12:13], v[4:5], v[12:13]
	v_add_f64_e32 v[8:9], v[40:41], v[38:39]
	v_add_f64_e32 v[30:31], v[151:152], v[155:156]
	s_wait_loadcnt_dscnt 0x300
	v_mul_f64_e32 v[38:39], v[34:35], v[16:17]
	v_mul_f64_e32 v[16:17], v[36:37], v[16:17]
	v_fma_f64 v[40:41], v[4:5], v[10:11], v[157:158]
	v_fma_f64 v[10:11], v[2:3], v[10:11], -v[12:13]
	v_add_f64_e32 v[12:13], v[8:9], v[6:7]
	v_add_f64_e32 v[30:31], v[30:31], v[32:33]
	ds_load_b128 v[2:5], v1 offset:1616
	ds_load_b128 v[6:9], v1 offset:1632
	v_fma_f64 v[36:37], v[36:37], v[14:15], v[38:39]
	v_fma_f64 v[14:15], v[34:35], v[14:15], -v[16:17]
	s_wait_loadcnt_dscnt 0x201
	v_mul_f64_e32 v[32:33], v[2:3], v[20:21]
	v_mul_f64_e32 v[20:21], v[4:5], v[20:21]
	s_wait_loadcnt_dscnt 0x100
	v_mul_f64_e32 v[16:17], v[6:7], v[24:25]
	v_mul_f64_e32 v[24:25], v[8:9], v[24:25]
	v_add_f64_e32 v[10:11], v[12:13], v[10:11]
	v_add_f64_e32 v[12:13], v[30:31], v[40:41]
	v_fma_f64 v[30:31], v[4:5], v[18:19], v[32:33]
	v_fma_f64 v[18:19], v[2:3], v[18:19], -v[20:21]
	ds_load_b128 v[2:5], v1 offset:1648
	v_fma_f64 v[8:9], v[8:9], v[22:23], v[16:17]
	v_fma_f64 v[6:7], v[6:7], v[22:23], -v[24:25]
	v_add_f64_e32 v[10:11], v[10:11], v[14:15]
	v_add_f64_e32 v[12:13], v[12:13], v[36:37]
	s_wait_loadcnt_dscnt 0x0
	v_mul_f64_e32 v[14:15], v[2:3], v[28:29]
	v_mul_f64_e32 v[20:21], v[4:5], v[28:29]
	s_delay_alu instid0(VALU_DEP_4) | instskip(NEXT) | instid1(VALU_DEP_4)
	v_add_f64_e32 v[10:11], v[10:11], v[18:19]
	v_add_f64_e32 v[12:13], v[12:13], v[30:31]
	s_delay_alu instid0(VALU_DEP_4) | instskip(NEXT) | instid1(VALU_DEP_4)
	v_fma_f64 v[4:5], v[4:5], v[26:27], v[14:15]
	v_fma_f64 v[2:3], v[2:3], v[26:27], -v[20:21]
	s_delay_alu instid0(VALU_DEP_4) | instskip(NEXT) | instid1(VALU_DEP_4)
	v_add_f64_e32 v[6:7], v[10:11], v[6:7]
	v_add_f64_e32 v[8:9], v[12:13], v[8:9]
	s_delay_alu instid0(VALU_DEP_2) | instskip(NEXT) | instid1(VALU_DEP_2)
	v_add_f64_e32 v[2:3], v[6:7], v[2:3]
	v_add_f64_e32 v[4:5], v[8:9], v[4:5]
	s_delay_alu instid0(VALU_DEP_2) | instskip(NEXT) | instid1(VALU_DEP_2)
	v_add_f64_e64 v[2:3], v[42:43], -v[2:3]
	v_add_f64_e64 v[4:5], v[44:45], -v[4:5]
	scratch_store_b128 off, v[2:5], off offset:240
	v_cmpx_lt_u32_e32 13, v0
	s_cbranch_execz .LBB51_299
; %bb.298:
	scratch_load_b128 v[5:8], off, s52
	v_dual_mov_b32 v2, v1 :: v_dual_mov_b32 v3, v1
	v_mov_b32_e32 v4, v1
	scratch_store_b128 off, v[1:4], off offset:224
	s_wait_loadcnt 0x0
	ds_store_b128 v150, v[5:8]
.LBB51_299:
	s_wait_alu 0xfffe
	s_or_b32 exec_lo, exec_lo, s0
	s_wait_storecnt_dscnt 0x0
	s_barrier_signal -1
	s_barrier_wait -1
	global_inv scope:SCOPE_SE
	s_clause 0x8
	scratch_load_b128 v[2:5], off, off offset:240
	scratch_load_b128 v[6:9], off, off offset:256
	;; [unrolled: 1-line block ×9, first 2 shown]
	ds_load_b128 v[42:45], v1 offset:1056
	ds_load_b128 v[38:41], v1 offset:1072
	s_clause 0x1
	scratch_load_b128 v[151:154], off, off offset:224
	scratch_load_b128 v[155:158], off, off offset:384
	s_mov_b32 s0, exec_lo
	s_wait_loadcnt_dscnt 0xa01
	v_mul_f64_e32 v[159:160], v[44:45], v[4:5]
	v_mul_f64_e32 v[4:5], v[42:43], v[4:5]
	s_wait_loadcnt_dscnt 0x900
	v_mul_f64_e32 v[163:164], v[38:39], v[8:9]
	v_mul_f64_e32 v[8:9], v[40:41], v[8:9]
	s_delay_alu instid0(VALU_DEP_4) | instskip(NEXT) | instid1(VALU_DEP_4)
	v_fma_f64 v[165:166], v[42:43], v[2:3], -v[159:160]
	v_fma_f64 v[167:168], v[44:45], v[2:3], v[4:5]
	ds_load_b128 v[2:5], v1 offset:1088
	ds_load_b128 v[159:162], v1 offset:1104
	scratch_load_b128 v[42:45], off, off offset:400
	v_fma_f64 v[40:41], v[40:41], v[6:7], v[163:164]
	v_fma_f64 v[38:39], v[38:39], v[6:7], -v[8:9]
	scratch_load_b128 v[6:9], off, off offset:416
	s_wait_loadcnt_dscnt 0xa01
	v_mul_f64_e32 v[169:170], v[2:3], v[12:13]
	v_mul_f64_e32 v[12:13], v[4:5], v[12:13]
	v_add_f64_e32 v[163:164], 0, v[165:166]
	v_add_f64_e32 v[165:166], 0, v[167:168]
	s_wait_loadcnt_dscnt 0x900
	v_mul_f64_e32 v[167:168], v[159:160], v[16:17]
	v_mul_f64_e32 v[16:17], v[161:162], v[16:17]
	v_fma_f64 v[169:170], v[4:5], v[10:11], v[169:170]
	v_fma_f64 v[171:172], v[2:3], v[10:11], -v[12:13]
	ds_load_b128 v[2:5], v1 offset:1120
	scratch_load_b128 v[10:13], off, off offset:432
	v_add_f64_e32 v[163:164], v[163:164], v[38:39]
	v_add_f64_e32 v[165:166], v[165:166], v[40:41]
	ds_load_b128 v[38:41], v1 offset:1136
	v_fma_f64 v[161:162], v[161:162], v[14:15], v[167:168]
	v_fma_f64 v[159:160], v[159:160], v[14:15], -v[16:17]
	scratch_load_b128 v[14:17], off, off offset:448
	s_wait_loadcnt_dscnt 0xa01
	v_mul_f64_e32 v[173:174], v[2:3], v[20:21]
	v_mul_f64_e32 v[20:21], v[4:5], v[20:21]
	s_wait_loadcnt_dscnt 0x900
	v_mul_f64_e32 v[167:168], v[38:39], v[24:25]
	v_mul_f64_e32 v[24:25], v[40:41], v[24:25]
	v_add_f64_e32 v[163:164], v[163:164], v[171:172]
	v_add_f64_e32 v[165:166], v[165:166], v[169:170]
	v_fma_f64 v[169:170], v[4:5], v[18:19], v[173:174]
	v_fma_f64 v[171:172], v[2:3], v[18:19], -v[20:21]
	ds_load_b128 v[2:5], v1 offset:1152
	scratch_load_b128 v[18:21], off, off offset:464
	v_fma_f64 v[40:41], v[40:41], v[22:23], v[167:168]
	v_fma_f64 v[38:39], v[38:39], v[22:23], -v[24:25]
	scratch_load_b128 v[22:25], off, off offset:480
	v_add_f64_e32 v[163:164], v[163:164], v[159:160]
	v_add_f64_e32 v[165:166], v[165:166], v[161:162]
	ds_load_b128 v[159:162], v1 offset:1168
	s_wait_loadcnt_dscnt 0xa01
	v_mul_f64_e32 v[173:174], v[2:3], v[28:29]
	v_mul_f64_e32 v[28:29], v[4:5], v[28:29]
	s_wait_loadcnt_dscnt 0x900
	v_mul_f64_e32 v[167:168], v[159:160], v[32:33]
	v_mul_f64_e32 v[32:33], v[161:162], v[32:33]
	v_add_f64_e32 v[163:164], v[163:164], v[171:172]
	v_add_f64_e32 v[165:166], v[165:166], v[169:170]
	v_fma_f64 v[169:170], v[4:5], v[26:27], v[173:174]
	v_fma_f64 v[171:172], v[2:3], v[26:27], -v[28:29]
	ds_load_b128 v[2:5], v1 offset:1184
	scratch_load_b128 v[26:29], off, off offset:496
	v_fma_f64 v[161:162], v[161:162], v[30:31], v[167:168]
	v_fma_f64 v[159:160], v[159:160], v[30:31], -v[32:33]
	scratch_load_b128 v[30:33], off, off offset:512
	v_add_f64_e32 v[163:164], v[163:164], v[38:39]
	v_add_f64_e32 v[165:166], v[165:166], v[40:41]
	ds_load_b128 v[38:41], v1 offset:1200
	s_wait_loadcnt_dscnt 0xa01
	v_mul_f64_e32 v[173:174], v[2:3], v[36:37]
	v_mul_f64_e32 v[36:37], v[4:5], v[36:37]
	s_wait_loadcnt_dscnt 0x800
	v_mul_f64_e32 v[167:168], v[38:39], v[157:158]
	v_add_f64_e32 v[163:164], v[163:164], v[171:172]
	v_add_f64_e32 v[165:166], v[165:166], v[169:170]
	v_mul_f64_e32 v[169:170], v[40:41], v[157:158]
	v_fma_f64 v[171:172], v[4:5], v[34:35], v[173:174]
	v_fma_f64 v[173:174], v[2:3], v[34:35], -v[36:37]
	ds_load_b128 v[2:5], v1 offset:1216
	scratch_load_b128 v[34:37], off, off offset:528
	v_fma_f64 v[167:168], v[40:41], v[155:156], v[167:168]
	v_add_f64_e32 v[163:164], v[163:164], v[159:160]
	v_add_f64_e32 v[161:162], v[165:166], v[161:162]
	ds_load_b128 v[157:160], v1 offset:1232
	v_fma_f64 v[155:156], v[38:39], v[155:156], -v[169:170]
	scratch_load_b128 v[38:41], off, off offset:544
	s_wait_loadcnt_dscnt 0x901
	v_mul_f64_e32 v[165:166], v[2:3], v[44:45]
	v_mul_f64_e32 v[44:45], v[4:5], v[44:45]
	s_wait_loadcnt_dscnt 0x800
	v_mul_f64_e32 v[169:170], v[157:158], v[8:9]
	v_mul_f64_e32 v[8:9], v[159:160], v[8:9]
	v_add_f64_e32 v[163:164], v[163:164], v[173:174]
	v_add_f64_e32 v[161:162], v[161:162], v[171:172]
	v_fma_f64 v[165:166], v[4:5], v[42:43], v[165:166]
	v_fma_f64 v[171:172], v[2:3], v[42:43], -v[44:45]
	ds_load_b128 v[2:5], v1 offset:1248
	scratch_load_b128 v[42:45], off, off offset:560
	v_fma_f64 v[159:160], v[159:160], v[6:7], v[169:170]
	v_fma_f64 v[157:158], v[157:158], v[6:7], -v[8:9]
	scratch_load_b128 v[6:9], off, off offset:576
	v_add_f64_e32 v[155:156], v[163:164], v[155:156]
	v_add_f64_e32 v[167:168], v[161:162], v[167:168]
	ds_load_b128 v[161:164], v1 offset:1264
	s_wait_loadcnt_dscnt 0x901
	v_mul_f64_e32 v[173:174], v[2:3], v[12:13]
	v_mul_f64_e32 v[12:13], v[4:5], v[12:13]
	v_add_f64_e32 v[155:156], v[155:156], v[171:172]
	v_add_f64_e32 v[165:166], v[167:168], v[165:166]
	s_wait_loadcnt_dscnt 0x800
	v_mul_f64_e32 v[167:168], v[161:162], v[16:17]
	v_mul_f64_e32 v[16:17], v[163:164], v[16:17]
	v_fma_f64 v[169:170], v[4:5], v[10:11], v[173:174]
	v_fma_f64 v[171:172], v[2:3], v[10:11], -v[12:13]
	ds_load_b128 v[2:5], v1 offset:1280
	scratch_load_b128 v[10:13], off, off offset:592
	v_add_f64_e32 v[173:174], v[155:156], v[157:158]
	v_add_f64_e32 v[159:160], v[165:166], v[159:160]
	ds_load_b128 v[155:158], v1 offset:1296
	s_wait_loadcnt_dscnt 0x801
	v_mul_f64_e32 v[165:166], v[2:3], v[20:21]
	v_mul_f64_e32 v[20:21], v[4:5], v[20:21]
	v_fma_f64 v[163:164], v[163:164], v[14:15], v[167:168]
	v_fma_f64 v[161:162], v[161:162], v[14:15], -v[16:17]
	scratch_load_b128 v[14:17], off, off offset:608
	v_add_f64_e32 v[167:168], v[173:174], v[171:172]
	v_add_f64_e32 v[159:160], v[159:160], v[169:170]
	s_wait_loadcnt_dscnt 0x800
	v_mul_f64_e32 v[169:170], v[155:156], v[24:25]
	v_mul_f64_e32 v[24:25], v[157:158], v[24:25]
	v_fma_f64 v[165:166], v[4:5], v[18:19], v[165:166]
	v_fma_f64 v[171:172], v[2:3], v[18:19], -v[20:21]
	ds_load_b128 v[2:5], v1 offset:1312
	scratch_load_b128 v[18:21], off, off offset:624
	v_add_f64_e32 v[167:168], v[167:168], v[161:162]
	v_add_f64_e32 v[163:164], v[159:160], v[163:164]
	ds_load_b128 v[159:162], v1 offset:1328
	s_wait_loadcnt_dscnt 0x801
	v_mul_f64_e32 v[173:174], v[2:3], v[28:29]
	v_mul_f64_e32 v[28:29], v[4:5], v[28:29]
	v_fma_f64 v[157:158], v[157:158], v[22:23], v[169:170]
	v_fma_f64 v[155:156], v[155:156], v[22:23], -v[24:25]
	scratch_load_b128 v[22:25], off, off offset:640
	;; [unrolled: 18-line block ×4, first 2 shown]
	s_wait_loadcnt_dscnt 0x800
	v_mul_f64_e32 v[167:168], v[159:160], v[8:9]
	v_mul_f64_e32 v[8:9], v[161:162], v[8:9]
	v_add_f64_e32 v[165:166], v[165:166], v[171:172]
	v_add_f64_e32 v[163:164], v[163:164], v[169:170]
	v_fma_f64 v[169:170], v[4:5], v[42:43], v[173:174]
	v_fma_f64 v[171:172], v[2:3], v[42:43], -v[44:45]
	ds_load_b128 v[2:5], v1 offset:1408
	scratch_load_b128 v[42:45], off, off offset:720
	v_fma_f64 v[161:162], v[161:162], v[6:7], v[167:168]
	v_fma_f64 v[159:160], v[159:160], v[6:7], -v[8:9]
	scratch_load_b128 v[6:9], off, off offset:736
	v_add_f64_e32 v[165:166], v[165:166], v[155:156]
	v_add_f64_e32 v[163:164], v[163:164], v[157:158]
	ds_load_b128 v[155:158], v1 offset:1424
	s_wait_loadcnt_dscnt 0x901
	v_mul_f64_e32 v[173:174], v[2:3], v[12:13]
	v_mul_f64_e32 v[12:13], v[4:5], v[12:13]
	s_wait_loadcnt_dscnt 0x800
	v_mul_f64_e32 v[167:168], v[155:156], v[16:17]
	v_mul_f64_e32 v[16:17], v[157:158], v[16:17]
	v_add_f64_e32 v[165:166], v[165:166], v[171:172]
	v_add_f64_e32 v[163:164], v[163:164], v[169:170]
	v_fma_f64 v[169:170], v[4:5], v[10:11], v[173:174]
	v_fma_f64 v[171:172], v[2:3], v[10:11], -v[12:13]
	ds_load_b128 v[2:5], v1 offset:1440
	scratch_load_b128 v[10:13], off, off offset:752
	v_fma_f64 v[157:158], v[157:158], v[14:15], v[167:168]
	v_fma_f64 v[155:156], v[155:156], v[14:15], -v[16:17]
	scratch_load_b128 v[14:17], off, off offset:768
	v_add_f64_e32 v[165:166], v[165:166], v[159:160]
	v_add_f64_e32 v[163:164], v[163:164], v[161:162]
	ds_load_b128 v[159:162], v1 offset:1456
	s_wait_loadcnt_dscnt 0x901
	v_mul_f64_e32 v[173:174], v[2:3], v[20:21]
	v_mul_f64_e32 v[20:21], v[4:5], v[20:21]
	;; [unrolled: 18-line block ×4, first 2 shown]
	s_wait_loadcnt_dscnt 0x800
	v_mul_f64_e32 v[167:168], v[159:160], v[40:41]
	v_mul_f64_e32 v[40:41], v[161:162], v[40:41]
	v_add_f64_e32 v[165:166], v[165:166], v[171:172]
	v_add_f64_e32 v[163:164], v[163:164], v[169:170]
	v_fma_f64 v[169:170], v[4:5], v[34:35], v[173:174]
	v_fma_f64 v[171:172], v[2:3], v[34:35], -v[36:37]
	ds_load_b128 v[2:5], v1 offset:1536
	ds_load_b128 v[34:37], v1 offset:1552
	v_fma_f64 v[161:162], v[161:162], v[38:39], v[167:168]
	v_fma_f64 v[38:39], v[159:160], v[38:39], -v[40:41]
	v_add_f64_e32 v[155:156], v[165:166], v[155:156]
	v_add_f64_e32 v[157:158], v[163:164], v[157:158]
	s_wait_loadcnt_dscnt 0x701
	v_mul_f64_e32 v[163:164], v[2:3], v[44:45]
	v_mul_f64_e32 v[44:45], v[4:5], v[44:45]
	s_delay_alu instid0(VALU_DEP_4) | instskip(NEXT) | instid1(VALU_DEP_4)
	v_add_f64_e32 v[40:41], v[155:156], v[171:172]
	v_add_f64_e32 v[155:156], v[157:158], v[169:170]
	s_wait_loadcnt_dscnt 0x600
	v_mul_f64_e32 v[157:158], v[34:35], v[8:9]
	v_mul_f64_e32 v[8:9], v[36:37], v[8:9]
	v_fma_f64 v[159:160], v[4:5], v[42:43], v[163:164]
	v_fma_f64 v[42:43], v[2:3], v[42:43], -v[44:45]
	v_add_f64_e32 v[44:45], v[40:41], v[38:39]
	v_add_f64_e32 v[155:156], v[155:156], v[161:162]
	ds_load_b128 v[2:5], v1 offset:1568
	ds_load_b128 v[38:41], v1 offset:1584
	v_fma_f64 v[36:37], v[36:37], v[6:7], v[157:158]
	v_fma_f64 v[6:7], v[34:35], v[6:7], -v[8:9]
	s_wait_loadcnt_dscnt 0x501
	v_mul_f64_e32 v[161:162], v[2:3], v[12:13]
	v_mul_f64_e32 v[12:13], v[4:5], v[12:13]
	v_add_f64_e32 v[8:9], v[44:45], v[42:43]
	v_add_f64_e32 v[34:35], v[155:156], v[159:160]
	s_wait_loadcnt_dscnt 0x400
	v_mul_f64_e32 v[42:43], v[38:39], v[16:17]
	v_mul_f64_e32 v[16:17], v[40:41], v[16:17]
	v_fma_f64 v[44:45], v[4:5], v[10:11], v[161:162]
	v_fma_f64 v[10:11], v[2:3], v[10:11], -v[12:13]
	v_add_f64_e32 v[12:13], v[8:9], v[6:7]
	v_add_f64_e32 v[34:35], v[34:35], v[36:37]
	ds_load_b128 v[2:5], v1 offset:1600
	ds_load_b128 v[6:9], v1 offset:1616
	v_fma_f64 v[40:41], v[40:41], v[14:15], v[42:43]
	v_fma_f64 v[14:15], v[38:39], v[14:15], -v[16:17]
	s_wait_loadcnt_dscnt 0x301
	v_mul_f64_e32 v[36:37], v[2:3], v[20:21]
	v_mul_f64_e32 v[20:21], v[4:5], v[20:21]
	s_wait_loadcnt_dscnt 0x200
	v_mul_f64_e32 v[16:17], v[6:7], v[24:25]
	v_mul_f64_e32 v[24:25], v[8:9], v[24:25]
	v_add_f64_e32 v[10:11], v[12:13], v[10:11]
	v_add_f64_e32 v[12:13], v[34:35], v[44:45]
	v_fma_f64 v[34:35], v[4:5], v[18:19], v[36:37]
	v_fma_f64 v[18:19], v[2:3], v[18:19], -v[20:21]
	v_fma_f64 v[8:9], v[8:9], v[22:23], v[16:17]
	v_fma_f64 v[6:7], v[6:7], v[22:23], -v[24:25]
	v_add_f64_e32 v[14:15], v[10:11], v[14:15]
	v_add_f64_e32 v[20:21], v[12:13], v[40:41]
	ds_load_b128 v[2:5], v1 offset:1632
	ds_load_b128 v[10:13], v1 offset:1648
	s_wait_loadcnt_dscnt 0x101
	v_mul_f64_e32 v[36:37], v[2:3], v[28:29]
	v_mul_f64_e32 v[28:29], v[4:5], v[28:29]
	v_add_f64_e32 v[14:15], v[14:15], v[18:19]
	v_add_f64_e32 v[16:17], v[20:21], v[34:35]
	s_wait_loadcnt_dscnt 0x0
	v_mul_f64_e32 v[18:19], v[10:11], v[32:33]
	v_mul_f64_e32 v[20:21], v[12:13], v[32:33]
	v_fma_f64 v[4:5], v[4:5], v[26:27], v[36:37]
	v_fma_f64 v[1:2], v[2:3], v[26:27], -v[28:29]
	v_add_f64_e32 v[6:7], v[14:15], v[6:7]
	v_add_f64_e32 v[8:9], v[16:17], v[8:9]
	v_fma_f64 v[12:13], v[12:13], v[30:31], v[18:19]
	v_fma_f64 v[10:11], v[10:11], v[30:31], -v[20:21]
	s_delay_alu instid0(VALU_DEP_4) | instskip(NEXT) | instid1(VALU_DEP_4)
	v_add_f64_e32 v[1:2], v[6:7], v[1:2]
	v_add_f64_e32 v[3:4], v[8:9], v[4:5]
	s_delay_alu instid0(VALU_DEP_2) | instskip(NEXT) | instid1(VALU_DEP_2)
	v_add_f64_e32 v[1:2], v[1:2], v[10:11]
	v_add_f64_e32 v[3:4], v[3:4], v[12:13]
	s_delay_alu instid0(VALU_DEP_2) | instskip(NEXT) | instid1(VALU_DEP_2)
	v_add_f64_e64 v[1:2], v[151:152], -v[1:2]
	v_add_f64_e64 v[3:4], v[153:154], -v[3:4]
	scratch_store_b128 off, v[1:4], off offset:224
	v_cmpx_lt_u32_e32 12, v0
	s_cbranch_execz .LBB51_301
; %bb.300:
	scratch_load_b128 v[1:4], off, s53
	v_mov_b32_e32 v5, 0
	s_delay_alu instid0(VALU_DEP_1)
	v_dual_mov_b32 v6, v5 :: v_dual_mov_b32 v7, v5
	v_mov_b32_e32 v8, v5
	scratch_store_b128 off, v[5:8], off offset:208
	s_wait_loadcnt 0x0
	ds_store_b128 v150, v[1:4]
.LBB51_301:
	s_wait_alu 0xfffe
	s_or_b32 exec_lo, exec_lo, s0
	s_wait_storecnt_dscnt 0x0
	s_barrier_signal -1
	s_barrier_wait -1
	global_inv scope:SCOPE_SE
	s_clause 0x7
	scratch_load_b128 v[2:5], off, off offset:224
	scratch_load_b128 v[6:9], off, off offset:240
	;; [unrolled: 1-line block ×8, first 2 shown]
	v_mov_b32_e32 v1, 0
	s_mov_b32 s0, exec_lo
	ds_load_b128 v[38:41], v1 offset:1040
	s_clause 0x1
	scratch_load_b128 v[34:37], off, off offset:352
	scratch_load_b128 v[42:45], off, off offset:208
	ds_load_b128 v[151:154], v1 offset:1056
	scratch_load_b128 v[155:158], off, off offset:368
	s_wait_loadcnt_dscnt 0xa01
	v_mul_f64_e32 v[159:160], v[40:41], v[4:5]
	v_mul_f64_e32 v[4:5], v[38:39], v[4:5]
	s_delay_alu instid0(VALU_DEP_2) | instskip(NEXT) | instid1(VALU_DEP_2)
	v_fma_f64 v[165:166], v[38:39], v[2:3], -v[159:160]
	v_fma_f64 v[167:168], v[40:41], v[2:3], v[4:5]
	ds_load_b128 v[2:5], v1 offset:1072
	s_wait_loadcnt_dscnt 0x901
	v_mul_f64_e32 v[163:164], v[151:152], v[8:9]
	v_mul_f64_e32 v[8:9], v[153:154], v[8:9]
	scratch_load_b128 v[38:41], off, off offset:384
	ds_load_b128 v[159:162], v1 offset:1088
	s_wait_loadcnt_dscnt 0x901
	v_mul_f64_e32 v[169:170], v[2:3], v[12:13]
	v_mul_f64_e32 v[12:13], v[4:5], v[12:13]
	v_fma_f64 v[153:154], v[153:154], v[6:7], v[163:164]
	v_fma_f64 v[151:152], v[151:152], v[6:7], -v[8:9]
	v_add_f64_e32 v[163:164], 0, v[165:166]
	v_add_f64_e32 v[165:166], 0, v[167:168]
	scratch_load_b128 v[6:9], off, off offset:400
	v_fma_f64 v[169:170], v[4:5], v[10:11], v[169:170]
	v_fma_f64 v[171:172], v[2:3], v[10:11], -v[12:13]
	ds_load_b128 v[2:5], v1 offset:1104
	s_wait_loadcnt_dscnt 0x901
	v_mul_f64_e32 v[167:168], v[159:160], v[16:17]
	v_mul_f64_e32 v[16:17], v[161:162], v[16:17]
	scratch_load_b128 v[10:13], off, off offset:416
	v_add_f64_e32 v[163:164], v[163:164], v[151:152]
	v_add_f64_e32 v[165:166], v[165:166], v[153:154]
	s_wait_loadcnt_dscnt 0x900
	v_mul_f64_e32 v[173:174], v[2:3], v[20:21]
	v_mul_f64_e32 v[20:21], v[4:5], v[20:21]
	ds_load_b128 v[151:154], v1 offset:1120
	v_fma_f64 v[161:162], v[161:162], v[14:15], v[167:168]
	v_fma_f64 v[159:160], v[159:160], v[14:15], -v[16:17]
	scratch_load_b128 v[14:17], off, off offset:432
	v_add_f64_e32 v[163:164], v[163:164], v[171:172]
	v_add_f64_e32 v[165:166], v[165:166], v[169:170]
	v_fma_f64 v[169:170], v[4:5], v[18:19], v[173:174]
	v_fma_f64 v[171:172], v[2:3], v[18:19], -v[20:21]
	ds_load_b128 v[2:5], v1 offset:1136
	s_wait_loadcnt_dscnt 0x901
	v_mul_f64_e32 v[167:168], v[151:152], v[24:25]
	v_mul_f64_e32 v[24:25], v[153:154], v[24:25]
	scratch_load_b128 v[18:21], off, off offset:448
	s_wait_loadcnt_dscnt 0x900
	v_mul_f64_e32 v[173:174], v[2:3], v[28:29]
	v_mul_f64_e32 v[28:29], v[4:5], v[28:29]
	v_add_f64_e32 v[163:164], v[163:164], v[159:160]
	v_add_f64_e32 v[165:166], v[165:166], v[161:162]
	ds_load_b128 v[159:162], v1 offset:1152
	v_fma_f64 v[153:154], v[153:154], v[22:23], v[167:168]
	v_fma_f64 v[151:152], v[151:152], v[22:23], -v[24:25]
	scratch_load_b128 v[22:25], off, off offset:464
	v_add_f64_e32 v[163:164], v[163:164], v[171:172]
	v_add_f64_e32 v[165:166], v[165:166], v[169:170]
	v_fma_f64 v[169:170], v[4:5], v[26:27], v[173:174]
	v_fma_f64 v[171:172], v[2:3], v[26:27], -v[28:29]
	ds_load_b128 v[2:5], v1 offset:1168
	s_wait_loadcnt_dscnt 0x901
	v_mul_f64_e32 v[167:168], v[159:160], v[32:33]
	v_mul_f64_e32 v[32:33], v[161:162], v[32:33]
	scratch_load_b128 v[26:29], off, off offset:480
	s_wait_loadcnt_dscnt 0x900
	v_mul_f64_e32 v[173:174], v[2:3], v[36:37]
	v_mul_f64_e32 v[36:37], v[4:5], v[36:37]
	v_add_f64_e32 v[163:164], v[163:164], v[151:152]
	v_add_f64_e32 v[165:166], v[165:166], v[153:154]
	ds_load_b128 v[151:154], v1 offset:1184
	v_fma_f64 v[161:162], v[161:162], v[30:31], v[167:168]
	v_fma_f64 v[159:160], v[159:160], v[30:31], -v[32:33]
	scratch_load_b128 v[30:33], off, off offset:496
	v_add_f64_e32 v[163:164], v[163:164], v[171:172]
	v_add_f64_e32 v[165:166], v[165:166], v[169:170]
	v_fma_f64 v[171:172], v[4:5], v[34:35], v[173:174]
	v_fma_f64 v[173:174], v[2:3], v[34:35], -v[36:37]
	ds_load_b128 v[2:5], v1 offset:1200
	s_wait_loadcnt_dscnt 0x801
	v_mul_f64_e32 v[167:168], v[151:152], v[157:158]
	v_mul_f64_e32 v[169:170], v[153:154], v[157:158]
	scratch_load_b128 v[34:37], off, off offset:512
	v_add_f64_e32 v[163:164], v[163:164], v[159:160]
	v_add_f64_e32 v[161:162], v[165:166], v[161:162]
	ds_load_b128 v[157:160], v1 offset:1216
	v_fma_f64 v[167:168], v[153:154], v[155:156], v[167:168]
	v_fma_f64 v[155:156], v[151:152], v[155:156], -v[169:170]
	scratch_load_b128 v[151:154], off, off offset:528
	s_wait_loadcnt_dscnt 0x901
	v_mul_f64_e32 v[165:166], v[2:3], v[40:41]
	v_mul_f64_e32 v[40:41], v[4:5], v[40:41]
	v_add_f64_e32 v[163:164], v[163:164], v[173:174]
	v_add_f64_e32 v[161:162], v[161:162], v[171:172]
	s_delay_alu instid0(VALU_DEP_4) | instskip(NEXT) | instid1(VALU_DEP_4)
	v_fma_f64 v[165:166], v[4:5], v[38:39], v[165:166]
	v_fma_f64 v[171:172], v[2:3], v[38:39], -v[40:41]
	ds_load_b128 v[2:5], v1 offset:1232
	s_wait_loadcnt_dscnt 0x801
	v_mul_f64_e32 v[169:170], v[157:158], v[8:9]
	v_mul_f64_e32 v[8:9], v[159:160], v[8:9]
	scratch_load_b128 v[38:41], off, off offset:544
	s_wait_loadcnt_dscnt 0x800
	v_mul_f64_e32 v[173:174], v[2:3], v[12:13]
	v_add_f64_e32 v[155:156], v[163:164], v[155:156]
	v_add_f64_e32 v[167:168], v[161:162], v[167:168]
	v_mul_f64_e32 v[12:13], v[4:5], v[12:13]
	ds_load_b128 v[161:164], v1 offset:1248
	v_fma_f64 v[159:160], v[159:160], v[6:7], v[169:170]
	v_fma_f64 v[157:158], v[157:158], v[6:7], -v[8:9]
	scratch_load_b128 v[6:9], off, off offset:560
	v_fma_f64 v[169:170], v[4:5], v[10:11], v[173:174]
	v_add_f64_e32 v[155:156], v[155:156], v[171:172]
	v_add_f64_e32 v[165:166], v[167:168], v[165:166]
	v_fma_f64 v[171:172], v[2:3], v[10:11], -v[12:13]
	ds_load_b128 v[2:5], v1 offset:1264
	s_wait_loadcnt_dscnt 0x801
	v_mul_f64_e32 v[167:168], v[161:162], v[16:17]
	v_mul_f64_e32 v[16:17], v[163:164], v[16:17]
	scratch_load_b128 v[10:13], off, off offset:576
	v_add_f64_e32 v[173:174], v[155:156], v[157:158]
	v_add_f64_e32 v[159:160], v[165:166], v[159:160]
	s_wait_loadcnt_dscnt 0x800
	v_mul_f64_e32 v[165:166], v[2:3], v[20:21]
	v_mul_f64_e32 v[20:21], v[4:5], v[20:21]
	v_fma_f64 v[163:164], v[163:164], v[14:15], v[167:168]
	v_fma_f64 v[161:162], v[161:162], v[14:15], -v[16:17]
	ds_load_b128 v[155:158], v1 offset:1280
	scratch_load_b128 v[14:17], off, off offset:592
	v_add_f64_e32 v[167:168], v[173:174], v[171:172]
	v_add_f64_e32 v[159:160], v[159:160], v[169:170]
	v_fma_f64 v[165:166], v[4:5], v[18:19], v[165:166]
	v_fma_f64 v[171:172], v[2:3], v[18:19], -v[20:21]
	ds_load_b128 v[2:5], v1 offset:1296
	s_wait_loadcnt_dscnt 0x801
	v_mul_f64_e32 v[169:170], v[155:156], v[24:25]
	v_mul_f64_e32 v[24:25], v[157:158], v[24:25]
	scratch_load_b128 v[18:21], off, off offset:608
	s_wait_loadcnt_dscnt 0x800
	v_mul_f64_e32 v[173:174], v[2:3], v[28:29]
	v_mul_f64_e32 v[28:29], v[4:5], v[28:29]
	v_add_f64_e32 v[167:168], v[167:168], v[161:162]
	v_add_f64_e32 v[163:164], v[159:160], v[163:164]
	ds_load_b128 v[159:162], v1 offset:1312
	v_fma_f64 v[157:158], v[157:158], v[22:23], v[169:170]
	v_fma_f64 v[155:156], v[155:156], v[22:23], -v[24:25]
	scratch_load_b128 v[22:25], off, off offset:624
	v_fma_f64 v[169:170], v[4:5], v[26:27], v[173:174]
	v_add_f64_e32 v[167:168], v[167:168], v[171:172]
	v_add_f64_e32 v[163:164], v[163:164], v[165:166]
	v_fma_f64 v[171:172], v[2:3], v[26:27], -v[28:29]
	ds_load_b128 v[2:5], v1 offset:1328
	s_wait_loadcnt_dscnt 0x801
	v_mul_f64_e32 v[165:166], v[159:160], v[32:33]
	v_mul_f64_e32 v[32:33], v[161:162], v[32:33]
	scratch_load_b128 v[26:29], off, off offset:640
	s_wait_loadcnt_dscnt 0x800
	v_mul_f64_e32 v[173:174], v[2:3], v[36:37]
	v_mul_f64_e32 v[36:37], v[4:5], v[36:37]
	v_add_f64_e32 v[167:168], v[167:168], v[155:156]
	v_add_f64_e32 v[163:164], v[163:164], v[157:158]
	ds_load_b128 v[155:158], v1 offset:1344
	v_fma_f64 v[161:162], v[161:162], v[30:31], v[165:166]
	v_fma_f64 v[159:160], v[159:160], v[30:31], -v[32:33]
	scratch_load_b128 v[30:33], off, off offset:656
	v_add_f64_e32 v[165:166], v[167:168], v[171:172]
	v_add_f64_e32 v[163:164], v[163:164], v[169:170]
	v_fma_f64 v[169:170], v[4:5], v[34:35], v[173:174]
	v_fma_f64 v[171:172], v[2:3], v[34:35], -v[36:37]
	ds_load_b128 v[2:5], v1 offset:1360
	s_wait_loadcnt_dscnt 0x801
	v_mul_f64_e32 v[167:168], v[155:156], v[153:154]
	v_mul_f64_e32 v[153:154], v[157:158], v[153:154]
	scratch_load_b128 v[34:37], off, off offset:672
	s_wait_loadcnt_dscnt 0x800
	v_mul_f64_e32 v[173:174], v[2:3], v[40:41]
	v_mul_f64_e32 v[40:41], v[4:5], v[40:41]
	v_add_f64_e32 v[165:166], v[165:166], v[159:160]
	v_add_f64_e32 v[163:164], v[163:164], v[161:162]
	ds_load_b128 v[159:162], v1 offset:1376
	v_fma_f64 v[157:158], v[157:158], v[151:152], v[167:168]
	v_fma_f64 v[155:156], v[155:156], v[151:152], -v[153:154]
	scratch_load_b128 v[151:154], off, off offset:688
	v_add_f64_e32 v[165:166], v[165:166], v[171:172]
	v_add_f64_e32 v[163:164], v[163:164], v[169:170]
	v_fma_f64 v[169:170], v[4:5], v[38:39], v[173:174]
	;; [unrolled: 18-line block ×6, first 2 shown]
	v_fma_f64 v[173:174], v[2:3], v[34:35], -v[36:37]
	ds_load_b128 v[2:5], v1 offset:1520
	s_wait_loadcnt_dscnt 0x801
	v_mul_f64_e32 v[167:168], v[159:160], v[153:154]
	v_mul_f64_e32 v[169:170], v[161:162], v[153:154]
	scratch_load_b128 v[34:37], off, off offset:832
	v_add_f64_e32 v[165:166], v[165:166], v[155:156]
	v_add_f64_e32 v[157:158], v[163:164], v[157:158]
	s_wait_loadcnt_dscnt 0x800
	v_mul_f64_e32 v[163:164], v[2:3], v[40:41]
	v_mul_f64_e32 v[40:41], v[4:5], v[40:41]
	ds_load_b128 v[153:156], v1 offset:1536
	v_fma_f64 v[161:162], v[161:162], v[151:152], v[167:168]
	v_fma_f64 v[151:152], v[159:160], v[151:152], -v[169:170]
	v_add_f64_e32 v[159:160], v[165:166], v[173:174]
	v_add_f64_e32 v[157:158], v[157:158], v[171:172]
	s_wait_loadcnt_dscnt 0x700
	v_mul_f64_e32 v[165:166], v[153:154], v[8:9]
	v_mul_f64_e32 v[8:9], v[155:156], v[8:9]
	v_fma_f64 v[163:164], v[4:5], v[38:39], v[163:164]
	v_fma_f64 v[167:168], v[2:3], v[38:39], -v[40:41]
	ds_load_b128 v[2:5], v1 offset:1552
	ds_load_b128 v[38:41], v1 offset:1568
	v_add_f64_e32 v[151:152], v[159:160], v[151:152]
	v_add_f64_e32 v[157:158], v[157:158], v[161:162]
	s_wait_loadcnt_dscnt 0x601
	v_mul_f64_e32 v[159:160], v[2:3], v[12:13]
	v_mul_f64_e32 v[12:13], v[4:5], v[12:13]
	v_fma_f64 v[155:156], v[155:156], v[6:7], v[165:166]
	v_fma_f64 v[6:7], v[153:154], v[6:7], -v[8:9]
	s_wait_loadcnt_dscnt 0x500
	v_mul_f64_e32 v[153:154], v[38:39], v[16:17]
	v_mul_f64_e32 v[16:17], v[40:41], v[16:17]
	v_add_f64_e32 v[8:9], v[151:152], v[167:168]
	v_add_f64_e32 v[151:152], v[157:158], v[163:164]
	v_fma_f64 v[157:158], v[4:5], v[10:11], v[159:160]
	v_fma_f64 v[10:11], v[2:3], v[10:11], -v[12:13]
	v_fma_f64 v[40:41], v[40:41], v[14:15], v[153:154]
	v_fma_f64 v[14:15], v[38:39], v[14:15], -v[16:17]
	v_add_f64_e32 v[12:13], v[8:9], v[6:7]
	v_add_f64_e32 v[151:152], v[151:152], v[155:156]
	ds_load_b128 v[2:5], v1 offset:1584
	ds_load_b128 v[6:9], v1 offset:1600
	s_wait_loadcnt_dscnt 0x401
	v_mul_f64_e32 v[155:156], v[2:3], v[20:21]
	v_mul_f64_e32 v[20:21], v[4:5], v[20:21]
	s_wait_loadcnt_dscnt 0x300
	v_mul_f64_e32 v[16:17], v[6:7], v[24:25]
	v_mul_f64_e32 v[24:25], v[8:9], v[24:25]
	v_add_f64_e32 v[10:11], v[12:13], v[10:11]
	v_add_f64_e32 v[12:13], v[151:152], v[157:158]
	v_fma_f64 v[38:39], v[4:5], v[18:19], v[155:156]
	v_fma_f64 v[18:19], v[2:3], v[18:19], -v[20:21]
	v_fma_f64 v[8:9], v[8:9], v[22:23], v[16:17]
	v_fma_f64 v[6:7], v[6:7], v[22:23], -v[24:25]
	v_add_f64_e32 v[14:15], v[10:11], v[14:15]
	v_add_f64_e32 v[20:21], v[12:13], v[40:41]
	ds_load_b128 v[2:5], v1 offset:1616
	ds_load_b128 v[10:13], v1 offset:1632
	s_wait_loadcnt_dscnt 0x201
	v_mul_f64_e32 v[40:41], v[2:3], v[28:29]
	v_mul_f64_e32 v[28:29], v[4:5], v[28:29]
	v_add_f64_e32 v[14:15], v[14:15], v[18:19]
	v_add_f64_e32 v[16:17], v[20:21], v[38:39]
	s_wait_loadcnt_dscnt 0x100
	v_mul_f64_e32 v[18:19], v[10:11], v[32:33]
	v_mul_f64_e32 v[20:21], v[12:13], v[32:33]
	v_fma_f64 v[22:23], v[4:5], v[26:27], v[40:41]
	v_fma_f64 v[24:25], v[2:3], v[26:27], -v[28:29]
	ds_load_b128 v[2:5], v1 offset:1648
	v_add_f64_e32 v[6:7], v[14:15], v[6:7]
	v_add_f64_e32 v[8:9], v[16:17], v[8:9]
	v_fma_f64 v[12:13], v[12:13], v[30:31], v[18:19]
	v_fma_f64 v[10:11], v[10:11], v[30:31], -v[20:21]
	s_wait_loadcnt_dscnt 0x0
	v_mul_f64_e32 v[14:15], v[2:3], v[36:37]
	v_mul_f64_e32 v[16:17], v[4:5], v[36:37]
	v_add_f64_e32 v[6:7], v[6:7], v[24:25]
	v_add_f64_e32 v[8:9], v[8:9], v[22:23]
	s_delay_alu instid0(VALU_DEP_4) | instskip(NEXT) | instid1(VALU_DEP_4)
	v_fma_f64 v[4:5], v[4:5], v[34:35], v[14:15]
	v_fma_f64 v[2:3], v[2:3], v[34:35], -v[16:17]
	s_delay_alu instid0(VALU_DEP_4) | instskip(NEXT) | instid1(VALU_DEP_4)
	v_add_f64_e32 v[6:7], v[6:7], v[10:11]
	v_add_f64_e32 v[8:9], v[8:9], v[12:13]
	s_delay_alu instid0(VALU_DEP_2) | instskip(NEXT) | instid1(VALU_DEP_2)
	v_add_f64_e32 v[2:3], v[6:7], v[2:3]
	v_add_f64_e32 v[4:5], v[8:9], v[4:5]
	s_delay_alu instid0(VALU_DEP_2) | instskip(NEXT) | instid1(VALU_DEP_2)
	v_add_f64_e64 v[2:3], v[42:43], -v[2:3]
	v_add_f64_e64 v[4:5], v[44:45], -v[4:5]
	scratch_store_b128 off, v[2:5], off offset:208
	v_cmpx_lt_u32_e32 11, v0
	s_cbranch_execz .LBB51_303
; %bb.302:
	scratch_load_b128 v[5:8], off, s54
	v_dual_mov_b32 v2, v1 :: v_dual_mov_b32 v3, v1
	v_mov_b32_e32 v4, v1
	scratch_store_b128 off, v[1:4], off offset:192
	s_wait_loadcnt 0x0
	ds_store_b128 v150, v[5:8]
.LBB51_303:
	s_wait_alu 0xfffe
	s_or_b32 exec_lo, exec_lo, s0
	s_wait_storecnt_dscnt 0x0
	s_barrier_signal -1
	s_barrier_wait -1
	global_inv scope:SCOPE_SE
	s_clause 0x8
	scratch_load_b128 v[2:5], off, off offset:208
	scratch_load_b128 v[6:9], off, off offset:224
	scratch_load_b128 v[10:13], off, off offset:240
	scratch_load_b128 v[14:17], off, off offset:256
	scratch_load_b128 v[18:21], off, off offset:272
	scratch_load_b128 v[22:25], off, off offset:288
	scratch_load_b128 v[26:29], off, off offset:304
	scratch_load_b128 v[30:33], off, off offset:320
	scratch_load_b128 v[34:37], off, off offset:336
	ds_load_b128 v[42:45], v1 offset:1024
	ds_load_b128 v[38:41], v1 offset:1040
	s_clause 0x1
	scratch_load_b128 v[151:154], off, off offset:192
	scratch_load_b128 v[155:158], off, off offset:352
	s_mov_b32 s0, exec_lo
	s_wait_loadcnt_dscnt 0xa01
	v_mul_f64_e32 v[159:160], v[44:45], v[4:5]
	v_mul_f64_e32 v[4:5], v[42:43], v[4:5]
	s_wait_loadcnt_dscnt 0x900
	v_mul_f64_e32 v[163:164], v[38:39], v[8:9]
	v_mul_f64_e32 v[8:9], v[40:41], v[8:9]
	s_delay_alu instid0(VALU_DEP_4) | instskip(NEXT) | instid1(VALU_DEP_4)
	v_fma_f64 v[165:166], v[42:43], v[2:3], -v[159:160]
	v_fma_f64 v[167:168], v[44:45], v[2:3], v[4:5]
	ds_load_b128 v[2:5], v1 offset:1056
	ds_load_b128 v[159:162], v1 offset:1072
	scratch_load_b128 v[42:45], off, off offset:368
	v_fma_f64 v[40:41], v[40:41], v[6:7], v[163:164]
	v_fma_f64 v[38:39], v[38:39], v[6:7], -v[8:9]
	scratch_load_b128 v[6:9], off, off offset:384
	s_wait_loadcnt_dscnt 0xa01
	v_mul_f64_e32 v[169:170], v[2:3], v[12:13]
	v_mul_f64_e32 v[12:13], v[4:5], v[12:13]
	v_add_f64_e32 v[163:164], 0, v[165:166]
	v_add_f64_e32 v[165:166], 0, v[167:168]
	s_wait_loadcnt_dscnt 0x900
	v_mul_f64_e32 v[167:168], v[159:160], v[16:17]
	v_mul_f64_e32 v[16:17], v[161:162], v[16:17]
	v_fma_f64 v[169:170], v[4:5], v[10:11], v[169:170]
	v_fma_f64 v[171:172], v[2:3], v[10:11], -v[12:13]
	ds_load_b128 v[2:5], v1 offset:1088
	scratch_load_b128 v[10:13], off, off offset:400
	v_add_f64_e32 v[163:164], v[163:164], v[38:39]
	v_add_f64_e32 v[165:166], v[165:166], v[40:41]
	ds_load_b128 v[38:41], v1 offset:1104
	v_fma_f64 v[161:162], v[161:162], v[14:15], v[167:168]
	v_fma_f64 v[159:160], v[159:160], v[14:15], -v[16:17]
	scratch_load_b128 v[14:17], off, off offset:416
	s_wait_loadcnt_dscnt 0xa01
	v_mul_f64_e32 v[173:174], v[2:3], v[20:21]
	v_mul_f64_e32 v[20:21], v[4:5], v[20:21]
	s_wait_loadcnt_dscnt 0x900
	v_mul_f64_e32 v[167:168], v[38:39], v[24:25]
	v_mul_f64_e32 v[24:25], v[40:41], v[24:25]
	v_add_f64_e32 v[163:164], v[163:164], v[171:172]
	v_add_f64_e32 v[165:166], v[165:166], v[169:170]
	v_fma_f64 v[169:170], v[4:5], v[18:19], v[173:174]
	v_fma_f64 v[171:172], v[2:3], v[18:19], -v[20:21]
	ds_load_b128 v[2:5], v1 offset:1120
	scratch_load_b128 v[18:21], off, off offset:432
	v_fma_f64 v[40:41], v[40:41], v[22:23], v[167:168]
	v_fma_f64 v[38:39], v[38:39], v[22:23], -v[24:25]
	scratch_load_b128 v[22:25], off, off offset:448
	v_add_f64_e32 v[163:164], v[163:164], v[159:160]
	v_add_f64_e32 v[165:166], v[165:166], v[161:162]
	ds_load_b128 v[159:162], v1 offset:1136
	s_wait_loadcnt_dscnt 0xa01
	v_mul_f64_e32 v[173:174], v[2:3], v[28:29]
	v_mul_f64_e32 v[28:29], v[4:5], v[28:29]
	s_wait_loadcnt_dscnt 0x900
	v_mul_f64_e32 v[167:168], v[159:160], v[32:33]
	v_mul_f64_e32 v[32:33], v[161:162], v[32:33]
	v_add_f64_e32 v[163:164], v[163:164], v[171:172]
	v_add_f64_e32 v[165:166], v[165:166], v[169:170]
	v_fma_f64 v[169:170], v[4:5], v[26:27], v[173:174]
	v_fma_f64 v[171:172], v[2:3], v[26:27], -v[28:29]
	ds_load_b128 v[2:5], v1 offset:1152
	scratch_load_b128 v[26:29], off, off offset:464
	v_fma_f64 v[161:162], v[161:162], v[30:31], v[167:168]
	v_fma_f64 v[159:160], v[159:160], v[30:31], -v[32:33]
	scratch_load_b128 v[30:33], off, off offset:480
	v_add_f64_e32 v[163:164], v[163:164], v[38:39]
	v_add_f64_e32 v[165:166], v[165:166], v[40:41]
	ds_load_b128 v[38:41], v1 offset:1168
	s_wait_loadcnt_dscnt 0xa01
	v_mul_f64_e32 v[173:174], v[2:3], v[36:37]
	v_mul_f64_e32 v[36:37], v[4:5], v[36:37]
	s_wait_loadcnt_dscnt 0x800
	v_mul_f64_e32 v[167:168], v[38:39], v[157:158]
	v_add_f64_e32 v[163:164], v[163:164], v[171:172]
	v_add_f64_e32 v[165:166], v[165:166], v[169:170]
	v_mul_f64_e32 v[169:170], v[40:41], v[157:158]
	v_fma_f64 v[171:172], v[4:5], v[34:35], v[173:174]
	v_fma_f64 v[173:174], v[2:3], v[34:35], -v[36:37]
	ds_load_b128 v[2:5], v1 offset:1184
	scratch_load_b128 v[34:37], off, off offset:496
	v_fma_f64 v[167:168], v[40:41], v[155:156], v[167:168]
	v_add_f64_e32 v[163:164], v[163:164], v[159:160]
	v_add_f64_e32 v[161:162], v[165:166], v[161:162]
	ds_load_b128 v[157:160], v1 offset:1200
	v_fma_f64 v[155:156], v[38:39], v[155:156], -v[169:170]
	scratch_load_b128 v[38:41], off, off offset:512
	s_wait_loadcnt_dscnt 0x901
	v_mul_f64_e32 v[165:166], v[2:3], v[44:45]
	v_mul_f64_e32 v[44:45], v[4:5], v[44:45]
	s_wait_loadcnt_dscnt 0x800
	v_mul_f64_e32 v[169:170], v[157:158], v[8:9]
	v_mul_f64_e32 v[8:9], v[159:160], v[8:9]
	v_add_f64_e32 v[163:164], v[163:164], v[173:174]
	v_add_f64_e32 v[161:162], v[161:162], v[171:172]
	v_fma_f64 v[165:166], v[4:5], v[42:43], v[165:166]
	v_fma_f64 v[171:172], v[2:3], v[42:43], -v[44:45]
	ds_load_b128 v[2:5], v1 offset:1216
	scratch_load_b128 v[42:45], off, off offset:528
	v_fma_f64 v[159:160], v[159:160], v[6:7], v[169:170]
	v_fma_f64 v[157:158], v[157:158], v[6:7], -v[8:9]
	scratch_load_b128 v[6:9], off, off offset:544
	v_add_f64_e32 v[155:156], v[163:164], v[155:156]
	v_add_f64_e32 v[167:168], v[161:162], v[167:168]
	ds_load_b128 v[161:164], v1 offset:1232
	s_wait_loadcnt_dscnt 0x901
	v_mul_f64_e32 v[173:174], v[2:3], v[12:13]
	v_mul_f64_e32 v[12:13], v[4:5], v[12:13]
	v_add_f64_e32 v[155:156], v[155:156], v[171:172]
	v_add_f64_e32 v[165:166], v[167:168], v[165:166]
	s_wait_loadcnt_dscnt 0x800
	v_mul_f64_e32 v[167:168], v[161:162], v[16:17]
	v_mul_f64_e32 v[16:17], v[163:164], v[16:17]
	v_fma_f64 v[169:170], v[4:5], v[10:11], v[173:174]
	v_fma_f64 v[171:172], v[2:3], v[10:11], -v[12:13]
	ds_load_b128 v[2:5], v1 offset:1248
	scratch_load_b128 v[10:13], off, off offset:560
	v_add_f64_e32 v[173:174], v[155:156], v[157:158]
	v_add_f64_e32 v[159:160], v[165:166], v[159:160]
	ds_load_b128 v[155:158], v1 offset:1264
	s_wait_loadcnt_dscnt 0x801
	v_mul_f64_e32 v[165:166], v[2:3], v[20:21]
	v_mul_f64_e32 v[20:21], v[4:5], v[20:21]
	v_fma_f64 v[163:164], v[163:164], v[14:15], v[167:168]
	v_fma_f64 v[161:162], v[161:162], v[14:15], -v[16:17]
	scratch_load_b128 v[14:17], off, off offset:576
	v_add_f64_e32 v[167:168], v[173:174], v[171:172]
	v_add_f64_e32 v[159:160], v[159:160], v[169:170]
	s_wait_loadcnt_dscnt 0x800
	v_mul_f64_e32 v[169:170], v[155:156], v[24:25]
	v_mul_f64_e32 v[24:25], v[157:158], v[24:25]
	v_fma_f64 v[165:166], v[4:5], v[18:19], v[165:166]
	v_fma_f64 v[171:172], v[2:3], v[18:19], -v[20:21]
	ds_load_b128 v[2:5], v1 offset:1280
	scratch_load_b128 v[18:21], off, off offset:592
	v_add_f64_e32 v[167:168], v[167:168], v[161:162]
	v_add_f64_e32 v[163:164], v[159:160], v[163:164]
	ds_load_b128 v[159:162], v1 offset:1296
	s_wait_loadcnt_dscnt 0x801
	v_mul_f64_e32 v[173:174], v[2:3], v[28:29]
	v_mul_f64_e32 v[28:29], v[4:5], v[28:29]
	v_fma_f64 v[157:158], v[157:158], v[22:23], v[169:170]
	v_fma_f64 v[155:156], v[155:156], v[22:23], -v[24:25]
	scratch_load_b128 v[22:25], off, off offset:608
	;; [unrolled: 18-line block ×4, first 2 shown]
	s_wait_loadcnt_dscnt 0x800
	v_mul_f64_e32 v[167:168], v[159:160], v[8:9]
	v_mul_f64_e32 v[8:9], v[161:162], v[8:9]
	v_add_f64_e32 v[165:166], v[165:166], v[171:172]
	v_add_f64_e32 v[163:164], v[163:164], v[169:170]
	v_fma_f64 v[169:170], v[4:5], v[42:43], v[173:174]
	v_fma_f64 v[171:172], v[2:3], v[42:43], -v[44:45]
	ds_load_b128 v[2:5], v1 offset:1376
	scratch_load_b128 v[42:45], off, off offset:688
	v_fma_f64 v[161:162], v[161:162], v[6:7], v[167:168]
	v_fma_f64 v[159:160], v[159:160], v[6:7], -v[8:9]
	scratch_load_b128 v[6:9], off, off offset:704
	v_add_f64_e32 v[165:166], v[165:166], v[155:156]
	v_add_f64_e32 v[163:164], v[163:164], v[157:158]
	ds_load_b128 v[155:158], v1 offset:1392
	s_wait_loadcnt_dscnt 0x901
	v_mul_f64_e32 v[173:174], v[2:3], v[12:13]
	v_mul_f64_e32 v[12:13], v[4:5], v[12:13]
	s_wait_loadcnt_dscnt 0x800
	v_mul_f64_e32 v[167:168], v[155:156], v[16:17]
	v_mul_f64_e32 v[16:17], v[157:158], v[16:17]
	v_add_f64_e32 v[165:166], v[165:166], v[171:172]
	v_add_f64_e32 v[163:164], v[163:164], v[169:170]
	v_fma_f64 v[169:170], v[4:5], v[10:11], v[173:174]
	v_fma_f64 v[171:172], v[2:3], v[10:11], -v[12:13]
	ds_load_b128 v[2:5], v1 offset:1408
	scratch_load_b128 v[10:13], off, off offset:720
	v_fma_f64 v[157:158], v[157:158], v[14:15], v[167:168]
	v_fma_f64 v[155:156], v[155:156], v[14:15], -v[16:17]
	scratch_load_b128 v[14:17], off, off offset:736
	v_add_f64_e32 v[165:166], v[165:166], v[159:160]
	v_add_f64_e32 v[163:164], v[163:164], v[161:162]
	ds_load_b128 v[159:162], v1 offset:1424
	s_wait_loadcnt_dscnt 0x901
	v_mul_f64_e32 v[173:174], v[2:3], v[20:21]
	v_mul_f64_e32 v[20:21], v[4:5], v[20:21]
	s_wait_loadcnt_dscnt 0x800
	v_mul_f64_e32 v[167:168], v[159:160], v[24:25]
	v_mul_f64_e32 v[24:25], v[161:162], v[24:25]
	v_add_f64_e32 v[165:166], v[165:166], v[171:172]
	v_add_f64_e32 v[163:164], v[163:164], v[169:170]
	v_fma_f64 v[169:170], v[4:5], v[18:19], v[173:174]
	v_fma_f64 v[171:172], v[2:3], v[18:19], -v[20:21]
	ds_load_b128 v[2:5], v1 offset:1440
	scratch_load_b128 v[18:21], off, off offset:752
	v_fma_f64 v[161:162], v[161:162], v[22:23], v[167:168]
	v_fma_f64 v[159:160], v[159:160], v[22:23], -v[24:25]
	scratch_load_b128 v[22:25], off, off offset:768
	v_add_f64_e32 v[165:166], v[165:166], v[155:156]
	v_add_f64_e32 v[163:164], v[163:164], v[157:158]
	ds_load_b128 v[155:158], v1 offset:1456
	s_wait_loadcnt_dscnt 0x901
	v_mul_f64_e32 v[173:174], v[2:3], v[28:29]
	v_mul_f64_e32 v[28:29], v[4:5], v[28:29]
	s_wait_loadcnt_dscnt 0x800
	v_mul_f64_e32 v[167:168], v[155:156], v[32:33]
	v_mul_f64_e32 v[32:33], v[157:158], v[32:33]
	v_add_f64_e32 v[165:166], v[165:166], v[171:172]
	v_add_f64_e32 v[163:164], v[163:164], v[169:170]
	v_fma_f64 v[169:170], v[4:5], v[26:27], v[173:174]
	v_fma_f64 v[171:172], v[2:3], v[26:27], -v[28:29]
	ds_load_b128 v[2:5], v1 offset:1472
	scratch_load_b128 v[26:29], off, off offset:784
	v_fma_f64 v[157:158], v[157:158], v[30:31], v[167:168]
	v_fma_f64 v[155:156], v[155:156], v[30:31], -v[32:33]
	scratch_load_b128 v[30:33], off, off offset:800
	v_add_f64_e32 v[165:166], v[165:166], v[159:160]
	v_add_f64_e32 v[163:164], v[163:164], v[161:162]
	ds_load_b128 v[159:162], v1 offset:1488
	s_wait_loadcnt_dscnt 0x901
	v_mul_f64_e32 v[173:174], v[2:3], v[36:37]
	v_mul_f64_e32 v[36:37], v[4:5], v[36:37]
	s_wait_loadcnt_dscnt 0x800
	v_mul_f64_e32 v[167:168], v[159:160], v[40:41]
	v_mul_f64_e32 v[40:41], v[161:162], v[40:41]
	v_add_f64_e32 v[165:166], v[165:166], v[171:172]
	v_add_f64_e32 v[163:164], v[163:164], v[169:170]
	v_fma_f64 v[169:170], v[4:5], v[34:35], v[173:174]
	v_fma_f64 v[171:172], v[2:3], v[34:35], -v[36:37]
	ds_load_b128 v[2:5], v1 offset:1504
	scratch_load_b128 v[34:37], off, off offset:816
	v_fma_f64 v[161:162], v[161:162], v[38:39], v[167:168]
	v_fma_f64 v[159:160], v[159:160], v[38:39], -v[40:41]
	scratch_load_b128 v[38:41], off, off offset:832
	v_add_f64_e32 v[165:166], v[165:166], v[155:156]
	v_add_f64_e32 v[163:164], v[163:164], v[157:158]
	ds_load_b128 v[155:158], v1 offset:1520
	s_wait_loadcnt_dscnt 0x901
	v_mul_f64_e32 v[173:174], v[2:3], v[44:45]
	v_mul_f64_e32 v[44:45], v[4:5], v[44:45]
	s_wait_loadcnt_dscnt 0x800
	v_mul_f64_e32 v[167:168], v[155:156], v[8:9]
	v_mul_f64_e32 v[8:9], v[157:158], v[8:9]
	v_add_f64_e32 v[165:166], v[165:166], v[171:172]
	v_add_f64_e32 v[163:164], v[163:164], v[169:170]
	v_fma_f64 v[169:170], v[4:5], v[42:43], v[173:174]
	v_fma_f64 v[171:172], v[2:3], v[42:43], -v[44:45]
	ds_load_b128 v[2:5], v1 offset:1536
	ds_load_b128 v[42:45], v1 offset:1552
	v_fma_f64 v[157:158], v[157:158], v[6:7], v[167:168]
	v_fma_f64 v[6:7], v[155:156], v[6:7], -v[8:9]
	v_add_f64_e32 v[159:160], v[165:166], v[159:160]
	v_add_f64_e32 v[161:162], v[163:164], v[161:162]
	s_wait_loadcnt_dscnt 0x701
	v_mul_f64_e32 v[163:164], v[2:3], v[12:13]
	v_mul_f64_e32 v[12:13], v[4:5], v[12:13]
	s_delay_alu instid0(VALU_DEP_4) | instskip(NEXT) | instid1(VALU_DEP_4)
	v_add_f64_e32 v[8:9], v[159:160], v[171:172]
	v_add_f64_e32 v[155:156], v[161:162], v[169:170]
	s_wait_loadcnt_dscnt 0x600
	v_mul_f64_e32 v[159:160], v[42:43], v[16:17]
	v_mul_f64_e32 v[16:17], v[44:45], v[16:17]
	v_fma_f64 v[161:162], v[4:5], v[10:11], v[163:164]
	v_fma_f64 v[10:11], v[2:3], v[10:11], -v[12:13]
	v_add_f64_e32 v[12:13], v[8:9], v[6:7]
	v_add_f64_e32 v[155:156], v[155:156], v[157:158]
	ds_load_b128 v[2:5], v1 offset:1568
	ds_load_b128 v[6:9], v1 offset:1584
	v_fma_f64 v[44:45], v[44:45], v[14:15], v[159:160]
	v_fma_f64 v[14:15], v[42:43], v[14:15], -v[16:17]
	s_wait_loadcnt_dscnt 0x501
	v_mul_f64_e32 v[157:158], v[2:3], v[20:21]
	v_mul_f64_e32 v[20:21], v[4:5], v[20:21]
	s_wait_loadcnt_dscnt 0x400
	v_mul_f64_e32 v[16:17], v[6:7], v[24:25]
	v_mul_f64_e32 v[24:25], v[8:9], v[24:25]
	v_add_f64_e32 v[10:11], v[12:13], v[10:11]
	v_add_f64_e32 v[12:13], v[155:156], v[161:162]
	v_fma_f64 v[42:43], v[4:5], v[18:19], v[157:158]
	v_fma_f64 v[18:19], v[2:3], v[18:19], -v[20:21]
	v_fma_f64 v[8:9], v[8:9], v[22:23], v[16:17]
	v_fma_f64 v[6:7], v[6:7], v[22:23], -v[24:25]
	v_add_f64_e32 v[14:15], v[10:11], v[14:15]
	v_add_f64_e32 v[20:21], v[12:13], v[44:45]
	ds_load_b128 v[2:5], v1 offset:1600
	ds_load_b128 v[10:13], v1 offset:1616
	s_wait_loadcnt_dscnt 0x301
	v_mul_f64_e32 v[44:45], v[2:3], v[28:29]
	v_mul_f64_e32 v[28:29], v[4:5], v[28:29]
	v_add_f64_e32 v[14:15], v[14:15], v[18:19]
	v_add_f64_e32 v[16:17], v[20:21], v[42:43]
	s_wait_loadcnt_dscnt 0x200
	v_mul_f64_e32 v[18:19], v[10:11], v[32:33]
	v_mul_f64_e32 v[20:21], v[12:13], v[32:33]
	v_fma_f64 v[22:23], v[4:5], v[26:27], v[44:45]
	v_fma_f64 v[24:25], v[2:3], v[26:27], -v[28:29]
	v_add_f64_e32 v[14:15], v[14:15], v[6:7]
	v_add_f64_e32 v[16:17], v[16:17], v[8:9]
	ds_load_b128 v[2:5], v1 offset:1632
	ds_load_b128 v[6:9], v1 offset:1648
	v_fma_f64 v[12:13], v[12:13], v[30:31], v[18:19]
	v_fma_f64 v[10:11], v[10:11], v[30:31], -v[20:21]
	s_wait_loadcnt_dscnt 0x101
	v_mul_f64_e32 v[26:27], v[2:3], v[36:37]
	v_mul_f64_e32 v[28:29], v[4:5], v[36:37]
	s_wait_loadcnt_dscnt 0x0
	v_mul_f64_e32 v[18:19], v[6:7], v[40:41]
	v_mul_f64_e32 v[20:21], v[8:9], v[40:41]
	v_add_f64_e32 v[14:15], v[14:15], v[24:25]
	v_add_f64_e32 v[16:17], v[16:17], v[22:23]
	v_fma_f64 v[4:5], v[4:5], v[34:35], v[26:27]
	v_fma_f64 v[1:2], v[2:3], v[34:35], -v[28:29]
	v_fma_f64 v[8:9], v[8:9], v[38:39], v[18:19]
	v_fma_f64 v[6:7], v[6:7], v[38:39], -v[20:21]
	v_add_f64_e32 v[10:11], v[14:15], v[10:11]
	v_add_f64_e32 v[12:13], v[16:17], v[12:13]
	s_delay_alu instid0(VALU_DEP_2) | instskip(NEXT) | instid1(VALU_DEP_2)
	v_add_f64_e32 v[1:2], v[10:11], v[1:2]
	v_add_f64_e32 v[3:4], v[12:13], v[4:5]
	s_delay_alu instid0(VALU_DEP_2) | instskip(NEXT) | instid1(VALU_DEP_2)
	;; [unrolled: 3-line block ×3, first 2 shown]
	v_add_f64_e64 v[1:2], v[151:152], -v[1:2]
	v_add_f64_e64 v[3:4], v[153:154], -v[3:4]
	scratch_store_b128 off, v[1:4], off offset:192
	v_cmpx_lt_u32_e32 10, v0
	s_cbranch_execz .LBB51_305
; %bb.304:
	scratch_load_b128 v[1:4], off, s55
	v_mov_b32_e32 v5, 0
	s_delay_alu instid0(VALU_DEP_1)
	v_dual_mov_b32 v6, v5 :: v_dual_mov_b32 v7, v5
	v_mov_b32_e32 v8, v5
	scratch_store_b128 off, v[5:8], off offset:176
	s_wait_loadcnt 0x0
	ds_store_b128 v150, v[1:4]
.LBB51_305:
	s_wait_alu 0xfffe
	s_or_b32 exec_lo, exec_lo, s0
	s_wait_storecnt_dscnt 0x0
	s_barrier_signal -1
	s_barrier_wait -1
	global_inv scope:SCOPE_SE
	s_clause 0x7
	scratch_load_b128 v[2:5], off, off offset:192
	scratch_load_b128 v[6:9], off, off offset:208
	;; [unrolled: 1-line block ×8, first 2 shown]
	v_mov_b32_e32 v1, 0
	s_mov_b32 s0, exec_lo
	ds_load_b128 v[38:41], v1 offset:1008
	s_clause 0x1
	scratch_load_b128 v[34:37], off, off offset:320
	scratch_load_b128 v[42:45], off, off offset:176
	ds_load_b128 v[151:154], v1 offset:1024
	scratch_load_b128 v[155:158], off, off offset:336
	s_wait_loadcnt_dscnt 0xa01
	v_mul_f64_e32 v[159:160], v[40:41], v[4:5]
	v_mul_f64_e32 v[4:5], v[38:39], v[4:5]
	s_delay_alu instid0(VALU_DEP_2) | instskip(NEXT) | instid1(VALU_DEP_2)
	v_fma_f64 v[165:166], v[38:39], v[2:3], -v[159:160]
	v_fma_f64 v[167:168], v[40:41], v[2:3], v[4:5]
	ds_load_b128 v[2:5], v1 offset:1040
	s_wait_loadcnt_dscnt 0x901
	v_mul_f64_e32 v[163:164], v[151:152], v[8:9]
	v_mul_f64_e32 v[8:9], v[153:154], v[8:9]
	scratch_load_b128 v[38:41], off, off offset:352
	ds_load_b128 v[159:162], v1 offset:1056
	s_wait_loadcnt_dscnt 0x901
	v_mul_f64_e32 v[169:170], v[2:3], v[12:13]
	v_mul_f64_e32 v[12:13], v[4:5], v[12:13]
	v_fma_f64 v[153:154], v[153:154], v[6:7], v[163:164]
	v_fma_f64 v[151:152], v[151:152], v[6:7], -v[8:9]
	v_add_f64_e32 v[163:164], 0, v[165:166]
	v_add_f64_e32 v[165:166], 0, v[167:168]
	scratch_load_b128 v[6:9], off, off offset:368
	v_fma_f64 v[169:170], v[4:5], v[10:11], v[169:170]
	v_fma_f64 v[171:172], v[2:3], v[10:11], -v[12:13]
	ds_load_b128 v[2:5], v1 offset:1072
	s_wait_loadcnt_dscnt 0x901
	v_mul_f64_e32 v[167:168], v[159:160], v[16:17]
	v_mul_f64_e32 v[16:17], v[161:162], v[16:17]
	scratch_load_b128 v[10:13], off, off offset:384
	v_add_f64_e32 v[163:164], v[163:164], v[151:152]
	v_add_f64_e32 v[165:166], v[165:166], v[153:154]
	s_wait_loadcnt_dscnt 0x900
	v_mul_f64_e32 v[173:174], v[2:3], v[20:21]
	v_mul_f64_e32 v[20:21], v[4:5], v[20:21]
	ds_load_b128 v[151:154], v1 offset:1088
	v_fma_f64 v[161:162], v[161:162], v[14:15], v[167:168]
	v_fma_f64 v[159:160], v[159:160], v[14:15], -v[16:17]
	scratch_load_b128 v[14:17], off, off offset:400
	v_add_f64_e32 v[163:164], v[163:164], v[171:172]
	v_add_f64_e32 v[165:166], v[165:166], v[169:170]
	v_fma_f64 v[169:170], v[4:5], v[18:19], v[173:174]
	v_fma_f64 v[171:172], v[2:3], v[18:19], -v[20:21]
	ds_load_b128 v[2:5], v1 offset:1104
	s_wait_loadcnt_dscnt 0x901
	v_mul_f64_e32 v[167:168], v[151:152], v[24:25]
	v_mul_f64_e32 v[24:25], v[153:154], v[24:25]
	scratch_load_b128 v[18:21], off, off offset:416
	s_wait_loadcnt_dscnt 0x900
	v_mul_f64_e32 v[173:174], v[2:3], v[28:29]
	v_mul_f64_e32 v[28:29], v[4:5], v[28:29]
	v_add_f64_e32 v[163:164], v[163:164], v[159:160]
	v_add_f64_e32 v[165:166], v[165:166], v[161:162]
	ds_load_b128 v[159:162], v1 offset:1120
	v_fma_f64 v[153:154], v[153:154], v[22:23], v[167:168]
	v_fma_f64 v[151:152], v[151:152], v[22:23], -v[24:25]
	scratch_load_b128 v[22:25], off, off offset:432
	v_add_f64_e32 v[163:164], v[163:164], v[171:172]
	v_add_f64_e32 v[165:166], v[165:166], v[169:170]
	v_fma_f64 v[169:170], v[4:5], v[26:27], v[173:174]
	v_fma_f64 v[171:172], v[2:3], v[26:27], -v[28:29]
	ds_load_b128 v[2:5], v1 offset:1136
	s_wait_loadcnt_dscnt 0x901
	v_mul_f64_e32 v[167:168], v[159:160], v[32:33]
	v_mul_f64_e32 v[32:33], v[161:162], v[32:33]
	scratch_load_b128 v[26:29], off, off offset:448
	s_wait_loadcnt_dscnt 0x900
	v_mul_f64_e32 v[173:174], v[2:3], v[36:37]
	v_mul_f64_e32 v[36:37], v[4:5], v[36:37]
	v_add_f64_e32 v[163:164], v[163:164], v[151:152]
	v_add_f64_e32 v[165:166], v[165:166], v[153:154]
	ds_load_b128 v[151:154], v1 offset:1152
	v_fma_f64 v[161:162], v[161:162], v[30:31], v[167:168]
	v_fma_f64 v[159:160], v[159:160], v[30:31], -v[32:33]
	scratch_load_b128 v[30:33], off, off offset:464
	v_add_f64_e32 v[163:164], v[163:164], v[171:172]
	v_add_f64_e32 v[165:166], v[165:166], v[169:170]
	v_fma_f64 v[171:172], v[4:5], v[34:35], v[173:174]
	v_fma_f64 v[173:174], v[2:3], v[34:35], -v[36:37]
	ds_load_b128 v[2:5], v1 offset:1168
	s_wait_loadcnt_dscnt 0x801
	v_mul_f64_e32 v[167:168], v[151:152], v[157:158]
	v_mul_f64_e32 v[169:170], v[153:154], v[157:158]
	scratch_load_b128 v[34:37], off, off offset:480
	v_add_f64_e32 v[163:164], v[163:164], v[159:160]
	v_add_f64_e32 v[161:162], v[165:166], v[161:162]
	ds_load_b128 v[157:160], v1 offset:1184
	v_fma_f64 v[167:168], v[153:154], v[155:156], v[167:168]
	v_fma_f64 v[155:156], v[151:152], v[155:156], -v[169:170]
	scratch_load_b128 v[151:154], off, off offset:496
	s_wait_loadcnt_dscnt 0x901
	v_mul_f64_e32 v[165:166], v[2:3], v[40:41]
	v_mul_f64_e32 v[40:41], v[4:5], v[40:41]
	v_add_f64_e32 v[163:164], v[163:164], v[173:174]
	v_add_f64_e32 v[161:162], v[161:162], v[171:172]
	s_delay_alu instid0(VALU_DEP_4) | instskip(NEXT) | instid1(VALU_DEP_4)
	v_fma_f64 v[165:166], v[4:5], v[38:39], v[165:166]
	v_fma_f64 v[171:172], v[2:3], v[38:39], -v[40:41]
	ds_load_b128 v[2:5], v1 offset:1200
	s_wait_loadcnt_dscnt 0x801
	v_mul_f64_e32 v[169:170], v[157:158], v[8:9]
	v_mul_f64_e32 v[8:9], v[159:160], v[8:9]
	scratch_load_b128 v[38:41], off, off offset:512
	s_wait_loadcnt_dscnt 0x800
	v_mul_f64_e32 v[173:174], v[2:3], v[12:13]
	v_add_f64_e32 v[155:156], v[163:164], v[155:156]
	v_add_f64_e32 v[167:168], v[161:162], v[167:168]
	v_mul_f64_e32 v[12:13], v[4:5], v[12:13]
	ds_load_b128 v[161:164], v1 offset:1216
	v_fma_f64 v[159:160], v[159:160], v[6:7], v[169:170]
	v_fma_f64 v[157:158], v[157:158], v[6:7], -v[8:9]
	scratch_load_b128 v[6:9], off, off offset:528
	v_fma_f64 v[169:170], v[4:5], v[10:11], v[173:174]
	v_add_f64_e32 v[155:156], v[155:156], v[171:172]
	v_add_f64_e32 v[165:166], v[167:168], v[165:166]
	v_fma_f64 v[171:172], v[2:3], v[10:11], -v[12:13]
	ds_load_b128 v[2:5], v1 offset:1232
	s_wait_loadcnt_dscnt 0x801
	v_mul_f64_e32 v[167:168], v[161:162], v[16:17]
	v_mul_f64_e32 v[16:17], v[163:164], v[16:17]
	scratch_load_b128 v[10:13], off, off offset:544
	v_add_f64_e32 v[173:174], v[155:156], v[157:158]
	v_add_f64_e32 v[159:160], v[165:166], v[159:160]
	s_wait_loadcnt_dscnt 0x800
	v_mul_f64_e32 v[165:166], v[2:3], v[20:21]
	v_mul_f64_e32 v[20:21], v[4:5], v[20:21]
	v_fma_f64 v[163:164], v[163:164], v[14:15], v[167:168]
	v_fma_f64 v[161:162], v[161:162], v[14:15], -v[16:17]
	ds_load_b128 v[155:158], v1 offset:1248
	scratch_load_b128 v[14:17], off, off offset:560
	v_add_f64_e32 v[167:168], v[173:174], v[171:172]
	v_add_f64_e32 v[159:160], v[159:160], v[169:170]
	v_fma_f64 v[165:166], v[4:5], v[18:19], v[165:166]
	v_fma_f64 v[171:172], v[2:3], v[18:19], -v[20:21]
	ds_load_b128 v[2:5], v1 offset:1264
	s_wait_loadcnt_dscnt 0x801
	v_mul_f64_e32 v[169:170], v[155:156], v[24:25]
	v_mul_f64_e32 v[24:25], v[157:158], v[24:25]
	scratch_load_b128 v[18:21], off, off offset:576
	s_wait_loadcnt_dscnt 0x800
	v_mul_f64_e32 v[173:174], v[2:3], v[28:29]
	v_mul_f64_e32 v[28:29], v[4:5], v[28:29]
	v_add_f64_e32 v[167:168], v[167:168], v[161:162]
	v_add_f64_e32 v[163:164], v[159:160], v[163:164]
	ds_load_b128 v[159:162], v1 offset:1280
	v_fma_f64 v[157:158], v[157:158], v[22:23], v[169:170]
	v_fma_f64 v[155:156], v[155:156], v[22:23], -v[24:25]
	scratch_load_b128 v[22:25], off, off offset:592
	v_fma_f64 v[169:170], v[4:5], v[26:27], v[173:174]
	v_add_f64_e32 v[167:168], v[167:168], v[171:172]
	v_add_f64_e32 v[163:164], v[163:164], v[165:166]
	v_fma_f64 v[171:172], v[2:3], v[26:27], -v[28:29]
	ds_load_b128 v[2:5], v1 offset:1296
	s_wait_loadcnt_dscnt 0x801
	v_mul_f64_e32 v[165:166], v[159:160], v[32:33]
	v_mul_f64_e32 v[32:33], v[161:162], v[32:33]
	scratch_load_b128 v[26:29], off, off offset:608
	s_wait_loadcnt_dscnt 0x800
	v_mul_f64_e32 v[173:174], v[2:3], v[36:37]
	v_mul_f64_e32 v[36:37], v[4:5], v[36:37]
	v_add_f64_e32 v[167:168], v[167:168], v[155:156]
	v_add_f64_e32 v[163:164], v[163:164], v[157:158]
	ds_load_b128 v[155:158], v1 offset:1312
	v_fma_f64 v[161:162], v[161:162], v[30:31], v[165:166]
	v_fma_f64 v[159:160], v[159:160], v[30:31], -v[32:33]
	scratch_load_b128 v[30:33], off, off offset:624
	v_add_f64_e32 v[165:166], v[167:168], v[171:172]
	v_add_f64_e32 v[163:164], v[163:164], v[169:170]
	v_fma_f64 v[169:170], v[4:5], v[34:35], v[173:174]
	v_fma_f64 v[171:172], v[2:3], v[34:35], -v[36:37]
	ds_load_b128 v[2:5], v1 offset:1328
	s_wait_loadcnt_dscnt 0x801
	v_mul_f64_e32 v[167:168], v[155:156], v[153:154]
	v_mul_f64_e32 v[153:154], v[157:158], v[153:154]
	scratch_load_b128 v[34:37], off, off offset:640
	s_wait_loadcnt_dscnt 0x800
	v_mul_f64_e32 v[173:174], v[2:3], v[40:41]
	v_mul_f64_e32 v[40:41], v[4:5], v[40:41]
	v_add_f64_e32 v[165:166], v[165:166], v[159:160]
	v_add_f64_e32 v[163:164], v[163:164], v[161:162]
	ds_load_b128 v[159:162], v1 offset:1344
	v_fma_f64 v[157:158], v[157:158], v[151:152], v[167:168]
	v_fma_f64 v[155:156], v[155:156], v[151:152], -v[153:154]
	scratch_load_b128 v[151:154], off, off offset:656
	v_add_f64_e32 v[165:166], v[165:166], v[171:172]
	v_add_f64_e32 v[163:164], v[163:164], v[169:170]
	v_fma_f64 v[169:170], v[4:5], v[38:39], v[173:174]
	;; [unrolled: 18-line block ×6, first 2 shown]
	v_fma_f64 v[173:174], v[2:3], v[34:35], -v[36:37]
	ds_load_b128 v[2:5], v1 offset:1488
	s_wait_loadcnt_dscnt 0x801
	v_mul_f64_e32 v[167:168], v[159:160], v[153:154]
	v_mul_f64_e32 v[169:170], v[161:162], v[153:154]
	scratch_load_b128 v[34:37], off, off offset:800
	v_add_f64_e32 v[165:166], v[165:166], v[155:156]
	v_add_f64_e32 v[157:158], v[163:164], v[157:158]
	s_wait_loadcnt_dscnt 0x800
	v_mul_f64_e32 v[163:164], v[2:3], v[40:41]
	v_mul_f64_e32 v[40:41], v[4:5], v[40:41]
	ds_load_b128 v[153:156], v1 offset:1504
	v_fma_f64 v[161:162], v[161:162], v[151:152], v[167:168]
	v_fma_f64 v[151:152], v[159:160], v[151:152], -v[169:170]
	v_add_f64_e32 v[165:166], v[165:166], v[173:174]
	v_add_f64_e32 v[167:168], v[157:158], v[171:172]
	scratch_load_b128 v[157:160], off, off offset:816
	v_fma_f64 v[171:172], v[4:5], v[38:39], v[163:164]
	v_fma_f64 v[173:174], v[2:3], v[38:39], -v[40:41]
	ds_load_b128 v[2:5], v1 offset:1520
	s_wait_loadcnt_dscnt 0x801
	v_mul_f64_e32 v[169:170], v[153:154], v[8:9]
	v_mul_f64_e32 v[8:9], v[155:156], v[8:9]
	scratch_load_b128 v[38:41], off, off offset:832
	v_add_f64_e32 v[151:152], v[165:166], v[151:152]
	v_add_f64_e32 v[165:166], v[167:168], v[161:162]
	s_wait_loadcnt_dscnt 0x800
	v_mul_f64_e32 v[167:168], v[2:3], v[12:13]
	v_mul_f64_e32 v[12:13], v[4:5], v[12:13]
	ds_load_b128 v[161:164], v1 offset:1536
	v_fma_f64 v[155:156], v[155:156], v[6:7], v[169:170]
	v_fma_f64 v[6:7], v[153:154], v[6:7], -v[8:9]
	s_wait_loadcnt_dscnt 0x700
	v_mul_f64_e32 v[153:154], v[161:162], v[16:17]
	v_mul_f64_e32 v[16:17], v[163:164], v[16:17]
	v_add_f64_e32 v[8:9], v[151:152], v[173:174]
	v_add_f64_e32 v[151:152], v[165:166], v[171:172]
	v_fma_f64 v[165:166], v[4:5], v[10:11], v[167:168]
	v_fma_f64 v[10:11], v[2:3], v[10:11], -v[12:13]
	v_fma_f64 v[153:154], v[163:164], v[14:15], v[153:154]
	v_fma_f64 v[14:15], v[161:162], v[14:15], -v[16:17]
	v_add_f64_e32 v[12:13], v[8:9], v[6:7]
	v_add_f64_e32 v[151:152], v[151:152], v[155:156]
	ds_load_b128 v[2:5], v1 offset:1552
	ds_load_b128 v[6:9], v1 offset:1568
	s_wait_loadcnt_dscnt 0x601
	v_mul_f64_e32 v[155:156], v[2:3], v[20:21]
	v_mul_f64_e32 v[20:21], v[4:5], v[20:21]
	s_wait_loadcnt_dscnt 0x500
	v_mul_f64_e32 v[16:17], v[6:7], v[24:25]
	v_mul_f64_e32 v[24:25], v[8:9], v[24:25]
	v_add_f64_e32 v[10:11], v[12:13], v[10:11]
	v_add_f64_e32 v[12:13], v[151:152], v[165:166]
	v_fma_f64 v[151:152], v[4:5], v[18:19], v[155:156]
	v_fma_f64 v[18:19], v[2:3], v[18:19], -v[20:21]
	v_fma_f64 v[8:9], v[8:9], v[22:23], v[16:17]
	v_fma_f64 v[6:7], v[6:7], v[22:23], -v[24:25]
	v_add_f64_e32 v[14:15], v[10:11], v[14:15]
	v_add_f64_e32 v[20:21], v[12:13], v[153:154]
	ds_load_b128 v[2:5], v1 offset:1584
	ds_load_b128 v[10:13], v1 offset:1600
	s_wait_loadcnt_dscnt 0x401
	v_mul_f64_e32 v[153:154], v[2:3], v[28:29]
	v_mul_f64_e32 v[28:29], v[4:5], v[28:29]
	v_add_f64_e32 v[14:15], v[14:15], v[18:19]
	v_add_f64_e32 v[16:17], v[20:21], v[151:152]
	s_wait_loadcnt_dscnt 0x300
	v_mul_f64_e32 v[18:19], v[10:11], v[32:33]
	v_mul_f64_e32 v[20:21], v[12:13], v[32:33]
	v_fma_f64 v[22:23], v[4:5], v[26:27], v[153:154]
	v_fma_f64 v[24:25], v[2:3], v[26:27], -v[28:29]
	v_add_f64_e32 v[14:15], v[14:15], v[6:7]
	v_add_f64_e32 v[16:17], v[16:17], v[8:9]
	ds_load_b128 v[2:5], v1 offset:1616
	ds_load_b128 v[6:9], v1 offset:1632
	v_fma_f64 v[12:13], v[12:13], v[30:31], v[18:19]
	v_fma_f64 v[10:11], v[10:11], v[30:31], -v[20:21]
	s_wait_loadcnt_dscnt 0x201
	v_mul_f64_e32 v[26:27], v[2:3], v[36:37]
	v_mul_f64_e32 v[28:29], v[4:5], v[36:37]
	v_add_f64_e32 v[14:15], v[14:15], v[24:25]
	v_add_f64_e32 v[16:17], v[16:17], v[22:23]
	s_wait_loadcnt_dscnt 0x100
	v_mul_f64_e32 v[18:19], v[6:7], v[159:160]
	v_mul_f64_e32 v[20:21], v[8:9], v[159:160]
	v_fma_f64 v[22:23], v[4:5], v[34:35], v[26:27]
	v_fma_f64 v[24:25], v[2:3], v[34:35], -v[28:29]
	ds_load_b128 v[2:5], v1 offset:1648
	v_add_f64_e32 v[10:11], v[14:15], v[10:11]
	v_add_f64_e32 v[12:13], v[16:17], v[12:13]
	s_wait_loadcnt_dscnt 0x0
	v_mul_f64_e32 v[14:15], v[2:3], v[40:41]
	v_mul_f64_e32 v[16:17], v[4:5], v[40:41]
	v_fma_f64 v[8:9], v[8:9], v[157:158], v[18:19]
	v_fma_f64 v[6:7], v[6:7], v[157:158], -v[20:21]
	v_add_f64_e32 v[10:11], v[10:11], v[24:25]
	v_add_f64_e32 v[12:13], v[12:13], v[22:23]
	v_fma_f64 v[4:5], v[4:5], v[38:39], v[14:15]
	v_fma_f64 v[2:3], v[2:3], v[38:39], -v[16:17]
	s_delay_alu instid0(VALU_DEP_4) | instskip(NEXT) | instid1(VALU_DEP_4)
	v_add_f64_e32 v[6:7], v[10:11], v[6:7]
	v_add_f64_e32 v[8:9], v[12:13], v[8:9]
	s_delay_alu instid0(VALU_DEP_2) | instskip(NEXT) | instid1(VALU_DEP_2)
	v_add_f64_e32 v[2:3], v[6:7], v[2:3]
	v_add_f64_e32 v[4:5], v[8:9], v[4:5]
	s_delay_alu instid0(VALU_DEP_2) | instskip(NEXT) | instid1(VALU_DEP_2)
	v_add_f64_e64 v[2:3], v[42:43], -v[2:3]
	v_add_f64_e64 v[4:5], v[44:45], -v[4:5]
	scratch_store_b128 off, v[2:5], off offset:176
	v_cmpx_lt_u32_e32 9, v0
	s_cbranch_execz .LBB51_307
; %bb.306:
	scratch_load_b128 v[5:8], off, s56
	v_dual_mov_b32 v2, v1 :: v_dual_mov_b32 v3, v1
	v_mov_b32_e32 v4, v1
	scratch_store_b128 off, v[1:4], off offset:160
	s_wait_loadcnt 0x0
	ds_store_b128 v150, v[5:8]
.LBB51_307:
	s_wait_alu 0xfffe
	s_or_b32 exec_lo, exec_lo, s0
	s_wait_storecnt_dscnt 0x0
	s_barrier_signal -1
	s_barrier_wait -1
	global_inv scope:SCOPE_SE
	s_clause 0x8
	scratch_load_b128 v[2:5], off, off offset:176
	scratch_load_b128 v[6:9], off, off offset:192
	;; [unrolled: 1-line block ×9, first 2 shown]
	ds_load_b128 v[42:45], v1 offset:992
	ds_load_b128 v[38:41], v1 offset:1008
	s_clause 0x1
	scratch_load_b128 v[151:154], off, off offset:160
	scratch_load_b128 v[155:158], off, off offset:320
	s_mov_b32 s0, exec_lo
	s_wait_loadcnt_dscnt 0xa01
	v_mul_f64_e32 v[159:160], v[44:45], v[4:5]
	v_mul_f64_e32 v[4:5], v[42:43], v[4:5]
	s_wait_loadcnt_dscnt 0x900
	v_mul_f64_e32 v[163:164], v[38:39], v[8:9]
	v_mul_f64_e32 v[8:9], v[40:41], v[8:9]
	s_delay_alu instid0(VALU_DEP_4) | instskip(NEXT) | instid1(VALU_DEP_4)
	v_fma_f64 v[165:166], v[42:43], v[2:3], -v[159:160]
	v_fma_f64 v[167:168], v[44:45], v[2:3], v[4:5]
	ds_load_b128 v[2:5], v1 offset:1024
	ds_load_b128 v[159:162], v1 offset:1040
	scratch_load_b128 v[42:45], off, off offset:336
	v_fma_f64 v[40:41], v[40:41], v[6:7], v[163:164]
	v_fma_f64 v[38:39], v[38:39], v[6:7], -v[8:9]
	scratch_load_b128 v[6:9], off, off offset:352
	s_wait_loadcnt_dscnt 0xa01
	v_mul_f64_e32 v[169:170], v[2:3], v[12:13]
	v_mul_f64_e32 v[12:13], v[4:5], v[12:13]
	v_add_f64_e32 v[163:164], 0, v[165:166]
	v_add_f64_e32 v[165:166], 0, v[167:168]
	s_wait_loadcnt_dscnt 0x900
	v_mul_f64_e32 v[167:168], v[159:160], v[16:17]
	v_mul_f64_e32 v[16:17], v[161:162], v[16:17]
	v_fma_f64 v[169:170], v[4:5], v[10:11], v[169:170]
	v_fma_f64 v[171:172], v[2:3], v[10:11], -v[12:13]
	ds_load_b128 v[2:5], v1 offset:1056
	scratch_load_b128 v[10:13], off, off offset:368
	v_add_f64_e32 v[163:164], v[163:164], v[38:39]
	v_add_f64_e32 v[165:166], v[165:166], v[40:41]
	ds_load_b128 v[38:41], v1 offset:1072
	v_fma_f64 v[161:162], v[161:162], v[14:15], v[167:168]
	v_fma_f64 v[159:160], v[159:160], v[14:15], -v[16:17]
	scratch_load_b128 v[14:17], off, off offset:384
	s_wait_loadcnt_dscnt 0xa01
	v_mul_f64_e32 v[173:174], v[2:3], v[20:21]
	v_mul_f64_e32 v[20:21], v[4:5], v[20:21]
	s_wait_loadcnt_dscnt 0x900
	v_mul_f64_e32 v[167:168], v[38:39], v[24:25]
	v_mul_f64_e32 v[24:25], v[40:41], v[24:25]
	v_add_f64_e32 v[163:164], v[163:164], v[171:172]
	v_add_f64_e32 v[165:166], v[165:166], v[169:170]
	v_fma_f64 v[169:170], v[4:5], v[18:19], v[173:174]
	v_fma_f64 v[171:172], v[2:3], v[18:19], -v[20:21]
	ds_load_b128 v[2:5], v1 offset:1088
	scratch_load_b128 v[18:21], off, off offset:400
	v_fma_f64 v[40:41], v[40:41], v[22:23], v[167:168]
	v_fma_f64 v[38:39], v[38:39], v[22:23], -v[24:25]
	scratch_load_b128 v[22:25], off, off offset:416
	v_add_f64_e32 v[163:164], v[163:164], v[159:160]
	v_add_f64_e32 v[165:166], v[165:166], v[161:162]
	ds_load_b128 v[159:162], v1 offset:1104
	s_wait_loadcnt_dscnt 0xa01
	v_mul_f64_e32 v[173:174], v[2:3], v[28:29]
	v_mul_f64_e32 v[28:29], v[4:5], v[28:29]
	s_wait_loadcnt_dscnt 0x900
	v_mul_f64_e32 v[167:168], v[159:160], v[32:33]
	v_mul_f64_e32 v[32:33], v[161:162], v[32:33]
	v_add_f64_e32 v[163:164], v[163:164], v[171:172]
	v_add_f64_e32 v[165:166], v[165:166], v[169:170]
	v_fma_f64 v[169:170], v[4:5], v[26:27], v[173:174]
	v_fma_f64 v[171:172], v[2:3], v[26:27], -v[28:29]
	ds_load_b128 v[2:5], v1 offset:1120
	scratch_load_b128 v[26:29], off, off offset:432
	v_fma_f64 v[161:162], v[161:162], v[30:31], v[167:168]
	v_fma_f64 v[159:160], v[159:160], v[30:31], -v[32:33]
	scratch_load_b128 v[30:33], off, off offset:448
	v_add_f64_e32 v[163:164], v[163:164], v[38:39]
	v_add_f64_e32 v[165:166], v[165:166], v[40:41]
	ds_load_b128 v[38:41], v1 offset:1136
	s_wait_loadcnt_dscnt 0xa01
	v_mul_f64_e32 v[173:174], v[2:3], v[36:37]
	v_mul_f64_e32 v[36:37], v[4:5], v[36:37]
	s_wait_loadcnt_dscnt 0x800
	v_mul_f64_e32 v[167:168], v[38:39], v[157:158]
	v_add_f64_e32 v[163:164], v[163:164], v[171:172]
	v_add_f64_e32 v[165:166], v[165:166], v[169:170]
	v_mul_f64_e32 v[169:170], v[40:41], v[157:158]
	v_fma_f64 v[171:172], v[4:5], v[34:35], v[173:174]
	v_fma_f64 v[173:174], v[2:3], v[34:35], -v[36:37]
	ds_load_b128 v[2:5], v1 offset:1152
	scratch_load_b128 v[34:37], off, off offset:464
	v_fma_f64 v[167:168], v[40:41], v[155:156], v[167:168]
	v_add_f64_e32 v[163:164], v[163:164], v[159:160]
	v_add_f64_e32 v[161:162], v[165:166], v[161:162]
	ds_load_b128 v[157:160], v1 offset:1168
	v_fma_f64 v[155:156], v[38:39], v[155:156], -v[169:170]
	scratch_load_b128 v[38:41], off, off offset:480
	s_wait_loadcnt_dscnt 0x901
	v_mul_f64_e32 v[165:166], v[2:3], v[44:45]
	v_mul_f64_e32 v[44:45], v[4:5], v[44:45]
	s_wait_loadcnt_dscnt 0x800
	v_mul_f64_e32 v[169:170], v[157:158], v[8:9]
	v_mul_f64_e32 v[8:9], v[159:160], v[8:9]
	v_add_f64_e32 v[163:164], v[163:164], v[173:174]
	v_add_f64_e32 v[161:162], v[161:162], v[171:172]
	v_fma_f64 v[165:166], v[4:5], v[42:43], v[165:166]
	v_fma_f64 v[171:172], v[2:3], v[42:43], -v[44:45]
	ds_load_b128 v[2:5], v1 offset:1184
	scratch_load_b128 v[42:45], off, off offset:496
	v_fma_f64 v[159:160], v[159:160], v[6:7], v[169:170]
	v_fma_f64 v[157:158], v[157:158], v[6:7], -v[8:9]
	scratch_load_b128 v[6:9], off, off offset:512
	v_add_f64_e32 v[155:156], v[163:164], v[155:156]
	v_add_f64_e32 v[167:168], v[161:162], v[167:168]
	ds_load_b128 v[161:164], v1 offset:1200
	s_wait_loadcnt_dscnt 0x901
	v_mul_f64_e32 v[173:174], v[2:3], v[12:13]
	v_mul_f64_e32 v[12:13], v[4:5], v[12:13]
	v_add_f64_e32 v[155:156], v[155:156], v[171:172]
	v_add_f64_e32 v[165:166], v[167:168], v[165:166]
	s_wait_loadcnt_dscnt 0x800
	v_mul_f64_e32 v[167:168], v[161:162], v[16:17]
	v_mul_f64_e32 v[16:17], v[163:164], v[16:17]
	v_fma_f64 v[169:170], v[4:5], v[10:11], v[173:174]
	v_fma_f64 v[171:172], v[2:3], v[10:11], -v[12:13]
	ds_load_b128 v[2:5], v1 offset:1216
	scratch_load_b128 v[10:13], off, off offset:528
	v_add_f64_e32 v[173:174], v[155:156], v[157:158]
	v_add_f64_e32 v[159:160], v[165:166], v[159:160]
	ds_load_b128 v[155:158], v1 offset:1232
	s_wait_loadcnt_dscnt 0x801
	v_mul_f64_e32 v[165:166], v[2:3], v[20:21]
	v_mul_f64_e32 v[20:21], v[4:5], v[20:21]
	v_fma_f64 v[163:164], v[163:164], v[14:15], v[167:168]
	v_fma_f64 v[161:162], v[161:162], v[14:15], -v[16:17]
	scratch_load_b128 v[14:17], off, off offset:544
	v_add_f64_e32 v[167:168], v[173:174], v[171:172]
	v_add_f64_e32 v[159:160], v[159:160], v[169:170]
	s_wait_loadcnt_dscnt 0x800
	v_mul_f64_e32 v[169:170], v[155:156], v[24:25]
	v_mul_f64_e32 v[24:25], v[157:158], v[24:25]
	v_fma_f64 v[165:166], v[4:5], v[18:19], v[165:166]
	v_fma_f64 v[171:172], v[2:3], v[18:19], -v[20:21]
	ds_load_b128 v[2:5], v1 offset:1248
	scratch_load_b128 v[18:21], off, off offset:560
	v_add_f64_e32 v[167:168], v[167:168], v[161:162]
	v_add_f64_e32 v[163:164], v[159:160], v[163:164]
	ds_load_b128 v[159:162], v1 offset:1264
	s_wait_loadcnt_dscnt 0x801
	v_mul_f64_e32 v[173:174], v[2:3], v[28:29]
	v_mul_f64_e32 v[28:29], v[4:5], v[28:29]
	v_fma_f64 v[157:158], v[157:158], v[22:23], v[169:170]
	v_fma_f64 v[155:156], v[155:156], v[22:23], -v[24:25]
	scratch_load_b128 v[22:25], off, off offset:576
	;; [unrolled: 18-line block ×4, first 2 shown]
	s_wait_loadcnt_dscnt 0x800
	v_mul_f64_e32 v[167:168], v[159:160], v[8:9]
	v_mul_f64_e32 v[8:9], v[161:162], v[8:9]
	v_add_f64_e32 v[165:166], v[165:166], v[171:172]
	v_add_f64_e32 v[163:164], v[163:164], v[169:170]
	v_fma_f64 v[169:170], v[4:5], v[42:43], v[173:174]
	v_fma_f64 v[171:172], v[2:3], v[42:43], -v[44:45]
	ds_load_b128 v[2:5], v1 offset:1344
	scratch_load_b128 v[42:45], off, off offset:656
	v_fma_f64 v[161:162], v[161:162], v[6:7], v[167:168]
	v_fma_f64 v[159:160], v[159:160], v[6:7], -v[8:9]
	scratch_load_b128 v[6:9], off, off offset:672
	v_add_f64_e32 v[165:166], v[165:166], v[155:156]
	v_add_f64_e32 v[163:164], v[163:164], v[157:158]
	ds_load_b128 v[155:158], v1 offset:1360
	s_wait_loadcnt_dscnt 0x901
	v_mul_f64_e32 v[173:174], v[2:3], v[12:13]
	v_mul_f64_e32 v[12:13], v[4:5], v[12:13]
	s_wait_loadcnt_dscnt 0x800
	v_mul_f64_e32 v[167:168], v[155:156], v[16:17]
	v_mul_f64_e32 v[16:17], v[157:158], v[16:17]
	v_add_f64_e32 v[165:166], v[165:166], v[171:172]
	v_add_f64_e32 v[163:164], v[163:164], v[169:170]
	v_fma_f64 v[169:170], v[4:5], v[10:11], v[173:174]
	v_fma_f64 v[171:172], v[2:3], v[10:11], -v[12:13]
	ds_load_b128 v[2:5], v1 offset:1376
	scratch_load_b128 v[10:13], off, off offset:688
	v_fma_f64 v[157:158], v[157:158], v[14:15], v[167:168]
	v_fma_f64 v[155:156], v[155:156], v[14:15], -v[16:17]
	scratch_load_b128 v[14:17], off, off offset:704
	v_add_f64_e32 v[165:166], v[165:166], v[159:160]
	v_add_f64_e32 v[163:164], v[163:164], v[161:162]
	ds_load_b128 v[159:162], v1 offset:1392
	s_wait_loadcnt_dscnt 0x901
	v_mul_f64_e32 v[173:174], v[2:3], v[20:21]
	v_mul_f64_e32 v[20:21], v[4:5], v[20:21]
	s_wait_loadcnt_dscnt 0x800
	v_mul_f64_e32 v[167:168], v[159:160], v[24:25]
	v_mul_f64_e32 v[24:25], v[161:162], v[24:25]
	v_add_f64_e32 v[165:166], v[165:166], v[171:172]
	v_add_f64_e32 v[163:164], v[163:164], v[169:170]
	v_fma_f64 v[169:170], v[4:5], v[18:19], v[173:174]
	v_fma_f64 v[171:172], v[2:3], v[18:19], -v[20:21]
	ds_load_b128 v[2:5], v1 offset:1408
	scratch_load_b128 v[18:21], off, off offset:720
	v_fma_f64 v[161:162], v[161:162], v[22:23], v[167:168]
	v_fma_f64 v[159:160], v[159:160], v[22:23], -v[24:25]
	scratch_load_b128 v[22:25], off, off offset:736
	v_add_f64_e32 v[165:166], v[165:166], v[155:156]
	v_add_f64_e32 v[163:164], v[163:164], v[157:158]
	ds_load_b128 v[155:158], v1 offset:1424
	s_wait_loadcnt_dscnt 0x901
	v_mul_f64_e32 v[173:174], v[2:3], v[28:29]
	v_mul_f64_e32 v[28:29], v[4:5], v[28:29]
	s_wait_loadcnt_dscnt 0x800
	v_mul_f64_e32 v[167:168], v[155:156], v[32:33]
	v_mul_f64_e32 v[32:33], v[157:158], v[32:33]
	v_add_f64_e32 v[165:166], v[165:166], v[171:172]
	v_add_f64_e32 v[163:164], v[163:164], v[169:170]
	v_fma_f64 v[169:170], v[4:5], v[26:27], v[173:174]
	v_fma_f64 v[171:172], v[2:3], v[26:27], -v[28:29]
	ds_load_b128 v[2:5], v1 offset:1440
	scratch_load_b128 v[26:29], off, off offset:752
	v_fma_f64 v[157:158], v[157:158], v[30:31], v[167:168]
	v_fma_f64 v[155:156], v[155:156], v[30:31], -v[32:33]
	scratch_load_b128 v[30:33], off, off offset:768
	v_add_f64_e32 v[165:166], v[165:166], v[159:160]
	v_add_f64_e32 v[163:164], v[163:164], v[161:162]
	ds_load_b128 v[159:162], v1 offset:1456
	s_wait_loadcnt_dscnt 0x901
	v_mul_f64_e32 v[173:174], v[2:3], v[36:37]
	v_mul_f64_e32 v[36:37], v[4:5], v[36:37]
	s_wait_loadcnt_dscnt 0x800
	v_mul_f64_e32 v[167:168], v[159:160], v[40:41]
	v_mul_f64_e32 v[40:41], v[161:162], v[40:41]
	v_add_f64_e32 v[165:166], v[165:166], v[171:172]
	v_add_f64_e32 v[163:164], v[163:164], v[169:170]
	v_fma_f64 v[169:170], v[4:5], v[34:35], v[173:174]
	v_fma_f64 v[171:172], v[2:3], v[34:35], -v[36:37]
	ds_load_b128 v[2:5], v1 offset:1472
	scratch_load_b128 v[34:37], off, off offset:784
	v_fma_f64 v[161:162], v[161:162], v[38:39], v[167:168]
	v_fma_f64 v[159:160], v[159:160], v[38:39], -v[40:41]
	scratch_load_b128 v[38:41], off, off offset:800
	v_add_f64_e32 v[165:166], v[165:166], v[155:156]
	v_add_f64_e32 v[163:164], v[163:164], v[157:158]
	ds_load_b128 v[155:158], v1 offset:1488
	s_wait_loadcnt_dscnt 0x901
	v_mul_f64_e32 v[173:174], v[2:3], v[44:45]
	v_mul_f64_e32 v[44:45], v[4:5], v[44:45]
	s_wait_loadcnt_dscnt 0x800
	v_mul_f64_e32 v[167:168], v[155:156], v[8:9]
	v_mul_f64_e32 v[8:9], v[157:158], v[8:9]
	v_add_f64_e32 v[165:166], v[165:166], v[171:172]
	v_add_f64_e32 v[163:164], v[163:164], v[169:170]
	v_fma_f64 v[169:170], v[4:5], v[42:43], v[173:174]
	v_fma_f64 v[171:172], v[2:3], v[42:43], -v[44:45]
	ds_load_b128 v[2:5], v1 offset:1504
	scratch_load_b128 v[42:45], off, off offset:816
	v_fma_f64 v[157:158], v[157:158], v[6:7], v[167:168]
	v_fma_f64 v[155:156], v[155:156], v[6:7], -v[8:9]
	scratch_load_b128 v[6:9], off, off offset:832
	v_add_f64_e32 v[165:166], v[165:166], v[159:160]
	v_add_f64_e32 v[163:164], v[163:164], v[161:162]
	ds_load_b128 v[159:162], v1 offset:1520
	s_wait_loadcnt_dscnt 0x901
	v_mul_f64_e32 v[173:174], v[2:3], v[12:13]
	v_mul_f64_e32 v[12:13], v[4:5], v[12:13]
	s_wait_loadcnt_dscnt 0x800
	v_mul_f64_e32 v[167:168], v[159:160], v[16:17]
	v_mul_f64_e32 v[16:17], v[161:162], v[16:17]
	v_add_f64_e32 v[165:166], v[165:166], v[171:172]
	v_add_f64_e32 v[163:164], v[163:164], v[169:170]
	v_fma_f64 v[169:170], v[4:5], v[10:11], v[173:174]
	v_fma_f64 v[171:172], v[2:3], v[10:11], -v[12:13]
	ds_load_b128 v[2:5], v1 offset:1536
	ds_load_b128 v[10:13], v1 offset:1552
	v_fma_f64 v[161:162], v[161:162], v[14:15], v[167:168]
	v_fma_f64 v[14:15], v[159:160], v[14:15], -v[16:17]
	v_add_f64_e32 v[155:156], v[165:166], v[155:156]
	v_add_f64_e32 v[157:158], v[163:164], v[157:158]
	s_wait_loadcnt_dscnt 0x701
	v_mul_f64_e32 v[163:164], v[2:3], v[20:21]
	v_mul_f64_e32 v[20:21], v[4:5], v[20:21]
	s_delay_alu instid0(VALU_DEP_4) | instskip(NEXT) | instid1(VALU_DEP_4)
	v_add_f64_e32 v[16:17], v[155:156], v[171:172]
	v_add_f64_e32 v[155:156], v[157:158], v[169:170]
	s_wait_loadcnt_dscnt 0x600
	v_mul_f64_e32 v[157:158], v[10:11], v[24:25]
	v_mul_f64_e32 v[24:25], v[12:13], v[24:25]
	v_fma_f64 v[159:160], v[4:5], v[18:19], v[163:164]
	v_fma_f64 v[18:19], v[2:3], v[18:19], -v[20:21]
	v_add_f64_e32 v[20:21], v[16:17], v[14:15]
	v_add_f64_e32 v[155:156], v[155:156], v[161:162]
	ds_load_b128 v[2:5], v1 offset:1568
	ds_load_b128 v[14:17], v1 offset:1584
	v_fma_f64 v[12:13], v[12:13], v[22:23], v[157:158]
	v_fma_f64 v[10:11], v[10:11], v[22:23], -v[24:25]
	s_wait_loadcnt_dscnt 0x501
	v_mul_f64_e32 v[161:162], v[2:3], v[28:29]
	v_mul_f64_e32 v[28:29], v[4:5], v[28:29]
	s_wait_loadcnt_dscnt 0x400
	v_mul_f64_e32 v[22:23], v[14:15], v[32:33]
	v_mul_f64_e32 v[24:25], v[16:17], v[32:33]
	v_add_f64_e32 v[18:19], v[20:21], v[18:19]
	v_add_f64_e32 v[20:21], v[155:156], v[159:160]
	v_fma_f64 v[32:33], v[4:5], v[26:27], v[161:162]
	v_fma_f64 v[26:27], v[2:3], v[26:27], -v[28:29]
	v_fma_f64 v[16:17], v[16:17], v[30:31], v[22:23]
	v_fma_f64 v[14:15], v[14:15], v[30:31], -v[24:25]
	v_add_f64_e32 v[18:19], v[18:19], v[10:11]
	v_add_f64_e32 v[20:21], v[20:21], v[12:13]
	ds_load_b128 v[2:5], v1 offset:1600
	ds_load_b128 v[10:13], v1 offset:1616
	s_wait_loadcnt_dscnt 0x301
	v_mul_f64_e32 v[28:29], v[2:3], v[36:37]
	v_mul_f64_e32 v[36:37], v[4:5], v[36:37]
	s_wait_loadcnt_dscnt 0x200
	v_mul_f64_e32 v[22:23], v[10:11], v[40:41]
	v_mul_f64_e32 v[24:25], v[12:13], v[40:41]
	v_add_f64_e32 v[18:19], v[18:19], v[26:27]
	v_add_f64_e32 v[20:21], v[20:21], v[32:33]
	v_fma_f64 v[26:27], v[4:5], v[34:35], v[28:29]
	v_fma_f64 v[28:29], v[2:3], v[34:35], -v[36:37]
	v_fma_f64 v[12:13], v[12:13], v[38:39], v[22:23]
	v_fma_f64 v[10:11], v[10:11], v[38:39], -v[24:25]
	v_add_f64_e32 v[18:19], v[18:19], v[14:15]
	v_add_f64_e32 v[20:21], v[20:21], v[16:17]
	ds_load_b128 v[2:5], v1 offset:1632
	ds_load_b128 v[14:17], v1 offset:1648
	s_wait_loadcnt_dscnt 0x101
	v_mul_f64_e32 v[30:31], v[2:3], v[44:45]
	v_mul_f64_e32 v[32:33], v[4:5], v[44:45]
	s_wait_loadcnt_dscnt 0x0
	v_mul_f64_e32 v[22:23], v[14:15], v[8:9]
	v_mul_f64_e32 v[8:9], v[16:17], v[8:9]
	v_add_f64_e32 v[18:19], v[18:19], v[28:29]
	v_add_f64_e32 v[20:21], v[20:21], v[26:27]
	v_fma_f64 v[4:5], v[4:5], v[42:43], v[30:31]
	v_fma_f64 v[1:2], v[2:3], v[42:43], -v[32:33]
	v_fma_f64 v[16:17], v[16:17], v[6:7], v[22:23]
	v_fma_f64 v[6:7], v[14:15], v[6:7], -v[8:9]
	v_add_f64_e32 v[10:11], v[18:19], v[10:11]
	v_add_f64_e32 v[12:13], v[20:21], v[12:13]
	s_delay_alu instid0(VALU_DEP_2) | instskip(NEXT) | instid1(VALU_DEP_2)
	v_add_f64_e32 v[1:2], v[10:11], v[1:2]
	v_add_f64_e32 v[3:4], v[12:13], v[4:5]
	s_delay_alu instid0(VALU_DEP_2) | instskip(NEXT) | instid1(VALU_DEP_2)
	;; [unrolled: 3-line block ×3, first 2 shown]
	v_add_f64_e64 v[1:2], v[151:152], -v[1:2]
	v_add_f64_e64 v[3:4], v[153:154], -v[3:4]
	scratch_store_b128 off, v[1:4], off offset:160
	v_cmpx_lt_u32_e32 8, v0
	s_cbranch_execz .LBB51_309
; %bb.308:
	scratch_load_b128 v[1:4], off, s57
	v_mov_b32_e32 v5, 0
	s_delay_alu instid0(VALU_DEP_1)
	v_dual_mov_b32 v6, v5 :: v_dual_mov_b32 v7, v5
	v_mov_b32_e32 v8, v5
	scratch_store_b128 off, v[5:8], off offset:144
	s_wait_loadcnt 0x0
	ds_store_b128 v150, v[1:4]
.LBB51_309:
	s_wait_alu 0xfffe
	s_or_b32 exec_lo, exec_lo, s0
	s_wait_storecnt_dscnt 0x0
	s_barrier_signal -1
	s_barrier_wait -1
	global_inv scope:SCOPE_SE
	s_clause 0x7
	scratch_load_b128 v[2:5], off, off offset:160
	scratch_load_b128 v[6:9], off, off offset:176
	;; [unrolled: 1-line block ×8, first 2 shown]
	v_mov_b32_e32 v1, 0
	s_mov_b32 s0, exec_lo
	ds_load_b128 v[38:41], v1 offset:976
	s_clause 0x1
	scratch_load_b128 v[34:37], off, off offset:288
	scratch_load_b128 v[42:45], off, off offset:144
	ds_load_b128 v[151:154], v1 offset:992
	scratch_load_b128 v[155:158], off, off offset:304
	s_wait_loadcnt_dscnt 0xa01
	v_mul_f64_e32 v[159:160], v[40:41], v[4:5]
	v_mul_f64_e32 v[4:5], v[38:39], v[4:5]
	s_delay_alu instid0(VALU_DEP_2) | instskip(NEXT) | instid1(VALU_DEP_2)
	v_fma_f64 v[165:166], v[38:39], v[2:3], -v[159:160]
	v_fma_f64 v[167:168], v[40:41], v[2:3], v[4:5]
	ds_load_b128 v[2:5], v1 offset:1008
	s_wait_loadcnt_dscnt 0x901
	v_mul_f64_e32 v[163:164], v[151:152], v[8:9]
	v_mul_f64_e32 v[8:9], v[153:154], v[8:9]
	scratch_load_b128 v[38:41], off, off offset:320
	ds_load_b128 v[159:162], v1 offset:1024
	s_wait_loadcnt_dscnt 0x901
	v_mul_f64_e32 v[169:170], v[2:3], v[12:13]
	v_mul_f64_e32 v[12:13], v[4:5], v[12:13]
	v_fma_f64 v[153:154], v[153:154], v[6:7], v[163:164]
	v_fma_f64 v[151:152], v[151:152], v[6:7], -v[8:9]
	v_add_f64_e32 v[163:164], 0, v[165:166]
	v_add_f64_e32 v[165:166], 0, v[167:168]
	scratch_load_b128 v[6:9], off, off offset:336
	v_fma_f64 v[169:170], v[4:5], v[10:11], v[169:170]
	v_fma_f64 v[171:172], v[2:3], v[10:11], -v[12:13]
	ds_load_b128 v[2:5], v1 offset:1040
	s_wait_loadcnt_dscnt 0x901
	v_mul_f64_e32 v[167:168], v[159:160], v[16:17]
	v_mul_f64_e32 v[16:17], v[161:162], v[16:17]
	scratch_load_b128 v[10:13], off, off offset:352
	v_add_f64_e32 v[163:164], v[163:164], v[151:152]
	v_add_f64_e32 v[165:166], v[165:166], v[153:154]
	s_wait_loadcnt_dscnt 0x900
	v_mul_f64_e32 v[173:174], v[2:3], v[20:21]
	v_mul_f64_e32 v[20:21], v[4:5], v[20:21]
	ds_load_b128 v[151:154], v1 offset:1056
	v_fma_f64 v[161:162], v[161:162], v[14:15], v[167:168]
	v_fma_f64 v[159:160], v[159:160], v[14:15], -v[16:17]
	scratch_load_b128 v[14:17], off, off offset:368
	v_add_f64_e32 v[163:164], v[163:164], v[171:172]
	v_add_f64_e32 v[165:166], v[165:166], v[169:170]
	v_fma_f64 v[169:170], v[4:5], v[18:19], v[173:174]
	v_fma_f64 v[171:172], v[2:3], v[18:19], -v[20:21]
	ds_load_b128 v[2:5], v1 offset:1072
	s_wait_loadcnt_dscnt 0x901
	v_mul_f64_e32 v[167:168], v[151:152], v[24:25]
	v_mul_f64_e32 v[24:25], v[153:154], v[24:25]
	scratch_load_b128 v[18:21], off, off offset:384
	s_wait_loadcnt_dscnt 0x900
	v_mul_f64_e32 v[173:174], v[2:3], v[28:29]
	v_mul_f64_e32 v[28:29], v[4:5], v[28:29]
	v_add_f64_e32 v[163:164], v[163:164], v[159:160]
	v_add_f64_e32 v[165:166], v[165:166], v[161:162]
	ds_load_b128 v[159:162], v1 offset:1088
	v_fma_f64 v[153:154], v[153:154], v[22:23], v[167:168]
	v_fma_f64 v[151:152], v[151:152], v[22:23], -v[24:25]
	scratch_load_b128 v[22:25], off, off offset:400
	v_add_f64_e32 v[163:164], v[163:164], v[171:172]
	v_add_f64_e32 v[165:166], v[165:166], v[169:170]
	v_fma_f64 v[169:170], v[4:5], v[26:27], v[173:174]
	v_fma_f64 v[171:172], v[2:3], v[26:27], -v[28:29]
	ds_load_b128 v[2:5], v1 offset:1104
	s_wait_loadcnt_dscnt 0x901
	v_mul_f64_e32 v[167:168], v[159:160], v[32:33]
	v_mul_f64_e32 v[32:33], v[161:162], v[32:33]
	scratch_load_b128 v[26:29], off, off offset:416
	s_wait_loadcnt_dscnt 0x900
	v_mul_f64_e32 v[173:174], v[2:3], v[36:37]
	v_mul_f64_e32 v[36:37], v[4:5], v[36:37]
	v_add_f64_e32 v[163:164], v[163:164], v[151:152]
	v_add_f64_e32 v[165:166], v[165:166], v[153:154]
	ds_load_b128 v[151:154], v1 offset:1120
	v_fma_f64 v[161:162], v[161:162], v[30:31], v[167:168]
	v_fma_f64 v[159:160], v[159:160], v[30:31], -v[32:33]
	scratch_load_b128 v[30:33], off, off offset:432
	v_add_f64_e32 v[163:164], v[163:164], v[171:172]
	v_add_f64_e32 v[165:166], v[165:166], v[169:170]
	v_fma_f64 v[171:172], v[4:5], v[34:35], v[173:174]
	v_fma_f64 v[173:174], v[2:3], v[34:35], -v[36:37]
	ds_load_b128 v[2:5], v1 offset:1136
	s_wait_loadcnt_dscnt 0x801
	v_mul_f64_e32 v[167:168], v[151:152], v[157:158]
	v_mul_f64_e32 v[169:170], v[153:154], v[157:158]
	scratch_load_b128 v[34:37], off, off offset:448
	v_add_f64_e32 v[163:164], v[163:164], v[159:160]
	v_add_f64_e32 v[161:162], v[165:166], v[161:162]
	ds_load_b128 v[157:160], v1 offset:1152
	v_fma_f64 v[167:168], v[153:154], v[155:156], v[167:168]
	v_fma_f64 v[155:156], v[151:152], v[155:156], -v[169:170]
	scratch_load_b128 v[151:154], off, off offset:464
	s_wait_loadcnt_dscnt 0x901
	v_mul_f64_e32 v[165:166], v[2:3], v[40:41]
	v_mul_f64_e32 v[40:41], v[4:5], v[40:41]
	v_add_f64_e32 v[163:164], v[163:164], v[173:174]
	v_add_f64_e32 v[161:162], v[161:162], v[171:172]
	s_delay_alu instid0(VALU_DEP_4) | instskip(NEXT) | instid1(VALU_DEP_4)
	v_fma_f64 v[165:166], v[4:5], v[38:39], v[165:166]
	v_fma_f64 v[171:172], v[2:3], v[38:39], -v[40:41]
	ds_load_b128 v[2:5], v1 offset:1168
	s_wait_loadcnt_dscnt 0x801
	v_mul_f64_e32 v[169:170], v[157:158], v[8:9]
	v_mul_f64_e32 v[8:9], v[159:160], v[8:9]
	scratch_load_b128 v[38:41], off, off offset:480
	s_wait_loadcnt_dscnt 0x800
	v_mul_f64_e32 v[173:174], v[2:3], v[12:13]
	v_add_f64_e32 v[155:156], v[163:164], v[155:156]
	v_add_f64_e32 v[167:168], v[161:162], v[167:168]
	v_mul_f64_e32 v[12:13], v[4:5], v[12:13]
	ds_load_b128 v[161:164], v1 offset:1184
	v_fma_f64 v[159:160], v[159:160], v[6:7], v[169:170]
	v_fma_f64 v[157:158], v[157:158], v[6:7], -v[8:9]
	scratch_load_b128 v[6:9], off, off offset:496
	v_fma_f64 v[169:170], v[4:5], v[10:11], v[173:174]
	v_add_f64_e32 v[155:156], v[155:156], v[171:172]
	v_add_f64_e32 v[165:166], v[167:168], v[165:166]
	v_fma_f64 v[171:172], v[2:3], v[10:11], -v[12:13]
	ds_load_b128 v[2:5], v1 offset:1200
	s_wait_loadcnt_dscnt 0x801
	v_mul_f64_e32 v[167:168], v[161:162], v[16:17]
	v_mul_f64_e32 v[16:17], v[163:164], v[16:17]
	scratch_load_b128 v[10:13], off, off offset:512
	v_add_f64_e32 v[173:174], v[155:156], v[157:158]
	v_add_f64_e32 v[159:160], v[165:166], v[159:160]
	s_wait_loadcnt_dscnt 0x800
	v_mul_f64_e32 v[165:166], v[2:3], v[20:21]
	v_mul_f64_e32 v[20:21], v[4:5], v[20:21]
	v_fma_f64 v[163:164], v[163:164], v[14:15], v[167:168]
	v_fma_f64 v[161:162], v[161:162], v[14:15], -v[16:17]
	ds_load_b128 v[155:158], v1 offset:1216
	scratch_load_b128 v[14:17], off, off offset:528
	v_add_f64_e32 v[167:168], v[173:174], v[171:172]
	v_add_f64_e32 v[159:160], v[159:160], v[169:170]
	v_fma_f64 v[165:166], v[4:5], v[18:19], v[165:166]
	v_fma_f64 v[171:172], v[2:3], v[18:19], -v[20:21]
	ds_load_b128 v[2:5], v1 offset:1232
	s_wait_loadcnt_dscnt 0x801
	v_mul_f64_e32 v[169:170], v[155:156], v[24:25]
	v_mul_f64_e32 v[24:25], v[157:158], v[24:25]
	scratch_load_b128 v[18:21], off, off offset:544
	s_wait_loadcnt_dscnt 0x800
	v_mul_f64_e32 v[173:174], v[2:3], v[28:29]
	v_mul_f64_e32 v[28:29], v[4:5], v[28:29]
	v_add_f64_e32 v[167:168], v[167:168], v[161:162]
	v_add_f64_e32 v[163:164], v[159:160], v[163:164]
	ds_load_b128 v[159:162], v1 offset:1248
	v_fma_f64 v[157:158], v[157:158], v[22:23], v[169:170]
	v_fma_f64 v[155:156], v[155:156], v[22:23], -v[24:25]
	scratch_load_b128 v[22:25], off, off offset:560
	v_fma_f64 v[169:170], v[4:5], v[26:27], v[173:174]
	v_add_f64_e32 v[167:168], v[167:168], v[171:172]
	v_add_f64_e32 v[163:164], v[163:164], v[165:166]
	v_fma_f64 v[171:172], v[2:3], v[26:27], -v[28:29]
	ds_load_b128 v[2:5], v1 offset:1264
	s_wait_loadcnt_dscnt 0x801
	v_mul_f64_e32 v[165:166], v[159:160], v[32:33]
	v_mul_f64_e32 v[32:33], v[161:162], v[32:33]
	scratch_load_b128 v[26:29], off, off offset:576
	s_wait_loadcnt_dscnt 0x800
	v_mul_f64_e32 v[173:174], v[2:3], v[36:37]
	v_mul_f64_e32 v[36:37], v[4:5], v[36:37]
	v_add_f64_e32 v[167:168], v[167:168], v[155:156]
	v_add_f64_e32 v[163:164], v[163:164], v[157:158]
	ds_load_b128 v[155:158], v1 offset:1280
	v_fma_f64 v[161:162], v[161:162], v[30:31], v[165:166]
	v_fma_f64 v[159:160], v[159:160], v[30:31], -v[32:33]
	scratch_load_b128 v[30:33], off, off offset:592
	v_add_f64_e32 v[165:166], v[167:168], v[171:172]
	v_add_f64_e32 v[163:164], v[163:164], v[169:170]
	v_fma_f64 v[169:170], v[4:5], v[34:35], v[173:174]
	v_fma_f64 v[171:172], v[2:3], v[34:35], -v[36:37]
	ds_load_b128 v[2:5], v1 offset:1296
	s_wait_loadcnt_dscnt 0x801
	v_mul_f64_e32 v[167:168], v[155:156], v[153:154]
	v_mul_f64_e32 v[153:154], v[157:158], v[153:154]
	scratch_load_b128 v[34:37], off, off offset:608
	s_wait_loadcnt_dscnt 0x800
	v_mul_f64_e32 v[173:174], v[2:3], v[40:41]
	v_mul_f64_e32 v[40:41], v[4:5], v[40:41]
	v_add_f64_e32 v[165:166], v[165:166], v[159:160]
	v_add_f64_e32 v[163:164], v[163:164], v[161:162]
	ds_load_b128 v[159:162], v1 offset:1312
	v_fma_f64 v[157:158], v[157:158], v[151:152], v[167:168]
	v_fma_f64 v[155:156], v[155:156], v[151:152], -v[153:154]
	scratch_load_b128 v[151:154], off, off offset:624
	v_add_f64_e32 v[165:166], v[165:166], v[171:172]
	v_add_f64_e32 v[163:164], v[163:164], v[169:170]
	v_fma_f64 v[169:170], v[4:5], v[38:39], v[173:174]
	;; [unrolled: 18-line block ×6, first 2 shown]
	v_fma_f64 v[173:174], v[2:3], v[34:35], -v[36:37]
	ds_load_b128 v[2:5], v1 offset:1456
	s_wait_loadcnt_dscnt 0x801
	v_mul_f64_e32 v[167:168], v[159:160], v[153:154]
	v_mul_f64_e32 v[169:170], v[161:162], v[153:154]
	scratch_load_b128 v[34:37], off, off offset:768
	v_add_f64_e32 v[165:166], v[165:166], v[155:156]
	v_add_f64_e32 v[157:158], v[163:164], v[157:158]
	s_wait_loadcnt_dscnt 0x800
	v_mul_f64_e32 v[163:164], v[2:3], v[40:41]
	v_mul_f64_e32 v[40:41], v[4:5], v[40:41]
	ds_load_b128 v[153:156], v1 offset:1472
	v_fma_f64 v[161:162], v[161:162], v[151:152], v[167:168]
	v_fma_f64 v[151:152], v[159:160], v[151:152], -v[169:170]
	v_add_f64_e32 v[165:166], v[165:166], v[173:174]
	v_add_f64_e32 v[167:168], v[157:158], v[171:172]
	scratch_load_b128 v[157:160], off, off offset:784
	v_fma_f64 v[171:172], v[4:5], v[38:39], v[163:164]
	v_fma_f64 v[173:174], v[2:3], v[38:39], -v[40:41]
	ds_load_b128 v[2:5], v1 offset:1488
	s_wait_loadcnt_dscnt 0x801
	v_mul_f64_e32 v[169:170], v[153:154], v[8:9]
	v_mul_f64_e32 v[8:9], v[155:156], v[8:9]
	scratch_load_b128 v[38:41], off, off offset:800
	v_add_f64_e32 v[151:152], v[165:166], v[151:152]
	v_add_f64_e32 v[165:166], v[167:168], v[161:162]
	s_wait_loadcnt_dscnt 0x800
	v_mul_f64_e32 v[167:168], v[2:3], v[12:13]
	v_mul_f64_e32 v[12:13], v[4:5], v[12:13]
	ds_load_b128 v[161:164], v1 offset:1504
	v_fma_f64 v[155:156], v[155:156], v[6:7], v[169:170]
	v_fma_f64 v[153:154], v[153:154], v[6:7], -v[8:9]
	scratch_load_b128 v[6:9], off, off offset:816
	v_add_f64_e32 v[151:152], v[151:152], v[173:174]
	v_add_f64_e32 v[165:166], v[165:166], v[171:172]
	v_fma_f64 v[167:168], v[4:5], v[10:11], v[167:168]
	v_fma_f64 v[171:172], v[2:3], v[10:11], -v[12:13]
	ds_load_b128 v[2:5], v1 offset:1520
	s_wait_loadcnt_dscnt 0x801
	v_mul_f64_e32 v[169:170], v[161:162], v[16:17]
	v_mul_f64_e32 v[16:17], v[163:164], v[16:17]
	scratch_load_b128 v[10:13], off, off offset:832
	v_add_f64_e32 v[173:174], v[151:152], v[153:154]
	v_add_f64_e32 v[155:156], v[165:166], v[155:156]
	s_wait_loadcnt_dscnt 0x800
	v_mul_f64_e32 v[165:166], v[2:3], v[20:21]
	v_mul_f64_e32 v[20:21], v[4:5], v[20:21]
	ds_load_b128 v[151:154], v1 offset:1536
	v_fma_f64 v[163:164], v[163:164], v[14:15], v[169:170]
	v_fma_f64 v[14:15], v[161:162], v[14:15], -v[16:17]
	s_wait_loadcnt_dscnt 0x700
	v_mul_f64_e32 v[161:162], v[151:152], v[24:25]
	v_mul_f64_e32 v[24:25], v[153:154], v[24:25]
	v_add_f64_e32 v[16:17], v[173:174], v[171:172]
	v_add_f64_e32 v[155:156], v[155:156], v[167:168]
	v_fma_f64 v[165:166], v[4:5], v[18:19], v[165:166]
	v_fma_f64 v[18:19], v[2:3], v[18:19], -v[20:21]
	v_fma_f64 v[153:154], v[153:154], v[22:23], v[161:162]
	v_fma_f64 v[22:23], v[151:152], v[22:23], -v[24:25]
	v_add_f64_e32 v[20:21], v[16:17], v[14:15]
	v_add_f64_e32 v[155:156], v[155:156], v[163:164]
	ds_load_b128 v[2:5], v1 offset:1552
	ds_load_b128 v[14:17], v1 offset:1568
	s_wait_loadcnt_dscnt 0x601
	v_mul_f64_e32 v[163:164], v[2:3], v[28:29]
	v_mul_f64_e32 v[28:29], v[4:5], v[28:29]
	s_wait_loadcnt_dscnt 0x500
	v_mul_f64_e32 v[24:25], v[14:15], v[32:33]
	v_mul_f64_e32 v[32:33], v[16:17], v[32:33]
	v_add_f64_e32 v[18:19], v[20:21], v[18:19]
	v_add_f64_e32 v[20:21], v[155:156], v[165:166]
	v_fma_f64 v[151:152], v[4:5], v[26:27], v[163:164]
	v_fma_f64 v[26:27], v[2:3], v[26:27], -v[28:29]
	v_fma_f64 v[16:17], v[16:17], v[30:31], v[24:25]
	v_fma_f64 v[14:15], v[14:15], v[30:31], -v[32:33]
	v_add_f64_e32 v[22:23], v[18:19], v[22:23]
	v_add_f64_e32 v[28:29], v[20:21], v[153:154]
	ds_load_b128 v[2:5], v1 offset:1584
	ds_load_b128 v[18:21], v1 offset:1600
	s_wait_loadcnt_dscnt 0x401
	v_mul_f64_e32 v[153:154], v[2:3], v[36:37]
	v_mul_f64_e32 v[36:37], v[4:5], v[36:37]
	v_add_f64_e32 v[22:23], v[22:23], v[26:27]
	v_add_f64_e32 v[24:25], v[28:29], v[151:152]
	s_wait_loadcnt_dscnt 0x300
	v_mul_f64_e32 v[26:27], v[18:19], v[159:160]
	v_mul_f64_e32 v[28:29], v[20:21], v[159:160]
	v_fma_f64 v[30:31], v[4:5], v[34:35], v[153:154]
	v_fma_f64 v[32:33], v[2:3], v[34:35], -v[36:37]
	v_add_f64_e32 v[22:23], v[22:23], v[14:15]
	v_add_f64_e32 v[24:25], v[24:25], v[16:17]
	ds_load_b128 v[2:5], v1 offset:1616
	ds_load_b128 v[14:17], v1 offset:1632
	v_fma_f64 v[20:21], v[20:21], v[157:158], v[26:27]
	v_fma_f64 v[18:19], v[18:19], v[157:158], -v[28:29]
	s_wait_loadcnt_dscnt 0x201
	v_mul_f64_e32 v[34:35], v[2:3], v[40:41]
	v_mul_f64_e32 v[36:37], v[4:5], v[40:41]
	s_wait_loadcnt_dscnt 0x100
	v_mul_f64_e32 v[26:27], v[14:15], v[8:9]
	v_mul_f64_e32 v[8:9], v[16:17], v[8:9]
	v_add_f64_e32 v[22:23], v[22:23], v[32:33]
	v_add_f64_e32 v[24:25], v[24:25], v[30:31]
	v_fma_f64 v[28:29], v[4:5], v[38:39], v[34:35]
	v_fma_f64 v[30:31], v[2:3], v[38:39], -v[36:37]
	ds_load_b128 v[2:5], v1 offset:1648
	v_fma_f64 v[16:17], v[16:17], v[6:7], v[26:27]
	v_fma_f64 v[6:7], v[14:15], v[6:7], -v[8:9]
	v_add_f64_e32 v[18:19], v[22:23], v[18:19]
	v_add_f64_e32 v[20:21], v[24:25], v[20:21]
	s_wait_loadcnt_dscnt 0x0
	v_mul_f64_e32 v[22:23], v[2:3], v[12:13]
	v_mul_f64_e32 v[12:13], v[4:5], v[12:13]
	s_delay_alu instid0(VALU_DEP_4) | instskip(NEXT) | instid1(VALU_DEP_4)
	v_add_f64_e32 v[8:9], v[18:19], v[30:31]
	v_add_f64_e32 v[14:15], v[20:21], v[28:29]
	s_delay_alu instid0(VALU_DEP_4) | instskip(NEXT) | instid1(VALU_DEP_4)
	v_fma_f64 v[4:5], v[4:5], v[10:11], v[22:23]
	v_fma_f64 v[2:3], v[2:3], v[10:11], -v[12:13]
	s_delay_alu instid0(VALU_DEP_4) | instskip(NEXT) | instid1(VALU_DEP_4)
	v_add_f64_e32 v[6:7], v[8:9], v[6:7]
	v_add_f64_e32 v[8:9], v[14:15], v[16:17]
	s_delay_alu instid0(VALU_DEP_2) | instskip(NEXT) | instid1(VALU_DEP_2)
	v_add_f64_e32 v[2:3], v[6:7], v[2:3]
	v_add_f64_e32 v[4:5], v[8:9], v[4:5]
	s_delay_alu instid0(VALU_DEP_2) | instskip(NEXT) | instid1(VALU_DEP_2)
	v_add_f64_e64 v[2:3], v[42:43], -v[2:3]
	v_add_f64_e64 v[4:5], v[44:45], -v[4:5]
	scratch_store_b128 off, v[2:5], off offset:144
	v_cmpx_lt_u32_e32 7, v0
	s_cbranch_execz .LBB51_311
; %bb.310:
	scratch_load_b128 v[5:8], off, s58
	v_dual_mov_b32 v2, v1 :: v_dual_mov_b32 v3, v1
	v_mov_b32_e32 v4, v1
	scratch_store_b128 off, v[1:4], off offset:128
	s_wait_loadcnt 0x0
	ds_store_b128 v150, v[5:8]
.LBB51_311:
	s_wait_alu 0xfffe
	s_or_b32 exec_lo, exec_lo, s0
	s_wait_storecnt_dscnt 0x0
	s_barrier_signal -1
	s_barrier_wait -1
	global_inv scope:SCOPE_SE
	s_clause 0x8
	scratch_load_b128 v[2:5], off, off offset:144
	scratch_load_b128 v[6:9], off, off offset:160
	;; [unrolled: 1-line block ×9, first 2 shown]
	ds_load_b128 v[42:45], v1 offset:960
	ds_load_b128 v[38:41], v1 offset:976
	s_clause 0x1
	scratch_load_b128 v[151:154], off, off offset:128
	scratch_load_b128 v[155:158], off, off offset:288
	s_mov_b32 s0, exec_lo
	s_wait_loadcnt_dscnt 0xa01
	v_mul_f64_e32 v[159:160], v[44:45], v[4:5]
	v_mul_f64_e32 v[4:5], v[42:43], v[4:5]
	s_wait_loadcnt_dscnt 0x900
	v_mul_f64_e32 v[163:164], v[38:39], v[8:9]
	v_mul_f64_e32 v[8:9], v[40:41], v[8:9]
	s_delay_alu instid0(VALU_DEP_4) | instskip(NEXT) | instid1(VALU_DEP_4)
	v_fma_f64 v[165:166], v[42:43], v[2:3], -v[159:160]
	v_fma_f64 v[167:168], v[44:45], v[2:3], v[4:5]
	ds_load_b128 v[2:5], v1 offset:992
	ds_load_b128 v[159:162], v1 offset:1008
	scratch_load_b128 v[42:45], off, off offset:304
	v_fma_f64 v[40:41], v[40:41], v[6:7], v[163:164]
	v_fma_f64 v[38:39], v[38:39], v[6:7], -v[8:9]
	scratch_load_b128 v[6:9], off, off offset:320
	s_wait_loadcnt_dscnt 0xa01
	v_mul_f64_e32 v[169:170], v[2:3], v[12:13]
	v_mul_f64_e32 v[12:13], v[4:5], v[12:13]
	v_add_f64_e32 v[163:164], 0, v[165:166]
	v_add_f64_e32 v[165:166], 0, v[167:168]
	s_wait_loadcnt_dscnt 0x900
	v_mul_f64_e32 v[167:168], v[159:160], v[16:17]
	v_mul_f64_e32 v[16:17], v[161:162], v[16:17]
	v_fma_f64 v[169:170], v[4:5], v[10:11], v[169:170]
	v_fma_f64 v[171:172], v[2:3], v[10:11], -v[12:13]
	ds_load_b128 v[2:5], v1 offset:1024
	scratch_load_b128 v[10:13], off, off offset:336
	v_add_f64_e32 v[163:164], v[163:164], v[38:39]
	v_add_f64_e32 v[165:166], v[165:166], v[40:41]
	ds_load_b128 v[38:41], v1 offset:1040
	v_fma_f64 v[161:162], v[161:162], v[14:15], v[167:168]
	v_fma_f64 v[159:160], v[159:160], v[14:15], -v[16:17]
	scratch_load_b128 v[14:17], off, off offset:352
	s_wait_loadcnt_dscnt 0xa01
	v_mul_f64_e32 v[173:174], v[2:3], v[20:21]
	v_mul_f64_e32 v[20:21], v[4:5], v[20:21]
	s_wait_loadcnt_dscnt 0x900
	v_mul_f64_e32 v[167:168], v[38:39], v[24:25]
	v_mul_f64_e32 v[24:25], v[40:41], v[24:25]
	v_add_f64_e32 v[163:164], v[163:164], v[171:172]
	v_add_f64_e32 v[165:166], v[165:166], v[169:170]
	v_fma_f64 v[169:170], v[4:5], v[18:19], v[173:174]
	v_fma_f64 v[171:172], v[2:3], v[18:19], -v[20:21]
	ds_load_b128 v[2:5], v1 offset:1056
	scratch_load_b128 v[18:21], off, off offset:368
	v_fma_f64 v[40:41], v[40:41], v[22:23], v[167:168]
	v_fma_f64 v[38:39], v[38:39], v[22:23], -v[24:25]
	scratch_load_b128 v[22:25], off, off offset:384
	v_add_f64_e32 v[163:164], v[163:164], v[159:160]
	v_add_f64_e32 v[165:166], v[165:166], v[161:162]
	ds_load_b128 v[159:162], v1 offset:1072
	s_wait_loadcnt_dscnt 0xa01
	v_mul_f64_e32 v[173:174], v[2:3], v[28:29]
	v_mul_f64_e32 v[28:29], v[4:5], v[28:29]
	s_wait_loadcnt_dscnt 0x900
	v_mul_f64_e32 v[167:168], v[159:160], v[32:33]
	v_mul_f64_e32 v[32:33], v[161:162], v[32:33]
	v_add_f64_e32 v[163:164], v[163:164], v[171:172]
	v_add_f64_e32 v[165:166], v[165:166], v[169:170]
	v_fma_f64 v[169:170], v[4:5], v[26:27], v[173:174]
	v_fma_f64 v[171:172], v[2:3], v[26:27], -v[28:29]
	ds_load_b128 v[2:5], v1 offset:1088
	scratch_load_b128 v[26:29], off, off offset:400
	v_fma_f64 v[161:162], v[161:162], v[30:31], v[167:168]
	v_fma_f64 v[159:160], v[159:160], v[30:31], -v[32:33]
	scratch_load_b128 v[30:33], off, off offset:416
	v_add_f64_e32 v[163:164], v[163:164], v[38:39]
	v_add_f64_e32 v[165:166], v[165:166], v[40:41]
	ds_load_b128 v[38:41], v1 offset:1104
	s_wait_loadcnt_dscnt 0xa01
	v_mul_f64_e32 v[173:174], v[2:3], v[36:37]
	v_mul_f64_e32 v[36:37], v[4:5], v[36:37]
	s_wait_loadcnt_dscnt 0x800
	v_mul_f64_e32 v[167:168], v[38:39], v[157:158]
	v_add_f64_e32 v[163:164], v[163:164], v[171:172]
	v_add_f64_e32 v[165:166], v[165:166], v[169:170]
	v_mul_f64_e32 v[169:170], v[40:41], v[157:158]
	v_fma_f64 v[171:172], v[4:5], v[34:35], v[173:174]
	v_fma_f64 v[173:174], v[2:3], v[34:35], -v[36:37]
	ds_load_b128 v[2:5], v1 offset:1120
	scratch_load_b128 v[34:37], off, off offset:432
	v_fma_f64 v[167:168], v[40:41], v[155:156], v[167:168]
	v_add_f64_e32 v[163:164], v[163:164], v[159:160]
	v_add_f64_e32 v[161:162], v[165:166], v[161:162]
	ds_load_b128 v[157:160], v1 offset:1136
	v_fma_f64 v[155:156], v[38:39], v[155:156], -v[169:170]
	scratch_load_b128 v[38:41], off, off offset:448
	s_wait_loadcnt_dscnt 0x901
	v_mul_f64_e32 v[165:166], v[2:3], v[44:45]
	v_mul_f64_e32 v[44:45], v[4:5], v[44:45]
	s_wait_loadcnt_dscnt 0x800
	v_mul_f64_e32 v[169:170], v[157:158], v[8:9]
	v_mul_f64_e32 v[8:9], v[159:160], v[8:9]
	v_add_f64_e32 v[163:164], v[163:164], v[173:174]
	v_add_f64_e32 v[161:162], v[161:162], v[171:172]
	v_fma_f64 v[165:166], v[4:5], v[42:43], v[165:166]
	v_fma_f64 v[171:172], v[2:3], v[42:43], -v[44:45]
	ds_load_b128 v[2:5], v1 offset:1152
	scratch_load_b128 v[42:45], off, off offset:464
	v_fma_f64 v[159:160], v[159:160], v[6:7], v[169:170]
	v_fma_f64 v[157:158], v[157:158], v[6:7], -v[8:9]
	scratch_load_b128 v[6:9], off, off offset:480
	v_add_f64_e32 v[155:156], v[163:164], v[155:156]
	v_add_f64_e32 v[167:168], v[161:162], v[167:168]
	ds_load_b128 v[161:164], v1 offset:1168
	s_wait_loadcnt_dscnt 0x901
	v_mul_f64_e32 v[173:174], v[2:3], v[12:13]
	v_mul_f64_e32 v[12:13], v[4:5], v[12:13]
	v_add_f64_e32 v[155:156], v[155:156], v[171:172]
	v_add_f64_e32 v[165:166], v[167:168], v[165:166]
	s_wait_loadcnt_dscnt 0x800
	v_mul_f64_e32 v[167:168], v[161:162], v[16:17]
	v_mul_f64_e32 v[16:17], v[163:164], v[16:17]
	v_fma_f64 v[169:170], v[4:5], v[10:11], v[173:174]
	v_fma_f64 v[171:172], v[2:3], v[10:11], -v[12:13]
	ds_load_b128 v[2:5], v1 offset:1184
	scratch_load_b128 v[10:13], off, off offset:496
	v_add_f64_e32 v[173:174], v[155:156], v[157:158]
	v_add_f64_e32 v[159:160], v[165:166], v[159:160]
	ds_load_b128 v[155:158], v1 offset:1200
	s_wait_loadcnt_dscnt 0x801
	v_mul_f64_e32 v[165:166], v[2:3], v[20:21]
	v_mul_f64_e32 v[20:21], v[4:5], v[20:21]
	v_fma_f64 v[163:164], v[163:164], v[14:15], v[167:168]
	v_fma_f64 v[161:162], v[161:162], v[14:15], -v[16:17]
	scratch_load_b128 v[14:17], off, off offset:512
	v_add_f64_e32 v[167:168], v[173:174], v[171:172]
	v_add_f64_e32 v[159:160], v[159:160], v[169:170]
	s_wait_loadcnt_dscnt 0x800
	v_mul_f64_e32 v[169:170], v[155:156], v[24:25]
	v_mul_f64_e32 v[24:25], v[157:158], v[24:25]
	v_fma_f64 v[165:166], v[4:5], v[18:19], v[165:166]
	v_fma_f64 v[171:172], v[2:3], v[18:19], -v[20:21]
	ds_load_b128 v[2:5], v1 offset:1216
	scratch_load_b128 v[18:21], off, off offset:528
	v_add_f64_e32 v[167:168], v[167:168], v[161:162]
	v_add_f64_e32 v[163:164], v[159:160], v[163:164]
	ds_load_b128 v[159:162], v1 offset:1232
	s_wait_loadcnt_dscnt 0x801
	v_mul_f64_e32 v[173:174], v[2:3], v[28:29]
	v_mul_f64_e32 v[28:29], v[4:5], v[28:29]
	v_fma_f64 v[157:158], v[157:158], v[22:23], v[169:170]
	v_fma_f64 v[155:156], v[155:156], v[22:23], -v[24:25]
	scratch_load_b128 v[22:25], off, off offset:544
	;; [unrolled: 18-line block ×4, first 2 shown]
	s_wait_loadcnt_dscnt 0x800
	v_mul_f64_e32 v[167:168], v[159:160], v[8:9]
	v_mul_f64_e32 v[8:9], v[161:162], v[8:9]
	v_add_f64_e32 v[165:166], v[165:166], v[171:172]
	v_add_f64_e32 v[163:164], v[163:164], v[169:170]
	v_fma_f64 v[169:170], v[4:5], v[42:43], v[173:174]
	v_fma_f64 v[171:172], v[2:3], v[42:43], -v[44:45]
	ds_load_b128 v[2:5], v1 offset:1312
	scratch_load_b128 v[42:45], off, off offset:624
	v_fma_f64 v[161:162], v[161:162], v[6:7], v[167:168]
	v_fma_f64 v[159:160], v[159:160], v[6:7], -v[8:9]
	scratch_load_b128 v[6:9], off, off offset:640
	v_add_f64_e32 v[165:166], v[165:166], v[155:156]
	v_add_f64_e32 v[163:164], v[163:164], v[157:158]
	ds_load_b128 v[155:158], v1 offset:1328
	s_wait_loadcnt_dscnt 0x901
	v_mul_f64_e32 v[173:174], v[2:3], v[12:13]
	v_mul_f64_e32 v[12:13], v[4:5], v[12:13]
	s_wait_loadcnt_dscnt 0x800
	v_mul_f64_e32 v[167:168], v[155:156], v[16:17]
	v_mul_f64_e32 v[16:17], v[157:158], v[16:17]
	v_add_f64_e32 v[165:166], v[165:166], v[171:172]
	v_add_f64_e32 v[163:164], v[163:164], v[169:170]
	v_fma_f64 v[169:170], v[4:5], v[10:11], v[173:174]
	v_fma_f64 v[171:172], v[2:3], v[10:11], -v[12:13]
	ds_load_b128 v[2:5], v1 offset:1344
	scratch_load_b128 v[10:13], off, off offset:656
	v_fma_f64 v[157:158], v[157:158], v[14:15], v[167:168]
	v_fma_f64 v[155:156], v[155:156], v[14:15], -v[16:17]
	scratch_load_b128 v[14:17], off, off offset:672
	v_add_f64_e32 v[165:166], v[165:166], v[159:160]
	v_add_f64_e32 v[163:164], v[163:164], v[161:162]
	ds_load_b128 v[159:162], v1 offset:1360
	s_wait_loadcnt_dscnt 0x901
	v_mul_f64_e32 v[173:174], v[2:3], v[20:21]
	v_mul_f64_e32 v[20:21], v[4:5], v[20:21]
	;; [unrolled: 18-line block ×7, first 2 shown]
	s_wait_loadcnt_dscnt 0x800
	v_mul_f64_e32 v[167:168], v[155:156], v[24:25]
	v_mul_f64_e32 v[24:25], v[157:158], v[24:25]
	v_add_f64_e32 v[165:166], v[165:166], v[171:172]
	v_add_f64_e32 v[163:164], v[163:164], v[169:170]
	v_fma_f64 v[169:170], v[4:5], v[18:19], v[173:174]
	v_fma_f64 v[171:172], v[2:3], v[18:19], -v[20:21]
	ds_load_b128 v[2:5], v1 offset:1536
	ds_load_b128 v[18:21], v1 offset:1552
	v_fma_f64 v[157:158], v[157:158], v[22:23], v[167:168]
	v_fma_f64 v[22:23], v[155:156], v[22:23], -v[24:25]
	v_add_f64_e32 v[159:160], v[165:166], v[159:160]
	v_add_f64_e32 v[161:162], v[163:164], v[161:162]
	s_wait_loadcnt_dscnt 0x701
	v_mul_f64_e32 v[163:164], v[2:3], v[28:29]
	v_mul_f64_e32 v[28:29], v[4:5], v[28:29]
	s_delay_alu instid0(VALU_DEP_4) | instskip(NEXT) | instid1(VALU_DEP_4)
	v_add_f64_e32 v[24:25], v[159:160], v[171:172]
	v_add_f64_e32 v[155:156], v[161:162], v[169:170]
	s_wait_loadcnt_dscnt 0x600
	v_mul_f64_e32 v[159:160], v[18:19], v[32:33]
	v_mul_f64_e32 v[32:33], v[20:21], v[32:33]
	v_fma_f64 v[161:162], v[4:5], v[26:27], v[163:164]
	v_fma_f64 v[26:27], v[2:3], v[26:27], -v[28:29]
	v_add_f64_e32 v[28:29], v[24:25], v[22:23]
	v_add_f64_e32 v[155:156], v[155:156], v[157:158]
	ds_load_b128 v[2:5], v1 offset:1568
	ds_load_b128 v[22:25], v1 offset:1584
	v_fma_f64 v[20:21], v[20:21], v[30:31], v[159:160]
	v_fma_f64 v[18:19], v[18:19], v[30:31], -v[32:33]
	s_wait_loadcnt_dscnt 0x501
	v_mul_f64_e32 v[157:158], v[2:3], v[36:37]
	v_mul_f64_e32 v[36:37], v[4:5], v[36:37]
	s_wait_loadcnt_dscnt 0x400
	v_mul_f64_e32 v[30:31], v[22:23], v[40:41]
	v_mul_f64_e32 v[32:33], v[24:25], v[40:41]
	v_add_f64_e32 v[26:27], v[28:29], v[26:27]
	v_add_f64_e32 v[28:29], v[155:156], v[161:162]
	v_fma_f64 v[40:41], v[4:5], v[34:35], v[157:158]
	v_fma_f64 v[34:35], v[2:3], v[34:35], -v[36:37]
	v_fma_f64 v[24:25], v[24:25], v[38:39], v[30:31]
	v_fma_f64 v[22:23], v[22:23], v[38:39], -v[32:33]
	v_add_f64_e32 v[26:27], v[26:27], v[18:19]
	v_add_f64_e32 v[28:29], v[28:29], v[20:21]
	ds_load_b128 v[2:5], v1 offset:1600
	ds_load_b128 v[18:21], v1 offset:1616
	s_wait_loadcnt_dscnt 0x301
	v_mul_f64_e32 v[36:37], v[2:3], v[44:45]
	v_mul_f64_e32 v[44:45], v[4:5], v[44:45]
	s_wait_loadcnt_dscnt 0x200
	v_mul_f64_e32 v[30:31], v[18:19], v[8:9]
	v_mul_f64_e32 v[8:9], v[20:21], v[8:9]
	v_add_f64_e32 v[26:27], v[26:27], v[34:35]
	v_add_f64_e32 v[28:29], v[28:29], v[40:41]
	v_fma_f64 v[32:33], v[4:5], v[42:43], v[36:37]
	v_fma_f64 v[34:35], v[2:3], v[42:43], -v[44:45]
	v_fma_f64 v[20:21], v[20:21], v[6:7], v[30:31]
	v_fma_f64 v[6:7], v[18:19], v[6:7], -v[8:9]
	v_add_f64_e32 v[26:27], v[26:27], v[22:23]
	v_add_f64_e32 v[28:29], v[28:29], v[24:25]
	ds_load_b128 v[2:5], v1 offset:1632
	ds_load_b128 v[22:25], v1 offset:1648
	s_wait_loadcnt_dscnt 0x101
	v_mul_f64_e32 v[36:37], v[2:3], v[12:13]
	v_mul_f64_e32 v[12:13], v[4:5], v[12:13]
	v_add_f64_e32 v[8:9], v[26:27], v[34:35]
	v_add_f64_e32 v[18:19], v[28:29], v[32:33]
	s_wait_loadcnt_dscnt 0x0
	v_mul_f64_e32 v[26:27], v[22:23], v[16:17]
	v_mul_f64_e32 v[16:17], v[24:25], v[16:17]
	v_fma_f64 v[4:5], v[4:5], v[10:11], v[36:37]
	v_fma_f64 v[1:2], v[2:3], v[10:11], -v[12:13]
	v_add_f64_e32 v[6:7], v[8:9], v[6:7]
	v_add_f64_e32 v[8:9], v[18:19], v[20:21]
	v_fma_f64 v[10:11], v[24:25], v[14:15], v[26:27]
	v_fma_f64 v[12:13], v[22:23], v[14:15], -v[16:17]
	s_delay_alu instid0(VALU_DEP_4) | instskip(NEXT) | instid1(VALU_DEP_4)
	v_add_f64_e32 v[1:2], v[6:7], v[1:2]
	v_add_f64_e32 v[3:4], v[8:9], v[4:5]
	s_delay_alu instid0(VALU_DEP_2) | instskip(NEXT) | instid1(VALU_DEP_2)
	v_add_f64_e32 v[1:2], v[1:2], v[12:13]
	v_add_f64_e32 v[3:4], v[3:4], v[10:11]
	s_delay_alu instid0(VALU_DEP_2) | instskip(NEXT) | instid1(VALU_DEP_2)
	v_add_f64_e64 v[1:2], v[151:152], -v[1:2]
	v_add_f64_e64 v[3:4], v[153:154], -v[3:4]
	scratch_store_b128 off, v[1:4], off offset:128
	v_cmpx_lt_u32_e32 6, v0
	s_cbranch_execz .LBB51_313
; %bb.312:
	scratch_load_b128 v[1:4], off, s59
	v_mov_b32_e32 v5, 0
	s_delay_alu instid0(VALU_DEP_1)
	v_dual_mov_b32 v6, v5 :: v_dual_mov_b32 v7, v5
	v_mov_b32_e32 v8, v5
	scratch_store_b128 off, v[5:8], off offset:112
	s_wait_loadcnt 0x0
	ds_store_b128 v150, v[1:4]
.LBB51_313:
	s_wait_alu 0xfffe
	s_or_b32 exec_lo, exec_lo, s0
	s_wait_storecnt_dscnt 0x0
	s_barrier_signal -1
	s_barrier_wait -1
	global_inv scope:SCOPE_SE
	s_clause 0x7
	scratch_load_b128 v[2:5], off, off offset:128
	scratch_load_b128 v[6:9], off, off offset:144
	;; [unrolled: 1-line block ×8, first 2 shown]
	v_mov_b32_e32 v1, 0
	s_mov_b32 s0, exec_lo
	ds_load_b128 v[38:41], v1 offset:944
	s_clause 0x1
	scratch_load_b128 v[34:37], off, off offset:256
	scratch_load_b128 v[42:45], off, off offset:112
	ds_load_b128 v[151:154], v1 offset:960
	scratch_load_b128 v[155:158], off, off offset:272
	s_wait_loadcnt_dscnt 0xa01
	v_mul_f64_e32 v[159:160], v[40:41], v[4:5]
	v_mul_f64_e32 v[4:5], v[38:39], v[4:5]
	s_delay_alu instid0(VALU_DEP_2) | instskip(NEXT) | instid1(VALU_DEP_2)
	v_fma_f64 v[165:166], v[38:39], v[2:3], -v[159:160]
	v_fma_f64 v[167:168], v[40:41], v[2:3], v[4:5]
	ds_load_b128 v[2:5], v1 offset:976
	s_wait_loadcnt_dscnt 0x901
	v_mul_f64_e32 v[163:164], v[151:152], v[8:9]
	v_mul_f64_e32 v[8:9], v[153:154], v[8:9]
	scratch_load_b128 v[38:41], off, off offset:288
	ds_load_b128 v[159:162], v1 offset:992
	s_wait_loadcnt_dscnt 0x901
	v_mul_f64_e32 v[169:170], v[2:3], v[12:13]
	v_mul_f64_e32 v[12:13], v[4:5], v[12:13]
	v_fma_f64 v[153:154], v[153:154], v[6:7], v[163:164]
	v_fma_f64 v[151:152], v[151:152], v[6:7], -v[8:9]
	v_add_f64_e32 v[163:164], 0, v[165:166]
	v_add_f64_e32 v[165:166], 0, v[167:168]
	scratch_load_b128 v[6:9], off, off offset:304
	v_fma_f64 v[169:170], v[4:5], v[10:11], v[169:170]
	v_fma_f64 v[171:172], v[2:3], v[10:11], -v[12:13]
	ds_load_b128 v[2:5], v1 offset:1008
	s_wait_loadcnt_dscnt 0x901
	v_mul_f64_e32 v[167:168], v[159:160], v[16:17]
	v_mul_f64_e32 v[16:17], v[161:162], v[16:17]
	scratch_load_b128 v[10:13], off, off offset:320
	v_add_f64_e32 v[163:164], v[163:164], v[151:152]
	v_add_f64_e32 v[165:166], v[165:166], v[153:154]
	s_wait_loadcnt_dscnt 0x900
	v_mul_f64_e32 v[173:174], v[2:3], v[20:21]
	v_mul_f64_e32 v[20:21], v[4:5], v[20:21]
	ds_load_b128 v[151:154], v1 offset:1024
	v_fma_f64 v[161:162], v[161:162], v[14:15], v[167:168]
	v_fma_f64 v[159:160], v[159:160], v[14:15], -v[16:17]
	scratch_load_b128 v[14:17], off, off offset:336
	v_add_f64_e32 v[163:164], v[163:164], v[171:172]
	v_add_f64_e32 v[165:166], v[165:166], v[169:170]
	v_fma_f64 v[169:170], v[4:5], v[18:19], v[173:174]
	v_fma_f64 v[171:172], v[2:3], v[18:19], -v[20:21]
	ds_load_b128 v[2:5], v1 offset:1040
	s_wait_loadcnt_dscnt 0x901
	v_mul_f64_e32 v[167:168], v[151:152], v[24:25]
	v_mul_f64_e32 v[24:25], v[153:154], v[24:25]
	scratch_load_b128 v[18:21], off, off offset:352
	s_wait_loadcnt_dscnt 0x900
	v_mul_f64_e32 v[173:174], v[2:3], v[28:29]
	v_mul_f64_e32 v[28:29], v[4:5], v[28:29]
	v_add_f64_e32 v[163:164], v[163:164], v[159:160]
	v_add_f64_e32 v[165:166], v[165:166], v[161:162]
	ds_load_b128 v[159:162], v1 offset:1056
	v_fma_f64 v[153:154], v[153:154], v[22:23], v[167:168]
	v_fma_f64 v[151:152], v[151:152], v[22:23], -v[24:25]
	scratch_load_b128 v[22:25], off, off offset:368
	v_add_f64_e32 v[163:164], v[163:164], v[171:172]
	v_add_f64_e32 v[165:166], v[165:166], v[169:170]
	v_fma_f64 v[169:170], v[4:5], v[26:27], v[173:174]
	v_fma_f64 v[171:172], v[2:3], v[26:27], -v[28:29]
	ds_load_b128 v[2:5], v1 offset:1072
	s_wait_loadcnt_dscnt 0x901
	v_mul_f64_e32 v[167:168], v[159:160], v[32:33]
	v_mul_f64_e32 v[32:33], v[161:162], v[32:33]
	scratch_load_b128 v[26:29], off, off offset:384
	s_wait_loadcnt_dscnt 0x900
	v_mul_f64_e32 v[173:174], v[2:3], v[36:37]
	v_mul_f64_e32 v[36:37], v[4:5], v[36:37]
	v_add_f64_e32 v[163:164], v[163:164], v[151:152]
	v_add_f64_e32 v[165:166], v[165:166], v[153:154]
	ds_load_b128 v[151:154], v1 offset:1088
	v_fma_f64 v[161:162], v[161:162], v[30:31], v[167:168]
	v_fma_f64 v[159:160], v[159:160], v[30:31], -v[32:33]
	scratch_load_b128 v[30:33], off, off offset:400
	v_add_f64_e32 v[163:164], v[163:164], v[171:172]
	v_add_f64_e32 v[165:166], v[165:166], v[169:170]
	v_fma_f64 v[171:172], v[4:5], v[34:35], v[173:174]
	v_fma_f64 v[173:174], v[2:3], v[34:35], -v[36:37]
	ds_load_b128 v[2:5], v1 offset:1104
	s_wait_loadcnt_dscnt 0x801
	v_mul_f64_e32 v[167:168], v[151:152], v[157:158]
	v_mul_f64_e32 v[169:170], v[153:154], v[157:158]
	scratch_load_b128 v[34:37], off, off offset:416
	v_add_f64_e32 v[163:164], v[163:164], v[159:160]
	v_add_f64_e32 v[161:162], v[165:166], v[161:162]
	ds_load_b128 v[157:160], v1 offset:1120
	v_fma_f64 v[167:168], v[153:154], v[155:156], v[167:168]
	v_fma_f64 v[155:156], v[151:152], v[155:156], -v[169:170]
	scratch_load_b128 v[151:154], off, off offset:432
	s_wait_loadcnt_dscnt 0x901
	v_mul_f64_e32 v[165:166], v[2:3], v[40:41]
	v_mul_f64_e32 v[40:41], v[4:5], v[40:41]
	v_add_f64_e32 v[163:164], v[163:164], v[173:174]
	v_add_f64_e32 v[161:162], v[161:162], v[171:172]
	s_delay_alu instid0(VALU_DEP_4) | instskip(NEXT) | instid1(VALU_DEP_4)
	v_fma_f64 v[165:166], v[4:5], v[38:39], v[165:166]
	v_fma_f64 v[171:172], v[2:3], v[38:39], -v[40:41]
	ds_load_b128 v[2:5], v1 offset:1136
	s_wait_loadcnt_dscnt 0x801
	v_mul_f64_e32 v[169:170], v[157:158], v[8:9]
	v_mul_f64_e32 v[8:9], v[159:160], v[8:9]
	scratch_load_b128 v[38:41], off, off offset:448
	s_wait_loadcnt_dscnt 0x800
	v_mul_f64_e32 v[173:174], v[2:3], v[12:13]
	v_add_f64_e32 v[155:156], v[163:164], v[155:156]
	v_add_f64_e32 v[167:168], v[161:162], v[167:168]
	v_mul_f64_e32 v[12:13], v[4:5], v[12:13]
	ds_load_b128 v[161:164], v1 offset:1152
	v_fma_f64 v[159:160], v[159:160], v[6:7], v[169:170]
	v_fma_f64 v[157:158], v[157:158], v[6:7], -v[8:9]
	scratch_load_b128 v[6:9], off, off offset:464
	v_fma_f64 v[169:170], v[4:5], v[10:11], v[173:174]
	v_add_f64_e32 v[155:156], v[155:156], v[171:172]
	v_add_f64_e32 v[165:166], v[167:168], v[165:166]
	v_fma_f64 v[171:172], v[2:3], v[10:11], -v[12:13]
	ds_load_b128 v[2:5], v1 offset:1168
	s_wait_loadcnt_dscnt 0x801
	v_mul_f64_e32 v[167:168], v[161:162], v[16:17]
	v_mul_f64_e32 v[16:17], v[163:164], v[16:17]
	scratch_load_b128 v[10:13], off, off offset:480
	v_add_f64_e32 v[173:174], v[155:156], v[157:158]
	v_add_f64_e32 v[159:160], v[165:166], v[159:160]
	s_wait_loadcnt_dscnt 0x800
	v_mul_f64_e32 v[165:166], v[2:3], v[20:21]
	v_mul_f64_e32 v[20:21], v[4:5], v[20:21]
	v_fma_f64 v[163:164], v[163:164], v[14:15], v[167:168]
	v_fma_f64 v[161:162], v[161:162], v[14:15], -v[16:17]
	ds_load_b128 v[155:158], v1 offset:1184
	scratch_load_b128 v[14:17], off, off offset:496
	v_add_f64_e32 v[167:168], v[173:174], v[171:172]
	v_add_f64_e32 v[159:160], v[159:160], v[169:170]
	v_fma_f64 v[165:166], v[4:5], v[18:19], v[165:166]
	v_fma_f64 v[171:172], v[2:3], v[18:19], -v[20:21]
	ds_load_b128 v[2:5], v1 offset:1200
	s_wait_loadcnt_dscnt 0x801
	v_mul_f64_e32 v[169:170], v[155:156], v[24:25]
	v_mul_f64_e32 v[24:25], v[157:158], v[24:25]
	scratch_load_b128 v[18:21], off, off offset:512
	s_wait_loadcnt_dscnt 0x800
	v_mul_f64_e32 v[173:174], v[2:3], v[28:29]
	v_mul_f64_e32 v[28:29], v[4:5], v[28:29]
	v_add_f64_e32 v[167:168], v[167:168], v[161:162]
	v_add_f64_e32 v[163:164], v[159:160], v[163:164]
	ds_load_b128 v[159:162], v1 offset:1216
	v_fma_f64 v[157:158], v[157:158], v[22:23], v[169:170]
	v_fma_f64 v[155:156], v[155:156], v[22:23], -v[24:25]
	scratch_load_b128 v[22:25], off, off offset:528
	v_fma_f64 v[169:170], v[4:5], v[26:27], v[173:174]
	v_add_f64_e32 v[167:168], v[167:168], v[171:172]
	v_add_f64_e32 v[163:164], v[163:164], v[165:166]
	v_fma_f64 v[171:172], v[2:3], v[26:27], -v[28:29]
	ds_load_b128 v[2:5], v1 offset:1232
	s_wait_loadcnt_dscnt 0x801
	v_mul_f64_e32 v[165:166], v[159:160], v[32:33]
	v_mul_f64_e32 v[32:33], v[161:162], v[32:33]
	scratch_load_b128 v[26:29], off, off offset:544
	s_wait_loadcnt_dscnt 0x800
	v_mul_f64_e32 v[173:174], v[2:3], v[36:37]
	v_mul_f64_e32 v[36:37], v[4:5], v[36:37]
	v_add_f64_e32 v[167:168], v[167:168], v[155:156]
	v_add_f64_e32 v[163:164], v[163:164], v[157:158]
	ds_load_b128 v[155:158], v1 offset:1248
	v_fma_f64 v[161:162], v[161:162], v[30:31], v[165:166]
	v_fma_f64 v[159:160], v[159:160], v[30:31], -v[32:33]
	scratch_load_b128 v[30:33], off, off offset:560
	v_add_f64_e32 v[165:166], v[167:168], v[171:172]
	v_add_f64_e32 v[163:164], v[163:164], v[169:170]
	v_fma_f64 v[169:170], v[4:5], v[34:35], v[173:174]
	v_fma_f64 v[171:172], v[2:3], v[34:35], -v[36:37]
	ds_load_b128 v[2:5], v1 offset:1264
	s_wait_loadcnt_dscnt 0x801
	v_mul_f64_e32 v[167:168], v[155:156], v[153:154]
	v_mul_f64_e32 v[153:154], v[157:158], v[153:154]
	scratch_load_b128 v[34:37], off, off offset:576
	s_wait_loadcnt_dscnt 0x800
	v_mul_f64_e32 v[173:174], v[2:3], v[40:41]
	v_mul_f64_e32 v[40:41], v[4:5], v[40:41]
	v_add_f64_e32 v[165:166], v[165:166], v[159:160]
	v_add_f64_e32 v[163:164], v[163:164], v[161:162]
	ds_load_b128 v[159:162], v1 offset:1280
	v_fma_f64 v[157:158], v[157:158], v[151:152], v[167:168]
	v_fma_f64 v[155:156], v[155:156], v[151:152], -v[153:154]
	scratch_load_b128 v[151:154], off, off offset:592
	v_add_f64_e32 v[165:166], v[165:166], v[171:172]
	v_add_f64_e32 v[163:164], v[163:164], v[169:170]
	v_fma_f64 v[169:170], v[4:5], v[38:39], v[173:174]
	;; [unrolled: 18-line block ×6, first 2 shown]
	v_fma_f64 v[173:174], v[2:3], v[34:35], -v[36:37]
	ds_load_b128 v[2:5], v1 offset:1424
	s_wait_loadcnt_dscnt 0x801
	v_mul_f64_e32 v[167:168], v[159:160], v[153:154]
	v_mul_f64_e32 v[169:170], v[161:162], v[153:154]
	scratch_load_b128 v[34:37], off, off offset:736
	v_add_f64_e32 v[165:166], v[165:166], v[155:156]
	v_add_f64_e32 v[157:158], v[163:164], v[157:158]
	s_wait_loadcnt_dscnt 0x800
	v_mul_f64_e32 v[163:164], v[2:3], v[40:41]
	v_mul_f64_e32 v[40:41], v[4:5], v[40:41]
	ds_load_b128 v[153:156], v1 offset:1440
	v_fma_f64 v[161:162], v[161:162], v[151:152], v[167:168]
	v_fma_f64 v[151:152], v[159:160], v[151:152], -v[169:170]
	v_add_f64_e32 v[165:166], v[165:166], v[173:174]
	v_add_f64_e32 v[167:168], v[157:158], v[171:172]
	scratch_load_b128 v[157:160], off, off offset:752
	v_fma_f64 v[171:172], v[4:5], v[38:39], v[163:164]
	v_fma_f64 v[173:174], v[2:3], v[38:39], -v[40:41]
	ds_load_b128 v[2:5], v1 offset:1456
	s_wait_loadcnt_dscnt 0x801
	v_mul_f64_e32 v[169:170], v[153:154], v[8:9]
	v_mul_f64_e32 v[8:9], v[155:156], v[8:9]
	scratch_load_b128 v[38:41], off, off offset:768
	v_add_f64_e32 v[151:152], v[165:166], v[151:152]
	v_add_f64_e32 v[165:166], v[167:168], v[161:162]
	s_wait_loadcnt_dscnt 0x800
	v_mul_f64_e32 v[167:168], v[2:3], v[12:13]
	v_mul_f64_e32 v[12:13], v[4:5], v[12:13]
	ds_load_b128 v[161:164], v1 offset:1472
	v_fma_f64 v[155:156], v[155:156], v[6:7], v[169:170]
	v_fma_f64 v[153:154], v[153:154], v[6:7], -v[8:9]
	scratch_load_b128 v[6:9], off, off offset:784
	v_add_f64_e32 v[151:152], v[151:152], v[173:174]
	v_add_f64_e32 v[165:166], v[165:166], v[171:172]
	v_fma_f64 v[167:168], v[4:5], v[10:11], v[167:168]
	v_fma_f64 v[171:172], v[2:3], v[10:11], -v[12:13]
	ds_load_b128 v[2:5], v1 offset:1488
	s_wait_loadcnt_dscnt 0x801
	v_mul_f64_e32 v[169:170], v[161:162], v[16:17]
	v_mul_f64_e32 v[16:17], v[163:164], v[16:17]
	scratch_load_b128 v[10:13], off, off offset:800
	v_add_f64_e32 v[173:174], v[151:152], v[153:154]
	v_add_f64_e32 v[155:156], v[165:166], v[155:156]
	s_wait_loadcnt_dscnt 0x800
	v_mul_f64_e32 v[165:166], v[2:3], v[20:21]
	v_mul_f64_e32 v[20:21], v[4:5], v[20:21]
	ds_load_b128 v[151:154], v1 offset:1504
	v_fma_f64 v[163:164], v[163:164], v[14:15], v[169:170]
	v_fma_f64 v[161:162], v[161:162], v[14:15], -v[16:17]
	scratch_load_b128 v[14:17], off, off offset:816
	v_add_f64_e32 v[169:170], v[173:174], v[171:172]
	v_add_f64_e32 v[155:156], v[155:156], v[167:168]
	v_fma_f64 v[165:166], v[4:5], v[18:19], v[165:166]
	v_fma_f64 v[171:172], v[2:3], v[18:19], -v[20:21]
	ds_load_b128 v[2:5], v1 offset:1520
	s_wait_loadcnt_dscnt 0x801
	v_mul_f64_e32 v[167:168], v[151:152], v[24:25]
	v_mul_f64_e32 v[24:25], v[153:154], v[24:25]
	scratch_load_b128 v[18:21], off, off offset:832
	s_wait_loadcnt_dscnt 0x800
	v_mul_f64_e32 v[173:174], v[2:3], v[28:29]
	v_mul_f64_e32 v[28:29], v[4:5], v[28:29]
	v_add_f64_e32 v[169:170], v[169:170], v[161:162]
	v_add_f64_e32 v[155:156], v[155:156], v[163:164]
	ds_load_b128 v[161:164], v1 offset:1536
	v_fma_f64 v[153:154], v[153:154], v[22:23], v[167:168]
	v_fma_f64 v[22:23], v[151:152], v[22:23], -v[24:25]
	v_add_f64_e32 v[24:25], v[169:170], v[171:172]
	v_add_f64_e32 v[151:152], v[155:156], v[165:166]
	s_wait_loadcnt_dscnt 0x700
	v_mul_f64_e32 v[155:156], v[161:162], v[32:33]
	v_mul_f64_e32 v[32:33], v[163:164], v[32:33]
	v_fma_f64 v[165:166], v[4:5], v[26:27], v[173:174]
	v_fma_f64 v[26:27], v[2:3], v[26:27], -v[28:29]
	v_add_f64_e32 v[28:29], v[24:25], v[22:23]
	v_add_f64_e32 v[151:152], v[151:152], v[153:154]
	ds_load_b128 v[2:5], v1 offset:1552
	ds_load_b128 v[22:25], v1 offset:1568
	v_fma_f64 v[155:156], v[163:164], v[30:31], v[155:156]
	v_fma_f64 v[30:31], v[161:162], v[30:31], -v[32:33]
	s_wait_loadcnt_dscnt 0x601
	v_mul_f64_e32 v[153:154], v[2:3], v[36:37]
	v_mul_f64_e32 v[36:37], v[4:5], v[36:37]
	v_add_f64_e32 v[26:27], v[28:29], v[26:27]
	v_add_f64_e32 v[28:29], v[151:152], v[165:166]
	s_wait_loadcnt_dscnt 0x500
	v_mul_f64_e32 v[32:33], v[22:23], v[159:160]
	v_mul_f64_e32 v[151:152], v[24:25], v[159:160]
	v_fma_f64 v[153:154], v[4:5], v[34:35], v[153:154]
	v_fma_f64 v[34:35], v[2:3], v[34:35], -v[36:37]
	v_add_f64_e32 v[30:31], v[26:27], v[30:31]
	v_add_f64_e32 v[36:37], v[28:29], v[155:156]
	ds_load_b128 v[2:5], v1 offset:1584
	ds_load_b128 v[26:29], v1 offset:1600
	v_fma_f64 v[24:25], v[24:25], v[157:158], v[32:33]
	v_fma_f64 v[22:23], v[22:23], v[157:158], -v[151:152]
	s_wait_loadcnt_dscnt 0x401
	v_mul_f64_e32 v[155:156], v[2:3], v[40:41]
	v_mul_f64_e32 v[40:41], v[4:5], v[40:41]
	;; [unrolled: 16-line block ×3, first 2 shown]
	v_add_f64_e32 v[8:9], v[30:31], v[38:39]
	v_add_f64_e32 v[26:27], v[32:33], v[36:37]
	s_wait_loadcnt_dscnt 0x100
	v_mul_f64_e32 v[30:31], v[22:23], v[16:17]
	v_mul_f64_e32 v[16:17], v[24:25], v[16:17]
	v_fma_f64 v[32:33], v[4:5], v[10:11], v[40:41]
	v_fma_f64 v[10:11], v[2:3], v[10:11], -v[12:13]
	ds_load_b128 v[2:5], v1 offset:1648
	v_add_f64_e32 v[6:7], v[8:9], v[6:7]
	v_add_f64_e32 v[8:9], v[26:27], v[28:29]
	v_fma_f64 v[24:25], v[24:25], v[14:15], v[30:31]
	v_fma_f64 v[14:15], v[22:23], v[14:15], -v[16:17]
	s_wait_loadcnt_dscnt 0x0
	v_mul_f64_e32 v[12:13], v[2:3], v[20:21]
	v_mul_f64_e32 v[20:21], v[4:5], v[20:21]
	v_add_f64_e32 v[6:7], v[6:7], v[10:11]
	v_add_f64_e32 v[8:9], v[8:9], v[32:33]
	s_delay_alu instid0(VALU_DEP_4) | instskip(NEXT) | instid1(VALU_DEP_4)
	v_fma_f64 v[4:5], v[4:5], v[18:19], v[12:13]
	v_fma_f64 v[2:3], v[2:3], v[18:19], -v[20:21]
	s_delay_alu instid0(VALU_DEP_4) | instskip(NEXT) | instid1(VALU_DEP_4)
	v_add_f64_e32 v[6:7], v[6:7], v[14:15]
	v_add_f64_e32 v[8:9], v[8:9], v[24:25]
	s_delay_alu instid0(VALU_DEP_2) | instskip(NEXT) | instid1(VALU_DEP_2)
	v_add_f64_e32 v[2:3], v[6:7], v[2:3]
	v_add_f64_e32 v[4:5], v[8:9], v[4:5]
	s_delay_alu instid0(VALU_DEP_2) | instskip(NEXT) | instid1(VALU_DEP_2)
	v_add_f64_e64 v[2:3], v[42:43], -v[2:3]
	v_add_f64_e64 v[4:5], v[44:45], -v[4:5]
	scratch_store_b128 off, v[2:5], off offset:112
	v_cmpx_lt_u32_e32 5, v0
	s_cbranch_execz .LBB51_315
; %bb.314:
	scratch_load_b128 v[5:8], off, s60
	v_dual_mov_b32 v2, v1 :: v_dual_mov_b32 v3, v1
	v_mov_b32_e32 v4, v1
	scratch_store_b128 off, v[1:4], off offset:96
	s_wait_loadcnt 0x0
	ds_store_b128 v150, v[5:8]
.LBB51_315:
	s_wait_alu 0xfffe
	s_or_b32 exec_lo, exec_lo, s0
	s_wait_storecnt_dscnt 0x0
	s_barrier_signal -1
	s_barrier_wait -1
	global_inv scope:SCOPE_SE
	s_clause 0x8
	scratch_load_b128 v[2:5], off, off offset:112
	scratch_load_b128 v[6:9], off, off offset:128
	;; [unrolled: 1-line block ×9, first 2 shown]
	ds_load_b128 v[42:45], v1 offset:928
	ds_load_b128 v[38:41], v1 offset:944
	s_clause 0x1
	scratch_load_b128 v[151:154], off, off offset:96
	scratch_load_b128 v[155:158], off, off offset:256
	s_mov_b32 s0, exec_lo
	s_wait_loadcnt_dscnt 0xa01
	v_mul_f64_e32 v[159:160], v[44:45], v[4:5]
	v_mul_f64_e32 v[4:5], v[42:43], v[4:5]
	s_wait_loadcnt_dscnt 0x900
	v_mul_f64_e32 v[163:164], v[38:39], v[8:9]
	v_mul_f64_e32 v[8:9], v[40:41], v[8:9]
	s_delay_alu instid0(VALU_DEP_4) | instskip(NEXT) | instid1(VALU_DEP_4)
	v_fma_f64 v[165:166], v[42:43], v[2:3], -v[159:160]
	v_fma_f64 v[167:168], v[44:45], v[2:3], v[4:5]
	ds_load_b128 v[2:5], v1 offset:960
	ds_load_b128 v[159:162], v1 offset:976
	scratch_load_b128 v[42:45], off, off offset:272
	v_fma_f64 v[40:41], v[40:41], v[6:7], v[163:164]
	v_fma_f64 v[38:39], v[38:39], v[6:7], -v[8:9]
	scratch_load_b128 v[6:9], off, off offset:288
	s_wait_loadcnt_dscnt 0xa01
	v_mul_f64_e32 v[169:170], v[2:3], v[12:13]
	v_mul_f64_e32 v[12:13], v[4:5], v[12:13]
	v_add_f64_e32 v[163:164], 0, v[165:166]
	v_add_f64_e32 v[165:166], 0, v[167:168]
	s_wait_loadcnt_dscnt 0x900
	v_mul_f64_e32 v[167:168], v[159:160], v[16:17]
	v_mul_f64_e32 v[16:17], v[161:162], v[16:17]
	v_fma_f64 v[169:170], v[4:5], v[10:11], v[169:170]
	v_fma_f64 v[171:172], v[2:3], v[10:11], -v[12:13]
	ds_load_b128 v[2:5], v1 offset:992
	scratch_load_b128 v[10:13], off, off offset:304
	v_add_f64_e32 v[163:164], v[163:164], v[38:39]
	v_add_f64_e32 v[165:166], v[165:166], v[40:41]
	ds_load_b128 v[38:41], v1 offset:1008
	v_fma_f64 v[161:162], v[161:162], v[14:15], v[167:168]
	v_fma_f64 v[159:160], v[159:160], v[14:15], -v[16:17]
	scratch_load_b128 v[14:17], off, off offset:320
	s_wait_loadcnt_dscnt 0xa01
	v_mul_f64_e32 v[173:174], v[2:3], v[20:21]
	v_mul_f64_e32 v[20:21], v[4:5], v[20:21]
	s_wait_loadcnt_dscnt 0x900
	v_mul_f64_e32 v[167:168], v[38:39], v[24:25]
	v_mul_f64_e32 v[24:25], v[40:41], v[24:25]
	v_add_f64_e32 v[163:164], v[163:164], v[171:172]
	v_add_f64_e32 v[165:166], v[165:166], v[169:170]
	v_fma_f64 v[169:170], v[4:5], v[18:19], v[173:174]
	v_fma_f64 v[171:172], v[2:3], v[18:19], -v[20:21]
	ds_load_b128 v[2:5], v1 offset:1024
	scratch_load_b128 v[18:21], off, off offset:336
	v_fma_f64 v[40:41], v[40:41], v[22:23], v[167:168]
	v_fma_f64 v[38:39], v[38:39], v[22:23], -v[24:25]
	scratch_load_b128 v[22:25], off, off offset:352
	v_add_f64_e32 v[163:164], v[163:164], v[159:160]
	v_add_f64_e32 v[165:166], v[165:166], v[161:162]
	ds_load_b128 v[159:162], v1 offset:1040
	s_wait_loadcnt_dscnt 0xa01
	v_mul_f64_e32 v[173:174], v[2:3], v[28:29]
	v_mul_f64_e32 v[28:29], v[4:5], v[28:29]
	s_wait_loadcnt_dscnt 0x900
	v_mul_f64_e32 v[167:168], v[159:160], v[32:33]
	v_mul_f64_e32 v[32:33], v[161:162], v[32:33]
	v_add_f64_e32 v[163:164], v[163:164], v[171:172]
	v_add_f64_e32 v[165:166], v[165:166], v[169:170]
	v_fma_f64 v[169:170], v[4:5], v[26:27], v[173:174]
	v_fma_f64 v[171:172], v[2:3], v[26:27], -v[28:29]
	ds_load_b128 v[2:5], v1 offset:1056
	scratch_load_b128 v[26:29], off, off offset:368
	v_fma_f64 v[161:162], v[161:162], v[30:31], v[167:168]
	v_fma_f64 v[159:160], v[159:160], v[30:31], -v[32:33]
	scratch_load_b128 v[30:33], off, off offset:384
	v_add_f64_e32 v[163:164], v[163:164], v[38:39]
	v_add_f64_e32 v[165:166], v[165:166], v[40:41]
	ds_load_b128 v[38:41], v1 offset:1072
	s_wait_loadcnt_dscnt 0xa01
	v_mul_f64_e32 v[173:174], v[2:3], v[36:37]
	v_mul_f64_e32 v[36:37], v[4:5], v[36:37]
	s_wait_loadcnt_dscnt 0x800
	v_mul_f64_e32 v[167:168], v[38:39], v[157:158]
	v_add_f64_e32 v[163:164], v[163:164], v[171:172]
	v_add_f64_e32 v[165:166], v[165:166], v[169:170]
	v_mul_f64_e32 v[169:170], v[40:41], v[157:158]
	v_fma_f64 v[171:172], v[4:5], v[34:35], v[173:174]
	v_fma_f64 v[173:174], v[2:3], v[34:35], -v[36:37]
	ds_load_b128 v[2:5], v1 offset:1088
	scratch_load_b128 v[34:37], off, off offset:400
	v_fma_f64 v[167:168], v[40:41], v[155:156], v[167:168]
	v_add_f64_e32 v[163:164], v[163:164], v[159:160]
	v_add_f64_e32 v[161:162], v[165:166], v[161:162]
	ds_load_b128 v[157:160], v1 offset:1104
	v_fma_f64 v[155:156], v[38:39], v[155:156], -v[169:170]
	scratch_load_b128 v[38:41], off, off offset:416
	s_wait_loadcnt_dscnt 0x901
	v_mul_f64_e32 v[165:166], v[2:3], v[44:45]
	v_mul_f64_e32 v[44:45], v[4:5], v[44:45]
	s_wait_loadcnt_dscnt 0x800
	v_mul_f64_e32 v[169:170], v[157:158], v[8:9]
	v_mul_f64_e32 v[8:9], v[159:160], v[8:9]
	v_add_f64_e32 v[163:164], v[163:164], v[173:174]
	v_add_f64_e32 v[161:162], v[161:162], v[171:172]
	v_fma_f64 v[165:166], v[4:5], v[42:43], v[165:166]
	v_fma_f64 v[171:172], v[2:3], v[42:43], -v[44:45]
	ds_load_b128 v[2:5], v1 offset:1120
	scratch_load_b128 v[42:45], off, off offset:432
	v_fma_f64 v[159:160], v[159:160], v[6:7], v[169:170]
	v_fma_f64 v[157:158], v[157:158], v[6:7], -v[8:9]
	scratch_load_b128 v[6:9], off, off offset:448
	v_add_f64_e32 v[155:156], v[163:164], v[155:156]
	v_add_f64_e32 v[167:168], v[161:162], v[167:168]
	ds_load_b128 v[161:164], v1 offset:1136
	s_wait_loadcnt_dscnt 0x901
	v_mul_f64_e32 v[173:174], v[2:3], v[12:13]
	v_mul_f64_e32 v[12:13], v[4:5], v[12:13]
	v_add_f64_e32 v[155:156], v[155:156], v[171:172]
	v_add_f64_e32 v[165:166], v[167:168], v[165:166]
	s_wait_loadcnt_dscnt 0x800
	v_mul_f64_e32 v[167:168], v[161:162], v[16:17]
	v_mul_f64_e32 v[16:17], v[163:164], v[16:17]
	v_fma_f64 v[169:170], v[4:5], v[10:11], v[173:174]
	v_fma_f64 v[171:172], v[2:3], v[10:11], -v[12:13]
	ds_load_b128 v[2:5], v1 offset:1152
	scratch_load_b128 v[10:13], off, off offset:464
	v_add_f64_e32 v[173:174], v[155:156], v[157:158]
	v_add_f64_e32 v[159:160], v[165:166], v[159:160]
	ds_load_b128 v[155:158], v1 offset:1168
	s_wait_loadcnt_dscnt 0x801
	v_mul_f64_e32 v[165:166], v[2:3], v[20:21]
	v_mul_f64_e32 v[20:21], v[4:5], v[20:21]
	v_fma_f64 v[163:164], v[163:164], v[14:15], v[167:168]
	v_fma_f64 v[161:162], v[161:162], v[14:15], -v[16:17]
	scratch_load_b128 v[14:17], off, off offset:480
	v_add_f64_e32 v[167:168], v[173:174], v[171:172]
	v_add_f64_e32 v[159:160], v[159:160], v[169:170]
	s_wait_loadcnt_dscnt 0x800
	v_mul_f64_e32 v[169:170], v[155:156], v[24:25]
	v_mul_f64_e32 v[24:25], v[157:158], v[24:25]
	v_fma_f64 v[165:166], v[4:5], v[18:19], v[165:166]
	v_fma_f64 v[171:172], v[2:3], v[18:19], -v[20:21]
	ds_load_b128 v[2:5], v1 offset:1184
	scratch_load_b128 v[18:21], off, off offset:496
	v_add_f64_e32 v[167:168], v[167:168], v[161:162]
	v_add_f64_e32 v[163:164], v[159:160], v[163:164]
	ds_load_b128 v[159:162], v1 offset:1200
	s_wait_loadcnt_dscnt 0x801
	v_mul_f64_e32 v[173:174], v[2:3], v[28:29]
	v_mul_f64_e32 v[28:29], v[4:5], v[28:29]
	v_fma_f64 v[157:158], v[157:158], v[22:23], v[169:170]
	v_fma_f64 v[155:156], v[155:156], v[22:23], -v[24:25]
	scratch_load_b128 v[22:25], off, off offset:512
	;; [unrolled: 18-line block ×4, first 2 shown]
	s_wait_loadcnt_dscnt 0x800
	v_mul_f64_e32 v[167:168], v[159:160], v[8:9]
	v_mul_f64_e32 v[8:9], v[161:162], v[8:9]
	v_add_f64_e32 v[165:166], v[165:166], v[171:172]
	v_add_f64_e32 v[163:164], v[163:164], v[169:170]
	v_fma_f64 v[169:170], v[4:5], v[42:43], v[173:174]
	v_fma_f64 v[171:172], v[2:3], v[42:43], -v[44:45]
	ds_load_b128 v[2:5], v1 offset:1280
	scratch_load_b128 v[42:45], off, off offset:592
	v_fma_f64 v[161:162], v[161:162], v[6:7], v[167:168]
	v_fma_f64 v[159:160], v[159:160], v[6:7], -v[8:9]
	scratch_load_b128 v[6:9], off, off offset:608
	v_add_f64_e32 v[165:166], v[165:166], v[155:156]
	v_add_f64_e32 v[163:164], v[163:164], v[157:158]
	ds_load_b128 v[155:158], v1 offset:1296
	s_wait_loadcnt_dscnt 0x901
	v_mul_f64_e32 v[173:174], v[2:3], v[12:13]
	v_mul_f64_e32 v[12:13], v[4:5], v[12:13]
	s_wait_loadcnt_dscnt 0x800
	v_mul_f64_e32 v[167:168], v[155:156], v[16:17]
	v_mul_f64_e32 v[16:17], v[157:158], v[16:17]
	v_add_f64_e32 v[165:166], v[165:166], v[171:172]
	v_add_f64_e32 v[163:164], v[163:164], v[169:170]
	v_fma_f64 v[169:170], v[4:5], v[10:11], v[173:174]
	v_fma_f64 v[171:172], v[2:3], v[10:11], -v[12:13]
	ds_load_b128 v[2:5], v1 offset:1312
	scratch_load_b128 v[10:13], off, off offset:624
	v_fma_f64 v[157:158], v[157:158], v[14:15], v[167:168]
	v_fma_f64 v[155:156], v[155:156], v[14:15], -v[16:17]
	scratch_load_b128 v[14:17], off, off offset:640
	v_add_f64_e32 v[165:166], v[165:166], v[159:160]
	v_add_f64_e32 v[163:164], v[163:164], v[161:162]
	ds_load_b128 v[159:162], v1 offset:1328
	s_wait_loadcnt_dscnt 0x901
	v_mul_f64_e32 v[173:174], v[2:3], v[20:21]
	v_mul_f64_e32 v[20:21], v[4:5], v[20:21]
	;; [unrolled: 18-line block ×8, first 2 shown]
	s_wait_loadcnt_dscnt 0x800
	v_mul_f64_e32 v[167:168], v[159:160], v[32:33]
	v_mul_f64_e32 v[32:33], v[161:162], v[32:33]
	v_add_f64_e32 v[165:166], v[165:166], v[171:172]
	v_add_f64_e32 v[163:164], v[163:164], v[169:170]
	v_fma_f64 v[169:170], v[4:5], v[26:27], v[173:174]
	v_fma_f64 v[171:172], v[2:3], v[26:27], -v[28:29]
	ds_load_b128 v[2:5], v1 offset:1536
	ds_load_b128 v[26:29], v1 offset:1552
	v_fma_f64 v[161:162], v[161:162], v[30:31], v[167:168]
	v_fma_f64 v[30:31], v[159:160], v[30:31], -v[32:33]
	v_add_f64_e32 v[155:156], v[165:166], v[155:156]
	v_add_f64_e32 v[157:158], v[163:164], v[157:158]
	s_wait_loadcnt_dscnt 0x701
	v_mul_f64_e32 v[163:164], v[2:3], v[36:37]
	v_mul_f64_e32 v[36:37], v[4:5], v[36:37]
	s_delay_alu instid0(VALU_DEP_4) | instskip(NEXT) | instid1(VALU_DEP_4)
	v_add_f64_e32 v[32:33], v[155:156], v[171:172]
	v_add_f64_e32 v[155:156], v[157:158], v[169:170]
	s_wait_loadcnt_dscnt 0x600
	v_mul_f64_e32 v[157:158], v[26:27], v[40:41]
	v_mul_f64_e32 v[40:41], v[28:29], v[40:41]
	v_fma_f64 v[159:160], v[4:5], v[34:35], v[163:164]
	v_fma_f64 v[34:35], v[2:3], v[34:35], -v[36:37]
	v_add_f64_e32 v[36:37], v[32:33], v[30:31]
	v_add_f64_e32 v[155:156], v[155:156], v[161:162]
	ds_load_b128 v[2:5], v1 offset:1568
	ds_load_b128 v[30:33], v1 offset:1584
	v_fma_f64 v[28:29], v[28:29], v[38:39], v[157:158]
	v_fma_f64 v[26:27], v[26:27], v[38:39], -v[40:41]
	s_wait_loadcnt_dscnt 0x501
	v_mul_f64_e32 v[161:162], v[2:3], v[44:45]
	v_mul_f64_e32 v[44:45], v[4:5], v[44:45]
	s_wait_loadcnt_dscnt 0x400
	v_mul_f64_e32 v[38:39], v[30:31], v[8:9]
	v_mul_f64_e32 v[8:9], v[32:33], v[8:9]
	v_add_f64_e32 v[34:35], v[36:37], v[34:35]
	v_add_f64_e32 v[36:37], v[155:156], v[159:160]
	v_fma_f64 v[40:41], v[4:5], v[42:43], v[161:162]
	v_fma_f64 v[42:43], v[2:3], v[42:43], -v[44:45]
	v_fma_f64 v[32:33], v[32:33], v[6:7], v[38:39]
	v_fma_f64 v[6:7], v[30:31], v[6:7], -v[8:9]
	v_add_f64_e32 v[34:35], v[34:35], v[26:27]
	v_add_f64_e32 v[36:37], v[36:37], v[28:29]
	ds_load_b128 v[2:5], v1 offset:1600
	ds_load_b128 v[26:29], v1 offset:1616
	s_wait_loadcnt_dscnt 0x301
	v_mul_f64_e32 v[44:45], v[2:3], v[12:13]
	v_mul_f64_e32 v[12:13], v[4:5], v[12:13]
	v_add_f64_e32 v[8:9], v[34:35], v[42:43]
	v_add_f64_e32 v[30:31], v[36:37], v[40:41]
	s_wait_loadcnt_dscnt 0x200
	v_mul_f64_e32 v[34:35], v[26:27], v[16:17]
	v_mul_f64_e32 v[16:17], v[28:29], v[16:17]
	v_fma_f64 v[36:37], v[4:5], v[10:11], v[44:45]
	v_fma_f64 v[10:11], v[2:3], v[10:11], -v[12:13]
	v_add_f64_e32 v[12:13], v[8:9], v[6:7]
	v_add_f64_e32 v[30:31], v[30:31], v[32:33]
	ds_load_b128 v[2:5], v1 offset:1632
	ds_load_b128 v[6:9], v1 offset:1648
	v_fma_f64 v[28:29], v[28:29], v[14:15], v[34:35]
	v_fma_f64 v[14:15], v[26:27], v[14:15], -v[16:17]
	s_wait_loadcnt_dscnt 0x101
	v_mul_f64_e32 v[32:33], v[2:3], v[20:21]
	v_mul_f64_e32 v[20:21], v[4:5], v[20:21]
	s_wait_loadcnt_dscnt 0x0
	v_mul_f64_e32 v[16:17], v[6:7], v[24:25]
	v_mul_f64_e32 v[24:25], v[8:9], v[24:25]
	v_add_f64_e32 v[10:11], v[12:13], v[10:11]
	v_add_f64_e32 v[12:13], v[30:31], v[36:37]
	v_fma_f64 v[4:5], v[4:5], v[18:19], v[32:33]
	v_fma_f64 v[1:2], v[2:3], v[18:19], -v[20:21]
	v_fma_f64 v[8:9], v[8:9], v[22:23], v[16:17]
	v_fma_f64 v[6:7], v[6:7], v[22:23], -v[24:25]
	v_add_f64_e32 v[10:11], v[10:11], v[14:15]
	v_add_f64_e32 v[12:13], v[12:13], v[28:29]
	s_delay_alu instid0(VALU_DEP_2) | instskip(NEXT) | instid1(VALU_DEP_2)
	v_add_f64_e32 v[1:2], v[10:11], v[1:2]
	v_add_f64_e32 v[3:4], v[12:13], v[4:5]
	s_delay_alu instid0(VALU_DEP_2) | instskip(NEXT) | instid1(VALU_DEP_2)
	v_add_f64_e32 v[1:2], v[1:2], v[6:7]
	v_add_f64_e32 v[3:4], v[3:4], v[8:9]
	s_delay_alu instid0(VALU_DEP_2) | instskip(NEXT) | instid1(VALU_DEP_2)
	v_add_f64_e64 v[1:2], v[151:152], -v[1:2]
	v_add_f64_e64 v[3:4], v[153:154], -v[3:4]
	scratch_store_b128 off, v[1:4], off offset:96
	v_cmpx_lt_u32_e32 4, v0
	s_cbranch_execz .LBB51_317
; %bb.316:
	scratch_load_b128 v[1:4], off, s41
	v_mov_b32_e32 v5, 0
	s_delay_alu instid0(VALU_DEP_1)
	v_dual_mov_b32 v6, v5 :: v_dual_mov_b32 v7, v5
	v_mov_b32_e32 v8, v5
	scratch_store_b128 off, v[5:8], off offset:80
	s_wait_loadcnt 0x0
	ds_store_b128 v150, v[1:4]
.LBB51_317:
	s_wait_alu 0xfffe
	s_or_b32 exec_lo, exec_lo, s0
	s_wait_storecnt_dscnt 0x0
	s_barrier_signal -1
	s_barrier_wait -1
	global_inv scope:SCOPE_SE
	s_clause 0x7
	scratch_load_b128 v[2:5], off, off offset:96
	scratch_load_b128 v[6:9], off, off offset:112
	;; [unrolled: 1-line block ×8, first 2 shown]
	v_mov_b32_e32 v1, 0
	s_mov_b32 s0, exec_lo
	ds_load_b128 v[38:41], v1 offset:912
	s_clause 0x1
	scratch_load_b128 v[34:37], off, off offset:224
	scratch_load_b128 v[42:45], off, off offset:80
	ds_load_b128 v[151:154], v1 offset:928
	scratch_load_b128 v[155:158], off, off offset:240
	s_wait_loadcnt_dscnt 0xa01
	v_mul_f64_e32 v[159:160], v[40:41], v[4:5]
	v_mul_f64_e32 v[4:5], v[38:39], v[4:5]
	s_delay_alu instid0(VALU_DEP_2) | instskip(NEXT) | instid1(VALU_DEP_2)
	v_fma_f64 v[165:166], v[38:39], v[2:3], -v[159:160]
	v_fma_f64 v[167:168], v[40:41], v[2:3], v[4:5]
	ds_load_b128 v[2:5], v1 offset:944
	s_wait_loadcnt_dscnt 0x901
	v_mul_f64_e32 v[163:164], v[151:152], v[8:9]
	v_mul_f64_e32 v[8:9], v[153:154], v[8:9]
	scratch_load_b128 v[38:41], off, off offset:256
	ds_load_b128 v[159:162], v1 offset:960
	s_wait_loadcnt_dscnt 0x901
	v_mul_f64_e32 v[169:170], v[2:3], v[12:13]
	v_mul_f64_e32 v[12:13], v[4:5], v[12:13]
	v_fma_f64 v[153:154], v[153:154], v[6:7], v[163:164]
	v_fma_f64 v[151:152], v[151:152], v[6:7], -v[8:9]
	v_add_f64_e32 v[163:164], 0, v[165:166]
	v_add_f64_e32 v[165:166], 0, v[167:168]
	scratch_load_b128 v[6:9], off, off offset:272
	v_fma_f64 v[169:170], v[4:5], v[10:11], v[169:170]
	v_fma_f64 v[171:172], v[2:3], v[10:11], -v[12:13]
	ds_load_b128 v[2:5], v1 offset:976
	s_wait_loadcnt_dscnt 0x901
	v_mul_f64_e32 v[167:168], v[159:160], v[16:17]
	v_mul_f64_e32 v[16:17], v[161:162], v[16:17]
	scratch_load_b128 v[10:13], off, off offset:288
	v_add_f64_e32 v[163:164], v[163:164], v[151:152]
	v_add_f64_e32 v[165:166], v[165:166], v[153:154]
	s_wait_loadcnt_dscnt 0x900
	v_mul_f64_e32 v[173:174], v[2:3], v[20:21]
	v_mul_f64_e32 v[20:21], v[4:5], v[20:21]
	ds_load_b128 v[151:154], v1 offset:992
	v_fma_f64 v[161:162], v[161:162], v[14:15], v[167:168]
	v_fma_f64 v[159:160], v[159:160], v[14:15], -v[16:17]
	scratch_load_b128 v[14:17], off, off offset:304
	v_add_f64_e32 v[163:164], v[163:164], v[171:172]
	v_add_f64_e32 v[165:166], v[165:166], v[169:170]
	v_fma_f64 v[169:170], v[4:5], v[18:19], v[173:174]
	v_fma_f64 v[171:172], v[2:3], v[18:19], -v[20:21]
	ds_load_b128 v[2:5], v1 offset:1008
	s_wait_loadcnt_dscnt 0x901
	v_mul_f64_e32 v[167:168], v[151:152], v[24:25]
	v_mul_f64_e32 v[24:25], v[153:154], v[24:25]
	scratch_load_b128 v[18:21], off, off offset:320
	s_wait_loadcnt_dscnt 0x900
	v_mul_f64_e32 v[173:174], v[2:3], v[28:29]
	v_mul_f64_e32 v[28:29], v[4:5], v[28:29]
	v_add_f64_e32 v[163:164], v[163:164], v[159:160]
	v_add_f64_e32 v[165:166], v[165:166], v[161:162]
	ds_load_b128 v[159:162], v1 offset:1024
	v_fma_f64 v[153:154], v[153:154], v[22:23], v[167:168]
	v_fma_f64 v[151:152], v[151:152], v[22:23], -v[24:25]
	scratch_load_b128 v[22:25], off, off offset:336
	v_add_f64_e32 v[163:164], v[163:164], v[171:172]
	v_add_f64_e32 v[165:166], v[165:166], v[169:170]
	v_fma_f64 v[169:170], v[4:5], v[26:27], v[173:174]
	v_fma_f64 v[171:172], v[2:3], v[26:27], -v[28:29]
	ds_load_b128 v[2:5], v1 offset:1040
	s_wait_loadcnt_dscnt 0x901
	v_mul_f64_e32 v[167:168], v[159:160], v[32:33]
	v_mul_f64_e32 v[32:33], v[161:162], v[32:33]
	scratch_load_b128 v[26:29], off, off offset:352
	s_wait_loadcnt_dscnt 0x900
	v_mul_f64_e32 v[173:174], v[2:3], v[36:37]
	v_mul_f64_e32 v[36:37], v[4:5], v[36:37]
	v_add_f64_e32 v[163:164], v[163:164], v[151:152]
	v_add_f64_e32 v[165:166], v[165:166], v[153:154]
	ds_load_b128 v[151:154], v1 offset:1056
	v_fma_f64 v[161:162], v[161:162], v[30:31], v[167:168]
	v_fma_f64 v[159:160], v[159:160], v[30:31], -v[32:33]
	scratch_load_b128 v[30:33], off, off offset:368
	v_add_f64_e32 v[163:164], v[163:164], v[171:172]
	v_add_f64_e32 v[165:166], v[165:166], v[169:170]
	v_fma_f64 v[171:172], v[4:5], v[34:35], v[173:174]
	v_fma_f64 v[173:174], v[2:3], v[34:35], -v[36:37]
	ds_load_b128 v[2:5], v1 offset:1072
	s_wait_loadcnt_dscnt 0x801
	v_mul_f64_e32 v[167:168], v[151:152], v[157:158]
	v_mul_f64_e32 v[169:170], v[153:154], v[157:158]
	scratch_load_b128 v[34:37], off, off offset:384
	v_add_f64_e32 v[163:164], v[163:164], v[159:160]
	v_add_f64_e32 v[161:162], v[165:166], v[161:162]
	ds_load_b128 v[157:160], v1 offset:1088
	v_fma_f64 v[167:168], v[153:154], v[155:156], v[167:168]
	v_fma_f64 v[155:156], v[151:152], v[155:156], -v[169:170]
	scratch_load_b128 v[151:154], off, off offset:400
	s_wait_loadcnt_dscnt 0x901
	v_mul_f64_e32 v[165:166], v[2:3], v[40:41]
	v_mul_f64_e32 v[40:41], v[4:5], v[40:41]
	v_add_f64_e32 v[163:164], v[163:164], v[173:174]
	v_add_f64_e32 v[161:162], v[161:162], v[171:172]
	s_delay_alu instid0(VALU_DEP_4) | instskip(NEXT) | instid1(VALU_DEP_4)
	v_fma_f64 v[165:166], v[4:5], v[38:39], v[165:166]
	v_fma_f64 v[171:172], v[2:3], v[38:39], -v[40:41]
	ds_load_b128 v[2:5], v1 offset:1104
	s_wait_loadcnt_dscnt 0x801
	v_mul_f64_e32 v[169:170], v[157:158], v[8:9]
	v_mul_f64_e32 v[8:9], v[159:160], v[8:9]
	scratch_load_b128 v[38:41], off, off offset:416
	s_wait_loadcnt_dscnt 0x800
	v_mul_f64_e32 v[173:174], v[2:3], v[12:13]
	v_add_f64_e32 v[155:156], v[163:164], v[155:156]
	v_add_f64_e32 v[167:168], v[161:162], v[167:168]
	v_mul_f64_e32 v[12:13], v[4:5], v[12:13]
	ds_load_b128 v[161:164], v1 offset:1120
	v_fma_f64 v[159:160], v[159:160], v[6:7], v[169:170]
	v_fma_f64 v[157:158], v[157:158], v[6:7], -v[8:9]
	scratch_load_b128 v[6:9], off, off offset:432
	v_fma_f64 v[169:170], v[4:5], v[10:11], v[173:174]
	v_add_f64_e32 v[155:156], v[155:156], v[171:172]
	v_add_f64_e32 v[165:166], v[167:168], v[165:166]
	v_fma_f64 v[171:172], v[2:3], v[10:11], -v[12:13]
	ds_load_b128 v[2:5], v1 offset:1136
	s_wait_loadcnt_dscnt 0x801
	v_mul_f64_e32 v[167:168], v[161:162], v[16:17]
	v_mul_f64_e32 v[16:17], v[163:164], v[16:17]
	scratch_load_b128 v[10:13], off, off offset:448
	v_add_f64_e32 v[173:174], v[155:156], v[157:158]
	v_add_f64_e32 v[159:160], v[165:166], v[159:160]
	s_wait_loadcnt_dscnt 0x800
	v_mul_f64_e32 v[165:166], v[2:3], v[20:21]
	v_mul_f64_e32 v[20:21], v[4:5], v[20:21]
	v_fma_f64 v[163:164], v[163:164], v[14:15], v[167:168]
	v_fma_f64 v[161:162], v[161:162], v[14:15], -v[16:17]
	ds_load_b128 v[155:158], v1 offset:1152
	scratch_load_b128 v[14:17], off, off offset:464
	v_add_f64_e32 v[167:168], v[173:174], v[171:172]
	v_add_f64_e32 v[159:160], v[159:160], v[169:170]
	v_fma_f64 v[165:166], v[4:5], v[18:19], v[165:166]
	v_fma_f64 v[171:172], v[2:3], v[18:19], -v[20:21]
	ds_load_b128 v[2:5], v1 offset:1168
	s_wait_loadcnt_dscnt 0x801
	v_mul_f64_e32 v[169:170], v[155:156], v[24:25]
	v_mul_f64_e32 v[24:25], v[157:158], v[24:25]
	scratch_load_b128 v[18:21], off, off offset:480
	s_wait_loadcnt_dscnt 0x800
	v_mul_f64_e32 v[173:174], v[2:3], v[28:29]
	v_mul_f64_e32 v[28:29], v[4:5], v[28:29]
	v_add_f64_e32 v[167:168], v[167:168], v[161:162]
	v_add_f64_e32 v[163:164], v[159:160], v[163:164]
	ds_load_b128 v[159:162], v1 offset:1184
	v_fma_f64 v[157:158], v[157:158], v[22:23], v[169:170]
	v_fma_f64 v[155:156], v[155:156], v[22:23], -v[24:25]
	scratch_load_b128 v[22:25], off, off offset:496
	v_fma_f64 v[169:170], v[4:5], v[26:27], v[173:174]
	v_add_f64_e32 v[167:168], v[167:168], v[171:172]
	v_add_f64_e32 v[163:164], v[163:164], v[165:166]
	v_fma_f64 v[171:172], v[2:3], v[26:27], -v[28:29]
	ds_load_b128 v[2:5], v1 offset:1200
	s_wait_loadcnt_dscnt 0x801
	v_mul_f64_e32 v[165:166], v[159:160], v[32:33]
	v_mul_f64_e32 v[32:33], v[161:162], v[32:33]
	scratch_load_b128 v[26:29], off, off offset:512
	s_wait_loadcnt_dscnt 0x800
	v_mul_f64_e32 v[173:174], v[2:3], v[36:37]
	v_mul_f64_e32 v[36:37], v[4:5], v[36:37]
	v_add_f64_e32 v[167:168], v[167:168], v[155:156]
	v_add_f64_e32 v[163:164], v[163:164], v[157:158]
	ds_load_b128 v[155:158], v1 offset:1216
	v_fma_f64 v[161:162], v[161:162], v[30:31], v[165:166]
	v_fma_f64 v[159:160], v[159:160], v[30:31], -v[32:33]
	scratch_load_b128 v[30:33], off, off offset:528
	v_add_f64_e32 v[165:166], v[167:168], v[171:172]
	v_add_f64_e32 v[163:164], v[163:164], v[169:170]
	v_fma_f64 v[169:170], v[4:5], v[34:35], v[173:174]
	v_fma_f64 v[171:172], v[2:3], v[34:35], -v[36:37]
	ds_load_b128 v[2:5], v1 offset:1232
	s_wait_loadcnt_dscnt 0x801
	v_mul_f64_e32 v[167:168], v[155:156], v[153:154]
	v_mul_f64_e32 v[153:154], v[157:158], v[153:154]
	scratch_load_b128 v[34:37], off, off offset:544
	s_wait_loadcnt_dscnt 0x800
	v_mul_f64_e32 v[173:174], v[2:3], v[40:41]
	v_mul_f64_e32 v[40:41], v[4:5], v[40:41]
	v_add_f64_e32 v[165:166], v[165:166], v[159:160]
	v_add_f64_e32 v[163:164], v[163:164], v[161:162]
	ds_load_b128 v[159:162], v1 offset:1248
	v_fma_f64 v[157:158], v[157:158], v[151:152], v[167:168]
	v_fma_f64 v[155:156], v[155:156], v[151:152], -v[153:154]
	scratch_load_b128 v[151:154], off, off offset:560
	v_add_f64_e32 v[165:166], v[165:166], v[171:172]
	v_add_f64_e32 v[163:164], v[163:164], v[169:170]
	v_fma_f64 v[169:170], v[4:5], v[38:39], v[173:174]
	;; [unrolled: 18-line block ×6, first 2 shown]
	v_fma_f64 v[173:174], v[2:3], v[34:35], -v[36:37]
	ds_load_b128 v[2:5], v1 offset:1392
	s_wait_loadcnt_dscnt 0x801
	v_mul_f64_e32 v[167:168], v[159:160], v[153:154]
	v_mul_f64_e32 v[169:170], v[161:162], v[153:154]
	scratch_load_b128 v[34:37], off, off offset:704
	v_add_f64_e32 v[165:166], v[165:166], v[155:156]
	v_add_f64_e32 v[157:158], v[163:164], v[157:158]
	s_wait_loadcnt_dscnt 0x800
	v_mul_f64_e32 v[163:164], v[2:3], v[40:41]
	v_mul_f64_e32 v[40:41], v[4:5], v[40:41]
	ds_load_b128 v[153:156], v1 offset:1408
	v_fma_f64 v[161:162], v[161:162], v[151:152], v[167:168]
	v_fma_f64 v[151:152], v[159:160], v[151:152], -v[169:170]
	v_add_f64_e32 v[165:166], v[165:166], v[173:174]
	v_add_f64_e32 v[167:168], v[157:158], v[171:172]
	scratch_load_b128 v[157:160], off, off offset:720
	v_fma_f64 v[171:172], v[4:5], v[38:39], v[163:164]
	v_fma_f64 v[173:174], v[2:3], v[38:39], -v[40:41]
	ds_load_b128 v[2:5], v1 offset:1424
	s_wait_loadcnt_dscnt 0x801
	v_mul_f64_e32 v[169:170], v[153:154], v[8:9]
	v_mul_f64_e32 v[8:9], v[155:156], v[8:9]
	scratch_load_b128 v[38:41], off, off offset:736
	v_add_f64_e32 v[151:152], v[165:166], v[151:152]
	v_add_f64_e32 v[165:166], v[167:168], v[161:162]
	s_wait_loadcnt_dscnt 0x800
	v_mul_f64_e32 v[167:168], v[2:3], v[12:13]
	v_mul_f64_e32 v[12:13], v[4:5], v[12:13]
	ds_load_b128 v[161:164], v1 offset:1440
	v_fma_f64 v[155:156], v[155:156], v[6:7], v[169:170]
	v_fma_f64 v[153:154], v[153:154], v[6:7], -v[8:9]
	scratch_load_b128 v[6:9], off, off offset:752
	v_add_f64_e32 v[151:152], v[151:152], v[173:174]
	v_add_f64_e32 v[165:166], v[165:166], v[171:172]
	v_fma_f64 v[167:168], v[4:5], v[10:11], v[167:168]
	v_fma_f64 v[171:172], v[2:3], v[10:11], -v[12:13]
	ds_load_b128 v[2:5], v1 offset:1456
	s_wait_loadcnt_dscnt 0x801
	v_mul_f64_e32 v[169:170], v[161:162], v[16:17]
	v_mul_f64_e32 v[16:17], v[163:164], v[16:17]
	scratch_load_b128 v[10:13], off, off offset:768
	v_add_f64_e32 v[173:174], v[151:152], v[153:154]
	v_add_f64_e32 v[155:156], v[165:166], v[155:156]
	s_wait_loadcnt_dscnt 0x800
	v_mul_f64_e32 v[165:166], v[2:3], v[20:21]
	v_mul_f64_e32 v[20:21], v[4:5], v[20:21]
	ds_load_b128 v[151:154], v1 offset:1472
	v_fma_f64 v[163:164], v[163:164], v[14:15], v[169:170]
	v_fma_f64 v[161:162], v[161:162], v[14:15], -v[16:17]
	scratch_load_b128 v[14:17], off, off offset:784
	v_add_f64_e32 v[169:170], v[173:174], v[171:172]
	v_add_f64_e32 v[155:156], v[155:156], v[167:168]
	v_fma_f64 v[165:166], v[4:5], v[18:19], v[165:166]
	v_fma_f64 v[171:172], v[2:3], v[18:19], -v[20:21]
	ds_load_b128 v[2:5], v1 offset:1488
	s_wait_loadcnt_dscnt 0x801
	v_mul_f64_e32 v[167:168], v[151:152], v[24:25]
	v_mul_f64_e32 v[24:25], v[153:154], v[24:25]
	scratch_load_b128 v[18:21], off, off offset:800
	s_wait_loadcnt_dscnt 0x800
	v_mul_f64_e32 v[173:174], v[2:3], v[28:29]
	v_mul_f64_e32 v[28:29], v[4:5], v[28:29]
	v_add_f64_e32 v[169:170], v[169:170], v[161:162]
	v_add_f64_e32 v[155:156], v[155:156], v[163:164]
	ds_load_b128 v[161:164], v1 offset:1504
	v_fma_f64 v[153:154], v[153:154], v[22:23], v[167:168]
	v_fma_f64 v[151:152], v[151:152], v[22:23], -v[24:25]
	scratch_load_b128 v[22:25], off, off offset:816
	v_add_f64_e32 v[167:168], v[169:170], v[171:172]
	v_add_f64_e32 v[155:156], v[155:156], v[165:166]
	v_fma_f64 v[169:170], v[4:5], v[26:27], v[173:174]
	v_fma_f64 v[171:172], v[2:3], v[26:27], -v[28:29]
	ds_load_b128 v[2:5], v1 offset:1520
	s_wait_loadcnt_dscnt 0x801
	v_mul_f64_e32 v[165:166], v[161:162], v[32:33]
	v_mul_f64_e32 v[32:33], v[163:164], v[32:33]
	scratch_load_b128 v[26:29], off, off offset:832
	s_wait_loadcnt_dscnt 0x800
	v_mul_f64_e32 v[173:174], v[2:3], v[36:37]
	v_mul_f64_e32 v[36:37], v[4:5], v[36:37]
	v_add_f64_e32 v[167:168], v[167:168], v[151:152]
	v_add_f64_e32 v[155:156], v[155:156], v[153:154]
	ds_load_b128 v[151:154], v1 offset:1536
	v_fma_f64 v[163:164], v[163:164], v[30:31], v[165:166]
	v_fma_f64 v[30:31], v[161:162], v[30:31], -v[32:33]
	v_fma_f64 v[165:166], v[4:5], v[34:35], v[173:174]
	v_fma_f64 v[34:35], v[2:3], v[34:35], -v[36:37]
	v_add_f64_e32 v[32:33], v[167:168], v[171:172]
	v_add_f64_e32 v[155:156], v[155:156], v[169:170]
	s_wait_loadcnt_dscnt 0x700
	v_mul_f64_e32 v[161:162], v[151:152], v[159:160]
	v_mul_f64_e32 v[159:160], v[153:154], v[159:160]
	s_delay_alu instid0(VALU_DEP_4) | instskip(NEXT) | instid1(VALU_DEP_4)
	v_add_f64_e32 v[36:37], v[32:33], v[30:31]
	v_add_f64_e32 v[155:156], v[155:156], v[163:164]
	ds_load_b128 v[2:5], v1 offset:1552
	ds_load_b128 v[30:33], v1 offset:1568
	v_fma_f64 v[153:154], v[153:154], v[157:158], v[161:162]
	v_fma_f64 v[151:152], v[151:152], v[157:158], -v[159:160]
	s_wait_loadcnt_dscnt 0x601
	v_mul_f64_e32 v[163:164], v[2:3], v[40:41]
	v_mul_f64_e32 v[40:41], v[4:5], v[40:41]
	v_add_f64_e32 v[34:35], v[36:37], v[34:35]
	v_add_f64_e32 v[36:37], v[155:156], v[165:166]
	s_wait_loadcnt_dscnt 0x500
	v_mul_f64_e32 v[155:156], v[30:31], v[8:9]
	v_mul_f64_e32 v[8:9], v[32:33], v[8:9]
	v_fma_f64 v[157:158], v[4:5], v[38:39], v[163:164]
	v_fma_f64 v[38:39], v[2:3], v[38:39], -v[40:41]
	v_add_f64_e32 v[40:41], v[34:35], v[151:152]
	v_add_f64_e32 v[151:152], v[36:37], v[153:154]
	ds_load_b128 v[2:5], v1 offset:1584
	ds_load_b128 v[34:37], v1 offset:1600
	v_fma_f64 v[32:33], v[32:33], v[6:7], v[155:156]
	v_fma_f64 v[6:7], v[30:31], v[6:7], -v[8:9]
	s_wait_loadcnt_dscnt 0x401
	v_mul_f64_e32 v[153:154], v[2:3], v[12:13]
	v_mul_f64_e32 v[12:13], v[4:5], v[12:13]
	v_add_f64_e32 v[8:9], v[40:41], v[38:39]
	v_add_f64_e32 v[30:31], v[151:152], v[157:158]
	s_wait_loadcnt_dscnt 0x300
	v_mul_f64_e32 v[38:39], v[34:35], v[16:17]
	v_mul_f64_e32 v[16:17], v[36:37], v[16:17]
	v_fma_f64 v[40:41], v[4:5], v[10:11], v[153:154]
	v_fma_f64 v[10:11], v[2:3], v[10:11], -v[12:13]
	v_add_f64_e32 v[12:13], v[8:9], v[6:7]
	v_add_f64_e32 v[30:31], v[30:31], v[32:33]
	ds_load_b128 v[2:5], v1 offset:1616
	ds_load_b128 v[6:9], v1 offset:1632
	v_fma_f64 v[36:37], v[36:37], v[14:15], v[38:39]
	v_fma_f64 v[14:15], v[34:35], v[14:15], -v[16:17]
	s_wait_loadcnt_dscnt 0x201
	v_mul_f64_e32 v[32:33], v[2:3], v[20:21]
	v_mul_f64_e32 v[20:21], v[4:5], v[20:21]
	s_wait_loadcnt_dscnt 0x100
	v_mul_f64_e32 v[16:17], v[6:7], v[24:25]
	v_mul_f64_e32 v[24:25], v[8:9], v[24:25]
	v_add_f64_e32 v[10:11], v[12:13], v[10:11]
	v_add_f64_e32 v[12:13], v[30:31], v[40:41]
	v_fma_f64 v[30:31], v[4:5], v[18:19], v[32:33]
	v_fma_f64 v[18:19], v[2:3], v[18:19], -v[20:21]
	ds_load_b128 v[2:5], v1 offset:1648
	v_fma_f64 v[8:9], v[8:9], v[22:23], v[16:17]
	v_fma_f64 v[6:7], v[6:7], v[22:23], -v[24:25]
	v_add_f64_e32 v[10:11], v[10:11], v[14:15]
	v_add_f64_e32 v[12:13], v[12:13], v[36:37]
	s_wait_loadcnt_dscnt 0x0
	v_mul_f64_e32 v[14:15], v[2:3], v[28:29]
	v_mul_f64_e32 v[20:21], v[4:5], v[28:29]
	s_delay_alu instid0(VALU_DEP_4) | instskip(NEXT) | instid1(VALU_DEP_4)
	v_add_f64_e32 v[10:11], v[10:11], v[18:19]
	v_add_f64_e32 v[12:13], v[12:13], v[30:31]
	s_delay_alu instid0(VALU_DEP_4) | instskip(NEXT) | instid1(VALU_DEP_4)
	v_fma_f64 v[4:5], v[4:5], v[26:27], v[14:15]
	v_fma_f64 v[2:3], v[2:3], v[26:27], -v[20:21]
	s_delay_alu instid0(VALU_DEP_4) | instskip(NEXT) | instid1(VALU_DEP_4)
	v_add_f64_e32 v[6:7], v[10:11], v[6:7]
	v_add_f64_e32 v[8:9], v[12:13], v[8:9]
	s_delay_alu instid0(VALU_DEP_2) | instskip(NEXT) | instid1(VALU_DEP_2)
	v_add_f64_e32 v[2:3], v[6:7], v[2:3]
	v_add_f64_e32 v[4:5], v[8:9], v[4:5]
	s_delay_alu instid0(VALU_DEP_2) | instskip(NEXT) | instid1(VALU_DEP_2)
	v_add_f64_e64 v[2:3], v[42:43], -v[2:3]
	v_add_f64_e64 v[4:5], v[44:45], -v[4:5]
	scratch_store_b128 off, v[2:5], off offset:80
	v_cmpx_lt_u32_e32 3, v0
	s_cbranch_execz .LBB51_319
; %bb.318:
	scratch_load_b128 v[5:8], off, s42
	v_dual_mov_b32 v2, v1 :: v_dual_mov_b32 v3, v1
	v_mov_b32_e32 v4, v1
	scratch_store_b128 off, v[1:4], off offset:64
	s_wait_loadcnt 0x0
	ds_store_b128 v150, v[5:8]
.LBB51_319:
	s_wait_alu 0xfffe
	s_or_b32 exec_lo, exec_lo, s0
	s_wait_storecnt_dscnt 0x0
	s_barrier_signal -1
	s_barrier_wait -1
	global_inv scope:SCOPE_SE
	s_clause 0x8
	scratch_load_b128 v[2:5], off, off offset:80
	scratch_load_b128 v[6:9], off, off offset:96
	;; [unrolled: 1-line block ×9, first 2 shown]
	ds_load_b128 v[42:45], v1 offset:896
	ds_load_b128 v[38:41], v1 offset:912
	s_clause 0x1
	scratch_load_b128 v[151:154], off, off offset:64
	scratch_load_b128 v[155:158], off, off offset:224
	s_mov_b32 s0, exec_lo
	s_wait_loadcnt_dscnt 0xa01
	v_mul_f64_e32 v[159:160], v[44:45], v[4:5]
	v_mul_f64_e32 v[4:5], v[42:43], v[4:5]
	s_wait_loadcnt_dscnt 0x900
	v_mul_f64_e32 v[163:164], v[38:39], v[8:9]
	v_mul_f64_e32 v[8:9], v[40:41], v[8:9]
	s_delay_alu instid0(VALU_DEP_4) | instskip(NEXT) | instid1(VALU_DEP_4)
	v_fma_f64 v[165:166], v[42:43], v[2:3], -v[159:160]
	v_fma_f64 v[167:168], v[44:45], v[2:3], v[4:5]
	ds_load_b128 v[2:5], v1 offset:928
	ds_load_b128 v[159:162], v1 offset:944
	scratch_load_b128 v[42:45], off, off offset:240
	v_fma_f64 v[40:41], v[40:41], v[6:7], v[163:164]
	v_fma_f64 v[38:39], v[38:39], v[6:7], -v[8:9]
	scratch_load_b128 v[6:9], off, off offset:256
	s_wait_loadcnt_dscnt 0xa01
	v_mul_f64_e32 v[169:170], v[2:3], v[12:13]
	v_mul_f64_e32 v[12:13], v[4:5], v[12:13]
	v_add_f64_e32 v[163:164], 0, v[165:166]
	v_add_f64_e32 v[165:166], 0, v[167:168]
	s_wait_loadcnt_dscnt 0x900
	v_mul_f64_e32 v[167:168], v[159:160], v[16:17]
	v_mul_f64_e32 v[16:17], v[161:162], v[16:17]
	v_fma_f64 v[169:170], v[4:5], v[10:11], v[169:170]
	v_fma_f64 v[171:172], v[2:3], v[10:11], -v[12:13]
	ds_load_b128 v[2:5], v1 offset:960
	scratch_load_b128 v[10:13], off, off offset:272
	v_add_f64_e32 v[163:164], v[163:164], v[38:39]
	v_add_f64_e32 v[165:166], v[165:166], v[40:41]
	ds_load_b128 v[38:41], v1 offset:976
	v_fma_f64 v[161:162], v[161:162], v[14:15], v[167:168]
	v_fma_f64 v[159:160], v[159:160], v[14:15], -v[16:17]
	scratch_load_b128 v[14:17], off, off offset:288
	s_wait_loadcnt_dscnt 0xa01
	v_mul_f64_e32 v[173:174], v[2:3], v[20:21]
	v_mul_f64_e32 v[20:21], v[4:5], v[20:21]
	s_wait_loadcnt_dscnt 0x900
	v_mul_f64_e32 v[167:168], v[38:39], v[24:25]
	v_mul_f64_e32 v[24:25], v[40:41], v[24:25]
	v_add_f64_e32 v[163:164], v[163:164], v[171:172]
	v_add_f64_e32 v[165:166], v[165:166], v[169:170]
	v_fma_f64 v[169:170], v[4:5], v[18:19], v[173:174]
	v_fma_f64 v[171:172], v[2:3], v[18:19], -v[20:21]
	ds_load_b128 v[2:5], v1 offset:992
	scratch_load_b128 v[18:21], off, off offset:304
	v_fma_f64 v[40:41], v[40:41], v[22:23], v[167:168]
	v_fma_f64 v[38:39], v[38:39], v[22:23], -v[24:25]
	scratch_load_b128 v[22:25], off, off offset:320
	v_add_f64_e32 v[163:164], v[163:164], v[159:160]
	v_add_f64_e32 v[165:166], v[165:166], v[161:162]
	ds_load_b128 v[159:162], v1 offset:1008
	s_wait_loadcnt_dscnt 0xa01
	v_mul_f64_e32 v[173:174], v[2:3], v[28:29]
	v_mul_f64_e32 v[28:29], v[4:5], v[28:29]
	s_wait_loadcnt_dscnt 0x900
	v_mul_f64_e32 v[167:168], v[159:160], v[32:33]
	v_mul_f64_e32 v[32:33], v[161:162], v[32:33]
	v_add_f64_e32 v[163:164], v[163:164], v[171:172]
	v_add_f64_e32 v[165:166], v[165:166], v[169:170]
	v_fma_f64 v[169:170], v[4:5], v[26:27], v[173:174]
	v_fma_f64 v[171:172], v[2:3], v[26:27], -v[28:29]
	ds_load_b128 v[2:5], v1 offset:1024
	scratch_load_b128 v[26:29], off, off offset:336
	v_fma_f64 v[161:162], v[161:162], v[30:31], v[167:168]
	v_fma_f64 v[159:160], v[159:160], v[30:31], -v[32:33]
	scratch_load_b128 v[30:33], off, off offset:352
	v_add_f64_e32 v[163:164], v[163:164], v[38:39]
	v_add_f64_e32 v[165:166], v[165:166], v[40:41]
	ds_load_b128 v[38:41], v1 offset:1040
	s_wait_loadcnt_dscnt 0xa01
	v_mul_f64_e32 v[173:174], v[2:3], v[36:37]
	v_mul_f64_e32 v[36:37], v[4:5], v[36:37]
	s_wait_loadcnt_dscnt 0x800
	v_mul_f64_e32 v[167:168], v[38:39], v[157:158]
	v_add_f64_e32 v[163:164], v[163:164], v[171:172]
	v_add_f64_e32 v[165:166], v[165:166], v[169:170]
	v_mul_f64_e32 v[169:170], v[40:41], v[157:158]
	v_fma_f64 v[171:172], v[4:5], v[34:35], v[173:174]
	v_fma_f64 v[173:174], v[2:3], v[34:35], -v[36:37]
	ds_load_b128 v[2:5], v1 offset:1056
	scratch_load_b128 v[34:37], off, off offset:368
	v_fma_f64 v[167:168], v[40:41], v[155:156], v[167:168]
	v_add_f64_e32 v[163:164], v[163:164], v[159:160]
	v_add_f64_e32 v[161:162], v[165:166], v[161:162]
	ds_load_b128 v[157:160], v1 offset:1072
	v_fma_f64 v[155:156], v[38:39], v[155:156], -v[169:170]
	scratch_load_b128 v[38:41], off, off offset:384
	s_wait_loadcnt_dscnt 0x901
	v_mul_f64_e32 v[165:166], v[2:3], v[44:45]
	v_mul_f64_e32 v[44:45], v[4:5], v[44:45]
	s_wait_loadcnt_dscnt 0x800
	v_mul_f64_e32 v[169:170], v[157:158], v[8:9]
	v_mul_f64_e32 v[8:9], v[159:160], v[8:9]
	v_add_f64_e32 v[163:164], v[163:164], v[173:174]
	v_add_f64_e32 v[161:162], v[161:162], v[171:172]
	v_fma_f64 v[165:166], v[4:5], v[42:43], v[165:166]
	v_fma_f64 v[171:172], v[2:3], v[42:43], -v[44:45]
	ds_load_b128 v[2:5], v1 offset:1088
	scratch_load_b128 v[42:45], off, off offset:400
	v_fma_f64 v[159:160], v[159:160], v[6:7], v[169:170]
	v_fma_f64 v[157:158], v[157:158], v[6:7], -v[8:9]
	scratch_load_b128 v[6:9], off, off offset:416
	v_add_f64_e32 v[155:156], v[163:164], v[155:156]
	v_add_f64_e32 v[167:168], v[161:162], v[167:168]
	ds_load_b128 v[161:164], v1 offset:1104
	s_wait_loadcnt_dscnt 0x901
	v_mul_f64_e32 v[173:174], v[2:3], v[12:13]
	v_mul_f64_e32 v[12:13], v[4:5], v[12:13]
	v_add_f64_e32 v[155:156], v[155:156], v[171:172]
	v_add_f64_e32 v[165:166], v[167:168], v[165:166]
	s_wait_loadcnt_dscnt 0x800
	v_mul_f64_e32 v[167:168], v[161:162], v[16:17]
	v_mul_f64_e32 v[16:17], v[163:164], v[16:17]
	v_fma_f64 v[169:170], v[4:5], v[10:11], v[173:174]
	v_fma_f64 v[171:172], v[2:3], v[10:11], -v[12:13]
	ds_load_b128 v[2:5], v1 offset:1120
	scratch_load_b128 v[10:13], off, off offset:432
	v_add_f64_e32 v[173:174], v[155:156], v[157:158]
	v_add_f64_e32 v[159:160], v[165:166], v[159:160]
	ds_load_b128 v[155:158], v1 offset:1136
	s_wait_loadcnt_dscnt 0x801
	v_mul_f64_e32 v[165:166], v[2:3], v[20:21]
	v_mul_f64_e32 v[20:21], v[4:5], v[20:21]
	v_fma_f64 v[163:164], v[163:164], v[14:15], v[167:168]
	v_fma_f64 v[161:162], v[161:162], v[14:15], -v[16:17]
	scratch_load_b128 v[14:17], off, off offset:448
	v_add_f64_e32 v[167:168], v[173:174], v[171:172]
	v_add_f64_e32 v[159:160], v[159:160], v[169:170]
	s_wait_loadcnt_dscnt 0x800
	v_mul_f64_e32 v[169:170], v[155:156], v[24:25]
	v_mul_f64_e32 v[24:25], v[157:158], v[24:25]
	v_fma_f64 v[165:166], v[4:5], v[18:19], v[165:166]
	v_fma_f64 v[171:172], v[2:3], v[18:19], -v[20:21]
	ds_load_b128 v[2:5], v1 offset:1152
	scratch_load_b128 v[18:21], off, off offset:464
	v_add_f64_e32 v[167:168], v[167:168], v[161:162]
	v_add_f64_e32 v[163:164], v[159:160], v[163:164]
	ds_load_b128 v[159:162], v1 offset:1168
	s_wait_loadcnt_dscnt 0x801
	v_mul_f64_e32 v[173:174], v[2:3], v[28:29]
	v_mul_f64_e32 v[28:29], v[4:5], v[28:29]
	v_fma_f64 v[157:158], v[157:158], v[22:23], v[169:170]
	v_fma_f64 v[155:156], v[155:156], v[22:23], -v[24:25]
	scratch_load_b128 v[22:25], off, off offset:480
	;; [unrolled: 18-line block ×4, first 2 shown]
	s_wait_loadcnt_dscnt 0x800
	v_mul_f64_e32 v[167:168], v[159:160], v[8:9]
	v_mul_f64_e32 v[8:9], v[161:162], v[8:9]
	v_add_f64_e32 v[165:166], v[165:166], v[171:172]
	v_add_f64_e32 v[163:164], v[163:164], v[169:170]
	v_fma_f64 v[169:170], v[4:5], v[42:43], v[173:174]
	v_fma_f64 v[171:172], v[2:3], v[42:43], -v[44:45]
	ds_load_b128 v[2:5], v1 offset:1248
	scratch_load_b128 v[42:45], off, off offset:560
	v_fma_f64 v[161:162], v[161:162], v[6:7], v[167:168]
	v_fma_f64 v[159:160], v[159:160], v[6:7], -v[8:9]
	scratch_load_b128 v[6:9], off, off offset:576
	v_add_f64_e32 v[165:166], v[165:166], v[155:156]
	v_add_f64_e32 v[163:164], v[163:164], v[157:158]
	ds_load_b128 v[155:158], v1 offset:1264
	s_wait_loadcnt_dscnt 0x901
	v_mul_f64_e32 v[173:174], v[2:3], v[12:13]
	v_mul_f64_e32 v[12:13], v[4:5], v[12:13]
	s_wait_loadcnt_dscnt 0x800
	v_mul_f64_e32 v[167:168], v[155:156], v[16:17]
	v_mul_f64_e32 v[16:17], v[157:158], v[16:17]
	v_add_f64_e32 v[165:166], v[165:166], v[171:172]
	v_add_f64_e32 v[163:164], v[163:164], v[169:170]
	v_fma_f64 v[169:170], v[4:5], v[10:11], v[173:174]
	v_fma_f64 v[171:172], v[2:3], v[10:11], -v[12:13]
	ds_load_b128 v[2:5], v1 offset:1280
	scratch_load_b128 v[10:13], off, off offset:592
	v_fma_f64 v[157:158], v[157:158], v[14:15], v[167:168]
	v_fma_f64 v[155:156], v[155:156], v[14:15], -v[16:17]
	scratch_load_b128 v[14:17], off, off offset:608
	v_add_f64_e32 v[165:166], v[165:166], v[159:160]
	v_add_f64_e32 v[163:164], v[163:164], v[161:162]
	ds_load_b128 v[159:162], v1 offset:1296
	s_wait_loadcnt_dscnt 0x901
	v_mul_f64_e32 v[173:174], v[2:3], v[20:21]
	v_mul_f64_e32 v[20:21], v[4:5], v[20:21]
	;; [unrolled: 18-line block ×9, first 2 shown]
	s_wait_loadcnt_dscnt 0x800
	v_mul_f64_e32 v[167:168], v[155:156], v[40:41]
	v_mul_f64_e32 v[40:41], v[157:158], v[40:41]
	v_add_f64_e32 v[165:166], v[165:166], v[171:172]
	v_add_f64_e32 v[163:164], v[163:164], v[169:170]
	v_fma_f64 v[169:170], v[4:5], v[34:35], v[173:174]
	v_fma_f64 v[171:172], v[2:3], v[34:35], -v[36:37]
	ds_load_b128 v[2:5], v1 offset:1536
	ds_load_b128 v[34:37], v1 offset:1552
	v_fma_f64 v[157:158], v[157:158], v[38:39], v[167:168]
	v_fma_f64 v[38:39], v[155:156], v[38:39], -v[40:41]
	v_add_f64_e32 v[159:160], v[165:166], v[159:160]
	v_add_f64_e32 v[161:162], v[163:164], v[161:162]
	s_wait_loadcnt_dscnt 0x701
	v_mul_f64_e32 v[163:164], v[2:3], v[44:45]
	v_mul_f64_e32 v[44:45], v[4:5], v[44:45]
	s_delay_alu instid0(VALU_DEP_4) | instskip(NEXT) | instid1(VALU_DEP_4)
	v_add_f64_e32 v[40:41], v[159:160], v[171:172]
	v_add_f64_e32 v[155:156], v[161:162], v[169:170]
	s_wait_loadcnt_dscnt 0x600
	v_mul_f64_e32 v[159:160], v[34:35], v[8:9]
	v_mul_f64_e32 v[8:9], v[36:37], v[8:9]
	v_fma_f64 v[161:162], v[4:5], v[42:43], v[163:164]
	v_fma_f64 v[42:43], v[2:3], v[42:43], -v[44:45]
	v_add_f64_e32 v[44:45], v[40:41], v[38:39]
	v_add_f64_e32 v[155:156], v[155:156], v[157:158]
	ds_load_b128 v[2:5], v1 offset:1568
	ds_load_b128 v[38:41], v1 offset:1584
	v_fma_f64 v[36:37], v[36:37], v[6:7], v[159:160]
	v_fma_f64 v[6:7], v[34:35], v[6:7], -v[8:9]
	s_wait_loadcnt_dscnt 0x501
	v_mul_f64_e32 v[157:158], v[2:3], v[12:13]
	v_mul_f64_e32 v[12:13], v[4:5], v[12:13]
	v_add_f64_e32 v[8:9], v[44:45], v[42:43]
	v_add_f64_e32 v[34:35], v[155:156], v[161:162]
	s_wait_loadcnt_dscnt 0x400
	v_mul_f64_e32 v[42:43], v[38:39], v[16:17]
	v_mul_f64_e32 v[16:17], v[40:41], v[16:17]
	v_fma_f64 v[44:45], v[4:5], v[10:11], v[157:158]
	v_fma_f64 v[10:11], v[2:3], v[10:11], -v[12:13]
	v_add_f64_e32 v[12:13], v[8:9], v[6:7]
	v_add_f64_e32 v[34:35], v[34:35], v[36:37]
	ds_load_b128 v[2:5], v1 offset:1600
	ds_load_b128 v[6:9], v1 offset:1616
	v_fma_f64 v[40:41], v[40:41], v[14:15], v[42:43]
	v_fma_f64 v[14:15], v[38:39], v[14:15], -v[16:17]
	s_wait_loadcnt_dscnt 0x301
	v_mul_f64_e32 v[36:37], v[2:3], v[20:21]
	v_mul_f64_e32 v[20:21], v[4:5], v[20:21]
	s_wait_loadcnt_dscnt 0x200
	v_mul_f64_e32 v[16:17], v[6:7], v[24:25]
	v_mul_f64_e32 v[24:25], v[8:9], v[24:25]
	v_add_f64_e32 v[10:11], v[12:13], v[10:11]
	v_add_f64_e32 v[12:13], v[34:35], v[44:45]
	v_fma_f64 v[34:35], v[4:5], v[18:19], v[36:37]
	v_fma_f64 v[18:19], v[2:3], v[18:19], -v[20:21]
	v_fma_f64 v[8:9], v[8:9], v[22:23], v[16:17]
	v_fma_f64 v[6:7], v[6:7], v[22:23], -v[24:25]
	v_add_f64_e32 v[14:15], v[10:11], v[14:15]
	v_add_f64_e32 v[20:21], v[12:13], v[40:41]
	ds_load_b128 v[2:5], v1 offset:1632
	ds_load_b128 v[10:13], v1 offset:1648
	s_wait_loadcnt_dscnt 0x101
	v_mul_f64_e32 v[36:37], v[2:3], v[28:29]
	v_mul_f64_e32 v[28:29], v[4:5], v[28:29]
	v_add_f64_e32 v[14:15], v[14:15], v[18:19]
	v_add_f64_e32 v[16:17], v[20:21], v[34:35]
	s_wait_loadcnt_dscnt 0x0
	v_mul_f64_e32 v[18:19], v[10:11], v[32:33]
	v_mul_f64_e32 v[20:21], v[12:13], v[32:33]
	v_fma_f64 v[4:5], v[4:5], v[26:27], v[36:37]
	v_fma_f64 v[1:2], v[2:3], v[26:27], -v[28:29]
	v_add_f64_e32 v[6:7], v[14:15], v[6:7]
	v_add_f64_e32 v[8:9], v[16:17], v[8:9]
	v_fma_f64 v[12:13], v[12:13], v[30:31], v[18:19]
	v_fma_f64 v[10:11], v[10:11], v[30:31], -v[20:21]
	s_delay_alu instid0(VALU_DEP_4) | instskip(NEXT) | instid1(VALU_DEP_4)
	v_add_f64_e32 v[1:2], v[6:7], v[1:2]
	v_add_f64_e32 v[3:4], v[8:9], v[4:5]
	s_delay_alu instid0(VALU_DEP_2) | instskip(NEXT) | instid1(VALU_DEP_2)
	v_add_f64_e32 v[1:2], v[1:2], v[10:11]
	v_add_f64_e32 v[3:4], v[3:4], v[12:13]
	s_delay_alu instid0(VALU_DEP_2) | instskip(NEXT) | instid1(VALU_DEP_2)
	v_add_f64_e64 v[1:2], v[151:152], -v[1:2]
	v_add_f64_e64 v[3:4], v[153:154], -v[3:4]
	scratch_store_b128 off, v[1:4], off offset:64
	v_cmpx_lt_u32_e32 2, v0
	s_cbranch_execz .LBB51_321
; %bb.320:
	scratch_load_b128 v[1:4], off, s43
	v_mov_b32_e32 v5, 0
	s_delay_alu instid0(VALU_DEP_1)
	v_dual_mov_b32 v6, v5 :: v_dual_mov_b32 v7, v5
	v_mov_b32_e32 v8, v5
	scratch_store_b128 off, v[5:8], off offset:48
	s_wait_loadcnt 0x0
	ds_store_b128 v150, v[1:4]
.LBB51_321:
	s_wait_alu 0xfffe
	s_or_b32 exec_lo, exec_lo, s0
	s_wait_storecnt_dscnt 0x0
	s_barrier_signal -1
	s_barrier_wait -1
	global_inv scope:SCOPE_SE
	s_clause 0x7
	scratch_load_b128 v[2:5], off, off offset:64
	scratch_load_b128 v[6:9], off, off offset:80
	;; [unrolled: 1-line block ×8, first 2 shown]
	v_mov_b32_e32 v1, 0
	s_mov_b32 s0, exec_lo
	ds_load_b128 v[38:41], v1 offset:880
	s_clause 0x1
	scratch_load_b128 v[34:37], off, off offset:192
	scratch_load_b128 v[42:45], off, off offset:48
	ds_load_b128 v[151:154], v1 offset:896
	scratch_load_b128 v[155:158], off, off offset:208
	s_wait_loadcnt_dscnt 0xa01
	v_mul_f64_e32 v[159:160], v[40:41], v[4:5]
	v_mul_f64_e32 v[4:5], v[38:39], v[4:5]
	s_delay_alu instid0(VALU_DEP_2) | instskip(NEXT) | instid1(VALU_DEP_2)
	v_fma_f64 v[165:166], v[38:39], v[2:3], -v[159:160]
	v_fma_f64 v[167:168], v[40:41], v[2:3], v[4:5]
	ds_load_b128 v[2:5], v1 offset:912
	s_wait_loadcnt_dscnt 0x901
	v_mul_f64_e32 v[163:164], v[151:152], v[8:9]
	v_mul_f64_e32 v[8:9], v[153:154], v[8:9]
	scratch_load_b128 v[38:41], off, off offset:224
	ds_load_b128 v[159:162], v1 offset:928
	s_wait_loadcnt_dscnt 0x901
	v_mul_f64_e32 v[169:170], v[2:3], v[12:13]
	v_mul_f64_e32 v[12:13], v[4:5], v[12:13]
	v_fma_f64 v[153:154], v[153:154], v[6:7], v[163:164]
	v_fma_f64 v[151:152], v[151:152], v[6:7], -v[8:9]
	v_add_f64_e32 v[163:164], 0, v[165:166]
	v_add_f64_e32 v[165:166], 0, v[167:168]
	scratch_load_b128 v[6:9], off, off offset:240
	v_fma_f64 v[169:170], v[4:5], v[10:11], v[169:170]
	v_fma_f64 v[171:172], v[2:3], v[10:11], -v[12:13]
	ds_load_b128 v[2:5], v1 offset:944
	s_wait_loadcnt_dscnt 0x901
	v_mul_f64_e32 v[167:168], v[159:160], v[16:17]
	v_mul_f64_e32 v[16:17], v[161:162], v[16:17]
	scratch_load_b128 v[10:13], off, off offset:256
	v_add_f64_e32 v[163:164], v[163:164], v[151:152]
	v_add_f64_e32 v[165:166], v[165:166], v[153:154]
	s_wait_loadcnt_dscnt 0x900
	v_mul_f64_e32 v[173:174], v[2:3], v[20:21]
	v_mul_f64_e32 v[20:21], v[4:5], v[20:21]
	ds_load_b128 v[151:154], v1 offset:960
	v_fma_f64 v[161:162], v[161:162], v[14:15], v[167:168]
	v_fma_f64 v[159:160], v[159:160], v[14:15], -v[16:17]
	scratch_load_b128 v[14:17], off, off offset:272
	v_add_f64_e32 v[163:164], v[163:164], v[171:172]
	v_add_f64_e32 v[165:166], v[165:166], v[169:170]
	v_fma_f64 v[169:170], v[4:5], v[18:19], v[173:174]
	v_fma_f64 v[171:172], v[2:3], v[18:19], -v[20:21]
	ds_load_b128 v[2:5], v1 offset:976
	s_wait_loadcnt_dscnt 0x901
	v_mul_f64_e32 v[167:168], v[151:152], v[24:25]
	v_mul_f64_e32 v[24:25], v[153:154], v[24:25]
	scratch_load_b128 v[18:21], off, off offset:288
	s_wait_loadcnt_dscnt 0x900
	v_mul_f64_e32 v[173:174], v[2:3], v[28:29]
	v_mul_f64_e32 v[28:29], v[4:5], v[28:29]
	v_add_f64_e32 v[163:164], v[163:164], v[159:160]
	v_add_f64_e32 v[165:166], v[165:166], v[161:162]
	ds_load_b128 v[159:162], v1 offset:992
	v_fma_f64 v[153:154], v[153:154], v[22:23], v[167:168]
	v_fma_f64 v[151:152], v[151:152], v[22:23], -v[24:25]
	scratch_load_b128 v[22:25], off, off offset:304
	v_add_f64_e32 v[163:164], v[163:164], v[171:172]
	v_add_f64_e32 v[165:166], v[165:166], v[169:170]
	v_fma_f64 v[169:170], v[4:5], v[26:27], v[173:174]
	v_fma_f64 v[171:172], v[2:3], v[26:27], -v[28:29]
	ds_load_b128 v[2:5], v1 offset:1008
	s_wait_loadcnt_dscnt 0x901
	v_mul_f64_e32 v[167:168], v[159:160], v[32:33]
	v_mul_f64_e32 v[32:33], v[161:162], v[32:33]
	scratch_load_b128 v[26:29], off, off offset:320
	s_wait_loadcnt_dscnt 0x900
	v_mul_f64_e32 v[173:174], v[2:3], v[36:37]
	v_mul_f64_e32 v[36:37], v[4:5], v[36:37]
	v_add_f64_e32 v[163:164], v[163:164], v[151:152]
	v_add_f64_e32 v[165:166], v[165:166], v[153:154]
	ds_load_b128 v[151:154], v1 offset:1024
	v_fma_f64 v[161:162], v[161:162], v[30:31], v[167:168]
	v_fma_f64 v[159:160], v[159:160], v[30:31], -v[32:33]
	scratch_load_b128 v[30:33], off, off offset:336
	v_add_f64_e32 v[163:164], v[163:164], v[171:172]
	v_add_f64_e32 v[165:166], v[165:166], v[169:170]
	v_fma_f64 v[171:172], v[4:5], v[34:35], v[173:174]
	v_fma_f64 v[173:174], v[2:3], v[34:35], -v[36:37]
	ds_load_b128 v[2:5], v1 offset:1040
	s_wait_loadcnt_dscnt 0x801
	v_mul_f64_e32 v[167:168], v[151:152], v[157:158]
	v_mul_f64_e32 v[169:170], v[153:154], v[157:158]
	scratch_load_b128 v[34:37], off, off offset:352
	v_add_f64_e32 v[163:164], v[163:164], v[159:160]
	v_add_f64_e32 v[161:162], v[165:166], v[161:162]
	ds_load_b128 v[157:160], v1 offset:1056
	v_fma_f64 v[167:168], v[153:154], v[155:156], v[167:168]
	v_fma_f64 v[155:156], v[151:152], v[155:156], -v[169:170]
	scratch_load_b128 v[151:154], off, off offset:368
	s_wait_loadcnt_dscnt 0x901
	v_mul_f64_e32 v[165:166], v[2:3], v[40:41]
	v_mul_f64_e32 v[40:41], v[4:5], v[40:41]
	v_add_f64_e32 v[163:164], v[163:164], v[173:174]
	v_add_f64_e32 v[161:162], v[161:162], v[171:172]
	s_delay_alu instid0(VALU_DEP_4) | instskip(NEXT) | instid1(VALU_DEP_4)
	v_fma_f64 v[165:166], v[4:5], v[38:39], v[165:166]
	v_fma_f64 v[171:172], v[2:3], v[38:39], -v[40:41]
	ds_load_b128 v[2:5], v1 offset:1072
	s_wait_loadcnt_dscnt 0x801
	v_mul_f64_e32 v[169:170], v[157:158], v[8:9]
	v_mul_f64_e32 v[8:9], v[159:160], v[8:9]
	scratch_load_b128 v[38:41], off, off offset:384
	s_wait_loadcnt_dscnt 0x800
	v_mul_f64_e32 v[173:174], v[2:3], v[12:13]
	v_add_f64_e32 v[155:156], v[163:164], v[155:156]
	v_add_f64_e32 v[167:168], v[161:162], v[167:168]
	v_mul_f64_e32 v[12:13], v[4:5], v[12:13]
	ds_load_b128 v[161:164], v1 offset:1088
	v_fma_f64 v[159:160], v[159:160], v[6:7], v[169:170]
	v_fma_f64 v[157:158], v[157:158], v[6:7], -v[8:9]
	scratch_load_b128 v[6:9], off, off offset:400
	v_fma_f64 v[169:170], v[4:5], v[10:11], v[173:174]
	v_add_f64_e32 v[155:156], v[155:156], v[171:172]
	v_add_f64_e32 v[165:166], v[167:168], v[165:166]
	v_fma_f64 v[171:172], v[2:3], v[10:11], -v[12:13]
	ds_load_b128 v[2:5], v1 offset:1104
	s_wait_loadcnt_dscnt 0x801
	v_mul_f64_e32 v[167:168], v[161:162], v[16:17]
	v_mul_f64_e32 v[16:17], v[163:164], v[16:17]
	scratch_load_b128 v[10:13], off, off offset:416
	v_add_f64_e32 v[173:174], v[155:156], v[157:158]
	v_add_f64_e32 v[159:160], v[165:166], v[159:160]
	s_wait_loadcnt_dscnt 0x800
	v_mul_f64_e32 v[165:166], v[2:3], v[20:21]
	v_mul_f64_e32 v[20:21], v[4:5], v[20:21]
	v_fma_f64 v[163:164], v[163:164], v[14:15], v[167:168]
	v_fma_f64 v[161:162], v[161:162], v[14:15], -v[16:17]
	ds_load_b128 v[155:158], v1 offset:1120
	scratch_load_b128 v[14:17], off, off offset:432
	v_add_f64_e32 v[167:168], v[173:174], v[171:172]
	v_add_f64_e32 v[159:160], v[159:160], v[169:170]
	v_fma_f64 v[165:166], v[4:5], v[18:19], v[165:166]
	v_fma_f64 v[171:172], v[2:3], v[18:19], -v[20:21]
	ds_load_b128 v[2:5], v1 offset:1136
	s_wait_loadcnt_dscnt 0x801
	v_mul_f64_e32 v[169:170], v[155:156], v[24:25]
	v_mul_f64_e32 v[24:25], v[157:158], v[24:25]
	scratch_load_b128 v[18:21], off, off offset:448
	s_wait_loadcnt_dscnt 0x800
	v_mul_f64_e32 v[173:174], v[2:3], v[28:29]
	v_mul_f64_e32 v[28:29], v[4:5], v[28:29]
	v_add_f64_e32 v[167:168], v[167:168], v[161:162]
	v_add_f64_e32 v[163:164], v[159:160], v[163:164]
	ds_load_b128 v[159:162], v1 offset:1152
	v_fma_f64 v[157:158], v[157:158], v[22:23], v[169:170]
	v_fma_f64 v[155:156], v[155:156], v[22:23], -v[24:25]
	scratch_load_b128 v[22:25], off, off offset:464
	v_fma_f64 v[169:170], v[4:5], v[26:27], v[173:174]
	v_add_f64_e32 v[167:168], v[167:168], v[171:172]
	v_add_f64_e32 v[163:164], v[163:164], v[165:166]
	v_fma_f64 v[171:172], v[2:3], v[26:27], -v[28:29]
	ds_load_b128 v[2:5], v1 offset:1168
	s_wait_loadcnt_dscnt 0x801
	v_mul_f64_e32 v[165:166], v[159:160], v[32:33]
	v_mul_f64_e32 v[32:33], v[161:162], v[32:33]
	scratch_load_b128 v[26:29], off, off offset:480
	s_wait_loadcnt_dscnt 0x800
	v_mul_f64_e32 v[173:174], v[2:3], v[36:37]
	v_mul_f64_e32 v[36:37], v[4:5], v[36:37]
	v_add_f64_e32 v[167:168], v[167:168], v[155:156]
	v_add_f64_e32 v[163:164], v[163:164], v[157:158]
	ds_load_b128 v[155:158], v1 offset:1184
	v_fma_f64 v[161:162], v[161:162], v[30:31], v[165:166]
	v_fma_f64 v[159:160], v[159:160], v[30:31], -v[32:33]
	scratch_load_b128 v[30:33], off, off offset:496
	v_add_f64_e32 v[165:166], v[167:168], v[171:172]
	v_add_f64_e32 v[163:164], v[163:164], v[169:170]
	v_fma_f64 v[169:170], v[4:5], v[34:35], v[173:174]
	v_fma_f64 v[171:172], v[2:3], v[34:35], -v[36:37]
	ds_load_b128 v[2:5], v1 offset:1200
	s_wait_loadcnt_dscnt 0x801
	v_mul_f64_e32 v[167:168], v[155:156], v[153:154]
	v_mul_f64_e32 v[153:154], v[157:158], v[153:154]
	scratch_load_b128 v[34:37], off, off offset:512
	s_wait_loadcnt_dscnt 0x800
	v_mul_f64_e32 v[173:174], v[2:3], v[40:41]
	v_mul_f64_e32 v[40:41], v[4:5], v[40:41]
	v_add_f64_e32 v[165:166], v[165:166], v[159:160]
	v_add_f64_e32 v[163:164], v[163:164], v[161:162]
	ds_load_b128 v[159:162], v1 offset:1216
	v_fma_f64 v[157:158], v[157:158], v[151:152], v[167:168]
	v_fma_f64 v[155:156], v[155:156], v[151:152], -v[153:154]
	scratch_load_b128 v[151:154], off, off offset:528
	v_add_f64_e32 v[165:166], v[165:166], v[171:172]
	v_add_f64_e32 v[163:164], v[163:164], v[169:170]
	v_fma_f64 v[169:170], v[4:5], v[38:39], v[173:174]
	;; [unrolled: 18-line block ×6, first 2 shown]
	v_fma_f64 v[173:174], v[2:3], v[34:35], -v[36:37]
	ds_load_b128 v[2:5], v1 offset:1360
	s_wait_loadcnt_dscnt 0x801
	v_mul_f64_e32 v[167:168], v[159:160], v[153:154]
	v_mul_f64_e32 v[169:170], v[161:162], v[153:154]
	scratch_load_b128 v[34:37], off, off offset:672
	v_add_f64_e32 v[165:166], v[165:166], v[155:156]
	v_add_f64_e32 v[157:158], v[163:164], v[157:158]
	s_wait_loadcnt_dscnt 0x800
	v_mul_f64_e32 v[163:164], v[2:3], v[40:41]
	v_mul_f64_e32 v[40:41], v[4:5], v[40:41]
	ds_load_b128 v[153:156], v1 offset:1376
	v_fma_f64 v[161:162], v[161:162], v[151:152], v[167:168]
	v_fma_f64 v[151:152], v[159:160], v[151:152], -v[169:170]
	v_add_f64_e32 v[165:166], v[165:166], v[173:174]
	v_add_f64_e32 v[167:168], v[157:158], v[171:172]
	scratch_load_b128 v[157:160], off, off offset:688
	v_fma_f64 v[171:172], v[4:5], v[38:39], v[163:164]
	v_fma_f64 v[173:174], v[2:3], v[38:39], -v[40:41]
	ds_load_b128 v[2:5], v1 offset:1392
	s_wait_loadcnt_dscnt 0x801
	v_mul_f64_e32 v[169:170], v[153:154], v[8:9]
	v_mul_f64_e32 v[8:9], v[155:156], v[8:9]
	scratch_load_b128 v[38:41], off, off offset:704
	v_add_f64_e32 v[151:152], v[165:166], v[151:152]
	v_add_f64_e32 v[165:166], v[167:168], v[161:162]
	s_wait_loadcnt_dscnt 0x800
	v_mul_f64_e32 v[167:168], v[2:3], v[12:13]
	v_mul_f64_e32 v[12:13], v[4:5], v[12:13]
	ds_load_b128 v[161:164], v1 offset:1408
	v_fma_f64 v[155:156], v[155:156], v[6:7], v[169:170]
	v_fma_f64 v[153:154], v[153:154], v[6:7], -v[8:9]
	scratch_load_b128 v[6:9], off, off offset:720
	v_add_f64_e32 v[151:152], v[151:152], v[173:174]
	v_add_f64_e32 v[165:166], v[165:166], v[171:172]
	v_fma_f64 v[167:168], v[4:5], v[10:11], v[167:168]
	v_fma_f64 v[171:172], v[2:3], v[10:11], -v[12:13]
	ds_load_b128 v[2:5], v1 offset:1424
	s_wait_loadcnt_dscnt 0x801
	v_mul_f64_e32 v[169:170], v[161:162], v[16:17]
	v_mul_f64_e32 v[16:17], v[163:164], v[16:17]
	scratch_load_b128 v[10:13], off, off offset:736
	v_add_f64_e32 v[173:174], v[151:152], v[153:154]
	v_add_f64_e32 v[155:156], v[165:166], v[155:156]
	s_wait_loadcnt_dscnt 0x800
	v_mul_f64_e32 v[165:166], v[2:3], v[20:21]
	v_mul_f64_e32 v[20:21], v[4:5], v[20:21]
	ds_load_b128 v[151:154], v1 offset:1440
	v_fma_f64 v[163:164], v[163:164], v[14:15], v[169:170]
	v_fma_f64 v[161:162], v[161:162], v[14:15], -v[16:17]
	scratch_load_b128 v[14:17], off, off offset:752
	v_add_f64_e32 v[169:170], v[173:174], v[171:172]
	v_add_f64_e32 v[155:156], v[155:156], v[167:168]
	v_fma_f64 v[165:166], v[4:5], v[18:19], v[165:166]
	v_fma_f64 v[171:172], v[2:3], v[18:19], -v[20:21]
	ds_load_b128 v[2:5], v1 offset:1456
	s_wait_loadcnt_dscnt 0x801
	v_mul_f64_e32 v[167:168], v[151:152], v[24:25]
	v_mul_f64_e32 v[24:25], v[153:154], v[24:25]
	scratch_load_b128 v[18:21], off, off offset:768
	s_wait_loadcnt_dscnt 0x800
	v_mul_f64_e32 v[173:174], v[2:3], v[28:29]
	v_mul_f64_e32 v[28:29], v[4:5], v[28:29]
	v_add_f64_e32 v[169:170], v[169:170], v[161:162]
	v_add_f64_e32 v[155:156], v[155:156], v[163:164]
	ds_load_b128 v[161:164], v1 offset:1472
	v_fma_f64 v[153:154], v[153:154], v[22:23], v[167:168]
	v_fma_f64 v[151:152], v[151:152], v[22:23], -v[24:25]
	scratch_load_b128 v[22:25], off, off offset:784
	v_add_f64_e32 v[167:168], v[169:170], v[171:172]
	v_add_f64_e32 v[155:156], v[155:156], v[165:166]
	v_fma_f64 v[169:170], v[4:5], v[26:27], v[173:174]
	v_fma_f64 v[171:172], v[2:3], v[26:27], -v[28:29]
	ds_load_b128 v[2:5], v1 offset:1488
	s_wait_loadcnt_dscnt 0x801
	v_mul_f64_e32 v[165:166], v[161:162], v[32:33]
	v_mul_f64_e32 v[32:33], v[163:164], v[32:33]
	scratch_load_b128 v[26:29], off, off offset:800
	s_wait_loadcnt_dscnt 0x800
	v_mul_f64_e32 v[173:174], v[2:3], v[36:37]
	v_mul_f64_e32 v[36:37], v[4:5], v[36:37]
	v_add_f64_e32 v[167:168], v[167:168], v[151:152]
	v_add_f64_e32 v[155:156], v[155:156], v[153:154]
	ds_load_b128 v[151:154], v1 offset:1504
	v_fma_f64 v[163:164], v[163:164], v[30:31], v[165:166]
	v_fma_f64 v[161:162], v[161:162], v[30:31], -v[32:33]
	scratch_load_b128 v[30:33], off, off offset:816
	v_add_f64_e32 v[165:166], v[167:168], v[171:172]
	v_add_f64_e32 v[155:156], v[155:156], v[169:170]
	v_fma_f64 v[171:172], v[4:5], v[34:35], v[173:174]
	v_fma_f64 v[173:174], v[2:3], v[34:35], -v[36:37]
	ds_load_b128 v[2:5], v1 offset:1520
	scratch_load_b128 v[34:37], off, off offset:832
	s_wait_loadcnt_dscnt 0x901
	v_mul_f64_e32 v[167:168], v[151:152], v[159:160]
	v_mul_f64_e32 v[169:170], v[153:154], v[159:160]
	v_add_f64_e32 v[165:166], v[165:166], v[161:162]
	v_add_f64_e32 v[155:156], v[155:156], v[163:164]
	s_wait_loadcnt_dscnt 0x800
	v_mul_f64_e32 v[163:164], v[2:3], v[40:41]
	v_mul_f64_e32 v[40:41], v[4:5], v[40:41]
	ds_load_b128 v[159:162], v1 offset:1536
	v_fma_f64 v[153:154], v[153:154], v[157:158], v[167:168]
	v_fma_f64 v[151:152], v[151:152], v[157:158], -v[169:170]
	v_add_f64_e32 v[157:158], v[165:166], v[173:174]
	v_add_f64_e32 v[155:156], v[155:156], v[171:172]
	s_wait_loadcnt_dscnt 0x700
	v_mul_f64_e32 v[165:166], v[159:160], v[8:9]
	v_mul_f64_e32 v[8:9], v[161:162], v[8:9]
	v_fma_f64 v[163:164], v[4:5], v[38:39], v[163:164]
	v_fma_f64 v[167:168], v[2:3], v[38:39], -v[40:41]
	ds_load_b128 v[2:5], v1 offset:1552
	ds_load_b128 v[38:41], v1 offset:1568
	v_add_f64_e32 v[151:152], v[157:158], v[151:152]
	v_add_f64_e32 v[153:154], v[155:156], v[153:154]
	s_wait_loadcnt_dscnt 0x601
	v_mul_f64_e32 v[155:156], v[2:3], v[12:13]
	v_mul_f64_e32 v[12:13], v[4:5], v[12:13]
	v_fma_f64 v[157:158], v[161:162], v[6:7], v[165:166]
	v_fma_f64 v[6:7], v[159:160], v[6:7], -v[8:9]
	v_add_f64_e32 v[8:9], v[151:152], v[167:168]
	v_add_f64_e32 v[151:152], v[153:154], v[163:164]
	s_wait_loadcnt_dscnt 0x500
	v_mul_f64_e32 v[153:154], v[38:39], v[16:17]
	v_mul_f64_e32 v[16:17], v[40:41], v[16:17]
	v_fma_f64 v[155:156], v[4:5], v[10:11], v[155:156]
	v_fma_f64 v[10:11], v[2:3], v[10:11], -v[12:13]
	v_add_f64_e32 v[12:13], v[8:9], v[6:7]
	v_add_f64_e32 v[151:152], v[151:152], v[157:158]
	ds_load_b128 v[2:5], v1 offset:1584
	ds_load_b128 v[6:9], v1 offset:1600
	v_fma_f64 v[40:41], v[40:41], v[14:15], v[153:154]
	v_fma_f64 v[14:15], v[38:39], v[14:15], -v[16:17]
	s_wait_loadcnt_dscnt 0x401
	v_mul_f64_e32 v[157:158], v[2:3], v[20:21]
	v_mul_f64_e32 v[20:21], v[4:5], v[20:21]
	s_wait_loadcnt_dscnt 0x300
	v_mul_f64_e32 v[16:17], v[6:7], v[24:25]
	v_mul_f64_e32 v[24:25], v[8:9], v[24:25]
	v_add_f64_e32 v[10:11], v[12:13], v[10:11]
	v_add_f64_e32 v[12:13], v[151:152], v[155:156]
	v_fma_f64 v[38:39], v[4:5], v[18:19], v[157:158]
	v_fma_f64 v[18:19], v[2:3], v[18:19], -v[20:21]
	v_fma_f64 v[8:9], v[8:9], v[22:23], v[16:17]
	v_fma_f64 v[6:7], v[6:7], v[22:23], -v[24:25]
	v_add_f64_e32 v[14:15], v[10:11], v[14:15]
	v_add_f64_e32 v[20:21], v[12:13], v[40:41]
	ds_load_b128 v[2:5], v1 offset:1616
	ds_load_b128 v[10:13], v1 offset:1632
	s_wait_loadcnt_dscnt 0x201
	v_mul_f64_e32 v[40:41], v[2:3], v[28:29]
	v_mul_f64_e32 v[28:29], v[4:5], v[28:29]
	v_add_f64_e32 v[14:15], v[14:15], v[18:19]
	v_add_f64_e32 v[16:17], v[20:21], v[38:39]
	s_wait_loadcnt_dscnt 0x100
	v_mul_f64_e32 v[18:19], v[10:11], v[32:33]
	v_mul_f64_e32 v[20:21], v[12:13], v[32:33]
	v_fma_f64 v[22:23], v[4:5], v[26:27], v[40:41]
	v_fma_f64 v[24:25], v[2:3], v[26:27], -v[28:29]
	ds_load_b128 v[2:5], v1 offset:1648
	v_add_f64_e32 v[6:7], v[14:15], v[6:7]
	v_add_f64_e32 v[8:9], v[16:17], v[8:9]
	v_fma_f64 v[12:13], v[12:13], v[30:31], v[18:19]
	v_fma_f64 v[10:11], v[10:11], v[30:31], -v[20:21]
	s_wait_loadcnt_dscnt 0x0
	v_mul_f64_e32 v[14:15], v[2:3], v[36:37]
	v_mul_f64_e32 v[16:17], v[4:5], v[36:37]
	v_add_f64_e32 v[6:7], v[6:7], v[24:25]
	v_add_f64_e32 v[8:9], v[8:9], v[22:23]
	s_delay_alu instid0(VALU_DEP_4) | instskip(NEXT) | instid1(VALU_DEP_4)
	v_fma_f64 v[4:5], v[4:5], v[34:35], v[14:15]
	v_fma_f64 v[2:3], v[2:3], v[34:35], -v[16:17]
	s_delay_alu instid0(VALU_DEP_4) | instskip(NEXT) | instid1(VALU_DEP_4)
	v_add_f64_e32 v[6:7], v[6:7], v[10:11]
	v_add_f64_e32 v[8:9], v[8:9], v[12:13]
	s_delay_alu instid0(VALU_DEP_2) | instskip(NEXT) | instid1(VALU_DEP_2)
	v_add_f64_e32 v[2:3], v[6:7], v[2:3]
	v_add_f64_e32 v[4:5], v[8:9], v[4:5]
	s_delay_alu instid0(VALU_DEP_2) | instskip(NEXT) | instid1(VALU_DEP_2)
	v_add_f64_e64 v[2:3], v[42:43], -v[2:3]
	v_add_f64_e64 v[4:5], v[44:45], -v[4:5]
	scratch_store_b128 off, v[2:5], off offset:48
	v_cmpx_lt_u32_e32 1, v0
	s_cbranch_execz .LBB51_323
; %bb.322:
	scratch_load_b128 v[5:8], off, s44
	v_dual_mov_b32 v2, v1 :: v_dual_mov_b32 v3, v1
	v_mov_b32_e32 v4, v1
	scratch_store_b128 off, v[1:4], off offset:32
	s_wait_loadcnt 0x0
	ds_store_b128 v150, v[5:8]
.LBB51_323:
	s_wait_alu 0xfffe
	s_or_b32 exec_lo, exec_lo, s0
	s_wait_storecnt_dscnt 0x0
	s_barrier_signal -1
	s_barrier_wait -1
	global_inv scope:SCOPE_SE
	s_clause 0x8
	scratch_load_b128 v[2:5], off, off offset:48
	scratch_load_b128 v[6:9], off, off offset:64
	scratch_load_b128 v[10:13], off, off offset:80
	scratch_load_b128 v[14:17], off, off offset:96
	scratch_load_b128 v[18:21], off, off offset:112
	scratch_load_b128 v[22:25], off, off offset:128
	scratch_load_b128 v[26:29], off, off offset:144
	scratch_load_b128 v[30:33], off, off offset:160
	scratch_load_b128 v[34:37], off, off offset:176
	ds_load_b128 v[42:45], v1 offset:864
	ds_load_b128 v[38:41], v1 offset:880
	s_clause 0x1
	scratch_load_b128 v[151:154], off, off offset:32
	scratch_load_b128 v[155:158], off, off offset:192
	s_mov_b32 s0, exec_lo
	s_wait_loadcnt_dscnt 0xa01
	v_mul_f64_e32 v[159:160], v[44:45], v[4:5]
	v_mul_f64_e32 v[4:5], v[42:43], v[4:5]
	s_wait_loadcnt_dscnt 0x900
	v_mul_f64_e32 v[163:164], v[38:39], v[8:9]
	v_mul_f64_e32 v[8:9], v[40:41], v[8:9]
	s_delay_alu instid0(VALU_DEP_4) | instskip(NEXT) | instid1(VALU_DEP_4)
	v_fma_f64 v[165:166], v[42:43], v[2:3], -v[159:160]
	v_fma_f64 v[167:168], v[44:45], v[2:3], v[4:5]
	ds_load_b128 v[2:5], v1 offset:896
	ds_load_b128 v[159:162], v1 offset:912
	scratch_load_b128 v[42:45], off, off offset:208
	v_fma_f64 v[40:41], v[40:41], v[6:7], v[163:164]
	v_fma_f64 v[38:39], v[38:39], v[6:7], -v[8:9]
	scratch_load_b128 v[6:9], off, off offset:224
	s_wait_loadcnt_dscnt 0xa01
	v_mul_f64_e32 v[169:170], v[2:3], v[12:13]
	v_mul_f64_e32 v[12:13], v[4:5], v[12:13]
	v_add_f64_e32 v[163:164], 0, v[165:166]
	v_add_f64_e32 v[165:166], 0, v[167:168]
	s_wait_loadcnt_dscnt 0x900
	v_mul_f64_e32 v[167:168], v[159:160], v[16:17]
	v_mul_f64_e32 v[16:17], v[161:162], v[16:17]
	v_fma_f64 v[169:170], v[4:5], v[10:11], v[169:170]
	v_fma_f64 v[171:172], v[2:3], v[10:11], -v[12:13]
	ds_load_b128 v[2:5], v1 offset:928
	scratch_load_b128 v[10:13], off, off offset:240
	v_add_f64_e32 v[163:164], v[163:164], v[38:39]
	v_add_f64_e32 v[165:166], v[165:166], v[40:41]
	ds_load_b128 v[38:41], v1 offset:944
	v_fma_f64 v[161:162], v[161:162], v[14:15], v[167:168]
	v_fma_f64 v[159:160], v[159:160], v[14:15], -v[16:17]
	scratch_load_b128 v[14:17], off, off offset:256
	s_wait_loadcnt_dscnt 0xa01
	v_mul_f64_e32 v[173:174], v[2:3], v[20:21]
	v_mul_f64_e32 v[20:21], v[4:5], v[20:21]
	s_wait_loadcnt_dscnt 0x900
	v_mul_f64_e32 v[167:168], v[38:39], v[24:25]
	v_mul_f64_e32 v[24:25], v[40:41], v[24:25]
	v_add_f64_e32 v[163:164], v[163:164], v[171:172]
	v_add_f64_e32 v[165:166], v[165:166], v[169:170]
	v_fma_f64 v[169:170], v[4:5], v[18:19], v[173:174]
	v_fma_f64 v[171:172], v[2:3], v[18:19], -v[20:21]
	ds_load_b128 v[2:5], v1 offset:960
	scratch_load_b128 v[18:21], off, off offset:272
	v_fma_f64 v[40:41], v[40:41], v[22:23], v[167:168]
	v_fma_f64 v[38:39], v[38:39], v[22:23], -v[24:25]
	scratch_load_b128 v[22:25], off, off offset:288
	v_add_f64_e32 v[163:164], v[163:164], v[159:160]
	v_add_f64_e32 v[165:166], v[165:166], v[161:162]
	ds_load_b128 v[159:162], v1 offset:976
	s_wait_loadcnt_dscnt 0xa01
	v_mul_f64_e32 v[173:174], v[2:3], v[28:29]
	v_mul_f64_e32 v[28:29], v[4:5], v[28:29]
	s_wait_loadcnt_dscnt 0x900
	v_mul_f64_e32 v[167:168], v[159:160], v[32:33]
	v_mul_f64_e32 v[32:33], v[161:162], v[32:33]
	v_add_f64_e32 v[163:164], v[163:164], v[171:172]
	v_add_f64_e32 v[165:166], v[165:166], v[169:170]
	v_fma_f64 v[169:170], v[4:5], v[26:27], v[173:174]
	v_fma_f64 v[171:172], v[2:3], v[26:27], -v[28:29]
	ds_load_b128 v[2:5], v1 offset:992
	scratch_load_b128 v[26:29], off, off offset:304
	v_fma_f64 v[161:162], v[161:162], v[30:31], v[167:168]
	v_fma_f64 v[159:160], v[159:160], v[30:31], -v[32:33]
	scratch_load_b128 v[30:33], off, off offset:320
	v_add_f64_e32 v[163:164], v[163:164], v[38:39]
	v_add_f64_e32 v[165:166], v[165:166], v[40:41]
	ds_load_b128 v[38:41], v1 offset:1008
	s_wait_loadcnt_dscnt 0xa01
	v_mul_f64_e32 v[173:174], v[2:3], v[36:37]
	v_mul_f64_e32 v[36:37], v[4:5], v[36:37]
	s_wait_loadcnt_dscnt 0x800
	v_mul_f64_e32 v[167:168], v[38:39], v[157:158]
	v_add_f64_e32 v[163:164], v[163:164], v[171:172]
	v_add_f64_e32 v[165:166], v[165:166], v[169:170]
	v_mul_f64_e32 v[169:170], v[40:41], v[157:158]
	v_fma_f64 v[171:172], v[4:5], v[34:35], v[173:174]
	v_fma_f64 v[173:174], v[2:3], v[34:35], -v[36:37]
	ds_load_b128 v[2:5], v1 offset:1024
	scratch_load_b128 v[34:37], off, off offset:336
	v_fma_f64 v[167:168], v[40:41], v[155:156], v[167:168]
	v_add_f64_e32 v[163:164], v[163:164], v[159:160]
	v_add_f64_e32 v[161:162], v[165:166], v[161:162]
	ds_load_b128 v[157:160], v1 offset:1040
	v_fma_f64 v[155:156], v[38:39], v[155:156], -v[169:170]
	scratch_load_b128 v[38:41], off, off offset:352
	s_wait_loadcnt_dscnt 0x901
	v_mul_f64_e32 v[165:166], v[2:3], v[44:45]
	v_mul_f64_e32 v[44:45], v[4:5], v[44:45]
	s_wait_loadcnt_dscnt 0x800
	v_mul_f64_e32 v[169:170], v[157:158], v[8:9]
	v_mul_f64_e32 v[8:9], v[159:160], v[8:9]
	v_add_f64_e32 v[163:164], v[163:164], v[173:174]
	v_add_f64_e32 v[161:162], v[161:162], v[171:172]
	v_fma_f64 v[165:166], v[4:5], v[42:43], v[165:166]
	v_fma_f64 v[171:172], v[2:3], v[42:43], -v[44:45]
	ds_load_b128 v[2:5], v1 offset:1056
	scratch_load_b128 v[42:45], off, off offset:368
	v_fma_f64 v[159:160], v[159:160], v[6:7], v[169:170]
	v_fma_f64 v[157:158], v[157:158], v[6:7], -v[8:9]
	scratch_load_b128 v[6:9], off, off offset:384
	v_add_f64_e32 v[155:156], v[163:164], v[155:156]
	v_add_f64_e32 v[167:168], v[161:162], v[167:168]
	ds_load_b128 v[161:164], v1 offset:1072
	s_wait_loadcnt_dscnt 0x901
	v_mul_f64_e32 v[173:174], v[2:3], v[12:13]
	v_mul_f64_e32 v[12:13], v[4:5], v[12:13]
	v_add_f64_e32 v[155:156], v[155:156], v[171:172]
	v_add_f64_e32 v[165:166], v[167:168], v[165:166]
	s_wait_loadcnt_dscnt 0x800
	v_mul_f64_e32 v[167:168], v[161:162], v[16:17]
	v_mul_f64_e32 v[16:17], v[163:164], v[16:17]
	v_fma_f64 v[169:170], v[4:5], v[10:11], v[173:174]
	v_fma_f64 v[171:172], v[2:3], v[10:11], -v[12:13]
	ds_load_b128 v[2:5], v1 offset:1088
	scratch_load_b128 v[10:13], off, off offset:400
	v_add_f64_e32 v[173:174], v[155:156], v[157:158]
	v_add_f64_e32 v[159:160], v[165:166], v[159:160]
	ds_load_b128 v[155:158], v1 offset:1104
	s_wait_loadcnt_dscnt 0x801
	v_mul_f64_e32 v[165:166], v[2:3], v[20:21]
	v_mul_f64_e32 v[20:21], v[4:5], v[20:21]
	v_fma_f64 v[163:164], v[163:164], v[14:15], v[167:168]
	v_fma_f64 v[161:162], v[161:162], v[14:15], -v[16:17]
	scratch_load_b128 v[14:17], off, off offset:416
	v_add_f64_e32 v[167:168], v[173:174], v[171:172]
	v_add_f64_e32 v[159:160], v[159:160], v[169:170]
	s_wait_loadcnt_dscnt 0x800
	v_mul_f64_e32 v[169:170], v[155:156], v[24:25]
	v_mul_f64_e32 v[24:25], v[157:158], v[24:25]
	v_fma_f64 v[165:166], v[4:5], v[18:19], v[165:166]
	v_fma_f64 v[171:172], v[2:3], v[18:19], -v[20:21]
	ds_load_b128 v[2:5], v1 offset:1120
	scratch_load_b128 v[18:21], off, off offset:432
	v_add_f64_e32 v[167:168], v[167:168], v[161:162]
	v_add_f64_e32 v[163:164], v[159:160], v[163:164]
	ds_load_b128 v[159:162], v1 offset:1136
	s_wait_loadcnt_dscnt 0x801
	v_mul_f64_e32 v[173:174], v[2:3], v[28:29]
	v_mul_f64_e32 v[28:29], v[4:5], v[28:29]
	v_fma_f64 v[157:158], v[157:158], v[22:23], v[169:170]
	v_fma_f64 v[155:156], v[155:156], v[22:23], -v[24:25]
	scratch_load_b128 v[22:25], off, off offset:448
	;; [unrolled: 18-line block ×4, first 2 shown]
	s_wait_loadcnt_dscnt 0x800
	v_mul_f64_e32 v[167:168], v[159:160], v[8:9]
	v_mul_f64_e32 v[8:9], v[161:162], v[8:9]
	v_add_f64_e32 v[165:166], v[165:166], v[171:172]
	v_add_f64_e32 v[163:164], v[163:164], v[169:170]
	v_fma_f64 v[169:170], v[4:5], v[42:43], v[173:174]
	v_fma_f64 v[171:172], v[2:3], v[42:43], -v[44:45]
	ds_load_b128 v[2:5], v1 offset:1216
	scratch_load_b128 v[42:45], off, off offset:528
	v_fma_f64 v[161:162], v[161:162], v[6:7], v[167:168]
	v_fma_f64 v[159:160], v[159:160], v[6:7], -v[8:9]
	scratch_load_b128 v[6:9], off, off offset:544
	v_add_f64_e32 v[165:166], v[165:166], v[155:156]
	v_add_f64_e32 v[163:164], v[163:164], v[157:158]
	ds_load_b128 v[155:158], v1 offset:1232
	s_wait_loadcnt_dscnt 0x901
	v_mul_f64_e32 v[173:174], v[2:3], v[12:13]
	v_mul_f64_e32 v[12:13], v[4:5], v[12:13]
	s_wait_loadcnt_dscnt 0x800
	v_mul_f64_e32 v[167:168], v[155:156], v[16:17]
	v_mul_f64_e32 v[16:17], v[157:158], v[16:17]
	v_add_f64_e32 v[165:166], v[165:166], v[171:172]
	v_add_f64_e32 v[163:164], v[163:164], v[169:170]
	v_fma_f64 v[169:170], v[4:5], v[10:11], v[173:174]
	v_fma_f64 v[171:172], v[2:3], v[10:11], -v[12:13]
	ds_load_b128 v[2:5], v1 offset:1248
	scratch_load_b128 v[10:13], off, off offset:560
	v_fma_f64 v[157:158], v[157:158], v[14:15], v[167:168]
	v_fma_f64 v[155:156], v[155:156], v[14:15], -v[16:17]
	scratch_load_b128 v[14:17], off, off offset:576
	v_add_f64_e32 v[165:166], v[165:166], v[159:160]
	v_add_f64_e32 v[163:164], v[163:164], v[161:162]
	ds_load_b128 v[159:162], v1 offset:1264
	s_wait_loadcnt_dscnt 0x901
	v_mul_f64_e32 v[173:174], v[2:3], v[20:21]
	v_mul_f64_e32 v[20:21], v[4:5], v[20:21]
	;; [unrolled: 18-line block ×10, first 2 shown]
	s_wait_loadcnt_dscnt 0x800
	v_mul_f64_e32 v[167:168], v[159:160], v[8:9]
	v_mul_f64_e32 v[8:9], v[161:162], v[8:9]
	v_add_f64_e32 v[165:166], v[165:166], v[171:172]
	v_add_f64_e32 v[163:164], v[163:164], v[169:170]
	v_fma_f64 v[169:170], v[4:5], v[42:43], v[173:174]
	v_fma_f64 v[171:172], v[2:3], v[42:43], -v[44:45]
	ds_load_b128 v[2:5], v1 offset:1536
	ds_load_b128 v[42:45], v1 offset:1552
	v_fma_f64 v[161:162], v[161:162], v[6:7], v[167:168]
	v_fma_f64 v[6:7], v[159:160], v[6:7], -v[8:9]
	v_add_f64_e32 v[155:156], v[165:166], v[155:156]
	v_add_f64_e32 v[157:158], v[163:164], v[157:158]
	s_wait_loadcnt_dscnt 0x701
	v_mul_f64_e32 v[163:164], v[2:3], v[12:13]
	v_mul_f64_e32 v[12:13], v[4:5], v[12:13]
	s_delay_alu instid0(VALU_DEP_4) | instskip(NEXT) | instid1(VALU_DEP_4)
	v_add_f64_e32 v[8:9], v[155:156], v[171:172]
	v_add_f64_e32 v[155:156], v[157:158], v[169:170]
	s_wait_loadcnt_dscnt 0x600
	v_mul_f64_e32 v[157:158], v[42:43], v[16:17]
	v_mul_f64_e32 v[16:17], v[44:45], v[16:17]
	v_fma_f64 v[159:160], v[4:5], v[10:11], v[163:164]
	v_fma_f64 v[10:11], v[2:3], v[10:11], -v[12:13]
	v_add_f64_e32 v[12:13], v[8:9], v[6:7]
	v_add_f64_e32 v[155:156], v[155:156], v[161:162]
	ds_load_b128 v[2:5], v1 offset:1568
	ds_load_b128 v[6:9], v1 offset:1584
	v_fma_f64 v[44:45], v[44:45], v[14:15], v[157:158]
	v_fma_f64 v[14:15], v[42:43], v[14:15], -v[16:17]
	s_wait_loadcnt_dscnt 0x501
	v_mul_f64_e32 v[161:162], v[2:3], v[20:21]
	v_mul_f64_e32 v[20:21], v[4:5], v[20:21]
	s_wait_loadcnt_dscnt 0x400
	v_mul_f64_e32 v[16:17], v[6:7], v[24:25]
	v_mul_f64_e32 v[24:25], v[8:9], v[24:25]
	v_add_f64_e32 v[10:11], v[12:13], v[10:11]
	v_add_f64_e32 v[12:13], v[155:156], v[159:160]
	v_fma_f64 v[42:43], v[4:5], v[18:19], v[161:162]
	v_fma_f64 v[18:19], v[2:3], v[18:19], -v[20:21]
	v_fma_f64 v[8:9], v[8:9], v[22:23], v[16:17]
	v_fma_f64 v[6:7], v[6:7], v[22:23], -v[24:25]
	v_add_f64_e32 v[14:15], v[10:11], v[14:15]
	v_add_f64_e32 v[20:21], v[12:13], v[44:45]
	ds_load_b128 v[2:5], v1 offset:1600
	ds_load_b128 v[10:13], v1 offset:1616
	s_wait_loadcnt_dscnt 0x301
	v_mul_f64_e32 v[44:45], v[2:3], v[28:29]
	v_mul_f64_e32 v[28:29], v[4:5], v[28:29]
	v_add_f64_e32 v[14:15], v[14:15], v[18:19]
	v_add_f64_e32 v[16:17], v[20:21], v[42:43]
	s_wait_loadcnt_dscnt 0x200
	v_mul_f64_e32 v[18:19], v[10:11], v[32:33]
	v_mul_f64_e32 v[20:21], v[12:13], v[32:33]
	v_fma_f64 v[22:23], v[4:5], v[26:27], v[44:45]
	v_fma_f64 v[24:25], v[2:3], v[26:27], -v[28:29]
	v_add_f64_e32 v[14:15], v[14:15], v[6:7]
	v_add_f64_e32 v[16:17], v[16:17], v[8:9]
	ds_load_b128 v[2:5], v1 offset:1632
	ds_load_b128 v[6:9], v1 offset:1648
	v_fma_f64 v[12:13], v[12:13], v[30:31], v[18:19]
	v_fma_f64 v[10:11], v[10:11], v[30:31], -v[20:21]
	s_wait_loadcnt_dscnt 0x101
	v_mul_f64_e32 v[26:27], v[2:3], v[36:37]
	v_mul_f64_e32 v[28:29], v[4:5], v[36:37]
	s_wait_loadcnt_dscnt 0x0
	v_mul_f64_e32 v[18:19], v[6:7], v[40:41]
	v_mul_f64_e32 v[20:21], v[8:9], v[40:41]
	v_add_f64_e32 v[14:15], v[14:15], v[24:25]
	v_add_f64_e32 v[16:17], v[16:17], v[22:23]
	v_fma_f64 v[4:5], v[4:5], v[34:35], v[26:27]
	v_fma_f64 v[1:2], v[2:3], v[34:35], -v[28:29]
	v_fma_f64 v[8:9], v[8:9], v[38:39], v[18:19]
	v_fma_f64 v[6:7], v[6:7], v[38:39], -v[20:21]
	v_add_f64_e32 v[10:11], v[14:15], v[10:11]
	v_add_f64_e32 v[12:13], v[16:17], v[12:13]
	s_delay_alu instid0(VALU_DEP_2) | instskip(NEXT) | instid1(VALU_DEP_2)
	v_add_f64_e32 v[1:2], v[10:11], v[1:2]
	v_add_f64_e32 v[3:4], v[12:13], v[4:5]
	s_delay_alu instid0(VALU_DEP_2) | instskip(NEXT) | instid1(VALU_DEP_2)
	;; [unrolled: 3-line block ×3, first 2 shown]
	v_add_f64_e64 v[1:2], v[151:152], -v[1:2]
	v_add_f64_e64 v[3:4], v[153:154], -v[3:4]
	scratch_store_b128 off, v[1:4], off offset:32
	v_cmpx_ne_u32_e32 0, v0
	s_cbranch_execz .LBB51_325
; %bb.324:
	scratch_load_b128 v[0:3], off, off offset:16
	v_mov_b32_e32 v4, 0
	s_delay_alu instid0(VALU_DEP_1)
	v_dual_mov_b32 v5, v4 :: v_dual_mov_b32 v6, v4
	v_mov_b32_e32 v7, v4
	scratch_store_b128 off, v[4:7], off offset:16
	s_wait_loadcnt 0x0
	ds_store_b128 v150, v[0:3]
.LBB51_325:
	s_wait_alu 0xfffe
	s_or_b32 exec_lo, exec_lo, s0
	s_wait_storecnt_dscnt 0x0
	s_barrier_signal -1
	s_barrier_wait -1
	global_inv scope:SCOPE_SE
	s_clause 0x7
	scratch_load_b128 v[0:3], off, off offset:32
	scratch_load_b128 v[4:7], off, off offset:48
	;; [unrolled: 1-line block ×8, first 2 shown]
	v_mov_b32_e32 v40, 0
	s_and_b32 vcc_lo, exec_lo, s18
	ds_load_b128 v[36:39], v40 offset:848
	s_clause 0x1
	scratch_load_b128 v[32:35], off, off offset:160
	scratch_load_b128 v[41:44], off, off offset:16
	ds_load_b128 v[150:153], v40 offset:864
	scratch_load_b128 v[154:157], off, off offset:176
	s_wait_loadcnt_dscnt 0xa01
	v_mul_f64_e32 v[158:159], v[38:39], v[2:3]
	v_mul_f64_e32 v[2:3], v[36:37], v[2:3]
	s_delay_alu instid0(VALU_DEP_2) | instskip(NEXT) | instid1(VALU_DEP_2)
	v_fma_f64 v[164:165], v[36:37], v[0:1], -v[158:159]
	v_fma_f64 v[166:167], v[38:39], v[0:1], v[2:3]
	ds_load_b128 v[0:3], v40 offset:880
	s_wait_loadcnt_dscnt 0x901
	v_mul_f64_e32 v[162:163], v[150:151], v[6:7]
	v_mul_f64_e32 v[6:7], v[152:153], v[6:7]
	scratch_load_b128 v[36:39], off, off offset:192
	ds_load_b128 v[158:161], v40 offset:896
	s_wait_loadcnt_dscnt 0x901
	v_mul_f64_e32 v[168:169], v[0:1], v[10:11]
	v_mul_f64_e32 v[10:11], v[2:3], v[10:11]
	v_fma_f64 v[152:153], v[152:153], v[4:5], v[162:163]
	v_fma_f64 v[150:151], v[150:151], v[4:5], -v[6:7]
	v_add_f64_e32 v[162:163], 0, v[164:165]
	v_add_f64_e32 v[164:165], 0, v[166:167]
	scratch_load_b128 v[4:7], off, off offset:208
	v_fma_f64 v[168:169], v[2:3], v[8:9], v[168:169]
	v_fma_f64 v[170:171], v[0:1], v[8:9], -v[10:11]
	ds_load_b128 v[0:3], v40 offset:912
	s_wait_loadcnt_dscnt 0x901
	v_mul_f64_e32 v[166:167], v[158:159], v[14:15]
	v_mul_f64_e32 v[14:15], v[160:161], v[14:15]
	scratch_load_b128 v[8:11], off, off offset:224
	v_add_f64_e32 v[162:163], v[162:163], v[150:151]
	v_add_f64_e32 v[164:165], v[164:165], v[152:153]
	s_wait_loadcnt_dscnt 0x900
	v_mul_f64_e32 v[172:173], v[0:1], v[18:19]
	v_mul_f64_e32 v[18:19], v[2:3], v[18:19]
	ds_load_b128 v[150:153], v40 offset:928
	v_fma_f64 v[160:161], v[160:161], v[12:13], v[166:167]
	v_fma_f64 v[158:159], v[158:159], v[12:13], -v[14:15]
	scratch_load_b128 v[12:15], off, off offset:240
	v_add_f64_e32 v[162:163], v[162:163], v[170:171]
	v_add_f64_e32 v[164:165], v[164:165], v[168:169]
	v_fma_f64 v[168:169], v[2:3], v[16:17], v[172:173]
	v_fma_f64 v[170:171], v[0:1], v[16:17], -v[18:19]
	ds_load_b128 v[0:3], v40 offset:944
	s_wait_loadcnt_dscnt 0x901
	v_mul_f64_e32 v[166:167], v[150:151], v[22:23]
	v_mul_f64_e32 v[22:23], v[152:153], v[22:23]
	scratch_load_b128 v[16:19], off, off offset:256
	s_wait_loadcnt_dscnt 0x900
	v_mul_f64_e32 v[172:173], v[0:1], v[26:27]
	v_mul_f64_e32 v[26:27], v[2:3], v[26:27]
	v_add_f64_e32 v[162:163], v[162:163], v[158:159]
	v_add_f64_e32 v[164:165], v[164:165], v[160:161]
	ds_load_b128 v[158:161], v40 offset:960
	v_fma_f64 v[152:153], v[152:153], v[20:21], v[166:167]
	v_fma_f64 v[150:151], v[150:151], v[20:21], -v[22:23]
	scratch_load_b128 v[20:23], off, off offset:272
	v_add_f64_e32 v[162:163], v[162:163], v[170:171]
	v_add_f64_e32 v[164:165], v[164:165], v[168:169]
	v_fma_f64 v[168:169], v[2:3], v[24:25], v[172:173]
	v_fma_f64 v[170:171], v[0:1], v[24:25], -v[26:27]
	ds_load_b128 v[0:3], v40 offset:976
	s_wait_loadcnt_dscnt 0x901
	v_mul_f64_e32 v[166:167], v[158:159], v[30:31]
	v_mul_f64_e32 v[30:31], v[160:161], v[30:31]
	scratch_load_b128 v[24:27], off, off offset:288
	s_wait_loadcnt_dscnt 0x900
	v_mul_f64_e32 v[172:173], v[0:1], v[34:35]
	v_mul_f64_e32 v[34:35], v[2:3], v[34:35]
	v_add_f64_e32 v[162:163], v[162:163], v[150:151]
	v_add_f64_e32 v[164:165], v[164:165], v[152:153]
	ds_load_b128 v[150:153], v40 offset:992
	v_fma_f64 v[160:161], v[160:161], v[28:29], v[166:167]
	v_fma_f64 v[158:159], v[158:159], v[28:29], -v[30:31]
	scratch_load_b128 v[28:31], off, off offset:304
	v_add_f64_e32 v[162:163], v[162:163], v[170:171]
	v_add_f64_e32 v[164:165], v[164:165], v[168:169]
	v_fma_f64 v[170:171], v[2:3], v[32:33], v[172:173]
	v_fma_f64 v[172:173], v[0:1], v[32:33], -v[34:35]
	ds_load_b128 v[0:3], v40 offset:1008
	s_wait_loadcnt_dscnt 0x801
	v_mul_f64_e32 v[166:167], v[150:151], v[156:157]
	v_mul_f64_e32 v[168:169], v[152:153], v[156:157]
	scratch_load_b128 v[32:35], off, off offset:320
	v_add_f64_e32 v[162:163], v[162:163], v[158:159]
	v_add_f64_e32 v[160:161], v[164:165], v[160:161]
	ds_load_b128 v[156:159], v40 offset:1024
	v_fma_f64 v[166:167], v[152:153], v[154:155], v[166:167]
	v_fma_f64 v[154:155], v[150:151], v[154:155], -v[168:169]
	scratch_load_b128 v[150:153], off, off offset:336
	s_wait_loadcnt_dscnt 0x901
	v_mul_f64_e32 v[164:165], v[0:1], v[38:39]
	v_mul_f64_e32 v[38:39], v[2:3], v[38:39]
	v_add_f64_e32 v[162:163], v[162:163], v[172:173]
	v_add_f64_e32 v[160:161], v[160:161], v[170:171]
	s_delay_alu instid0(VALU_DEP_4) | instskip(NEXT) | instid1(VALU_DEP_4)
	v_fma_f64 v[164:165], v[2:3], v[36:37], v[164:165]
	v_fma_f64 v[170:171], v[0:1], v[36:37], -v[38:39]
	ds_load_b128 v[0:3], v40 offset:1040
	s_wait_loadcnt_dscnt 0x801
	v_mul_f64_e32 v[168:169], v[156:157], v[6:7]
	v_mul_f64_e32 v[6:7], v[158:159], v[6:7]
	scratch_load_b128 v[36:39], off, off offset:352
	s_wait_loadcnt_dscnt 0x800
	v_mul_f64_e32 v[172:173], v[0:1], v[10:11]
	v_add_f64_e32 v[154:155], v[162:163], v[154:155]
	v_add_f64_e32 v[166:167], v[160:161], v[166:167]
	v_mul_f64_e32 v[10:11], v[2:3], v[10:11]
	ds_load_b128 v[160:163], v40 offset:1056
	v_fma_f64 v[158:159], v[158:159], v[4:5], v[168:169]
	v_fma_f64 v[156:157], v[156:157], v[4:5], -v[6:7]
	scratch_load_b128 v[4:7], off, off offset:368
	v_fma_f64 v[168:169], v[2:3], v[8:9], v[172:173]
	v_add_f64_e32 v[154:155], v[154:155], v[170:171]
	v_add_f64_e32 v[164:165], v[166:167], v[164:165]
	v_fma_f64 v[170:171], v[0:1], v[8:9], -v[10:11]
	ds_load_b128 v[0:3], v40 offset:1072
	s_wait_loadcnt_dscnt 0x801
	v_mul_f64_e32 v[166:167], v[160:161], v[14:15]
	v_mul_f64_e32 v[14:15], v[162:163], v[14:15]
	scratch_load_b128 v[8:11], off, off offset:384
	v_add_f64_e32 v[172:173], v[154:155], v[156:157]
	v_add_f64_e32 v[158:159], v[164:165], v[158:159]
	s_wait_loadcnt_dscnt 0x800
	v_mul_f64_e32 v[164:165], v[0:1], v[18:19]
	v_mul_f64_e32 v[18:19], v[2:3], v[18:19]
	v_fma_f64 v[162:163], v[162:163], v[12:13], v[166:167]
	v_fma_f64 v[160:161], v[160:161], v[12:13], -v[14:15]
	ds_load_b128 v[154:157], v40 offset:1088
	scratch_load_b128 v[12:15], off, off offset:400
	v_add_f64_e32 v[166:167], v[172:173], v[170:171]
	v_add_f64_e32 v[158:159], v[158:159], v[168:169]
	v_fma_f64 v[164:165], v[2:3], v[16:17], v[164:165]
	v_fma_f64 v[170:171], v[0:1], v[16:17], -v[18:19]
	ds_load_b128 v[0:3], v40 offset:1104
	s_wait_loadcnt_dscnt 0x801
	v_mul_f64_e32 v[168:169], v[154:155], v[22:23]
	v_mul_f64_e32 v[22:23], v[156:157], v[22:23]
	scratch_load_b128 v[16:19], off, off offset:416
	s_wait_loadcnt_dscnt 0x800
	v_mul_f64_e32 v[172:173], v[0:1], v[26:27]
	v_mul_f64_e32 v[26:27], v[2:3], v[26:27]
	v_add_f64_e32 v[166:167], v[166:167], v[160:161]
	v_add_f64_e32 v[162:163], v[158:159], v[162:163]
	ds_load_b128 v[158:161], v40 offset:1120
	v_fma_f64 v[156:157], v[156:157], v[20:21], v[168:169]
	v_fma_f64 v[154:155], v[154:155], v[20:21], -v[22:23]
	scratch_load_b128 v[20:23], off, off offset:432
	v_fma_f64 v[168:169], v[2:3], v[24:25], v[172:173]
	v_add_f64_e32 v[166:167], v[166:167], v[170:171]
	v_add_f64_e32 v[162:163], v[162:163], v[164:165]
	v_fma_f64 v[170:171], v[0:1], v[24:25], -v[26:27]
	ds_load_b128 v[0:3], v40 offset:1136
	s_wait_loadcnt_dscnt 0x801
	v_mul_f64_e32 v[164:165], v[158:159], v[30:31]
	v_mul_f64_e32 v[30:31], v[160:161], v[30:31]
	scratch_load_b128 v[24:27], off, off offset:448
	s_wait_loadcnt_dscnt 0x800
	v_mul_f64_e32 v[172:173], v[0:1], v[34:35]
	v_mul_f64_e32 v[34:35], v[2:3], v[34:35]
	v_add_f64_e32 v[166:167], v[166:167], v[154:155]
	v_add_f64_e32 v[162:163], v[162:163], v[156:157]
	ds_load_b128 v[154:157], v40 offset:1152
	v_fma_f64 v[160:161], v[160:161], v[28:29], v[164:165]
	v_fma_f64 v[158:159], v[158:159], v[28:29], -v[30:31]
	scratch_load_b128 v[28:31], off, off offset:464
	v_add_f64_e32 v[164:165], v[166:167], v[170:171]
	v_add_f64_e32 v[162:163], v[162:163], v[168:169]
	v_fma_f64 v[168:169], v[2:3], v[32:33], v[172:173]
	v_fma_f64 v[170:171], v[0:1], v[32:33], -v[34:35]
	ds_load_b128 v[0:3], v40 offset:1168
	s_wait_loadcnt_dscnt 0x801
	v_mul_f64_e32 v[166:167], v[154:155], v[152:153]
	v_mul_f64_e32 v[152:153], v[156:157], v[152:153]
	scratch_load_b128 v[32:35], off, off offset:480
	s_wait_loadcnt_dscnt 0x800
	v_mul_f64_e32 v[172:173], v[0:1], v[38:39]
	v_mul_f64_e32 v[38:39], v[2:3], v[38:39]
	v_add_f64_e32 v[164:165], v[164:165], v[158:159]
	v_add_f64_e32 v[162:163], v[162:163], v[160:161]
	ds_load_b128 v[158:161], v40 offset:1184
	v_fma_f64 v[156:157], v[156:157], v[150:151], v[166:167]
	v_fma_f64 v[154:155], v[154:155], v[150:151], -v[152:153]
	scratch_load_b128 v[150:153], off, off offset:496
	v_add_f64_e32 v[164:165], v[164:165], v[170:171]
	v_add_f64_e32 v[162:163], v[162:163], v[168:169]
	v_fma_f64 v[168:169], v[2:3], v[36:37], v[172:173]
	;; [unrolled: 18-line block ×6, first 2 shown]
	v_fma_f64 v[172:173], v[0:1], v[32:33], -v[34:35]
	ds_load_b128 v[0:3], v40 offset:1328
	s_wait_loadcnt_dscnt 0x801
	v_mul_f64_e32 v[166:167], v[158:159], v[152:153]
	v_mul_f64_e32 v[168:169], v[160:161], v[152:153]
	scratch_load_b128 v[32:35], off, off offset:640
	v_add_f64_e32 v[164:165], v[164:165], v[154:155]
	v_add_f64_e32 v[156:157], v[162:163], v[156:157]
	s_wait_loadcnt_dscnt 0x800
	v_mul_f64_e32 v[162:163], v[0:1], v[38:39]
	v_mul_f64_e32 v[38:39], v[2:3], v[38:39]
	ds_load_b128 v[152:155], v40 offset:1344
	v_fma_f64 v[160:161], v[160:161], v[150:151], v[166:167]
	v_fma_f64 v[150:151], v[158:159], v[150:151], -v[168:169]
	v_add_f64_e32 v[164:165], v[164:165], v[172:173]
	v_add_f64_e32 v[166:167], v[156:157], v[170:171]
	scratch_load_b128 v[156:159], off, off offset:656
	v_fma_f64 v[170:171], v[2:3], v[36:37], v[162:163]
	v_fma_f64 v[172:173], v[0:1], v[36:37], -v[38:39]
	ds_load_b128 v[0:3], v40 offset:1360
	s_wait_loadcnt_dscnt 0x801
	v_mul_f64_e32 v[168:169], v[152:153], v[6:7]
	v_mul_f64_e32 v[6:7], v[154:155], v[6:7]
	scratch_load_b128 v[36:39], off, off offset:672
	v_add_f64_e32 v[150:151], v[164:165], v[150:151]
	v_add_f64_e32 v[164:165], v[166:167], v[160:161]
	s_wait_loadcnt_dscnt 0x800
	v_mul_f64_e32 v[166:167], v[0:1], v[10:11]
	v_mul_f64_e32 v[10:11], v[2:3], v[10:11]
	ds_load_b128 v[160:163], v40 offset:1376
	v_fma_f64 v[154:155], v[154:155], v[4:5], v[168:169]
	v_fma_f64 v[152:153], v[152:153], v[4:5], -v[6:7]
	scratch_load_b128 v[4:7], off, off offset:688
	v_add_f64_e32 v[150:151], v[150:151], v[172:173]
	v_add_f64_e32 v[164:165], v[164:165], v[170:171]
	v_fma_f64 v[166:167], v[2:3], v[8:9], v[166:167]
	v_fma_f64 v[170:171], v[0:1], v[8:9], -v[10:11]
	ds_load_b128 v[0:3], v40 offset:1392
	s_wait_loadcnt_dscnt 0x801
	v_mul_f64_e32 v[168:169], v[160:161], v[14:15]
	v_mul_f64_e32 v[14:15], v[162:163], v[14:15]
	scratch_load_b128 v[8:11], off, off offset:704
	v_add_f64_e32 v[172:173], v[150:151], v[152:153]
	v_add_f64_e32 v[154:155], v[164:165], v[154:155]
	s_wait_loadcnt_dscnt 0x800
	v_mul_f64_e32 v[164:165], v[0:1], v[18:19]
	v_mul_f64_e32 v[18:19], v[2:3], v[18:19]
	ds_load_b128 v[150:153], v40 offset:1408
	v_fma_f64 v[162:163], v[162:163], v[12:13], v[168:169]
	v_fma_f64 v[160:161], v[160:161], v[12:13], -v[14:15]
	scratch_load_b128 v[12:15], off, off offset:720
	v_add_f64_e32 v[168:169], v[172:173], v[170:171]
	v_add_f64_e32 v[154:155], v[154:155], v[166:167]
	v_fma_f64 v[164:165], v[2:3], v[16:17], v[164:165]
	v_fma_f64 v[170:171], v[0:1], v[16:17], -v[18:19]
	ds_load_b128 v[0:3], v40 offset:1424
	s_wait_loadcnt_dscnt 0x801
	v_mul_f64_e32 v[166:167], v[150:151], v[22:23]
	v_mul_f64_e32 v[22:23], v[152:153], v[22:23]
	scratch_load_b128 v[16:19], off, off offset:736
	s_wait_loadcnt_dscnt 0x800
	v_mul_f64_e32 v[172:173], v[0:1], v[26:27]
	v_mul_f64_e32 v[26:27], v[2:3], v[26:27]
	v_add_f64_e32 v[168:169], v[168:169], v[160:161]
	v_add_f64_e32 v[154:155], v[154:155], v[162:163]
	ds_load_b128 v[160:163], v40 offset:1440
	v_fma_f64 v[152:153], v[152:153], v[20:21], v[166:167]
	v_fma_f64 v[150:151], v[150:151], v[20:21], -v[22:23]
	scratch_load_b128 v[20:23], off, off offset:752
	v_add_f64_e32 v[166:167], v[168:169], v[170:171]
	v_add_f64_e32 v[154:155], v[154:155], v[164:165]
	v_fma_f64 v[168:169], v[2:3], v[24:25], v[172:173]
	v_fma_f64 v[170:171], v[0:1], v[24:25], -v[26:27]
	ds_load_b128 v[0:3], v40 offset:1456
	s_wait_loadcnt_dscnt 0x801
	v_mul_f64_e32 v[164:165], v[160:161], v[30:31]
	v_mul_f64_e32 v[30:31], v[162:163], v[30:31]
	scratch_load_b128 v[24:27], off, off offset:768
	s_wait_loadcnt_dscnt 0x800
	v_mul_f64_e32 v[172:173], v[0:1], v[34:35]
	v_mul_f64_e32 v[34:35], v[2:3], v[34:35]
	v_add_f64_e32 v[166:167], v[166:167], v[150:151]
	v_add_f64_e32 v[154:155], v[154:155], v[152:153]
	ds_load_b128 v[150:153], v40 offset:1472
	v_fma_f64 v[162:163], v[162:163], v[28:29], v[164:165]
	v_fma_f64 v[160:161], v[160:161], v[28:29], -v[30:31]
	scratch_load_b128 v[28:31], off, off offset:784
	v_add_f64_e32 v[164:165], v[166:167], v[170:171]
	v_add_f64_e32 v[154:155], v[154:155], v[168:169]
	v_fma_f64 v[170:171], v[2:3], v[32:33], v[172:173]
	v_fma_f64 v[172:173], v[0:1], v[32:33], -v[34:35]
	ds_load_b128 v[0:3], v40 offset:1488
	scratch_load_b128 v[32:35], off, off offset:800
	s_wait_loadcnt_dscnt 0x901
	v_mul_f64_e32 v[166:167], v[150:151], v[158:159]
	v_mul_f64_e32 v[168:169], v[152:153], v[158:159]
	v_add_f64_e32 v[164:165], v[164:165], v[160:161]
	v_add_f64_e32 v[154:155], v[154:155], v[162:163]
	s_wait_loadcnt_dscnt 0x800
	v_mul_f64_e32 v[162:163], v[0:1], v[38:39]
	v_mul_f64_e32 v[38:39], v[2:3], v[38:39]
	ds_load_b128 v[158:161], v40 offset:1504
	v_fma_f64 v[166:167], v[152:153], v[156:157], v[166:167]
	v_fma_f64 v[156:157], v[150:151], v[156:157], -v[168:169]
	scratch_load_b128 v[150:153], off, off offset:816
	v_add_f64_e32 v[164:165], v[164:165], v[172:173]
	v_add_f64_e32 v[154:155], v[154:155], v[170:171]
	v_fma_f64 v[162:163], v[2:3], v[36:37], v[162:163]
	v_fma_f64 v[170:171], v[0:1], v[36:37], -v[38:39]
	ds_load_b128 v[0:3], v40 offset:1520
	s_wait_loadcnt_dscnt 0x801
	v_mul_f64_e32 v[168:169], v[158:159], v[6:7]
	v_mul_f64_e32 v[6:7], v[160:161], v[6:7]
	scratch_load_b128 v[36:39], off, off offset:832
	s_wait_loadcnt_dscnt 0x800
	v_mul_f64_e32 v[172:173], v[0:1], v[10:11]
	v_mul_f64_e32 v[10:11], v[2:3], v[10:11]
	v_add_f64_e32 v[164:165], v[164:165], v[156:157]
	v_add_f64_e32 v[166:167], v[154:155], v[166:167]
	ds_load_b128 v[154:157], v40 offset:1536
	v_fma_f64 v[160:161], v[160:161], v[4:5], v[168:169]
	v_fma_f64 v[4:5], v[158:159], v[4:5], -v[6:7]
	v_add_f64_e32 v[6:7], v[164:165], v[170:171]
	v_add_f64_e32 v[158:159], v[166:167], v[162:163]
	s_wait_loadcnt_dscnt 0x700
	v_mul_f64_e32 v[162:163], v[154:155], v[14:15]
	v_mul_f64_e32 v[14:15], v[156:157], v[14:15]
	v_fma_f64 v[164:165], v[2:3], v[8:9], v[172:173]
	v_fma_f64 v[8:9], v[0:1], v[8:9], -v[10:11]
	v_add_f64_e32 v[10:11], v[6:7], v[4:5]
	v_add_f64_e32 v[158:159], v[158:159], v[160:161]
	ds_load_b128 v[0:3], v40 offset:1552
	ds_load_b128 v[4:7], v40 offset:1568
	v_fma_f64 v[156:157], v[156:157], v[12:13], v[162:163]
	v_fma_f64 v[12:13], v[154:155], v[12:13], -v[14:15]
	s_wait_loadcnt_dscnt 0x601
	v_mul_f64_e32 v[160:161], v[0:1], v[18:19]
	v_mul_f64_e32 v[18:19], v[2:3], v[18:19]
	s_wait_loadcnt_dscnt 0x500
	v_mul_f64_e32 v[14:15], v[4:5], v[22:23]
	v_mul_f64_e32 v[22:23], v[6:7], v[22:23]
	v_add_f64_e32 v[8:9], v[10:11], v[8:9]
	v_add_f64_e32 v[10:11], v[158:159], v[164:165]
	v_fma_f64 v[154:155], v[2:3], v[16:17], v[160:161]
	v_fma_f64 v[16:17], v[0:1], v[16:17], -v[18:19]
	v_fma_f64 v[6:7], v[6:7], v[20:21], v[14:15]
	v_fma_f64 v[4:5], v[4:5], v[20:21], -v[22:23]
	v_add_f64_e32 v[12:13], v[8:9], v[12:13]
	v_add_f64_e32 v[18:19], v[10:11], v[156:157]
	ds_load_b128 v[0:3], v40 offset:1584
	ds_load_b128 v[8:11], v40 offset:1600
	s_wait_loadcnt_dscnt 0x401
	v_mul_f64_e32 v[156:157], v[0:1], v[26:27]
	v_mul_f64_e32 v[26:27], v[2:3], v[26:27]
	v_add_f64_e32 v[12:13], v[12:13], v[16:17]
	v_add_f64_e32 v[14:15], v[18:19], v[154:155]
	s_wait_loadcnt_dscnt 0x300
	v_mul_f64_e32 v[16:17], v[8:9], v[30:31]
	v_mul_f64_e32 v[18:19], v[10:11], v[30:31]
	v_fma_f64 v[20:21], v[2:3], v[24:25], v[156:157]
	v_fma_f64 v[22:23], v[0:1], v[24:25], -v[26:27]
	v_add_f64_e32 v[12:13], v[12:13], v[4:5]
	v_add_f64_e32 v[14:15], v[14:15], v[6:7]
	ds_load_b128 v[0:3], v40 offset:1616
	ds_load_b128 v[4:7], v40 offset:1632
	v_fma_f64 v[10:11], v[10:11], v[28:29], v[16:17]
	v_fma_f64 v[8:9], v[8:9], v[28:29], -v[18:19]
	s_wait_loadcnt_dscnt 0x201
	v_mul_f64_e32 v[24:25], v[0:1], v[34:35]
	v_mul_f64_e32 v[26:27], v[2:3], v[34:35]
	s_wait_loadcnt_dscnt 0x100
	v_mul_f64_e32 v[16:17], v[4:5], v[152:153]
	v_mul_f64_e32 v[18:19], v[6:7], v[152:153]
	v_add_f64_e32 v[12:13], v[12:13], v[22:23]
	v_add_f64_e32 v[14:15], v[14:15], v[20:21]
	v_fma_f64 v[20:21], v[2:3], v[32:33], v[24:25]
	v_fma_f64 v[22:23], v[0:1], v[32:33], -v[26:27]
	ds_load_b128 v[0:3], v40 offset:1648
	v_fma_f64 v[6:7], v[6:7], v[150:151], v[16:17]
	v_fma_f64 v[4:5], v[4:5], v[150:151], -v[18:19]
	v_add_f64_e32 v[8:9], v[12:13], v[8:9]
	v_add_f64_e32 v[10:11], v[14:15], v[10:11]
	s_wait_loadcnt_dscnt 0x0
	v_mul_f64_e32 v[12:13], v[0:1], v[38:39]
	v_mul_f64_e32 v[14:15], v[2:3], v[38:39]
	s_delay_alu instid0(VALU_DEP_4) | instskip(NEXT) | instid1(VALU_DEP_4)
	v_add_f64_e32 v[8:9], v[8:9], v[22:23]
	v_add_f64_e32 v[10:11], v[10:11], v[20:21]
	s_delay_alu instid0(VALU_DEP_4) | instskip(NEXT) | instid1(VALU_DEP_4)
	v_fma_f64 v[2:3], v[2:3], v[36:37], v[12:13]
	v_fma_f64 v[0:1], v[0:1], v[36:37], -v[14:15]
	s_delay_alu instid0(VALU_DEP_4) | instskip(NEXT) | instid1(VALU_DEP_4)
	v_add_f64_e32 v[4:5], v[8:9], v[4:5]
	v_add_f64_e32 v[6:7], v[10:11], v[6:7]
	s_delay_alu instid0(VALU_DEP_2) | instskip(NEXT) | instid1(VALU_DEP_2)
	v_add_f64_e32 v[0:1], v[4:5], v[0:1]
	v_add_f64_e32 v[2:3], v[6:7], v[2:3]
	s_delay_alu instid0(VALU_DEP_2) | instskip(NEXT) | instid1(VALU_DEP_2)
	v_add_f64_e64 v[0:1], v[41:42], -v[0:1]
	v_add_f64_e64 v[2:3], v[43:44], -v[2:3]
	scratch_store_b128 off, v[0:3], off offset:16
	s_wait_alu 0xfffe
	s_cbranch_vccz .LBB51_428
; %bb.326:
	global_load_b32 v0, v40, s[2:3] offset:200
	s_wait_loadcnt 0x0
	v_cmp_ne_u32_e32 vcc_lo, 51, v0
	s_cbranch_vccz .LBB51_328
; %bb.327:
	v_lshlrev_b32_e32 v0, 4, v0
	s_delay_alu instid0(VALU_DEP_1)
	v_add_nc_u32_e32 v8, 16, v0
	s_clause 0x1
	scratch_load_b128 v[0:3], v8, off offset:-16
	scratch_load_b128 v[4:7], off, s33
	s_wait_loadcnt 0x1
	scratch_store_b128 off, v[0:3], s33
	s_wait_loadcnt 0x0
	scratch_store_b128 v8, v[4:7], off offset:-16
.LBB51_328:
	v_mov_b32_e32 v0, 0
	global_load_b32 v1, v0, s[2:3] offset:196
	s_wait_loadcnt 0x0
	v_cmp_eq_u32_e32 vcc_lo, 50, v1
	s_cbranch_vccnz .LBB51_330
; %bb.329:
	v_lshlrev_b32_e32 v1, 4, v1
	s_delay_alu instid0(VALU_DEP_1)
	v_add_nc_u32_e32 v9, 16, v1
	s_clause 0x1
	scratch_load_b128 v[1:4], v9, off offset:-16
	scratch_load_b128 v[5:8], off, s31
	s_wait_loadcnt 0x1
	scratch_store_b128 off, v[1:4], s31
	s_wait_loadcnt 0x0
	scratch_store_b128 v9, v[5:8], off offset:-16
.LBB51_330:
	global_load_b32 v0, v0, s[2:3] offset:192
	s_wait_loadcnt 0x0
	v_cmp_eq_u32_e32 vcc_lo, 49, v0
	s_cbranch_vccnz .LBB51_332
; %bb.331:
	v_lshlrev_b32_e32 v0, 4, v0
	s_delay_alu instid0(VALU_DEP_1)
	v_add_nc_u32_e32 v8, 16, v0
	s_clause 0x1
	scratch_load_b128 v[0:3], v8, off offset:-16
	scratch_load_b128 v[4:7], off, s37
	s_wait_loadcnt 0x1
	scratch_store_b128 off, v[0:3], s37
	s_wait_loadcnt 0x0
	scratch_store_b128 v8, v[4:7], off offset:-16
.LBB51_332:
	v_mov_b32_e32 v0, 0
	global_load_b32 v1, v0, s[2:3] offset:188
	s_wait_loadcnt 0x0
	v_cmp_eq_u32_e32 vcc_lo, 48, v1
	s_cbranch_vccnz .LBB51_334
; %bb.333:
	v_lshlrev_b32_e32 v1, 4, v1
	s_delay_alu instid0(VALU_DEP_1)
	v_add_nc_u32_e32 v9, 16, v1
	s_clause 0x1
	scratch_load_b128 v[1:4], v9, off offset:-16
	scratch_load_b128 v[5:8], off, s36
	s_wait_loadcnt 0x1
	scratch_store_b128 off, v[1:4], s36
	s_wait_loadcnt 0x0
	scratch_store_b128 v9, v[5:8], off offset:-16
.LBB51_334:
	global_load_b32 v0, v0, s[2:3] offset:184
	s_wait_loadcnt 0x0
	v_cmp_eq_u32_e32 vcc_lo, 47, v0
	s_cbranch_vccnz .LBB51_336
; %bb.335:
	v_lshlrev_b32_e32 v0, 4, v0
	s_delay_alu instid0(VALU_DEP_1)
	v_add_nc_u32_e32 v8, 16, v0
	s_clause 0x1
	scratch_load_b128 v[0:3], v8, off offset:-16
	scratch_load_b128 v[4:7], off, s40
	s_wait_loadcnt 0x1
	scratch_store_b128 off, v[0:3], s40
	s_wait_loadcnt 0x0
	scratch_store_b128 v8, v[4:7], off offset:-16
.LBB51_336:
	;; [unrolled: 33-line block ×24, first 2 shown]
	v_mov_b32_e32 v0, 0
	global_load_b32 v1, v0, s[2:3] offset:4
	s_wait_loadcnt 0x0
	v_cmp_eq_u32_e32 vcc_lo, 2, v1
	s_cbranch_vccnz .LBB51_426
; %bb.425:
	v_lshlrev_b32_e32 v1, 4, v1
	s_delay_alu instid0(VALU_DEP_1)
	v_add_nc_u32_e32 v9, 16, v1
	s_clause 0x1
	scratch_load_b128 v[1:4], v9, off offset:-16
	scratch_load_b128 v[5:8], off, s44
	s_wait_loadcnt 0x1
	scratch_store_b128 off, v[1:4], s44
	s_wait_loadcnt 0x0
	scratch_store_b128 v9, v[5:8], off offset:-16
.LBB51_426:
	global_load_b32 v0, v0, s[2:3]
	s_wait_loadcnt 0x0
	v_cmp_eq_u32_e32 vcc_lo, 1, v0
	s_cbranch_vccnz .LBB51_428
; %bb.427:
	v_lshlrev_b32_e32 v0, 4, v0
	s_delay_alu instid0(VALU_DEP_1)
	v_add_nc_u32_e32 v8, 16, v0
	scratch_load_b128 v[0:3], v8, off offset:-16
	scratch_load_b128 v[4:7], off, off offset:16
	s_wait_loadcnt 0x1
	scratch_store_b128 off, v[0:3], off offset:16
	s_wait_loadcnt 0x0
	scratch_store_b128 v8, v[4:7], off offset:-16
.LBB51_428:
	scratch_load_b128 v[0:3], off, off offset:16
	s_clause 0x13
	scratch_load_b128 v[4:7], off, s44
	scratch_load_b128 v[8:11], off, s43
	;; [unrolled: 1-line block ×20, first 2 shown]
	s_wait_loadcnt 0x14
	global_store_b128 v[46:47], v[0:3], off
	scratch_load_b128 v[0:3], off, s38
	s_wait_loadcnt 0x14
	global_store_b128 v[48:49], v[4:7], off
	s_clause 0x1
	scratch_load_b128 v[4:7], off, s34
	scratch_load_b128 v[44:47], off, s35
	s_wait_loadcnt 0x15
	global_store_b128 v[50:51], v[8:11], off
	s_wait_loadcnt 0x14
	global_store_b128 v[52:53], v[12:15], off
	s_clause 0x1
	scratch_load_b128 v[8:11], off, s29
	scratch_load_b128 v[12:15], off, s30
	s_wait_loadcnt 0x15
	global_store_b128 v[54:55], v[16:19], off
	s_clause 0x1
	scratch_load_b128 v[16:19], off, s27
	scratch_load_b128 v[48:51], off, s28
	s_wait_loadcnt 0x16
	global_store_b128 v[56:57], v[20:23], off
	s_clause 0x1
	scratch_load_b128 v[20:23], off, s25
	scratch_load_b128 v[52:55], off, s26
	s_wait_loadcnt 0x17
	global_store_b128 v[58:59], v[24:27], off
	s_wait_loadcnt 0x16
	global_store_b128 v[60:61], v[28:31], off
	s_clause 0x1
	scratch_load_b128 v[24:27], off, s23
	scratch_load_b128 v[28:31], off, s24
	s_wait_loadcnt 0x17
	global_store_b128 v[62:63], v[32:35], off
	s_clause 0x1
	scratch_load_b128 v[32:35], off, s21
	;; [unrolled: 17-line block ×5, first 2 shown]
	scratch_load_b128 v[84:87], off, s33
	s_wait_loadcnt 0x1d
	global_store_b128 v[88:89], v[4:7], off
	s_wait_loadcnt 0x1c
	global_store_b128 v[90:91], v[44:47], off
	;; [unrolled: 2-line block ×29, first 2 shown]
	s_wait_loadcnt 0x0
	s_clause 0x1
	global_store_b128 v[146:147], v[84:87], off
	global_store_b128 v[148:149], v[186:189], off
	s_nop 0
	s_sendmsg sendmsg(MSG_DEALLOC_VGPRS)
	s_endpgm
	.section	.rodata,"a",@progbits
	.p2align	6, 0x0
	.amdhsa_kernel _ZN9rocsolver6v33100L18getri_kernel_smallILi52E19rocblas_complex_numIdEPS3_EEvT1_iilPiilS6_bb
		.amdhsa_group_segment_fixed_size 1672
		.amdhsa_private_segment_fixed_size 864
		.amdhsa_kernarg_size 60
		.amdhsa_user_sgpr_count 2
		.amdhsa_user_sgpr_dispatch_ptr 0
		.amdhsa_user_sgpr_queue_ptr 0
		.amdhsa_user_sgpr_kernarg_segment_ptr 1
		.amdhsa_user_sgpr_dispatch_id 0
		.amdhsa_user_sgpr_private_segment_size 0
		.amdhsa_wavefront_size32 1
		.amdhsa_uses_dynamic_stack 0
		.amdhsa_enable_private_segment 1
		.amdhsa_system_sgpr_workgroup_id_x 1
		.amdhsa_system_sgpr_workgroup_id_y 0
		.amdhsa_system_sgpr_workgroup_id_z 0
		.amdhsa_system_sgpr_workgroup_info 0
		.amdhsa_system_vgpr_workitem_id 0
		.amdhsa_next_free_vgpr 206
		.amdhsa_next_free_sgpr 80
		.amdhsa_reserve_vcc 1
		.amdhsa_float_round_mode_32 0
		.amdhsa_float_round_mode_16_64 0
		.amdhsa_float_denorm_mode_32 3
		.amdhsa_float_denorm_mode_16_64 3
		.amdhsa_fp16_overflow 0
		.amdhsa_workgroup_processor_mode 1
		.amdhsa_memory_ordered 1
		.amdhsa_forward_progress 1
		.amdhsa_inst_pref_size 255
		.amdhsa_round_robin_scheduling 0
		.amdhsa_exception_fp_ieee_invalid_op 0
		.amdhsa_exception_fp_denorm_src 0
		.amdhsa_exception_fp_ieee_div_zero 0
		.amdhsa_exception_fp_ieee_overflow 0
		.amdhsa_exception_fp_ieee_underflow 0
		.amdhsa_exception_fp_ieee_inexact 0
		.amdhsa_exception_int_div_zero 0
	.end_amdhsa_kernel
	.section	.text._ZN9rocsolver6v33100L18getri_kernel_smallILi52E19rocblas_complex_numIdEPS3_EEvT1_iilPiilS6_bb,"axG",@progbits,_ZN9rocsolver6v33100L18getri_kernel_smallILi52E19rocblas_complex_numIdEPS3_EEvT1_iilPiilS6_bb,comdat
.Lfunc_end51:
	.size	_ZN9rocsolver6v33100L18getri_kernel_smallILi52E19rocblas_complex_numIdEPS3_EEvT1_iilPiilS6_bb, .Lfunc_end51-_ZN9rocsolver6v33100L18getri_kernel_smallILi52E19rocblas_complex_numIdEPS3_EEvT1_iilPiilS6_bb
                                        ; -- End function
	.set _ZN9rocsolver6v33100L18getri_kernel_smallILi52E19rocblas_complex_numIdEPS3_EEvT1_iilPiilS6_bb.num_vgpr, 206
	.set _ZN9rocsolver6v33100L18getri_kernel_smallILi52E19rocblas_complex_numIdEPS3_EEvT1_iilPiilS6_bb.num_agpr, 0
	.set _ZN9rocsolver6v33100L18getri_kernel_smallILi52E19rocblas_complex_numIdEPS3_EEvT1_iilPiilS6_bb.numbered_sgpr, 80
	.set _ZN9rocsolver6v33100L18getri_kernel_smallILi52E19rocblas_complex_numIdEPS3_EEvT1_iilPiilS6_bb.num_named_barrier, 0
	.set _ZN9rocsolver6v33100L18getri_kernel_smallILi52E19rocblas_complex_numIdEPS3_EEvT1_iilPiilS6_bb.private_seg_size, 864
	.set _ZN9rocsolver6v33100L18getri_kernel_smallILi52E19rocblas_complex_numIdEPS3_EEvT1_iilPiilS6_bb.uses_vcc, 1
	.set _ZN9rocsolver6v33100L18getri_kernel_smallILi52E19rocblas_complex_numIdEPS3_EEvT1_iilPiilS6_bb.uses_flat_scratch, 1
	.set _ZN9rocsolver6v33100L18getri_kernel_smallILi52E19rocblas_complex_numIdEPS3_EEvT1_iilPiilS6_bb.has_dyn_sized_stack, 0
	.set _ZN9rocsolver6v33100L18getri_kernel_smallILi52E19rocblas_complex_numIdEPS3_EEvT1_iilPiilS6_bb.has_recursion, 0
	.set _ZN9rocsolver6v33100L18getri_kernel_smallILi52E19rocblas_complex_numIdEPS3_EEvT1_iilPiilS6_bb.has_indirect_call, 0
	.section	.AMDGPU.csdata,"",@progbits
; Kernel info:
; codeLenInByte = 109176
; TotalNumSgprs: 82
; NumVgprs: 206
; ScratchSize: 864
; MemoryBound: 0
; FloatMode: 240
; IeeeMode: 1
; LDSByteSize: 1672 bytes/workgroup (compile time only)
; SGPRBlocks: 0
; VGPRBlocks: 25
; NumSGPRsForWavesPerEU: 82
; NumVGPRsForWavesPerEU: 206
; Occupancy: 7
; WaveLimiterHint : 1
; COMPUTE_PGM_RSRC2:SCRATCH_EN: 1
; COMPUTE_PGM_RSRC2:USER_SGPR: 2
; COMPUTE_PGM_RSRC2:TRAP_HANDLER: 0
; COMPUTE_PGM_RSRC2:TGID_X_EN: 1
; COMPUTE_PGM_RSRC2:TGID_Y_EN: 0
; COMPUTE_PGM_RSRC2:TGID_Z_EN: 0
; COMPUTE_PGM_RSRC2:TIDIG_COMP_CNT: 0
	.section	.text._ZN9rocsolver6v33100L18getri_kernel_smallILi53E19rocblas_complex_numIdEPS3_EEvT1_iilPiilS6_bb,"axG",@progbits,_ZN9rocsolver6v33100L18getri_kernel_smallILi53E19rocblas_complex_numIdEPS3_EEvT1_iilPiilS6_bb,comdat
	.globl	_ZN9rocsolver6v33100L18getri_kernel_smallILi53E19rocblas_complex_numIdEPS3_EEvT1_iilPiilS6_bb ; -- Begin function _ZN9rocsolver6v33100L18getri_kernel_smallILi53E19rocblas_complex_numIdEPS3_EEvT1_iilPiilS6_bb
	.p2align	8
	.type	_ZN9rocsolver6v33100L18getri_kernel_smallILi53E19rocblas_complex_numIdEPS3_EEvT1_iilPiilS6_bb,@function
_ZN9rocsolver6v33100L18getri_kernel_smallILi53E19rocblas_complex_numIdEPS3_EEvT1_iilPiilS6_bb: ; @_ZN9rocsolver6v33100L18getri_kernel_smallILi53E19rocblas_complex_numIdEPS3_EEvT1_iilPiilS6_bb
; %bb.0:
	s_mov_b32 s2, exec_lo
	v_cmpx_gt_u32_e32 53, v0
	s_cbranch_execz .LBB52_226
; %bb.1:
	s_clause 0x2
	s_load_b32 s2, s[0:1], 0x38
	s_load_b128 s[12:15], s[0:1], 0x10
	s_load_b128 s[4:7], s[0:1], 0x28
	s_mov_b32 s16, ttmp9
	s_wait_kmcnt 0x0
	s_bitcmp1_b32 s2, 8
	s_cselect_b32 s18, -1, 0
	s_bfe_u32 s2, s2, 0x10008
	s_ashr_i32 s17, ttmp9, 31
	s_cmp_eq_u32 s2, 0
                                        ; implicit-def: $sgpr2_sgpr3
	s_cbranch_scc1 .LBB52_3
; %bb.2:
	s_load_b32 s2, s[0:1], 0x20
	s_mul_u64 s[4:5], s[4:5], s[16:17]
	s_delay_alu instid0(SALU_CYCLE_1) | instskip(NEXT) | instid1(SALU_CYCLE_1)
	s_lshl_b64 s[4:5], s[4:5], 2
	s_add_nc_u64 s[4:5], s[14:15], s[4:5]
	s_wait_kmcnt 0x0
	s_ashr_i32 s3, s2, 31
	s_delay_alu instid0(SALU_CYCLE_1) | instskip(NEXT) | instid1(SALU_CYCLE_1)
	s_lshl_b64 s[2:3], s[2:3], 2
	s_add_nc_u64 s[2:3], s[4:5], s[2:3]
.LBB52_3:
	s_clause 0x1
	s_load_b128 s[8:11], s[0:1], 0x0
	s_load_b32 s62, s[0:1], 0x38
	s_mul_u64 s[0:1], s[12:13], s[16:17]
	v_lshlrev_b32_e32 v13, 4, v0
	s_lshl_b64 s[0:1], s[0:1], 4
	s_movk_i32 s12, 0xd0
	s_movk_i32 s13, 0xe0
	;; [unrolled: 1-line block ×15, first 2 shown]
	s_wait_kmcnt 0x0
	v_add3_u32 v5, s11, s11, v0
	s_ashr_i32 s5, s10, 31
	s_mov_b32 s4, s10
	s_add_nc_u64 s[0:1], s[8:9], s[0:1]
	s_lshl_b64 s[4:5], s[4:5], 4
	v_add_nc_u32_e32 v7, s11, v5
	v_ashrrev_i32_e32 v6, 31, v5
	s_add_nc_u64 s[0:1], s[0:1], s[4:5]
	s_ashr_i32 s9, s11, 31
	v_add_co_u32 v46, s4, s0, v13
	v_add_nc_u32_e32 v9, s11, v7
	s_mov_b32 s8, s11
	v_ashrrev_i32_e32 v8, 31, v7
	v_lshlrev_b64_e32 v[11:12], 4, v[5:6]
	v_add_co_ci_u32_e64 v47, null, s1, 0, s4
	v_add_nc_u32_e32 v16, s11, v9
	s_lshl_b64 s[8:9], s[8:9], 4
	v_ashrrev_i32_e32 v10, 31, v9
	v_add_co_u32 v48, vcc_lo, v46, s8
	s_delay_alu instid0(VALU_DEP_3) | instskip(SKIP_3) | instid1(VALU_DEP_4)
	v_add_nc_u32_e32 v18, s11, v16
	v_lshlrev_b64_e32 v[14:15], 4, v[7:8]
	v_ashrrev_i32_e32 v17, 31, v16
	v_add_co_ci_u32_e64 v49, null, s9, v47, vcc_lo
	v_add_nc_u32_e32 v22, s11, v18
	v_add_co_u32 v50, vcc_lo, s0, v11
	v_ashrrev_i32_e32 v19, 31, v18
	s_wait_alu 0xfffd
	v_add_co_ci_u32_e64 v51, null, s1, v12, vcc_lo
	v_lshlrev_b64_e32 v[11:12], 4, v[9:10]
	v_ashrrev_i32_e32 v23, 31, v22
	v_add_nc_u32_e32 v26, s11, v22
	v_lshlrev_b64_e32 v[9:10], 4, v[16:17]
	v_add_co_u32 v52, vcc_lo, s0, v14
	v_lshlrev_b64_e32 v[24:25], 4, v[18:19]
	s_wait_alu 0xfffd
	v_add_co_ci_u32_e64 v53, null, s1, v15, vcc_lo
	v_add_co_u32 v54, vcc_lo, s0, v11
	v_lshlrev_b64_e32 v[22:23], 4, v[22:23]
	v_add_nc_u32_e32 v28, s11, v26
	s_clause 0x1
	global_load_b128 v[1:4], v13, s[0:1]
	global_load_b128 v[5:8], v[48:49], off
	s_wait_alu 0xfffd
	v_add_co_ci_u32_e64 v55, null, s1, v12, vcc_lo
	v_add_co_u32 v56, vcc_lo, s0, v9
	s_clause 0x1
	global_load_b128 v[14:17], v[50:51], off
	global_load_b128 v[18:21], v[52:53], off
	v_ashrrev_i32_e32 v27, 31, v26
	s_wait_alu 0xfffd
	v_add_co_ci_u32_e64 v57, null, s1, v10, vcc_lo
	v_add_co_u32 v58, vcc_lo, s0, v24
	v_ashrrev_i32_e32 v29, 31, v28
	s_wait_alu 0xfffd
	v_add_co_ci_u32_e64 v59, null, s1, v25, vcc_lo
	v_add_co_u32 v60, vcc_lo, s0, v22
	v_lshlrev_b64_e32 v[34:35], 4, v[26:27]
	s_wait_alu 0xfffd
	v_add_co_ci_u32_e64 v61, null, s1, v23, vcc_lo
	v_add_nc_u32_e32 v36, s11, v28
	v_lshlrev_b64_e32 v[38:39], 4, v[28:29]
	s_clause 0x3
	global_load_b128 v[9:12], v[54:55], off
	global_load_b128 v[22:25], v[56:57], off
	;; [unrolled: 1-line block ×4, first 2 shown]
	v_add_nc_u32_e32 v42, s11, v36
	v_add_co_u32 v64, vcc_lo, s0, v34
	s_wait_alu 0xfffd
	v_add_co_ci_u32_e64 v65, null, s1, v35, vcc_lo
	v_add_co_u32 v62, vcc_lo, s0, v38
	v_ashrrev_i32_e32 v37, 31, v36
	s_wait_alu 0xfffd
	v_add_co_ci_u32_e64 v63, null, s1, v39, vcc_lo
	v_add_nc_u32_e32 v72, s11, v42
	v_ashrrev_i32_e32 v43, 31, v42
	v_lshlrev_b64_e32 v[44:45], 4, v[36:37]
	s_clause 0x1
	global_load_b128 v[34:37], v[64:65], off
	global_load_b128 v[38:41], v[62:63], off
	s_movk_i32 s4, 0x70
	v_ashrrev_i32_e32 v73, 31, v72
	v_lshlrev_b64_e32 v[68:69], 4, v[42:43]
	s_movk_i32 s5, 0x80
	v_add_co_u32 v66, vcc_lo, s0, v44
	s_delay_alu instid0(VALU_DEP_3)
	v_lshlrev_b64_e32 v[70:71], 4, v[72:73]
	s_wait_alu 0xfffd
	v_add_co_ci_u32_e64 v67, null, s1, v45, vcc_lo
	v_add_co_u32 v68, vcc_lo, s0, v68
	s_wait_alu 0xfffd
	v_add_co_ci_u32_e64 v69, null, s1, v69, vcc_lo
	v_add_co_u32 v70, vcc_lo, s0, v70
	s_wait_alu 0xfffd
	v_add_co_ci_u32_e64 v71, null, s1, v71, vcc_lo
	s_clause 0x2
	global_load_b128 v[42:45], v[66:67], off
	global_load_b128 v[146:149], v[68:69], off
	;; [unrolled: 1-line block ×3, first 2 shown]
	v_add_nc_u32_e32 v72, s11, v72
	s_movk_i32 s8, 0x90
	s_movk_i32 s9, 0xa0
	;; [unrolled: 1-line block ×4, first 2 shown]
	v_add_nc_u32_e32 v74, s11, v72
	v_ashrrev_i32_e32 v73, 31, v72
	s_movk_i32 s36, 0x1d0
	s_movk_i32 s63, 0x1e0
	;; [unrolled: 1-line block ×3, first 2 shown]
	v_add_nc_u32_e32 v76, s11, v74
	v_ashrrev_i32_e32 v75, 31, v74
	v_lshlrev_b64_e32 v[72:73], 4, v[72:73]
	s_movk_i32 s65, 0x200
	s_movk_i32 s66, 0x210
	v_add_nc_u32_e32 v78, s11, v76
	v_ashrrev_i32_e32 v77, 31, v76
	v_lshlrev_b64_e32 v[74:75], 4, v[74:75]
	v_add_co_u32 v72, vcc_lo, s0, v72
	s_delay_alu instid0(VALU_DEP_4)
	v_add_nc_u32_e32 v80, s11, v78
	v_ashrrev_i32_e32 v79, 31, v78
	v_lshlrev_b64_e32 v[76:77], 4, v[76:77]
	s_wait_alu 0xfffd
	v_add_co_ci_u32_e64 v73, null, s1, v73, vcc_lo
	v_add_nc_u32_e32 v82, s11, v80
	v_ashrrev_i32_e32 v81, 31, v80
	v_lshlrev_b64_e32 v[78:79], 4, v[78:79]
	v_add_co_u32 v74, vcc_lo, s0, v74
	s_delay_alu instid0(VALU_DEP_4)
	v_add_nc_u32_e32 v84, s11, v82
	v_ashrrev_i32_e32 v83, 31, v82
	v_lshlrev_b64_e32 v[80:81], 4, v[80:81]
	s_wait_alu 0xfffd
	v_add_co_ci_u32_e64 v75, null, s1, v75, vcc_lo
	v_add_nc_u32_e32 v86, s11, v84
	v_ashrrev_i32_e32 v85, 31, v84
	v_add_co_u32 v76, vcc_lo, s0, v76
	v_lshlrev_b64_e32 v[82:83], 4, v[82:83]
	s_delay_alu instid0(VALU_DEP_4)
	v_add_nc_u32_e32 v88, s11, v86
	v_ashrrev_i32_e32 v87, 31, v86
	s_wait_alu 0xfffd
	v_add_co_ci_u32_e64 v77, null, s1, v77, vcc_lo
	v_add_co_u32 v78, vcc_lo, s0, v78
	v_add_nc_u32_e32 v90, s11, v88
	v_ashrrev_i32_e32 v89, 31, v88
	v_lshlrev_b64_e32 v[84:85], 4, v[84:85]
	s_wait_alu 0xfffd
	v_add_co_ci_u32_e64 v79, null, s1, v79, vcc_lo
	v_add_nc_u32_e32 v92, s11, v90
	v_ashrrev_i32_e32 v91, 31, v90
	v_add_co_u32 v80, vcc_lo, s0, v80
	v_lshlrev_b64_e32 v[86:87], 4, v[86:87]
	s_delay_alu instid0(VALU_DEP_4)
	v_add_nc_u32_e32 v94, s11, v92
	v_ashrrev_i32_e32 v93, 31, v92
	s_wait_alu 0xfffd
	v_add_co_ci_u32_e64 v81, null, s1, v81, vcc_lo
	v_add_co_u32 v82, vcc_lo, s0, v82
	v_add_nc_u32_e32 v96, s11, v94
	v_lshlrev_b64_e32 v[88:89], 4, v[88:89]
	v_ashrrev_i32_e32 v95, 31, v94
	s_wait_alu 0xfffd
	v_add_co_ci_u32_e64 v83, null, s1, v83, vcc_lo
	v_add_nc_u32_e32 v98, s11, v96
	v_add_co_u32 v84, vcc_lo, s0, v84
	v_lshlrev_b64_e32 v[90:91], 4, v[90:91]
	v_ashrrev_i32_e32 v97, 31, v96
	s_delay_alu instid0(VALU_DEP_4) | instskip(SKIP_3) | instid1(VALU_DEP_3)
	v_add_nc_u32_e32 v100, s11, v98
	s_wait_alu 0xfffd
	v_add_co_ci_u32_e64 v85, null, s1, v85, vcc_lo
	v_add_co_u32 v86, vcc_lo, s0, v86
	v_add_nc_u32_e32 v102, s11, v100
	v_lshlrev_b64_e32 v[92:93], 4, v[92:93]
	v_ashrrev_i32_e32 v99, 31, v98
	s_wait_alu 0xfffd
	v_add_co_ci_u32_e64 v87, null, s1, v87, vcc_lo
	v_add_nc_u32_e32 v104, s11, v102
	v_add_co_u32 v88, vcc_lo, s0, v88
	v_lshlrev_b64_e32 v[94:95], 4, v[94:95]
	v_ashrrev_i32_e32 v101, 31, v100
	s_delay_alu instid0(VALU_DEP_4) | instskip(SKIP_3) | instid1(VALU_DEP_3)
	v_add_nc_u32_e32 v106, s11, v104
	;; [unrolled: 14-line block ×5, first 2 shown]
	s_wait_alu 0xfffd
	v_add_co_ci_u32_e64 v101, null, s1, v101, vcc_lo
	v_add_co_u32 v102, vcc_lo, s0, v102
	v_add_nc_u32_e32 v126, s11, v124
	v_lshlrev_b64_e32 v[108:109], 4, v[108:109]
	v_ashrrev_i32_e32 v115, 31, v114
	s_wait_alu 0xfffd
	v_add_co_ci_u32_e64 v103, null, s1, v103, vcc_lo
	v_add_nc_u32_e32 v128, s11, v126
	v_add_co_u32 v104, vcc_lo, s0, v104
	v_lshlrev_b64_e32 v[110:111], 4, v[110:111]
	v_ashrrev_i32_e32 v117, 31, v116
	s_delay_alu instid0(VALU_DEP_4)
	v_add_nc_u32_e32 v130, s11, v128
	s_wait_alu 0xfffd
	v_add_co_ci_u32_e64 v105, null, s1, v105, vcc_lo
	v_add_co_u32 v106, vcc_lo, s0, v106
	v_lshlrev_b64_e32 v[112:113], 4, v[112:113]
	v_ashrrev_i32_e32 v119, 31, v118
	s_wait_alu 0xfffd
	v_add_co_ci_u32_e64 v107, null, s1, v107, vcc_lo
	v_add_co_u32 v108, vcc_lo, s0, v108
	v_lshlrev_b64_e32 v[114:115], 4, v[114:115]
	v_add_nc_u32_e32 v132, s11, v130
	v_ashrrev_i32_e32 v121, 31, v120
	s_wait_alu 0xfffd
	v_add_co_ci_u32_e64 v109, null, s1, v109, vcc_lo
	v_add_co_u32 v110, vcc_lo, s0, v110
	v_lshlrev_b64_e32 v[116:117], 4, v[116:117]
	v_ashrrev_i32_e32 v123, 31, v122
	s_wait_alu 0xfffd
	v_add_co_ci_u32_e64 v111, null, s1, v111, vcc_lo
	v_add_co_u32 v112, vcc_lo, s0, v112
	v_lshlrev_b64_e32 v[118:119], 4, v[118:119]
	v_ashrrev_i32_e32 v125, 31, v124
	v_add_nc_u32_e32 v134, s11, v132
	s_wait_alu 0xfffd
	v_add_co_ci_u32_e64 v113, null, s1, v113, vcc_lo
	v_add_co_u32 v114, vcc_lo, s0, v114
	v_lshlrev_b64_e32 v[120:121], 4, v[120:121]
	v_ashrrev_i32_e32 v127, 31, v126
	s_wait_alu 0xfffd
	v_add_co_ci_u32_e64 v115, null, s1, v115, vcc_lo
	v_add_co_u32 v116, vcc_lo, s0, v116
	v_lshlrev_b64_e32 v[122:123], 4, v[122:123]
	v_ashrrev_i32_e32 v129, 31, v128
	s_wait_alu 0xfffd
	v_add_co_ci_u32_e64 v117, null, s1, v117, vcc_lo
	v_add_co_u32 v118, vcc_lo, s0, v118
	v_lshlrev_b64_e32 v[124:125], 4, v[124:125]
	v_add_nc_u32_e32 v136, s11, v134
	v_ashrrev_i32_e32 v131, 31, v130
	s_wait_alu 0xfffd
	v_add_co_ci_u32_e64 v119, null, s1, v119, vcc_lo
	v_add_co_u32 v120, vcc_lo, s0, v120
	v_lshlrev_b64_e32 v[126:127], 4, v[126:127]
	v_ashrrev_i32_e32 v133, 31, v132
	s_wait_alu 0xfffd
	v_add_co_ci_u32_e64 v121, null, s1, v121, vcc_lo
	v_add_co_u32 v122, vcc_lo, s0, v122
	v_lshlrev_b64_e32 v[128:129], 4, v[128:129]
	v_ashrrev_i32_e32 v135, 31, v134
	v_add_nc_u32_e32 v138, s11, v136
	s_wait_alu 0xfffd
	v_add_co_ci_u32_e64 v123, null, s1, v123, vcc_lo
	v_add_co_u32 v124, vcc_lo, s0, v124
	v_lshlrev_b64_e32 v[130:131], 4, v[130:131]
	v_ashrrev_i32_e32 v137, 31, v136
	s_wait_alu 0xfffd
	v_add_co_ci_u32_e64 v125, null, s1, v125, vcc_lo
	v_add_co_u32 v126, vcc_lo, s0, v126
	v_lshlrev_b64_e32 v[132:133], 4, v[132:133]
	s_clause 0x9
	global_load_b128 v[154:157], v[72:73], off
	global_load_b128 v[158:161], v[74:75], off
	;; [unrolled: 1-line block ×10, first 2 shown]
	s_wait_alu 0xfffd
	v_add_co_ci_u32_e64 v127, null, s1, v127, vcc_lo
	v_add_co_u32 v128, vcc_lo, s0, v128
	v_add_nc_u32_e32 v140, s11, v138
	s_wait_alu 0xfffd
	v_add_co_ci_u32_e64 v129, null, s1, v129, vcc_lo
	v_add_co_u32 v130, vcc_lo, s0, v130
	s_wait_alu 0xfffd
	v_add_co_ci_u32_e64 v131, null, s1, v131, vcc_lo
	v_add_co_u32 v132, vcc_lo, s0, v132
	v_add_nc_u32_e32 v142, s11, v140
	s_wait_alu 0xfffd
	v_add_co_ci_u32_e64 v133, null, s1, v133, vcc_lo
	v_ashrrev_i32_e32 v139, 31, v138
	v_ashrrev_i32_e32 v141, 31, v140
	;; [unrolled: 1-line block ×3, first 2 shown]
	s_movk_i32 s67, 0x220
	s_movk_i32 s68, 0x230
	;; [unrolled: 1-line block ×19, first 2 shown]
	s_wait_alu 0xfffe
	s_add_co_i32 s59, s4, 16
	s_wait_loadcnt 0x16
	scratch_store_b128 off, v[1:4], off offset:16
	s_clause 0x1
	global_load_b128 v[1:4], v[92:93], off
	global_load_b128 v[194:197], v[94:95], off
	s_wait_loadcnt 0x17
	scratch_store_b128 off, v[5:8], off offset:32
	s_wait_loadcnt 0x16
	scratch_store_b128 off, v[14:17], off offset:48
	;; [unrolled: 2-line block ×3, first 2 shown]
	v_lshlrev_b64_e32 v[18:19], 4, v[134:135]
	v_lshlrev_b64_e32 v[20:21], 4, v[136:137]
	s_clause 0x1
	global_load_b128 v[5:8], v[96:97], off
	global_load_b128 v[14:17], v[98:99], off
	s_add_co_i32 s58, s5, 16
	s_add_co_i32 s57, s8, 16
	;; [unrolled: 1-line block ×3, first 2 shown]
	v_add_co_u32 v134, vcc_lo, s0, v18
	s_wait_alu 0xfffd
	v_add_co_ci_u32_e64 v135, null, s1, v19, vcc_lo
	v_add_co_u32 v136, vcc_lo, s0, v20
	s_wait_alu 0xfffd
	v_add_co_ci_u32_e64 v137, null, s1, v21, vcc_lo
	s_add_co_i32 s55, s10, 16
	s_wait_loadcnt 0x16
	scratch_store_b128 off, v[9:12], off offset:80
	s_wait_loadcnt 0x15
	scratch_store_b128 off, v[22:25], off offset:96
	;; [unrolled: 2-line block ×3, first 2 shown]
	s_clause 0x1
	global_load_b128 v[9:12], v[100:101], off
	global_load_b128 v[18:21], v[102:103], off
	s_wait_loadcnt 0x15
	scratch_store_b128 off, v[30:33], off offset:128
	v_add_nc_u32_e32 v30, s11, v142
	v_lshlrev_b64_e32 v[22:23], 4, v[138:139]
	v_lshlrev_b64_e32 v[24:25], 4, v[140:141]
	s_wait_loadcnt 0x14
	scratch_store_b128 off, v[34:37], off offset:144
	s_wait_loadcnt 0x13
	scratch_store_b128 off, v[38:41], off offset:160
	v_add_nc_u32_e32 v32, s11, v30
	v_lshlrev_b64_e32 v[34:35], 4, v[142:143]
	v_add_co_u32 v138, vcc_lo, s0, v22
	s_wait_alu 0xfffd
	v_add_co_ci_u32_e64 v139, null, s1, v23, vcc_lo
	v_add_nc_u32_e32 v36, s11, v32
	v_add_co_u32 v140, vcc_lo, s0, v24
	v_ashrrev_i32_e32 v31, 31, v30
	s_wait_alu 0xfffd
	v_add_co_ci_u32_e64 v141, null, s1, v25, vcc_lo
	v_add_co_u32 v142, vcc_lo, s0, v34
	v_add_nc_u32_e32 v34, s11, v36
	v_ashrrev_i32_e32 v33, 31, v32
	v_ashrrev_i32_e32 v37, 31, v36
	v_lshlrev_b64_e32 v[30:31], 4, v[30:31]
	s_wait_alu 0xfffd
	v_add_co_ci_u32_e64 v143, null, s1, v35, vcc_lo
	v_ashrrev_i32_e32 v35, 31, v34
	v_lshlrev_b64_e32 v[38:39], 4, v[32:33]
	v_lshlrev_b64_e32 v[36:37], 4, v[36:37]
	v_add_co_u32 v144, vcc_lo, s0, v30
	s_delay_alu instid0(VALU_DEP_4)
	v_lshlrev_b64_e32 v[34:35], 4, v[34:35]
	s_clause 0x1
	global_load_b128 v[22:25], v[104:105], off
	global_load_b128 v[26:29], v[106:107], off
	s_wait_loadcnt 0x14
	scratch_store_b128 off, v[42:45], off offset:176
	s_wait_loadcnt 0x13
	scratch_store_b128 off, v[146:149], off offset:192
	s_wait_alu 0xfffd
	v_add_co_ci_u32_e64 v145, null, s1, v31, vcc_lo
	v_add_co_u32 v146, vcc_lo, s0, v38
	s_wait_alu 0xfffd
	v_add_co_ci_u32_e64 v147, null, s1, v39, vcc_lo
	v_add_co_u32 v148, vcc_lo, s0, v36
	s_wait_loadcnt 0x12
	scratch_store_b128 off, v[150:153], off offset:208
	s_wait_alu 0xfffd
	v_add_co_ci_u32_e64 v149, null, s1, v37, vcc_lo
	v_add_co_u32 v150, vcc_lo, s0, v34
	global_load_b128 v[30:33], v[108:109], off
	s_wait_alu 0xfffd
	v_add_co_ci_u32_e64 v151, null, s1, v35, vcc_lo
	global_load_b128 v[34:37], v[110:111], off
	s_wait_loadcnt 0x13
	scratch_store_b128 off, v[154:157], off offset:224
	s_wait_loadcnt 0x12
	scratch_store_b128 off, v[158:161], off offset:240
	s_clause 0x1
	global_load_b128 v[38:41], v[112:113], off
	global_load_b128 v[42:45], v[114:115], off
	s_wait_loadcnt 0x13
	scratch_store_b128 off, v[162:165], off offset:256
	s_wait_loadcnt 0x12
	scratch_store_b128 off, v[166:169], off offset:272
	s_clause 0x1
	global_load_b128 v[152:155], v[116:117], off
	;; [unrolled: 7-line block ×9, first 2 shown]
	global_load_b128 v[26:29], v[146:147], off
	s_movk_i32 s0, 0x50
	s_movk_i32 s1, 0x60
	;; [unrolled: 1-line block ×3, first 2 shown]
	s_wait_alu 0xfffe
	s_add_co_i32 s61, s0, 16
	s_add_co_i32 s60, s1, 16
	;; [unrolled: 1-line block ×11, first 2 shown]
	s_wait_loadcnt 0x13
	scratch_store_b128 off, v[30:33], off offset:512
	global_load_b128 v[30:33], v[148:149], off
	s_add_co_i32 s45, s25, 16
	s_wait_loadcnt 0x13
	scratch_store_b128 off, v[34:37], off offset:528
	global_load_b128 v[34:37], v[150:151], off
	s_add_co_i32 s44, s27, 16
	s_add_co_i32 s43, s29, 16
	;; [unrolled: 1-line block ×31, first 2 shown]
	s_mov_b32 s28, 32
	s_mov_b32 s26, 48
	;; [unrolled: 1-line block ×3, first 2 shown]
	s_movk_i32 s22, 0x50
	s_bitcmp0_b32 s62, 0
	s_mov_b32 s1, -1
	s_wait_loadcnt 0x13
	scratch_store_b128 off, v[38:41], off offset:544
	s_wait_loadcnt 0x12
	scratch_store_b128 off, v[42:45], off offset:560
	s_wait_loadcnt 0x11
	scratch_store_b128 off, v[152:155], off offset:576
	s_wait_loadcnt 0x10
	scratch_store_b128 off, v[156:159], off offset:592
	s_wait_loadcnt 0xf
	scratch_store_b128 off, v[160:163], off offset:608
	s_wait_loadcnt 0xe
	scratch_store_b128 off, v[164:167], off offset:624
	s_wait_loadcnt 0xd
	scratch_store_b128 off, v[168:171], off offset:640
	s_wait_loadcnt 0xc
	scratch_store_b128 off, v[172:175], off offset:656
	s_wait_loadcnt 0xb
	scratch_store_b128 off, v[176:179], off offset:672
	s_wait_loadcnt 0xa
	scratch_store_b128 off, v[180:183], off offset:688
	s_wait_loadcnt 0x9
	scratch_store_b128 off, v[1:4], off offset:704
	s_wait_loadcnt 0x8
	scratch_store_b128 off, v[184:187], off offset:720
	s_wait_loadcnt 0x7
	scratch_store_b128 off, v[5:8], off offset:736
	s_wait_loadcnt 0x6
	scratch_store_b128 off, v[14:17], off offset:752
	s_wait_loadcnt 0x5
	scratch_store_b128 off, v[9:12], off offset:768
	s_wait_loadcnt 0x4
	scratch_store_b128 off, v[18:21], off offset:784
	s_wait_loadcnt 0x3
	scratch_store_b128 off, v[22:25], off offset:800
	s_wait_loadcnt 0x2
	scratch_store_b128 off, v[26:29], off offset:816
	s_wait_loadcnt 0x1
	scratch_store_b128 off, v[30:33], off offset:832
	s_wait_loadcnt 0x0
	scratch_store_b128 off, v[34:37], off offset:848
	s_cbranch_scc1 .LBB52_224
; %bb.4:
	v_cmp_eq_u32_e64 s0, 0, v0
	s_and_saveexec_b32 s1, s0
; %bb.5:
	v_mov_b32_e32 v1, 0
	ds_store_b32 v1, v1 offset:1696
; %bb.6:
	s_wait_alu 0xfffe
	s_or_b32 exec_lo, exec_lo, s1
	s_wait_storecnt_dscnt 0x0
	s_barrier_signal -1
	s_barrier_wait -1
	global_inv scope:SCOPE_SE
	scratch_load_b128 v[1:4], v13, off offset:16
	s_wait_loadcnt 0x0
	v_cmp_eq_f64_e32 vcc_lo, 0, v[1:2]
	v_cmp_eq_f64_e64 s1, 0, v[3:4]
	s_and_b32 s1, vcc_lo, s1
	s_wait_alu 0xfffe
	s_and_saveexec_b32 s62, s1
	s_cbranch_execz .LBB52_10
; %bb.7:
	v_mov_b32_e32 v1, 0
	s_mov_b32 s63, 0
	ds_load_b32 v2, v1 offset:1696
	s_wait_dscnt 0x0
	v_readfirstlane_b32 s1, v2
	v_add_nc_u32_e32 v2, 1, v0
	s_cmp_eq_u32 s1, 0
	s_delay_alu instid0(VALU_DEP_1) | instskip(SKIP_1) | instid1(SALU_CYCLE_1)
	v_cmp_gt_i32_e32 vcc_lo, s1, v2
	s_cselect_b32 s64, -1, 0
	s_or_b32 s64, s64, vcc_lo
	s_delay_alu instid0(SALU_CYCLE_1)
	s_and_b32 exec_lo, exec_lo, s64
	s_cbranch_execz .LBB52_10
; %bb.8:
	v_mov_b32_e32 v3, s1
.LBB52_9:                               ; =>This Inner Loop Header: Depth=1
	ds_cmpstore_rtn_b32 v3, v1, v2, v3 offset:1696
	s_wait_dscnt 0x0
	v_cmp_ne_u32_e32 vcc_lo, 0, v3
	v_cmp_le_i32_e64 s1, v3, v2
	s_and_b32 s1, vcc_lo, s1
	s_wait_alu 0xfffe
	s_and_b32 s1, exec_lo, s1
	s_wait_alu 0xfffe
	s_or_b32 s63, s1, s63
	s_delay_alu instid0(SALU_CYCLE_1)
	s_and_not1_b32 exec_lo, exec_lo, s63
	s_cbranch_execnz .LBB52_9
.LBB52_10:
	s_or_b32 exec_lo, exec_lo, s62
	v_mov_b32_e32 v1, 0
	s_barrier_signal -1
	s_barrier_wait -1
	global_inv scope:SCOPE_SE
	ds_load_b32 v2, v1 offset:1696
	s_and_saveexec_b32 s1, s0
	s_cbranch_execz .LBB52_12
; %bb.11:
	s_lshl_b64 s[62:63], s[16:17], 2
	s_delay_alu instid0(SALU_CYCLE_1)
	s_add_nc_u64 s[62:63], s[6:7], s[62:63]
	s_wait_dscnt 0x0
	global_store_b32 v1, v2, s[62:63]
.LBB52_12:
	s_wait_alu 0xfffe
	s_or_b32 exec_lo, exec_lo, s1
	s_wait_dscnt 0x0
	v_cmp_ne_u32_e32 vcc_lo, 0, v2
	s_mov_b32 s1, 0
	s_cbranch_vccnz .LBB52_224
; %bb.13:
	v_add_nc_u32_e32 v14, 16, v13
                                        ; implicit-def: $vgpr1_vgpr2
                                        ; implicit-def: $vgpr9_vgpr10
	scratch_load_b128 v[5:8], v14, off
	s_wait_loadcnt 0x0
	v_cmp_ngt_f64_e64 s1, |v[5:6]|, |v[7:8]|
	s_wait_alu 0xfffe
	s_and_saveexec_b32 s62, s1
	s_delay_alu instid0(SALU_CYCLE_1)
	s_xor_b32 s1, exec_lo, s62
	s_cbranch_execz .LBB52_15
; %bb.14:
	v_div_scale_f64 v[1:2], null, v[7:8], v[7:8], v[5:6]
	v_div_scale_f64 v[11:12], vcc_lo, v[5:6], v[7:8], v[5:6]
	s_delay_alu instid0(VALU_DEP_2) | instskip(NEXT) | instid1(TRANS32_DEP_1)
	v_rcp_f64_e32 v[3:4], v[1:2]
	v_fma_f64 v[9:10], -v[1:2], v[3:4], 1.0
	s_delay_alu instid0(VALU_DEP_1) | instskip(NEXT) | instid1(VALU_DEP_1)
	v_fma_f64 v[3:4], v[3:4], v[9:10], v[3:4]
	v_fma_f64 v[9:10], -v[1:2], v[3:4], 1.0
	s_delay_alu instid0(VALU_DEP_1) | instskip(NEXT) | instid1(VALU_DEP_1)
	v_fma_f64 v[3:4], v[3:4], v[9:10], v[3:4]
	v_mul_f64_e32 v[9:10], v[11:12], v[3:4]
	s_delay_alu instid0(VALU_DEP_1) | instskip(SKIP_1) | instid1(VALU_DEP_1)
	v_fma_f64 v[1:2], -v[1:2], v[9:10], v[11:12]
	s_wait_alu 0xfffd
	v_div_fmas_f64 v[1:2], v[1:2], v[3:4], v[9:10]
	s_delay_alu instid0(VALU_DEP_1) | instskip(NEXT) | instid1(VALU_DEP_1)
	v_div_fixup_f64 v[1:2], v[1:2], v[7:8], v[5:6]
	v_fma_f64 v[3:4], v[5:6], v[1:2], v[7:8]
	s_delay_alu instid0(VALU_DEP_1) | instskip(SKIP_1) | instid1(VALU_DEP_2)
	v_div_scale_f64 v[5:6], null, v[3:4], v[3:4], 1.0
	v_div_scale_f64 v[11:12], vcc_lo, 1.0, v[3:4], 1.0
	v_rcp_f64_e32 v[7:8], v[5:6]
	s_delay_alu instid0(TRANS32_DEP_1) | instskip(NEXT) | instid1(VALU_DEP_1)
	v_fma_f64 v[9:10], -v[5:6], v[7:8], 1.0
	v_fma_f64 v[7:8], v[7:8], v[9:10], v[7:8]
	s_delay_alu instid0(VALU_DEP_1) | instskip(NEXT) | instid1(VALU_DEP_1)
	v_fma_f64 v[9:10], -v[5:6], v[7:8], 1.0
	v_fma_f64 v[7:8], v[7:8], v[9:10], v[7:8]
	s_delay_alu instid0(VALU_DEP_1) | instskip(NEXT) | instid1(VALU_DEP_1)
	v_mul_f64_e32 v[9:10], v[11:12], v[7:8]
	v_fma_f64 v[5:6], -v[5:6], v[9:10], v[11:12]
	s_wait_alu 0xfffd
	s_delay_alu instid0(VALU_DEP_1) | instskip(NEXT) | instid1(VALU_DEP_1)
	v_div_fmas_f64 v[5:6], v[5:6], v[7:8], v[9:10]
	v_div_fixup_f64 v[3:4], v[5:6], v[3:4], 1.0
                                        ; implicit-def: $vgpr5_vgpr6
	s_delay_alu instid0(VALU_DEP_1) | instskip(SKIP_1) | instid1(VALU_DEP_2)
	v_mul_f64_e32 v[1:2], v[1:2], v[3:4]
	v_xor_b32_e32 v4, 0x80000000, v4
	v_xor_b32_e32 v10, 0x80000000, v2
	s_delay_alu instid0(VALU_DEP_3)
	v_mov_b32_e32 v9, v1
.LBB52_15:
	s_wait_alu 0xfffe
	s_and_not1_saveexec_b32 s1, s1
	s_cbranch_execz .LBB52_17
; %bb.16:
	v_div_scale_f64 v[1:2], null, v[5:6], v[5:6], v[7:8]
	v_div_scale_f64 v[11:12], vcc_lo, v[7:8], v[5:6], v[7:8]
	s_delay_alu instid0(VALU_DEP_2) | instskip(NEXT) | instid1(TRANS32_DEP_1)
	v_rcp_f64_e32 v[3:4], v[1:2]
	v_fma_f64 v[9:10], -v[1:2], v[3:4], 1.0
	s_delay_alu instid0(VALU_DEP_1) | instskip(NEXT) | instid1(VALU_DEP_1)
	v_fma_f64 v[3:4], v[3:4], v[9:10], v[3:4]
	v_fma_f64 v[9:10], -v[1:2], v[3:4], 1.0
	s_delay_alu instid0(VALU_DEP_1) | instskip(NEXT) | instid1(VALU_DEP_1)
	v_fma_f64 v[3:4], v[3:4], v[9:10], v[3:4]
	v_mul_f64_e32 v[9:10], v[11:12], v[3:4]
	s_delay_alu instid0(VALU_DEP_1) | instskip(SKIP_1) | instid1(VALU_DEP_1)
	v_fma_f64 v[1:2], -v[1:2], v[9:10], v[11:12]
	s_wait_alu 0xfffd
	v_div_fmas_f64 v[1:2], v[1:2], v[3:4], v[9:10]
	s_delay_alu instid0(VALU_DEP_1) | instskip(NEXT) | instid1(VALU_DEP_1)
	v_div_fixup_f64 v[3:4], v[1:2], v[5:6], v[7:8]
	v_fma_f64 v[1:2], v[7:8], v[3:4], v[5:6]
	s_delay_alu instid0(VALU_DEP_1) | instskip(NEXT) | instid1(VALU_DEP_1)
	v_div_scale_f64 v[5:6], null, v[1:2], v[1:2], 1.0
	v_rcp_f64_e32 v[7:8], v[5:6]
	s_delay_alu instid0(TRANS32_DEP_1) | instskip(NEXT) | instid1(VALU_DEP_1)
	v_fma_f64 v[9:10], -v[5:6], v[7:8], 1.0
	v_fma_f64 v[7:8], v[7:8], v[9:10], v[7:8]
	s_delay_alu instid0(VALU_DEP_1) | instskip(NEXT) | instid1(VALU_DEP_1)
	v_fma_f64 v[9:10], -v[5:6], v[7:8], 1.0
	v_fma_f64 v[7:8], v[7:8], v[9:10], v[7:8]
	v_div_scale_f64 v[9:10], vcc_lo, 1.0, v[1:2], 1.0
	s_delay_alu instid0(VALU_DEP_1) | instskip(NEXT) | instid1(VALU_DEP_1)
	v_mul_f64_e32 v[11:12], v[9:10], v[7:8]
	v_fma_f64 v[5:6], -v[5:6], v[11:12], v[9:10]
	s_wait_alu 0xfffd
	s_delay_alu instid0(VALU_DEP_1) | instskip(NEXT) | instid1(VALU_DEP_1)
	v_div_fmas_f64 v[5:6], v[5:6], v[7:8], v[11:12]
	v_div_fixup_f64 v[1:2], v[5:6], v[1:2], 1.0
	s_delay_alu instid0(VALU_DEP_1)
	v_mul_f64_e64 v[3:4], v[3:4], -v[1:2]
	v_xor_b32_e32 v10, 0x80000000, v2
	v_mov_b32_e32 v9, v1
.LBB52_17:
	s_wait_alu 0xfffe
	s_or_b32 exec_lo, exec_lo, s1
	scratch_store_b128 v14, v[1:4], off
	scratch_load_b128 v[15:18], off, s28
	v_xor_b32_e32 v12, 0x80000000, v4
	v_mov_b32_e32 v11, v3
	v_add_nc_u32_e32 v5, 0x350, v13
	ds_store_b128 v13, v[9:12]
	s_wait_loadcnt 0x0
	ds_store_b128 v13, v[15:18] offset:848
	s_wait_storecnt_dscnt 0x0
	s_barrier_signal -1
	s_barrier_wait -1
	global_inv scope:SCOPE_SE
	s_and_saveexec_b32 s1, s0
	s_cbranch_execz .LBB52_19
; %bb.18:
	scratch_load_b128 v[1:4], v14, off
	ds_load_b128 v[6:9], v5
	v_mov_b32_e32 v10, 0
	ds_load_b128 v[15:18], v10 offset:16
	s_wait_loadcnt_dscnt 0x1
	v_mul_f64_e32 v[10:11], v[6:7], v[3:4]
	v_mul_f64_e32 v[3:4], v[8:9], v[3:4]
	s_delay_alu instid0(VALU_DEP_2) | instskip(NEXT) | instid1(VALU_DEP_2)
	v_fma_f64 v[8:9], v[8:9], v[1:2], v[10:11]
	v_fma_f64 v[1:2], v[6:7], v[1:2], -v[3:4]
	s_delay_alu instid0(VALU_DEP_2) | instskip(NEXT) | instid1(VALU_DEP_2)
	v_add_f64_e32 v[3:4], 0, v[8:9]
	v_add_f64_e32 v[1:2], 0, v[1:2]
	s_wait_dscnt 0x0
	s_delay_alu instid0(VALU_DEP_2) | instskip(NEXT) | instid1(VALU_DEP_2)
	v_mul_f64_e32 v[6:7], v[3:4], v[17:18]
	v_mul_f64_e32 v[8:9], v[1:2], v[17:18]
	s_delay_alu instid0(VALU_DEP_2) | instskip(NEXT) | instid1(VALU_DEP_2)
	v_fma_f64 v[1:2], v[1:2], v[15:16], -v[6:7]
	v_fma_f64 v[3:4], v[3:4], v[15:16], v[8:9]
	scratch_store_b128 off, v[1:4], off offset:32
.LBB52_19:
	s_wait_alu 0xfffe
	s_or_b32 exec_lo, exec_lo, s1
	s_wait_loadcnt 0x0
	s_wait_storecnt 0x0
	s_barrier_signal -1
	s_barrier_wait -1
	global_inv scope:SCOPE_SE
	scratch_load_b128 v[1:4], off, s26
	s_mov_b32 s1, exec_lo
	s_wait_loadcnt 0x0
	ds_store_b128 v5, v[1:4]
	s_wait_dscnt 0x0
	s_barrier_signal -1
	s_barrier_wait -1
	global_inv scope:SCOPE_SE
	v_cmpx_gt_u32_e32 2, v0
	s_cbranch_execz .LBB52_23
; %bb.20:
	scratch_load_b128 v[1:4], v14, off
	ds_load_b128 v[6:9], v5
	s_wait_loadcnt_dscnt 0x0
	v_mul_f64_e32 v[10:11], v[8:9], v[3:4]
	v_mul_f64_e32 v[3:4], v[6:7], v[3:4]
	s_delay_alu instid0(VALU_DEP_2) | instskip(NEXT) | instid1(VALU_DEP_2)
	v_fma_f64 v[6:7], v[6:7], v[1:2], -v[10:11]
	v_fma_f64 v[3:4], v[8:9], v[1:2], v[3:4]
	s_delay_alu instid0(VALU_DEP_2) | instskip(NEXT) | instid1(VALU_DEP_2)
	v_add_f64_e32 v[1:2], 0, v[6:7]
	v_add_f64_e32 v[3:4], 0, v[3:4]
	s_and_saveexec_b32 s62, s0
	s_cbranch_execz .LBB52_22
; %bb.21:
	scratch_load_b128 v[6:9], off, off offset:32
	v_mov_b32_e32 v10, 0
	ds_load_b128 v[15:18], v10 offset:864
	s_wait_loadcnt_dscnt 0x0
	v_mul_f64_e32 v[10:11], v[15:16], v[8:9]
	v_mul_f64_e32 v[8:9], v[17:18], v[8:9]
	s_delay_alu instid0(VALU_DEP_2) | instskip(NEXT) | instid1(VALU_DEP_2)
	v_fma_f64 v[10:11], v[17:18], v[6:7], v[10:11]
	v_fma_f64 v[6:7], v[15:16], v[6:7], -v[8:9]
	s_delay_alu instid0(VALU_DEP_2) | instskip(NEXT) | instid1(VALU_DEP_2)
	v_add_f64_e32 v[3:4], v[3:4], v[10:11]
	v_add_f64_e32 v[1:2], v[1:2], v[6:7]
.LBB52_22:
	s_or_b32 exec_lo, exec_lo, s62
	v_mov_b32_e32 v6, 0
	ds_load_b128 v[6:9], v6 offset:32
	s_wait_dscnt 0x0
	v_mul_f64_e32 v[10:11], v[3:4], v[8:9]
	v_mul_f64_e32 v[8:9], v[1:2], v[8:9]
	s_delay_alu instid0(VALU_DEP_2) | instskip(NEXT) | instid1(VALU_DEP_2)
	v_fma_f64 v[1:2], v[1:2], v[6:7], -v[10:11]
	v_fma_f64 v[3:4], v[3:4], v[6:7], v[8:9]
	scratch_store_b128 off, v[1:4], off offset:48
.LBB52_23:
	s_wait_alu 0xfffe
	s_or_b32 exec_lo, exec_lo, s1
	s_wait_loadcnt 0x0
	s_wait_storecnt 0x0
	s_barrier_signal -1
	s_barrier_wait -1
	global_inv scope:SCOPE_SE
	scratch_load_b128 v[1:4], off, s24
	v_add_nc_u32_e32 v6, -1, v0
	s_mov_b32 s0, exec_lo
	s_wait_loadcnt 0x0
	ds_store_b128 v5, v[1:4]
	s_wait_dscnt 0x0
	s_barrier_signal -1
	s_barrier_wait -1
	global_inv scope:SCOPE_SE
	v_cmpx_gt_u32_e32 3, v0
	s_cbranch_execz .LBB52_27
; %bb.24:
	v_dual_mov_b32 v1, 0 :: v_dual_add_nc_u32 v8, 0x350, v13
	v_mov_b32_e32 v3, 0
	v_dual_mov_b32 v2, 0 :: v_dual_add_nc_u32 v7, -1, v0
	v_mov_b32_e32 v4, 0
	v_or_b32_e32 v9, 8, v14
	s_mov_b32 s1, 0
.LBB52_25:                              ; =>This Inner Loop Header: Depth=1
	scratch_load_b128 v[15:18], v9, off offset:-8
	ds_load_b128 v[19:22], v8
	v_add_nc_u32_e32 v7, 1, v7
	v_add_nc_u32_e32 v8, 16, v8
	v_add_nc_u32_e32 v9, 16, v9
	s_delay_alu instid0(VALU_DEP_3)
	v_cmp_lt_u32_e32 vcc_lo, 1, v7
	s_wait_alu 0xfffe
	s_or_b32 s1, vcc_lo, s1
	s_wait_loadcnt_dscnt 0x0
	v_mul_f64_e32 v[10:11], v[21:22], v[17:18]
	v_mul_f64_e32 v[17:18], v[19:20], v[17:18]
	s_delay_alu instid0(VALU_DEP_2) | instskip(NEXT) | instid1(VALU_DEP_2)
	v_fma_f64 v[10:11], v[19:20], v[15:16], -v[10:11]
	v_fma_f64 v[15:16], v[21:22], v[15:16], v[17:18]
	s_delay_alu instid0(VALU_DEP_2) | instskip(NEXT) | instid1(VALU_DEP_2)
	v_add_f64_e32 v[3:4], v[3:4], v[10:11]
	v_add_f64_e32 v[1:2], v[1:2], v[15:16]
	s_wait_alu 0xfffe
	s_and_not1_b32 exec_lo, exec_lo, s1
	s_cbranch_execnz .LBB52_25
; %bb.26:
	s_or_b32 exec_lo, exec_lo, s1
	v_mov_b32_e32 v7, 0
	ds_load_b128 v[7:10], v7 offset:48
	s_wait_dscnt 0x0
	v_mul_f64_e32 v[11:12], v[1:2], v[9:10]
	v_mul_f64_e32 v[15:16], v[3:4], v[9:10]
	s_delay_alu instid0(VALU_DEP_2) | instskip(NEXT) | instid1(VALU_DEP_2)
	v_fma_f64 v[9:10], v[3:4], v[7:8], -v[11:12]
	v_fma_f64 v[11:12], v[1:2], v[7:8], v[15:16]
	scratch_store_b128 off, v[9:12], off offset:64
.LBB52_27:
	s_wait_alu 0xfffe
	s_or_b32 exec_lo, exec_lo, s0
	s_wait_loadcnt 0x0
	s_wait_storecnt 0x0
	s_barrier_signal -1
	s_barrier_wait -1
	global_inv scope:SCOPE_SE
	scratch_load_b128 v[1:4], off, s22
	s_mov_b32 s0, exec_lo
	s_wait_loadcnt 0x0
	ds_store_b128 v5, v[1:4]
	s_wait_dscnt 0x0
	s_barrier_signal -1
	s_barrier_wait -1
	global_inv scope:SCOPE_SE
	v_cmpx_gt_u32_e32 4, v0
	s_cbranch_execz .LBB52_31
; %bb.28:
	v_dual_mov_b32 v1, 0 :: v_dual_add_nc_u32 v8, 0x350, v13
	v_mov_b32_e32 v3, 0
	v_dual_mov_b32 v2, 0 :: v_dual_add_nc_u32 v7, -1, v0
	v_mov_b32_e32 v4, 0
	v_or_b32_e32 v9, 8, v14
	s_mov_b32 s1, 0
.LBB52_29:                              ; =>This Inner Loop Header: Depth=1
	scratch_load_b128 v[15:18], v9, off offset:-8
	ds_load_b128 v[19:22], v8
	v_add_nc_u32_e32 v7, 1, v7
	v_add_nc_u32_e32 v8, 16, v8
	v_add_nc_u32_e32 v9, 16, v9
	s_delay_alu instid0(VALU_DEP_3)
	v_cmp_lt_u32_e32 vcc_lo, 2, v7
	s_wait_alu 0xfffe
	s_or_b32 s1, vcc_lo, s1
	s_wait_loadcnt_dscnt 0x0
	v_mul_f64_e32 v[10:11], v[21:22], v[17:18]
	v_mul_f64_e32 v[17:18], v[19:20], v[17:18]
	s_delay_alu instid0(VALU_DEP_2) | instskip(NEXT) | instid1(VALU_DEP_2)
	v_fma_f64 v[10:11], v[19:20], v[15:16], -v[10:11]
	v_fma_f64 v[15:16], v[21:22], v[15:16], v[17:18]
	s_delay_alu instid0(VALU_DEP_2) | instskip(NEXT) | instid1(VALU_DEP_2)
	v_add_f64_e32 v[3:4], v[3:4], v[10:11]
	v_add_f64_e32 v[1:2], v[1:2], v[15:16]
	s_wait_alu 0xfffe
	s_and_not1_b32 exec_lo, exec_lo, s1
	s_cbranch_execnz .LBB52_29
; %bb.30:
	s_or_b32 exec_lo, exec_lo, s1
	v_mov_b32_e32 v7, 0
	ds_load_b128 v[7:10], v7 offset:64
	s_wait_dscnt 0x0
	v_mul_f64_e32 v[11:12], v[1:2], v[9:10]
	v_mul_f64_e32 v[15:16], v[3:4], v[9:10]
	s_delay_alu instid0(VALU_DEP_2) | instskip(NEXT) | instid1(VALU_DEP_2)
	v_fma_f64 v[9:10], v[3:4], v[7:8], -v[11:12]
	v_fma_f64 v[11:12], v[1:2], v[7:8], v[15:16]
	scratch_store_b128 off, v[9:12], off offset:80
.LBB52_31:
	s_wait_alu 0xfffe
	s_or_b32 exec_lo, exec_lo, s0
	s_wait_loadcnt 0x0
	s_wait_storecnt 0x0
	s_barrier_signal -1
	s_barrier_wait -1
	global_inv scope:SCOPE_SE
	scratch_load_b128 v[1:4], off, s61
	;; [unrolled: 58-line block ×19, first 2 shown]
	s_mov_b32 s0, exec_lo
	s_wait_loadcnt 0x0
	ds_store_b128 v5, v[1:4]
	s_wait_dscnt 0x0
	s_barrier_signal -1
	s_barrier_wait -1
	global_inv scope:SCOPE_SE
	v_cmpx_gt_u32_e32 22, v0
	s_cbranch_execz .LBB52_103
; %bb.100:
	v_dual_mov_b32 v1, 0 :: v_dual_add_nc_u32 v8, 0x350, v13
	v_mov_b32_e32 v3, 0
	v_dual_mov_b32 v2, 0 :: v_dual_add_nc_u32 v7, -1, v0
	v_mov_b32_e32 v4, 0
	v_or_b32_e32 v9, 8, v14
	s_mov_b32 s1, 0
.LBB52_101:                             ; =>This Inner Loop Header: Depth=1
	scratch_load_b128 v[15:18], v9, off offset:-8
	ds_load_b128 v[19:22], v8
	v_add_nc_u32_e32 v7, 1, v7
	v_add_nc_u32_e32 v8, 16, v8
	v_add_nc_u32_e32 v9, 16, v9
	s_delay_alu instid0(VALU_DEP_3)
	v_cmp_lt_u32_e32 vcc_lo, 20, v7
	s_wait_alu 0xfffe
	s_or_b32 s1, vcc_lo, s1
	s_wait_loadcnt_dscnt 0x0
	v_mul_f64_e32 v[10:11], v[21:22], v[17:18]
	v_mul_f64_e32 v[17:18], v[19:20], v[17:18]
	s_delay_alu instid0(VALU_DEP_2) | instskip(NEXT) | instid1(VALU_DEP_2)
	v_fma_f64 v[10:11], v[19:20], v[15:16], -v[10:11]
	v_fma_f64 v[15:16], v[21:22], v[15:16], v[17:18]
	s_delay_alu instid0(VALU_DEP_2) | instskip(NEXT) | instid1(VALU_DEP_2)
	v_add_f64_e32 v[3:4], v[3:4], v[10:11]
	v_add_f64_e32 v[1:2], v[1:2], v[15:16]
	s_wait_alu 0xfffe
	s_and_not1_b32 exec_lo, exec_lo, s1
	s_cbranch_execnz .LBB52_101
; %bb.102:
	s_or_b32 exec_lo, exec_lo, s1
	v_mov_b32_e32 v7, 0
	ds_load_b128 v[7:10], v7 offset:352
	s_wait_dscnt 0x0
	v_mul_f64_e32 v[11:12], v[1:2], v[9:10]
	v_mul_f64_e32 v[15:16], v[3:4], v[9:10]
	s_delay_alu instid0(VALU_DEP_2) | instskip(NEXT) | instid1(VALU_DEP_2)
	v_fma_f64 v[9:10], v[3:4], v[7:8], -v[11:12]
	v_fma_f64 v[11:12], v[1:2], v[7:8], v[15:16]
	scratch_store_b128 off, v[9:12], off offset:368
.LBB52_103:
	s_wait_alu 0xfffe
	s_or_b32 exec_lo, exec_lo, s0
	s_wait_loadcnt 0x0
	s_wait_storecnt 0x0
	s_barrier_signal -1
	s_barrier_wait -1
	global_inv scope:SCOPE_SE
	scratch_load_b128 v[1:4], off, s43
	s_mov_b32 s0, exec_lo
	s_wait_loadcnt 0x0
	ds_store_b128 v5, v[1:4]
	s_wait_dscnt 0x0
	s_barrier_signal -1
	s_barrier_wait -1
	global_inv scope:SCOPE_SE
	v_cmpx_gt_u32_e32 23, v0
	s_cbranch_execz .LBB52_107
; %bb.104:
	v_dual_mov_b32 v1, 0 :: v_dual_add_nc_u32 v8, 0x350, v13
	v_mov_b32_e32 v3, 0
	v_dual_mov_b32 v2, 0 :: v_dual_add_nc_u32 v7, -1, v0
	v_mov_b32_e32 v4, 0
	v_or_b32_e32 v9, 8, v14
	s_mov_b32 s1, 0
.LBB52_105:                             ; =>This Inner Loop Header: Depth=1
	scratch_load_b128 v[15:18], v9, off offset:-8
	ds_load_b128 v[19:22], v8
	v_add_nc_u32_e32 v7, 1, v7
	v_add_nc_u32_e32 v8, 16, v8
	v_add_nc_u32_e32 v9, 16, v9
	s_delay_alu instid0(VALU_DEP_3)
	v_cmp_lt_u32_e32 vcc_lo, 21, v7
	s_wait_alu 0xfffe
	s_or_b32 s1, vcc_lo, s1
	s_wait_loadcnt_dscnt 0x0
	v_mul_f64_e32 v[10:11], v[21:22], v[17:18]
	v_mul_f64_e32 v[17:18], v[19:20], v[17:18]
	s_delay_alu instid0(VALU_DEP_2) | instskip(NEXT) | instid1(VALU_DEP_2)
	v_fma_f64 v[10:11], v[19:20], v[15:16], -v[10:11]
	v_fma_f64 v[15:16], v[21:22], v[15:16], v[17:18]
	s_delay_alu instid0(VALU_DEP_2) | instskip(NEXT) | instid1(VALU_DEP_2)
	v_add_f64_e32 v[3:4], v[3:4], v[10:11]
	v_add_f64_e32 v[1:2], v[1:2], v[15:16]
	s_wait_alu 0xfffe
	s_and_not1_b32 exec_lo, exec_lo, s1
	s_cbranch_execnz .LBB52_105
; %bb.106:
	s_or_b32 exec_lo, exec_lo, s1
	v_mov_b32_e32 v7, 0
	ds_load_b128 v[7:10], v7 offset:368
	s_wait_dscnt 0x0
	v_mul_f64_e32 v[11:12], v[1:2], v[9:10]
	v_mul_f64_e32 v[15:16], v[3:4], v[9:10]
	s_delay_alu instid0(VALU_DEP_2) | instskip(NEXT) | instid1(VALU_DEP_2)
	v_fma_f64 v[9:10], v[3:4], v[7:8], -v[11:12]
	v_fma_f64 v[11:12], v[1:2], v[7:8], v[15:16]
	scratch_store_b128 off, v[9:12], off offset:384
.LBB52_107:
	s_wait_alu 0xfffe
	s_or_b32 exec_lo, exec_lo, s0
	s_wait_loadcnt 0x0
	s_wait_storecnt 0x0
	s_barrier_signal -1
	s_barrier_wait -1
	global_inv scope:SCOPE_SE
	scratch_load_b128 v[1:4], off, s42
	;; [unrolled: 58-line block ×30, first 2 shown]
	s_mov_b32 s0, exec_lo
	s_wait_loadcnt 0x0
	ds_store_b128 v5, v[1:4]
	s_wait_dscnt 0x0
	s_barrier_signal -1
	s_barrier_wait -1
	global_inv scope:SCOPE_SE
	v_cmpx_ne_u32_e32 52, v0
	s_cbranch_execz .LBB52_223
; %bb.220:
	v_mov_b32_e32 v1, 0
	v_dual_mov_b32 v2, 0 :: v_dual_mov_b32 v3, 0
	v_mov_b32_e32 v4, 0
	v_or_b32_e32 v7, 8, v14
	s_mov_b32 s1, 0
.LBB52_221:                             ; =>This Inner Loop Header: Depth=1
	scratch_load_b128 v[8:11], v7, off offset:-8
	ds_load_b128 v[12:15], v5
	v_add_nc_u32_e32 v6, 1, v6
	v_add_nc_u32_e32 v5, 16, v5
	;; [unrolled: 1-line block ×3, first 2 shown]
	s_delay_alu instid0(VALU_DEP_3)
	v_cmp_lt_u32_e32 vcc_lo, 50, v6
	s_wait_alu 0xfffe
	s_or_b32 s1, vcc_lo, s1
	s_wait_loadcnt_dscnt 0x0
	v_mul_f64_e32 v[16:17], v[14:15], v[10:11]
	v_mul_f64_e32 v[10:11], v[12:13], v[10:11]
	s_delay_alu instid0(VALU_DEP_2) | instskip(NEXT) | instid1(VALU_DEP_2)
	v_fma_f64 v[12:13], v[12:13], v[8:9], -v[16:17]
	v_fma_f64 v[8:9], v[14:15], v[8:9], v[10:11]
	s_delay_alu instid0(VALU_DEP_2) | instskip(NEXT) | instid1(VALU_DEP_2)
	v_add_f64_e32 v[3:4], v[3:4], v[12:13]
	v_add_f64_e32 v[1:2], v[1:2], v[8:9]
	s_wait_alu 0xfffe
	s_and_not1_b32 exec_lo, exec_lo, s1
	s_cbranch_execnz .LBB52_221
; %bb.222:
	s_or_b32 exec_lo, exec_lo, s1
	v_mov_b32_e32 v5, 0
	ds_load_b128 v[5:8], v5 offset:832
	s_wait_dscnt 0x0
	v_mul_f64_e32 v[9:10], v[1:2], v[7:8]
	v_mul_f64_e32 v[7:8], v[3:4], v[7:8]
	s_delay_alu instid0(VALU_DEP_2) | instskip(NEXT) | instid1(VALU_DEP_2)
	v_fma_f64 v[3:4], v[3:4], v[5:6], -v[9:10]
	v_fma_f64 v[5:6], v[1:2], v[5:6], v[7:8]
	scratch_store_b128 off, v[3:6], off offset:848
.LBB52_223:
	s_wait_alu 0xfffe
	s_or_b32 exec_lo, exec_lo, s0
	s_mov_b32 s1, -1
	s_wait_loadcnt 0x0
	s_wait_storecnt 0x0
	s_barrier_signal -1
	s_barrier_wait -1
	global_inv scope:SCOPE_SE
.LBB52_224:
	s_wait_alu 0xfffe
	s_and_b32 vcc_lo, exec_lo, s1
	s_wait_alu 0xfffe
	s_cbranch_vccz .LBB52_226
; %bb.225:
	v_mov_b32_e32 v1, 0
	s_lshl_b64 s[0:1], s[16:17], 2
	s_wait_alu 0xfffe
	s_add_nc_u64 s[0:1], s[6:7], s[0:1]
	global_load_b32 v1, v1, s[0:1]
	s_wait_loadcnt 0x0
	v_cmp_ne_u32_e32 vcc_lo, 0, v1
	s_cbranch_vccz .LBB52_227
.LBB52_226:
	s_nop 0
	s_sendmsg sendmsg(MSG_DEALLOC_VGPRS)
	s_endpgm
.LBB52_227:
	v_lshl_add_u32 v152, v0, 4, 0x350
	s_mov_b32 s0, exec_lo
	v_cmpx_eq_u32_e32 52, v0
	s_cbranch_execz .LBB52_229
; %bb.228:
	scratch_load_b128 v[1:4], off, s20
	v_mov_b32_e32 v5, 0
	s_delay_alu instid0(VALU_DEP_1)
	v_dual_mov_b32 v6, v5 :: v_dual_mov_b32 v7, v5
	v_mov_b32_e32 v8, v5
	scratch_store_b128 off, v[5:8], off offset:832
	s_wait_loadcnt 0x0
	ds_store_b128 v152, v[1:4]
.LBB52_229:
	s_wait_alu 0xfffe
	s_or_b32 exec_lo, exec_lo, s0
	s_wait_storecnt_dscnt 0x0
	s_barrier_signal -1
	s_barrier_wait -1
	global_inv scope:SCOPE_SE
	s_clause 0x1
	scratch_load_b128 v[2:5], off, off offset:848
	scratch_load_b128 v[6:9], off, off offset:832
	v_mov_b32_e32 v1, 0
	s_mov_b32 s0, exec_lo
	ds_load_b128 v[10:13], v1 offset:1680
	s_wait_loadcnt_dscnt 0x100
	v_mul_f64_e32 v[14:15], v[12:13], v[4:5]
	v_mul_f64_e32 v[4:5], v[10:11], v[4:5]
	s_delay_alu instid0(VALU_DEP_2) | instskip(NEXT) | instid1(VALU_DEP_2)
	v_fma_f64 v[10:11], v[10:11], v[2:3], -v[14:15]
	v_fma_f64 v[2:3], v[12:13], v[2:3], v[4:5]
	s_delay_alu instid0(VALU_DEP_2) | instskip(NEXT) | instid1(VALU_DEP_2)
	v_add_f64_e32 v[4:5], 0, v[10:11]
	v_add_f64_e32 v[10:11], 0, v[2:3]
	s_wait_loadcnt 0x0
	s_delay_alu instid0(VALU_DEP_2) | instskip(NEXT) | instid1(VALU_DEP_2)
	v_add_f64_e64 v[2:3], v[6:7], -v[4:5]
	v_add_f64_e64 v[4:5], v[8:9], -v[10:11]
	scratch_store_b128 off, v[2:5], off offset:832
	v_cmpx_lt_u32_e32 50, v0
	s_cbranch_execz .LBB52_231
; %bb.230:
	scratch_load_b128 v[5:8], off, s23
	v_dual_mov_b32 v2, v1 :: v_dual_mov_b32 v3, v1
	v_mov_b32_e32 v4, v1
	scratch_store_b128 off, v[1:4], off offset:816
	s_wait_loadcnt 0x0
	ds_store_b128 v152, v[5:8]
.LBB52_231:
	s_wait_alu 0xfffe
	s_or_b32 exec_lo, exec_lo, s0
	s_wait_storecnt_dscnt 0x0
	s_barrier_signal -1
	s_barrier_wait -1
	global_inv scope:SCOPE_SE
	s_clause 0x2
	scratch_load_b128 v[2:5], off, off offset:832
	scratch_load_b128 v[6:9], off, off offset:848
	;; [unrolled: 1-line block ×3, first 2 shown]
	ds_load_b128 v[14:17], v1 offset:1664
	ds_load_b128 v[18:21], v1 offset:1680
	s_mov_b32 s0, exec_lo
	s_wait_loadcnt_dscnt 0x201
	v_mul_f64_e32 v[22:23], v[16:17], v[4:5]
	v_mul_f64_e32 v[4:5], v[14:15], v[4:5]
	s_wait_loadcnt_dscnt 0x100
	v_mul_f64_e32 v[24:25], v[18:19], v[8:9]
	v_mul_f64_e32 v[8:9], v[20:21], v[8:9]
	s_delay_alu instid0(VALU_DEP_4) | instskip(NEXT) | instid1(VALU_DEP_4)
	v_fma_f64 v[14:15], v[14:15], v[2:3], -v[22:23]
	v_fma_f64 v[1:2], v[16:17], v[2:3], v[4:5]
	s_delay_alu instid0(VALU_DEP_4) | instskip(NEXT) | instid1(VALU_DEP_4)
	v_fma_f64 v[3:4], v[20:21], v[6:7], v[24:25]
	v_fma_f64 v[5:6], v[18:19], v[6:7], -v[8:9]
	s_delay_alu instid0(VALU_DEP_4) | instskip(NEXT) | instid1(VALU_DEP_4)
	v_add_f64_e32 v[7:8], 0, v[14:15]
	v_add_f64_e32 v[1:2], 0, v[1:2]
	s_delay_alu instid0(VALU_DEP_2) | instskip(NEXT) | instid1(VALU_DEP_2)
	v_add_f64_e32 v[5:6], v[7:8], v[5:6]
	v_add_f64_e32 v[3:4], v[1:2], v[3:4]
	s_wait_loadcnt 0x0
	s_delay_alu instid0(VALU_DEP_2) | instskip(NEXT) | instid1(VALU_DEP_2)
	v_add_f64_e64 v[1:2], v[10:11], -v[5:6]
	v_add_f64_e64 v[3:4], v[12:13], -v[3:4]
	scratch_store_b128 off, v[1:4], off offset:816
	v_cmpx_lt_u32_e32 49, v0
	s_cbranch_execz .LBB52_233
; %bb.232:
	scratch_load_b128 v[1:4], off, s4
	v_mov_b32_e32 v5, 0
	s_delay_alu instid0(VALU_DEP_1)
	v_dual_mov_b32 v6, v5 :: v_dual_mov_b32 v7, v5
	v_mov_b32_e32 v8, v5
	scratch_store_b128 off, v[5:8], off offset:800
	s_wait_loadcnt 0x0
	ds_store_b128 v152, v[1:4]
.LBB52_233:
	s_wait_alu 0xfffe
	s_or_b32 exec_lo, exec_lo, s0
	s_wait_storecnt_dscnt 0x0
	s_barrier_signal -1
	s_barrier_wait -1
	global_inv scope:SCOPE_SE
	s_clause 0x3
	scratch_load_b128 v[2:5], off, off offset:816
	scratch_load_b128 v[6:9], off, off offset:832
	;; [unrolled: 1-line block ×4, first 2 shown]
	v_mov_b32_e32 v1, 0
	ds_load_b128 v[18:21], v1 offset:1648
	ds_load_b128 v[22:25], v1 offset:1664
	s_mov_b32 s0, exec_lo
	s_wait_loadcnt_dscnt 0x301
	v_mul_f64_e32 v[26:27], v[20:21], v[4:5]
	v_mul_f64_e32 v[4:5], v[18:19], v[4:5]
	s_wait_loadcnt_dscnt 0x200
	v_mul_f64_e32 v[28:29], v[22:23], v[8:9]
	v_mul_f64_e32 v[8:9], v[24:25], v[8:9]
	s_delay_alu instid0(VALU_DEP_4) | instskip(NEXT) | instid1(VALU_DEP_4)
	v_fma_f64 v[18:19], v[18:19], v[2:3], -v[26:27]
	v_fma_f64 v[20:21], v[20:21], v[2:3], v[4:5]
	ds_load_b128 v[2:5], v1 offset:1680
	v_fma_f64 v[24:25], v[24:25], v[6:7], v[28:29]
	v_fma_f64 v[6:7], v[22:23], v[6:7], -v[8:9]
	s_wait_loadcnt_dscnt 0x100
	v_mul_f64_e32 v[26:27], v[2:3], v[12:13]
	v_mul_f64_e32 v[12:13], v[4:5], v[12:13]
	v_add_f64_e32 v[8:9], 0, v[18:19]
	v_add_f64_e32 v[18:19], 0, v[20:21]
	s_delay_alu instid0(VALU_DEP_4) | instskip(NEXT) | instid1(VALU_DEP_4)
	v_fma_f64 v[4:5], v[4:5], v[10:11], v[26:27]
	v_fma_f64 v[2:3], v[2:3], v[10:11], -v[12:13]
	s_delay_alu instid0(VALU_DEP_4) | instskip(NEXT) | instid1(VALU_DEP_4)
	v_add_f64_e32 v[6:7], v[8:9], v[6:7]
	v_add_f64_e32 v[8:9], v[18:19], v[24:25]
	s_delay_alu instid0(VALU_DEP_2) | instskip(NEXT) | instid1(VALU_DEP_2)
	v_add_f64_e32 v[2:3], v[6:7], v[2:3]
	v_add_f64_e32 v[4:5], v[8:9], v[4:5]
	s_wait_loadcnt 0x0
	s_delay_alu instid0(VALU_DEP_2) | instskip(NEXT) | instid1(VALU_DEP_2)
	v_add_f64_e64 v[2:3], v[14:15], -v[2:3]
	v_add_f64_e64 v[4:5], v[16:17], -v[4:5]
	scratch_store_b128 off, v[2:5], off offset:800
	v_cmpx_lt_u32_e32 48, v0
	s_cbranch_execz .LBB52_235
; %bb.234:
	scratch_load_b128 v[5:8], off, s5
	v_dual_mov_b32 v2, v1 :: v_dual_mov_b32 v3, v1
	v_mov_b32_e32 v4, v1
	scratch_store_b128 off, v[1:4], off offset:784
	s_wait_loadcnt 0x0
	ds_store_b128 v152, v[5:8]
.LBB52_235:
	s_wait_alu 0xfffe
	s_or_b32 exec_lo, exec_lo, s0
	s_wait_storecnt_dscnt 0x0
	s_barrier_signal -1
	s_barrier_wait -1
	global_inv scope:SCOPE_SE
	s_clause 0x4
	scratch_load_b128 v[2:5], off, off offset:800
	scratch_load_b128 v[6:9], off, off offset:816
	;; [unrolled: 1-line block ×5, first 2 shown]
	ds_load_b128 v[22:25], v1 offset:1632
	ds_load_b128 v[26:29], v1 offset:1648
	s_mov_b32 s0, exec_lo
	s_wait_loadcnt_dscnt 0x401
	v_mul_f64_e32 v[30:31], v[24:25], v[4:5]
	v_mul_f64_e32 v[4:5], v[22:23], v[4:5]
	s_wait_loadcnt_dscnt 0x300
	v_mul_f64_e32 v[32:33], v[26:27], v[8:9]
	v_mul_f64_e32 v[8:9], v[28:29], v[8:9]
	s_delay_alu instid0(VALU_DEP_4) | instskip(NEXT) | instid1(VALU_DEP_4)
	v_fma_f64 v[30:31], v[22:23], v[2:3], -v[30:31]
	v_fma_f64 v[34:35], v[24:25], v[2:3], v[4:5]
	ds_load_b128 v[2:5], v1 offset:1664
	ds_load_b128 v[22:25], v1 offset:1680
	v_fma_f64 v[28:29], v[28:29], v[6:7], v[32:33]
	v_fma_f64 v[6:7], v[26:27], v[6:7], -v[8:9]
	s_wait_loadcnt_dscnt 0x201
	v_mul_f64_e32 v[36:37], v[2:3], v[12:13]
	v_mul_f64_e32 v[12:13], v[4:5], v[12:13]
	v_add_f64_e32 v[8:9], 0, v[30:31]
	v_add_f64_e32 v[26:27], 0, v[34:35]
	s_wait_loadcnt_dscnt 0x100
	v_mul_f64_e32 v[30:31], v[22:23], v[16:17]
	v_mul_f64_e32 v[16:17], v[24:25], v[16:17]
	v_fma_f64 v[4:5], v[4:5], v[10:11], v[36:37]
	v_fma_f64 v[1:2], v[2:3], v[10:11], -v[12:13]
	v_add_f64_e32 v[6:7], v[8:9], v[6:7]
	v_add_f64_e32 v[8:9], v[26:27], v[28:29]
	v_fma_f64 v[10:11], v[24:25], v[14:15], v[30:31]
	v_fma_f64 v[12:13], v[22:23], v[14:15], -v[16:17]
	s_delay_alu instid0(VALU_DEP_4) | instskip(NEXT) | instid1(VALU_DEP_4)
	v_add_f64_e32 v[1:2], v[6:7], v[1:2]
	v_add_f64_e32 v[3:4], v[8:9], v[4:5]
	s_delay_alu instid0(VALU_DEP_2) | instskip(NEXT) | instid1(VALU_DEP_2)
	v_add_f64_e32 v[1:2], v[1:2], v[12:13]
	v_add_f64_e32 v[3:4], v[3:4], v[10:11]
	s_wait_loadcnt 0x0
	s_delay_alu instid0(VALU_DEP_2) | instskip(NEXT) | instid1(VALU_DEP_2)
	v_add_f64_e64 v[1:2], v[18:19], -v[1:2]
	v_add_f64_e64 v[3:4], v[20:21], -v[3:4]
	scratch_store_b128 off, v[1:4], off offset:784
	v_cmpx_lt_u32_e32 47, v0
	s_cbranch_execz .LBB52_237
; %bb.236:
	scratch_load_b128 v[1:4], off, s8
	v_mov_b32_e32 v5, 0
	s_delay_alu instid0(VALU_DEP_1)
	v_dual_mov_b32 v6, v5 :: v_dual_mov_b32 v7, v5
	v_mov_b32_e32 v8, v5
	scratch_store_b128 off, v[5:8], off offset:768
	s_wait_loadcnt 0x0
	ds_store_b128 v152, v[1:4]
.LBB52_237:
	s_wait_alu 0xfffe
	s_or_b32 exec_lo, exec_lo, s0
	s_wait_storecnt_dscnt 0x0
	s_barrier_signal -1
	s_barrier_wait -1
	global_inv scope:SCOPE_SE
	s_clause 0x5
	scratch_load_b128 v[2:5], off, off offset:784
	scratch_load_b128 v[6:9], off, off offset:800
	;; [unrolled: 1-line block ×6, first 2 shown]
	v_mov_b32_e32 v1, 0
	ds_load_b128 v[26:29], v1 offset:1616
	ds_load_b128 v[30:33], v1 offset:1632
	s_mov_b32 s0, exec_lo
	s_wait_loadcnt_dscnt 0x501
	v_mul_f64_e32 v[34:35], v[28:29], v[4:5]
	v_mul_f64_e32 v[4:5], v[26:27], v[4:5]
	s_wait_loadcnt_dscnt 0x400
	v_mul_f64_e32 v[36:37], v[30:31], v[8:9]
	v_mul_f64_e32 v[8:9], v[32:33], v[8:9]
	s_delay_alu instid0(VALU_DEP_4) | instskip(NEXT) | instid1(VALU_DEP_4)
	v_fma_f64 v[34:35], v[26:27], v[2:3], -v[34:35]
	v_fma_f64 v[38:39], v[28:29], v[2:3], v[4:5]
	ds_load_b128 v[2:5], v1 offset:1648
	ds_load_b128 v[26:29], v1 offset:1664
	v_fma_f64 v[32:33], v[32:33], v[6:7], v[36:37]
	v_fma_f64 v[6:7], v[30:31], v[6:7], -v[8:9]
	s_wait_loadcnt_dscnt 0x301
	v_mul_f64_e32 v[40:41], v[2:3], v[12:13]
	v_mul_f64_e32 v[12:13], v[4:5], v[12:13]
	v_add_f64_e32 v[8:9], 0, v[34:35]
	v_add_f64_e32 v[30:31], 0, v[38:39]
	s_wait_loadcnt_dscnt 0x200
	v_mul_f64_e32 v[34:35], v[26:27], v[16:17]
	v_mul_f64_e32 v[16:17], v[28:29], v[16:17]
	v_fma_f64 v[36:37], v[4:5], v[10:11], v[40:41]
	v_fma_f64 v[10:11], v[2:3], v[10:11], -v[12:13]
	ds_load_b128 v[2:5], v1 offset:1680
	v_add_f64_e32 v[6:7], v[8:9], v[6:7]
	v_add_f64_e32 v[8:9], v[30:31], v[32:33]
	v_fma_f64 v[28:29], v[28:29], v[14:15], v[34:35]
	v_fma_f64 v[14:15], v[26:27], v[14:15], -v[16:17]
	s_wait_loadcnt_dscnt 0x100
	v_mul_f64_e32 v[12:13], v[2:3], v[20:21]
	v_mul_f64_e32 v[20:21], v[4:5], v[20:21]
	v_add_f64_e32 v[6:7], v[6:7], v[10:11]
	v_add_f64_e32 v[8:9], v[8:9], v[36:37]
	s_delay_alu instid0(VALU_DEP_4) | instskip(NEXT) | instid1(VALU_DEP_4)
	v_fma_f64 v[4:5], v[4:5], v[18:19], v[12:13]
	v_fma_f64 v[2:3], v[2:3], v[18:19], -v[20:21]
	s_delay_alu instid0(VALU_DEP_4) | instskip(NEXT) | instid1(VALU_DEP_4)
	v_add_f64_e32 v[6:7], v[6:7], v[14:15]
	v_add_f64_e32 v[8:9], v[8:9], v[28:29]
	s_delay_alu instid0(VALU_DEP_2) | instskip(NEXT) | instid1(VALU_DEP_2)
	v_add_f64_e32 v[2:3], v[6:7], v[2:3]
	v_add_f64_e32 v[4:5], v[8:9], v[4:5]
	s_wait_loadcnt 0x0
	s_delay_alu instid0(VALU_DEP_2) | instskip(NEXT) | instid1(VALU_DEP_2)
	v_add_f64_e64 v[2:3], v[22:23], -v[2:3]
	v_add_f64_e64 v[4:5], v[24:25], -v[4:5]
	scratch_store_b128 off, v[2:5], off offset:768
	v_cmpx_lt_u32_e32 46, v0
	s_cbranch_execz .LBB52_239
; %bb.238:
	scratch_load_b128 v[5:8], off, s9
	v_dual_mov_b32 v2, v1 :: v_dual_mov_b32 v3, v1
	v_mov_b32_e32 v4, v1
	scratch_store_b128 off, v[1:4], off offset:752
	s_wait_loadcnt 0x0
	ds_store_b128 v152, v[5:8]
.LBB52_239:
	s_wait_alu 0xfffe
	s_or_b32 exec_lo, exec_lo, s0
	s_wait_storecnt_dscnt 0x0
	s_barrier_signal -1
	s_barrier_wait -1
	global_inv scope:SCOPE_SE
	s_clause 0x5
	scratch_load_b128 v[2:5], off, off offset:768
	scratch_load_b128 v[6:9], off, off offset:784
	;; [unrolled: 1-line block ×6, first 2 shown]
	ds_load_b128 v[26:29], v1 offset:1600
	ds_load_b128 v[34:37], v1 offset:1616
	scratch_load_b128 v[30:33], off, off offset:752
	s_mov_b32 s0, exec_lo
	s_wait_loadcnt_dscnt 0x601
	v_mul_f64_e32 v[38:39], v[28:29], v[4:5]
	v_mul_f64_e32 v[4:5], v[26:27], v[4:5]
	s_wait_loadcnt_dscnt 0x500
	v_mul_f64_e32 v[40:41], v[34:35], v[8:9]
	v_mul_f64_e32 v[8:9], v[36:37], v[8:9]
	s_delay_alu instid0(VALU_DEP_4) | instskip(NEXT) | instid1(VALU_DEP_4)
	v_fma_f64 v[38:39], v[26:27], v[2:3], -v[38:39]
	v_fma_f64 v[42:43], v[28:29], v[2:3], v[4:5]
	ds_load_b128 v[2:5], v1 offset:1632
	ds_load_b128 v[26:29], v1 offset:1648
	v_fma_f64 v[36:37], v[36:37], v[6:7], v[40:41]
	v_fma_f64 v[6:7], v[34:35], v[6:7], -v[8:9]
	s_wait_loadcnt_dscnt 0x401
	v_mul_f64_e32 v[44:45], v[2:3], v[12:13]
	v_mul_f64_e32 v[12:13], v[4:5], v[12:13]
	v_add_f64_e32 v[8:9], 0, v[38:39]
	v_add_f64_e32 v[34:35], 0, v[42:43]
	s_wait_loadcnt_dscnt 0x300
	v_mul_f64_e32 v[38:39], v[26:27], v[16:17]
	v_mul_f64_e32 v[16:17], v[28:29], v[16:17]
	v_fma_f64 v[40:41], v[4:5], v[10:11], v[44:45]
	v_fma_f64 v[10:11], v[2:3], v[10:11], -v[12:13]
	v_add_f64_e32 v[12:13], v[8:9], v[6:7]
	v_add_f64_e32 v[34:35], v[34:35], v[36:37]
	ds_load_b128 v[2:5], v1 offset:1664
	ds_load_b128 v[6:9], v1 offset:1680
	v_fma_f64 v[28:29], v[28:29], v[14:15], v[38:39]
	v_fma_f64 v[14:15], v[26:27], v[14:15], -v[16:17]
	s_wait_loadcnt_dscnt 0x201
	v_mul_f64_e32 v[36:37], v[2:3], v[20:21]
	v_mul_f64_e32 v[20:21], v[4:5], v[20:21]
	s_wait_loadcnt_dscnt 0x100
	v_mul_f64_e32 v[16:17], v[6:7], v[24:25]
	v_mul_f64_e32 v[24:25], v[8:9], v[24:25]
	v_add_f64_e32 v[10:11], v[12:13], v[10:11]
	v_add_f64_e32 v[12:13], v[34:35], v[40:41]
	v_fma_f64 v[4:5], v[4:5], v[18:19], v[36:37]
	v_fma_f64 v[1:2], v[2:3], v[18:19], -v[20:21]
	v_fma_f64 v[8:9], v[8:9], v[22:23], v[16:17]
	v_fma_f64 v[6:7], v[6:7], v[22:23], -v[24:25]
	v_add_f64_e32 v[10:11], v[10:11], v[14:15]
	v_add_f64_e32 v[12:13], v[12:13], v[28:29]
	s_delay_alu instid0(VALU_DEP_2) | instskip(NEXT) | instid1(VALU_DEP_2)
	v_add_f64_e32 v[1:2], v[10:11], v[1:2]
	v_add_f64_e32 v[3:4], v[12:13], v[4:5]
	s_delay_alu instid0(VALU_DEP_2) | instskip(NEXT) | instid1(VALU_DEP_2)
	v_add_f64_e32 v[1:2], v[1:2], v[6:7]
	v_add_f64_e32 v[3:4], v[3:4], v[8:9]
	s_wait_loadcnt 0x0
	s_delay_alu instid0(VALU_DEP_2) | instskip(NEXT) | instid1(VALU_DEP_2)
	v_add_f64_e64 v[1:2], v[30:31], -v[1:2]
	v_add_f64_e64 v[3:4], v[32:33], -v[3:4]
	scratch_store_b128 off, v[1:4], off offset:752
	v_cmpx_lt_u32_e32 45, v0
	s_cbranch_execz .LBB52_241
; %bb.240:
	scratch_load_b128 v[1:4], off, s10
	v_mov_b32_e32 v5, 0
	s_delay_alu instid0(VALU_DEP_1)
	v_dual_mov_b32 v6, v5 :: v_dual_mov_b32 v7, v5
	v_mov_b32_e32 v8, v5
	scratch_store_b128 off, v[5:8], off offset:736
	s_wait_loadcnt 0x0
	ds_store_b128 v152, v[1:4]
.LBB52_241:
	s_wait_alu 0xfffe
	s_or_b32 exec_lo, exec_lo, s0
	s_wait_storecnt_dscnt 0x0
	s_barrier_signal -1
	s_barrier_wait -1
	global_inv scope:SCOPE_SE
	s_clause 0x6
	scratch_load_b128 v[2:5], off, off offset:752
	scratch_load_b128 v[6:9], off, off offset:768
	;; [unrolled: 1-line block ×7, first 2 shown]
	v_mov_b32_e32 v1, 0
	scratch_load_b128 v[34:37], off, off offset:736
	s_mov_b32 s0, exec_lo
	ds_load_b128 v[30:33], v1 offset:1584
	ds_load_b128 v[38:41], v1 offset:1600
	s_wait_loadcnt_dscnt 0x701
	v_mul_f64_e32 v[42:43], v[32:33], v[4:5]
	v_mul_f64_e32 v[4:5], v[30:31], v[4:5]
	s_wait_loadcnt_dscnt 0x600
	v_mul_f64_e32 v[44:45], v[38:39], v[8:9]
	v_mul_f64_e32 v[8:9], v[40:41], v[8:9]
	s_delay_alu instid0(VALU_DEP_4) | instskip(NEXT) | instid1(VALU_DEP_4)
	v_fma_f64 v[42:43], v[30:31], v[2:3], -v[42:43]
	v_fma_f64 v[153:154], v[32:33], v[2:3], v[4:5]
	ds_load_b128 v[2:5], v1 offset:1616
	ds_load_b128 v[30:33], v1 offset:1632
	v_fma_f64 v[40:41], v[40:41], v[6:7], v[44:45]
	v_fma_f64 v[6:7], v[38:39], v[6:7], -v[8:9]
	s_wait_loadcnt_dscnt 0x501
	v_mul_f64_e32 v[155:156], v[2:3], v[12:13]
	v_mul_f64_e32 v[12:13], v[4:5], v[12:13]
	v_add_f64_e32 v[8:9], 0, v[42:43]
	v_add_f64_e32 v[38:39], 0, v[153:154]
	s_wait_loadcnt_dscnt 0x400
	v_mul_f64_e32 v[42:43], v[30:31], v[16:17]
	v_mul_f64_e32 v[16:17], v[32:33], v[16:17]
	v_fma_f64 v[44:45], v[4:5], v[10:11], v[155:156]
	v_fma_f64 v[10:11], v[2:3], v[10:11], -v[12:13]
	v_add_f64_e32 v[12:13], v[8:9], v[6:7]
	v_add_f64_e32 v[38:39], v[38:39], v[40:41]
	ds_load_b128 v[2:5], v1 offset:1648
	ds_load_b128 v[6:9], v1 offset:1664
	v_fma_f64 v[32:33], v[32:33], v[14:15], v[42:43]
	v_fma_f64 v[14:15], v[30:31], v[14:15], -v[16:17]
	s_wait_loadcnt_dscnt 0x301
	v_mul_f64_e32 v[40:41], v[2:3], v[20:21]
	v_mul_f64_e32 v[20:21], v[4:5], v[20:21]
	s_wait_loadcnt_dscnt 0x200
	v_mul_f64_e32 v[16:17], v[6:7], v[24:25]
	v_mul_f64_e32 v[24:25], v[8:9], v[24:25]
	v_add_f64_e32 v[10:11], v[12:13], v[10:11]
	v_add_f64_e32 v[12:13], v[38:39], v[44:45]
	v_fma_f64 v[30:31], v[4:5], v[18:19], v[40:41]
	v_fma_f64 v[18:19], v[2:3], v[18:19], -v[20:21]
	ds_load_b128 v[2:5], v1 offset:1680
	v_fma_f64 v[8:9], v[8:9], v[22:23], v[16:17]
	v_fma_f64 v[6:7], v[6:7], v[22:23], -v[24:25]
	v_add_f64_e32 v[10:11], v[10:11], v[14:15]
	v_add_f64_e32 v[12:13], v[12:13], v[32:33]
	s_wait_loadcnt_dscnt 0x100
	v_mul_f64_e32 v[14:15], v[2:3], v[28:29]
	v_mul_f64_e32 v[20:21], v[4:5], v[28:29]
	s_delay_alu instid0(VALU_DEP_4) | instskip(NEXT) | instid1(VALU_DEP_4)
	v_add_f64_e32 v[10:11], v[10:11], v[18:19]
	v_add_f64_e32 v[12:13], v[12:13], v[30:31]
	s_delay_alu instid0(VALU_DEP_4) | instskip(NEXT) | instid1(VALU_DEP_4)
	v_fma_f64 v[4:5], v[4:5], v[26:27], v[14:15]
	v_fma_f64 v[2:3], v[2:3], v[26:27], -v[20:21]
	s_delay_alu instid0(VALU_DEP_4) | instskip(NEXT) | instid1(VALU_DEP_4)
	v_add_f64_e32 v[6:7], v[10:11], v[6:7]
	v_add_f64_e32 v[8:9], v[12:13], v[8:9]
	s_delay_alu instid0(VALU_DEP_2) | instskip(NEXT) | instid1(VALU_DEP_2)
	v_add_f64_e32 v[2:3], v[6:7], v[2:3]
	v_add_f64_e32 v[4:5], v[8:9], v[4:5]
	s_wait_loadcnt 0x0
	s_delay_alu instid0(VALU_DEP_2) | instskip(NEXT) | instid1(VALU_DEP_2)
	v_add_f64_e64 v[2:3], v[34:35], -v[2:3]
	v_add_f64_e64 v[4:5], v[36:37], -v[4:5]
	scratch_store_b128 off, v[2:5], off offset:736
	v_cmpx_lt_u32_e32 44, v0
	s_cbranch_execz .LBB52_243
; %bb.242:
	scratch_load_b128 v[5:8], off, s11
	v_dual_mov_b32 v2, v1 :: v_dual_mov_b32 v3, v1
	v_mov_b32_e32 v4, v1
	scratch_store_b128 off, v[1:4], off offset:720
	s_wait_loadcnt 0x0
	ds_store_b128 v152, v[5:8]
.LBB52_243:
	s_wait_alu 0xfffe
	s_or_b32 exec_lo, exec_lo, s0
	s_wait_storecnt_dscnt 0x0
	s_barrier_signal -1
	s_barrier_wait -1
	global_inv scope:SCOPE_SE
	s_clause 0x7
	scratch_load_b128 v[2:5], off, off offset:736
	scratch_load_b128 v[6:9], off, off offset:752
	;; [unrolled: 1-line block ×8, first 2 shown]
	ds_load_b128 v[34:37], v1 offset:1568
	ds_load_b128 v[38:41], v1 offset:1584
	scratch_load_b128 v[42:45], off, off offset:720
	s_mov_b32 s0, exec_lo
	s_wait_loadcnt_dscnt 0x801
	v_mul_f64_e32 v[153:154], v[36:37], v[4:5]
	v_mul_f64_e32 v[4:5], v[34:35], v[4:5]
	s_wait_loadcnt_dscnt 0x700
	v_mul_f64_e32 v[155:156], v[38:39], v[8:9]
	v_mul_f64_e32 v[8:9], v[40:41], v[8:9]
	s_delay_alu instid0(VALU_DEP_4) | instskip(NEXT) | instid1(VALU_DEP_4)
	v_fma_f64 v[153:154], v[34:35], v[2:3], -v[153:154]
	v_fma_f64 v[157:158], v[36:37], v[2:3], v[4:5]
	ds_load_b128 v[2:5], v1 offset:1600
	ds_load_b128 v[34:37], v1 offset:1616
	v_fma_f64 v[40:41], v[40:41], v[6:7], v[155:156]
	v_fma_f64 v[6:7], v[38:39], v[6:7], -v[8:9]
	s_wait_loadcnt_dscnt 0x601
	v_mul_f64_e32 v[159:160], v[2:3], v[12:13]
	v_mul_f64_e32 v[12:13], v[4:5], v[12:13]
	v_add_f64_e32 v[8:9], 0, v[153:154]
	v_add_f64_e32 v[38:39], 0, v[157:158]
	s_wait_loadcnt_dscnt 0x500
	v_mul_f64_e32 v[153:154], v[34:35], v[16:17]
	v_mul_f64_e32 v[16:17], v[36:37], v[16:17]
	v_fma_f64 v[155:156], v[4:5], v[10:11], v[159:160]
	v_fma_f64 v[10:11], v[2:3], v[10:11], -v[12:13]
	v_add_f64_e32 v[12:13], v[8:9], v[6:7]
	v_add_f64_e32 v[38:39], v[38:39], v[40:41]
	ds_load_b128 v[2:5], v1 offset:1632
	ds_load_b128 v[6:9], v1 offset:1648
	v_fma_f64 v[36:37], v[36:37], v[14:15], v[153:154]
	v_fma_f64 v[14:15], v[34:35], v[14:15], -v[16:17]
	s_wait_loadcnt_dscnt 0x401
	v_mul_f64_e32 v[40:41], v[2:3], v[20:21]
	v_mul_f64_e32 v[20:21], v[4:5], v[20:21]
	s_wait_loadcnt_dscnt 0x300
	v_mul_f64_e32 v[16:17], v[6:7], v[24:25]
	v_mul_f64_e32 v[24:25], v[8:9], v[24:25]
	v_add_f64_e32 v[10:11], v[12:13], v[10:11]
	v_add_f64_e32 v[12:13], v[38:39], v[155:156]
	v_fma_f64 v[34:35], v[4:5], v[18:19], v[40:41]
	v_fma_f64 v[18:19], v[2:3], v[18:19], -v[20:21]
	v_fma_f64 v[8:9], v[8:9], v[22:23], v[16:17]
	v_fma_f64 v[6:7], v[6:7], v[22:23], -v[24:25]
	v_add_f64_e32 v[14:15], v[10:11], v[14:15]
	v_add_f64_e32 v[20:21], v[12:13], v[36:37]
	ds_load_b128 v[2:5], v1 offset:1664
	ds_load_b128 v[10:13], v1 offset:1680
	s_wait_loadcnt_dscnt 0x201
	v_mul_f64_e32 v[36:37], v[2:3], v[28:29]
	v_mul_f64_e32 v[28:29], v[4:5], v[28:29]
	v_add_f64_e32 v[14:15], v[14:15], v[18:19]
	v_add_f64_e32 v[16:17], v[20:21], v[34:35]
	s_wait_loadcnt_dscnt 0x100
	v_mul_f64_e32 v[18:19], v[10:11], v[32:33]
	v_mul_f64_e32 v[20:21], v[12:13], v[32:33]
	v_fma_f64 v[4:5], v[4:5], v[26:27], v[36:37]
	v_fma_f64 v[1:2], v[2:3], v[26:27], -v[28:29]
	v_add_f64_e32 v[6:7], v[14:15], v[6:7]
	v_add_f64_e32 v[8:9], v[16:17], v[8:9]
	v_fma_f64 v[12:13], v[12:13], v[30:31], v[18:19]
	v_fma_f64 v[10:11], v[10:11], v[30:31], -v[20:21]
	s_delay_alu instid0(VALU_DEP_4) | instskip(NEXT) | instid1(VALU_DEP_4)
	v_add_f64_e32 v[1:2], v[6:7], v[1:2]
	v_add_f64_e32 v[3:4], v[8:9], v[4:5]
	s_delay_alu instid0(VALU_DEP_2) | instskip(NEXT) | instid1(VALU_DEP_2)
	v_add_f64_e32 v[1:2], v[1:2], v[10:11]
	v_add_f64_e32 v[3:4], v[3:4], v[12:13]
	s_wait_loadcnt 0x0
	s_delay_alu instid0(VALU_DEP_2) | instskip(NEXT) | instid1(VALU_DEP_2)
	v_add_f64_e64 v[1:2], v[42:43], -v[1:2]
	v_add_f64_e64 v[3:4], v[44:45], -v[3:4]
	scratch_store_b128 off, v[1:4], off offset:720
	v_cmpx_lt_u32_e32 43, v0
	s_cbranch_execz .LBB52_245
; %bb.244:
	scratch_load_b128 v[1:4], off, s12
	v_mov_b32_e32 v5, 0
	s_delay_alu instid0(VALU_DEP_1)
	v_dual_mov_b32 v6, v5 :: v_dual_mov_b32 v7, v5
	v_mov_b32_e32 v8, v5
	scratch_store_b128 off, v[5:8], off offset:704
	s_wait_loadcnt 0x0
	ds_store_b128 v152, v[1:4]
.LBB52_245:
	s_wait_alu 0xfffe
	s_or_b32 exec_lo, exec_lo, s0
	s_wait_storecnt_dscnt 0x0
	s_barrier_signal -1
	s_barrier_wait -1
	global_inv scope:SCOPE_SE
	s_clause 0x7
	scratch_load_b128 v[2:5], off, off offset:720
	scratch_load_b128 v[6:9], off, off offset:736
	scratch_load_b128 v[10:13], off, off offset:752
	scratch_load_b128 v[14:17], off, off offset:768
	scratch_load_b128 v[18:21], off, off offset:784
	scratch_load_b128 v[22:25], off, off offset:800
	scratch_load_b128 v[26:29], off, off offset:816
	scratch_load_b128 v[30:33], off, off offset:832
	v_mov_b32_e32 v1, 0
	s_mov_b32 s0, exec_lo
	ds_load_b128 v[34:37], v1 offset:1552
	s_clause 0x1
	scratch_load_b128 v[38:41], off, off offset:848
	scratch_load_b128 v[42:45], off, off offset:704
	ds_load_b128 v[153:156], v1 offset:1568
	s_wait_loadcnt_dscnt 0x901
	v_mul_f64_e32 v[157:158], v[36:37], v[4:5]
	v_mul_f64_e32 v[4:5], v[34:35], v[4:5]
	s_wait_loadcnt_dscnt 0x800
	v_mul_f64_e32 v[159:160], v[153:154], v[8:9]
	v_mul_f64_e32 v[8:9], v[155:156], v[8:9]
	s_delay_alu instid0(VALU_DEP_4) | instskip(NEXT) | instid1(VALU_DEP_4)
	v_fma_f64 v[157:158], v[34:35], v[2:3], -v[157:158]
	v_fma_f64 v[161:162], v[36:37], v[2:3], v[4:5]
	ds_load_b128 v[2:5], v1 offset:1584
	ds_load_b128 v[34:37], v1 offset:1600
	v_fma_f64 v[155:156], v[155:156], v[6:7], v[159:160]
	v_fma_f64 v[6:7], v[153:154], v[6:7], -v[8:9]
	s_wait_loadcnt_dscnt 0x701
	v_mul_f64_e32 v[163:164], v[2:3], v[12:13]
	v_mul_f64_e32 v[12:13], v[4:5], v[12:13]
	v_add_f64_e32 v[8:9], 0, v[157:158]
	v_add_f64_e32 v[153:154], 0, v[161:162]
	s_wait_loadcnt_dscnt 0x600
	v_mul_f64_e32 v[157:158], v[34:35], v[16:17]
	v_mul_f64_e32 v[16:17], v[36:37], v[16:17]
	v_fma_f64 v[159:160], v[4:5], v[10:11], v[163:164]
	v_fma_f64 v[10:11], v[2:3], v[10:11], -v[12:13]
	v_add_f64_e32 v[12:13], v[8:9], v[6:7]
	v_add_f64_e32 v[153:154], v[153:154], v[155:156]
	ds_load_b128 v[2:5], v1 offset:1616
	ds_load_b128 v[6:9], v1 offset:1632
	v_fma_f64 v[36:37], v[36:37], v[14:15], v[157:158]
	v_fma_f64 v[14:15], v[34:35], v[14:15], -v[16:17]
	s_wait_loadcnt_dscnt 0x501
	v_mul_f64_e32 v[155:156], v[2:3], v[20:21]
	v_mul_f64_e32 v[20:21], v[4:5], v[20:21]
	s_wait_loadcnt_dscnt 0x400
	v_mul_f64_e32 v[16:17], v[6:7], v[24:25]
	v_mul_f64_e32 v[24:25], v[8:9], v[24:25]
	v_add_f64_e32 v[10:11], v[12:13], v[10:11]
	v_add_f64_e32 v[12:13], v[153:154], v[159:160]
	v_fma_f64 v[34:35], v[4:5], v[18:19], v[155:156]
	v_fma_f64 v[18:19], v[2:3], v[18:19], -v[20:21]
	v_fma_f64 v[8:9], v[8:9], v[22:23], v[16:17]
	v_fma_f64 v[6:7], v[6:7], v[22:23], -v[24:25]
	v_add_f64_e32 v[14:15], v[10:11], v[14:15]
	v_add_f64_e32 v[20:21], v[12:13], v[36:37]
	ds_load_b128 v[2:5], v1 offset:1648
	ds_load_b128 v[10:13], v1 offset:1664
	s_wait_loadcnt_dscnt 0x301
	v_mul_f64_e32 v[36:37], v[2:3], v[28:29]
	v_mul_f64_e32 v[28:29], v[4:5], v[28:29]
	v_add_f64_e32 v[14:15], v[14:15], v[18:19]
	v_add_f64_e32 v[16:17], v[20:21], v[34:35]
	s_wait_loadcnt_dscnt 0x200
	v_mul_f64_e32 v[18:19], v[10:11], v[32:33]
	v_mul_f64_e32 v[20:21], v[12:13], v[32:33]
	v_fma_f64 v[22:23], v[4:5], v[26:27], v[36:37]
	v_fma_f64 v[24:25], v[2:3], v[26:27], -v[28:29]
	ds_load_b128 v[2:5], v1 offset:1680
	v_add_f64_e32 v[6:7], v[14:15], v[6:7]
	v_add_f64_e32 v[8:9], v[16:17], v[8:9]
	v_fma_f64 v[12:13], v[12:13], v[30:31], v[18:19]
	v_fma_f64 v[10:11], v[10:11], v[30:31], -v[20:21]
	s_wait_loadcnt_dscnt 0x100
	v_mul_f64_e32 v[14:15], v[2:3], v[40:41]
	v_mul_f64_e32 v[16:17], v[4:5], v[40:41]
	v_add_f64_e32 v[6:7], v[6:7], v[24:25]
	v_add_f64_e32 v[8:9], v[8:9], v[22:23]
	s_delay_alu instid0(VALU_DEP_4) | instskip(NEXT) | instid1(VALU_DEP_4)
	v_fma_f64 v[4:5], v[4:5], v[38:39], v[14:15]
	v_fma_f64 v[2:3], v[2:3], v[38:39], -v[16:17]
	s_delay_alu instid0(VALU_DEP_4) | instskip(NEXT) | instid1(VALU_DEP_4)
	v_add_f64_e32 v[6:7], v[6:7], v[10:11]
	v_add_f64_e32 v[8:9], v[8:9], v[12:13]
	s_delay_alu instid0(VALU_DEP_2) | instskip(NEXT) | instid1(VALU_DEP_2)
	v_add_f64_e32 v[2:3], v[6:7], v[2:3]
	v_add_f64_e32 v[4:5], v[8:9], v[4:5]
	s_wait_loadcnt 0x0
	s_delay_alu instid0(VALU_DEP_2) | instskip(NEXT) | instid1(VALU_DEP_2)
	v_add_f64_e64 v[2:3], v[42:43], -v[2:3]
	v_add_f64_e64 v[4:5], v[44:45], -v[4:5]
	scratch_store_b128 off, v[2:5], off offset:704
	v_cmpx_lt_u32_e32 42, v0
	s_cbranch_execz .LBB52_247
; %bb.246:
	scratch_load_b128 v[5:8], off, s13
	v_dual_mov_b32 v2, v1 :: v_dual_mov_b32 v3, v1
	v_mov_b32_e32 v4, v1
	scratch_store_b128 off, v[1:4], off offset:688
	s_wait_loadcnt 0x0
	ds_store_b128 v152, v[5:8]
.LBB52_247:
	s_wait_alu 0xfffe
	s_or_b32 exec_lo, exec_lo, s0
	s_wait_storecnt_dscnt 0x0
	s_barrier_signal -1
	s_barrier_wait -1
	global_inv scope:SCOPE_SE
	s_clause 0x7
	scratch_load_b128 v[2:5], off, off offset:704
	scratch_load_b128 v[6:9], off, off offset:720
	;; [unrolled: 1-line block ×8, first 2 shown]
	ds_load_b128 v[34:37], v1 offset:1536
	ds_load_b128 v[42:45], v1 offset:1552
	s_clause 0x1
	scratch_load_b128 v[38:41], off, off offset:832
	scratch_load_b128 v[153:156], off, off offset:848
	s_mov_b32 s0, exec_lo
	s_wait_loadcnt_dscnt 0x901
	v_mul_f64_e32 v[157:158], v[36:37], v[4:5]
	v_mul_f64_e32 v[4:5], v[34:35], v[4:5]
	s_wait_loadcnt_dscnt 0x800
	v_mul_f64_e32 v[159:160], v[42:43], v[8:9]
	v_mul_f64_e32 v[8:9], v[44:45], v[8:9]
	s_delay_alu instid0(VALU_DEP_4) | instskip(NEXT) | instid1(VALU_DEP_4)
	v_fma_f64 v[34:35], v[34:35], v[2:3], -v[157:158]
	v_fma_f64 v[36:37], v[36:37], v[2:3], v[4:5]
	ds_load_b128 v[2:5], v1 offset:1568
	v_fma_f64 v[44:45], v[44:45], v[6:7], v[159:160]
	v_fma_f64 v[42:43], v[42:43], v[6:7], -v[8:9]
	ds_load_b128 v[6:9], v1 offset:1584
	s_wait_loadcnt_dscnt 0x701
	v_mul_f64_e32 v[157:158], v[2:3], v[12:13]
	v_mul_f64_e32 v[12:13], v[4:5], v[12:13]
	s_wait_loadcnt_dscnt 0x600
	v_mul_f64_e32 v[159:160], v[6:7], v[16:17]
	v_mul_f64_e32 v[16:17], v[8:9], v[16:17]
	v_add_f64_e32 v[34:35], 0, v[34:35]
	v_add_f64_e32 v[36:37], 0, v[36:37]
	v_fma_f64 v[157:158], v[4:5], v[10:11], v[157:158]
	v_fma_f64 v[161:162], v[2:3], v[10:11], -v[12:13]
	ds_load_b128 v[2:5], v1 offset:1600
	scratch_load_b128 v[10:13], off, off offset:688
	v_add_f64_e32 v[34:35], v[34:35], v[42:43]
	v_add_f64_e32 v[36:37], v[36:37], v[44:45]
	v_fma_f64 v[44:45], v[8:9], v[14:15], v[159:160]
	v_fma_f64 v[14:15], v[6:7], v[14:15], -v[16:17]
	ds_load_b128 v[6:9], v1 offset:1616
	s_wait_loadcnt_dscnt 0x601
	v_mul_f64_e32 v[42:43], v[2:3], v[20:21]
	v_mul_f64_e32 v[20:21], v[4:5], v[20:21]
	v_add_f64_e32 v[16:17], v[34:35], v[161:162]
	v_add_f64_e32 v[34:35], v[36:37], v[157:158]
	s_wait_loadcnt_dscnt 0x500
	v_mul_f64_e32 v[36:37], v[6:7], v[24:25]
	v_mul_f64_e32 v[24:25], v[8:9], v[24:25]
	v_fma_f64 v[42:43], v[4:5], v[18:19], v[42:43]
	v_fma_f64 v[18:19], v[2:3], v[18:19], -v[20:21]
	ds_load_b128 v[2:5], v1 offset:1632
	v_add_f64_e32 v[14:15], v[16:17], v[14:15]
	v_add_f64_e32 v[16:17], v[34:35], v[44:45]
	v_fma_f64 v[34:35], v[8:9], v[22:23], v[36:37]
	v_fma_f64 v[22:23], v[6:7], v[22:23], -v[24:25]
	ds_load_b128 v[6:9], v1 offset:1648
	s_wait_loadcnt_dscnt 0x401
	v_mul_f64_e32 v[20:21], v[2:3], v[28:29]
	v_mul_f64_e32 v[28:29], v[4:5], v[28:29]
	s_wait_loadcnt_dscnt 0x300
	v_mul_f64_e32 v[24:25], v[8:9], v[32:33]
	v_add_f64_e32 v[14:15], v[14:15], v[18:19]
	v_add_f64_e32 v[16:17], v[16:17], v[42:43]
	v_mul_f64_e32 v[18:19], v[6:7], v[32:33]
	v_fma_f64 v[20:21], v[4:5], v[26:27], v[20:21]
	v_fma_f64 v[26:27], v[2:3], v[26:27], -v[28:29]
	ds_load_b128 v[2:5], v1 offset:1664
	v_fma_f64 v[24:25], v[6:7], v[30:31], -v[24:25]
	v_add_f64_e32 v[14:15], v[14:15], v[22:23]
	v_add_f64_e32 v[16:17], v[16:17], v[34:35]
	v_fma_f64 v[18:19], v[8:9], v[30:31], v[18:19]
	ds_load_b128 v[6:9], v1 offset:1680
	s_wait_loadcnt_dscnt 0x201
	v_mul_f64_e32 v[22:23], v[2:3], v[40:41]
	v_mul_f64_e32 v[28:29], v[4:5], v[40:41]
	v_add_f64_e32 v[14:15], v[14:15], v[26:27]
	v_add_f64_e32 v[16:17], v[16:17], v[20:21]
	s_wait_loadcnt_dscnt 0x100
	v_mul_f64_e32 v[20:21], v[6:7], v[155:156]
	v_mul_f64_e32 v[26:27], v[8:9], v[155:156]
	v_fma_f64 v[4:5], v[4:5], v[38:39], v[22:23]
	v_fma_f64 v[1:2], v[2:3], v[38:39], -v[28:29]
	v_add_f64_e32 v[14:15], v[14:15], v[24:25]
	v_add_f64_e32 v[16:17], v[16:17], v[18:19]
	v_fma_f64 v[8:9], v[8:9], v[153:154], v[20:21]
	v_fma_f64 v[6:7], v[6:7], v[153:154], -v[26:27]
	s_delay_alu instid0(VALU_DEP_4) | instskip(NEXT) | instid1(VALU_DEP_4)
	v_add_f64_e32 v[1:2], v[14:15], v[1:2]
	v_add_f64_e32 v[3:4], v[16:17], v[4:5]
	s_delay_alu instid0(VALU_DEP_2) | instskip(NEXT) | instid1(VALU_DEP_2)
	v_add_f64_e32 v[1:2], v[1:2], v[6:7]
	v_add_f64_e32 v[3:4], v[3:4], v[8:9]
	s_wait_loadcnt 0x0
	s_delay_alu instid0(VALU_DEP_2) | instskip(NEXT) | instid1(VALU_DEP_2)
	v_add_f64_e64 v[1:2], v[10:11], -v[1:2]
	v_add_f64_e64 v[3:4], v[12:13], -v[3:4]
	scratch_store_b128 off, v[1:4], off offset:688
	v_cmpx_lt_u32_e32 41, v0
	s_cbranch_execz .LBB52_249
; %bb.248:
	scratch_load_b128 v[1:4], off, s14
	v_mov_b32_e32 v5, 0
	s_delay_alu instid0(VALU_DEP_1)
	v_dual_mov_b32 v6, v5 :: v_dual_mov_b32 v7, v5
	v_mov_b32_e32 v8, v5
	scratch_store_b128 off, v[5:8], off offset:672
	s_wait_loadcnt 0x0
	ds_store_b128 v152, v[1:4]
.LBB52_249:
	s_wait_alu 0xfffe
	s_or_b32 exec_lo, exec_lo, s0
	s_wait_storecnt_dscnt 0x0
	s_barrier_signal -1
	s_barrier_wait -1
	global_inv scope:SCOPE_SE
	s_clause 0x7
	scratch_load_b128 v[2:5], off, off offset:688
	scratch_load_b128 v[6:9], off, off offset:704
	;; [unrolled: 1-line block ×8, first 2 shown]
	v_mov_b32_e32 v1, 0
	s_clause 0x1
	scratch_load_b128 v[38:41], off, off offset:816
	scratch_load_b128 v[153:156], off, off offset:832
	s_mov_b32 s0, exec_lo
	ds_load_b128 v[34:37], v1 offset:1520
	ds_load_b128 v[42:45], v1 offset:1536
	s_wait_loadcnt_dscnt 0x901
	v_mul_f64_e32 v[157:158], v[36:37], v[4:5]
	v_mul_f64_e32 v[4:5], v[34:35], v[4:5]
	s_wait_loadcnt_dscnt 0x800
	v_mul_f64_e32 v[159:160], v[42:43], v[8:9]
	v_mul_f64_e32 v[8:9], v[44:45], v[8:9]
	s_delay_alu instid0(VALU_DEP_4) | instskip(NEXT) | instid1(VALU_DEP_4)
	v_fma_f64 v[157:158], v[34:35], v[2:3], -v[157:158]
	v_fma_f64 v[161:162], v[36:37], v[2:3], v[4:5]
	ds_load_b128 v[2:5], v1 offset:1552
	scratch_load_b128 v[34:37], off, off offset:848
	v_fma_f64 v[44:45], v[44:45], v[6:7], v[159:160]
	v_fma_f64 v[42:43], v[42:43], v[6:7], -v[8:9]
	ds_load_b128 v[6:9], v1 offset:1568
	s_wait_loadcnt_dscnt 0x801
	v_mul_f64_e32 v[163:164], v[2:3], v[12:13]
	v_mul_f64_e32 v[12:13], v[4:5], v[12:13]
	v_add_f64_e32 v[157:158], 0, v[157:158]
	v_add_f64_e32 v[159:160], 0, v[161:162]
	s_wait_loadcnt_dscnt 0x700
	v_mul_f64_e32 v[161:162], v[6:7], v[16:17]
	v_mul_f64_e32 v[16:17], v[8:9], v[16:17]
	v_fma_f64 v[163:164], v[4:5], v[10:11], v[163:164]
	v_fma_f64 v[10:11], v[2:3], v[10:11], -v[12:13]
	ds_load_b128 v[2:5], v1 offset:1584
	v_add_f64_e32 v[12:13], v[157:158], v[42:43]
	v_add_f64_e32 v[42:43], v[159:160], v[44:45]
	v_fma_f64 v[157:158], v[8:9], v[14:15], v[161:162]
	v_fma_f64 v[14:15], v[6:7], v[14:15], -v[16:17]
	ds_load_b128 v[6:9], v1 offset:1600
	s_wait_loadcnt_dscnt 0x601
	v_mul_f64_e32 v[44:45], v[2:3], v[20:21]
	v_mul_f64_e32 v[20:21], v[4:5], v[20:21]
	s_wait_loadcnt_dscnt 0x500
	v_mul_f64_e32 v[159:160], v[6:7], v[24:25]
	v_mul_f64_e32 v[24:25], v[8:9], v[24:25]
	v_add_f64_e32 v[16:17], v[12:13], v[10:11]
	v_add_f64_e32 v[42:43], v[42:43], v[163:164]
	scratch_load_b128 v[10:13], off, off offset:672
	v_fma_f64 v[44:45], v[4:5], v[18:19], v[44:45]
	v_fma_f64 v[18:19], v[2:3], v[18:19], -v[20:21]
	ds_load_b128 v[2:5], v1 offset:1616
	v_add_f64_e32 v[14:15], v[16:17], v[14:15]
	v_add_f64_e32 v[16:17], v[42:43], v[157:158]
	v_fma_f64 v[42:43], v[8:9], v[22:23], v[159:160]
	v_fma_f64 v[22:23], v[6:7], v[22:23], -v[24:25]
	ds_load_b128 v[6:9], v1 offset:1632
	s_wait_loadcnt_dscnt 0x501
	v_mul_f64_e32 v[20:21], v[2:3], v[28:29]
	v_mul_f64_e32 v[28:29], v[4:5], v[28:29]
	s_wait_loadcnt_dscnt 0x400
	v_mul_f64_e32 v[24:25], v[8:9], v[32:33]
	v_add_f64_e32 v[14:15], v[14:15], v[18:19]
	v_add_f64_e32 v[16:17], v[16:17], v[44:45]
	v_mul_f64_e32 v[18:19], v[6:7], v[32:33]
	v_fma_f64 v[20:21], v[4:5], v[26:27], v[20:21]
	v_fma_f64 v[26:27], v[2:3], v[26:27], -v[28:29]
	ds_load_b128 v[2:5], v1 offset:1648
	v_fma_f64 v[24:25], v[6:7], v[30:31], -v[24:25]
	v_add_f64_e32 v[14:15], v[14:15], v[22:23]
	v_add_f64_e32 v[16:17], v[16:17], v[42:43]
	v_fma_f64 v[18:19], v[8:9], v[30:31], v[18:19]
	ds_load_b128 v[6:9], v1 offset:1664
	s_wait_loadcnt_dscnt 0x301
	v_mul_f64_e32 v[22:23], v[2:3], v[40:41]
	v_mul_f64_e32 v[28:29], v[4:5], v[40:41]
	v_add_f64_e32 v[14:15], v[14:15], v[26:27]
	v_add_f64_e32 v[16:17], v[16:17], v[20:21]
	s_wait_loadcnt_dscnt 0x200
	v_mul_f64_e32 v[20:21], v[6:7], v[155:156]
	v_mul_f64_e32 v[26:27], v[8:9], v[155:156]
	v_fma_f64 v[22:23], v[4:5], v[38:39], v[22:23]
	v_fma_f64 v[28:29], v[2:3], v[38:39], -v[28:29]
	ds_load_b128 v[2:5], v1 offset:1680
	v_add_f64_e32 v[14:15], v[14:15], v[24:25]
	v_add_f64_e32 v[16:17], v[16:17], v[18:19]
	v_fma_f64 v[8:9], v[8:9], v[153:154], v[20:21]
	v_fma_f64 v[6:7], v[6:7], v[153:154], -v[26:27]
	s_wait_loadcnt_dscnt 0x100
	v_mul_f64_e32 v[18:19], v[2:3], v[36:37]
	v_mul_f64_e32 v[24:25], v[4:5], v[36:37]
	v_add_f64_e32 v[14:15], v[14:15], v[28:29]
	v_add_f64_e32 v[16:17], v[16:17], v[22:23]
	s_delay_alu instid0(VALU_DEP_4) | instskip(NEXT) | instid1(VALU_DEP_4)
	v_fma_f64 v[4:5], v[4:5], v[34:35], v[18:19]
	v_fma_f64 v[2:3], v[2:3], v[34:35], -v[24:25]
	s_delay_alu instid0(VALU_DEP_4) | instskip(NEXT) | instid1(VALU_DEP_4)
	v_add_f64_e32 v[6:7], v[14:15], v[6:7]
	v_add_f64_e32 v[8:9], v[16:17], v[8:9]
	s_delay_alu instid0(VALU_DEP_2) | instskip(NEXT) | instid1(VALU_DEP_2)
	v_add_f64_e32 v[2:3], v[6:7], v[2:3]
	v_add_f64_e32 v[4:5], v[8:9], v[4:5]
	s_wait_loadcnt 0x0
	s_delay_alu instid0(VALU_DEP_2) | instskip(NEXT) | instid1(VALU_DEP_2)
	v_add_f64_e64 v[2:3], v[10:11], -v[2:3]
	v_add_f64_e64 v[4:5], v[12:13], -v[4:5]
	scratch_store_b128 off, v[2:5], off offset:672
	v_cmpx_lt_u32_e32 40, v0
	s_cbranch_execz .LBB52_251
; %bb.250:
	scratch_load_b128 v[5:8], off, s19
	v_dual_mov_b32 v2, v1 :: v_dual_mov_b32 v3, v1
	v_mov_b32_e32 v4, v1
	scratch_store_b128 off, v[1:4], off offset:656
	s_wait_loadcnt 0x0
	ds_store_b128 v152, v[5:8]
.LBB52_251:
	s_wait_alu 0xfffe
	s_or_b32 exec_lo, exec_lo, s0
	s_wait_storecnt_dscnt 0x0
	s_barrier_signal -1
	s_barrier_wait -1
	global_inv scope:SCOPE_SE
	s_clause 0x7
	scratch_load_b128 v[2:5], off, off offset:672
	scratch_load_b128 v[6:9], off, off offset:688
	;; [unrolled: 1-line block ×8, first 2 shown]
	ds_load_b128 v[34:37], v1 offset:1504
	ds_load_b128 v[42:45], v1 offset:1520
	s_clause 0x1
	scratch_load_b128 v[38:41], off, off offset:800
	scratch_load_b128 v[153:156], off, off offset:816
	s_mov_b32 s0, exec_lo
	s_wait_loadcnt_dscnt 0x901
	v_mul_f64_e32 v[157:158], v[36:37], v[4:5]
	v_mul_f64_e32 v[4:5], v[34:35], v[4:5]
	s_wait_loadcnt_dscnt 0x800
	v_mul_f64_e32 v[159:160], v[42:43], v[8:9]
	v_mul_f64_e32 v[8:9], v[44:45], v[8:9]
	s_delay_alu instid0(VALU_DEP_4) | instskip(NEXT) | instid1(VALU_DEP_4)
	v_fma_f64 v[157:158], v[34:35], v[2:3], -v[157:158]
	v_fma_f64 v[161:162], v[36:37], v[2:3], v[4:5]
	ds_load_b128 v[2:5], v1 offset:1536
	scratch_load_b128 v[34:37], off, off offset:832
	v_fma_f64 v[159:160], v[44:45], v[6:7], v[159:160]
	v_fma_f64 v[165:166], v[42:43], v[6:7], -v[8:9]
	ds_load_b128 v[6:9], v1 offset:1552
	scratch_load_b128 v[42:45], off, off offset:848
	s_wait_loadcnt_dscnt 0x901
	v_mul_f64_e32 v[163:164], v[2:3], v[12:13]
	v_mul_f64_e32 v[12:13], v[4:5], v[12:13]
	s_wait_loadcnt_dscnt 0x800
	v_mul_f64_e32 v[167:168], v[6:7], v[16:17]
	v_mul_f64_e32 v[16:17], v[8:9], v[16:17]
	v_add_f64_e32 v[157:158], 0, v[157:158]
	v_add_f64_e32 v[161:162], 0, v[161:162]
	v_fma_f64 v[163:164], v[4:5], v[10:11], v[163:164]
	v_fma_f64 v[10:11], v[2:3], v[10:11], -v[12:13]
	ds_load_b128 v[2:5], v1 offset:1568
	v_add_f64_e32 v[12:13], v[157:158], v[165:166]
	v_add_f64_e32 v[157:158], v[161:162], v[159:160]
	v_fma_f64 v[161:162], v[8:9], v[14:15], v[167:168]
	v_fma_f64 v[14:15], v[6:7], v[14:15], -v[16:17]
	ds_load_b128 v[6:9], v1 offset:1584
	s_wait_loadcnt_dscnt 0x701
	v_mul_f64_e32 v[159:160], v[2:3], v[20:21]
	v_mul_f64_e32 v[20:21], v[4:5], v[20:21]
	s_wait_loadcnt_dscnt 0x600
	v_mul_f64_e32 v[16:17], v[6:7], v[24:25]
	v_mul_f64_e32 v[24:25], v[8:9], v[24:25]
	v_add_f64_e32 v[10:11], v[12:13], v[10:11]
	v_add_f64_e32 v[12:13], v[157:158], v[163:164]
	v_fma_f64 v[157:158], v[4:5], v[18:19], v[159:160]
	v_fma_f64 v[18:19], v[2:3], v[18:19], -v[20:21]
	ds_load_b128 v[2:5], v1 offset:1600
	v_fma_f64 v[16:17], v[8:9], v[22:23], v[16:17]
	v_fma_f64 v[22:23], v[6:7], v[22:23], -v[24:25]
	ds_load_b128 v[6:9], v1 offset:1616
	s_wait_loadcnt_dscnt 0x501
	v_mul_f64_e32 v[159:160], v[2:3], v[28:29]
	v_mul_f64_e32 v[28:29], v[4:5], v[28:29]
	v_add_f64_e32 v[14:15], v[10:11], v[14:15]
	v_add_f64_e32 v[20:21], v[12:13], v[161:162]
	scratch_load_b128 v[10:13], off, off offset:656
	s_wait_loadcnt_dscnt 0x500
	v_mul_f64_e32 v[24:25], v[8:9], v[32:33]
	v_add_f64_e32 v[14:15], v[14:15], v[18:19]
	v_add_f64_e32 v[18:19], v[20:21], v[157:158]
	v_mul_f64_e32 v[20:21], v[6:7], v[32:33]
	v_fma_f64 v[32:33], v[4:5], v[26:27], v[159:160]
	v_fma_f64 v[26:27], v[2:3], v[26:27], -v[28:29]
	ds_load_b128 v[2:5], v1 offset:1632
	v_fma_f64 v[24:25], v[6:7], v[30:31], -v[24:25]
	v_add_f64_e32 v[14:15], v[14:15], v[22:23]
	v_add_f64_e32 v[16:17], v[18:19], v[16:17]
	v_fma_f64 v[20:21], v[8:9], v[30:31], v[20:21]
	ds_load_b128 v[6:9], v1 offset:1648
	s_wait_loadcnt_dscnt 0x401
	v_mul_f64_e32 v[18:19], v[2:3], v[40:41]
	v_mul_f64_e32 v[22:23], v[4:5], v[40:41]
	s_wait_loadcnt_dscnt 0x300
	v_mul_f64_e32 v[28:29], v[8:9], v[155:156]
	v_add_f64_e32 v[14:15], v[14:15], v[26:27]
	v_add_f64_e32 v[16:17], v[16:17], v[32:33]
	v_mul_f64_e32 v[26:27], v[6:7], v[155:156]
	v_fma_f64 v[18:19], v[4:5], v[38:39], v[18:19]
	v_fma_f64 v[22:23], v[2:3], v[38:39], -v[22:23]
	ds_load_b128 v[2:5], v1 offset:1664
	v_fma_f64 v[28:29], v[6:7], v[153:154], -v[28:29]
	v_add_f64_e32 v[14:15], v[14:15], v[24:25]
	v_add_f64_e32 v[16:17], v[16:17], v[20:21]
	v_fma_f64 v[26:27], v[8:9], v[153:154], v[26:27]
	ds_load_b128 v[6:9], v1 offset:1680
	s_wait_loadcnt_dscnt 0x201
	v_mul_f64_e32 v[20:21], v[2:3], v[36:37]
	v_mul_f64_e32 v[24:25], v[4:5], v[36:37]
	v_add_f64_e32 v[14:15], v[14:15], v[22:23]
	v_add_f64_e32 v[16:17], v[16:17], v[18:19]
	s_wait_loadcnt_dscnt 0x100
	v_mul_f64_e32 v[18:19], v[6:7], v[44:45]
	v_mul_f64_e32 v[22:23], v[8:9], v[44:45]
	v_fma_f64 v[4:5], v[4:5], v[34:35], v[20:21]
	v_fma_f64 v[1:2], v[2:3], v[34:35], -v[24:25]
	v_add_f64_e32 v[14:15], v[14:15], v[28:29]
	v_add_f64_e32 v[16:17], v[16:17], v[26:27]
	v_fma_f64 v[8:9], v[8:9], v[42:43], v[18:19]
	v_fma_f64 v[6:7], v[6:7], v[42:43], -v[22:23]
	s_delay_alu instid0(VALU_DEP_4) | instskip(NEXT) | instid1(VALU_DEP_4)
	v_add_f64_e32 v[1:2], v[14:15], v[1:2]
	v_add_f64_e32 v[3:4], v[16:17], v[4:5]
	s_delay_alu instid0(VALU_DEP_2) | instskip(NEXT) | instid1(VALU_DEP_2)
	v_add_f64_e32 v[1:2], v[1:2], v[6:7]
	v_add_f64_e32 v[3:4], v[3:4], v[8:9]
	s_wait_loadcnt 0x0
	s_delay_alu instid0(VALU_DEP_2) | instskip(NEXT) | instid1(VALU_DEP_2)
	v_add_f64_e64 v[1:2], v[10:11], -v[1:2]
	v_add_f64_e64 v[3:4], v[12:13], -v[3:4]
	scratch_store_b128 off, v[1:4], off offset:656
	v_cmpx_lt_u32_e32 39, v0
	s_cbranch_execz .LBB52_253
; %bb.252:
	scratch_load_b128 v[1:4], off, s21
	v_mov_b32_e32 v5, 0
	s_delay_alu instid0(VALU_DEP_1)
	v_dual_mov_b32 v6, v5 :: v_dual_mov_b32 v7, v5
	v_mov_b32_e32 v8, v5
	scratch_store_b128 off, v[5:8], off offset:640
	s_wait_loadcnt 0x0
	ds_store_b128 v152, v[1:4]
.LBB52_253:
	s_wait_alu 0xfffe
	s_or_b32 exec_lo, exec_lo, s0
	s_wait_storecnt_dscnt 0x0
	s_barrier_signal -1
	s_barrier_wait -1
	global_inv scope:SCOPE_SE
	s_clause 0x7
	scratch_load_b128 v[2:5], off, off offset:656
	scratch_load_b128 v[6:9], off, off offset:672
	;; [unrolled: 1-line block ×8, first 2 shown]
	v_mov_b32_e32 v1, 0
	s_mov_b32 s0, exec_lo
	ds_load_b128 v[34:37], v1 offset:1488
	s_clause 0x1
	scratch_load_b128 v[38:41], off, off offset:784
	scratch_load_b128 v[42:45], off, off offset:640
	ds_load_b128 v[153:156], v1 offset:1504
	scratch_load_b128 v[157:160], off, off offset:800
	s_wait_loadcnt_dscnt 0xa01
	v_mul_f64_e32 v[161:162], v[36:37], v[4:5]
	v_mul_f64_e32 v[4:5], v[34:35], v[4:5]
	s_delay_alu instid0(VALU_DEP_2) | instskip(NEXT) | instid1(VALU_DEP_2)
	v_fma_f64 v[167:168], v[34:35], v[2:3], -v[161:162]
	v_fma_f64 v[169:170], v[36:37], v[2:3], v[4:5]
	ds_load_b128 v[2:5], v1 offset:1520
	s_wait_loadcnt_dscnt 0x901
	v_mul_f64_e32 v[165:166], v[153:154], v[8:9]
	v_mul_f64_e32 v[8:9], v[155:156], v[8:9]
	scratch_load_b128 v[34:37], off, off offset:816
	ds_load_b128 v[161:164], v1 offset:1536
	s_wait_loadcnt_dscnt 0x901
	v_mul_f64_e32 v[171:172], v[2:3], v[12:13]
	v_mul_f64_e32 v[12:13], v[4:5], v[12:13]
	v_fma_f64 v[155:156], v[155:156], v[6:7], v[165:166]
	v_fma_f64 v[153:154], v[153:154], v[6:7], -v[8:9]
	v_add_f64_e32 v[165:166], 0, v[167:168]
	v_add_f64_e32 v[167:168], 0, v[169:170]
	scratch_load_b128 v[6:9], off, off offset:832
	v_fma_f64 v[171:172], v[4:5], v[10:11], v[171:172]
	v_fma_f64 v[173:174], v[2:3], v[10:11], -v[12:13]
	ds_load_b128 v[2:5], v1 offset:1552
	s_wait_loadcnt_dscnt 0x901
	v_mul_f64_e32 v[169:170], v[161:162], v[16:17]
	v_mul_f64_e32 v[16:17], v[163:164], v[16:17]
	scratch_load_b128 v[10:13], off, off offset:848
	v_add_f64_e32 v[165:166], v[165:166], v[153:154]
	v_add_f64_e32 v[167:168], v[167:168], v[155:156]
	s_wait_loadcnt_dscnt 0x900
	v_mul_f64_e32 v[175:176], v[2:3], v[20:21]
	v_mul_f64_e32 v[20:21], v[4:5], v[20:21]
	ds_load_b128 v[153:156], v1 offset:1568
	v_fma_f64 v[163:164], v[163:164], v[14:15], v[169:170]
	v_fma_f64 v[14:15], v[161:162], v[14:15], -v[16:17]
	v_add_f64_e32 v[16:17], v[165:166], v[173:174]
	v_add_f64_e32 v[161:162], v[167:168], v[171:172]
	s_wait_loadcnt_dscnt 0x800
	v_mul_f64_e32 v[165:166], v[153:154], v[24:25]
	v_mul_f64_e32 v[24:25], v[155:156], v[24:25]
	v_fma_f64 v[167:168], v[4:5], v[18:19], v[175:176]
	v_fma_f64 v[18:19], v[2:3], v[18:19], -v[20:21]
	v_add_f64_e32 v[20:21], v[16:17], v[14:15]
	v_add_f64_e32 v[161:162], v[161:162], v[163:164]
	ds_load_b128 v[2:5], v1 offset:1584
	ds_load_b128 v[14:17], v1 offset:1600
	v_fma_f64 v[155:156], v[155:156], v[22:23], v[165:166]
	v_fma_f64 v[22:23], v[153:154], v[22:23], -v[24:25]
	s_wait_loadcnt_dscnt 0x701
	v_mul_f64_e32 v[163:164], v[2:3], v[28:29]
	v_mul_f64_e32 v[28:29], v[4:5], v[28:29]
	s_wait_loadcnt_dscnt 0x600
	v_mul_f64_e32 v[24:25], v[14:15], v[32:33]
	v_mul_f64_e32 v[32:33], v[16:17], v[32:33]
	v_add_f64_e32 v[18:19], v[20:21], v[18:19]
	v_add_f64_e32 v[20:21], v[161:162], v[167:168]
	v_fma_f64 v[153:154], v[4:5], v[26:27], v[163:164]
	v_fma_f64 v[26:27], v[2:3], v[26:27], -v[28:29]
	v_fma_f64 v[16:17], v[16:17], v[30:31], v[24:25]
	v_fma_f64 v[14:15], v[14:15], v[30:31], -v[32:33]
	v_add_f64_e32 v[22:23], v[18:19], v[22:23]
	v_add_f64_e32 v[28:29], v[20:21], v[155:156]
	ds_load_b128 v[2:5], v1 offset:1616
	ds_load_b128 v[18:21], v1 offset:1632
	s_wait_loadcnt_dscnt 0x501
	v_mul_f64_e32 v[155:156], v[2:3], v[40:41]
	v_mul_f64_e32 v[40:41], v[4:5], v[40:41]
	v_add_f64_e32 v[22:23], v[22:23], v[26:27]
	v_add_f64_e32 v[24:25], v[28:29], v[153:154]
	s_wait_loadcnt_dscnt 0x300
	v_mul_f64_e32 v[26:27], v[18:19], v[159:160]
	v_mul_f64_e32 v[28:29], v[20:21], v[159:160]
	v_fma_f64 v[30:31], v[4:5], v[38:39], v[155:156]
	v_fma_f64 v[32:33], v[2:3], v[38:39], -v[40:41]
	v_add_f64_e32 v[22:23], v[22:23], v[14:15]
	v_add_f64_e32 v[24:25], v[24:25], v[16:17]
	ds_load_b128 v[2:5], v1 offset:1648
	ds_load_b128 v[14:17], v1 offset:1664
	v_fma_f64 v[20:21], v[20:21], v[157:158], v[26:27]
	v_fma_f64 v[18:19], v[18:19], v[157:158], -v[28:29]
	s_wait_loadcnt_dscnt 0x201
	v_mul_f64_e32 v[38:39], v[2:3], v[36:37]
	v_mul_f64_e32 v[36:37], v[4:5], v[36:37]
	v_add_f64_e32 v[22:23], v[22:23], v[32:33]
	v_add_f64_e32 v[24:25], v[24:25], v[30:31]
	s_wait_loadcnt_dscnt 0x100
	v_mul_f64_e32 v[26:27], v[14:15], v[8:9]
	v_mul_f64_e32 v[8:9], v[16:17], v[8:9]
	v_fma_f64 v[28:29], v[4:5], v[34:35], v[38:39]
	v_fma_f64 v[30:31], v[2:3], v[34:35], -v[36:37]
	ds_load_b128 v[2:5], v1 offset:1680
	v_add_f64_e32 v[18:19], v[22:23], v[18:19]
	v_add_f64_e32 v[20:21], v[24:25], v[20:21]
	s_wait_loadcnt_dscnt 0x0
	v_mul_f64_e32 v[22:23], v[2:3], v[12:13]
	v_mul_f64_e32 v[12:13], v[4:5], v[12:13]
	v_fma_f64 v[16:17], v[16:17], v[6:7], v[26:27]
	v_fma_f64 v[6:7], v[14:15], v[6:7], -v[8:9]
	v_add_f64_e32 v[8:9], v[18:19], v[30:31]
	v_add_f64_e32 v[14:15], v[20:21], v[28:29]
	v_fma_f64 v[4:5], v[4:5], v[10:11], v[22:23]
	v_fma_f64 v[2:3], v[2:3], v[10:11], -v[12:13]
	s_delay_alu instid0(VALU_DEP_4) | instskip(NEXT) | instid1(VALU_DEP_4)
	v_add_f64_e32 v[6:7], v[8:9], v[6:7]
	v_add_f64_e32 v[8:9], v[14:15], v[16:17]
	s_delay_alu instid0(VALU_DEP_2) | instskip(NEXT) | instid1(VALU_DEP_2)
	v_add_f64_e32 v[2:3], v[6:7], v[2:3]
	v_add_f64_e32 v[4:5], v[8:9], v[4:5]
	s_delay_alu instid0(VALU_DEP_2) | instskip(NEXT) | instid1(VALU_DEP_2)
	v_add_f64_e64 v[2:3], v[42:43], -v[2:3]
	v_add_f64_e64 v[4:5], v[44:45], -v[4:5]
	scratch_store_b128 off, v[2:5], off offset:640
	v_cmpx_lt_u32_e32 38, v0
	s_cbranch_execz .LBB52_255
; %bb.254:
	scratch_load_b128 v[5:8], off, s25
	v_dual_mov_b32 v2, v1 :: v_dual_mov_b32 v3, v1
	v_mov_b32_e32 v4, v1
	scratch_store_b128 off, v[1:4], off offset:624
	s_wait_loadcnt 0x0
	ds_store_b128 v152, v[5:8]
.LBB52_255:
	s_wait_alu 0xfffe
	s_or_b32 exec_lo, exec_lo, s0
	s_wait_storecnt_dscnt 0x0
	s_barrier_signal -1
	s_barrier_wait -1
	global_inv scope:SCOPE_SE
	s_clause 0x8
	scratch_load_b128 v[2:5], off, off offset:640
	scratch_load_b128 v[6:9], off, off offset:656
	;; [unrolled: 1-line block ×9, first 2 shown]
	ds_load_b128 v[38:41], v1 offset:1472
	ds_load_b128 v[42:45], v1 offset:1488
	s_clause 0x1
	scratch_load_b128 v[153:156], off, off offset:624
	scratch_load_b128 v[157:160], off, off offset:784
	s_mov_b32 s0, exec_lo
	s_wait_loadcnt_dscnt 0xa01
	v_mul_f64_e32 v[161:162], v[40:41], v[4:5]
	v_mul_f64_e32 v[4:5], v[38:39], v[4:5]
	s_wait_loadcnt_dscnt 0x900
	v_mul_f64_e32 v[165:166], v[42:43], v[8:9]
	v_mul_f64_e32 v[8:9], v[44:45], v[8:9]
	s_delay_alu instid0(VALU_DEP_4) | instskip(NEXT) | instid1(VALU_DEP_4)
	v_fma_f64 v[167:168], v[38:39], v[2:3], -v[161:162]
	v_fma_f64 v[169:170], v[40:41], v[2:3], v[4:5]
	ds_load_b128 v[2:5], v1 offset:1504
	ds_load_b128 v[161:164], v1 offset:1520
	scratch_load_b128 v[38:41], off, off offset:800
	v_fma_f64 v[44:45], v[44:45], v[6:7], v[165:166]
	v_fma_f64 v[42:43], v[42:43], v[6:7], -v[8:9]
	scratch_load_b128 v[6:9], off, off offset:816
	s_wait_loadcnt_dscnt 0xa01
	v_mul_f64_e32 v[171:172], v[2:3], v[12:13]
	v_mul_f64_e32 v[12:13], v[4:5], v[12:13]
	v_add_f64_e32 v[165:166], 0, v[167:168]
	v_add_f64_e32 v[167:168], 0, v[169:170]
	s_wait_loadcnt_dscnt 0x900
	v_mul_f64_e32 v[169:170], v[161:162], v[16:17]
	v_mul_f64_e32 v[16:17], v[163:164], v[16:17]
	v_fma_f64 v[171:172], v[4:5], v[10:11], v[171:172]
	v_fma_f64 v[173:174], v[2:3], v[10:11], -v[12:13]
	ds_load_b128 v[2:5], v1 offset:1536
	scratch_load_b128 v[10:13], off, off offset:832
	v_add_f64_e32 v[165:166], v[165:166], v[42:43]
	v_add_f64_e32 v[167:168], v[167:168], v[44:45]
	ds_load_b128 v[42:45], v1 offset:1552
	v_fma_f64 v[163:164], v[163:164], v[14:15], v[169:170]
	v_fma_f64 v[161:162], v[161:162], v[14:15], -v[16:17]
	scratch_load_b128 v[14:17], off, off offset:848
	s_wait_loadcnt_dscnt 0xa01
	v_mul_f64_e32 v[175:176], v[2:3], v[20:21]
	v_mul_f64_e32 v[20:21], v[4:5], v[20:21]
	s_wait_loadcnt_dscnt 0x900
	v_mul_f64_e32 v[169:170], v[42:43], v[24:25]
	v_mul_f64_e32 v[24:25], v[44:45], v[24:25]
	v_add_f64_e32 v[165:166], v[165:166], v[173:174]
	v_add_f64_e32 v[167:168], v[167:168], v[171:172]
	v_fma_f64 v[171:172], v[4:5], v[18:19], v[175:176]
	v_fma_f64 v[173:174], v[2:3], v[18:19], -v[20:21]
	ds_load_b128 v[2:5], v1 offset:1568
	ds_load_b128 v[18:21], v1 offset:1584
	v_fma_f64 v[44:45], v[44:45], v[22:23], v[169:170]
	v_fma_f64 v[22:23], v[42:43], v[22:23], -v[24:25]
	v_add_f64_e32 v[161:162], v[165:166], v[161:162]
	v_add_f64_e32 v[163:164], v[167:168], v[163:164]
	s_wait_loadcnt_dscnt 0x801
	v_mul_f64_e32 v[165:166], v[2:3], v[28:29]
	v_mul_f64_e32 v[28:29], v[4:5], v[28:29]
	s_delay_alu instid0(VALU_DEP_4) | instskip(NEXT) | instid1(VALU_DEP_4)
	v_add_f64_e32 v[24:25], v[161:162], v[173:174]
	v_add_f64_e32 v[42:43], v[163:164], v[171:172]
	s_wait_loadcnt_dscnt 0x700
	v_mul_f64_e32 v[161:162], v[18:19], v[32:33]
	v_mul_f64_e32 v[32:33], v[20:21], v[32:33]
	v_fma_f64 v[163:164], v[4:5], v[26:27], v[165:166]
	v_fma_f64 v[26:27], v[2:3], v[26:27], -v[28:29]
	v_add_f64_e32 v[28:29], v[24:25], v[22:23]
	v_add_f64_e32 v[42:43], v[42:43], v[44:45]
	ds_load_b128 v[2:5], v1 offset:1600
	ds_load_b128 v[22:25], v1 offset:1616
	v_fma_f64 v[20:21], v[20:21], v[30:31], v[161:162]
	v_fma_f64 v[18:19], v[18:19], v[30:31], -v[32:33]
	s_wait_loadcnt_dscnt 0x601
	v_mul_f64_e32 v[44:45], v[2:3], v[36:37]
	v_mul_f64_e32 v[36:37], v[4:5], v[36:37]
	s_wait_loadcnt_dscnt 0x400
	v_mul_f64_e32 v[30:31], v[22:23], v[159:160]
	v_mul_f64_e32 v[32:33], v[24:25], v[159:160]
	v_add_f64_e32 v[26:27], v[28:29], v[26:27]
	v_add_f64_e32 v[28:29], v[42:43], v[163:164]
	v_fma_f64 v[42:43], v[4:5], v[34:35], v[44:45]
	v_fma_f64 v[34:35], v[2:3], v[34:35], -v[36:37]
	v_fma_f64 v[24:25], v[24:25], v[157:158], v[30:31]
	v_fma_f64 v[22:23], v[22:23], v[157:158], -v[32:33]
	v_add_f64_e32 v[26:27], v[26:27], v[18:19]
	v_add_f64_e32 v[28:29], v[28:29], v[20:21]
	ds_load_b128 v[2:5], v1 offset:1632
	ds_load_b128 v[18:21], v1 offset:1648
	s_wait_loadcnt_dscnt 0x301
	v_mul_f64_e32 v[36:37], v[2:3], v[40:41]
	v_mul_f64_e32 v[40:41], v[4:5], v[40:41]
	s_wait_loadcnt_dscnt 0x200
	v_mul_f64_e32 v[30:31], v[18:19], v[8:9]
	v_mul_f64_e32 v[8:9], v[20:21], v[8:9]
	v_add_f64_e32 v[26:27], v[26:27], v[34:35]
	v_add_f64_e32 v[28:29], v[28:29], v[42:43]
	v_fma_f64 v[32:33], v[4:5], v[38:39], v[36:37]
	v_fma_f64 v[34:35], v[2:3], v[38:39], -v[40:41]
	v_fma_f64 v[20:21], v[20:21], v[6:7], v[30:31]
	v_fma_f64 v[6:7], v[18:19], v[6:7], -v[8:9]
	v_add_f64_e32 v[26:27], v[26:27], v[22:23]
	v_add_f64_e32 v[28:29], v[28:29], v[24:25]
	ds_load_b128 v[2:5], v1 offset:1664
	ds_load_b128 v[22:25], v1 offset:1680
	s_wait_loadcnt_dscnt 0x101
	v_mul_f64_e32 v[36:37], v[2:3], v[12:13]
	v_mul_f64_e32 v[12:13], v[4:5], v[12:13]
	v_add_f64_e32 v[8:9], v[26:27], v[34:35]
	v_add_f64_e32 v[18:19], v[28:29], v[32:33]
	s_wait_loadcnt_dscnt 0x0
	v_mul_f64_e32 v[26:27], v[22:23], v[16:17]
	v_mul_f64_e32 v[16:17], v[24:25], v[16:17]
	v_fma_f64 v[4:5], v[4:5], v[10:11], v[36:37]
	v_fma_f64 v[1:2], v[2:3], v[10:11], -v[12:13]
	v_add_f64_e32 v[6:7], v[8:9], v[6:7]
	v_add_f64_e32 v[8:9], v[18:19], v[20:21]
	v_fma_f64 v[10:11], v[24:25], v[14:15], v[26:27]
	v_fma_f64 v[12:13], v[22:23], v[14:15], -v[16:17]
	s_delay_alu instid0(VALU_DEP_4) | instskip(NEXT) | instid1(VALU_DEP_4)
	v_add_f64_e32 v[1:2], v[6:7], v[1:2]
	v_add_f64_e32 v[3:4], v[8:9], v[4:5]
	s_delay_alu instid0(VALU_DEP_2) | instskip(NEXT) | instid1(VALU_DEP_2)
	v_add_f64_e32 v[1:2], v[1:2], v[12:13]
	v_add_f64_e32 v[3:4], v[3:4], v[10:11]
	s_delay_alu instid0(VALU_DEP_2) | instskip(NEXT) | instid1(VALU_DEP_2)
	v_add_f64_e64 v[1:2], v[153:154], -v[1:2]
	v_add_f64_e64 v[3:4], v[155:156], -v[3:4]
	scratch_store_b128 off, v[1:4], off offset:624
	v_cmpx_lt_u32_e32 37, v0
	s_cbranch_execz .LBB52_257
; %bb.256:
	scratch_load_b128 v[1:4], off, s27
	v_mov_b32_e32 v5, 0
	s_delay_alu instid0(VALU_DEP_1)
	v_dual_mov_b32 v6, v5 :: v_dual_mov_b32 v7, v5
	v_mov_b32_e32 v8, v5
	scratch_store_b128 off, v[5:8], off offset:608
	s_wait_loadcnt 0x0
	ds_store_b128 v152, v[1:4]
.LBB52_257:
	s_wait_alu 0xfffe
	s_or_b32 exec_lo, exec_lo, s0
	s_wait_storecnt_dscnt 0x0
	s_barrier_signal -1
	s_barrier_wait -1
	global_inv scope:SCOPE_SE
	s_clause 0x7
	scratch_load_b128 v[2:5], off, off offset:624
	scratch_load_b128 v[6:9], off, off offset:640
	;; [unrolled: 1-line block ×8, first 2 shown]
	v_mov_b32_e32 v1, 0
	s_mov_b32 s0, exec_lo
	ds_load_b128 v[34:37], v1 offset:1456
	s_clause 0x1
	scratch_load_b128 v[38:41], off, off offset:752
	scratch_load_b128 v[42:45], off, off offset:608
	ds_load_b128 v[153:156], v1 offset:1472
	scratch_load_b128 v[157:160], off, off offset:768
	s_wait_loadcnt_dscnt 0xa01
	v_mul_f64_e32 v[161:162], v[36:37], v[4:5]
	v_mul_f64_e32 v[4:5], v[34:35], v[4:5]
	s_delay_alu instid0(VALU_DEP_2) | instskip(NEXT) | instid1(VALU_DEP_2)
	v_fma_f64 v[167:168], v[34:35], v[2:3], -v[161:162]
	v_fma_f64 v[169:170], v[36:37], v[2:3], v[4:5]
	ds_load_b128 v[2:5], v1 offset:1488
	s_wait_loadcnt_dscnt 0x901
	v_mul_f64_e32 v[165:166], v[153:154], v[8:9]
	v_mul_f64_e32 v[8:9], v[155:156], v[8:9]
	scratch_load_b128 v[34:37], off, off offset:784
	ds_load_b128 v[161:164], v1 offset:1504
	s_wait_loadcnt_dscnt 0x901
	v_mul_f64_e32 v[171:172], v[2:3], v[12:13]
	v_mul_f64_e32 v[12:13], v[4:5], v[12:13]
	v_fma_f64 v[155:156], v[155:156], v[6:7], v[165:166]
	v_fma_f64 v[153:154], v[153:154], v[6:7], -v[8:9]
	v_add_f64_e32 v[165:166], 0, v[167:168]
	v_add_f64_e32 v[167:168], 0, v[169:170]
	scratch_load_b128 v[6:9], off, off offset:800
	v_fma_f64 v[171:172], v[4:5], v[10:11], v[171:172]
	v_fma_f64 v[173:174], v[2:3], v[10:11], -v[12:13]
	ds_load_b128 v[2:5], v1 offset:1520
	s_wait_loadcnt_dscnt 0x901
	v_mul_f64_e32 v[169:170], v[161:162], v[16:17]
	v_mul_f64_e32 v[16:17], v[163:164], v[16:17]
	scratch_load_b128 v[10:13], off, off offset:816
	v_add_f64_e32 v[165:166], v[165:166], v[153:154]
	v_add_f64_e32 v[167:168], v[167:168], v[155:156]
	s_wait_loadcnt_dscnt 0x900
	v_mul_f64_e32 v[175:176], v[2:3], v[20:21]
	v_mul_f64_e32 v[20:21], v[4:5], v[20:21]
	ds_load_b128 v[153:156], v1 offset:1536
	v_fma_f64 v[163:164], v[163:164], v[14:15], v[169:170]
	v_fma_f64 v[161:162], v[161:162], v[14:15], -v[16:17]
	scratch_load_b128 v[14:17], off, off offset:832
	v_add_f64_e32 v[165:166], v[165:166], v[173:174]
	v_add_f64_e32 v[167:168], v[167:168], v[171:172]
	v_fma_f64 v[171:172], v[4:5], v[18:19], v[175:176]
	v_fma_f64 v[173:174], v[2:3], v[18:19], -v[20:21]
	ds_load_b128 v[2:5], v1 offset:1552
	s_wait_loadcnt_dscnt 0x901
	v_mul_f64_e32 v[169:170], v[153:154], v[24:25]
	v_mul_f64_e32 v[24:25], v[155:156], v[24:25]
	scratch_load_b128 v[18:21], off, off offset:848
	s_wait_loadcnt_dscnt 0x900
	v_mul_f64_e32 v[175:176], v[2:3], v[28:29]
	v_mul_f64_e32 v[28:29], v[4:5], v[28:29]
	v_add_f64_e32 v[165:166], v[165:166], v[161:162]
	v_add_f64_e32 v[167:168], v[167:168], v[163:164]
	ds_load_b128 v[161:164], v1 offset:1568
	v_fma_f64 v[155:156], v[155:156], v[22:23], v[169:170]
	v_fma_f64 v[22:23], v[153:154], v[22:23], -v[24:25]
	v_add_f64_e32 v[24:25], v[165:166], v[173:174]
	v_add_f64_e32 v[153:154], v[167:168], v[171:172]
	s_wait_loadcnt_dscnt 0x800
	v_mul_f64_e32 v[165:166], v[161:162], v[32:33]
	v_mul_f64_e32 v[32:33], v[163:164], v[32:33]
	v_fma_f64 v[167:168], v[4:5], v[26:27], v[175:176]
	v_fma_f64 v[26:27], v[2:3], v[26:27], -v[28:29]
	v_add_f64_e32 v[28:29], v[24:25], v[22:23]
	v_add_f64_e32 v[153:154], v[153:154], v[155:156]
	ds_load_b128 v[2:5], v1 offset:1584
	ds_load_b128 v[22:25], v1 offset:1600
	v_fma_f64 v[163:164], v[163:164], v[30:31], v[165:166]
	v_fma_f64 v[30:31], v[161:162], v[30:31], -v[32:33]
	s_wait_loadcnt_dscnt 0x701
	v_mul_f64_e32 v[155:156], v[2:3], v[40:41]
	v_mul_f64_e32 v[40:41], v[4:5], v[40:41]
	s_wait_loadcnt_dscnt 0x500
	v_mul_f64_e32 v[32:33], v[22:23], v[159:160]
	v_add_f64_e32 v[26:27], v[28:29], v[26:27]
	v_add_f64_e32 v[28:29], v[153:154], v[167:168]
	v_mul_f64_e32 v[153:154], v[24:25], v[159:160]
	v_fma_f64 v[155:156], v[4:5], v[38:39], v[155:156]
	v_fma_f64 v[38:39], v[2:3], v[38:39], -v[40:41]
	v_fma_f64 v[24:25], v[24:25], v[157:158], v[32:33]
	v_add_f64_e32 v[30:31], v[26:27], v[30:31]
	v_add_f64_e32 v[40:41], v[28:29], v[163:164]
	ds_load_b128 v[2:5], v1 offset:1616
	ds_load_b128 v[26:29], v1 offset:1632
	v_fma_f64 v[22:23], v[22:23], v[157:158], -v[153:154]
	s_wait_loadcnt_dscnt 0x401
	v_mul_f64_e32 v[159:160], v[2:3], v[36:37]
	v_mul_f64_e32 v[36:37], v[4:5], v[36:37]
	v_add_f64_e32 v[30:31], v[30:31], v[38:39]
	v_add_f64_e32 v[32:33], v[40:41], v[155:156]
	s_wait_loadcnt_dscnt 0x300
	v_mul_f64_e32 v[38:39], v[26:27], v[8:9]
	v_mul_f64_e32 v[8:9], v[28:29], v[8:9]
	v_fma_f64 v[40:41], v[4:5], v[34:35], v[159:160]
	v_fma_f64 v[34:35], v[2:3], v[34:35], -v[36:37]
	v_add_f64_e32 v[30:31], v[30:31], v[22:23]
	v_add_f64_e32 v[32:33], v[32:33], v[24:25]
	ds_load_b128 v[2:5], v1 offset:1648
	ds_load_b128 v[22:25], v1 offset:1664
	v_fma_f64 v[28:29], v[28:29], v[6:7], v[38:39]
	v_fma_f64 v[6:7], v[26:27], v[6:7], -v[8:9]
	s_wait_loadcnt_dscnt 0x201
	v_mul_f64_e32 v[36:37], v[2:3], v[12:13]
	v_mul_f64_e32 v[12:13], v[4:5], v[12:13]
	v_add_f64_e32 v[8:9], v[30:31], v[34:35]
	v_add_f64_e32 v[26:27], v[32:33], v[40:41]
	s_wait_loadcnt_dscnt 0x100
	v_mul_f64_e32 v[30:31], v[22:23], v[16:17]
	v_mul_f64_e32 v[16:17], v[24:25], v[16:17]
	v_fma_f64 v[32:33], v[4:5], v[10:11], v[36:37]
	v_fma_f64 v[10:11], v[2:3], v[10:11], -v[12:13]
	ds_load_b128 v[2:5], v1 offset:1680
	v_add_f64_e32 v[6:7], v[8:9], v[6:7]
	v_add_f64_e32 v[8:9], v[26:27], v[28:29]
	v_fma_f64 v[24:25], v[24:25], v[14:15], v[30:31]
	v_fma_f64 v[14:15], v[22:23], v[14:15], -v[16:17]
	s_wait_loadcnt_dscnt 0x0
	v_mul_f64_e32 v[12:13], v[2:3], v[20:21]
	v_mul_f64_e32 v[20:21], v[4:5], v[20:21]
	v_add_f64_e32 v[6:7], v[6:7], v[10:11]
	v_add_f64_e32 v[8:9], v[8:9], v[32:33]
	s_delay_alu instid0(VALU_DEP_4) | instskip(NEXT) | instid1(VALU_DEP_4)
	v_fma_f64 v[4:5], v[4:5], v[18:19], v[12:13]
	v_fma_f64 v[2:3], v[2:3], v[18:19], -v[20:21]
	s_delay_alu instid0(VALU_DEP_4) | instskip(NEXT) | instid1(VALU_DEP_4)
	v_add_f64_e32 v[6:7], v[6:7], v[14:15]
	v_add_f64_e32 v[8:9], v[8:9], v[24:25]
	s_delay_alu instid0(VALU_DEP_2) | instskip(NEXT) | instid1(VALU_DEP_2)
	v_add_f64_e32 v[2:3], v[6:7], v[2:3]
	v_add_f64_e32 v[4:5], v[8:9], v[4:5]
	s_delay_alu instid0(VALU_DEP_2) | instskip(NEXT) | instid1(VALU_DEP_2)
	v_add_f64_e64 v[2:3], v[42:43], -v[2:3]
	v_add_f64_e64 v[4:5], v[44:45], -v[4:5]
	scratch_store_b128 off, v[2:5], off offset:608
	v_cmpx_lt_u32_e32 36, v0
	s_cbranch_execz .LBB52_259
; %bb.258:
	scratch_load_b128 v[5:8], off, s29
	v_dual_mov_b32 v2, v1 :: v_dual_mov_b32 v3, v1
	v_mov_b32_e32 v4, v1
	scratch_store_b128 off, v[1:4], off offset:592
	s_wait_loadcnt 0x0
	ds_store_b128 v152, v[5:8]
.LBB52_259:
	s_wait_alu 0xfffe
	s_or_b32 exec_lo, exec_lo, s0
	s_wait_storecnt_dscnt 0x0
	s_barrier_signal -1
	s_barrier_wait -1
	global_inv scope:SCOPE_SE
	s_clause 0x8
	scratch_load_b128 v[2:5], off, off offset:608
	scratch_load_b128 v[6:9], off, off offset:624
	;; [unrolled: 1-line block ×9, first 2 shown]
	ds_load_b128 v[38:41], v1 offset:1440
	ds_load_b128 v[42:45], v1 offset:1456
	s_clause 0x1
	scratch_load_b128 v[153:156], off, off offset:592
	scratch_load_b128 v[157:160], off, off offset:752
	s_mov_b32 s0, exec_lo
	s_wait_loadcnt_dscnt 0xa01
	v_mul_f64_e32 v[161:162], v[40:41], v[4:5]
	v_mul_f64_e32 v[4:5], v[38:39], v[4:5]
	s_wait_loadcnt_dscnt 0x900
	v_mul_f64_e32 v[165:166], v[42:43], v[8:9]
	v_mul_f64_e32 v[8:9], v[44:45], v[8:9]
	s_delay_alu instid0(VALU_DEP_4) | instskip(NEXT) | instid1(VALU_DEP_4)
	v_fma_f64 v[167:168], v[38:39], v[2:3], -v[161:162]
	v_fma_f64 v[169:170], v[40:41], v[2:3], v[4:5]
	ds_load_b128 v[2:5], v1 offset:1472
	ds_load_b128 v[161:164], v1 offset:1488
	scratch_load_b128 v[38:41], off, off offset:768
	v_fma_f64 v[44:45], v[44:45], v[6:7], v[165:166]
	v_fma_f64 v[42:43], v[42:43], v[6:7], -v[8:9]
	scratch_load_b128 v[6:9], off, off offset:784
	s_wait_loadcnt_dscnt 0xa01
	v_mul_f64_e32 v[171:172], v[2:3], v[12:13]
	v_mul_f64_e32 v[12:13], v[4:5], v[12:13]
	v_add_f64_e32 v[165:166], 0, v[167:168]
	v_add_f64_e32 v[167:168], 0, v[169:170]
	s_wait_loadcnt_dscnt 0x900
	v_mul_f64_e32 v[169:170], v[161:162], v[16:17]
	v_mul_f64_e32 v[16:17], v[163:164], v[16:17]
	v_fma_f64 v[171:172], v[4:5], v[10:11], v[171:172]
	v_fma_f64 v[173:174], v[2:3], v[10:11], -v[12:13]
	ds_load_b128 v[2:5], v1 offset:1504
	scratch_load_b128 v[10:13], off, off offset:800
	v_add_f64_e32 v[165:166], v[165:166], v[42:43]
	v_add_f64_e32 v[167:168], v[167:168], v[44:45]
	ds_load_b128 v[42:45], v1 offset:1520
	v_fma_f64 v[163:164], v[163:164], v[14:15], v[169:170]
	v_fma_f64 v[161:162], v[161:162], v[14:15], -v[16:17]
	scratch_load_b128 v[14:17], off, off offset:816
	s_wait_loadcnt_dscnt 0xa01
	v_mul_f64_e32 v[175:176], v[2:3], v[20:21]
	v_mul_f64_e32 v[20:21], v[4:5], v[20:21]
	s_wait_loadcnt_dscnt 0x900
	v_mul_f64_e32 v[169:170], v[42:43], v[24:25]
	v_mul_f64_e32 v[24:25], v[44:45], v[24:25]
	v_add_f64_e32 v[165:166], v[165:166], v[173:174]
	v_add_f64_e32 v[167:168], v[167:168], v[171:172]
	v_fma_f64 v[171:172], v[4:5], v[18:19], v[175:176]
	v_fma_f64 v[173:174], v[2:3], v[18:19], -v[20:21]
	ds_load_b128 v[2:5], v1 offset:1536
	scratch_load_b128 v[18:21], off, off offset:832
	v_fma_f64 v[44:45], v[44:45], v[22:23], v[169:170]
	v_fma_f64 v[42:43], v[42:43], v[22:23], -v[24:25]
	scratch_load_b128 v[22:25], off, off offset:848
	v_add_f64_e32 v[165:166], v[165:166], v[161:162]
	v_add_f64_e32 v[167:168], v[167:168], v[163:164]
	ds_load_b128 v[161:164], v1 offset:1552
	s_wait_loadcnt_dscnt 0xa01
	v_mul_f64_e32 v[175:176], v[2:3], v[28:29]
	v_mul_f64_e32 v[28:29], v[4:5], v[28:29]
	s_wait_loadcnt_dscnt 0x900
	v_mul_f64_e32 v[169:170], v[161:162], v[32:33]
	v_mul_f64_e32 v[32:33], v[163:164], v[32:33]
	v_add_f64_e32 v[165:166], v[165:166], v[173:174]
	v_add_f64_e32 v[167:168], v[167:168], v[171:172]
	v_fma_f64 v[171:172], v[4:5], v[26:27], v[175:176]
	v_fma_f64 v[173:174], v[2:3], v[26:27], -v[28:29]
	ds_load_b128 v[2:5], v1 offset:1568
	ds_load_b128 v[26:29], v1 offset:1584
	v_fma_f64 v[163:164], v[163:164], v[30:31], v[169:170]
	v_fma_f64 v[30:31], v[161:162], v[30:31], -v[32:33]
	v_add_f64_e32 v[42:43], v[165:166], v[42:43]
	v_add_f64_e32 v[44:45], v[167:168], v[44:45]
	s_wait_loadcnt_dscnt 0x801
	v_mul_f64_e32 v[165:166], v[2:3], v[36:37]
	v_mul_f64_e32 v[36:37], v[4:5], v[36:37]
	s_delay_alu instid0(VALU_DEP_4) | instskip(NEXT) | instid1(VALU_DEP_4)
	v_add_f64_e32 v[32:33], v[42:43], v[173:174]
	v_add_f64_e32 v[42:43], v[44:45], v[171:172]
	s_wait_loadcnt_dscnt 0x600
	v_mul_f64_e32 v[44:45], v[26:27], v[159:160]
	v_mul_f64_e32 v[159:160], v[28:29], v[159:160]
	v_fma_f64 v[161:162], v[4:5], v[34:35], v[165:166]
	v_fma_f64 v[34:35], v[2:3], v[34:35], -v[36:37]
	v_add_f64_e32 v[36:37], v[32:33], v[30:31]
	v_add_f64_e32 v[42:43], v[42:43], v[163:164]
	ds_load_b128 v[2:5], v1 offset:1600
	ds_load_b128 v[30:33], v1 offset:1616
	v_fma_f64 v[28:29], v[28:29], v[157:158], v[44:45]
	v_fma_f64 v[26:27], v[26:27], v[157:158], -v[159:160]
	s_wait_loadcnt_dscnt 0x501
	v_mul_f64_e32 v[163:164], v[2:3], v[40:41]
	v_mul_f64_e32 v[40:41], v[4:5], v[40:41]
	v_add_f64_e32 v[34:35], v[36:37], v[34:35]
	v_add_f64_e32 v[36:37], v[42:43], v[161:162]
	s_wait_loadcnt_dscnt 0x400
	v_mul_f64_e32 v[42:43], v[30:31], v[8:9]
	v_mul_f64_e32 v[8:9], v[32:33], v[8:9]
	v_fma_f64 v[44:45], v[4:5], v[38:39], v[163:164]
	v_fma_f64 v[38:39], v[2:3], v[38:39], -v[40:41]
	v_add_f64_e32 v[34:35], v[34:35], v[26:27]
	v_add_f64_e32 v[36:37], v[36:37], v[28:29]
	ds_load_b128 v[2:5], v1 offset:1632
	ds_load_b128 v[26:29], v1 offset:1648
	v_fma_f64 v[32:33], v[32:33], v[6:7], v[42:43]
	v_fma_f64 v[6:7], v[30:31], v[6:7], -v[8:9]
	s_wait_loadcnt_dscnt 0x301
	v_mul_f64_e32 v[40:41], v[2:3], v[12:13]
	v_mul_f64_e32 v[12:13], v[4:5], v[12:13]
	;; [unrolled: 16-line block ×3, first 2 shown]
	s_wait_loadcnt_dscnt 0x0
	v_mul_f64_e32 v[16:17], v[6:7], v[24:25]
	v_mul_f64_e32 v[24:25], v[8:9], v[24:25]
	v_add_f64_e32 v[10:11], v[12:13], v[10:11]
	v_add_f64_e32 v[12:13], v[30:31], v[36:37]
	v_fma_f64 v[4:5], v[4:5], v[18:19], v[32:33]
	v_fma_f64 v[1:2], v[2:3], v[18:19], -v[20:21]
	v_fma_f64 v[8:9], v[8:9], v[22:23], v[16:17]
	v_fma_f64 v[6:7], v[6:7], v[22:23], -v[24:25]
	v_add_f64_e32 v[10:11], v[10:11], v[14:15]
	v_add_f64_e32 v[12:13], v[12:13], v[28:29]
	s_delay_alu instid0(VALU_DEP_2) | instskip(NEXT) | instid1(VALU_DEP_2)
	v_add_f64_e32 v[1:2], v[10:11], v[1:2]
	v_add_f64_e32 v[3:4], v[12:13], v[4:5]
	s_delay_alu instid0(VALU_DEP_2) | instskip(NEXT) | instid1(VALU_DEP_2)
	;; [unrolled: 3-line block ×3, first 2 shown]
	v_add_f64_e64 v[1:2], v[153:154], -v[1:2]
	v_add_f64_e64 v[3:4], v[155:156], -v[3:4]
	scratch_store_b128 off, v[1:4], off offset:592
	v_cmpx_lt_u32_e32 35, v0
	s_cbranch_execz .LBB52_261
; %bb.260:
	scratch_load_b128 v[1:4], off, s30
	v_mov_b32_e32 v5, 0
	s_delay_alu instid0(VALU_DEP_1)
	v_dual_mov_b32 v6, v5 :: v_dual_mov_b32 v7, v5
	v_mov_b32_e32 v8, v5
	scratch_store_b128 off, v[5:8], off offset:576
	s_wait_loadcnt 0x0
	ds_store_b128 v152, v[1:4]
.LBB52_261:
	s_wait_alu 0xfffe
	s_or_b32 exec_lo, exec_lo, s0
	s_wait_storecnt_dscnt 0x0
	s_barrier_signal -1
	s_barrier_wait -1
	global_inv scope:SCOPE_SE
	s_clause 0x7
	scratch_load_b128 v[2:5], off, off offset:592
	scratch_load_b128 v[6:9], off, off offset:608
	;; [unrolled: 1-line block ×8, first 2 shown]
	v_mov_b32_e32 v1, 0
	s_mov_b32 s0, exec_lo
	ds_load_b128 v[34:37], v1 offset:1424
	s_clause 0x1
	scratch_load_b128 v[38:41], off, off offset:720
	scratch_load_b128 v[42:45], off, off offset:576
	ds_load_b128 v[153:156], v1 offset:1440
	scratch_load_b128 v[157:160], off, off offset:736
	s_wait_loadcnt_dscnt 0xa01
	v_mul_f64_e32 v[161:162], v[36:37], v[4:5]
	v_mul_f64_e32 v[4:5], v[34:35], v[4:5]
	s_delay_alu instid0(VALU_DEP_2) | instskip(NEXT) | instid1(VALU_DEP_2)
	v_fma_f64 v[167:168], v[34:35], v[2:3], -v[161:162]
	v_fma_f64 v[169:170], v[36:37], v[2:3], v[4:5]
	ds_load_b128 v[2:5], v1 offset:1456
	s_wait_loadcnt_dscnt 0x901
	v_mul_f64_e32 v[165:166], v[153:154], v[8:9]
	v_mul_f64_e32 v[8:9], v[155:156], v[8:9]
	scratch_load_b128 v[34:37], off, off offset:752
	ds_load_b128 v[161:164], v1 offset:1472
	s_wait_loadcnt_dscnt 0x901
	v_mul_f64_e32 v[171:172], v[2:3], v[12:13]
	v_mul_f64_e32 v[12:13], v[4:5], v[12:13]
	v_fma_f64 v[155:156], v[155:156], v[6:7], v[165:166]
	v_fma_f64 v[153:154], v[153:154], v[6:7], -v[8:9]
	v_add_f64_e32 v[165:166], 0, v[167:168]
	v_add_f64_e32 v[167:168], 0, v[169:170]
	scratch_load_b128 v[6:9], off, off offset:768
	v_fma_f64 v[171:172], v[4:5], v[10:11], v[171:172]
	v_fma_f64 v[173:174], v[2:3], v[10:11], -v[12:13]
	ds_load_b128 v[2:5], v1 offset:1488
	s_wait_loadcnt_dscnt 0x901
	v_mul_f64_e32 v[169:170], v[161:162], v[16:17]
	v_mul_f64_e32 v[16:17], v[163:164], v[16:17]
	scratch_load_b128 v[10:13], off, off offset:784
	v_add_f64_e32 v[165:166], v[165:166], v[153:154]
	v_add_f64_e32 v[167:168], v[167:168], v[155:156]
	s_wait_loadcnt_dscnt 0x900
	v_mul_f64_e32 v[175:176], v[2:3], v[20:21]
	v_mul_f64_e32 v[20:21], v[4:5], v[20:21]
	ds_load_b128 v[153:156], v1 offset:1504
	v_fma_f64 v[163:164], v[163:164], v[14:15], v[169:170]
	v_fma_f64 v[161:162], v[161:162], v[14:15], -v[16:17]
	scratch_load_b128 v[14:17], off, off offset:800
	v_add_f64_e32 v[165:166], v[165:166], v[173:174]
	v_add_f64_e32 v[167:168], v[167:168], v[171:172]
	v_fma_f64 v[171:172], v[4:5], v[18:19], v[175:176]
	v_fma_f64 v[173:174], v[2:3], v[18:19], -v[20:21]
	ds_load_b128 v[2:5], v1 offset:1520
	s_wait_loadcnt_dscnt 0x901
	v_mul_f64_e32 v[169:170], v[153:154], v[24:25]
	v_mul_f64_e32 v[24:25], v[155:156], v[24:25]
	scratch_load_b128 v[18:21], off, off offset:816
	s_wait_loadcnt_dscnt 0x900
	v_mul_f64_e32 v[175:176], v[2:3], v[28:29]
	v_mul_f64_e32 v[28:29], v[4:5], v[28:29]
	v_add_f64_e32 v[165:166], v[165:166], v[161:162]
	v_add_f64_e32 v[167:168], v[167:168], v[163:164]
	ds_load_b128 v[161:164], v1 offset:1536
	v_fma_f64 v[155:156], v[155:156], v[22:23], v[169:170]
	v_fma_f64 v[153:154], v[153:154], v[22:23], -v[24:25]
	scratch_load_b128 v[22:25], off, off offset:832
	v_add_f64_e32 v[165:166], v[165:166], v[173:174]
	v_add_f64_e32 v[167:168], v[167:168], v[171:172]
	v_fma_f64 v[171:172], v[4:5], v[26:27], v[175:176]
	v_fma_f64 v[173:174], v[2:3], v[26:27], -v[28:29]
	ds_load_b128 v[2:5], v1 offset:1552
	s_wait_loadcnt_dscnt 0x901
	v_mul_f64_e32 v[169:170], v[161:162], v[32:33]
	v_mul_f64_e32 v[32:33], v[163:164], v[32:33]
	scratch_load_b128 v[26:29], off, off offset:848
	s_wait_loadcnt_dscnt 0x900
	v_mul_f64_e32 v[175:176], v[2:3], v[40:41]
	v_mul_f64_e32 v[40:41], v[4:5], v[40:41]
	v_add_f64_e32 v[165:166], v[165:166], v[153:154]
	v_add_f64_e32 v[167:168], v[167:168], v[155:156]
	ds_load_b128 v[153:156], v1 offset:1568
	v_fma_f64 v[163:164], v[163:164], v[30:31], v[169:170]
	v_fma_f64 v[30:31], v[161:162], v[30:31], -v[32:33]
	v_add_f64_e32 v[32:33], v[165:166], v[173:174]
	v_add_f64_e32 v[161:162], v[167:168], v[171:172]
	s_wait_loadcnt_dscnt 0x700
	v_mul_f64_e32 v[165:166], v[153:154], v[159:160]
	v_mul_f64_e32 v[159:160], v[155:156], v[159:160]
	v_fma_f64 v[167:168], v[4:5], v[38:39], v[175:176]
	v_fma_f64 v[38:39], v[2:3], v[38:39], -v[40:41]
	v_add_f64_e32 v[40:41], v[32:33], v[30:31]
	v_add_f64_e32 v[161:162], v[161:162], v[163:164]
	ds_load_b128 v[2:5], v1 offset:1584
	ds_load_b128 v[30:33], v1 offset:1600
	v_fma_f64 v[155:156], v[155:156], v[157:158], v[165:166]
	v_fma_f64 v[153:154], v[153:154], v[157:158], -v[159:160]
	s_wait_loadcnt_dscnt 0x601
	v_mul_f64_e32 v[163:164], v[2:3], v[36:37]
	v_mul_f64_e32 v[36:37], v[4:5], v[36:37]
	v_add_f64_e32 v[38:39], v[40:41], v[38:39]
	v_add_f64_e32 v[40:41], v[161:162], v[167:168]
	s_wait_loadcnt_dscnt 0x500
	v_mul_f64_e32 v[157:158], v[30:31], v[8:9]
	v_mul_f64_e32 v[8:9], v[32:33], v[8:9]
	v_fma_f64 v[159:160], v[4:5], v[34:35], v[163:164]
	v_fma_f64 v[161:162], v[2:3], v[34:35], -v[36:37]
	ds_load_b128 v[2:5], v1 offset:1616
	ds_load_b128 v[34:37], v1 offset:1632
	v_add_f64_e32 v[38:39], v[38:39], v[153:154]
	v_add_f64_e32 v[40:41], v[40:41], v[155:156]
	s_wait_loadcnt_dscnt 0x401
	v_mul_f64_e32 v[153:154], v[2:3], v[12:13]
	v_mul_f64_e32 v[12:13], v[4:5], v[12:13]
	v_fma_f64 v[32:33], v[32:33], v[6:7], v[157:158]
	v_fma_f64 v[6:7], v[30:31], v[6:7], -v[8:9]
	v_add_f64_e32 v[8:9], v[38:39], v[161:162]
	v_add_f64_e32 v[30:31], v[40:41], v[159:160]
	s_wait_loadcnt_dscnt 0x300
	v_mul_f64_e32 v[38:39], v[34:35], v[16:17]
	v_mul_f64_e32 v[16:17], v[36:37], v[16:17]
	v_fma_f64 v[40:41], v[4:5], v[10:11], v[153:154]
	v_fma_f64 v[10:11], v[2:3], v[10:11], -v[12:13]
	v_add_f64_e32 v[12:13], v[8:9], v[6:7]
	v_add_f64_e32 v[30:31], v[30:31], v[32:33]
	ds_load_b128 v[2:5], v1 offset:1648
	ds_load_b128 v[6:9], v1 offset:1664
	v_fma_f64 v[36:37], v[36:37], v[14:15], v[38:39]
	v_fma_f64 v[14:15], v[34:35], v[14:15], -v[16:17]
	s_wait_loadcnt_dscnt 0x201
	v_mul_f64_e32 v[32:33], v[2:3], v[20:21]
	v_mul_f64_e32 v[20:21], v[4:5], v[20:21]
	s_wait_loadcnt_dscnt 0x100
	v_mul_f64_e32 v[16:17], v[6:7], v[24:25]
	v_mul_f64_e32 v[24:25], v[8:9], v[24:25]
	v_add_f64_e32 v[10:11], v[12:13], v[10:11]
	v_add_f64_e32 v[12:13], v[30:31], v[40:41]
	v_fma_f64 v[30:31], v[4:5], v[18:19], v[32:33]
	v_fma_f64 v[18:19], v[2:3], v[18:19], -v[20:21]
	ds_load_b128 v[2:5], v1 offset:1680
	v_fma_f64 v[8:9], v[8:9], v[22:23], v[16:17]
	v_fma_f64 v[6:7], v[6:7], v[22:23], -v[24:25]
	v_add_f64_e32 v[10:11], v[10:11], v[14:15]
	v_add_f64_e32 v[12:13], v[12:13], v[36:37]
	s_wait_loadcnt_dscnt 0x0
	v_mul_f64_e32 v[14:15], v[2:3], v[28:29]
	v_mul_f64_e32 v[20:21], v[4:5], v[28:29]
	s_delay_alu instid0(VALU_DEP_4) | instskip(NEXT) | instid1(VALU_DEP_4)
	v_add_f64_e32 v[10:11], v[10:11], v[18:19]
	v_add_f64_e32 v[12:13], v[12:13], v[30:31]
	s_delay_alu instid0(VALU_DEP_4) | instskip(NEXT) | instid1(VALU_DEP_4)
	v_fma_f64 v[4:5], v[4:5], v[26:27], v[14:15]
	v_fma_f64 v[2:3], v[2:3], v[26:27], -v[20:21]
	s_delay_alu instid0(VALU_DEP_4) | instskip(NEXT) | instid1(VALU_DEP_4)
	v_add_f64_e32 v[6:7], v[10:11], v[6:7]
	v_add_f64_e32 v[8:9], v[12:13], v[8:9]
	s_delay_alu instid0(VALU_DEP_2) | instskip(NEXT) | instid1(VALU_DEP_2)
	v_add_f64_e32 v[2:3], v[6:7], v[2:3]
	v_add_f64_e32 v[4:5], v[8:9], v[4:5]
	s_delay_alu instid0(VALU_DEP_2) | instskip(NEXT) | instid1(VALU_DEP_2)
	v_add_f64_e64 v[2:3], v[42:43], -v[2:3]
	v_add_f64_e64 v[4:5], v[44:45], -v[4:5]
	scratch_store_b128 off, v[2:5], off offset:576
	v_cmpx_lt_u32_e32 34, v0
	s_cbranch_execz .LBB52_263
; %bb.262:
	scratch_load_b128 v[5:8], off, s31
	v_dual_mov_b32 v2, v1 :: v_dual_mov_b32 v3, v1
	v_mov_b32_e32 v4, v1
	scratch_store_b128 off, v[1:4], off offset:560
	s_wait_loadcnt 0x0
	ds_store_b128 v152, v[5:8]
.LBB52_263:
	s_wait_alu 0xfffe
	s_or_b32 exec_lo, exec_lo, s0
	s_wait_storecnt_dscnt 0x0
	s_barrier_signal -1
	s_barrier_wait -1
	global_inv scope:SCOPE_SE
	s_clause 0x8
	scratch_load_b128 v[2:5], off, off offset:576
	scratch_load_b128 v[6:9], off, off offset:592
	;; [unrolled: 1-line block ×9, first 2 shown]
	ds_load_b128 v[38:41], v1 offset:1408
	ds_load_b128 v[42:45], v1 offset:1424
	s_clause 0x1
	scratch_load_b128 v[153:156], off, off offset:560
	scratch_load_b128 v[157:160], off, off offset:720
	s_mov_b32 s0, exec_lo
	s_wait_loadcnt_dscnt 0xa01
	v_mul_f64_e32 v[161:162], v[40:41], v[4:5]
	v_mul_f64_e32 v[4:5], v[38:39], v[4:5]
	s_wait_loadcnt_dscnt 0x900
	v_mul_f64_e32 v[165:166], v[42:43], v[8:9]
	v_mul_f64_e32 v[8:9], v[44:45], v[8:9]
	s_delay_alu instid0(VALU_DEP_4) | instskip(NEXT) | instid1(VALU_DEP_4)
	v_fma_f64 v[167:168], v[38:39], v[2:3], -v[161:162]
	v_fma_f64 v[169:170], v[40:41], v[2:3], v[4:5]
	ds_load_b128 v[2:5], v1 offset:1440
	ds_load_b128 v[161:164], v1 offset:1456
	scratch_load_b128 v[38:41], off, off offset:736
	v_fma_f64 v[44:45], v[44:45], v[6:7], v[165:166]
	v_fma_f64 v[42:43], v[42:43], v[6:7], -v[8:9]
	scratch_load_b128 v[6:9], off, off offset:752
	s_wait_loadcnt_dscnt 0xa01
	v_mul_f64_e32 v[171:172], v[2:3], v[12:13]
	v_mul_f64_e32 v[12:13], v[4:5], v[12:13]
	v_add_f64_e32 v[165:166], 0, v[167:168]
	v_add_f64_e32 v[167:168], 0, v[169:170]
	s_wait_loadcnt_dscnt 0x900
	v_mul_f64_e32 v[169:170], v[161:162], v[16:17]
	v_mul_f64_e32 v[16:17], v[163:164], v[16:17]
	v_fma_f64 v[171:172], v[4:5], v[10:11], v[171:172]
	v_fma_f64 v[173:174], v[2:3], v[10:11], -v[12:13]
	ds_load_b128 v[2:5], v1 offset:1472
	scratch_load_b128 v[10:13], off, off offset:768
	v_add_f64_e32 v[165:166], v[165:166], v[42:43]
	v_add_f64_e32 v[167:168], v[167:168], v[44:45]
	ds_load_b128 v[42:45], v1 offset:1488
	v_fma_f64 v[163:164], v[163:164], v[14:15], v[169:170]
	v_fma_f64 v[161:162], v[161:162], v[14:15], -v[16:17]
	scratch_load_b128 v[14:17], off, off offset:784
	s_wait_loadcnt_dscnt 0xa01
	v_mul_f64_e32 v[175:176], v[2:3], v[20:21]
	v_mul_f64_e32 v[20:21], v[4:5], v[20:21]
	s_wait_loadcnt_dscnt 0x900
	v_mul_f64_e32 v[169:170], v[42:43], v[24:25]
	v_mul_f64_e32 v[24:25], v[44:45], v[24:25]
	v_add_f64_e32 v[165:166], v[165:166], v[173:174]
	v_add_f64_e32 v[167:168], v[167:168], v[171:172]
	v_fma_f64 v[171:172], v[4:5], v[18:19], v[175:176]
	v_fma_f64 v[173:174], v[2:3], v[18:19], -v[20:21]
	ds_load_b128 v[2:5], v1 offset:1504
	scratch_load_b128 v[18:21], off, off offset:800
	v_fma_f64 v[44:45], v[44:45], v[22:23], v[169:170]
	v_fma_f64 v[42:43], v[42:43], v[22:23], -v[24:25]
	scratch_load_b128 v[22:25], off, off offset:816
	v_add_f64_e32 v[165:166], v[165:166], v[161:162]
	v_add_f64_e32 v[167:168], v[167:168], v[163:164]
	ds_load_b128 v[161:164], v1 offset:1520
	s_wait_loadcnt_dscnt 0xa01
	v_mul_f64_e32 v[175:176], v[2:3], v[28:29]
	v_mul_f64_e32 v[28:29], v[4:5], v[28:29]
	s_wait_loadcnt_dscnt 0x900
	v_mul_f64_e32 v[169:170], v[161:162], v[32:33]
	v_mul_f64_e32 v[32:33], v[163:164], v[32:33]
	v_add_f64_e32 v[165:166], v[165:166], v[173:174]
	v_add_f64_e32 v[167:168], v[167:168], v[171:172]
	v_fma_f64 v[171:172], v[4:5], v[26:27], v[175:176]
	v_fma_f64 v[173:174], v[2:3], v[26:27], -v[28:29]
	ds_load_b128 v[2:5], v1 offset:1536
	scratch_load_b128 v[26:29], off, off offset:832
	v_fma_f64 v[163:164], v[163:164], v[30:31], v[169:170]
	v_fma_f64 v[161:162], v[161:162], v[30:31], -v[32:33]
	scratch_load_b128 v[30:33], off, off offset:848
	v_add_f64_e32 v[165:166], v[165:166], v[42:43]
	v_add_f64_e32 v[167:168], v[167:168], v[44:45]
	ds_load_b128 v[42:45], v1 offset:1552
	s_wait_loadcnt_dscnt 0xa01
	v_mul_f64_e32 v[175:176], v[2:3], v[36:37]
	v_mul_f64_e32 v[36:37], v[4:5], v[36:37]
	s_wait_loadcnt_dscnt 0x800
	v_mul_f64_e32 v[169:170], v[42:43], v[159:160]
	v_mul_f64_e32 v[159:160], v[44:45], v[159:160]
	v_add_f64_e32 v[165:166], v[165:166], v[173:174]
	v_add_f64_e32 v[167:168], v[167:168], v[171:172]
	v_fma_f64 v[171:172], v[4:5], v[34:35], v[175:176]
	v_fma_f64 v[173:174], v[2:3], v[34:35], -v[36:37]
	ds_load_b128 v[2:5], v1 offset:1568
	ds_load_b128 v[34:37], v1 offset:1584
	v_fma_f64 v[44:45], v[44:45], v[157:158], v[169:170]
	v_fma_f64 v[42:43], v[42:43], v[157:158], -v[159:160]
	v_add_f64_e32 v[161:162], v[165:166], v[161:162]
	v_add_f64_e32 v[163:164], v[167:168], v[163:164]
	s_wait_loadcnt_dscnt 0x701
	v_mul_f64_e32 v[165:166], v[2:3], v[40:41]
	v_mul_f64_e32 v[40:41], v[4:5], v[40:41]
	s_delay_alu instid0(VALU_DEP_4) | instskip(NEXT) | instid1(VALU_DEP_4)
	v_add_f64_e32 v[157:158], v[161:162], v[173:174]
	v_add_f64_e32 v[159:160], v[163:164], v[171:172]
	s_wait_loadcnt_dscnt 0x600
	v_mul_f64_e32 v[161:162], v[34:35], v[8:9]
	v_mul_f64_e32 v[8:9], v[36:37], v[8:9]
	v_fma_f64 v[163:164], v[4:5], v[38:39], v[165:166]
	v_fma_f64 v[165:166], v[2:3], v[38:39], -v[40:41]
	ds_load_b128 v[2:5], v1 offset:1600
	ds_load_b128 v[38:41], v1 offset:1616
	v_add_f64_e32 v[42:43], v[157:158], v[42:43]
	v_add_f64_e32 v[44:45], v[159:160], v[44:45]
	v_fma_f64 v[36:37], v[36:37], v[6:7], v[161:162]
	s_wait_loadcnt_dscnt 0x501
	v_mul_f64_e32 v[157:158], v[2:3], v[12:13]
	v_mul_f64_e32 v[12:13], v[4:5], v[12:13]
	v_fma_f64 v[6:7], v[34:35], v[6:7], -v[8:9]
	v_add_f64_e32 v[8:9], v[42:43], v[165:166]
	v_add_f64_e32 v[34:35], v[44:45], v[163:164]
	s_wait_loadcnt_dscnt 0x400
	v_mul_f64_e32 v[42:43], v[38:39], v[16:17]
	v_mul_f64_e32 v[16:17], v[40:41], v[16:17]
	v_fma_f64 v[44:45], v[4:5], v[10:11], v[157:158]
	v_fma_f64 v[10:11], v[2:3], v[10:11], -v[12:13]
	v_add_f64_e32 v[12:13], v[8:9], v[6:7]
	v_add_f64_e32 v[34:35], v[34:35], v[36:37]
	ds_load_b128 v[2:5], v1 offset:1632
	ds_load_b128 v[6:9], v1 offset:1648
	v_fma_f64 v[40:41], v[40:41], v[14:15], v[42:43]
	v_fma_f64 v[14:15], v[38:39], v[14:15], -v[16:17]
	s_wait_loadcnt_dscnt 0x301
	v_mul_f64_e32 v[36:37], v[2:3], v[20:21]
	v_mul_f64_e32 v[20:21], v[4:5], v[20:21]
	s_wait_loadcnt_dscnt 0x200
	v_mul_f64_e32 v[16:17], v[6:7], v[24:25]
	v_mul_f64_e32 v[24:25], v[8:9], v[24:25]
	v_add_f64_e32 v[10:11], v[12:13], v[10:11]
	v_add_f64_e32 v[12:13], v[34:35], v[44:45]
	v_fma_f64 v[34:35], v[4:5], v[18:19], v[36:37]
	v_fma_f64 v[18:19], v[2:3], v[18:19], -v[20:21]
	v_fma_f64 v[8:9], v[8:9], v[22:23], v[16:17]
	v_fma_f64 v[6:7], v[6:7], v[22:23], -v[24:25]
	v_add_f64_e32 v[14:15], v[10:11], v[14:15]
	v_add_f64_e32 v[20:21], v[12:13], v[40:41]
	ds_load_b128 v[2:5], v1 offset:1664
	ds_load_b128 v[10:13], v1 offset:1680
	s_wait_loadcnt_dscnt 0x101
	v_mul_f64_e32 v[36:37], v[2:3], v[28:29]
	v_mul_f64_e32 v[28:29], v[4:5], v[28:29]
	v_add_f64_e32 v[14:15], v[14:15], v[18:19]
	v_add_f64_e32 v[16:17], v[20:21], v[34:35]
	s_wait_loadcnt_dscnt 0x0
	v_mul_f64_e32 v[18:19], v[10:11], v[32:33]
	v_mul_f64_e32 v[20:21], v[12:13], v[32:33]
	v_fma_f64 v[4:5], v[4:5], v[26:27], v[36:37]
	v_fma_f64 v[1:2], v[2:3], v[26:27], -v[28:29]
	v_add_f64_e32 v[6:7], v[14:15], v[6:7]
	v_add_f64_e32 v[8:9], v[16:17], v[8:9]
	v_fma_f64 v[12:13], v[12:13], v[30:31], v[18:19]
	v_fma_f64 v[10:11], v[10:11], v[30:31], -v[20:21]
	s_delay_alu instid0(VALU_DEP_4) | instskip(NEXT) | instid1(VALU_DEP_4)
	v_add_f64_e32 v[1:2], v[6:7], v[1:2]
	v_add_f64_e32 v[3:4], v[8:9], v[4:5]
	s_delay_alu instid0(VALU_DEP_2) | instskip(NEXT) | instid1(VALU_DEP_2)
	v_add_f64_e32 v[1:2], v[1:2], v[10:11]
	v_add_f64_e32 v[3:4], v[3:4], v[12:13]
	s_delay_alu instid0(VALU_DEP_2) | instskip(NEXT) | instid1(VALU_DEP_2)
	v_add_f64_e64 v[1:2], v[153:154], -v[1:2]
	v_add_f64_e64 v[3:4], v[155:156], -v[3:4]
	scratch_store_b128 off, v[1:4], off offset:560
	v_cmpx_lt_u32_e32 33, v0
	s_cbranch_execz .LBB52_265
; %bb.264:
	scratch_load_b128 v[1:4], off, s33
	v_mov_b32_e32 v5, 0
	s_delay_alu instid0(VALU_DEP_1)
	v_dual_mov_b32 v6, v5 :: v_dual_mov_b32 v7, v5
	v_mov_b32_e32 v8, v5
	scratch_store_b128 off, v[5:8], off offset:544
	s_wait_loadcnt 0x0
	ds_store_b128 v152, v[1:4]
.LBB52_265:
	s_wait_alu 0xfffe
	s_or_b32 exec_lo, exec_lo, s0
	s_wait_storecnt_dscnt 0x0
	s_barrier_signal -1
	s_barrier_wait -1
	global_inv scope:SCOPE_SE
	s_clause 0x7
	scratch_load_b128 v[2:5], off, off offset:560
	scratch_load_b128 v[6:9], off, off offset:576
	;; [unrolled: 1-line block ×8, first 2 shown]
	v_mov_b32_e32 v1, 0
	s_mov_b32 s0, exec_lo
	ds_load_b128 v[34:37], v1 offset:1392
	s_clause 0x1
	scratch_load_b128 v[38:41], off, off offset:688
	scratch_load_b128 v[42:45], off, off offset:544
	ds_load_b128 v[153:156], v1 offset:1408
	scratch_load_b128 v[157:160], off, off offset:704
	s_wait_loadcnt_dscnt 0xa01
	v_mul_f64_e32 v[161:162], v[36:37], v[4:5]
	v_mul_f64_e32 v[4:5], v[34:35], v[4:5]
	s_delay_alu instid0(VALU_DEP_2) | instskip(NEXT) | instid1(VALU_DEP_2)
	v_fma_f64 v[167:168], v[34:35], v[2:3], -v[161:162]
	v_fma_f64 v[169:170], v[36:37], v[2:3], v[4:5]
	ds_load_b128 v[2:5], v1 offset:1424
	s_wait_loadcnt_dscnt 0x901
	v_mul_f64_e32 v[165:166], v[153:154], v[8:9]
	v_mul_f64_e32 v[8:9], v[155:156], v[8:9]
	scratch_load_b128 v[34:37], off, off offset:720
	ds_load_b128 v[161:164], v1 offset:1440
	s_wait_loadcnt_dscnt 0x901
	v_mul_f64_e32 v[171:172], v[2:3], v[12:13]
	v_mul_f64_e32 v[12:13], v[4:5], v[12:13]
	v_fma_f64 v[155:156], v[155:156], v[6:7], v[165:166]
	v_fma_f64 v[153:154], v[153:154], v[6:7], -v[8:9]
	v_add_f64_e32 v[165:166], 0, v[167:168]
	v_add_f64_e32 v[167:168], 0, v[169:170]
	scratch_load_b128 v[6:9], off, off offset:736
	v_fma_f64 v[171:172], v[4:5], v[10:11], v[171:172]
	v_fma_f64 v[173:174], v[2:3], v[10:11], -v[12:13]
	ds_load_b128 v[2:5], v1 offset:1456
	s_wait_loadcnt_dscnt 0x901
	v_mul_f64_e32 v[169:170], v[161:162], v[16:17]
	v_mul_f64_e32 v[16:17], v[163:164], v[16:17]
	scratch_load_b128 v[10:13], off, off offset:752
	v_add_f64_e32 v[165:166], v[165:166], v[153:154]
	v_add_f64_e32 v[167:168], v[167:168], v[155:156]
	s_wait_loadcnt_dscnt 0x900
	v_mul_f64_e32 v[175:176], v[2:3], v[20:21]
	v_mul_f64_e32 v[20:21], v[4:5], v[20:21]
	ds_load_b128 v[153:156], v1 offset:1472
	v_fma_f64 v[163:164], v[163:164], v[14:15], v[169:170]
	v_fma_f64 v[161:162], v[161:162], v[14:15], -v[16:17]
	scratch_load_b128 v[14:17], off, off offset:768
	v_add_f64_e32 v[165:166], v[165:166], v[173:174]
	v_add_f64_e32 v[167:168], v[167:168], v[171:172]
	v_fma_f64 v[171:172], v[4:5], v[18:19], v[175:176]
	v_fma_f64 v[173:174], v[2:3], v[18:19], -v[20:21]
	ds_load_b128 v[2:5], v1 offset:1488
	s_wait_loadcnt_dscnt 0x901
	v_mul_f64_e32 v[169:170], v[153:154], v[24:25]
	v_mul_f64_e32 v[24:25], v[155:156], v[24:25]
	scratch_load_b128 v[18:21], off, off offset:784
	s_wait_loadcnt_dscnt 0x900
	v_mul_f64_e32 v[175:176], v[2:3], v[28:29]
	v_mul_f64_e32 v[28:29], v[4:5], v[28:29]
	v_add_f64_e32 v[165:166], v[165:166], v[161:162]
	v_add_f64_e32 v[167:168], v[167:168], v[163:164]
	ds_load_b128 v[161:164], v1 offset:1504
	v_fma_f64 v[155:156], v[155:156], v[22:23], v[169:170]
	v_fma_f64 v[153:154], v[153:154], v[22:23], -v[24:25]
	scratch_load_b128 v[22:25], off, off offset:800
	v_add_f64_e32 v[165:166], v[165:166], v[173:174]
	v_add_f64_e32 v[167:168], v[167:168], v[171:172]
	v_fma_f64 v[171:172], v[4:5], v[26:27], v[175:176]
	v_fma_f64 v[173:174], v[2:3], v[26:27], -v[28:29]
	ds_load_b128 v[2:5], v1 offset:1520
	s_wait_loadcnt_dscnt 0x901
	v_mul_f64_e32 v[169:170], v[161:162], v[32:33]
	v_mul_f64_e32 v[32:33], v[163:164], v[32:33]
	scratch_load_b128 v[26:29], off, off offset:816
	s_wait_loadcnt_dscnt 0x900
	v_mul_f64_e32 v[175:176], v[2:3], v[40:41]
	v_mul_f64_e32 v[40:41], v[4:5], v[40:41]
	v_add_f64_e32 v[165:166], v[165:166], v[153:154]
	v_add_f64_e32 v[167:168], v[167:168], v[155:156]
	ds_load_b128 v[153:156], v1 offset:1536
	v_fma_f64 v[163:164], v[163:164], v[30:31], v[169:170]
	v_fma_f64 v[161:162], v[161:162], v[30:31], -v[32:33]
	scratch_load_b128 v[30:33], off, off offset:832
	v_add_f64_e32 v[165:166], v[165:166], v[173:174]
	v_add_f64_e32 v[167:168], v[167:168], v[171:172]
	v_fma_f64 v[173:174], v[4:5], v[38:39], v[175:176]
	v_fma_f64 v[175:176], v[2:3], v[38:39], -v[40:41]
	ds_load_b128 v[2:5], v1 offset:1552
	s_wait_loadcnt_dscnt 0x801
	v_mul_f64_e32 v[169:170], v[153:154], v[159:160]
	v_mul_f64_e32 v[171:172], v[155:156], v[159:160]
	scratch_load_b128 v[38:41], off, off offset:848
	v_add_f64_e32 v[165:166], v[165:166], v[161:162]
	v_add_f64_e32 v[163:164], v[167:168], v[163:164]
	ds_load_b128 v[159:162], v1 offset:1568
	v_fma_f64 v[155:156], v[155:156], v[157:158], v[169:170]
	v_fma_f64 v[153:154], v[153:154], v[157:158], -v[171:172]
	s_wait_loadcnt_dscnt 0x801
	v_mul_f64_e32 v[167:168], v[2:3], v[36:37]
	v_mul_f64_e32 v[36:37], v[4:5], v[36:37]
	v_add_f64_e32 v[157:158], v[165:166], v[175:176]
	v_add_f64_e32 v[163:164], v[163:164], v[173:174]
	s_delay_alu instid0(VALU_DEP_4) | instskip(NEXT) | instid1(VALU_DEP_4)
	v_fma_f64 v[167:168], v[4:5], v[34:35], v[167:168]
	v_fma_f64 v[169:170], v[2:3], v[34:35], -v[36:37]
	s_wait_loadcnt_dscnt 0x700
	v_mul_f64_e32 v[165:166], v[159:160], v[8:9]
	v_mul_f64_e32 v[8:9], v[161:162], v[8:9]
	ds_load_b128 v[2:5], v1 offset:1584
	ds_load_b128 v[34:37], v1 offset:1600
	v_add_f64_e32 v[153:154], v[157:158], v[153:154]
	v_add_f64_e32 v[155:156], v[163:164], v[155:156]
	s_wait_loadcnt_dscnt 0x601
	v_mul_f64_e32 v[157:158], v[2:3], v[12:13]
	v_mul_f64_e32 v[12:13], v[4:5], v[12:13]
	v_fma_f64 v[161:162], v[161:162], v[6:7], v[165:166]
	v_fma_f64 v[6:7], v[159:160], v[6:7], -v[8:9]
	v_add_f64_e32 v[8:9], v[153:154], v[169:170]
	v_add_f64_e32 v[153:154], v[155:156], v[167:168]
	s_wait_loadcnt_dscnt 0x500
	v_mul_f64_e32 v[155:156], v[34:35], v[16:17]
	v_mul_f64_e32 v[16:17], v[36:37], v[16:17]
	v_fma_f64 v[157:158], v[4:5], v[10:11], v[157:158]
	v_fma_f64 v[10:11], v[2:3], v[10:11], -v[12:13]
	v_add_f64_e32 v[12:13], v[8:9], v[6:7]
	v_add_f64_e32 v[153:154], v[153:154], v[161:162]
	ds_load_b128 v[2:5], v1 offset:1616
	ds_load_b128 v[6:9], v1 offset:1632
	v_fma_f64 v[36:37], v[36:37], v[14:15], v[155:156]
	v_fma_f64 v[14:15], v[34:35], v[14:15], -v[16:17]
	s_wait_loadcnt_dscnt 0x401
	v_mul_f64_e32 v[159:160], v[2:3], v[20:21]
	v_mul_f64_e32 v[20:21], v[4:5], v[20:21]
	s_wait_loadcnt_dscnt 0x300
	v_mul_f64_e32 v[16:17], v[6:7], v[24:25]
	v_mul_f64_e32 v[24:25], v[8:9], v[24:25]
	v_add_f64_e32 v[10:11], v[12:13], v[10:11]
	v_add_f64_e32 v[12:13], v[153:154], v[157:158]
	v_fma_f64 v[34:35], v[4:5], v[18:19], v[159:160]
	v_fma_f64 v[18:19], v[2:3], v[18:19], -v[20:21]
	v_fma_f64 v[8:9], v[8:9], v[22:23], v[16:17]
	v_fma_f64 v[6:7], v[6:7], v[22:23], -v[24:25]
	v_add_f64_e32 v[14:15], v[10:11], v[14:15]
	v_add_f64_e32 v[20:21], v[12:13], v[36:37]
	ds_load_b128 v[2:5], v1 offset:1648
	ds_load_b128 v[10:13], v1 offset:1664
	s_wait_loadcnt_dscnt 0x201
	v_mul_f64_e32 v[36:37], v[2:3], v[28:29]
	v_mul_f64_e32 v[28:29], v[4:5], v[28:29]
	v_add_f64_e32 v[14:15], v[14:15], v[18:19]
	v_add_f64_e32 v[16:17], v[20:21], v[34:35]
	s_wait_loadcnt_dscnt 0x100
	v_mul_f64_e32 v[18:19], v[10:11], v[32:33]
	v_mul_f64_e32 v[20:21], v[12:13], v[32:33]
	v_fma_f64 v[22:23], v[4:5], v[26:27], v[36:37]
	v_fma_f64 v[24:25], v[2:3], v[26:27], -v[28:29]
	ds_load_b128 v[2:5], v1 offset:1680
	v_add_f64_e32 v[6:7], v[14:15], v[6:7]
	v_add_f64_e32 v[8:9], v[16:17], v[8:9]
	v_fma_f64 v[12:13], v[12:13], v[30:31], v[18:19]
	v_fma_f64 v[10:11], v[10:11], v[30:31], -v[20:21]
	s_wait_loadcnt_dscnt 0x0
	v_mul_f64_e32 v[14:15], v[2:3], v[40:41]
	v_mul_f64_e32 v[16:17], v[4:5], v[40:41]
	v_add_f64_e32 v[6:7], v[6:7], v[24:25]
	v_add_f64_e32 v[8:9], v[8:9], v[22:23]
	s_delay_alu instid0(VALU_DEP_4) | instskip(NEXT) | instid1(VALU_DEP_4)
	v_fma_f64 v[4:5], v[4:5], v[38:39], v[14:15]
	v_fma_f64 v[2:3], v[2:3], v[38:39], -v[16:17]
	s_delay_alu instid0(VALU_DEP_4) | instskip(NEXT) | instid1(VALU_DEP_4)
	v_add_f64_e32 v[6:7], v[6:7], v[10:11]
	v_add_f64_e32 v[8:9], v[8:9], v[12:13]
	s_delay_alu instid0(VALU_DEP_2) | instskip(NEXT) | instid1(VALU_DEP_2)
	v_add_f64_e32 v[2:3], v[6:7], v[2:3]
	v_add_f64_e32 v[4:5], v[8:9], v[4:5]
	s_delay_alu instid0(VALU_DEP_2) | instskip(NEXT) | instid1(VALU_DEP_2)
	v_add_f64_e64 v[2:3], v[42:43], -v[2:3]
	v_add_f64_e64 v[4:5], v[44:45], -v[4:5]
	scratch_store_b128 off, v[2:5], off offset:544
	v_cmpx_lt_u32_e32 32, v0
	s_cbranch_execz .LBB52_267
; %bb.266:
	scratch_load_b128 v[5:8], off, s34
	v_dual_mov_b32 v2, v1 :: v_dual_mov_b32 v3, v1
	v_mov_b32_e32 v4, v1
	scratch_store_b128 off, v[1:4], off offset:528
	s_wait_loadcnt 0x0
	ds_store_b128 v152, v[5:8]
.LBB52_267:
	s_wait_alu 0xfffe
	s_or_b32 exec_lo, exec_lo, s0
	s_wait_storecnt_dscnt 0x0
	s_barrier_signal -1
	s_barrier_wait -1
	global_inv scope:SCOPE_SE
	s_clause 0x8
	scratch_load_b128 v[2:5], off, off offset:544
	scratch_load_b128 v[6:9], off, off offset:560
	;; [unrolled: 1-line block ×9, first 2 shown]
	ds_load_b128 v[38:41], v1 offset:1376
	ds_load_b128 v[42:45], v1 offset:1392
	s_clause 0x1
	scratch_load_b128 v[153:156], off, off offset:528
	scratch_load_b128 v[157:160], off, off offset:688
	s_mov_b32 s0, exec_lo
	s_wait_loadcnt_dscnt 0xa01
	v_mul_f64_e32 v[161:162], v[40:41], v[4:5]
	v_mul_f64_e32 v[4:5], v[38:39], v[4:5]
	s_wait_loadcnt_dscnt 0x900
	v_mul_f64_e32 v[165:166], v[42:43], v[8:9]
	v_mul_f64_e32 v[8:9], v[44:45], v[8:9]
	s_delay_alu instid0(VALU_DEP_4) | instskip(NEXT) | instid1(VALU_DEP_4)
	v_fma_f64 v[167:168], v[38:39], v[2:3], -v[161:162]
	v_fma_f64 v[169:170], v[40:41], v[2:3], v[4:5]
	ds_load_b128 v[2:5], v1 offset:1408
	ds_load_b128 v[161:164], v1 offset:1424
	scratch_load_b128 v[38:41], off, off offset:704
	v_fma_f64 v[44:45], v[44:45], v[6:7], v[165:166]
	v_fma_f64 v[42:43], v[42:43], v[6:7], -v[8:9]
	scratch_load_b128 v[6:9], off, off offset:720
	s_wait_loadcnt_dscnt 0xa01
	v_mul_f64_e32 v[171:172], v[2:3], v[12:13]
	v_mul_f64_e32 v[12:13], v[4:5], v[12:13]
	v_add_f64_e32 v[165:166], 0, v[167:168]
	v_add_f64_e32 v[167:168], 0, v[169:170]
	s_wait_loadcnt_dscnt 0x900
	v_mul_f64_e32 v[169:170], v[161:162], v[16:17]
	v_mul_f64_e32 v[16:17], v[163:164], v[16:17]
	v_fma_f64 v[171:172], v[4:5], v[10:11], v[171:172]
	v_fma_f64 v[173:174], v[2:3], v[10:11], -v[12:13]
	ds_load_b128 v[2:5], v1 offset:1440
	scratch_load_b128 v[10:13], off, off offset:736
	v_add_f64_e32 v[165:166], v[165:166], v[42:43]
	v_add_f64_e32 v[167:168], v[167:168], v[44:45]
	ds_load_b128 v[42:45], v1 offset:1456
	v_fma_f64 v[163:164], v[163:164], v[14:15], v[169:170]
	v_fma_f64 v[161:162], v[161:162], v[14:15], -v[16:17]
	scratch_load_b128 v[14:17], off, off offset:752
	s_wait_loadcnt_dscnt 0xa01
	v_mul_f64_e32 v[175:176], v[2:3], v[20:21]
	v_mul_f64_e32 v[20:21], v[4:5], v[20:21]
	s_wait_loadcnt_dscnt 0x900
	v_mul_f64_e32 v[169:170], v[42:43], v[24:25]
	v_mul_f64_e32 v[24:25], v[44:45], v[24:25]
	v_add_f64_e32 v[165:166], v[165:166], v[173:174]
	v_add_f64_e32 v[167:168], v[167:168], v[171:172]
	v_fma_f64 v[171:172], v[4:5], v[18:19], v[175:176]
	v_fma_f64 v[173:174], v[2:3], v[18:19], -v[20:21]
	ds_load_b128 v[2:5], v1 offset:1472
	scratch_load_b128 v[18:21], off, off offset:768
	v_fma_f64 v[44:45], v[44:45], v[22:23], v[169:170]
	v_fma_f64 v[42:43], v[42:43], v[22:23], -v[24:25]
	scratch_load_b128 v[22:25], off, off offset:784
	v_add_f64_e32 v[165:166], v[165:166], v[161:162]
	v_add_f64_e32 v[167:168], v[167:168], v[163:164]
	ds_load_b128 v[161:164], v1 offset:1488
	s_wait_loadcnt_dscnt 0xa01
	v_mul_f64_e32 v[175:176], v[2:3], v[28:29]
	v_mul_f64_e32 v[28:29], v[4:5], v[28:29]
	s_wait_loadcnt_dscnt 0x900
	v_mul_f64_e32 v[169:170], v[161:162], v[32:33]
	v_mul_f64_e32 v[32:33], v[163:164], v[32:33]
	v_add_f64_e32 v[165:166], v[165:166], v[173:174]
	v_add_f64_e32 v[167:168], v[167:168], v[171:172]
	v_fma_f64 v[171:172], v[4:5], v[26:27], v[175:176]
	v_fma_f64 v[173:174], v[2:3], v[26:27], -v[28:29]
	ds_load_b128 v[2:5], v1 offset:1504
	scratch_load_b128 v[26:29], off, off offset:800
	v_fma_f64 v[163:164], v[163:164], v[30:31], v[169:170]
	v_fma_f64 v[161:162], v[161:162], v[30:31], -v[32:33]
	scratch_load_b128 v[30:33], off, off offset:816
	v_add_f64_e32 v[165:166], v[165:166], v[42:43]
	v_add_f64_e32 v[167:168], v[167:168], v[44:45]
	ds_load_b128 v[42:45], v1 offset:1520
	s_wait_loadcnt_dscnt 0xa01
	v_mul_f64_e32 v[175:176], v[2:3], v[36:37]
	v_mul_f64_e32 v[36:37], v[4:5], v[36:37]
	s_wait_loadcnt_dscnt 0x800
	v_mul_f64_e32 v[169:170], v[42:43], v[159:160]
	v_add_f64_e32 v[165:166], v[165:166], v[173:174]
	v_add_f64_e32 v[167:168], v[167:168], v[171:172]
	v_mul_f64_e32 v[171:172], v[44:45], v[159:160]
	v_fma_f64 v[173:174], v[4:5], v[34:35], v[175:176]
	v_fma_f64 v[175:176], v[2:3], v[34:35], -v[36:37]
	ds_load_b128 v[2:5], v1 offset:1536
	scratch_load_b128 v[34:37], off, off offset:832
	v_fma_f64 v[44:45], v[44:45], v[157:158], v[169:170]
	v_add_f64_e32 v[165:166], v[165:166], v[161:162]
	v_add_f64_e32 v[163:164], v[167:168], v[163:164]
	ds_load_b128 v[159:162], v1 offset:1552
	v_fma_f64 v[157:158], v[42:43], v[157:158], -v[171:172]
	s_wait_loadcnt_dscnt 0x801
	v_mul_f64_e32 v[167:168], v[2:3], v[40:41]
	v_mul_f64_e32 v[177:178], v[4:5], v[40:41]
	scratch_load_b128 v[40:43], off, off offset:848
	s_wait_loadcnt_dscnt 0x800
	v_mul_f64_e32 v[169:170], v[159:160], v[8:9]
	v_mul_f64_e32 v[8:9], v[161:162], v[8:9]
	v_add_f64_e32 v[165:166], v[165:166], v[175:176]
	v_add_f64_e32 v[163:164], v[163:164], v[173:174]
	v_fma_f64 v[167:168], v[4:5], v[38:39], v[167:168]
	v_fma_f64 v[38:39], v[2:3], v[38:39], -v[177:178]
	v_fma_f64 v[161:162], v[161:162], v[6:7], v[169:170]
	v_fma_f64 v[6:7], v[159:160], v[6:7], -v[8:9]
	v_add_f64_e32 v[157:158], v[165:166], v[157:158]
	v_add_f64_e32 v[44:45], v[163:164], v[44:45]
	ds_load_b128 v[2:5], v1 offset:1568
	ds_load_b128 v[163:166], v1 offset:1584
	s_wait_loadcnt_dscnt 0x701
	v_mul_f64_e32 v[171:172], v[2:3], v[12:13]
	v_mul_f64_e32 v[12:13], v[4:5], v[12:13]
	v_add_f64_e32 v[8:9], v[157:158], v[38:39]
	v_add_f64_e32 v[38:39], v[44:45], v[167:168]
	s_wait_loadcnt_dscnt 0x600
	v_mul_f64_e32 v[44:45], v[163:164], v[16:17]
	v_mul_f64_e32 v[16:17], v[165:166], v[16:17]
	v_fma_f64 v[157:158], v[4:5], v[10:11], v[171:172]
	v_fma_f64 v[10:11], v[2:3], v[10:11], -v[12:13]
	v_add_f64_e32 v[12:13], v[8:9], v[6:7]
	v_add_f64_e32 v[38:39], v[38:39], v[161:162]
	ds_load_b128 v[2:5], v1 offset:1600
	ds_load_b128 v[6:9], v1 offset:1616
	v_fma_f64 v[44:45], v[165:166], v[14:15], v[44:45]
	v_fma_f64 v[14:15], v[163:164], v[14:15], -v[16:17]
	s_wait_loadcnt_dscnt 0x501
	v_mul_f64_e32 v[159:160], v[2:3], v[20:21]
	v_mul_f64_e32 v[20:21], v[4:5], v[20:21]
	s_wait_loadcnt_dscnt 0x400
	v_mul_f64_e32 v[16:17], v[6:7], v[24:25]
	v_mul_f64_e32 v[24:25], v[8:9], v[24:25]
	v_add_f64_e32 v[10:11], v[12:13], v[10:11]
	v_add_f64_e32 v[12:13], v[38:39], v[157:158]
	v_fma_f64 v[38:39], v[4:5], v[18:19], v[159:160]
	v_fma_f64 v[18:19], v[2:3], v[18:19], -v[20:21]
	v_fma_f64 v[8:9], v[8:9], v[22:23], v[16:17]
	v_fma_f64 v[6:7], v[6:7], v[22:23], -v[24:25]
	v_add_f64_e32 v[14:15], v[10:11], v[14:15]
	v_add_f64_e32 v[20:21], v[12:13], v[44:45]
	ds_load_b128 v[2:5], v1 offset:1632
	ds_load_b128 v[10:13], v1 offset:1648
	s_wait_loadcnt_dscnt 0x301
	v_mul_f64_e32 v[44:45], v[2:3], v[28:29]
	v_mul_f64_e32 v[28:29], v[4:5], v[28:29]
	v_add_f64_e32 v[14:15], v[14:15], v[18:19]
	v_add_f64_e32 v[16:17], v[20:21], v[38:39]
	s_wait_loadcnt_dscnt 0x200
	v_mul_f64_e32 v[18:19], v[10:11], v[32:33]
	v_mul_f64_e32 v[20:21], v[12:13], v[32:33]
	v_fma_f64 v[22:23], v[4:5], v[26:27], v[44:45]
	v_fma_f64 v[24:25], v[2:3], v[26:27], -v[28:29]
	v_add_f64_e32 v[14:15], v[14:15], v[6:7]
	v_add_f64_e32 v[16:17], v[16:17], v[8:9]
	ds_load_b128 v[2:5], v1 offset:1664
	ds_load_b128 v[6:9], v1 offset:1680
	v_fma_f64 v[12:13], v[12:13], v[30:31], v[18:19]
	v_fma_f64 v[10:11], v[10:11], v[30:31], -v[20:21]
	s_wait_loadcnt_dscnt 0x101
	v_mul_f64_e32 v[26:27], v[2:3], v[36:37]
	v_mul_f64_e32 v[28:29], v[4:5], v[36:37]
	s_wait_loadcnt_dscnt 0x0
	v_mul_f64_e32 v[18:19], v[6:7], v[42:43]
	v_add_f64_e32 v[14:15], v[14:15], v[24:25]
	v_add_f64_e32 v[16:17], v[16:17], v[22:23]
	v_mul_f64_e32 v[20:21], v[8:9], v[42:43]
	v_fma_f64 v[4:5], v[4:5], v[34:35], v[26:27]
	v_fma_f64 v[1:2], v[2:3], v[34:35], -v[28:29]
	v_fma_f64 v[8:9], v[8:9], v[40:41], v[18:19]
	v_add_f64_e32 v[10:11], v[14:15], v[10:11]
	v_add_f64_e32 v[12:13], v[16:17], v[12:13]
	v_fma_f64 v[6:7], v[6:7], v[40:41], -v[20:21]
	s_delay_alu instid0(VALU_DEP_3) | instskip(NEXT) | instid1(VALU_DEP_3)
	v_add_f64_e32 v[1:2], v[10:11], v[1:2]
	v_add_f64_e32 v[3:4], v[12:13], v[4:5]
	s_delay_alu instid0(VALU_DEP_2) | instskip(NEXT) | instid1(VALU_DEP_2)
	v_add_f64_e32 v[1:2], v[1:2], v[6:7]
	v_add_f64_e32 v[3:4], v[3:4], v[8:9]
	s_delay_alu instid0(VALU_DEP_2) | instskip(NEXT) | instid1(VALU_DEP_2)
	v_add_f64_e64 v[1:2], v[153:154], -v[1:2]
	v_add_f64_e64 v[3:4], v[155:156], -v[3:4]
	scratch_store_b128 off, v[1:4], off offset:528
	v_cmpx_lt_u32_e32 31, v0
	s_cbranch_execz .LBB52_269
; %bb.268:
	scratch_load_b128 v[1:4], off, s35
	v_mov_b32_e32 v5, 0
	s_delay_alu instid0(VALU_DEP_1)
	v_dual_mov_b32 v6, v5 :: v_dual_mov_b32 v7, v5
	v_mov_b32_e32 v8, v5
	scratch_store_b128 off, v[5:8], off offset:512
	s_wait_loadcnt 0x0
	ds_store_b128 v152, v[1:4]
.LBB52_269:
	s_wait_alu 0xfffe
	s_or_b32 exec_lo, exec_lo, s0
	s_wait_storecnt_dscnt 0x0
	s_barrier_signal -1
	s_barrier_wait -1
	global_inv scope:SCOPE_SE
	s_clause 0x7
	scratch_load_b128 v[2:5], off, off offset:528
	scratch_load_b128 v[6:9], off, off offset:544
	;; [unrolled: 1-line block ×8, first 2 shown]
	v_mov_b32_e32 v1, 0
	s_mov_b32 s0, exec_lo
	ds_load_b128 v[34:37], v1 offset:1360
	s_clause 0x1
	scratch_load_b128 v[38:41], off, off offset:656
	scratch_load_b128 v[42:45], off, off offset:512
	ds_load_b128 v[153:156], v1 offset:1376
	scratch_load_b128 v[157:160], off, off offset:672
	s_wait_loadcnt_dscnt 0xa01
	v_mul_f64_e32 v[161:162], v[36:37], v[4:5]
	v_mul_f64_e32 v[4:5], v[34:35], v[4:5]
	s_delay_alu instid0(VALU_DEP_2) | instskip(NEXT) | instid1(VALU_DEP_2)
	v_fma_f64 v[167:168], v[34:35], v[2:3], -v[161:162]
	v_fma_f64 v[169:170], v[36:37], v[2:3], v[4:5]
	ds_load_b128 v[2:5], v1 offset:1392
	s_wait_loadcnt_dscnt 0x901
	v_mul_f64_e32 v[165:166], v[153:154], v[8:9]
	v_mul_f64_e32 v[8:9], v[155:156], v[8:9]
	scratch_load_b128 v[34:37], off, off offset:688
	ds_load_b128 v[161:164], v1 offset:1408
	s_wait_loadcnt_dscnt 0x901
	v_mul_f64_e32 v[171:172], v[2:3], v[12:13]
	v_mul_f64_e32 v[12:13], v[4:5], v[12:13]
	v_fma_f64 v[155:156], v[155:156], v[6:7], v[165:166]
	v_fma_f64 v[153:154], v[153:154], v[6:7], -v[8:9]
	v_add_f64_e32 v[165:166], 0, v[167:168]
	v_add_f64_e32 v[167:168], 0, v[169:170]
	scratch_load_b128 v[6:9], off, off offset:704
	v_fma_f64 v[171:172], v[4:5], v[10:11], v[171:172]
	v_fma_f64 v[173:174], v[2:3], v[10:11], -v[12:13]
	ds_load_b128 v[2:5], v1 offset:1424
	s_wait_loadcnt_dscnt 0x901
	v_mul_f64_e32 v[169:170], v[161:162], v[16:17]
	v_mul_f64_e32 v[16:17], v[163:164], v[16:17]
	scratch_load_b128 v[10:13], off, off offset:720
	v_add_f64_e32 v[165:166], v[165:166], v[153:154]
	v_add_f64_e32 v[167:168], v[167:168], v[155:156]
	s_wait_loadcnt_dscnt 0x900
	v_mul_f64_e32 v[175:176], v[2:3], v[20:21]
	v_mul_f64_e32 v[20:21], v[4:5], v[20:21]
	ds_load_b128 v[153:156], v1 offset:1440
	v_fma_f64 v[163:164], v[163:164], v[14:15], v[169:170]
	v_fma_f64 v[161:162], v[161:162], v[14:15], -v[16:17]
	scratch_load_b128 v[14:17], off, off offset:736
	v_add_f64_e32 v[165:166], v[165:166], v[173:174]
	v_add_f64_e32 v[167:168], v[167:168], v[171:172]
	v_fma_f64 v[171:172], v[4:5], v[18:19], v[175:176]
	v_fma_f64 v[173:174], v[2:3], v[18:19], -v[20:21]
	ds_load_b128 v[2:5], v1 offset:1456
	s_wait_loadcnt_dscnt 0x901
	v_mul_f64_e32 v[169:170], v[153:154], v[24:25]
	v_mul_f64_e32 v[24:25], v[155:156], v[24:25]
	scratch_load_b128 v[18:21], off, off offset:752
	s_wait_loadcnt_dscnt 0x900
	v_mul_f64_e32 v[175:176], v[2:3], v[28:29]
	v_mul_f64_e32 v[28:29], v[4:5], v[28:29]
	v_add_f64_e32 v[165:166], v[165:166], v[161:162]
	v_add_f64_e32 v[167:168], v[167:168], v[163:164]
	ds_load_b128 v[161:164], v1 offset:1472
	v_fma_f64 v[155:156], v[155:156], v[22:23], v[169:170]
	v_fma_f64 v[153:154], v[153:154], v[22:23], -v[24:25]
	scratch_load_b128 v[22:25], off, off offset:768
	v_add_f64_e32 v[165:166], v[165:166], v[173:174]
	v_add_f64_e32 v[167:168], v[167:168], v[171:172]
	v_fma_f64 v[171:172], v[4:5], v[26:27], v[175:176]
	v_fma_f64 v[173:174], v[2:3], v[26:27], -v[28:29]
	ds_load_b128 v[2:5], v1 offset:1488
	s_wait_loadcnt_dscnt 0x901
	v_mul_f64_e32 v[169:170], v[161:162], v[32:33]
	v_mul_f64_e32 v[32:33], v[163:164], v[32:33]
	scratch_load_b128 v[26:29], off, off offset:784
	s_wait_loadcnt_dscnt 0x900
	v_mul_f64_e32 v[175:176], v[2:3], v[40:41]
	v_mul_f64_e32 v[40:41], v[4:5], v[40:41]
	v_add_f64_e32 v[165:166], v[165:166], v[153:154]
	v_add_f64_e32 v[167:168], v[167:168], v[155:156]
	ds_load_b128 v[153:156], v1 offset:1504
	v_fma_f64 v[163:164], v[163:164], v[30:31], v[169:170]
	v_fma_f64 v[161:162], v[161:162], v[30:31], -v[32:33]
	scratch_load_b128 v[30:33], off, off offset:800
	v_add_f64_e32 v[165:166], v[165:166], v[173:174]
	v_add_f64_e32 v[167:168], v[167:168], v[171:172]
	v_fma_f64 v[173:174], v[4:5], v[38:39], v[175:176]
	v_fma_f64 v[175:176], v[2:3], v[38:39], -v[40:41]
	ds_load_b128 v[2:5], v1 offset:1520
	s_wait_loadcnt_dscnt 0x801
	v_mul_f64_e32 v[169:170], v[153:154], v[159:160]
	v_mul_f64_e32 v[171:172], v[155:156], v[159:160]
	scratch_load_b128 v[38:41], off, off offset:816
	v_add_f64_e32 v[165:166], v[165:166], v[161:162]
	v_add_f64_e32 v[163:164], v[167:168], v[163:164]
	ds_load_b128 v[159:162], v1 offset:1536
	v_fma_f64 v[169:170], v[155:156], v[157:158], v[169:170]
	v_fma_f64 v[157:158], v[153:154], v[157:158], -v[171:172]
	scratch_load_b128 v[153:156], off, off offset:832
	s_wait_loadcnt_dscnt 0x901
	v_mul_f64_e32 v[167:168], v[2:3], v[36:37]
	v_mul_f64_e32 v[36:37], v[4:5], v[36:37]
	v_add_f64_e32 v[165:166], v[165:166], v[175:176]
	v_add_f64_e32 v[163:164], v[163:164], v[173:174]
	s_delay_alu instid0(VALU_DEP_4) | instskip(NEXT) | instid1(VALU_DEP_4)
	v_fma_f64 v[167:168], v[4:5], v[34:35], v[167:168]
	v_fma_f64 v[173:174], v[2:3], v[34:35], -v[36:37]
	ds_load_b128 v[2:5], v1 offset:1552
	s_wait_loadcnt_dscnt 0x801
	v_mul_f64_e32 v[171:172], v[159:160], v[8:9]
	v_mul_f64_e32 v[8:9], v[161:162], v[8:9]
	scratch_load_b128 v[34:37], off, off offset:848
	s_wait_loadcnt_dscnt 0x800
	v_mul_f64_e32 v[175:176], v[2:3], v[12:13]
	v_add_f64_e32 v[157:158], v[165:166], v[157:158]
	v_add_f64_e32 v[169:170], v[163:164], v[169:170]
	v_mul_f64_e32 v[12:13], v[4:5], v[12:13]
	ds_load_b128 v[163:166], v1 offset:1568
	v_fma_f64 v[161:162], v[161:162], v[6:7], v[171:172]
	v_fma_f64 v[6:7], v[159:160], v[6:7], -v[8:9]
	s_wait_loadcnt_dscnt 0x700
	v_mul_f64_e32 v[159:160], v[163:164], v[16:17]
	v_add_f64_e32 v[8:9], v[157:158], v[173:174]
	v_add_f64_e32 v[157:158], v[169:170], v[167:168]
	v_mul_f64_e32 v[16:17], v[165:166], v[16:17]
	v_fma_f64 v[167:168], v[4:5], v[10:11], v[175:176]
	v_fma_f64 v[10:11], v[2:3], v[10:11], -v[12:13]
	v_fma_f64 v[159:160], v[165:166], v[14:15], v[159:160]
	v_add_f64_e32 v[12:13], v[8:9], v[6:7]
	v_add_f64_e32 v[157:158], v[157:158], v[161:162]
	ds_load_b128 v[2:5], v1 offset:1584
	ds_load_b128 v[6:9], v1 offset:1600
	v_fma_f64 v[14:15], v[163:164], v[14:15], -v[16:17]
	s_wait_loadcnt_dscnt 0x601
	v_mul_f64_e32 v[161:162], v[2:3], v[20:21]
	v_mul_f64_e32 v[20:21], v[4:5], v[20:21]
	s_wait_loadcnt_dscnt 0x500
	v_mul_f64_e32 v[16:17], v[6:7], v[24:25]
	v_mul_f64_e32 v[24:25], v[8:9], v[24:25]
	v_add_f64_e32 v[10:11], v[12:13], v[10:11]
	v_add_f64_e32 v[12:13], v[157:158], v[167:168]
	v_fma_f64 v[157:158], v[4:5], v[18:19], v[161:162]
	v_fma_f64 v[18:19], v[2:3], v[18:19], -v[20:21]
	v_fma_f64 v[8:9], v[8:9], v[22:23], v[16:17]
	v_fma_f64 v[6:7], v[6:7], v[22:23], -v[24:25]
	v_add_f64_e32 v[14:15], v[10:11], v[14:15]
	v_add_f64_e32 v[20:21], v[12:13], v[159:160]
	ds_load_b128 v[2:5], v1 offset:1616
	ds_load_b128 v[10:13], v1 offset:1632
	s_wait_loadcnt_dscnt 0x401
	v_mul_f64_e32 v[159:160], v[2:3], v[28:29]
	v_mul_f64_e32 v[28:29], v[4:5], v[28:29]
	v_add_f64_e32 v[14:15], v[14:15], v[18:19]
	v_add_f64_e32 v[16:17], v[20:21], v[157:158]
	s_wait_loadcnt_dscnt 0x300
	v_mul_f64_e32 v[18:19], v[10:11], v[32:33]
	v_mul_f64_e32 v[20:21], v[12:13], v[32:33]
	v_fma_f64 v[22:23], v[4:5], v[26:27], v[159:160]
	v_fma_f64 v[24:25], v[2:3], v[26:27], -v[28:29]
	v_add_f64_e32 v[14:15], v[14:15], v[6:7]
	v_add_f64_e32 v[16:17], v[16:17], v[8:9]
	ds_load_b128 v[2:5], v1 offset:1648
	ds_load_b128 v[6:9], v1 offset:1664
	v_fma_f64 v[12:13], v[12:13], v[30:31], v[18:19]
	v_fma_f64 v[10:11], v[10:11], v[30:31], -v[20:21]
	s_wait_loadcnt_dscnt 0x201
	v_mul_f64_e32 v[26:27], v[2:3], v[40:41]
	v_mul_f64_e32 v[28:29], v[4:5], v[40:41]
	s_wait_loadcnt_dscnt 0x100
	v_mul_f64_e32 v[18:19], v[6:7], v[155:156]
	v_mul_f64_e32 v[20:21], v[8:9], v[155:156]
	v_add_f64_e32 v[14:15], v[14:15], v[24:25]
	v_add_f64_e32 v[16:17], v[16:17], v[22:23]
	v_fma_f64 v[22:23], v[4:5], v[38:39], v[26:27]
	v_fma_f64 v[24:25], v[2:3], v[38:39], -v[28:29]
	ds_load_b128 v[2:5], v1 offset:1680
	v_fma_f64 v[8:9], v[8:9], v[153:154], v[18:19]
	v_fma_f64 v[6:7], v[6:7], v[153:154], -v[20:21]
	v_add_f64_e32 v[10:11], v[14:15], v[10:11]
	v_add_f64_e32 v[12:13], v[16:17], v[12:13]
	s_wait_loadcnt_dscnt 0x0
	v_mul_f64_e32 v[14:15], v[2:3], v[36:37]
	v_mul_f64_e32 v[16:17], v[4:5], v[36:37]
	s_delay_alu instid0(VALU_DEP_4) | instskip(NEXT) | instid1(VALU_DEP_4)
	v_add_f64_e32 v[10:11], v[10:11], v[24:25]
	v_add_f64_e32 v[12:13], v[12:13], v[22:23]
	s_delay_alu instid0(VALU_DEP_4) | instskip(NEXT) | instid1(VALU_DEP_4)
	v_fma_f64 v[4:5], v[4:5], v[34:35], v[14:15]
	v_fma_f64 v[2:3], v[2:3], v[34:35], -v[16:17]
	s_delay_alu instid0(VALU_DEP_4) | instskip(NEXT) | instid1(VALU_DEP_4)
	v_add_f64_e32 v[6:7], v[10:11], v[6:7]
	v_add_f64_e32 v[8:9], v[12:13], v[8:9]
	s_delay_alu instid0(VALU_DEP_2) | instskip(NEXT) | instid1(VALU_DEP_2)
	v_add_f64_e32 v[2:3], v[6:7], v[2:3]
	v_add_f64_e32 v[4:5], v[8:9], v[4:5]
	s_delay_alu instid0(VALU_DEP_2) | instskip(NEXT) | instid1(VALU_DEP_2)
	v_add_f64_e64 v[2:3], v[42:43], -v[2:3]
	v_add_f64_e64 v[4:5], v[44:45], -v[4:5]
	scratch_store_b128 off, v[2:5], off offset:512
	v_cmpx_lt_u32_e32 30, v0
	s_cbranch_execz .LBB52_271
; %bb.270:
	scratch_load_b128 v[5:8], off, s36
	v_dual_mov_b32 v2, v1 :: v_dual_mov_b32 v3, v1
	v_mov_b32_e32 v4, v1
	scratch_store_b128 off, v[1:4], off offset:496
	s_wait_loadcnt 0x0
	ds_store_b128 v152, v[5:8]
.LBB52_271:
	s_wait_alu 0xfffe
	s_or_b32 exec_lo, exec_lo, s0
	s_wait_storecnt_dscnt 0x0
	s_barrier_signal -1
	s_barrier_wait -1
	global_inv scope:SCOPE_SE
	s_clause 0x8
	scratch_load_b128 v[2:5], off, off offset:512
	scratch_load_b128 v[6:9], off, off offset:528
	;; [unrolled: 1-line block ×9, first 2 shown]
	ds_load_b128 v[38:41], v1 offset:1344
	ds_load_b128 v[42:45], v1 offset:1360
	s_clause 0x1
	scratch_load_b128 v[153:156], off, off offset:496
	scratch_load_b128 v[157:160], off, off offset:656
	s_mov_b32 s0, exec_lo
	s_wait_loadcnt_dscnt 0xa01
	v_mul_f64_e32 v[161:162], v[40:41], v[4:5]
	v_mul_f64_e32 v[4:5], v[38:39], v[4:5]
	s_wait_loadcnt_dscnt 0x900
	v_mul_f64_e32 v[165:166], v[42:43], v[8:9]
	v_mul_f64_e32 v[8:9], v[44:45], v[8:9]
	s_delay_alu instid0(VALU_DEP_4) | instskip(NEXT) | instid1(VALU_DEP_4)
	v_fma_f64 v[167:168], v[38:39], v[2:3], -v[161:162]
	v_fma_f64 v[169:170], v[40:41], v[2:3], v[4:5]
	ds_load_b128 v[2:5], v1 offset:1376
	ds_load_b128 v[161:164], v1 offset:1392
	scratch_load_b128 v[38:41], off, off offset:672
	v_fma_f64 v[44:45], v[44:45], v[6:7], v[165:166]
	v_fma_f64 v[42:43], v[42:43], v[6:7], -v[8:9]
	scratch_load_b128 v[6:9], off, off offset:688
	s_wait_loadcnt_dscnt 0xa01
	v_mul_f64_e32 v[171:172], v[2:3], v[12:13]
	v_mul_f64_e32 v[12:13], v[4:5], v[12:13]
	v_add_f64_e32 v[165:166], 0, v[167:168]
	v_add_f64_e32 v[167:168], 0, v[169:170]
	s_wait_loadcnt_dscnt 0x900
	v_mul_f64_e32 v[169:170], v[161:162], v[16:17]
	v_mul_f64_e32 v[16:17], v[163:164], v[16:17]
	v_fma_f64 v[171:172], v[4:5], v[10:11], v[171:172]
	v_fma_f64 v[173:174], v[2:3], v[10:11], -v[12:13]
	ds_load_b128 v[2:5], v1 offset:1408
	scratch_load_b128 v[10:13], off, off offset:704
	v_add_f64_e32 v[165:166], v[165:166], v[42:43]
	v_add_f64_e32 v[167:168], v[167:168], v[44:45]
	ds_load_b128 v[42:45], v1 offset:1424
	v_fma_f64 v[163:164], v[163:164], v[14:15], v[169:170]
	v_fma_f64 v[161:162], v[161:162], v[14:15], -v[16:17]
	scratch_load_b128 v[14:17], off, off offset:720
	s_wait_loadcnt_dscnt 0xa01
	v_mul_f64_e32 v[175:176], v[2:3], v[20:21]
	v_mul_f64_e32 v[20:21], v[4:5], v[20:21]
	s_wait_loadcnt_dscnt 0x900
	v_mul_f64_e32 v[169:170], v[42:43], v[24:25]
	v_mul_f64_e32 v[24:25], v[44:45], v[24:25]
	v_add_f64_e32 v[165:166], v[165:166], v[173:174]
	v_add_f64_e32 v[167:168], v[167:168], v[171:172]
	v_fma_f64 v[171:172], v[4:5], v[18:19], v[175:176]
	v_fma_f64 v[173:174], v[2:3], v[18:19], -v[20:21]
	ds_load_b128 v[2:5], v1 offset:1440
	scratch_load_b128 v[18:21], off, off offset:736
	v_fma_f64 v[44:45], v[44:45], v[22:23], v[169:170]
	v_fma_f64 v[42:43], v[42:43], v[22:23], -v[24:25]
	scratch_load_b128 v[22:25], off, off offset:752
	v_add_f64_e32 v[165:166], v[165:166], v[161:162]
	v_add_f64_e32 v[167:168], v[167:168], v[163:164]
	ds_load_b128 v[161:164], v1 offset:1456
	s_wait_loadcnt_dscnt 0xa01
	v_mul_f64_e32 v[175:176], v[2:3], v[28:29]
	v_mul_f64_e32 v[28:29], v[4:5], v[28:29]
	s_wait_loadcnt_dscnt 0x900
	v_mul_f64_e32 v[169:170], v[161:162], v[32:33]
	v_mul_f64_e32 v[32:33], v[163:164], v[32:33]
	v_add_f64_e32 v[165:166], v[165:166], v[173:174]
	v_add_f64_e32 v[167:168], v[167:168], v[171:172]
	v_fma_f64 v[171:172], v[4:5], v[26:27], v[175:176]
	v_fma_f64 v[173:174], v[2:3], v[26:27], -v[28:29]
	ds_load_b128 v[2:5], v1 offset:1472
	scratch_load_b128 v[26:29], off, off offset:768
	v_fma_f64 v[163:164], v[163:164], v[30:31], v[169:170]
	v_fma_f64 v[161:162], v[161:162], v[30:31], -v[32:33]
	scratch_load_b128 v[30:33], off, off offset:784
	v_add_f64_e32 v[165:166], v[165:166], v[42:43]
	v_add_f64_e32 v[167:168], v[167:168], v[44:45]
	ds_load_b128 v[42:45], v1 offset:1488
	s_wait_loadcnt_dscnt 0xa01
	v_mul_f64_e32 v[175:176], v[2:3], v[36:37]
	v_mul_f64_e32 v[36:37], v[4:5], v[36:37]
	s_wait_loadcnt_dscnt 0x800
	v_mul_f64_e32 v[169:170], v[42:43], v[159:160]
	v_add_f64_e32 v[165:166], v[165:166], v[173:174]
	v_add_f64_e32 v[167:168], v[167:168], v[171:172]
	v_mul_f64_e32 v[171:172], v[44:45], v[159:160]
	v_fma_f64 v[173:174], v[4:5], v[34:35], v[175:176]
	v_fma_f64 v[175:176], v[2:3], v[34:35], -v[36:37]
	ds_load_b128 v[2:5], v1 offset:1504
	scratch_load_b128 v[34:37], off, off offset:800
	v_fma_f64 v[44:45], v[44:45], v[157:158], v[169:170]
	v_add_f64_e32 v[165:166], v[165:166], v[161:162]
	v_add_f64_e32 v[163:164], v[167:168], v[163:164]
	ds_load_b128 v[159:162], v1 offset:1520
	v_fma_f64 v[157:158], v[42:43], v[157:158], -v[171:172]
	s_wait_loadcnt_dscnt 0x801
	v_mul_f64_e32 v[167:168], v[2:3], v[40:41]
	v_mul_f64_e32 v[177:178], v[4:5], v[40:41]
	scratch_load_b128 v[40:43], off, off offset:816
	s_wait_loadcnt_dscnt 0x800
	v_mul_f64_e32 v[171:172], v[159:160], v[8:9]
	v_mul_f64_e32 v[8:9], v[161:162], v[8:9]
	v_add_f64_e32 v[165:166], v[165:166], v[175:176]
	v_add_f64_e32 v[163:164], v[163:164], v[173:174]
	v_fma_f64 v[173:174], v[4:5], v[38:39], v[167:168]
	v_fma_f64 v[38:39], v[2:3], v[38:39], -v[177:178]
	ds_load_b128 v[2:5], v1 offset:1536
	ds_load_b128 v[167:170], v1 offset:1552
	v_fma_f64 v[161:162], v[161:162], v[6:7], v[171:172]
	v_fma_f64 v[159:160], v[159:160], v[6:7], -v[8:9]
	scratch_load_b128 v[6:9], off, off offset:848
	v_add_f64_e32 v[157:158], v[165:166], v[157:158]
	v_add_f64_e32 v[44:45], v[163:164], v[44:45]
	scratch_load_b128 v[163:166], off, off offset:832
	s_wait_loadcnt_dscnt 0x901
	v_mul_f64_e32 v[175:176], v[2:3], v[12:13]
	v_mul_f64_e32 v[12:13], v[4:5], v[12:13]
	v_add_f64_e32 v[38:39], v[157:158], v[38:39]
	v_add_f64_e32 v[44:45], v[44:45], v[173:174]
	s_wait_loadcnt_dscnt 0x800
	v_mul_f64_e32 v[157:158], v[167:168], v[16:17]
	v_mul_f64_e32 v[16:17], v[169:170], v[16:17]
	v_fma_f64 v[171:172], v[4:5], v[10:11], v[175:176]
	v_fma_f64 v[173:174], v[2:3], v[10:11], -v[12:13]
	ds_load_b128 v[2:5], v1 offset:1568
	ds_load_b128 v[10:13], v1 offset:1584
	v_add_f64_e32 v[38:39], v[38:39], v[159:160]
	v_add_f64_e32 v[44:45], v[44:45], v[161:162]
	s_wait_loadcnt_dscnt 0x701
	v_mul_f64_e32 v[159:160], v[2:3], v[20:21]
	v_mul_f64_e32 v[20:21], v[4:5], v[20:21]
	v_fma_f64 v[157:158], v[169:170], v[14:15], v[157:158]
	v_fma_f64 v[14:15], v[167:168], v[14:15], -v[16:17]
	v_add_f64_e32 v[16:17], v[38:39], v[173:174]
	v_add_f64_e32 v[38:39], v[44:45], v[171:172]
	s_wait_loadcnt_dscnt 0x600
	v_mul_f64_e32 v[44:45], v[10:11], v[24:25]
	v_mul_f64_e32 v[24:25], v[12:13], v[24:25]
	v_fma_f64 v[159:160], v[4:5], v[18:19], v[159:160]
	v_fma_f64 v[18:19], v[2:3], v[18:19], -v[20:21]
	v_add_f64_e32 v[20:21], v[16:17], v[14:15]
	v_add_f64_e32 v[38:39], v[38:39], v[157:158]
	ds_load_b128 v[2:5], v1 offset:1600
	ds_load_b128 v[14:17], v1 offset:1616
	v_fma_f64 v[12:13], v[12:13], v[22:23], v[44:45]
	v_fma_f64 v[10:11], v[10:11], v[22:23], -v[24:25]
	s_wait_loadcnt_dscnt 0x501
	v_mul_f64_e32 v[157:158], v[2:3], v[28:29]
	v_mul_f64_e32 v[28:29], v[4:5], v[28:29]
	s_wait_loadcnt_dscnt 0x400
	v_mul_f64_e32 v[22:23], v[14:15], v[32:33]
	v_mul_f64_e32 v[24:25], v[16:17], v[32:33]
	v_add_f64_e32 v[18:19], v[20:21], v[18:19]
	v_add_f64_e32 v[20:21], v[38:39], v[159:160]
	v_fma_f64 v[32:33], v[4:5], v[26:27], v[157:158]
	v_fma_f64 v[26:27], v[2:3], v[26:27], -v[28:29]
	v_fma_f64 v[16:17], v[16:17], v[30:31], v[22:23]
	v_fma_f64 v[14:15], v[14:15], v[30:31], -v[24:25]
	v_add_f64_e32 v[18:19], v[18:19], v[10:11]
	v_add_f64_e32 v[20:21], v[20:21], v[12:13]
	ds_load_b128 v[2:5], v1 offset:1632
	ds_load_b128 v[10:13], v1 offset:1648
	s_wait_loadcnt_dscnt 0x301
	v_mul_f64_e32 v[28:29], v[2:3], v[36:37]
	v_mul_f64_e32 v[36:37], v[4:5], v[36:37]
	s_wait_loadcnt_dscnt 0x200
	v_mul_f64_e32 v[22:23], v[10:11], v[42:43]
	v_add_f64_e32 v[18:19], v[18:19], v[26:27]
	v_add_f64_e32 v[20:21], v[20:21], v[32:33]
	v_mul_f64_e32 v[24:25], v[12:13], v[42:43]
	v_fma_f64 v[26:27], v[4:5], v[34:35], v[28:29]
	v_fma_f64 v[28:29], v[2:3], v[34:35], -v[36:37]
	v_fma_f64 v[12:13], v[12:13], v[40:41], v[22:23]
	v_add_f64_e32 v[18:19], v[18:19], v[14:15]
	v_add_f64_e32 v[20:21], v[20:21], v[16:17]
	ds_load_b128 v[2:5], v1 offset:1664
	ds_load_b128 v[14:17], v1 offset:1680
	v_fma_f64 v[10:11], v[10:11], v[40:41], -v[24:25]
	s_wait_loadcnt_dscnt 0x1
	v_mul_f64_e32 v[30:31], v[2:3], v[165:166]
	v_mul_f64_e32 v[32:33], v[4:5], v[165:166]
	s_wait_dscnt 0x0
	v_mul_f64_e32 v[22:23], v[14:15], v[8:9]
	v_mul_f64_e32 v[8:9], v[16:17], v[8:9]
	v_add_f64_e32 v[18:19], v[18:19], v[28:29]
	v_add_f64_e32 v[20:21], v[20:21], v[26:27]
	v_fma_f64 v[4:5], v[4:5], v[163:164], v[30:31]
	v_fma_f64 v[1:2], v[2:3], v[163:164], -v[32:33]
	v_fma_f64 v[16:17], v[16:17], v[6:7], v[22:23]
	v_fma_f64 v[6:7], v[14:15], v[6:7], -v[8:9]
	v_add_f64_e32 v[10:11], v[18:19], v[10:11]
	v_add_f64_e32 v[12:13], v[20:21], v[12:13]
	s_delay_alu instid0(VALU_DEP_2) | instskip(NEXT) | instid1(VALU_DEP_2)
	v_add_f64_e32 v[1:2], v[10:11], v[1:2]
	v_add_f64_e32 v[3:4], v[12:13], v[4:5]
	s_delay_alu instid0(VALU_DEP_2) | instskip(NEXT) | instid1(VALU_DEP_2)
	;; [unrolled: 3-line block ×3, first 2 shown]
	v_add_f64_e64 v[1:2], v[153:154], -v[1:2]
	v_add_f64_e64 v[3:4], v[155:156], -v[3:4]
	scratch_store_b128 off, v[1:4], off offset:496
	v_cmpx_lt_u32_e32 29, v0
	s_cbranch_execz .LBB52_273
; %bb.272:
	scratch_load_b128 v[1:4], off, s37
	v_mov_b32_e32 v5, 0
	s_delay_alu instid0(VALU_DEP_1)
	v_dual_mov_b32 v6, v5 :: v_dual_mov_b32 v7, v5
	v_mov_b32_e32 v8, v5
	scratch_store_b128 off, v[5:8], off offset:480
	s_wait_loadcnt 0x0
	ds_store_b128 v152, v[1:4]
.LBB52_273:
	s_wait_alu 0xfffe
	s_or_b32 exec_lo, exec_lo, s0
	s_wait_storecnt_dscnt 0x0
	s_barrier_signal -1
	s_barrier_wait -1
	global_inv scope:SCOPE_SE
	s_clause 0x7
	scratch_load_b128 v[2:5], off, off offset:496
	scratch_load_b128 v[6:9], off, off offset:512
	;; [unrolled: 1-line block ×8, first 2 shown]
	v_mov_b32_e32 v1, 0
	s_mov_b32 s0, exec_lo
	ds_load_b128 v[34:37], v1 offset:1328
	s_clause 0x1
	scratch_load_b128 v[38:41], off, off offset:624
	scratch_load_b128 v[42:45], off, off offset:480
	ds_load_b128 v[153:156], v1 offset:1344
	scratch_load_b128 v[157:160], off, off offset:640
	s_wait_loadcnt_dscnt 0xa01
	v_mul_f64_e32 v[161:162], v[36:37], v[4:5]
	v_mul_f64_e32 v[4:5], v[34:35], v[4:5]
	s_delay_alu instid0(VALU_DEP_2) | instskip(NEXT) | instid1(VALU_DEP_2)
	v_fma_f64 v[167:168], v[34:35], v[2:3], -v[161:162]
	v_fma_f64 v[169:170], v[36:37], v[2:3], v[4:5]
	ds_load_b128 v[2:5], v1 offset:1360
	s_wait_loadcnt_dscnt 0x901
	v_mul_f64_e32 v[165:166], v[153:154], v[8:9]
	v_mul_f64_e32 v[8:9], v[155:156], v[8:9]
	scratch_load_b128 v[34:37], off, off offset:656
	ds_load_b128 v[161:164], v1 offset:1376
	s_wait_loadcnt_dscnt 0x901
	v_mul_f64_e32 v[171:172], v[2:3], v[12:13]
	v_mul_f64_e32 v[12:13], v[4:5], v[12:13]
	v_fma_f64 v[155:156], v[155:156], v[6:7], v[165:166]
	v_fma_f64 v[153:154], v[153:154], v[6:7], -v[8:9]
	v_add_f64_e32 v[165:166], 0, v[167:168]
	v_add_f64_e32 v[167:168], 0, v[169:170]
	scratch_load_b128 v[6:9], off, off offset:672
	v_fma_f64 v[171:172], v[4:5], v[10:11], v[171:172]
	v_fma_f64 v[173:174], v[2:3], v[10:11], -v[12:13]
	ds_load_b128 v[2:5], v1 offset:1392
	s_wait_loadcnt_dscnt 0x901
	v_mul_f64_e32 v[169:170], v[161:162], v[16:17]
	v_mul_f64_e32 v[16:17], v[163:164], v[16:17]
	scratch_load_b128 v[10:13], off, off offset:688
	v_add_f64_e32 v[165:166], v[165:166], v[153:154]
	v_add_f64_e32 v[167:168], v[167:168], v[155:156]
	s_wait_loadcnt_dscnt 0x900
	v_mul_f64_e32 v[175:176], v[2:3], v[20:21]
	v_mul_f64_e32 v[20:21], v[4:5], v[20:21]
	ds_load_b128 v[153:156], v1 offset:1408
	v_fma_f64 v[163:164], v[163:164], v[14:15], v[169:170]
	v_fma_f64 v[161:162], v[161:162], v[14:15], -v[16:17]
	scratch_load_b128 v[14:17], off, off offset:704
	v_add_f64_e32 v[165:166], v[165:166], v[173:174]
	v_add_f64_e32 v[167:168], v[167:168], v[171:172]
	v_fma_f64 v[171:172], v[4:5], v[18:19], v[175:176]
	v_fma_f64 v[173:174], v[2:3], v[18:19], -v[20:21]
	ds_load_b128 v[2:5], v1 offset:1424
	s_wait_loadcnt_dscnt 0x901
	v_mul_f64_e32 v[169:170], v[153:154], v[24:25]
	v_mul_f64_e32 v[24:25], v[155:156], v[24:25]
	scratch_load_b128 v[18:21], off, off offset:720
	s_wait_loadcnt_dscnt 0x900
	v_mul_f64_e32 v[175:176], v[2:3], v[28:29]
	v_mul_f64_e32 v[28:29], v[4:5], v[28:29]
	v_add_f64_e32 v[165:166], v[165:166], v[161:162]
	v_add_f64_e32 v[167:168], v[167:168], v[163:164]
	ds_load_b128 v[161:164], v1 offset:1440
	v_fma_f64 v[155:156], v[155:156], v[22:23], v[169:170]
	v_fma_f64 v[153:154], v[153:154], v[22:23], -v[24:25]
	scratch_load_b128 v[22:25], off, off offset:736
	v_add_f64_e32 v[165:166], v[165:166], v[173:174]
	v_add_f64_e32 v[167:168], v[167:168], v[171:172]
	v_fma_f64 v[171:172], v[4:5], v[26:27], v[175:176]
	v_fma_f64 v[173:174], v[2:3], v[26:27], -v[28:29]
	ds_load_b128 v[2:5], v1 offset:1456
	s_wait_loadcnt_dscnt 0x901
	v_mul_f64_e32 v[169:170], v[161:162], v[32:33]
	v_mul_f64_e32 v[32:33], v[163:164], v[32:33]
	scratch_load_b128 v[26:29], off, off offset:752
	s_wait_loadcnt_dscnt 0x900
	v_mul_f64_e32 v[175:176], v[2:3], v[40:41]
	v_mul_f64_e32 v[40:41], v[4:5], v[40:41]
	v_add_f64_e32 v[165:166], v[165:166], v[153:154]
	v_add_f64_e32 v[167:168], v[167:168], v[155:156]
	ds_load_b128 v[153:156], v1 offset:1472
	v_fma_f64 v[163:164], v[163:164], v[30:31], v[169:170]
	v_fma_f64 v[161:162], v[161:162], v[30:31], -v[32:33]
	scratch_load_b128 v[30:33], off, off offset:768
	v_add_f64_e32 v[165:166], v[165:166], v[173:174]
	v_add_f64_e32 v[167:168], v[167:168], v[171:172]
	v_fma_f64 v[173:174], v[4:5], v[38:39], v[175:176]
	v_fma_f64 v[175:176], v[2:3], v[38:39], -v[40:41]
	ds_load_b128 v[2:5], v1 offset:1488
	s_wait_loadcnt_dscnt 0x801
	v_mul_f64_e32 v[169:170], v[153:154], v[159:160]
	v_mul_f64_e32 v[171:172], v[155:156], v[159:160]
	scratch_load_b128 v[38:41], off, off offset:784
	v_add_f64_e32 v[165:166], v[165:166], v[161:162]
	v_add_f64_e32 v[163:164], v[167:168], v[163:164]
	ds_load_b128 v[159:162], v1 offset:1504
	v_fma_f64 v[169:170], v[155:156], v[157:158], v[169:170]
	v_fma_f64 v[157:158], v[153:154], v[157:158], -v[171:172]
	scratch_load_b128 v[153:156], off, off offset:800
	s_wait_loadcnt_dscnt 0x901
	v_mul_f64_e32 v[167:168], v[2:3], v[36:37]
	v_mul_f64_e32 v[36:37], v[4:5], v[36:37]
	v_add_f64_e32 v[165:166], v[165:166], v[175:176]
	v_add_f64_e32 v[163:164], v[163:164], v[173:174]
	s_delay_alu instid0(VALU_DEP_4) | instskip(NEXT) | instid1(VALU_DEP_4)
	v_fma_f64 v[167:168], v[4:5], v[34:35], v[167:168]
	v_fma_f64 v[173:174], v[2:3], v[34:35], -v[36:37]
	ds_load_b128 v[2:5], v1 offset:1520
	s_wait_loadcnt_dscnt 0x801
	v_mul_f64_e32 v[171:172], v[159:160], v[8:9]
	v_mul_f64_e32 v[8:9], v[161:162], v[8:9]
	scratch_load_b128 v[34:37], off, off offset:816
	s_wait_loadcnt_dscnt 0x800
	v_mul_f64_e32 v[175:176], v[2:3], v[12:13]
	v_add_f64_e32 v[157:158], v[165:166], v[157:158]
	v_add_f64_e32 v[169:170], v[163:164], v[169:170]
	v_mul_f64_e32 v[12:13], v[4:5], v[12:13]
	ds_load_b128 v[163:166], v1 offset:1536
	v_fma_f64 v[161:162], v[161:162], v[6:7], v[171:172]
	v_fma_f64 v[159:160], v[159:160], v[6:7], -v[8:9]
	scratch_load_b128 v[6:9], off, off offset:832
	v_fma_f64 v[171:172], v[4:5], v[10:11], v[175:176]
	v_add_f64_e32 v[157:158], v[157:158], v[173:174]
	v_add_f64_e32 v[167:168], v[169:170], v[167:168]
	v_fma_f64 v[173:174], v[2:3], v[10:11], -v[12:13]
	ds_load_b128 v[2:5], v1 offset:1552
	s_wait_loadcnt_dscnt 0x801
	v_mul_f64_e32 v[169:170], v[163:164], v[16:17]
	v_mul_f64_e32 v[16:17], v[165:166], v[16:17]
	scratch_load_b128 v[10:13], off, off offset:848
	v_add_f64_e32 v[175:176], v[157:158], v[159:160]
	v_add_f64_e32 v[161:162], v[167:168], v[161:162]
	s_wait_loadcnt_dscnt 0x800
	v_mul_f64_e32 v[167:168], v[2:3], v[20:21]
	v_mul_f64_e32 v[20:21], v[4:5], v[20:21]
	v_fma_f64 v[165:166], v[165:166], v[14:15], v[169:170]
	v_fma_f64 v[14:15], v[163:164], v[14:15], -v[16:17]
	ds_load_b128 v[157:160], v1 offset:1568
	s_wait_loadcnt_dscnt 0x700
	v_mul_f64_e32 v[163:164], v[157:158], v[24:25]
	v_mul_f64_e32 v[24:25], v[159:160], v[24:25]
	v_add_f64_e32 v[16:17], v[175:176], v[173:174]
	v_add_f64_e32 v[161:162], v[161:162], v[171:172]
	v_fma_f64 v[167:168], v[4:5], v[18:19], v[167:168]
	v_fma_f64 v[18:19], v[2:3], v[18:19], -v[20:21]
	v_fma_f64 v[159:160], v[159:160], v[22:23], v[163:164]
	v_fma_f64 v[22:23], v[157:158], v[22:23], -v[24:25]
	v_add_f64_e32 v[20:21], v[16:17], v[14:15]
	v_add_f64_e32 v[161:162], v[161:162], v[165:166]
	ds_load_b128 v[2:5], v1 offset:1584
	ds_load_b128 v[14:17], v1 offset:1600
	s_wait_loadcnt_dscnt 0x601
	v_mul_f64_e32 v[165:166], v[2:3], v[28:29]
	v_mul_f64_e32 v[28:29], v[4:5], v[28:29]
	s_wait_loadcnt_dscnt 0x500
	v_mul_f64_e32 v[24:25], v[14:15], v[32:33]
	v_mul_f64_e32 v[32:33], v[16:17], v[32:33]
	v_add_f64_e32 v[18:19], v[20:21], v[18:19]
	v_add_f64_e32 v[20:21], v[161:162], v[167:168]
	v_fma_f64 v[157:158], v[4:5], v[26:27], v[165:166]
	v_fma_f64 v[26:27], v[2:3], v[26:27], -v[28:29]
	v_fma_f64 v[16:17], v[16:17], v[30:31], v[24:25]
	v_fma_f64 v[14:15], v[14:15], v[30:31], -v[32:33]
	v_add_f64_e32 v[22:23], v[18:19], v[22:23]
	v_add_f64_e32 v[28:29], v[20:21], v[159:160]
	ds_load_b128 v[2:5], v1 offset:1616
	ds_load_b128 v[18:21], v1 offset:1632
	s_wait_loadcnt_dscnt 0x401
	v_mul_f64_e32 v[159:160], v[2:3], v[40:41]
	v_mul_f64_e32 v[40:41], v[4:5], v[40:41]
	v_add_f64_e32 v[22:23], v[22:23], v[26:27]
	v_add_f64_e32 v[24:25], v[28:29], v[157:158]
	s_wait_loadcnt_dscnt 0x300
	v_mul_f64_e32 v[26:27], v[18:19], v[155:156]
	v_mul_f64_e32 v[28:29], v[20:21], v[155:156]
	v_fma_f64 v[30:31], v[4:5], v[38:39], v[159:160]
	v_fma_f64 v[32:33], v[2:3], v[38:39], -v[40:41]
	v_add_f64_e32 v[22:23], v[22:23], v[14:15]
	v_add_f64_e32 v[24:25], v[24:25], v[16:17]
	ds_load_b128 v[2:5], v1 offset:1648
	ds_load_b128 v[14:17], v1 offset:1664
	v_fma_f64 v[20:21], v[20:21], v[153:154], v[26:27]
	v_fma_f64 v[18:19], v[18:19], v[153:154], -v[28:29]
	s_wait_loadcnt_dscnt 0x201
	v_mul_f64_e32 v[38:39], v[2:3], v[36:37]
	v_mul_f64_e32 v[36:37], v[4:5], v[36:37]
	s_wait_loadcnt_dscnt 0x100
	v_mul_f64_e32 v[26:27], v[14:15], v[8:9]
	v_mul_f64_e32 v[8:9], v[16:17], v[8:9]
	v_add_f64_e32 v[22:23], v[22:23], v[32:33]
	v_add_f64_e32 v[24:25], v[24:25], v[30:31]
	v_fma_f64 v[28:29], v[4:5], v[34:35], v[38:39]
	v_fma_f64 v[30:31], v[2:3], v[34:35], -v[36:37]
	ds_load_b128 v[2:5], v1 offset:1680
	v_fma_f64 v[16:17], v[16:17], v[6:7], v[26:27]
	v_fma_f64 v[6:7], v[14:15], v[6:7], -v[8:9]
	v_add_f64_e32 v[18:19], v[22:23], v[18:19]
	v_add_f64_e32 v[20:21], v[24:25], v[20:21]
	s_wait_loadcnt_dscnt 0x0
	v_mul_f64_e32 v[22:23], v[2:3], v[12:13]
	v_mul_f64_e32 v[12:13], v[4:5], v[12:13]
	s_delay_alu instid0(VALU_DEP_4) | instskip(NEXT) | instid1(VALU_DEP_4)
	v_add_f64_e32 v[8:9], v[18:19], v[30:31]
	v_add_f64_e32 v[14:15], v[20:21], v[28:29]
	s_delay_alu instid0(VALU_DEP_4) | instskip(NEXT) | instid1(VALU_DEP_4)
	v_fma_f64 v[4:5], v[4:5], v[10:11], v[22:23]
	v_fma_f64 v[2:3], v[2:3], v[10:11], -v[12:13]
	s_delay_alu instid0(VALU_DEP_4) | instskip(NEXT) | instid1(VALU_DEP_4)
	v_add_f64_e32 v[6:7], v[8:9], v[6:7]
	v_add_f64_e32 v[8:9], v[14:15], v[16:17]
	s_delay_alu instid0(VALU_DEP_2) | instskip(NEXT) | instid1(VALU_DEP_2)
	v_add_f64_e32 v[2:3], v[6:7], v[2:3]
	v_add_f64_e32 v[4:5], v[8:9], v[4:5]
	s_delay_alu instid0(VALU_DEP_2) | instskip(NEXT) | instid1(VALU_DEP_2)
	v_add_f64_e64 v[2:3], v[42:43], -v[2:3]
	v_add_f64_e64 v[4:5], v[44:45], -v[4:5]
	scratch_store_b128 off, v[2:5], off offset:480
	v_cmpx_lt_u32_e32 28, v0
	s_cbranch_execz .LBB52_275
; %bb.274:
	scratch_load_b128 v[5:8], off, s38
	v_dual_mov_b32 v2, v1 :: v_dual_mov_b32 v3, v1
	v_mov_b32_e32 v4, v1
	scratch_store_b128 off, v[1:4], off offset:464
	s_wait_loadcnt 0x0
	ds_store_b128 v152, v[5:8]
.LBB52_275:
	s_wait_alu 0xfffe
	s_or_b32 exec_lo, exec_lo, s0
	s_wait_storecnt_dscnt 0x0
	s_barrier_signal -1
	s_barrier_wait -1
	global_inv scope:SCOPE_SE
	s_clause 0x8
	scratch_load_b128 v[2:5], off, off offset:480
	scratch_load_b128 v[6:9], off, off offset:496
	;; [unrolled: 1-line block ×9, first 2 shown]
	ds_load_b128 v[38:41], v1 offset:1312
	ds_load_b128 v[42:45], v1 offset:1328
	s_clause 0x1
	scratch_load_b128 v[153:156], off, off offset:464
	scratch_load_b128 v[157:160], off, off offset:624
	s_mov_b32 s0, exec_lo
	s_wait_loadcnt_dscnt 0xa01
	v_mul_f64_e32 v[161:162], v[40:41], v[4:5]
	v_mul_f64_e32 v[4:5], v[38:39], v[4:5]
	s_wait_loadcnt_dscnt 0x900
	v_mul_f64_e32 v[165:166], v[42:43], v[8:9]
	v_mul_f64_e32 v[8:9], v[44:45], v[8:9]
	s_delay_alu instid0(VALU_DEP_4) | instskip(NEXT) | instid1(VALU_DEP_4)
	v_fma_f64 v[167:168], v[38:39], v[2:3], -v[161:162]
	v_fma_f64 v[169:170], v[40:41], v[2:3], v[4:5]
	ds_load_b128 v[2:5], v1 offset:1344
	ds_load_b128 v[161:164], v1 offset:1360
	scratch_load_b128 v[38:41], off, off offset:640
	v_fma_f64 v[44:45], v[44:45], v[6:7], v[165:166]
	v_fma_f64 v[42:43], v[42:43], v[6:7], -v[8:9]
	scratch_load_b128 v[6:9], off, off offset:656
	s_wait_loadcnt_dscnt 0xa01
	v_mul_f64_e32 v[171:172], v[2:3], v[12:13]
	v_mul_f64_e32 v[12:13], v[4:5], v[12:13]
	v_add_f64_e32 v[165:166], 0, v[167:168]
	v_add_f64_e32 v[167:168], 0, v[169:170]
	s_wait_loadcnt_dscnt 0x900
	v_mul_f64_e32 v[169:170], v[161:162], v[16:17]
	v_mul_f64_e32 v[16:17], v[163:164], v[16:17]
	v_fma_f64 v[171:172], v[4:5], v[10:11], v[171:172]
	v_fma_f64 v[173:174], v[2:3], v[10:11], -v[12:13]
	ds_load_b128 v[2:5], v1 offset:1376
	scratch_load_b128 v[10:13], off, off offset:672
	v_add_f64_e32 v[165:166], v[165:166], v[42:43]
	v_add_f64_e32 v[167:168], v[167:168], v[44:45]
	ds_load_b128 v[42:45], v1 offset:1392
	v_fma_f64 v[163:164], v[163:164], v[14:15], v[169:170]
	v_fma_f64 v[161:162], v[161:162], v[14:15], -v[16:17]
	scratch_load_b128 v[14:17], off, off offset:688
	s_wait_loadcnt_dscnt 0xa01
	v_mul_f64_e32 v[175:176], v[2:3], v[20:21]
	v_mul_f64_e32 v[20:21], v[4:5], v[20:21]
	s_wait_loadcnt_dscnt 0x900
	v_mul_f64_e32 v[169:170], v[42:43], v[24:25]
	v_mul_f64_e32 v[24:25], v[44:45], v[24:25]
	v_add_f64_e32 v[165:166], v[165:166], v[173:174]
	v_add_f64_e32 v[167:168], v[167:168], v[171:172]
	v_fma_f64 v[171:172], v[4:5], v[18:19], v[175:176]
	v_fma_f64 v[173:174], v[2:3], v[18:19], -v[20:21]
	ds_load_b128 v[2:5], v1 offset:1408
	scratch_load_b128 v[18:21], off, off offset:704
	v_fma_f64 v[44:45], v[44:45], v[22:23], v[169:170]
	v_fma_f64 v[42:43], v[42:43], v[22:23], -v[24:25]
	scratch_load_b128 v[22:25], off, off offset:720
	v_add_f64_e32 v[165:166], v[165:166], v[161:162]
	v_add_f64_e32 v[167:168], v[167:168], v[163:164]
	ds_load_b128 v[161:164], v1 offset:1424
	s_wait_loadcnt_dscnt 0xa01
	v_mul_f64_e32 v[175:176], v[2:3], v[28:29]
	v_mul_f64_e32 v[28:29], v[4:5], v[28:29]
	s_wait_loadcnt_dscnt 0x900
	v_mul_f64_e32 v[169:170], v[161:162], v[32:33]
	v_mul_f64_e32 v[32:33], v[163:164], v[32:33]
	v_add_f64_e32 v[165:166], v[165:166], v[173:174]
	v_add_f64_e32 v[167:168], v[167:168], v[171:172]
	v_fma_f64 v[171:172], v[4:5], v[26:27], v[175:176]
	v_fma_f64 v[173:174], v[2:3], v[26:27], -v[28:29]
	ds_load_b128 v[2:5], v1 offset:1440
	scratch_load_b128 v[26:29], off, off offset:736
	v_fma_f64 v[163:164], v[163:164], v[30:31], v[169:170]
	v_fma_f64 v[161:162], v[161:162], v[30:31], -v[32:33]
	scratch_load_b128 v[30:33], off, off offset:752
	v_add_f64_e32 v[165:166], v[165:166], v[42:43]
	v_add_f64_e32 v[167:168], v[167:168], v[44:45]
	ds_load_b128 v[42:45], v1 offset:1456
	s_wait_loadcnt_dscnt 0xa01
	v_mul_f64_e32 v[175:176], v[2:3], v[36:37]
	v_mul_f64_e32 v[36:37], v[4:5], v[36:37]
	s_wait_loadcnt_dscnt 0x800
	v_mul_f64_e32 v[169:170], v[42:43], v[159:160]
	v_add_f64_e32 v[165:166], v[165:166], v[173:174]
	v_add_f64_e32 v[167:168], v[167:168], v[171:172]
	v_mul_f64_e32 v[171:172], v[44:45], v[159:160]
	v_fma_f64 v[173:174], v[4:5], v[34:35], v[175:176]
	v_fma_f64 v[175:176], v[2:3], v[34:35], -v[36:37]
	ds_load_b128 v[2:5], v1 offset:1472
	scratch_load_b128 v[34:37], off, off offset:768
	v_fma_f64 v[44:45], v[44:45], v[157:158], v[169:170]
	v_add_f64_e32 v[165:166], v[165:166], v[161:162]
	v_add_f64_e32 v[163:164], v[167:168], v[163:164]
	ds_load_b128 v[159:162], v1 offset:1488
	v_fma_f64 v[157:158], v[42:43], v[157:158], -v[171:172]
	s_wait_loadcnt_dscnt 0x801
	v_mul_f64_e32 v[167:168], v[2:3], v[40:41]
	v_mul_f64_e32 v[177:178], v[4:5], v[40:41]
	scratch_load_b128 v[40:43], off, off offset:784
	s_wait_loadcnt_dscnt 0x800
	v_mul_f64_e32 v[171:172], v[159:160], v[8:9]
	v_mul_f64_e32 v[8:9], v[161:162], v[8:9]
	v_add_f64_e32 v[165:166], v[165:166], v[175:176]
	v_add_f64_e32 v[163:164], v[163:164], v[173:174]
	v_fma_f64 v[173:174], v[4:5], v[38:39], v[167:168]
	v_fma_f64 v[38:39], v[2:3], v[38:39], -v[177:178]
	ds_load_b128 v[2:5], v1 offset:1504
	ds_load_b128 v[167:170], v1 offset:1520
	v_fma_f64 v[161:162], v[161:162], v[6:7], v[171:172]
	v_fma_f64 v[159:160], v[159:160], v[6:7], -v[8:9]
	scratch_load_b128 v[6:9], off, off offset:816
	v_add_f64_e32 v[157:158], v[165:166], v[157:158]
	v_add_f64_e32 v[44:45], v[163:164], v[44:45]
	scratch_load_b128 v[163:166], off, off offset:800
	s_wait_loadcnt_dscnt 0x901
	v_mul_f64_e32 v[175:176], v[2:3], v[12:13]
	v_mul_f64_e32 v[12:13], v[4:5], v[12:13]
	s_wait_loadcnt_dscnt 0x800
	v_mul_f64_e32 v[171:172], v[167:168], v[16:17]
	v_mul_f64_e32 v[16:17], v[169:170], v[16:17]
	v_add_f64_e32 v[38:39], v[157:158], v[38:39]
	v_add_f64_e32 v[44:45], v[44:45], v[173:174]
	v_fma_f64 v[173:174], v[4:5], v[10:11], v[175:176]
	v_fma_f64 v[175:176], v[2:3], v[10:11], -v[12:13]
	ds_load_b128 v[2:5], v1 offset:1536
	scratch_load_b128 v[10:13], off, off offset:832
	v_fma_f64 v[169:170], v[169:170], v[14:15], v[171:172]
	v_fma_f64 v[167:168], v[167:168], v[14:15], -v[16:17]
	scratch_load_b128 v[14:17], off, off offset:848
	v_add_f64_e32 v[38:39], v[38:39], v[159:160]
	v_add_f64_e32 v[44:45], v[44:45], v[161:162]
	ds_load_b128 v[157:160], v1 offset:1552
	s_wait_loadcnt_dscnt 0x901
	v_mul_f64_e32 v[161:162], v[2:3], v[20:21]
	v_mul_f64_e32 v[20:21], v[4:5], v[20:21]
	s_wait_loadcnt_dscnt 0x800
	v_mul_f64_e32 v[171:172], v[157:158], v[24:25]
	v_mul_f64_e32 v[24:25], v[159:160], v[24:25]
	v_add_f64_e32 v[38:39], v[38:39], v[175:176]
	v_add_f64_e32 v[44:45], v[44:45], v[173:174]
	v_fma_f64 v[161:162], v[4:5], v[18:19], v[161:162]
	v_fma_f64 v[173:174], v[2:3], v[18:19], -v[20:21]
	ds_load_b128 v[2:5], v1 offset:1568
	ds_load_b128 v[18:21], v1 offset:1584
	v_fma_f64 v[159:160], v[159:160], v[22:23], v[171:172]
	v_fma_f64 v[22:23], v[157:158], v[22:23], -v[24:25]
	v_add_f64_e32 v[38:39], v[38:39], v[167:168]
	v_add_f64_e32 v[44:45], v[44:45], v[169:170]
	s_wait_loadcnt_dscnt 0x701
	v_mul_f64_e32 v[167:168], v[2:3], v[28:29]
	v_mul_f64_e32 v[28:29], v[4:5], v[28:29]
	s_delay_alu instid0(VALU_DEP_4) | instskip(NEXT) | instid1(VALU_DEP_4)
	v_add_f64_e32 v[24:25], v[38:39], v[173:174]
	v_add_f64_e32 v[38:39], v[44:45], v[161:162]
	s_wait_loadcnt_dscnt 0x600
	v_mul_f64_e32 v[44:45], v[18:19], v[32:33]
	v_mul_f64_e32 v[32:33], v[20:21], v[32:33]
	v_fma_f64 v[157:158], v[4:5], v[26:27], v[167:168]
	v_fma_f64 v[26:27], v[2:3], v[26:27], -v[28:29]
	v_add_f64_e32 v[28:29], v[24:25], v[22:23]
	v_add_f64_e32 v[38:39], v[38:39], v[159:160]
	ds_load_b128 v[2:5], v1 offset:1600
	ds_load_b128 v[22:25], v1 offset:1616
	v_fma_f64 v[20:21], v[20:21], v[30:31], v[44:45]
	v_fma_f64 v[18:19], v[18:19], v[30:31], -v[32:33]
	s_wait_loadcnt_dscnt 0x501
	v_mul_f64_e32 v[159:160], v[2:3], v[36:37]
	v_mul_f64_e32 v[36:37], v[4:5], v[36:37]
	s_wait_loadcnt_dscnt 0x400
	v_mul_f64_e32 v[30:31], v[22:23], v[42:43]
	v_add_f64_e32 v[26:27], v[28:29], v[26:27]
	v_add_f64_e32 v[28:29], v[38:39], v[157:158]
	v_mul_f64_e32 v[32:33], v[24:25], v[42:43]
	v_fma_f64 v[38:39], v[4:5], v[34:35], v[159:160]
	v_fma_f64 v[34:35], v[2:3], v[34:35], -v[36:37]
	v_fma_f64 v[24:25], v[24:25], v[40:41], v[30:31]
	v_add_f64_e32 v[26:27], v[26:27], v[18:19]
	v_add_f64_e32 v[28:29], v[28:29], v[20:21]
	ds_load_b128 v[2:5], v1 offset:1632
	ds_load_b128 v[18:21], v1 offset:1648
	v_fma_f64 v[22:23], v[22:23], v[40:41], -v[32:33]
	s_wait_loadcnt_dscnt 0x201
	v_mul_f64_e32 v[36:37], v[2:3], v[165:166]
	v_mul_f64_e32 v[42:43], v[4:5], v[165:166]
	s_wait_dscnt 0x0
	v_mul_f64_e32 v[30:31], v[18:19], v[8:9]
	v_mul_f64_e32 v[8:9], v[20:21], v[8:9]
	v_add_f64_e32 v[26:27], v[26:27], v[34:35]
	v_add_f64_e32 v[28:29], v[28:29], v[38:39]
	v_fma_f64 v[32:33], v[4:5], v[163:164], v[36:37]
	v_fma_f64 v[34:35], v[2:3], v[163:164], -v[42:43]
	v_fma_f64 v[20:21], v[20:21], v[6:7], v[30:31]
	v_fma_f64 v[6:7], v[18:19], v[6:7], -v[8:9]
	v_add_f64_e32 v[26:27], v[26:27], v[22:23]
	v_add_f64_e32 v[28:29], v[28:29], v[24:25]
	ds_load_b128 v[2:5], v1 offset:1664
	ds_load_b128 v[22:25], v1 offset:1680
	s_wait_loadcnt_dscnt 0x101
	v_mul_f64_e32 v[36:37], v[2:3], v[12:13]
	v_mul_f64_e32 v[12:13], v[4:5], v[12:13]
	v_add_f64_e32 v[8:9], v[26:27], v[34:35]
	v_add_f64_e32 v[18:19], v[28:29], v[32:33]
	s_wait_loadcnt_dscnt 0x0
	v_mul_f64_e32 v[26:27], v[22:23], v[16:17]
	v_mul_f64_e32 v[16:17], v[24:25], v[16:17]
	v_fma_f64 v[4:5], v[4:5], v[10:11], v[36:37]
	v_fma_f64 v[1:2], v[2:3], v[10:11], -v[12:13]
	v_add_f64_e32 v[6:7], v[8:9], v[6:7]
	v_add_f64_e32 v[8:9], v[18:19], v[20:21]
	v_fma_f64 v[10:11], v[24:25], v[14:15], v[26:27]
	v_fma_f64 v[12:13], v[22:23], v[14:15], -v[16:17]
	s_delay_alu instid0(VALU_DEP_4) | instskip(NEXT) | instid1(VALU_DEP_4)
	v_add_f64_e32 v[1:2], v[6:7], v[1:2]
	v_add_f64_e32 v[3:4], v[8:9], v[4:5]
	s_delay_alu instid0(VALU_DEP_2) | instskip(NEXT) | instid1(VALU_DEP_2)
	v_add_f64_e32 v[1:2], v[1:2], v[12:13]
	v_add_f64_e32 v[3:4], v[3:4], v[10:11]
	s_delay_alu instid0(VALU_DEP_2) | instskip(NEXT) | instid1(VALU_DEP_2)
	v_add_f64_e64 v[1:2], v[153:154], -v[1:2]
	v_add_f64_e64 v[3:4], v[155:156], -v[3:4]
	scratch_store_b128 off, v[1:4], off offset:464
	v_cmpx_lt_u32_e32 27, v0
	s_cbranch_execz .LBB52_277
; %bb.276:
	scratch_load_b128 v[1:4], off, s39
	v_mov_b32_e32 v5, 0
	s_delay_alu instid0(VALU_DEP_1)
	v_dual_mov_b32 v6, v5 :: v_dual_mov_b32 v7, v5
	v_mov_b32_e32 v8, v5
	scratch_store_b128 off, v[5:8], off offset:448
	s_wait_loadcnt 0x0
	ds_store_b128 v152, v[1:4]
.LBB52_277:
	s_wait_alu 0xfffe
	s_or_b32 exec_lo, exec_lo, s0
	s_wait_storecnt_dscnt 0x0
	s_barrier_signal -1
	s_barrier_wait -1
	global_inv scope:SCOPE_SE
	s_clause 0x7
	scratch_load_b128 v[2:5], off, off offset:464
	scratch_load_b128 v[6:9], off, off offset:480
	scratch_load_b128 v[10:13], off, off offset:496
	scratch_load_b128 v[14:17], off, off offset:512
	scratch_load_b128 v[18:21], off, off offset:528
	scratch_load_b128 v[22:25], off, off offset:544
	scratch_load_b128 v[26:29], off, off offset:560
	scratch_load_b128 v[30:33], off, off offset:576
	v_mov_b32_e32 v1, 0
	s_mov_b32 s0, exec_lo
	ds_load_b128 v[34:37], v1 offset:1296
	s_clause 0x1
	scratch_load_b128 v[38:41], off, off offset:592
	scratch_load_b128 v[42:45], off, off offset:448
	ds_load_b128 v[153:156], v1 offset:1312
	scratch_load_b128 v[157:160], off, off offset:608
	s_wait_loadcnt_dscnt 0xa01
	v_mul_f64_e32 v[161:162], v[36:37], v[4:5]
	v_mul_f64_e32 v[4:5], v[34:35], v[4:5]
	s_delay_alu instid0(VALU_DEP_2) | instskip(NEXT) | instid1(VALU_DEP_2)
	v_fma_f64 v[167:168], v[34:35], v[2:3], -v[161:162]
	v_fma_f64 v[169:170], v[36:37], v[2:3], v[4:5]
	ds_load_b128 v[2:5], v1 offset:1328
	s_wait_loadcnt_dscnt 0x901
	v_mul_f64_e32 v[165:166], v[153:154], v[8:9]
	v_mul_f64_e32 v[8:9], v[155:156], v[8:9]
	scratch_load_b128 v[34:37], off, off offset:624
	ds_load_b128 v[161:164], v1 offset:1344
	s_wait_loadcnt_dscnt 0x901
	v_mul_f64_e32 v[171:172], v[2:3], v[12:13]
	v_mul_f64_e32 v[12:13], v[4:5], v[12:13]
	v_fma_f64 v[155:156], v[155:156], v[6:7], v[165:166]
	v_fma_f64 v[153:154], v[153:154], v[6:7], -v[8:9]
	v_add_f64_e32 v[165:166], 0, v[167:168]
	v_add_f64_e32 v[167:168], 0, v[169:170]
	scratch_load_b128 v[6:9], off, off offset:640
	v_fma_f64 v[171:172], v[4:5], v[10:11], v[171:172]
	v_fma_f64 v[173:174], v[2:3], v[10:11], -v[12:13]
	ds_load_b128 v[2:5], v1 offset:1360
	s_wait_loadcnt_dscnt 0x901
	v_mul_f64_e32 v[169:170], v[161:162], v[16:17]
	v_mul_f64_e32 v[16:17], v[163:164], v[16:17]
	scratch_load_b128 v[10:13], off, off offset:656
	v_add_f64_e32 v[165:166], v[165:166], v[153:154]
	v_add_f64_e32 v[167:168], v[167:168], v[155:156]
	s_wait_loadcnt_dscnt 0x900
	v_mul_f64_e32 v[175:176], v[2:3], v[20:21]
	v_mul_f64_e32 v[20:21], v[4:5], v[20:21]
	ds_load_b128 v[153:156], v1 offset:1376
	v_fma_f64 v[163:164], v[163:164], v[14:15], v[169:170]
	v_fma_f64 v[161:162], v[161:162], v[14:15], -v[16:17]
	scratch_load_b128 v[14:17], off, off offset:672
	v_add_f64_e32 v[165:166], v[165:166], v[173:174]
	v_add_f64_e32 v[167:168], v[167:168], v[171:172]
	v_fma_f64 v[171:172], v[4:5], v[18:19], v[175:176]
	v_fma_f64 v[173:174], v[2:3], v[18:19], -v[20:21]
	ds_load_b128 v[2:5], v1 offset:1392
	s_wait_loadcnt_dscnt 0x901
	v_mul_f64_e32 v[169:170], v[153:154], v[24:25]
	v_mul_f64_e32 v[24:25], v[155:156], v[24:25]
	scratch_load_b128 v[18:21], off, off offset:688
	s_wait_loadcnt_dscnt 0x900
	v_mul_f64_e32 v[175:176], v[2:3], v[28:29]
	v_mul_f64_e32 v[28:29], v[4:5], v[28:29]
	v_add_f64_e32 v[165:166], v[165:166], v[161:162]
	v_add_f64_e32 v[167:168], v[167:168], v[163:164]
	ds_load_b128 v[161:164], v1 offset:1408
	v_fma_f64 v[155:156], v[155:156], v[22:23], v[169:170]
	v_fma_f64 v[153:154], v[153:154], v[22:23], -v[24:25]
	scratch_load_b128 v[22:25], off, off offset:704
	v_add_f64_e32 v[165:166], v[165:166], v[173:174]
	v_add_f64_e32 v[167:168], v[167:168], v[171:172]
	v_fma_f64 v[171:172], v[4:5], v[26:27], v[175:176]
	v_fma_f64 v[173:174], v[2:3], v[26:27], -v[28:29]
	ds_load_b128 v[2:5], v1 offset:1424
	s_wait_loadcnt_dscnt 0x901
	v_mul_f64_e32 v[169:170], v[161:162], v[32:33]
	v_mul_f64_e32 v[32:33], v[163:164], v[32:33]
	scratch_load_b128 v[26:29], off, off offset:720
	s_wait_loadcnt_dscnt 0x900
	v_mul_f64_e32 v[175:176], v[2:3], v[40:41]
	v_mul_f64_e32 v[40:41], v[4:5], v[40:41]
	v_add_f64_e32 v[165:166], v[165:166], v[153:154]
	v_add_f64_e32 v[167:168], v[167:168], v[155:156]
	ds_load_b128 v[153:156], v1 offset:1440
	v_fma_f64 v[163:164], v[163:164], v[30:31], v[169:170]
	v_fma_f64 v[161:162], v[161:162], v[30:31], -v[32:33]
	scratch_load_b128 v[30:33], off, off offset:736
	v_add_f64_e32 v[165:166], v[165:166], v[173:174]
	v_add_f64_e32 v[167:168], v[167:168], v[171:172]
	v_fma_f64 v[173:174], v[4:5], v[38:39], v[175:176]
	v_fma_f64 v[175:176], v[2:3], v[38:39], -v[40:41]
	ds_load_b128 v[2:5], v1 offset:1456
	s_wait_loadcnt_dscnt 0x801
	v_mul_f64_e32 v[169:170], v[153:154], v[159:160]
	v_mul_f64_e32 v[171:172], v[155:156], v[159:160]
	scratch_load_b128 v[38:41], off, off offset:752
	v_add_f64_e32 v[165:166], v[165:166], v[161:162]
	v_add_f64_e32 v[163:164], v[167:168], v[163:164]
	ds_load_b128 v[159:162], v1 offset:1472
	v_fma_f64 v[169:170], v[155:156], v[157:158], v[169:170]
	v_fma_f64 v[157:158], v[153:154], v[157:158], -v[171:172]
	scratch_load_b128 v[153:156], off, off offset:768
	s_wait_loadcnt_dscnt 0x901
	v_mul_f64_e32 v[167:168], v[2:3], v[36:37]
	v_mul_f64_e32 v[36:37], v[4:5], v[36:37]
	v_add_f64_e32 v[165:166], v[165:166], v[175:176]
	v_add_f64_e32 v[163:164], v[163:164], v[173:174]
	s_delay_alu instid0(VALU_DEP_4) | instskip(NEXT) | instid1(VALU_DEP_4)
	v_fma_f64 v[167:168], v[4:5], v[34:35], v[167:168]
	v_fma_f64 v[173:174], v[2:3], v[34:35], -v[36:37]
	ds_load_b128 v[2:5], v1 offset:1488
	s_wait_loadcnt_dscnt 0x801
	v_mul_f64_e32 v[171:172], v[159:160], v[8:9]
	v_mul_f64_e32 v[8:9], v[161:162], v[8:9]
	scratch_load_b128 v[34:37], off, off offset:784
	s_wait_loadcnt_dscnt 0x800
	v_mul_f64_e32 v[175:176], v[2:3], v[12:13]
	v_add_f64_e32 v[157:158], v[165:166], v[157:158]
	v_add_f64_e32 v[169:170], v[163:164], v[169:170]
	v_mul_f64_e32 v[12:13], v[4:5], v[12:13]
	ds_load_b128 v[163:166], v1 offset:1504
	v_fma_f64 v[161:162], v[161:162], v[6:7], v[171:172]
	v_fma_f64 v[159:160], v[159:160], v[6:7], -v[8:9]
	scratch_load_b128 v[6:9], off, off offset:800
	v_fma_f64 v[171:172], v[4:5], v[10:11], v[175:176]
	v_add_f64_e32 v[157:158], v[157:158], v[173:174]
	v_add_f64_e32 v[167:168], v[169:170], v[167:168]
	v_fma_f64 v[173:174], v[2:3], v[10:11], -v[12:13]
	ds_load_b128 v[2:5], v1 offset:1520
	s_wait_loadcnt_dscnt 0x801
	v_mul_f64_e32 v[169:170], v[163:164], v[16:17]
	v_mul_f64_e32 v[16:17], v[165:166], v[16:17]
	scratch_load_b128 v[10:13], off, off offset:816
	v_add_f64_e32 v[175:176], v[157:158], v[159:160]
	v_add_f64_e32 v[161:162], v[167:168], v[161:162]
	s_wait_loadcnt_dscnt 0x800
	v_mul_f64_e32 v[167:168], v[2:3], v[20:21]
	v_mul_f64_e32 v[20:21], v[4:5], v[20:21]
	v_fma_f64 v[165:166], v[165:166], v[14:15], v[169:170]
	v_fma_f64 v[163:164], v[163:164], v[14:15], -v[16:17]
	ds_load_b128 v[157:160], v1 offset:1536
	scratch_load_b128 v[14:17], off, off offset:832
	v_add_f64_e32 v[169:170], v[175:176], v[173:174]
	v_add_f64_e32 v[161:162], v[161:162], v[171:172]
	v_fma_f64 v[167:168], v[4:5], v[18:19], v[167:168]
	v_fma_f64 v[173:174], v[2:3], v[18:19], -v[20:21]
	ds_load_b128 v[2:5], v1 offset:1552
	s_wait_loadcnt_dscnt 0x801
	v_mul_f64_e32 v[171:172], v[157:158], v[24:25]
	v_mul_f64_e32 v[24:25], v[159:160], v[24:25]
	scratch_load_b128 v[18:21], off, off offset:848
	s_wait_loadcnt_dscnt 0x800
	v_mul_f64_e32 v[175:176], v[2:3], v[28:29]
	v_mul_f64_e32 v[28:29], v[4:5], v[28:29]
	v_add_f64_e32 v[169:170], v[169:170], v[163:164]
	v_add_f64_e32 v[165:166], v[161:162], v[165:166]
	ds_load_b128 v[161:164], v1 offset:1568
	v_fma_f64 v[159:160], v[159:160], v[22:23], v[171:172]
	v_fma_f64 v[22:23], v[157:158], v[22:23], -v[24:25]
	v_add_f64_e32 v[24:25], v[169:170], v[173:174]
	v_add_f64_e32 v[157:158], v[165:166], v[167:168]
	s_wait_loadcnt_dscnt 0x700
	v_mul_f64_e32 v[165:166], v[161:162], v[32:33]
	v_mul_f64_e32 v[32:33], v[163:164], v[32:33]
	v_fma_f64 v[167:168], v[4:5], v[26:27], v[175:176]
	v_fma_f64 v[26:27], v[2:3], v[26:27], -v[28:29]
	v_add_f64_e32 v[28:29], v[24:25], v[22:23]
	v_add_f64_e32 v[157:158], v[157:158], v[159:160]
	ds_load_b128 v[2:5], v1 offset:1584
	ds_load_b128 v[22:25], v1 offset:1600
	v_fma_f64 v[163:164], v[163:164], v[30:31], v[165:166]
	v_fma_f64 v[30:31], v[161:162], v[30:31], -v[32:33]
	s_wait_loadcnt_dscnt 0x601
	v_mul_f64_e32 v[159:160], v[2:3], v[40:41]
	v_mul_f64_e32 v[40:41], v[4:5], v[40:41]
	s_wait_loadcnt_dscnt 0x500
	v_mul_f64_e32 v[32:33], v[22:23], v[155:156]
	v_mul_f64_e32 v[155:156], v[24:25], v[155:156]
	v_add_f64_e32 v[26:27], v[28:29], v[26:27]
	v_add_f64_e32 v[28:29], v[157:158], v[167:168]
	v_fma_f64 v[157:158], v[4:5], v[38:39], v[159:160]
	v_fma_f64 v[38:39], v[2:3], v[38:39], -v[40:41]
	v_fma_f64 v[24:25], v[24:25], v[153:154], v[32:33]
	v_fma_f64 v[22:23], v[22:23], v[153:154], -v[155:156]
	v_add_f64_e32 v[30:31], v[26:27], v[30:31]
	v_add_f64_e32 v[40:41], v[28:29], v[163:164]
	ds_load_b128 v[2:5], v1 offset:1616
	ds_load_b128 v[26:29], v1 offset:1632
	s_wait_loadcnt_dscnt 0x401
	v_mul_f64_e32 v[159:160], v[2:3], v[36:37]
	v_mul_f64_e32 v[36:37], v[4:5], v[36:37]
	v_add_f64_e32 v[30:31], v[30:31], v[38:39]
	v_add_f64_e32 v[32:33], v[40:41], v[157:158]
	s_wait_loadcnt_dscnt 0x300
	v_mul_f64_e32 v[38:39], v[26:27], v[8:9]
	v_mul_f64_e32 v[8:9], v[28:29], v[8:9]
	v_fma_f64 v[40:41], v[4:5], v[34:35], v[159:160]
	v_fma_f64 v[34:35], v[2:3], v[34:35], -v[36:37]
	v_add_f64_e32 v[30:31], v[30:31], v[22:23]
	v_add_f64_e32 v[32:33], v[32:33], v[24:25]
	ds_load_b128 v[2:5], v1 offset:1648
	ds_load_b128 v[22:25], v1 offset:1664
	v_fma_f64 v[28:29], v[28:29], v[6:7], v[38:39]
	v_fma_f64 v[6:7], v[26:27], v[6:7], -v[8:9]
	s_wait_loadcnt_dscnt 0x201
	v_mul_f64_e32 v[36:37], v[2:3], v[12:13]
	v_mul_f64_e32 v[12:13], v[4:5], v[12:13]
	v_add_f64_e32 v[8:9], v[30:31], v[34:35]
	v_add_f64_e32 v[26:27], v[32:33], v[40:41]
	s_wait_loadcnt_dscnt 0x100
	v_mul_f64_e32 v[30:31], v[22:23], v[16:17]
	v_mul_f64_e32 v[16:17], v[24:25], v[16:17]
	v_fma_f64 v[32:33], v[4:5], v[10:11], v[36:37]
	v_fma_f64 v[10:11], v[2:3], v[10:11], -v[12:13]
	ds_load_b128 v[2:5], v1 offset:1680
	v_add_f64_e32 v[6:7], v[8:9], v[6:7]
	v_add_f64_e32 v[8:9], v[26:27], v[28:29]
	v_fma_f64 v[24:25], v[24:25], v[14:15], v[30:31]
	v_fma_f64 v[14:15], v[22:23], v[14:15], -v[16:17]
	s_wait_loadcnt_dscnt 0x0
	v_mul_f64_e32 v[12:13], v[2:3], v[20:21]
	v_mul_f64_e32 v[20:21], v[4:5], v[20:21]
	v_add_f64_e32 v[6:7], v[6:7], v[10:11]
	v_add_f64_e32 v[8:9], v[8:9], v[32:33]
	s_delay_alu instid0(VALU_DEP_4) | instskip(NEXT) | instid1(VALU_DEP_4)
	v_fma_f64 v[4:5], v[4:5], v[18:19], v[12:13]
	v_fma_f64 v[2:3], v[2:3], v[18:19], -v[20:21]
	s_delay_alu instid0(VALU_DEP_4) | instskip(NEXT) | instid1(VALU_DEP_4)
	v_add_f64_e32 v[6:7], v[6:7], v[14:15]
	v_add_f64_e32 v[8:9], v[8:9], v[24:25]
	s_delay_alu instid0(VALU_DEP_2) | instskip(NEXT) | instid1(VALU_DEP_2)
	v_add_f64_e32 v[2:3], v[6:7], v[2:3]
	v_add_f64_e32 v[4:5], v[8:9], v[4:5]
	s_delay_alu instid0(VALU_DEP_2) | instskip(NEXT) | instid1(VALU_DEP_2)
	v_add_f64_e64 v[2:3], v[42:43], -v[2:3]
	v_add_f64_e64 v[4:5], v[44:45], -v[4:5]
	scratch_store_b128 off, v[2:5], off offset:448
	v_cmpx_lt_u32_e32 26, v0
	s_cbranch_execz .LBB52_279
; %bb.278:
	scratch_load_b128 v[5:8], off, s40
	v_dual_mov_b32 v2, v1 :: v_dual_mov_b32 v3, v1
	v_mov_b32_e32 v4, v1
	scratch_store_b128 off, v[1:4], off offset:432
	s_wait_loadcnt 0x0
	ds_store_b128 v152, v[5:8]
.LBB52_279:
	s_wait_alu 0xfffe
	s_or_b32 exec_lo, exec_lo, s0
	s_wait_storecnt_dscnt 0x0
	s_barrier_signal -1
	s_barrier_wait -1
	global_inv scope:SCOPE_SE
	s_clause 0x8
	scratch_load_b128 v[2:5], off, off offset:448
	scratch_load_b128 v[6:9], off, off offset:464
	;; [unrolled: 1-line block ×9, first 2 shown]
	ds_load_b128 v[38:41], v1 offset:1280
	ds_load_b128 v[42:45], v1 offset:1296
	s_clause 0x1
	scratch_load_b128 v[153:156], off, off offset:432
	scratch_load_b128 v[157:160], off, off offset:592
	s_mov_b32 s0, exec_lo
	s_wait_loadcnt_dscnt 0xa01
	v_mul_f64_e32 v[161:162], v[40:41], v[4:5]
	v_mul_f64_e32 v[4:5], v[38:39], v[4:5]
	s_wait_loadcnt_dscnt 0x900
	v_mul_f64_e32 v[165:166], v[42:43], v[8:9]
	v_mul_f64_e32 v[8:9], v[44:45], v[8:9]
	s_delay_alu instid0(VALU_DEP_4) | instskip(NEXT) | instid1(VALU_DEP_4)
	v_fma_f64 v[167:168], v[38:39], v[2:3], -v[161:162]
	v_fma_f64 v[169:170], v[40:41], v[2:3], v[4:5]
	ds_load_b128 v[2:5], v1 offset:1312
	ds_load_b128 v[161:164], v1 offset:1328
	scratch_load_b128 v[38:41], off, off offset:608
	v_fma_f64 v[44:45], v[44:45], v[6:7], v[165:166]
	v_fma_f64 v[42:43], v[42:43], v[6:7], -v[8:9]
	scratch_load_b128 v[6:9], off, off offset:624
	s_wait_loadcnt_dscnt 0xa01
	v_mul_f64_e32 v[171:172], v[2:3], v[12:13]
	v_mul_f64_e32 v[12:13], v[4:5], v[12:13]
	v_add_f64_e32 v[165:166], 0, v[167:168]
	v_add_f64_e32 v[167:168], 0, v[169:170]
	s_wait_loadcnt_dscnt 0x900
	v_mul_f64_e32 v[169:170], v[161:162], v[16:17]
	v_mul_f64_e32 v[16:17], v[163:164], v[16:17]
	v_fma_f64 v[171:172], v[4:5], v[10:11], v[171:172]
	v_fma_f64 v[173:174], v[2:3], v[10:11], -v[12:13]
	ds_load_b128 v[2:5], v1 offset:1344
	scratch_load_b128 v[10:13], off, off offset:640
	v_add_f64_e32 v[165:166], v[165:166], v[42:43]
	v_add_f64_e32 v[167:168], v[167:168], v[44:45]
	ds_load_b128 v[42:45], v1 offset:1360
	v_fma_f64 v[163:164], v[163:164], v[14:15], v[169:170]
	v_fma_f64 v[161:162], v[161:162], v[14:15], -v[16:17]
	scratch_load_b128 v[14:17], off, off offset:656
	s_wait_loadcnt_dscnt 0xa01
	v_mul_f64_e32 v[175:176], v[2:3], v[20:21]
	v_mul_f64_e32 v[20:21], v[4:5], v[20:21]
	s_wait_loadcnt_dscnt 0x900
	v_mul_f64_e32 v[169:170], v[42:43], v[24:25]
	v_mul_f64_e32 v[24:25], v[44:45], v[24:25]
	v_add_f64_e32 v[165:166], v[165:166], v[173:174]
	v_add_f64_e32 v[167:168], v[167:168], v[171:172]
	v_fma_f64 v[171:172], v[4:5], v[18:19], v[175:176]
	v_fma_f64 v[173:174], v[2:3], v[18:19], -v[20:21]
	ds_load_b128 v[2:5], v1 offset:1376
	scratch_load_b128 v[18:21], off, off offset:672
	v_fma_f64 v[44:45], v[44:45], v[22:23], v[169:170]
	v_fma_f64 v[42:43], v[42:43], v[22:23], -v[24:25]
	scratch_load_b128 v[22:25], off, off offset:688
	v_add_f64_e32 v[165:166], v[165:166], v[161:162]
	v_add_f64_e32 v[167:168], v[167:168], v[163:164]
	ds_load_b128 v[161:164], v1 offset:1392
	s_wait_loadcnt_dscnt 0xa01
	v_mul_f64_e32 v[175:176], v[2:3], v[28:29]
	v_mul_f64_e32 v[28:29], v[4:5], v[28:29]
	s_wait_loadcnt_dscnt 0x900
	v_mul_f64_e32 v[169:170], v[161:162], v[32:33]
	v_mul_f64_e32 v[32:33], v[163:164], v[32:33]
	v_add_f64_e32 v[165:166], v[165:166], v[173:174]
	v_add_f64_e32 v[167:168], v[167:168], v[171:172]
	v_fma_f64 v[171:172], v[4:5], v[26:27], v[175:176]
	v_fma_f64 v[173:174], v[2:3], v[26:27], -v[28:29]
	ds_load_b128 v[2:5], v1 offset:1408
	scratch_load_b128 v[26:29], off, off offset:704
	v_fma_f64 v[163:164], v[163:164], v[30:31], v[169:170]
	v_fma_f64 v[161:162], v[161:162], v[30:31], -v[32:33]
	scratch_load_b128 v[30:33], off, off offset:720
	v_add_f64_e32 v[165:166], v[165:166], v[42:43]
	v_add_f64_e32 v[167:168], v[167:168], v[44:45]
	ds_load_b128 v[42:45], v1 offset:1424
	s_wait_loadcnt_dscnt 0xa01
	v_mul_f64_e32 v[175:176], v[2:3], v[36:37]
	v_mul_f64_e32 v[36:37], v[4:5], v[36:37]
	s_wait_loadcnt_dscnt 0x800
	v_mul_f64_e32 v[169:170], v[42:43], v[159:160]
	v_add_f64_e32 v[165:166], v[165:166], v[173:174]
	v_add_f64_e32 v[167:168], v[167:168], v[171:172]
	v_mul_f64_e32 v[171:172], v[44:45], v[159:160]
	v_fma_f64 v[173:174], v[4:5], v[34:35], v[175:176]
	v_fma_f64 v[175:176], v[2:3], v[34:35], -v[36:37]
	ds_load_b128 v[2:5], v1 offset:1440
	scratch_load_b128 v[34:37], off, off offset:736
	v_fma_f64 v[44:45], v[44:45], v[157:158], v[169:170]
	v_add_f64_e32 v[165:166], v[165:166], v[161:162]
	v_add_f64_e32 v[163:164], v[167:168], v[163:164]
	ds_load_b128 v[159:162], v1 offset:1456
	v_fma_f64 v[157:158], v[42:43], v[157:158], -v[171:172]
	s_wait_loadcnt_dscnt 0x801
	v_mul_f64_e32 v[167:168], v[2:3], v[40:41]
	v_mul_f64_e32 v[177:178], v[4:5], v[40:41]
	scratch_load_b128 v[40:43], off, off offset:752
	s_wait_loadcnt_dscnt 0x800
	v_mul_f64_e32 v[171:172], v[159:160], v[8:9]
	v_mul_f64_e32 v[8:9], v[161:162], v[8:9]
	v_add_f64_e32 v[165:166], v[165:166], v[175:176]
	v_add_f64_e32 v[163:164], v[163:164], v[173:174]
	v_fma_f64 v[173:174], v[4:5], v[38:39], v[167:168]
	v_fma_f64 v[38:39], v[2:3], v[38:39], -v[177:178]
	ds_load_b128 v[2:5], v1 offset:1472
	ds_load_b128 v[167:170], v1 offset:1488
	v_fma_f64 v[161:162], v[161:162], v[6:7], v[171:172]
	v_fma_f64 v[159:160], v[159:160], v[6:7], -v[8:9]
	scratch_load_b128 v[6:9], off, off offset:784
	v_add_f64_e32 v[157:158], v[165:166], v[157:158]
	v_add_f64_e32 v[44:45], v[163:164], v[44:45]
	scratch_load_b128 v[163:166], off, off offset:768
	s_wait_loadcnt_dscnt 0x901
	v_mul_f64_e32 v[175:176], v[2:3], v[12:13]
	v_mul_f64_e32 v[12:13], v[4:5], v[12:13]
	s_wait_loadcnt_dscnt 0x800
	v_mul_f64_e32 v[171:172], v[167:168], v[16:17]
	v_mul_f64_e32 v[16:17], v[169:170], v[16:17]
	v_add_f64_e32 v[38:39], v[157:158], v[38:39]
	v_add_f64_e32 v[44:45], v[44:45], v[173:174]
	v_fma_f64 v[173:174], v[4:5], v[10:11], v[175:176]
	v_fma_f64 v[175:176], v[2:3], v[10:11], -v[12:13]
	ds_load_b128 v[2:5], v1 offset:1504
	scratch_load_b128 v[10:13], off, off offset:800
	v_fma_f64 v[169:170], v[169:170], v[14:15], v[171:172]
	v_fma_f64 v[167:168], v[167:168], v[14:15], -v[16:17]
	scratch_load_b128 v[14:17], off, off offset:816
	v_add_f64_e32 v[38:39], v[38:39], v[159:160]
	v_add_f64_e32 v[44:45], v[44:45], v[161:162]
	ds_load_b128 v[157:160], v1 offset:1520
	s_wait_loadcnt_dscnt 0x901
	v_mul_f64_e32 v[161:162], v[2:3], v[20:21]
	v_mul_f64_e32 v[20:21], v[4:5], v[20:21]
	s_wait_loadcnt_dscnt 0x800
	v_mul_f64_e32 v[171:172], v[157:158], v[24:25]
	v_mul_f64_e32 v[24:25], v[159:160], v[24:25]
	v_add_f64_e32 v[38:39], v[38:39], v[175:176]
	v_add_f64_e32 v[44:45], v[44:45], v[173:174]
	v_fma_f64 v[161:162], v[4:5], v[18:19], v[161:162]
	v_fma_f64 v[173:174], v[2:3], v[18:19], -v[20:21]
	ds_load_b128 v[2:5], v1 offset:1536
	scratch_load_b128 v[18:21], off, off offset:832
	v_fma_f64 v[159:160], v[159:160], v[22:23], v[171:172]
	v_fma_f64 v[157:158], v[157:158], v[22:23], -v[24:25]
	scratch_load_b128 v[22:25], off, off offset:848
	v_add_f64_e32 v[38:39], v[38:39], v[167:168]
	v_add_f64_e32 v[44:45], v[44:45], v[169:170]
	ds_load_b128 v[167:170], v1 offset:1552
	s_wait_loadcnt_dscnt 0x901
	v_mul_f64_e32 v[175:176], v[2:3], v[28:29]
	v_mul_f64_e32 v[28:29], v[4:5], v[28:29]
	v_add_f64_e32 v[38:39], v[38:39], v[173:174]
	v_add_f64_e32 v[44:45], v[44:45], v[161:162]
	s_wait_loadcnt_dscnt 0x800
	v_mul_f64_e32 v[161:162], v[167:168], v[32:33]
	v_mul_f64_e32 v[32:33], v[169:170], v[32:33]
	v_fma_f64 v[171:172], v[4:5], v[26:27], v[175:176]
	v_fma_f64 v[173:174], v[2:3], v[26:27], -v[28:29]
	ds_load_b128 v[2:5], v1 offset:1568
	ds_load_b128 v[26:29], v1 offset:1584
	v_add_f64_e32 v[38:39], v[38:39], v[157:158]
	v_add_f64_e32 v[44:45], v[44:45], v[159:160]
	s_wait_loadcnt_dscnt 0x701
	v_mul_f64_e32 v[157:158], v[2:3], v[36:37]
	v_mul_f64_e32 v[36:37], v[4:5], v[36:37]
	v_fma_f64 v[159:160], v[169:170], v[30:31], v[161:162]
	v_fma_f64 v[30:31], v[167:168], v[30:31], -v[32:33]
	v_add_f64_e32 v[32:33], v[38:39], v[173:174]
	v_add_f64_e32 v[38:39], v[44:45], v[171:172]
	s_wait_loadcnt_dscnt 0x600
	v_mul_f64_e32 v[44:45], v[26:27], v[42:43]
	v_mul_f64_e32 v[42:43], v[28:29], v[42:43]
	v_fma_f64 v[157:158], v[4:5], v[34:35], v[157:158]
	v_fma_f64 v[34:35], v[2:3], v[34:35], -v[36:37]
	v_add_f64_e32 v[36:37], v[32:33], v[30:31]
	v_add_f64_e32 v[38:39], v[38:39], v[159:160]
	ds_load_b128 v[2:5], v1 offset:1600
	ds_load_b128 v[30:33], v1 offset:1616
	v_fma_f64 v[28:29], v[28:29], v[40:41], v[44:45]
	v_fma_f64 v[26:27], v[26:27], v[40:41], -v[42:43]
	s_wait_loadcnt_dscnt 0x401
	v_mul_f64_e32 v[159:160], v[2:3], v[165:166]
	v_mul_f64_e32 v[161:162], v[4:5], v[165:166]
	v_add_f64_e32 v[34:35], v[36:37], v[34:35]
	v_add_f64_e32 v[36:37], v[38:39], v[157:158]
	s_wait_dscnt 0x0
	v_mul_f64_e32 v[38:39], v[30:31], v[8:9]
	v_mul_f64_e32 v[8:9], v[32:33], v[8:9]
	v_fma_f64 v[40:41], v[4:5], v[163:164], v[159:160]
	v_fma_f64 v[42:43], v[2:3], v[163:164], -v[161:162]
	v_add_f64_e32 v[34:35], v[34:35], v[26:27]
	v_add_f64_e32 v[36:37], v[36:37], v[28:29]
	ds_load_b128 v[2:5], v1 offset:1632
	ds_load_b128 v[26:29], v1 offset:1648
	v_fma_f64 v[32:33], v[32:33], v[6:7], v[38:39]
	v_fma_f64 v[6:7], v[30:31], v[6:7], -v[8:9]
	s_wait_loadcnt_dscnt 0x301
	v_mul_f64_e32 v[44:45], v[2:3], v[12:13]
	v_mul_f64_e32 v[12:13], v[4:5], v[12:13]
	v_add_f64_e32 v[8:9], v[34:35], v[42:43]
	v_add_f64_e32 v[30:31], v[36:37], v[40:41]
	s_wait_loadcnt_dscnt 0x200
	v_mul_f64_e32 v[34:35], v[26:27], v[16:17]
	v_mul_f64_e32 v[16:17], v[28:29], v[16:17]
	v_fma_f64 v[36:37], v[4:5], v[10:11], v[44:45]
	v_fma_f64 v[10:11], v[2:3], v[10:11], -v[12:13]
	v_add_f64_e32 v[12:13], v[8:9], v[6:7]
	v_add_f64_e32 v[30:31], v[30:31], v[32:33]
	ds_load_b128 v[2:5], v1 offset:1664
	ds_load_b128 v[6:9], v1 offset:1680
	v_fma_f64 v[28:29], v[28:29], v[14:15], v[34:35]
	v_fma_f64 v[14:15], v[26:27], v[14:15], -v[16:17]
	s_wait_loadcnt_dscnt 0x101
	v_mul_f64_e32 v[32:33], v[2:3], v[20:21]
	v_mul_f64_e32 v[20:21], v[4:5], v[20:21]
	s_wait_loadcnt_dscnt 0x0
	v_mul_f64_e32 v[16:17], v[6:7], v[24:25]
	v_mul_f64_e32 v[24:25], v[8:9], v[24:25]
	v_add_f64_e32 v[10:11], v[12:13], v[10:11]
	v_add_f64_e32 v[12:13], v[30:31], v[36:37]
	v_fma_f64 v[4:5], v[4:5], v[18:19], v[32:33]
	v_fma_f64 v[1:2], v[2:3], v[18:19], -v[20:21]
	v_fma_f64 v[8:9], v[8:9], v[22:23], v[16:17]
	v_fma_f64 v[6:7], v[6:7], v[22:23], -v[24:25]
	v_add_f64_e32 v[10:11], v[10:11], v[14:15]
	v_add_f64_e32 v[12:13], v[12:13], v[28:29]
	s_delay_alu instid0(VALU_DEP_2) | instskip(NEXT) | instid1(VALU_DEP_2)
	v_add_f64_e32 v[1:2], v[10:11], v[1:2]
	v_add_f64_e32 v[3:4], v[12:13], v[4:5]
	s_delay_alu instid0(VALU_DEP_2) | instskip(NEXT) | instid1(VALU_DEP_2)
	;; [unrolled: 3-line block ×3, first 2 shown]
	v_add_f64_e64 v[1:2], v[153:154], -v[1:2]
	v_add_f64_e64 v[3:4], v[155:156], -v[3:4]
	scratch_store_b128 off, v[1:4], off offset:432
	v_cmpx_lt_u32_e32 25, v0
	s_cbranch_execz .LBB52_281
; %bb.280:
	scratch_load_b128 v[1:4], off, s41
	v_mov_b32_e32 v5, 0
	s_delay_alu instid0(VALU_DEP_1)
	v_dual_mov_b32 v6, v5 :: v_dual_mov_b32 v7, v5
	v_mov_b32_e32 v8, v5
	scratch_store_b128 off, v[5:8], off offset:416
	s_wait_loadcnt 0x0
	ds_store_b128 v152, v[1:4]
.LBB52_281:
	s_wait_alu 0xfffe
	s_or_b32 exec_lo, exec_lo, s0
	s_wait_storecnt_dscnt 0x0
	s_barrier_signal -1
	s_barrier_wait -1
	global_inv scope:SCOPE_SE
	s_clause 0x7
	scratch_load_b128 v[2:5], off, off offset:432
	scratch_load_b128 v[6:9], off, off offset:448
	;; [unrolled: 1-line block ×8, first 2 shown]
	v_mov_b32_e32 v1, 0
	s_mov_b32 s0, exec_lo
	ds_load_b128 v[34:37], v1 offset:1264
	s_clause 0x1
	scratch_load_b128 v[38:41], off, off offset:560
	scratch_load_b128 v[42:45], off, off offset:416
	ds_load_b128 v[153:156], v1 offset:1280
	scratch_load_b128 v[157:160], off, off offset:576
	s_wait_loadcnt_dscnt 0xa01
	v_mul_f64_e32 v[161:162], v[36:37], v[4:5]
	v_mul_f64_e32 v[4:5], v[34:35], v[4:5]
	s_delay_alu instid0(VALU_DEP_2) | instskip(NEXT) | instid1(VALU_DEP_2)
	v_fma_f64 v[167:168], v[34:35], v[2:3], -v[161:162]
	v_fma_f64 v[169:170], v[36:37], v[2:3], v[4:5]
	ds_load_b128 v[2:5], v1 offset:1296
	s_wait_loadcnt_dscnt 0x901
	v_mul_f64_e32 v[165:166], v[153:154], v[8:9]
	v_mul_f64_e32 v[8:9], v[155:156], v[8:9]
	scratch_load_b128 v[34:37], off, off offset:592
	ds_load_b128 v[161:164], v1 offset:1312
	s_wait_loadcnt_dscnt 0x901
	v_mul_f64_e32 v[171:172], v[2:3], v[12:13]
	v_mul_f64_e32 v[12:13], v[4:5], v[12:13]
	v_fma_f64 v[155:156], v[155:156], v[6:7], v[165:166]
	v_fma_f64 v[153:154], v[153:154], v[6:7], -v[8:9]
	v_add_f64_e32 v[165:166], 0, v[167:168]
	v_add_f64_e32 v[167:168], 0, v[169:170]
	scratch_load_b128 v[6:9], off, off offset:608
	v_fma_f64 v[171:172], v[4:5], v[10:11], v[171:172]
	v_fma_f64 v[173:174], v[2:3], v[10:11], -v[12:13]
	ds_load_b128 v[2:5], v1 offset:1328
	s_wait_loadcnt_dscnt 0x901
	v_mul_f64_e32 v[169:170], v[161:162], v[16:17]
	v_mul_f64_e32 v[16:17], v[163:164], v[16:17]
	scratch_load_b128 v[10:13], off, off offset:624
	v_add_f64_e32 v[165:166], v[165:166], v[153:154]
	v_add_f64_e32 v[167:168], v[167:168], v[155:156]
	s_wait_loadcnt_dscnt 0x900
	v_mul_f64_e32 v[175:176], v[2:3], v[20:21]
	v_mul_f64_e32 v[20:21], v[4:5], v[20:21]
	ds_load_b128 v[153:156], v1 offset:1344
	v_fma_f64 v[163:164], v[163:164], v[14:15], v[169:170]
	v_fma_f64 v[161:162], v[161:162], v[14:15], -v[16:17]
	scratch_load_b128 v[14:17], off, off offset:640
	v_add_f64_e32 v[165:166], v[165:166], v[173:174]
	v_add_f64_e32 v[167:168], v[167:168], v[171:172]
	v_fma_f64 v[171:172], v[4:5], v[18:19], v[175:176]
	v_fma_f64 v[173:174], v[2:3], v[18:19], -v[20:21]
	ds_load_b128 v[2:5], v1 offset:1360
	s_wait_loadcnt_dscnt 0x901
	v_mul_f64_e32 v[169:170], v[153:154], v[24:25]
	v_mul_f64_e32 v[24:25], v[155:156], v[24:25]
	scratch_load_b128 v[18:21], off, off offset:656
	s_wait_loadcnt_dscnt 0x900
	v_mul_f64_e32 v[175:176], v[2:3], v[28:29]
	v_mul_f64_e32 v[28:29], v[4:5], v[28:29]
	v_add_f64_e32 v[165:166], v[165:166], v[161:162]
	v_add_f64_e32 v[167:168], v[167:168], v[163:164]
	ds_load_b128 v[161:164], v1 offset:1376
	v_fma_f64 v[155:156], v[155:156], v[22:23], v[169:170]
	v_fma_f64 v[153:154], v[153:154], v[22:23], -v[24:25]
	scratch_load_b128 v[22:25], off, off offset:672
	v_add_f64_e32 v[165:166], v[165:166], v[173:174]
	v_add_f64_e32 v[167:168], v[167:168], v[171:172]
	v_fma_f64 v[171:172], v[4:5], v[26:27], v[175:176]
	v_fma_f64 v[173:174], v[2:3], v[26:27], -v[28:29]
	ds_load_b128 v[2:5], v1 offset:1392
	s_wait_loadcnt_dscnt 0x901
	v_mul_f64_e32 v[169:170], v[161:162], v[32:33]
	v_mul_f64_e32 v[32:33], v[163:164], v[32:33]
	scratch_load_b128 v[26:29], off, off offset:688
	s_wait_loadcnt_dscnt 0x900
	v_mul_f64_e32 v[175:176], v[2:3], v[40:41]
	v_mul_f64_e32 v[40:41], v[4:5], v[40:41]
	v_add_f64_e32 v[165:166], v[165:166], v[153:154]
	v_add_f64_e32 v[167:168], v[167:168], v[155:156]
	ds_load_b128 v[153:156], v1 offset:1408
	v_fma_f64 v[163:164], v[163:164], v[30:31], v[169:170]
	v_fma_f64 v[161:162], v[161:162], v[30:31], -v[32:33]
	scratch_load_b128 v[30:33], off, off offset:704
	v_add_f64_e32 v[165:166], v[165:166], v[173:174]
	v_add_f64_e32 v[167:168], v[167:168], v[171:172]
	v_fma_f64 v[173:174], v[4:5], v[38:39], v[175:176]
	v_fma_f64 v[175:176], v[2:3], v[38:39], -v[40:41]
	ds_load_b128 v[2:5], v1 offset:1424
	s_wait_loadcnt_dscnt 0x801
	v_mul_f64_e32 v[169:170], v[153:154], v[159:160]
	v_mul_f64_e32 v[171:172], v[155:156], v[159:160]
	scratch_load_b128 v[38:41], off, off offset:720
	v_add_f64_e32 v[165:166], v[165:166], v[161:162]
	v_add_f64_e32 v[163:164], v[167:168], v[163:164]
	ds_load_b128 v[159:162], v1 offset:1440
	v_fma_f64 v[169:170], v[155:156], v[157:158], v[169:170]
	v_fma_f64 v[157:158], v[153:154], v[157:158], -v[171:172]
	scratch_load_b128 v[153:156], off, off offset:736
	s_wait_loadcnt_dscnt 0x901
	v_mul_f64_e32 v[167:168], v[2:3], v[36:37]
	v_mul_f64_e32 v[36:37], v[4:5], v[36:37]
	v_add_f64_e32 v[165:166], v[165:166], v[175:176]
	v_add_f64_e32 v[163:164], v[163:164], v[173:174]
	s_delay_alu instid0(VALU_DEP_4) | instskip(NEXT) | instid1(VALU_DEP_4)
	v_fma_f64 v[167:168], v[4:5], v[34:35], v[167:168]
	v_fma_f64 v[173:174], v[2:3], v[34:35], -v[36:37]
	ds_load_b128 v[2:5], v1 offset:1456
	s_wait_loadcnt_dscnt 0x801
	v_mul_f64_e32 v[171:172], v[159:160], v[8:9]
	v_mul_f64_e32 v[8:9], v[161:162], v[8:9]
	scratch_load_b128 v[34:37], off, off offset:752
	s_wait_loadcnt_dscnt 0x800
	v_mul_f64_e32 v[175:176], v[2:3], v[12:13]
	v_add_f64_e32 v[157:158], v[165:166], v[157:158]
	v_add_f64_e32 v[169:170], v[163:164], v[169:170]
	v_mul_f64_e32 v[12:13], v[4:5], v[12:13]
	ds_load_b128 v[163:166], v1 offset:1472
	v_fma_f64 v[161:162], v[161:162], v[6:7], v[171:172]
	v_fma_f64 v[159:160], v[159:160], v[6:7], -v[8:9]
	scratch_load_b128 v[6:9], off, off offset:768
	v_fma_f64 v[171:172], v[4:5], v[10:11], v[175:176]
	v_add_f64_e32 v[157:158], v[157:158], v[173:174]
	v_add_f64_e32 v[167:168], v[169:170], v[167:168]
	v_fma_f64 v[173:174], v[2:3], v[10:11], -v[12:13]
	ds_load_b128 v[2:5], v1 offset:1488
	s_wait_loadcnt_dscnt 0x801
	v_mul_f64_e32 v[169:170], v[163:164], v[16:17]
	v_mul_f64_e32 v[16:17], v[165:166], v[16:17]
	scratch_load_b128 v[10:13], off, off offset:784
	v_add_f64_e32 v[175:176], v[157:158], v[159:160]
	v_add_f64_e32 v[161:162], v[167:168], v[161:162]
	s_wait_loadcnt_dscnt 0x800
	v_mul_f64_e32 v[167:168], v[2:3], v[20:21]
	v_mul_f64_e32 v[20:21], v[4:5], v[20:21]
	v_fma_f64 v[165:166], v[165:166], v[14:15], v[169:170]
	v_fma_f64 v[163:164], v[163:164], v[14:15], -v[16:17]
	ds_load_b128 v[157:160], v1 offset:1504
	scratch_load_b128 v[14:17], off, off offset:800
	v_add_f64_e32 v[169:170], v[175:176], v[173:174]
	v_add_f64_e32 v[161:162], v[161:162], v[171:172]
	v_fma_f64 v[167:168], v[4:5], v[18:19], v[167:168]
	v_fma_f64 v[173:174], v[2:3], v[18:19], -v[20:21]
	ds_load_b128 v[2:5], v1 offset:1520
	s_wait_loadcnt_dscnt 0x801
	v_mul_f64_e32 v[171:172], v[157:158], v[24:25]
	v_mul_f64_e32 v[24:25], v[159:160], v[24:25]
	scratch_load_b128 v[18:21], off, off offset:816
	s_wait_loadcnt_dscnt 0x800
	v_mul_f64_e32 v[175:176], v[2:3], v[28:29]
	v_mul_f64_e32 v[28:29], v[4:5], v[28:29]
	v_add_f64_e32 v[169:170], v[169:170], v[163:164]
	v_add_f64_e32 v[165:166], v[161:162], v[165:166]
	ds_load_b128 v[161:164], v1 offset:1536
	v_fma_f64 v[159:160], v[159:160], v[22:23], v[171:172]
	v_fma_f64 v[157:158], v[157:158], v[22:23], -v[24:25]
	scratch_load_b128 v[22:25], off, off offset:832
	v_fma_f64 v[171:172], v[4:5], v[26:27], v[175:176]
	v_add_f64_e32 v[169:170], v[169:170], v[173:174]
	v_add_f64_e32 v[165:166], v[165:166], v[167:168]
	v_fma_f64 v[173:174], v[2:3], v[26:27], -v[28:29]
	ds_load_b128 v[2:5], v1 offset:1552
	s_wait_loadcnt_dscnt 0x801
	v_mul_f64_e32 v[167:168], v[161:162], v[32:33]
	v_mul_f64_e32 v[32:33], v[163:164], v[32:33]
	scratch_load_b128 v[26:29], off, off offset:848
	s_wait_loadcnt_dscnt 0x800
	v_mul_f64_e32 v[175:176], v[2:3], v[40:41]
	v_mul_f64_e32 v[40:41], v[4:5], v[40:41]
	v_add_f64_e32 v[169:170], v[169:170], v[157:158]
	v_add_f64_e32 v[165:166], v[165:166], v[159:160]
	ds_load_b128 v[157:160], v1 offset:1568
	v_fma_f64 v[163:164], v[163:164], v[30:31], v[167:168]
	v_fma_f64 v[30:31], v[161:162], v[30:31], -v[32:33]
	v_fma_f64 v[167:168], v[4:5], v[38:39], v[175:176]
	v_fma_f64 v[38:39], v[2:3], v[38:39], -v[40:41]
	v_add_f64_e32 v[32:33], v[169:170], v[173:174]
	v_add_f64_e32 v[161:162], v[165:166], v[171:172]
	s_wait_loadcnt_dscnt 0x700
	v_mul_f64_e32 v[165:166], v[157:158], v[155:156]
	v_mul_f64_e32 v[155:156], v[159:160], v[155:156]
	s_delay_alu instid0(VALU_DEP_4) | instskip(NEXT) | instid1(VALU_DEP_4)
	v_add_f64_e32 v[40:41], v[32:33], v[30:31]
	v_add_f64_e32 v[161:162], v[161:162], v[163:164]
	ds_load_b128 v[2:5], v1 offset:1584
	ds_load_b128 v[30:33], v1 offset:1600
	v_fma_f64 v[159:160], v[159:160], v[153:154], v[165:166]
	v_fma_f64 v[153:154], v[157:158], v[153:154], -v[155:156]
	s_wait_loadcnt_dscnt 0x601
	v_mul_f64_e32 v[163:164], v[2:3], v[36:37]
	v_mul_f64_e32 v[36:37], v[4:5], v[36:37]
	s_wait_loadcnt_dscnt 0x500
	v_mul_f64_e32 v[155:156], v[30:31], v[8:9]
	v_mul_f64_e32 v[8:9], v[32:33], v[8:9]
	v_add_f64_e32 v[38:39], v[40:41], v[38:39]
	v_add_f64_e32 v[40:41], v[161:162], v[167:168]
	v_fma_f64 v[157:158], v[4:5], v[34:35], v[163:164]
	v_fma_f64 v[161:162], v[2:3], v[34:35], -v[36:37]
	ds_load_b128 v[2:5], v1 offset:1616
	ds_load_b128 v[34:37], v1 offset:1632
	v_fma_f64 v[32:33], v[32:33], v[6:7], v[155:156]
	v_fma_f64 v[6:7], v[30:31], v[6:7], -v[8:9]
	v_add_f64_e32 v[38:39], v[38:39], v[153:154]
	v_add_f64_e32 v[40:41], v[40:41], v[159:160]
	s_wait_loadcnt_dscnt 0x401
	v_mul_f64_e32 v[153:154], v[2:3], v[12:13]
	v_mul_f64_e32 v[12:13], v[4:5], v[12:13]
	s_delay_alu instid0(VALU_DEP_4) | instskip(NEXT) | instid1(VALU_DEP_4)
	v_add_f64_e32 v[8:9], v[38:39], v[161:162]
	v_add_f64_e32 v[30:31], v[40:41], v[157:158]
	s_wait_loadcnt_dscnt 0x300
	v_mul_f64_e32 v[38:39], v[34:35], v[16:17]
	v_mul_f64_e32 v[16:17], v[36:37], v[16:17]
	v_fma_f64 v[40:41], v[4:5], v[10:11], v[153:154]
	v_fma_f64 v[10:11], v[2:3], v[10:11], -v[12:13]
	v_add_f64_e32 v[12:13], v[8:9], v[6:7]
	v_add_f64_e32 v[30:31], v[30:31], v[32:33]
	ds_load_b128 v[2:5], v1 offset:1648
	ds_load_b128 v[6:9], v1 offset:1664
	v_fma_f64 v[36:37], v[36:37], v[14:15], v[38:39]
	v_fma_f64 v[14:15], v[34:35], v[14:15], -v[16:17]
	s_wait_loadcnt_dscnt 0x201
	v_mul_f64_e32 v[32:33], v[2:3], v[20:21]
	v_mul_f64_e32 v[20:21], v[4:5], v[20:21]
	s_wait_loadcnt_dscnt 0x100
	v_mul_f64_e32 v[16:17], v[6:7], v[24:25]
	v_mul_f64_e32 v[24:25], v[8:9], v[24:25]
	v_add_f64_e32 v[10:11], v[12:13], v[10:11]
	v_add_f64_e32 v[12:13], v[30:31], v[40:41]
	v_fma_f64 v[30:31], v[4:5], v[18:19], v[32:33]
	v_fma_f64 v[18:19], v[2:3], v[18:19], -v[20:21]
	ds_load_b128 v[2:5], v1 offset:1680
	v_fma_f64 v[8:9], v[8:9], v[22:23], v[16:17]
	v_fma_f64 v[6:7], v[6:7], v[22:23], -v[24:25]
	v_add_f64_e32 v[10:11], v[10:11], v[14:15]
	v_add_f64_e32 v[12:13], v[12:13], v[36:37]
	s_wait_loadcnt_dscnt 0x0
	v_mul_f64_e32 v[14:15], v[2:3], v[28:29]
	v_mul_f64_e32 v[20:21], v[4:5], v[28:29]
	s_delay_alu instid0(VALU_DEP_4) | instskip(NEXT) | instid1(VALU_DEP_4)
	v_add_f64_e32 v[10:11], v[10:11], v[18:19]
	v_add_f64_e32 v[12:13], v[12:13], v[30:31]
	s_delay_alu instid0(VALU_DEP_4) | instskip(NEXT) | instid1(VALU_DEP_4)
	v_fma_f64 v[4:5], v[4:5], v[26:27], v[14:15]
	v_fma_f64 v[2:3], v[2:3], v[26:27], -v[20:21]
	s_delay_alu instid0(VALU_DEP_4) | instskip(NEXT) | instid1(VALU_DEP_4)
	v_add_f64_e32 v[6:7], v[10:11], v[6:7]
	v_add_f64_e32 v[8:9], v[12:13], v[8:9]
	s_delay_alu instid0(VALU_DEP_2) | instskip(NEXT) | instid1(VALU_DEP_2)
	v_add_f64_e32 v[2:3], v[6:7], v[2:3]
	v_add_f64_e32 v[4:5], v[8:9], v[4:5]
	s_delay_alu instid0(VALU_DEP_2) | instskip(NEXT) | instid1(VALU_DEP_2)
	v_add_f64_e64 v[2:3], v[42:43], -v[2:3]
	v_add_f64_e64 v[4:5], v[44:45], -v[4:5]
	scratch_store_b128 off, v[2:5], off offset:416
	v_cmpx_lt_u32_e32 24, v0
	s_cbranch_execz .LBB52_283
; %bb.282:
	scratch_load_b128 v[5:8], off, s42
	v_dual_mov_b32 v2, v1 :: v_dual_mov_b32 v3, v1
	v_mov_b32_e32 v4, v1
	scratch_store_b128 off, v[1:4], off offset:400
	s_wait_loadcnt 0x0
	ds_store_b128 v152, v[5:8]
.LBB52_283:
	s_wait_alu 0xfffe
	s_or_b32 exec_lo, exec_lo, s0
	s_wait_storecnt_dscnt 0x0
	s_barrier_signal -1
	s_barrier_wait -1
	global_inv scope:SCOPE_SE
	s_clause 0x8
	scratch_load_b128 v[2:5], off, off offset:416
	scratch_load_b128 v[6:9], off, off offset:432
	;; [unrolled: 1-line block ×9, first 2 shown]
	ds_load_b128 v[38:41], v1 offset:1248
	ds_load_b128 v[42:45], v1 offset:1264
	s_clause 0x1
	scratch_load_b128 v[153:156], off, off offset:400
	scratch_load_b128 v[157:160], off, off offset:560
	s_mov_b32 s0, exec_lo
	s_wait_loadcnt_dscnt 0xa01
	v_mul_f64_e32 v[161:162], v[40:41], v[4:5]
	v_mul_f64_e32 v[4:5], v[38:39], v[4:5]
	s_wait_loadcnt_dscnt 0x900
	v_mul_f64_e32 v[165:166], v[42:43], v[8:9]
	v_mul_f64_e32 v[8:9], v[44:45], v[8:9]
	s_delay_alu instid0(VALU_DEP_4) | instskip(NEXT) | instid1(VALU_DEP_4)
	v_fma_f64 v[167:168], v[38:39], v[2:3], -v[161:162]
	v_fma_f64 v[169:170], v[40:41], v[2:3], v[4:5]
	ds_load_b128 v[2:5], v1 offset:1280
	ds_load_b128 v[161:164], v1 offset:1296
	scratch_load_b128 v[38:41], off, off offset:576
	v_fma_f64 v[44:45], v[44:45], v[6:7], v[165:166]
	v_fma_f64 v[42:43], v[42:43], v[6:7], -v[8:9]
	scratch_load_b128 v[6:9], off, off offset:592
	s_wait_loadcnt_dscnt 0xa01
	v_mul_f64_e32 v[171:172], v[2:3], v[12:13]
	v_mul_f64_e32 v[12:13], v[4:5], v[12:13]
	v_add_f64_e32 v[165:166], 0, v[167:168]
	v_add_f64_e32 v[167:168], 0, v[169:170]
	s_wait_loadcnt_dscnt 0x900
	v_mul_f64_e32 v[169:170], v[161:162], v[16:17]
	v_mul_f64_e32 v[16:17], v[163:164], v[16:17]
	v_fma_f64 v[171:172], v[4:5], v[10:11], v[171:172]
	v_fma_f64 v[173:174], v[2:3], v[10:11], -v[12:13]
	ds_load_b128 v[2:5], v1 offset:1312
	scratch_load_b128 v[10:13], off, off offset:608
	v_add_f64_e32 v[165:166], v[165:166], v[42:43]
	v_add_f64_e32 v[167:168], v[167:168], v[44:45]
	ds_load_b128 v[42:45], v1 offset:1328
	v_fma_f64 v[163:164], v[163:164], v[14:15], v[169:170]
	v_fma_f64 v[161:162], v[161:162], v[14:15], -v[16:17]
	scratch_load_b128 v[14:17], off, off offset:624
	s_wait_loadcnt_dscnt 0xa01
	v_mul_f64_e32 v[175:176], v[2:3], v[20:21]
	v_mul_f64_e32 v[20:21], v[4:5], v[20:21]
	s_wait_loadcnt_dscnt 0x900
	v_mul_f64_e32 v[169:170], v[42:43], v[24:25]
	v_mul_f64_e32 v[24:25], v[44:45], v[24:25]
	v_add_f64_e32 v[165:166], v[165:166], v[173:174]
	v_add_f64_e32 v[167:168], v[167:168], v[171:172]
	v_fma_f64 v[171:172], v[4:5], v[18:19], v[175:176]
	v_fma_f64 v[173:174], v[2:3], v[18:19], -v[20:21]
	ds_load_b128 v[2:5], v1 offset:1344
	scratch_load_b128 v[18:21], off, off offset:640
	v_fma_f64 v[44:45], v[44:45], v[22:23], v[169:170]
	v_fma_f64 v[42:43], v[42:43], v[22:23], -v[24:25]
	scratch_load_b128 v[22:25], off, off offset:656
	v_add_f64_e32 v[165:166], v[165:166], v[161:162]
	v_add_f64_e32 v[167:168], v[167:168], v[163:164]
	ds_load_b128 v[161:164], v1 offset:1360
	s_wait_loadcnt_dscnt 0xa01
	v_mul_f64_e32 v[175:176], v[2:3], v[28:29]
	v_mul_f64_e32 v[28:29], v[4:5], v[28:29]
	s_wait_loadcnt_dscnt 0x900
	v_mul_f64_e32 v[169:170], v[161:162], v[32:33]
	v_mul_f64_e32 v[32:33], v[163:164], v[32:33]
	v_add_f64_e32 v[165:166], v[165:166], v[173:174]
	v_add_f64_e32 v[167:168], v[167:168], v[171:172]
	v_fma_f64 v[171:172], v[4:5], v[26:27], v[175:176]
	v_fma_f64 v[173:174], v[2:3], v[26:27], -v[28:29]
	ds_load_b128 v[2:5], v1 offset:1376
	scratch_load_b128 v[26:29], off, off offset:672
	v_fma_f64 v[163:164], v[163:164], v[30:31], v[169:170]
	v_fma_f64 v[161:162], v[161:162], v[30:31], -v[32:33]
	scratch_load_b128 v[30:33], off, off offset:688
	v_add_f64_e32 v[165:166], v[165:166], v[42:43]
	v_add_f64_e32 v[167:168], v[167:168], v[44:45]
	ds_load_b128 v[42:45], v1 offset:1392
	s_wait_loadcnt_dscnt 0xa01
	v_mul_f64_e32 v[175:176], v[2:3], v[36:37]
	v_mul_f64_e32 v[36:37], v[4:5], v[36:37]
	s_wait_loadcnt_dscnt 0x800
	v_mul_f64_e32 v[169:170], v[42:43], v[159:160]
	v_add_f64_e32 v[165:166], v[165:166], v[173:174]
	v_add_f64_e32 v[167:168], v[167:168], v[171:172]
	v_mul_f64_e32 v[171:172], v[44:45], v[159:160]
	v_fma_f64 v[173:174], v[4:5], v[34:35], v[175:176]
	v_fma_f64 v[175:176], v[2:3], v[34:35], -v[36:37]
	ds_load_b128 v[2:5], v1 offset:1408
	scratch_load_b128 v[34:37], off, off offset:704
	v_fma_f64 v[44:45], v[44:45], v[157:158], v[169:170]
	v_add_f64_e32 v[165:166], v[165:166], v[161:162]
	v_add_f64_e32 v[163:164], v[167:168], v[163:164]
	ds_load_b128 v[159:162], v1 offset:1424
	v_fma_f64 v[157:158], v[42:43], v[157:158], -v[171:172]
	s_wait_loadcnt_dscnt 0x801
	v_mul_f64_e32 v[167:168], v[2:3], v[40:41]
	v_mul_f64_e32 v[177:178], v[4:5], v[40:41]
	scratch_load_b128 v[40:43], off, off offset:720
	s_wait_loadcnt_dscnt 0x800
	v_mul_f64_e32 v[171:172], v[159:160], v[8:9]
	v_mul_f64_e32 v[8:9], v[161:162], v[8:9]
	v_add_f64_e32 v[165:166], v[165:166], v[175:176]
	v_add_f64_e32 v[163:164], v[163:164], v[173:174]
	v_fma_f64 v[173:174], v[4:5], v[38:39], v[167:168]
	v_fma_f64 v[38:39], v[2:3], v[38:39], -v[177:178]
	ds_load_b128 v[2:5], v1 offset:1440
	ds_load_b128 v[167:170], v1 offset:1456
	v_fma_f64 v[161:162], v[161:162], v[6:7], v[171:172]
	v_fma_f64 v[159:160], v[159:160], v[6:7], -v[8:9]
	scratch_load_b128 v[6:9], off, off offset:752
	v_add_f64_e32 v[157:158], v[165:166], v[157:158]
	v_add_f64_e32 v[44:45], v[163:164], v[44:45]
	scratch_load_b128 v[163:166], off, off offset:736
	s_wait_loadcnt_dscnt 0x901
	v_mul_f64_e32 v[175:176], v[2:3], v[12:13]
	v_mul_f64_e32 v[12:13], v[4:5], v[12:13]
	s_wait_loadcnt_dscnt 0x800
	v_mul_f64_e32 v[171:172], v[167:168], v[16:17]
	v_mul_f64_e32 v[16:17], v[169:170], v[16:17]
	v_add_f64_e32 v[38:39], v[157:158], v[38:39]
	v_add_f64_e32 v[44:45], v[44:45], v[173:174]
	v_fma_f64 v[173:174], v[4:5], v[10:11], v[175:176]
	v_fma_f64 v[175:176], v[2:3], v[10:11], -v[12:13]
	ds_load_b128 v[2:5], v1 offset:1472
	scratch_load_b128 v[10:13], off, off offset:768
	v_fma_f64 v[169:170], v[169:170], v[14:15], v[171:172]
	v_fma_f64 v[167:168], v[167:168], v[14:15], -v[16:17]
	scratch_load_b128 v[14:17], off, off offset:784
	v_add_f64_e32 v[38:39], v[38:39], v[159:160]
	v_add_f64_e32 v[44:45], v[44:45], v[161:162]
	ds_load_b128 v[157:160], v1 offset:1488
	s_wait_loadcnt_dscnt 0x901
	v_mul_f64_e32 v[161:162], v[2:3], v[20:21]
	v_mul_f64_e32 v[20:21], v[4:5], v[20:21]
	s_wait_loadcnt_dscnt 0x800
	v_mul_f64_e32 v[171:172], v[157:158], v[24:25]
	v_mul_f64_e32 v[24:25], v[159:160], v[24:25]
	v_add_f64_e32 v[38:39], v[38:39], v[175:176]
	v_add_f64_e32 v[44:45], v[44:45], v[173:174]
	v_fma_f64 v[161:162], v[4:5], v[18:19], v[161:162]
	v_fma_f64 v[173:174], v[2:3], v[18:19], -v[20:21]
	ds_load_b128 v[2:5], v1 offset:1504
	scratch_load_b128 v[18:21], off, off offset:800
	v_fma_f64 v[159:160], v[159:160], v[22:23], v[171:172]
	v_fma_f64 v[157:158], v[157:158], v[22:23], -v[24:25]
	scratch_load_b128 v[22:25], off, off offset:816
	v_add_f64_e32 v[38:39], v[38:39], v[167:168]
	v_add_f64_e32 v[44:45], v[44:45], v[169:170]
	ds_load_b128 v[167:170], v1 offset:1520
	s_wait_loadcnt_dscnt 0x901
	v_mul_f64_e32 v[175:176], v[2:3], v[28:29]
	v_mul_f64_e32 v[28:29], v[4:5], v[28:29]
	v_add_f64_e32 v[38:39], v[38:39], v[173:174]
	v_add_f64_e32 v[44:45], v[44:45], v[161:162]
	s_wait_loadcnt_dscnt 0x800
	v_mul_f64_e32 v[161:162], v[167:168], v[32:33]
	v_mul_f64_e32 v[32:33], v[169:170], v[32:33]
	v_fma_f64 v[171:172], v[4:5], v[26:27], v[175:176]
	v_fma_f64 v[173:174], v[2:3], v[26:27], -v[28:29]
	ds_load_b128 v[2:5], v1 offset:1536
	scratch_load_b128 v[26:29], off, off offset:832
	v_add_f64_e32 v[38:39], v[38:39], v[157:158]
	v_add_f64_e32 v[44:45], v[44:45], v[159:160]
	ds_load_b128 v[157:160], v1 offset:1552
	s_wait_loadcnt_dscnt 0x801
	v_mul_f64_e32 v[175:176], v[2:3], v[36:37]
	v_mul_f64_e32 v[36:37], v[4:5], v[36:37]
	v_fma_f64 v[161:162], v[169:170], v[30:31], v[161:162]
	v_fma_f64 v[167:168], v[167:168], v[30:31], -v[32:33]
	scratch_load_b128 v[30:33], off, off offset:848
	s_wait_loadcnt_dscnt 0x800
	v_mul_f64_e32 v[169:170], v[157:158], v[42:43]
	v_add_f64_e32 v[38:39], v[38:39], v[173:174]
	v_add_f64_e32 v[44:45], v[44:45], v[171:172]
	v_mul_f64_e32 v[42:43], v[159:160], v[42:43]
	v_fma_f64 v[171:172], v[4:5], v[34:35], v[175:176]
	v_fma_f64 v[173:174], v[2:3], v[34:35], -v[36:37]
	ds_load_b128 v[2:5], v1 offset:1568
	ds_load_b128 v[34:37], v1 offset:1584
	v_fma_f64 v[159:160], v[159:160], v[40:41], v[169:170]
	v_add_f64_e32 v[38:39], v[38:39], v[167:168]
	v_add_f64_e32 v[44:45], v[44:45], v[161:162]
	v_fma_f64 v[40:41], v[157:158], v[40:41], -v[42:43]
	s_wait_loadcnt_dscnt 0x601
	v_mul_f64_e32 v[161:162], v[2:3], v[165:166]
	v_mul_f64_e32 v[165:166], v[4:5], v[165:166]
	v_add_f64_e32 v[38:39], v[38:39], v[173:174]
	v_add_f64_e32 v[42:43], v[44:45], v[171:172]
	s_wait_dscnt 0x0
	v_mul_f64_e32 v[44:45], v[34:35], v[8:9]
	v_mul_f64_e32 v[8:9], v[36:37], v[8:9]
	v_fma_f64 v[157:158], v[4:5], v[163:164], v[161:162]
	v_fma_f64 v[161:162], v[2:3], v[163:164], -v[165:166]
	v_add_f64_e32 v[163:164], v[38:39], v[40:41]
	v_add_f64_e32 v[42:43], v[42:43], v[159:160]
	ds_load_b128 v[2:5], v1 offset:1600
	ds_load_b128 v[38:41], v1 offset:1616
	v_fma_f64 v[36:37], v[36:37], v[6:7], v[44:45]
	v_fma_f64 v[6:7], v[34:35], v[6:7], -v[8:9]
	s_wait_loadcnt_dscnt 0x501
	v_mul_f64_e32 v[159:160], v[2:3], v[12:13]
	v_mul_f64_e32 v[12:13], v[4:5], v[12:13]
	v_add_f64_e32 v[8:9], v[163:164], v[161:162]
	v_add_f64_e32 v[34:35], v[42:43], v[157:158]
	s_wait_loadcnt_dscnt 0x400
	v_mul_f64_e32 v[42:43], v[38:39], v[16:17]
	v_mul_f64_e32 v[16:17], v[40:41], v[16:17]
	v_fma_f64 v[44:45], v[4:5], v[10:11], v[159:160]
	v_fma_f64 v[10:11], v[2:3], v[10:11], -v[12:13]
	v_add_f64_e32 v[12:13], v[8:9], v[6:7]
	v_add_f64_e32 v[34:35], v[34:35], v[36:37]
	ds_load_b128 v[2:5], v1 offset:1632
	ds_load_b128 v[6:9], v1 offset:1648
	v_fma_f64 v[40:41], v[40:41], v[14:15], v[42:43]
	v_fma_f64 v[14:15], v[38:39], v[14:15], -v[16:17]
	s_wait_loadcnt_dscnt 0x301
	v_mul_f64_e32 v[36:37], v[2:3], v[20:21]
	v_mul_f64_e32 v[20:21], v[4:5], v[20:21]
	s_wait_loadcnt_dscnt 0x200
	v_mul_f64_e32 v[16:17], v[6:7], v[24:25]
	v_mul_f64_e32 v[24:25], v[8:9], v[24:25]
	v_add_f64_e32 v[10:11], v[12:13], v[10:11]
	v_add_f64_e32 v[12:13], v[34:35], v[44:45]
	v_fma_f64 v[34:35], v[4:5], v[18:19], v[36:37]
	v_fma_f64 v[18:19], v[2:3], v[18:19], -v[20:21]
	v_fma_f64 v[8:9], v[8:9], v[22:23], v[16:17]
	v_fma_f64 v[6:7], v[6:7], v[22:23], -v[24:25]
	v_add_f64_e32 v[14:15], v[10:11], v[14:15]
	v_add_f64_e32 v[20:21], v[12:13], v[40:41]
	ds_load_b128 v[2:5], v1 offset:1664
	ds_load_b128 v[10:13], v1 offset:1680
	s_wait_loadcnt_dscnt 0x101
	v_mul_f64_e32 v[36:37], v[2:3], v[28:29]
	v_mul_f64_e32 v[28:29], v[4:5], v[28:29]
	v_add_f64_e32 v[14:15], v[14:15], v[18:19]
	v_add_f64_e32 v[16:17], v[20:21], v[34:35]
	s_wait_loadcnt_dscnt 0x0
	v_mul_f64_e32 v[18:19], v[10:11], v[32:33]
	v_mul_f64_e32 v[20:21], v[12:13], v[32:33]
	v_fma_f64 v[4:5], v[4:5], v[26:27], v[36:37]
	v_fma_f64 v[1:2], v[2:3], v[26:27], -v[28:29]
	v_add_f64_e32 v[6:7], v[14:15], v[6:7]
	v_add_f64_e32 v[8:9], v[16:17], v[8:9]
	v_fma_f64 v[12:13], v[12:13], v[30:31], v[18:19]
	v_fma_f64 v[10:11], v[10:11], v[30:31], -v[20:21]
	s_delay_alu instid0(VALU_DEP_4) | instskip(NEXT) | instid1(VALU_DEP_4)
	v_add_f64_e32 v[1:2], v[6:7], v[1:2]
	v_add_f64_e32 v[3:4], v[8:9], v[4:5]
	s_delay_alu instid0(VALU_DEP_2) | instskip(NEXT) | instid1(VALU_DEP_2)
	v_add_f64_e32 v[1:2], v[1:2], v[10:11]
	v_add_f64_e32 v[3:4], v[3:4], v[12:13]
	s_delay_alu instid0(VALU_DEP_2) | instskip(NEXT) | instid1(VALU_DEP_2)
	v_add_f64_e64 v[1:2], v[153:154], -v[1:2]
	v_add_f64_e64 v[3:4], v[155:156], -v[3:4]
	scratch_store_b128 off, v[1:4], off offset:400
	v_cmpx_lt_u32_e32 23, v0
	s_cbranch_execz .LBB52_285
; %bb.284:
	scratch_load_b128 v[1:4], off, s43
	v_mov_b32_e32 v5, 0
	s_delay_alu instid0(VALU_DEP_1)
	v_dual_mov_b32 v6, v5 :: v_dual_mov_b32 v7, v5
	v_mov_b32_e32 v8, v5
	scratch_store_b128 off, v[5:8], off offset:384
	s_wait_loadcnt 0x0
	ds_store_b128 v152, v[1:4]
.LBB52_285:
	s_wait_alu 0xfffe
	s_or_b32 exec_lo, exec_lo, s0
	s_wait_storecnt_dscnt 0x0
	s_barrier_signal -1
	s_barrier_wait -1
	global_inv scope:SCOPE_SE
	s_clause 0x7
	scratch_load_b128 v[2:5], off, off offset:400
	scratch_load_b128 v[6:9], off, off offset:416
	;; [unrolled: 1-line block ×8, first 2 shown]
	v_mov_b32_e32 v1, 0
	s_mov_b32 s0, exec_lo
	ds_load_b128 v[34:37], v1 offset:1232
	s_clause 0x1
	scratch_load_b128 v[38:41], off, off offset:528
	scratch_load_b128 v[42:45], off, off offset:384
	ds_load_b128 v[153:156], v1 offset:1248
	scratch_load_b128 v[157:160], off, off offset:544
	s_wait_loadcnt_dscnt 0xa01
	v_mul_f64_e32 v[161:162], v[36:37], v[4:5]
	v_mul_f64_e32 v[4:5], v[34:35], v[4:5]
	s_delay_alu instid0(VALU_DEP_2) | instskip(NEXT) | instid1(VALU_DEP_2)
	v_fma_f64 v[167:168], v[34:35], v[2:3], -v[161:162]
	v_fma_f64 v[169:170], v[36:37], v[2:3], v[4:5]
	ds_load_b128 v[2:5], v1 offset:1264
	s_wait_loadcnt_dscnt 0x901
	v_mul_f64_e32 v[165:166], v[153:154], v[8:9]
	v_mul_f64_e32 v[8:9], v[155:156], v[8:9]
	scratch_load_b128 v[34:37], off, off offset:560
	ds_load_b128 v[161:164], v1 offset:1280
	s_wait_loadcnt_dscnt 0x901
	v_mul_f64_e32 v[171:172], v[2:3], v[12:13]
	v_mul_f64_e32 v[12:13], v[4:5], v[12:13]
	v_fma_f64 v[155:156], v[155:156], v[6:7], v[165:166]
	v_fma_f64 v[153:154], v[153:154], v[6:7], -v[8:9]
	v_add_f64_e32 v[165:166], 0, v[167:168]
	v_add_f64_e32 v[167:168], 0, v[169:170]
	scratch_load_b128 v[6:9], off, off offset:576
	v_fma_f64 v[171:172], v[4:5], v[10:11], v[171:172]
	v_fma_f64 v[173:174], v[2:3], v[10:11], -v[12:13]
	ds_load_b128 v[2:5], v1 offset:1296
	s_wait_loadcnt_dscnt 0x901
	v_mul_f64_e32 v[169:170], v[161:162], v[16:17]
	v_mul_f64_e32 v[16:17], v[163:164], v[16:17]
	scratch_load_b128 v[10:13], off, off offset:592
	v_add_f64_e32 v[165:166], v[165:166], v[153:154]
	v_add_f64_e32 v[167:168], v[167:168], v[155:156]
	s_wait_loadcnt_dscnt 0x900
	v_mul_f64_e32 v[175:176], v[2:3], v[20:21]
	v_mul_f64_e32 v[20:21], v[4:5], v[20:21]
	ds_load_b128 v[153:156], v1 offset:1312
	v_fma_f64 v[163:164], v[163:164], v[14:15], v[169:170]
	v_fma_f64 v[161:162], v[161:162], v[14:15], -v[16:17]
	scratch_load_b128 v[14:17], off, off offset:608
	v_add_f64_e32 v[165:166], v[165:166], v[173:174]
	v_add_f64_e32 v[167:168], v[167:168], v[171:172]
	v_fma_f64 v[171:172], v[4:5], v[18:19], v[175:176]
	v_fma_f64 v[173:174], v[2:3], v[18:19], -v[20:21]
	ds_load_b128 v[2:5], v1 offset:1328
	s_wait_loadcnt_dscnt 0x901
	v_mul_f64_e32 v[169:170], v[153:154], v[24:25]
	v_mul_f64_e32 v[24:25], v[155:156], v[24:25]
	scratch_load_b128 v[18:21], off, off offset:624
	s_wait_loadcnt_dscnt 0x900
	v_mul_f64_e32 v[175:176], v[2:3], v[28:29]
	v_mul_f64_e32 v[28:29], v[4:5], v[28:29]
	v_add_f64_e32 v[165:166], v[165:166], v[161:162]
	v_add_f64_e32 v[167:168], v[167:168], v[163:164]
	ds_load_b128 v[161:164], v1 offset:1344
	v_fma_f64 v[155:156], v[155:156], v[22:23], v[169:170]
	v_fma_f64 v[153:154], v[153:154], v[22:23], -v[24:25]
	scratch_load_b128 v[22:25], off, off offset:640
	v_add_f64_e32 v[165:166], v[165:166], v[173:174]
	v_add_f64_e32 v[167:168], v[167:168], v[171:172]
	v_fma_f64 v[171:172], v[4:5], v[26:27], v[175:176]
	v_fma_f64 v[173:174], v[2:3], v[26:27], -v[28:29]
	ds_load_b128 v[2:5], v1 offset:1360
	s_wait_loadcnt_dscnt 0x901
	v_mul_f64_e32 v[169:170], v[161:162], v[32:33]
	v_mul_f64_e32 v[32:33], v[163:164], v[32:33]
	scratch_load_b128 v[26:29], off, off offset:656
	s_wait_loadcnt_dscnt 0x900
	v_mul_f64_e32 v[175:176], v[2:3], v[40:41]
	v_mul_f64_e32 v[40:41], v[4:5], v[40:41]
	v_add_f64_e32 v[165:166], v[165:166], v[153:154]
	v_add_f64_e32 v[167:168], v[167:168], v[155:156]
	ds_load_b128 v[153:156], v1 offset:1376
	v_fma_f64 v[163:164], v[163:164], v[30:31], v[169:170]
	v_fma_f64 v[161:162], v[161:162], v[30:31], -v[32:33]
	scratch_load_b128 v[30:33], off, off offset:672
	v_add_f64_e32 v[165:166], v[165:166], v[173:174]
	v_add_f64_e32 v[167:168], v[167:168], v[171:172]
	v_fma_f64 v[173:174], v[4:5], v[38:39], v[175:176]
	v_fma_f64 v[175:176], v[2:3], v[38:39], -v[40:41]
	ds_load_b128 v[2:5], v1 offset:1392
	s_wait_loadcnt_dscnt 0x801
	v_mul_f64_e32 v[169:170], v[153:154], v[159:160]
	v_mul_f64_e32 v[171:172], v[155:156], v[159:160]
	scratch_load_b128 v[38:41], off, off offset:688
	v_add_f64_e32 v[165:166], v[165:166], v[161:162]
	v_add_f64_e32 v[163:164], v[167:168], v[163:164]
	ds_load_b128 v[159:162], v1 offset:1408
	v_fma_f64 v[169:170], v[155:156], v[157:158], v[169:170]
	v_fma_f64 v[157:158], v[153:154], v[157:158], -v[171:172]
	scratch_load_b128 v[153:156], off, off offset:704
	s_wait_loadcnt_dscnt 0x901
	v_mul_f64_e32 v[167:168], v[2:3], v[36:37]
	v_mul_f64_e32 v[36:37], v[4:5], v[36:37]
	v_add_f64_e32 v[165:166], v[165:166], v[175:176]
	v_add_f64_e32 v[163:164], v[163:164], v[173:174]
	s_delay_alu instid0(VALU_DEP_4) | instskip(NEXT) | instid1(VALU_DEP_4)
	v_fma_f64 v[167:168], v[4:5], v[34:35], v[167:168]
	v_fma_f64 v[173:174], v[2:3], v[34:35], -v[36:37]
	ds_load_b128 v[2:5], v1 offset:1424
	s_wait_loadcnt_dscnt 0x801
	v_mul_f64_e32 v[171:172], v[159:160], v[8:9]
	v_mul_f64_e32 v[8:9], v[161:162], v[8:9]
	scratch_load_b128 v[34:37], off, off offset:720
	s_wait_loadcnt_dscnt 0x800
	v_mul_f64_e32 v[175:176], v[2:3], v[12:13]
	v_add_f64_e32 v[157:158], v[165:166], v[157:158]
	v_add_f64_e32 v[169:170], v[163:164], v[169:170]
	v_mul_f64_e32 v[12:13], v[4:5], v[12:13]
	ds_load_b128 v[163:166], v1 offset:1440
	v_fma_f64 v[161:162], v[161:162], v[6:7], v[171:172]
	v_fma_f64 v[159:160], v[159:160], v[6:7], -v[8:9]
	scratch_load_b128 v[6:9], off, off offset:736
	v_fma_f64 v[171:172], v[4:5], v[10:11], v[175:176]
	v_add_f64_e32 v[157:158], v[157:158], v[173:174]
	v_add_f64_e32 v[167:168], v[169:170], v[167:168]
	v_fma_f64 v[173:174], v[2:3], v[10:11], -v[12:13]
	ds_load_b128 v[2:5], v1 offset:1456
	s_wait_loadcnt_dscnt 0x801
	v_mul_f64_e32 v[169:170], v[163:164], v[16:17]
	v_mul_f64_e32 v[16:17], v[165:166], v[16:17]
	scratch_load_b128 v[10:13], off, off offset:752
	v_add_f64_e32 v[175:176], v[157:158], v[159:160]
	v_add_f64_e32 v[161:162], v[167:168], v[161:162]
	s_wait_loadcnt_dscnt 0x800
	v_mul_f64_e32 v[167:168], v[2:3], v[20:21]
	v_mul_f64_e32 v[20:21], v[4:5], v[20:21]
	v_fma_f64 v[165:166], v[165:166], v[14:15], v[169:170]
	v_fma_f64 v[163:164], v[163:164], v[14:15], -v[16:17]
	ds_load_b128 v[157:160], v1 offset:1472
	scratch_load_b128 v[14:17], off, off offset:768
	v_add_f64_e32 v[169:170], v[175:176], v[173:174]
	v_add_f64_e32 v[161:162], v[161:162], v[171:172]
	v_fma_f64 v[167:168], v[4:5], v[18:19], v[167:168]
	v_fma_f64 v[173:174], v[2:3], v[18:19], -v[20:21]
	ds_load_b128 v[2:5], v1 offset:1488
	s_wait_loadcnt_dscnt 0x801
	v_mul_f64_e32 v[171:172], v[157:158], v[24:25]
	v_mul_f64_e32 v[24:25], v[159:160], v[24:25]
	scratch_load_b128 v[18:21], off, off offset:784
	s_wait_loadcnt_dscnt 0x800
	v_mul_f64_e32 v[175:176], v[2:3], v[28:29]
	v_mul_f64_e32 v[28:29], v[4:5], v[28:29]
	v_add_f64_e32 v[169:170], v[169:170], v[163:164]
	v_add_f64_e32 v[165:166], v[161:162], v[165:166]
	ds_load_b128 v[161:164], v1 offset:1504
	v_fma_f64 v[159:160], v[159:160], v[22:23], v[171:172]
	v_fma_f64 v[157:158], v[157:158], v[22:23], -v[24:25]
	scratch_load_b128 v[22:25], off, off offset:800
	v_fma_f64 v[171:172], v[4:5], v[26:27], v[175:176]
	v_add_f64_e32 v[169:170], v[169:170], v[173:174]
	v_add_f64_e32 v[165:166], v[165:166], v[167:168]
	v_fma_f64 v[173:174], v[2:3], v[26:27], -v[28:29]
	ds_load_b128 v[2:5], v1 offset:1520
	s_wait_loadcnt_dscnt 0x801
	v_mul_f64_e32 v[167:168], v[161:162], v[32:33]
	v_mul_f64_e32 v[32:33], v[163:164], v[32:33]
	scratch_load_b128 v[26:29], off, off offset:816
	s_wait_loadcnt_dscnt 0x800
	v_mul_f64_e32 v[175:176], v[2:3], v[40:41]
	v_mul_f64_e32 v[40:41], v[4:5], v[40:41]
	v_add_f64_e32 v[169:170], v[169:170], v[157:158]
	v_add_f64_e32 v[165:166], v[165:166], v[159:160]
	ds_load_b128 v[157:160], v1 offset:1536
	v_fma_f64 v[163:164], v[163:164], v[30:31], v[167:168]
	v_fma_f64 v[161:162], v[161:162], v[30:31], -v[32:33]
	scratch_load_b128 v[30:33], off, off offset:832
	v_add_f64_e32 v[167:168], v[169:170], v[173:174]
	v_add_f64_e32 v[165:166], v[165:166], v[171:172]
	v_fma_f64 v[171:172], v[4:5], v[38:39], v[175:176]
	v_fma_f64 v[173:174], v[2:3], v[38:39], -v[40:41]
	ds_load_b128 v[2:5], v1 offset:1552
	s_wait_loadcnt_dscnt 0x801
	v_mul_f64_e32 v[169:170], v[157:158], v[155:156]
	v_mul_f64_e32 v[155:156], v[159:160], v[155:156]
	scratch_load_b128 v[38:41], off, off offset:848
	s_wait_loadcnt_dscnt 0x800
	v_mul_f64_e32 v[175:176], v[2:3], v[36:37]
	v_mul_f64_e32 v[36:37], v[4:5], v[36:37]
	v_add_f64_e32 v[167:168], v[167:168], v[161:162]
	v_add_f64_e32 v[165:166], v[165:166], v[163:164]
	ds_load_b128 v[161:164], v1 offset:1568
	v_fma_f64 v[159:160], v[159:160], v[153:154], v[169:170]
	v_fma_f64 v[153:154], v[157:158], v[153:154], -v[155:156]
	v_fma_f64 v[169:170], v[2:3], v[34:35], -v[36:37]
	v_add_f64_e32 v[155:156], v[167:168], v[173:174]
	v_add_f64_e32 v[157:158], v[165:166], v[171:172]
	s_wait_loadcnt_dscnt 0x700
	v_mul_f64_e32 v[165:166], v[161:162], v[8:9]
	v_mul_f64_e32 v[8:9], v[163:164], v[8:9]
	v_fma_f64 v[167:168], v[4:5], v[34:35], v[175:176]
	ds_load_b128 v[2:5], v1 offset:1584
	ds_load_b128 v[34:37], v1 offset:1600
	v_add_f64_e32 v[153:154], v[155:156], v[153:154]
	v_add_f64_e32 v[155:156], v[157:158], v[159:160]
	s_wait_loadcnt_dscnt 0x601
	v_mul_f64_e32 v[157:158], v[2:3], v[12:13]
	v_mul_f64_e32 v[12:13], v[4:5], v[12:13]
	v_fma_f64 v[159:160], v[163:164], v[6:7], v[165:166]
	v_fma_f64 v[6:7], v[161:162], v[6:7], -v[8:9]
	v_add_f64_e32 v[8:9], v[153:154], v[169:170]
	v_add_f64_e32 v[153:154], v[155:156], v[167:168]
	s_wait_loadcnt_dscnt 0x500
	v_mul_f64_e32 v[155:156], v[34:35], v[16:17]
	v_mul_f64_e32 v[16:17], v[36:37], v[16:17]
	v_fma_f64 v[157:158], v[4:5], v[10:11], v[157:158]
	v_fma_f64 v[10:11], v[2:3], v[10:11], -v[12:13]
	v_add_f64_e32 v[12:13], v[8:9], v[6:7]
	v_add_f64_e32 v[153:154], v[153:154], v[159:160]
	ds_load_b128 v[2:5], v1 offset:1616
	ds_load_b128 v[6:9], v1 offset:1632
	v_fma_f64 v[36:37], v[36:37], v[14:15], v[155:156]
	v_fma_f64 v[14:15], v[34:35], v[14:15], -v[16:17]
	s_wait_loadcnt_dscnt 0x401
	v_mul_f64_e32 v[159:160], v[2:3], v[20:21]
	v_mul_f64_e32 v[20:21], v[4:5], v[20:21]
	s_wait_loadcnt_dscnt 0x300
	v_mul_f64_e32 v[16:17], v[6:7], v[24:25]
	v_mul_f64_e32 v[24:25], v[8:9], v[24:25]
	v_add_f64_e32 v[10:11], v[12:13], v[10:11]
	v_add_f64_e32 v[12:13], v[153:154], v[157:158]
	v_fma_f64 v[34:35], v[4:5], v[18:19], v[159:160]
	v_fma_f64 v[18:19], v[2:3], v[18:19], -v[20:21]
	v_fma_f64 v[8:9], v[8:9], v[22:23], v[16:17]
	v_fma_f64 v[6:7], v[6:7], v[22:23], -v[24:25]
	v_add_f64_e32 v[14:15], v[10:11], v[14:15]
	v_add_f64_e32 v[20:21], v[12:13], v[36:37]
	ds_load_b128 v[2:5], v1 offset:1648
	ds_load_b128 v[10:13], v1 offset:1664
	s_wait_loadcnt_dscnt 0x201
	v_mul_f64_e32 v[36:37], v[2:3], v[28:29]
	v_mul_f64_e32 v[28:29], v[4:5], v[28:29]
	v_add_f64_e32 v[14:15], v[14:15], v[18:19]
	v_add_f64_e32 v[16:17], v[20:21], v[34:35]
	s_wait_loadcnt_dscnt 0x100
	v_mul_f64_e32 v[18:19], v[10:11], v[32:33]
	v_mul_f64_e32 v[20:21], v[12:13], v[32:33]
	v_fma_f64 v[22:23], v[4:5], v[26:27], v[36:37]
	v_fma_f64 v[24:25], v[2:3], v[26:27], -v[28:29]
	ds_load_b128 v[2:5], v1 offset:1680
	v_add_f64_e32 v[6:7], v[14:15], v[6:7]
	v_add_f64_e32 v[8:9], v[16:17], v[8:9]
	v_fma_f64 v[12:13], v[12:13], v[30:31], v[18:19]
	v_fma_f64 v[10:11], v[10:11], v[30:31], -v[20:21]
	s_wait_loadcnt_dscnt 0x0
	v_mul_f64_e32 v[14:15], v[2:3], v[40:41]
	v_mul_f64_e32 v[16:17], v[4:5], v[40:41]
	v_add_f64_e32 v[6:7], v[6:7], v[24:25]
	v_add_f64_e32 v[8:9], v[8:9], v[22:23]
	s_delay_alu instid0(VALU_DEP_4) | instskip(NEXT) | instid1(VALU_DEP_4)
	v_fma_f64 v[4:5], v[4:5], v[38:39], v[14:15]
	v_fma_f64 v[2:3], v[2:3], v[38:39], -v[16:17]
	s_delay_alu instid0(VALU_DEP_4) | instskip(NEXT) | instid1(VALU_DEP_4)
	v_add_f64_e32 v[6:7], v[6:7], v[10:11]
	v_add_f64_e32 v[8:9], v[8:9], v[12:13]
	s_delay_alu instid0(VALU_DEP_2) | instskip(NEXT) | instid1(VALU_DEP_2)
	v_add_f64_e32 v[2:3], v[6:7], v[2:3]
	v_add_f64_e32 v[4:5], v[8:9], v[4:5]
	s_delay_alu instid0(VALU_DEP_2) | instskip(NEXT) | instid1(VALU_DEP_2)
	v_add_f64_e64 v[2:3], v[42:43], -v[2:3]
	v_add_f64_e64 v[4:5], v[44:45], -v[4:5]
	scratch_store_b128 off, v[2:5], off offset:384
	v_cmpx_lt_u32_e32 22, v0
	s_cbranch_execz .LBB52_287
; %bb.286:
	scratch_load_b128 v[5:8], off, s44
	v_dual_mov_b32 v2, v1 :: v_dual_mov_b32 v3, v1
	v_mov_b32_e32 v4, v1
	scratch_store_b128 off, v[1:4], off offset:368
	s_wait_loadcnt 0x0
	ds_store_b128 v152, v[5:8]
.LBB52_287:
	s_wait_alu 0xfffe
	s_or_b32 exec_lo, exec_lo, s0
	s_wait_storecnt_dscnt 0x0
	s_barrier_signal -1
	s_barrier_wait -1
	global_inv scope:SCOPE_SE
	s_clause 0x8
	scratch_load_b128 v[2:5], off, off offset:384
	scratch_load_b128 v[6:9], off, off offset:400
	;; [unrolled: 1-line block ×9, first 2 shown]
	ds_load_b128 v[38:41], v1 offset:1216
	ds_load_b128 v[42:45], v1 offset:1232
	s_clause 0x1
	scratch_load_b128 v[153:156], off, off offset:368
	scratch_load_b128 v[157:160], off, off offset:528
	s_mov_b32 s0, exec_lo
	s_wait_loadcnt_dscnt 0xa01
	v_mul_f64_e32 v[161:162], v[40:41], v[4:5]
	v_mul_f64_e32 v[4:5], v[38:39], v[4:5]
	s_wait_loadcnt_dscnt 0x900
	v_mul_f64_e32 v[165:166], v[42:43], v[8:9]
	v_mul_f64_e32 v[8:9], v[44:45], v[8:9]
	s_delay_alu instid0(VALU_DEP_4) | instskip(NEXT) | instid1(VALU_DEP_4)
	v_fma_f64 v[167:168], v[38:39], v[2:3], -v[161:162]
	v_fma_f64 v[169:170], v[40:41], v[2:3], v[4:5]
	ds_load_b128 v[2:5], v1 offset:1248
	ds_load_b128 v[161:164], v1 offset:1264
	scratch_load_b128 v[38:41], off, off offset:544
	v_fma_f64 v[44:45], v[44:45], v[6:7], v[165:166]
	v_fma_f64 v[42:43], v[42:43], v[6:7], -v[8:9]
	scratch_load_b128 v[6:9], off, off offset:560
	s_wait_loadcnt_dscnt 0xa01
	v_mul_f64_e32 v[171:172], v[2:3], v[12:13]
	v_mul_f64_e32 v[12:13], v[4:5], v[12:13]
	v_add_f64_e32 v[165:166], 0, v[167:168]
	v_add_f64_e32 v[167:168], 0, v[169:170]
	s_wait_loadcnt_dscnt 0x900
	v_mul_f64_e32 v[169:170], v[161:162], v[16:17]
	v_mul_f64_e32 v[16:17], v[163:164], v[16:17]
	v_fma_f64 v[171:172], v[4:5], v[10:11], v[171:172]
	v_fma_f64 v[173:174], v[2:3], v[10:11], -v[12:13]
	ds_load_b128 v[2:5], v1 offset:1280
	scratch_load_b128 v[10:13], off, off offset:576
	v_add_f64_e32 v[165:166], v[165:166], v[42:43]
	v_add_f64_e32 v[167:168], v[167:168], v[44:45]
	ds_load_b128 v[42:45], v1 offset:1296
	v_fma_f64 v[163:164], v[163:164], v[14:15], v[169:170]
	v_fma_f64 v[161:162], v[161:162], v[14:15], -v[16:17]
	scratch_load_b128 v[14:17], off, off offset:592
	s_wait_loadcnt_dscnt 0xa01
	v_mul_f64_e32 v[175:176], v[2:3], v[20:21]
	v_mul_f64_e32 v[20:21], v[4:5], v[20:21]
	s_wait_loadcnt_dscnt 0x900
	v_mul_f64_e32 v[169:170], v[42:43], v[24:25]
	v_mul_f64_e32 v[24:25], v[44:45], v[24:25]
	v_add_f64_e32 v[165:166], v[165:166], v[173:174]
	v_add_f64_e32 v[167:168], v[167:168], v[171:172]
	v_fma_f64 v[171:172], v[4:5], v[18:19], v[175:176]
	v_fma_f64 v[173:174], v[2:3], v[18:19], -v[20:21]
	ds_load_b128 v[2:5], v1 offset:1312
	scratch_load_b128 v[18:21], off, off offset:608
	v_fma_f64 v[44:45], v[44:45], v[22:23], v[169:170]
	v_fma_f64 v[42:43], v[42:43], v[22:23], -v[24:25]
	scratch_load_b128 v[22:25], off, off offset:624
	v_add_f64_e32 v[165:166], v[165:166], v[161:162]
	v_add_f64_e32 v[167:168], v[167:168], v[163:164]
	ds_load_b128 v[161:164], v1 offset:1328
	s_wait_loadcnt_dscnt 0xa01
	v_mul_f64_e32 v[175:176], v[2:3], v[28:29]
	v_mul_f64_e32 v[28:29], v[4:5], v[28:29]
	s_wait_loadcnt_dscnt 0x900
	v_mul_f64_e32 v[169:170], v[161:162], v[32:33]
	v_mul_f64_e32 v[32:33], v[163:164], v[32:33]
	v_add_f64_e32 v[165:166], v[165:166], v[173:174]
	v_add_f64_e32 v[167:168], v[167:168], v[171:172]
	v_fma_f64 v[171:172], v[4:5], v[26:27], v[175:176]
	v_fma_f64 v[173:174], v[2:3], v[26:27], -v[28:29]
	ds_load_b128 v[2:5], v1 offset:1344
	scratch_load_b128 v[26:29], off, off offset:640
	v_fma_f64 v[163:164], v[163:164], v[30:31], v[169:170]
	v_fma_f64 v[161:162], v[161:162], v[30:31], -v[32:33]
	scratch_load_b128 v[30:33], off, off offset:656
	v_add_f64_e32 v[165:166], v[165:166], v[42:43]
	v_add_f64_e32 v[167:168], v[167:168], v[44:45]
	ds_load_b128 v[42:45], v1 offset:1360
	s_wait_loadcnt_dscnt 0xa01
	v_mul_f64_e32 v[175:176], v[2:3], v[36:37]
	v_mul_f64_e32 v[36:37], v[4:5], v[36:37]
	s_wait_loadcnt_dscnt 0x800
	v_mul_f64_e32 v[169:170], v[42:43], v[159:160]
	v_add_f64_e32 v[165:166], v[165:166], v[173:174]
	v_add_f64_e32 v[167:168], v[167:168], v[171:172]
	v_mul_f64_e32 v[171:172], v[44:45], v[159:160]
	v_fma_f64 v[173:174], v[4:5], v[34:35], v[175:176]
	v_fma_f64 v[175:176], v[2:3], v[34:35], -v[36:37]
	ds_load_b128 v[2:5], v1 offset:1376
	scratch_load_b128 v[34:37], off, off offset:672
	v_fma_f64 v[44:45], v[44:45], v[157:158], v[169:170]
	v_add_f64_e32 v[165:166], v[165:166], v[161:162]
	v_add_f64_e32 v[163:164], v[167:168], v[163:164]
	ds_load_b128 v[159:162], v1 offset:1392
	v_fma_f64 v[157:158], v[42:43], v[157:158], -v[171:172]
	s_wait_loadcnt_dscnt 0x801
	v_mul_f64_e32 v[167:168], v[2:3], v[40:41]
	v_mul_f64_e32 v[177:178], v[4:5], v[40:41]
	scratch_load_b128 v[40:43], off, off offset:688
	s_wait_loadcnt_dscnt 0x800
	v_mul_f64_e32 v[171:172], v[159:160], v[8:9]
	v_mul_f64_e32 v[8:9], v[161:162], v[8:9]
	v_add_f64_e32 v[165:166], v[165:166], v[175:176]
	v_add_f64_e32 v[163:164], v[163:164], v[173:174]
	v_fma_f64 v[173:174], v[4:5], v[38:39], v[167:168]
	v_fma_f64 v[38:39], v[2:3], v[38:39], -v[177:178]
	ds_load_b128 v[2:5], v1 offset:1408
	ds_load_b128 v[167:170], v1 offset:1424
	v_fma_f64 v[161:162], v[161:162], v[6:7], v[171:172]
	v_fma_f64 v[159:160], v[159:160], v[6:7], -v[8:9]
	scratch_load_b128 v[6:9], off, off offset:720
	v_add_f64_e32 v[157:158], v[165:166], v[157:158]
	v_add_f64_e32 v[44:45], v[163:164], v[44:45]
	scratch_load_b128 v[163:166], off, off offset:704
	s_wait_loadcnt_dscnt 0x901
	v_mul_f64_e32 v[175:176], v[2:3], v[12:13]
	v_mul_f64_e32 v[12:13], v[4:5], v[12:13]
	s_wait_loadcnt_dscnt 0x800
	v_mul_f64_e32 v[171:172], v[167:168], v[16:17]
	v_mul_f64_e32 v[16:17], v[169:170], v[16:17]
	v_add_f64_e32 v[38:39], v[157:158], v[38:39]
	v_add_f64_e32 v[44:45], v[44:45], v[173:174]
	v_fma_f64 v[173:174], v[4:5], v[10:11], v[175:176]
	v_fma_f64 v[175:176], v[2:3], v[10:11], -v[12:13]
	ds_load_b128 v[2:5], v1 offset:1440
	scratch_load_b128 v[10:13], off, off offset:736
	v_fma_f64 v[169:170], v[169:170], v[14:15], v[171:172]
	v_fma_f64 v[167:168], v[167:168], v[14:15], -v[16:17]
	scratch_load_b128 v[14:17], off, off offset:752
	v_add_f64_e32 v[38:39], v[38:39], v[159:160]
	v_add_f64_e32 v[44:45], v[44:45], v[161:162]
	ds_load_b128 v[157:160], v1 offset:1456
	s_wait_loadcnt_dscnt 0x901
	v_mul_f64_e32 v[161:162], v[2:3], v[20:21]
	v_mul_f64_e32 v[20:21], v[4:5], v[20:21]
	s_wait_loadcnt_dscnt 0x800
	v_mul_f64_e32 v[171:172], v[157:158], v[24:25]
	v_mul_f64_e32 v[24:25], v[159:160], v[24:25]
	v_add_f64_e32 v[38:39], v[38:39], v[175:176]
	v_add_f64_e32 v[44:45], v[44:45], v[173:174]
	v_fma_f64 v[161:162], v[4:5], v[18:19], v[161:162]
	v_fma_f64 v[173:174], v[2:3], v[18:19], -v[20:21]
	ds_load_b128 v[2:5], v1 offset:1472
	scratch_load_b128 v[18:21], off, off offset:768
	v_fma_f64 v[159:160], v[159:160], v[22:23], v[171:172]
	v_fma_f64 v[157:158], v[157:158], v[22:23], -v[24:25]
	scratch_load_b128 v[22:25], off, off offset:784
	v_add_f64_e32 v[38:39], v[38:39], v[167:168]
	v_add_f64_e32 v[44:45], v[44:45], v[169:170]
	ds_load_b128 v[167:170], v1 offset:1488
	s_wait_loadcnt_dscnt 0x901
	v_mul_f64_e32 v[175:176], v[2:3], v[28:29]
	v_mul_f64_e32 v[28:29], v[4:5], v[28:29]
	v_add_f64_e32 v[38:39], v[38:39], v[173:174]
	v_add_f64_e32 v[44:45], v[44:45], v[161:162]
	s_wait_loadcnt_dscnt 0x800
	v_mul_f64_e32 v[161:162], v[167:168], v[32:33]
	v_mul_f64_e32 v[32:33], v[169:170], v[32:33]
	v_fma_f64 v[171:172], v[4:5], v[26:27], v[175:176]
	v_fma_f64 v[173:174], v[2:3], v[26:27], -v[28:29]
	ds_load_b128 v[2:5], v1 offset:1504
	scratch_load_b128 v[26:29], off, off offset:800
	v_add_f64_e32 v[38:39], v[38:39], v[157:158]
	v_add_f64_e32 v[44:45], v[44:45], v[159:160]
	ds_load_b128 v[157:160], v1 offset:1520
	s_wait_loadcnt_dscnt 0x801
	v_mul_f64_e32 v[175:176], v[2:3], v[36:37]
	v_mul_f64_e32 v[36:37], v[4:5], v[36:37]
	v_fma_f64 v[161:162], v[169:170], v[30:31], v[161:162]
	v_fma_f64 v[167:168], v[167:168], v[30:31], -v[32:33]
	scratch_load_b128 v[30:33], off, off offset:816
	s_wait_loadcnt_dscnt 0x800
	v_mul_f64_e32 v[169:170], v[157:158], v[42:43]
	v_add_f64_e32 v[38:39], v[38:39], v[173:174]
	v_add_f64_e32 v[44:45], v[44:45], v[171:172]
	v_mul_f64_e32 v[171:172], v[159:160], v[42:43]
	v_fma_f64 v[173:174], v[4:5], v[34:35], v[175:176]
	v_fma_f64 v[175:176], v[2:3], v[34:35], -v[36:37]
	ds_load_b128 v[2:5], v1 offset:1536
	scratch_load_b128 v[34:37], off, off offset:832
	v_fma_f64 v[159:160], v[159:160], v[40:41], v[169:170]
	v_add_f64_e32 v[38:39], v[38:39], v[167:168]
	v_add_f64_e32 v[161:162], v[44:45], v[161:162]
	ds_load_b128 v[42:45], v1 offset:1552
	v_fma_f64 v[157:158], v[157:158], v[40:41], -v[171:172]
	s_wait_loadcnt_dscnt 0x701
	v_mul_f64_e32 v[167:168], v[2:3], v[165:166]
	v_mul_f64_e32 v[165:166], v[4:5], v[165:166]
	s_wait_dscnt 0x0
	v_mul_f64_e32 v[171:172], v[42:43], v[8:9]
	v_mul_f64_e32 v[8:9], v[44:45], v[8:9]
	v_add_f64_e32 v[169:170], v[38:39], v[175:176]
	v_add_f64_e32 v[161:162], v[161:162], v[173:174]
	scratch_load_b128 v[38:41], off, off offset:848
	v_fma_f64 v[167:168], v[4:5], v[163:164], v[167:168]
	v_fma_f64 v[163:164], v[2:3], v[163:164], -v[165:166]
	v_fma_f64 v[44:45], v[44:45], v[6:7], v[171:172]
	v_fma_f64 v[6:7], v[42:43], v[6:7], -v[8:9]
	v_add_f64_e32 v[165:166], v[169:170], v[157:158]
	v_add_f64_e32 v[161:162], v[161:162], v[159:160]
	ds_load_b128 v[2:5], v1 offset:1568
	ds_load_b128 v[157:160], v1 offset:1584
	s_wait_loadcnt_dscnt 0x701
	v_mul_f64_e32 v[169:170], v[2:3], v[12:13]
	v_mul_f64_e32 v[12:13], v[4:5], v[12:13]
	v_add_f64_e32 v[8:9], v[165:166], v[163:164]
	v_add_f64_e32 v[42:43], v[161:162], v[167:168]
	s_wait_loadcnt_dscnt 0x600
	v_mul_f64_e32 v[161:162], v[157:158], v[16:17]
	v_mul_f64_e32 v[16:17], v[159:160], v[16:17]
	v_fma_f64 v[163:164], v[4:5], v[10:11], v[169:170]
	v_fma_f64 v[10:11], v[2:3], v[10:11], -v[12:13]
	v_add_f64_e32 v[12:13], v[8:9], v[6:7]
	v_add_f64_e32 v[42:43], v[42:43], v[44:45]
	ds_load_b128 v[2:5], v1 offset:1600
	ds_load_b128 v[6:9], v1 offset:1616
	v_fma_f64 v[159:160], v[159:160], v[14:15], v[161:162]
	v_fma_f64 v[14:15], v[157:158], v[14:15], -v[16:17]
	s_wait_loadcnt_dscnt 0x501
	v_mul_f64_e32 v[44:45], v[2:3], v[20:21]
	v_mul_f64_e32 v[20:21], v[4:5], v[20:21]
	s_wait_loadcnt_dscnt 0x400
	v_mul_f64_e32 v[16:17], v[6:7], v[24:25]
	v_mul_f64_e32 v[24:25], v[8:9], v[24:25]
	v_add_f64_e32 v[10:11], v[12:13], v[10:11]
	v_add_f64_e32 v[12:13], v[42:43], v[163:164]
	v_fma_f64 v[42:43], v[4:5], v[18:19], v[44:45]
	v_fma_f64 v[18:19], v[2:3], v[18:19], -v[20:21]
	v_fma_f64 v[8:9], v[8:9], v[22:23], v[16:17]
	v_fma_f64 v[6:7], v[6:7], v[22:23], -v[24:25]
	v_add_f64_e32 v[14:15], v[10:11], v[14:15]
	v_add_f64_e32 v[20:21], v[12:13], v[159:160]
	ds_load_b128 v[2:5], v1 offset:1632
	ds_load_b128 v[10:13], v1 offset:1648
	s_wait_loadcnt_dscnt 0x301
	v_mul_f64_e32 v[44:45], v[2:3], v[28:29]
	v_mul_f64_e32 v[28:29], v[4:5], v[28:29]
	v_add_f64_e32 v[14:15], v[14:15], v[18:19]
	v_add_f64_e32 v[16:17], v[20:21], v[42:43]
	s_wait_loadcnt_dscnt 0x200
	v_mul_f64_e32 v[18:19], v[10:11], v[32:33]
	v_mul_f64_e32 v[20:21], v[12:13], v[32:33]
	v_fma_f64 v[22:23], v[4:5], v[26:27], v[44:45]
	v_fma_f64 v[24:25], v[2:3], v[26:27], -v[28:29]
	v_add_f64_e32 v[14:15], v[14:15], v[6:7]
	v_add_f64_e32 v[16:17], v[16:17], v[8:9]
	ds_load_b128 v[2:5], v1 offset:1664
	ds_load_b128 v[6:9], v1 offset:1680
	v_fma_f64 v[12:13], v[12:13], v[30:31], v[18:19]
	v_fma_f64 v[10:11], v[10:11], v[30:31], -v[20:21]
	s_wait_loadcnt_dscnt 0x101
	v_mul_f64_e32 v[26:27], v[2:3], v[36:37]
	v_mul_f64_e32 v[28:29], v[4:5], v[36:37]
	v_add_f64_e32 v[14:15], v[14:15], v[24:25]
	v_add_f64_e32 v[16:17], v[16:17], v[22:23]
	s_wait_loadcnt_dscnt 0x0
	v_mul_f64_e32 v[18:19], v[6:7], v[40:41]
	v_mul_f64_e32 v[20:21], v[8:9], v[40:41]
	v_fma_f64 v[4:5], v[4:5], v[34:35], v[26:27]
	v_fma_f64 v[1:2], v[2:3], v[34:35], -v[28:29]
	v_add_f64_e32 v[10:11], v[14:15], v[10:11]
	v_add_f64_e32 v[12:13], v[16:17], v[12:13]
	v_fma_f64 v[8:9], v[8:9], v[38:39], v[18:19]
	v_fma_f64 v[6:7], v[6:7], v[38:39], -v[20:21]
	s_delay_alu instid0(VALU_DEP_4) | instskip(NEXT) | instid1(VALU_DEP_4)
	v_add_f64_e32 v[1:2], v[10:11], v[1:2]
	v_add_f64_e32 v[3:4], v[12:13], v[4:5]
	s_delay_alu instid0(VALU_DEP_2) | instskip(NEXT) | instid1(VALU_DEP_2)
	v_add_f64_e32 v[1:2], v[1:2], v[6:7]
	v_add_f64_e32 v[3:4], v[3:4], v[8:9]
	s_delay_alu instid0(VALU_DEP_2) | instskip(NEXT) | instid1(VALU_DEP_2)
	v_add_f64_e64 v[1:2], v[153:154], -v[1:2]
	v_add_f64_e64 v[3:4], v[155:156], -v[3:4]
	scratch_store_b128 off, v[1:4], off offset:368
	v_cmpx_lt_u32_e32 21, v0
	s_cbranch_execz .LBB52_289
; %bb.288:
	scratch_load_b128 v[1:4], off, s45
	v_mov_b32_e32 v5, 0
	s_delay_alu instid0(VALU_DEP_1)
	v_dual_mov_b32 v6, v5 :: v_dual_mov_b32 v7, v5
	v_mov_b32_e32 v8, v5
	scratch_store_b128 off, v[5:8], off offset:352
	s_wait_loadcnt 0x0
	ds_store_b128 v152, v[1:4]
.LBB52_289:
	s_wait_alu 0xfffe
	s_or_b32 exec_lo, exec_lo, s0
	s_wait_storecnt_dscnt 0x0
	s_barrier_signal -1
	s_barrier_wait -1
	global_inv scope:SCOPE_SE
	s_clause 0x7
	scratch_load_b128 v[2:5], off, off offset:368
	scratch_load_b128 v[6:9], off, off offset:384
	;; [unrolled: 1-line block ×8, first 2 shown]
	v_mov_b32_e32 v1, 0
	s_mov_b32 s0, exec_lo
	ds_load_b128 v[34:37], v1 offset:1200
	s_clause 0x1
	scratch_load_b128 v[38:41], off, off offset:496
	scratch_load_b128 v[42:45], off, off offset:352
	ds_load_b128 v[153:156], v1 offset:1216
	scratch_load_b128 v[157:160], off, off offset:512
	s_wait_loadcnt_dscnt 0xa01
	v_mul_f64_e32 v[161:162], v[36:37], v[4:5]
	v_mul_f64_e32 v[4:5], v[34:35], v[4:5]
	s_delay_alu instid0(VALU_DEP_2) | instskip(NEXT) | instid1(VALU_DEP_2)
	v_fma_f64 v[167:168], v[34:35], v[2:3], -v[161:162]
	v_fma_f64 v[169:170], v[36:37], v[2:3], v[4:5]
	ds_load_b128 v[2:5], v1 offset:1232
	s_wait_loadcnt_dscnt 0x901
	v_mul_f64_e32 v[165:166], v[153:154], v[8:9]
	v_mul_f64_e32 v[8:9], v[155:156], v[8:9]
	scratch_load_b128 v[34:37], off, off offset:528
	ds_load_b128 v[161:164], v1 offset:1248
	s_wait_loadcnt_dscnt 0x901
	v_mul_f64_e32 v[171:172], v[2:3], v[12:13]
	v_mul_f64_e32 v[12:13], v[4:5], v[12:13]
	v_fma_f64 v[155:156], v[155:156], v[6:7], v[165:166]
	v_fma_f64 v[153:154], v[153:154], v[6:7], -v[8:9]
	v_add_f64_e32 v[165:166], 0, v[167:168]
	v_add_f64_e32 v[167:168], 0, v[169:170]
	scratch_load_b128 v[6:9], off, off offset:544
	v_fma_f64 v[171:172], v[4:5], v[10:11], v[171:172]
	v_fma_f64 v[173:174], v[2:3], v[10:11], -v[12:13]
	ds_load_b128 v[2:5], v1 offset:1264
	s_wait_loadcnt_dscnt 0x901
	v_mul_f64_e32 v[169:170], v[161:162], v[16:17]
	v_mul_f64_e32 v[16:17], v[163:164], v[16:17]
	scratch_load_b128 v[10:13], off, off offset:560
	v_add_f64_e32 v[165:166], v[165:166], v[153:154]
	v_add_f64_e32 v[167:168], v[167:168], v[155:156]
	s_wait_loadcnt_dscnt 0x900
	v_mul_f64_e32 v[175:176], v[2:3], v[20:21]
	v_mul_f64_e32 v[20:21], v[4:5], v[20:21]
	ds_load_b128 v[153:156], v1 offset:1280
	v_fma_f64 v[163:164], v[163:164], v[14:15], v[169:170]
	v_fma_f64 v[161:162], v[161:162], v[14:15], -v[16:17]
	scratch_load_b128 v[14:17], off, off offset:576
	v_add_f64_e32 v[165:166], v[165:166], v[173:174]
	v_add_f64_e32 v[167:168], v[167:168], v[171:172]
	v_fma_f64 v[171:172], v[4:5], v[18:19], v[175:176]
	v_fma_f64 v[173:174], v[2:3], v[18:19], -v[20:21]
	ds_load_b128 v[2:5], v1 offset:1296
	s_wait_loadcnt_dscnt 0x901
	v_mul_f64_e32 v[169:170], v[153:154], v[24:25]
	v_mul_f64_e32 v[24:25], v[155:156], v[24:25]
	scratch_load_b128 v[18:21], off, off offset:592
	s_wait_loadcnt_dscnt 0x900
	v_mul_f64_e32 v[175:176], v[2:3], v[28:29]
	v_mul_f64_e32 v[28:29], v[4:5], v[28:29]
	v_add_f64_e32 v[165:166], v[165:166], v[161:162]
	v_add_f64_e32 v[167:168], v[167:168], v[163:164]
	ds_load_b128 v[161:164], v1 offset:1312
	v_fma_f64 v[155:156], v[155:156], v[22:23], v[169:170]
	v_fma_f64 v[153:154], v[153:154], v[22:23], -v[24:25]
	scratch_load_b128 v[22:25], off, off offset:608
	v_add_f64_e32 v[165:166], v[165:166], v[173:174]
	v_add_f64_e32 v[167:168], v[167:168], v[171:172]
	v_fma_f64 v[171:172], v[4:5], v[26:27], v[175:176]
	v_fma_f64 v[173:174], v[2:3], v[26:27], -v[28:29]
	ds_load_b128 v[2:5], v1 offset:1328
	s_wait_loadcnt_dscnt 0x901
	v_mul_f64_e32 v[169:170], v[161:162], v[32:33]
	v_mul_f64_e32 v[32:33], v[163:164], v[32:33]
	scratch_load_b128 v[26:29], off, off offset:624
	s_wait_loadcnt_dscnt 0x900
	v_mul_f64_e32 v[175:176], v[2:3], v[40:41]
	v_mul_f64_e32 v[40:41], v[4:5], v[40:41]
	v_add_f64_e32 v[165:166], v[165:166], v[153:154]
	v_add_f64_e32 v[167:168], v[167:168], v[155:156]
	ds_load_b128 v[153:156], v1 offset:1344
	v_fma_f64 v[163:164], v[163:164], v[30:31], v[169:170]
	v_fma_f64 v[161:162], v[161:162], v[30:31], -v[32:33]
	scratch_load_b128 v[30:33], off, off offset:640
	v_add_f64_e32 v[165:166], v[165:166], v[173:174]
	v_add_f64_e32 v[167:168], v[167:168], v[171:172]
	v_fma_f64 v[173:174], v[4:5], v[38:39], v[175:176]
	v_fma_f64 v[175:176], v[2:3], v[38:39], -v[40:41]
	ds_load_b128 v[2:5], v1 offset:1360
	s_wait_loadcnt_dscnt 0x801
	v_mul_f64_e32 v[169:170], v[153:154], v[159:160]
	v_mul_f64_e32 v[171:172], v[155:156], v[159:160]
	scratch_load_b128 v[38:41], off, off offset:656
	v_add_f64_e32 v[165:166], v[165:166], v[161:162]
	v_add_f64_e32 v[163:164], v[167:168], v[163:164]
	ds_load_b128 v[159:162], v1 offset:1376
	v_fma_f64 v[169:170], v[155:156], v[157:158], v[169:170]
	v_fma_f64 v[157:158], v[153:154], v[157:158], -v[171:172]
	scratch_load_b128 v[153:156], off, off offset:672
	s_wait_loadcnt_dscnt 0x901
	v_mul_f64_e32 v[167:168], v[2:3], v[36:37]
	v_mul_f64_e32 v[36:37], v[4:5], v[36:37]
	v_add_f64_e32 v[165:166], v[165:166], v[175:176]
	v_add_f64_e32 v[163:164], v[163:164], v[173:174]
	s_delay_alu instid0(VALU_DEP_4) | instskip(NEXT) | instid1(VALU_DEP_4)
	v_fma_f64 v[167:168], v[4:5], v[34:35], v[167:168]
	v_fma_f64 v[173:174], v[2:3], v[34:35], -v[36:37]
	ds_load_b128 v[2:5], v1 offset:1392
	s_wait_loadcnt_dscnt 0x801
	v_mul_f64_e32 v[171:172], v[159:160], v[8:9]
	v_mul_f64_e32 v[8:9], v[161:162], v[8:9]
	scratch_load_b128 v[34:37], off, off offset:688
	s_wait_loadcnt_dscnt 0x800
	v_mul_f64_e32 v[175:176], v[2:3], v[12:13]
	v_add_f64_e32 v[157:158], v[165:166], v[157:158]
	v_add_f64_e32 v[169:170], v[163:164], v[169:170]
	v_mul_f64_e32 v[12:13], v[4:5], v[12:13]
	ds_load_b128 v[163:166], v1 offset:1408
	v_fma_f64 v[161:162], v[161:162], v[6:7], v[171:172]
	v_fma_f64 v[159:160], v[159:160], v[6:7], -v[8:9]
	scratch_load_b128 v[6:9], off, off offset:704
	v_fma_f64 v[171:172], v[4:5], v[10:11], v[175:176]
	v_add_f64_e32 v[157:158], v[157:158], v[173:174]
	v_add_f64_e32 v[167:168], v[169:170], v[167:168]
	v_fma_f64 v[173:174], v[2:3], v[10:11], -v[12:13]
	ds_load_b128 v[2:5], v1 offset:1424
	s_wait_loadcnt_dscnt 0x801
	v_mul_f64_e32 v[169:170], v[163:164], v[16:17]
	v_mul_f64_e32 v[16:17], v[165:166], v[16:17]
	scratch_load_b128 v[10:13], off, off offset:720
	v_add_f64_e32 v[175:176], v[157:158], v[159:160]
	v_add_f64_e32 v[161:162], v[167:168], v[161:162]
	s_wait_loadcnt_dscnt 0x800
	v_mul_f64_e32 v[167:168], v[2:3], v[20:21]
	v_mul_f64_e32 v[20:21], v[4:5], v[20:21]
	v_fma_f64 v[165:166], v[165:166], v[14:15], v[169:170]
	v_fma_f64 v[163:164], v[163:164], v[14:15], -v[16:17]
	ds_load_b128 v[157:160], v1 offset:1440
	scratch_load_b128 v[14:17], off, off offset:736
	v_add_f64_e32 v[169:170], v[175:176], v[173:174]
	v_add_f64_e32 v[161:162], v[161:162], v[171:172]
	v_fma_f64 v[167:168], v[4:5], v[18:19], v[167:168]
	v_fma_f64 v[173:174], v[2:3], v[18:19], -v[20:21]
	ds_load_b128 v[2:5], v1 offset:1456
	s_wait_loadcnt_dscnt 0x801
	v_mul_f64_e32 v[171:172], v[157:158], v[24:25]
	v_mul_f64_e32 v[24:25], v[159:160], v[24:25]
	scratch_load_b128 v[18:21], off, off offset:752
	s_wait_loadcnt_dscnt 0x800
	v_mul_f64_e32 v[175:176], v[2:3], v[28:29]
	v_mul_f64_e32 v[28:29], v[4:5], v[28:29]
	v_add_f64_e32 v[169:170], v[169:170], v[163:164]
	v_add_f64_e32 v[165:166], v[161:162], v[165:166]
	ds_load_b128 v[161:164], v1 offset:1472
	v_fma_f64 v[159:160], v[159:160], v[22:23], v[171:172]
	v_fma_f64 v[157:158], v[157:158], v[22:23], -v[24:25]
	scratch_load_b128 v[22:25], off, off offset:768
	v_fma_f64 v[171:172], v[4:5], v[26:27], v[175:176]
	v_add_f64_e32 v[169:170], v[169:170], v[173:174]
	v_add_f64_e32 v[165:166], v[165:166], v[167:168]
	v_fma_f64 v[173:174], v[2:3], v[26:27], -v[28:29]
	ds_load_b128 v[2:5], v1 offset:1488
	s_wait_loadcnt_dscnt 0x801
	v_mul_f64_e32 v[167:168], v[161:162], v[32:33]
	v_mul_f64_e32 v[32:33], v[163:164], v[32:33]
	scratch_load_b128 v[26:29], off, off offset:784
	s_wait_loadcnt_dscnt 0x800
	v_mul_f64_e32 v[175:176], v[2:3], v[40:41]
	v_mul_f64_e32 v[40:41], v[4:5], v[40:41]
	v_add_f64_e32 v[169:170], v[169:170], v[157:158]
	v_add_f64_e32 v[165:166], v[165:166], v[159:160]
	ds_load_b128 v[157:160], v1 offset:1504
	v_fma_f64 v[163:164], v[163:164], v[30:31], v[167:168]
	v_fma_f64 v[161:162], v[161:162], v[30:31], -v[32:33]
	scratch_load_b128 v[30:33], off, off offset:800
	v_add_f64_e32 v[167:168], v[169:170], v[173:174]
	v_add_f64_e32 v[165:166], v[165:166], v[171:172]
	v_fma_f64 v[171:172], v[4:5], v[38:39], v[175:176]
	v_fma_f64 v[173:174], v[2:3], v[38:39], -v[40:41]
	ds_load_b128 v[2:5], v1 offset:1520
	s_wait_loadcnt_dscnt 0x801
	v_mul_f64_e32 v[169:170], v[157:158], v[155:156]
	v_mul_f64_e32 v[155:156], v[159:160], v[155:156]
	scratch_load_b128 v[38:41], off, off offset:816
	s_wait_loadcnt_dscnt 0x800
	v_mul_f64_e32 v[175:176], v[2:3], v[36:37]
	v_mul_f64_e32 v[36:37], v[4:5], v[36:37]
	v_add_f64_e32 v[167:168], v[167:168], v[161:162]
	v_add_f64_e32 v[165:166], v[165:166], v[163:164]
	ds_load_b128 v[161:164], v1 offset:1536
	v_fma_f64 v[159:160], v[159:160], v[153:154], v[169:170]
	v_fma_f64 v[157:158], v[157:158], v[153:154], -v[155:156]
	scratch_load_b128 v[153:156], off, off offset:832
	v_add_f64_e32 v[167:168], v[167:168], v[173:174]
	v_add_f64_e32 v[165:166], v[165:166], v[171:172]
	v_fma_f64 v[171:172], v[4:5], v[34:35], v[175:176]
	v_fma_f64 v[173:174], v[2:3], v[34:35], -v[36:37]
	ds_load_b128 v[2:5], v1 offset:1552
	s_wait_loadcnt_dscnt 0x801
	v_mul_f64_e32 v[169:170], v[161:162], v[8:9]
	v_mul_f64_e32 v[8:9], v[163:164], v[8:9]
	scratch_load_b128 v[34:37], off, off offset:848
	s_wait_loadcnt_dscnt 0x800
	v_mul_f64_e32 v[175:176], v[2:3], v[12:13]
	v_mul_f64_e32 v[12:13], v[4:5], v[12:13]
	v_add_f64_e32 v[167:168], v[167:168], v[157:158]
	v_add_f64_e32 v[165:166], v[165:166], v[159:160]
	ds_load_b128 v[157:160], v1 offset:1568
	v_fma_f64 v[163:164], v[163:164], v[6:7], v[169:170]
	v_fma_f64 v[6:7], v[161:162], v[6:7], -v[8:9]
	v_add_f64_e32 v[8:9], v[167:168], v[173:174]
	v_add_f64_e32 v[161:162], v[165:166], v[171:172]
	s_wait_loadcnt_dscnt 0x700
	v_mul_f64_e32 v[165:166], v[157:158], v[16:17]
	v_mul_f64_e32 v[16:17], v[159:160], v[16:17]
	v_fma_f64 v[167:168], v[4:5], v[10:11], v[175:176]
	v_fma_f64 v[10:11], v[2:3], v[10:11], -v[12:13]
	v_add_f64_e32 v[12:13], v[8:9], v[6:7]
	v_add_f64_e32 v[161:162], v[161:162], v[163:164]
	ds_load_b128 v[2:5], v1 offset:1584
	ds_load_b128 v[6:9], v1 offset:1600
	v_fma_f64 v[159:160], v[159:160], v[14:15], v[165:166]
	v_fma_f64 v[14:15], v[157:158], v[14:15], -v[16:17]
	s_wait_loadcnt_dscnt 0x601
	v_mul_f64_e32 v[163:164], v[2:3], v[20:21]
	v_mul_f64_e32 v[20:21], v[4:5], v[20:21]
	s_wait_loadcnt_dscnt 0x500
	v_mul_f64_e32 v[16:17], v[6:7], v[24:25]
	v_mul_f64_e32 v[24:25], v[8:9], v[24:25]
	v_add_f64_e32 v[10:11], v[12:13], v[10:11]
	v_add_f64_e32 v[12:13], v[161:162], v[167:168]
	v_fma_f64 v[157:158], v[4:5], v[18:19], v[163:164]
	v_fma_f64 v[18:19], v[2:3], v[18:19], -v[20:21]
	v_fma_f64 v[8:9], v[8:9], v[22:23], v[16:17]
	v_fma_f64 v[6:7], v[6:7], v[22:23], -v[24:25]
	v_add_f64_e32 v[14:15], v[10:11], v[14:15]
	v_add_f64_e32 v[20:21], v[12:13], v[159:160]
	ds_load_b128 v[2:5], v1 offset:1616
	ds_load_b128 v[10:13], v1 offset:1632
	s_wait_loadcnt_dscnt 0x401
	v_mul_f64_e32 v[159:160], v[2:3], v[28:29]
	v_mul_f64_e32 v[28:29], v[4:5], v[28:29]
	v_add_f64_e32 v[14:15], v[14:15], v[18:19]
	v_add_f64_e32 v[16:17], v[20:21], v[157:158]
	s_wait_loadcnt_dscnt 0x300
	v_mul_f64_e32 v[18:19], v[10:11], v[32:33]
	v_mul_f64_e32 v[20:21], v[12:13], v[32:33]
	v_fma_f64 v[22:23], v[4:5], v[26:27], v[159:160]
	v_fma_f64 v[24:25], v[2:3], v[26:27], -v[28:29]
	v_add_f64_e32 v[14:15], v[14:15], v[6:7]
	v_add_f64_e32 v[16:17], v[16:17], v[8:9]
	ds_load_b128 v[2:5], v1 offset:1648
	ds_load_b128 v[6:9], v1 offset:1664
	v_fma_f64 v[12:13], v[12:13], v[30:31], v[18:19]
	v_fma_f64 v[10:11], v[10:11], v[30:31], -v[20:21]
	s_wait_loadcnt_dscnt 0x201
	v_mul_f64_e32 v[26:27], v[2:3], v[40:41]
	v_mul_f64_e32 v[28:29], v[4:5], v[40:41]
	s_wait_loadcnt_dscnt 0x100
	v_mul_f64_e32 v[18:19], v[6:7], v[155:156]
	v_mul_f64_e32 v[20:21], v[8:9], v[155:156]
	v_add_f64_e32 v[14:15], v[14:15], v[24:25]
	v_add_f64_e32 v[16:17], v[16:17], v[22:23]
	v_fma_f64 v[22:23], v[4:5], v[38:39], v[26:27]
	v_fma_f64 v[24:25], v[2:3], v[38:39], -v[28:29]
	ds_load_b128 v[2:5], v1 offset:1680
	v_fma_f64 v[8:9], v[8:9], v[153:154], v[18:19]
	v_fma_f64 v[6:7], v[6:7], v[153:154], -v[20:21]
	v_add_f64_e32 v[10:11], v[14:15], v[10:11]
	v_add_f64_e32 v[12:13], v[16:17], v[12:13]
	s_wait_loadcnt_dscnt 0x0
	v_mul_f64_e32 v[14:15], v[2:3], v[36:37]
	v_mul_f64_e32 v[16:17], v[4:5], v[36:37]
	s_delay_alu instid0(VALU_DEP_4) | instskip(NEXT) | instid1(VALU_DEP_4)
	v_add_f64_e32 v[10:11], v[10:11], v[24:25]
	v_add_f64_e32 v[12:13], v[12:13], v[22:23]
	s_delay_alu instid0(VALU_DEP_4) | instskip(NEXT) | instid1(VALU_DEP_4)
	v_fma_f64 v[4:5], v[4:5], v[34:35], v[14:15]
	v_fma_f64 v[2:3], v[2:3], v[34:35], -v[16:17]
	s_delay_alu instid0(VALU_DEP_4) | instskip(NEXT) | instid1(VALU_DEP_4)
	v_add_f64_e32 v[6:7], v[10:11], v[6:7]
	v_add_f64_e32 v[8:9], v[12:13], v[8:9]
	s_delay_alu instid0(VALU_DEP_2) | instskip(NEXT) | instid1(VALU_DEP_2)
	v_add_f64_e32 v[2:3], v[6:7], v[2:3]
	v_add_f64_e32 v[4:5], v[8:9], v[4:5]
	s_delay_alu instid0(VALU_DEP_2) | instskip(NEXT) | instid1(VALU_DEP_2)
	v_add_f64_e64 v[2:3], v[42:43], -v[2:3]
	v_add_f64_e64 v[4:5], v[44:45], -v[4:5]
	scratch_store_b128 off, v[2:5], off offset:352
	v_cmpx_lt_u32_e32 20, v0
	s_cbranch_execz .LBB52_291
; %bb.290:
	scratch_load_b128 v[5:8], off, s46
	v_dual_mov_b32 v2, v1 :: v_dual_mov_b32 v3, v1
	v_mov_b32_e32 v4, v1
	scratch_store_b128 off, v[1:4], off offset:336
	s_wait_loadcnt 0x0
	ds_store_b128 v152, v[5:8]
.LBB52_291:
	s_wait_alu 0xfffe
	s_or_b32 exec_lo, exec_lo, s0
	s_wait_storecnt_dscnt 0x0
	s_barrier_signal -1
	s_barrier_wait -1
	global_inv scope:SCOPE_SE
	s_clause 0x8
	scratch_load_b128 v[2:5], off, off offset:352
	scratch_load_b128 v[6:9], off, off offset:368
	;; [unrolled: 1-line block ×9, first 2 shown]
	ds_load_b128 v[38:41], v1 offset:1184
	ds_load_b128 v[42:45], v1 offset:1200
	s_clause 0x1
	scratch_load_b128 v[153:156], off, off offset:336
	scratch_load_b128 v[157:160], off, off offset:496
	s_mov_b32 s0, exec_lo
	s_wait_loadcnt_dscnt 0xa01
	v_mul_f64_e32 v[161:162], v[40:41], v[4:5]
	v_mul_f64_e32 v[4:5], v[38:39], v[4:5]
	s_wait_loadcnt_dscnt 0x900
	v_mul_f64_e32 v[165:166], v[42:43], v[8:9]
	v_mul_f64_e32 v[8:9], v[44:45], v[8:9]
	s_delay_alu instid0(VALU_DEP_4) | instskip(NEXT) | instid1(VALU_DEP_4)
	v_fma_f64 v[167:168], v[38:39], v[2:3], -v[161:162]
	v_fma_f64 v[169:170], v[40:41], v[2:3], v[4:5]
	ds_load_b128 v[2:5], v1 offset:1216
	ds_load_b128 v[161:164], v1 offset:1232
	scratch_load_b128 v[38:41], off, off offset:512
	v_fma_f64 v[44:45], v[44:45], v[6:7], v[165:166]
	v_fma_f64 v[42:43], v[42:43], v[6:7], -v[8:9]
	scratch_load_b128 v[6:9], off, off offset:528
	s_wait_loadcnt_dscnt 0xa01
	v_mul_f64_e32 v[171:172], v[2:3], v[12:13]
	v_mul_f64_e32 v[12:13], v[4:5], v[12:13]
	v_add_f64_e32 v[165:166], 0, v[167:168]
	v_add_f64_e32 v[167:168], 0, v[169:170]
	s_wait_loadcnt_dscnt 0x900
	v_mul_f64_e32 v[169:170], v[161:162], v[16:17]
	v_mul_f64_e32 v[16:17], v[163:164], v[16:17]
	v_fma_f64 v[171:172], v[4:5], v[10:11], v[171:172]
	v_fma_f64 v[173:174], v[2:3], v[10:11], -v[12:13]
	ds_load_b128 v[2:5], v1 offset:1248
	scratch_load_b128 v[10:13], off, off offset:544
	v_add_f64_e32 v[165:166], v[165:166], v[42:43]
	v_add_f64_e32 v[167:168], v[167:168], v[44:45]
	ds_load_b128 v[42:45], v1 offset:1264
	v_fma_f64 v[163:164], v[163:164], v[14:15], v[169:170]
	v_fma_f64 v[161:162], v[161:162], v[14:15], -v[16:17]
	scratch_load_b128 v[14:17], off, off offset:560
	s_wait_loadcnt_dscnt 0xa01
	v_mul_f64_e32 v[175:176], v[2:3], v[20:21]
	v_mul_f64_e32 v[20:21], v[4:5], v[20:21]
	s_wait_loadcnt_dscnt 0x900
	v_mul_f64_e32 v[169:170], v[42:43], v[24:25]
	v_mul_f64_e32 v[24:25], v[44:45], v[24:25]
	v_add_f64_e32 v[165:166], v[165:166], v[173:174]
	v_add_f64_e32 v[167:168], v[167:168], v[171:172]
	v_fma_f64 v[171:172], v[4:5], v[18:19], v[175:176]
	v_fma_f64 v[173:174], v[2:3], v[18:19], -v[20:21]
	ds_load_b128 v[2:5], v1 offset:1280
	scratch_load_b128 v[18:21], off, off offset:576
	v_fma_f64 v[44:45], v[44:45], v[22:23], v[169:170]
	v_fma_f64 v[42:43], v[42:43], v[22:23], -v[24:25]
	scratch_load_b128 v[22:25], off, off offset:592
	v_add_f64_e32 v[165:166], v[165:166], v[161:162]
	v_add_f64_e32 v[167:168], v[167:168], v[163:164]
	ds_load_b128 v[161:164], v1 offset:1296
	s_wait_loadcnt_dscnt 0xa01
	v_mul_f64_e32 v[175:176], v[2:3], v[28:29]
	v_mul_f64_e32 v[28:29], v[4:5], v[28:29]
	s_wait_loadcnt_dscnt 0x900
	v_mul_f64_e32 v[169:170], v[161:162], v[32:33]
	v_mul_f64_e32 v[32:33], v[163:164], v[32:33]
	v_add_f64_e32 v[165:166], v[165:166], v[173:174]
	v_add_f64_e32 v[167:168], v[167:168], v[171:172]
	v_fma_f64 v[171:172], v[4:5], v[26:27], v[175:176]
	v_fma_f64 v[173:174], v[2:3], v[26:27], -v[28:29]
	ds_load_b128 v[2:5], v1 offset:1312
	scratch_load_b128 v[26:29], off, off offset:608
	v_fma_f64 v[163:164], v[163:164], v[30:31], v[169:170]
	v_fma_f64 v[161:162], v[161:162], v[30:31], -v[32:33]
	scratch_load_b128 v[30:33], off, off offset:624
	v_add_f64_e32 v[165:166], v[165:166], v[42:43]
	v_add_f64_e32 v[167:168], v[167:168], v[44:45]
	ds_load_b128 v[42:45], v1 offset:1328
	s_wait_loadcnt_dscnt 0xa01
	v_mul_f64_e32 v[175:176], v[2:3], v[36:37]
	v_mul_f64_e32 v[36:37], v[4:5], v[36:37]
	s_wait_loadcnt_dscnt 0x800
	v_mul_f64_e32 v[169:170], v[42:43], v[159:160]
	v_add_f64_e32 v[165:166], v[165:166], v[173:174]
	v_add_f64_e32 v[167:168], v[167:168], v[171:172]
	v_mul_f64_e32 v[171:172], v[44:45], v[159:160]
	v_fma_f64 v[173:174], v[4:5], v[34:35], v[175:176]
	v_fma_f64 v[175:176], v[2:3], v[34:35], -v[36:37]
	ds_load_b128 v[2:5], v1 offset:1344
	scratch_load_b128 v[34:37], off, off offset:640
	v_fma_f64 v[44:45], v[44:45], v[157:158], v[169:170]
	v_add_f64_e32 v[165:166], v[165:166], v[161:162]
	v_add_f64_e32 v[163:164], v[167:168], v[163:164]
	ds_load_b128 v[159:162], v1 offset:1360
	v_fma_f64 v[157:158], v[42:43], v[157:158], -v[171:172]
	s_wait_loadcnt_dscnt 0x801
	v_mul_f64_e32 v[167:168], v[2:3], v[40:41]
	v_mul_f64_e32 v[177:178], v[4:5], v[40:41]
	scratch_load_b128 v[40:43], off, off offset:656
	s_wait_loadcnt_dscnt 0x800
	v_mul_f64_e32 v[171:172], v[159:160], v[8:9]
	v_mul_f64_e32 v[8:9], v[161:162], v[8:9]
	v_add_f64_e32 v[165:166], v[165:166], v[175:176]
	v_add_f64_e32 v[163:164], v[163:164], v[173:174]
	v_fma_f64 v[173:174], v[4:5], v[38:39], v[167:168]
	v_fma_f64 v[38:39], v[2:3], v[38:39], -v[177:178]
	ds_load_b128 v[2:5], v1 offset:1376
	ds_load_b128 v[167:170], v1 offset:1392
	v_fma_f64 v[161:162], v[161:162], v[6:7], v[171:172]
	v_fma_f64 v[159:160], v[159:160], v[6:7], -v[8:9]
	scratch_load_b128 v[6:9], off, off offset:688
	v_add_f64_e32 v[157:158], v[165:166], v[157:158]
	v_add_f64_e32 v[44:45], v[163:164], v[44:45]
	scratch_load_b128 v[163:166], off, off offset:672
	s_wait_loadcnt_dscnt 0x901
	v_mul_f64_e32 v[175:176], v[2:3], v[12:13]
	v_mul_f64_e32 v[12:13], v[4:5], v[12:13]
	s_wait_loadcnt_dscnt 0x800
	v_mul_f64_e32 v[171:172], v[167:168], v[16:17]
	v_mul_f64_e32 v[16:17], v[169:170], v[16:17]
	v_add_f64_e32 v[38:39], v[157:158], v[38:39]
	v_add_f64_e32 v[44:45], v[44:45], v[173:174]
	v_fma_f64 v[173:174], v[4:5], v[10:11], v[175:176]
	v_fma_f64 v[175:176], v[2:3], v[10:11], -v[12:13]
	ds_load_b128 v[2:5], v1 offset:1408
	scratch_load_b128 v[10:13], off, off offset:704
	v_fma_f64 v[169:170], v[169:170], v[14:15], v[171:172]
	v_fma_f64 v[167:168], v[167:168], v[14:15], -v[16:17]
	scratch_load_b128 v[14:17], off, off offset:720
	v_add_f64_e32 v[38:39], v[38:39], v[159:160]
	v_add_f64_e32 v[44:45], v[44:45], v[161:162]
	ds_load_b128 v[157:160], v1 offset:1424
	s_wait_loadcnt_dscnt 0x901
	v_mul_f64_e32 v[161:162], v[2:3], v[20:21]
	v_mul_f64_e32 v[20:21], v[4:5], v[20:21]
	s_wait_loadcnt_dscnt 0x800
	v_mul_f64_e32 v[171:172], v[157:158], v[24:25]
	v_mul_f64_e32 v[24:25], v[159:160], v[24:25]
	v_add_f64_e32 v[38:39], v[38:39], v[175:176]
	v_add_f64_e32 v[44:45], v[44:45], v[173:174]
	v_fma_f64 v[161:162], v[4:5], v[18:19], v[161:162]
	v_fma_f64 v[173:174], v[2:3], v[18:19], -v[20:21]
	ds_load_b128 v[2:5], v1 offset:1440
	scratch_load_b128 v[18:21], off, off offset:736
	v_fma_f64 v[159:160], v[159:160], v[22:23], v[171:172]
	v_fma_f64 v[157:158], v[157:158], v[22:23], -v[24:25]
	scratch_load_b128 v[22:25], off, off offset:752
	v_add_f64_e32 v[38:39], v[38:39], v[167:168]
	v_add_f64_e32 v[44:45], v[44:45], v[169:170]
	ds_load_b128 v[167:170], v1 offset:1456
	s_wait_loadcnt_dscnt 0x901
	v_mul_f64_e32 v[175:176], v[2:3], v[28:29]
	v_mul_f64_e32 v[28:29], v[4:5], v[28:29]
	v_add_f64_e32 v[38:39], v[38:39], v[173:174]
	v_add_f64_e32 v[44:45], v[44:45], v[161:162]
	s_wait_loadcnt_dscnt 0x800
	v_mul_f64_e32 v[161:162], v[167:168], v[32:33]
	v_mul_f64_e32 v[32:33], v[169:170], v[32:33]
	v_fma_f64 v[171:172], v[4:5], v[26:27], v[175:176]
	v_fma_f64 v[173:174], v[2:3], v[26:27], -v[28:29]
	ds_load_b128 v[2:5], v1 offset:1472
	scratch_load_b128 v[26:29], off, off offset:768
	v_add_f64_e32 v[38:39], v[38:39], v[157:158]
	v_add_f64_e32 v[44:45], v[44:45], v[159:160]
	ds_load_b128 v[157:160], v1 offset:1488
	s_wait_loadcnt_dscnt 0x801
	v_mul_f64_e32 v[175:176], v[2:3], v[36:37]
	v_mul_f64_e32 v[36:37], v[4:5], v[36:37]
	v_fma_f64 v[161:162], v[169:170], v[30:31], v[161:162]
	v_fma_f64 v[167:168], v[167:168], v[30:31], -v[32:33]
	scratch_load_b128 v[30:33], off, off offset:784
	s_wait_loadcnt_dscnt 0x800
	v_mul_f64_e32 v[169:170], v[157:158], v[42:43]
	v_add_f64_e32 v[38:39], v[38:39], v[173:174]
	v_add_f64_e32 v[44:45], v[44:45], v[171:172]
	v_mul_f64_e32 v[171:172], v[159:160], v[42:43]
	v_fma_f64 v[173:174], v[4:5], v[34:35], v[175:176]
	v_fma_f64 v[175:176], v[2:3], v[34:35], -v[36:37]
	ds_load_b128 v[2:5], v1 offset:1504
	scratch_load_b128 v[34:37], off, off offset:800
	v_fma_f64 v[159:160], v[159:160], v[40:41], v[169:170]
	v_add_f64_e32 v[38:39], v[38:39], v[167:168]
	v_add_f64_e32 v[161:162], v[44:45], v[161:162]
	ds_load_b128 v[42:45], v1 offset:1520
	v_fma_f64 v[157:158], v[157:158], v[40:41], -v[171:172]
	s_wait_loadcnt_dscnt 0x701
	v_mul_f64_e32 v[167:168], v[2:3], v[165:166]
	v_mul_f64_e32 v[165:166], v[4:5], v[165:166]
	s_wait_dscnt 0x0
	v_mul_f64_e32 v[171:172], v[42:43], v[8:9]
	v_mul_f64_e32 v[8:9], v[44:45], v[8:9]
	v_add_f64_e32 v[169:170], v[38:39], v[175:176]
	v_add_f64_e32 v[161:162], v[161:162], v[173:174]
	scratch_load_b128 v[38:41], off, off offset:816
	v_fma_f64 v[167:168], v[4:5], v[163:164], v[167:168]
	v_fma_f64 v[165:166], v[2:3], v[163:164], -v[165:166]
	ds_load_b128 v[2:5], v1 offset:1536
	v_fma_f64 v[44:45], v[44:45], v[6:7], v[171:172]
	v_fma_f64 v[42:43], v[42:43], v[6:7], -v[8:9]
	scratch_load_b128 v[6:9], off, off offset:848
	v_add_f64_e32 v[169:170], v[169:170], v[157:158]
	v_add_f64_e32 v[173:174], v[161:162], v[159:160]
	scratch_load_b128 v[157:160], off, off offset:832
	ds_load_b128 v[161:164], v1 offset:1552
	s_wait_loadcnt_dscnt 0x901
	v_mul_f64_e32 v[175:176], v[2:3], v[12:13]
	v_mul_f64_e32 v[12:13], v[4:5], v[12:13]
	v_add_f64_e32 v[165:166], v[169:170], v[165:166]
	v_add_f64_e32 v[167:168], v[173:174], v[167:168]
	s_wait_loadcnt_dscnt 0x800
	v_mul_f64_e32 v[169:170], v[161:162], v[16:17]
	v_mul_f64_e32 v[16:17], v[163:164], v[16:17]
	v_fma_f64 v[171:172], v[4:5], v[10:11], v[175:176]
	v_fma_f64 v[173:174], v[2:3], v[10:11], -v[12:13]
	ds_load_b128 v[2:5], v1 offset:1568
	ds_load_b128 v[10:13], v1 offset:1584
	v_add_f64_e32 v[42:43], v[165:166], v[42:43]
	v_add_f64_e32 v[44:45], v[167:168], v[44:45]
	s_wait_loadcnt_dscnt 0x701
	v_mul_f64_e32 v[165:166], v[2:3], v[20:21]
	v_mul_f64_e32 v[20:21], v[4:5], v[20:21]
	v_fma_f64 v[163:164], v[163:164], v[14:15], v[169:170]
	v_fma_f64 v[14:15], v[161:162], v[14:15], -v[16:17]
	v_add_f64_e32 v[16:17], v[42:43], v[173:174]
	v_add_f64_e32 v[42:43], v[44:45], v[171:172]
	s_wait_loadcnt_dscnt 0x600
	v_mul_f64_e32 v[44:45], v[10:11], v[24:25]
	v_mul_f64_e32 v[24:25], v[12:13], v[24:25]
	v_fma_f64 v[161:162], v[4:5], v[18:19], v[165:166]
	v_fma_f64 v[18:19], v[2:3], v[18:19], -v[20:21]
	v_add_f64_e32 v[20:21], v[16:17], v[14:15]
	v_add_f64_e32 v[42:43], v[42:43], v[163:164]
	ds_load_b128 v[2:5], v1 offset:1600
	ds_load_b128 v[14:17], v1 offset:1616
	v_fma_f64 v[12:13], v[12:13], v[22:23], v[44:45]
	v_fma_f64 v[10:11], v[10:11], v[22:23], -v[24:25]
	s_wait_loadcnt_dscnt 0x501
	v_mul_f64_e32 v[163:164], v[2:3], v[28:29]
	v_mul_f64_e32 v[28:29], v[4:5], v[28:29]
	s_wait_loadcnt_dscnt 0x400
	v_mul_f64_e32 v[22:23], v[14:15], v[32:33]
	v_mul_f64_e32 v[24:25], v[16:17], v[32:33]
	v_add_f64_e32 v[18:19], v[20:21], v[18:19]
	v_add_f64_e32 v[20:21], v[42:43], v[161:162]
	v_fma_f64 v[32:33], v[4:5], v[26:27], v[163:164]
	v_fma_f64 v[26:27], v[2:3], v[26:27], -v[28:29]
	v_fma_f64 v[16:17], v[16:17], v[30:31], v[22:23]
	v_fma_f64 v[14:15], v[14:15], v[30:31], -v[24:25]
	v_add_f64_e32 v[18:19], v[18:19], v[10:11]
	v_add_f64_e32 v[20:21], v[20:21], v[12:13]
	ds_load_b128 v[2:5], v1 offset:1632
	ds_load_b128 v[10:13], v1 offset:1648
	s_wait_loadcnt_dscnt 0x301
	v_mul_f64_e32 v[28:29], v[2:3], v[36:37]
	v_mul_f64_e32 v[36:37], v[4:5], v[36:37]
	v_add_f64_e32 v[18:19], v[18:19], v[26:27]
	v_add_f64_e32 v[20:21], v[20:21], v[32:33]
	s_wait_loadcnt_dscnt 0x200
	v_mul_f64_e32 v[22:23], v[10:11], v[40:41]
	v_mul_f64_e32 v[24:25], v[12:13], v[40:41]
	v_fma_f64 v[26:27], v[4:5], v[34:35], v[28:29]
	v_fma_f64 v[28:29], v[2:3], v[34:35], -v[36:37]
	v_add_f64_e32 v[18:19], v[18:19], v[14:15]
	v_add_f64_e32 v[20:21], v[20:21], v[16:17]
	ds_load_b128 v[2:5], v1 offset:1664
	ds_load_b128 v[14:17], v1 offset:1680
	v_fma_f64 v[12:13], v[12:13], v[38:39], v[22:23]
	v_fma_f64 v[10:11], v[10:11], v[38:39], -v[24:25]
	s_wait_loadcnt_dscnt 0x1
	v_mul_f64_e32 v[30:31], v[2:3], v[159:160]
	v_mul_f64_e32 v[32:33], v[4:5], v[159:160]
	s_wait_dscnt 0x0
	v_mul_f64_e32 v[22:23], v[14:15], v[8:9]
	v_mul_f64_e32 v[8:9], v[16:17], v[8:9]
	v_add_f64_e32 v[18:19], v[18:19], v[28:29]
	v_add_f64_e32 v[20:21], v[20:21], v[26:27]
	v_fma_f64 v[4:5], v[4:5], v[157:158], v[30:31]
	v_fma_f64 v[1:2], v[2:3], v[157:158], -v[32:33]
	v_fma_f64 v[16:17], v[16:17], v[6:7], v[22:23]
	v_fma_f64 v[6:7], v[14:15], v[6:7], -v[8:9]
	v_add_f64_e32 v[10:11], v[18:19], v[10:11]
	v_add_f64_e32 v[12:13], v[20:21], v[12:13]
	s_delay_alu instid0(VALU_DEP_2) | instskip(NEXT) | instid1(VALU_DEP_2)
	v_add_f64_e32 v[1:2], v[10:11], v[1:2]
	v_add_f64_e32 v[3:4], v[12:13], v[4:5]
	s_delay_alu instid0(VALU_DEP_2) | instskip(NEXT) | instid1(VALU_DEP_2)
	;; [unrolled: 3-line block ×3, first 2 shown]
	v_add_f64_e64 v[1:2], v[153:154], -v[1:2]
	v_add_f64_e64 v[3:4], v[155:156], -v[3:4]
	scratch_store_b128 off, v[1:4], off offset:336
	v_cmpx_lt_u32_e32 19, v0
	s_cbranch_execz .LBB52_293
; %bb.292:
	scratch_load_b128 v[1:4], off, s47
	v_mov_b32_e32 v5, 0
	s_delay_alu instid0(VALU_DEP_1)
	v_dual_mov_b32 v6, v5 :: v_dual_mov_b32 v7, v5
	v_mov_b32_e32 v8, v5
	scratch_store_b128 off, v[5:8], off offset:320
	s_wait_loadcnt 0x0
	ds_store_b128 v152, v[1:4]
.LBB52_293:
	s_wait_alu 0xfffe
	s_or_b32 exec_lo, exec_lo, s0
	s_wait_storecnt_dscnt 0x0
	s_barrier_signal -1
	s_barrier_wait -1
	global_inv scope:SCOPE_SE
	s_clause 0x7
	scratch_load_b128 v[2:5], off, off offset:336
	scratch_load_b128 v[6:9], off, off offset:352
	;; [unrolled: 1-line block ×8, first 2 shown]
	v_mov_b32_e32 v1, 0
	s_mov_b32 s0, exec_lo
	ds_load_b128 v[34:37], v1 offset:1168
	s_clause 0x1
	scratch_load_b128 v[38:41], off, off offset:464
	scratch_load_b128 v[42:45], off, off offset:320
	ds_load_b128 v[153:156], v1 offset:1184
	scratch_load_b128 v[157:160], off, off offset:480
	s_wait_loadcnt_dscnt 0xa01
	v_mul_f64_e32 v[161:162], v[36:37], v[4:5]
	v_mul_f64_e32 v[4:5], v[34:35], v[4:5]
	s_delay_alu instid0(VALU_DEP_2) | instskip(NEXT) | instid1(VALU_DEP_2)
	v_fma_f64 v[167:168], v[34:35], v[2:3], -v[161:162]
	v_fma_f64 v[169:170], v[36:37], v[2:3], v[4:5]
	ds_load_b128 v[2:5], v1 offset:1200
	s_wait_loadcnt_dscnt 0x901
	v_mul_f64_e32 v[165:166], v[153:154], v[8:9]
	v_mul_f64_e32 v[8:9], v[155:156], v[8:9]
	scratch_load_b128 v[34:37], off, off offset:496
	ds_load_b128 v[161:164], v1 offset:1216
	s_wait_loadcnt_dscnt 0x901
	v_mul_f64_e32 v[171:172], v[2:3], v[12:13]
	v_mul_f64_e32 v[12:13], v[4:5], v[12:13]
	v_fma_f64 v[155:156], v[155:156], v[6:7], v[165:166]
	v_fma_f64 v[153:154], v[153:154], v[6:7], -v[8:9]
	v_add_f64_e32 v[165:166], 0, v[167:168]
	v_add_f64_e32 v[167:168], 0, v[169:170]
	scratch_load_b128 v[6:9], off, off offset:512
	v_fma_f64 v[171:172], v[4:5], v[10:11], v[171:172]
	v_fma_f64 v[173:174], v[2:3], v[10:11], -v[12:13]
	ds_load_b128 v[2:5], v1 offset:1232
	s_wait_loadcnt_dscnt 0x901
	v_mul_f64_e32 v[169:170], v[161:162], v[16:17]
	v_mul_f64_e32 v[16:17], v[163:164], v[16:17]
	scratch_load_b128 v[10:13], off, off offset:528
	v_add_f64_e32 v[165:166], v[165:166], v[153:154]
	v_add_f64_e32 v[167:168], v[167:168], v[155:156]
	s_wait_loadcnt_dscnt 0x900
	v_mul_f64_e32 v[175:176], v[2:3], v[20:21]
	v_mul_f64_e32 v[20:21], v[4:5], v[20:21]
	ds_load_b128 v[153:156], v1 offset:1248
	v_fma_f64 v[163:164], v[163:164], v[14:15], v[169:170]
	v_fma_f64 v[161:162], v[161:162], v[14:15], -v[16:17]
	scratch_load_b128 v[14:17], off, off offset:544
	v_add_f64_e32 v[165:166], v[165:166], v[173:174]
	v_add_f64_e32 v[167:168], v[167:168], v[171:172]
	v_fma_f64 v[171:172], v[4:5], v[18:19], v[175:176]
	v_fma_f64 v[173:174], v[2:3], v[18:19], -v[20:21]
	ds_load_b128 v[2:5], v1 offset:1264
	s_wait_loadcnt_dscnt 0x901
	v_mul_f64_e32 v[169:170], v[153:154], v[24:25]
	v_mul_f64_e32 v[24:25], v[155:156], v[24:25]
	scratch_load_b128 v[18:21], off, off offset:560
	s_wait_loadcnt_dscnt 0x900
	v_mul_f64_e32 v[175:176], v[2:3], v[28:29]
	v_mul_f64_e32 v[28:29], v[4:5], v[28:29]
	v_add_f64_e32 v[165:166], v[165:166], v[161:162]
	v_add_f64_e32 v[167:168], v[167:168], v[163:164]
	ds_load_b128 v[161:164], v1 offset:1280
	v_fma_f64 v[155:156], v[155:156], v[22:23], v[169:170]
	v_fma_f64 v[153:154], v[153:154], v[22:23], -v[24:25]
	scratch_load_b128 v[22:25], off, off offset:576
	v_add_f64_e32 v[165:166], v[165:166], v[173:174]
	v_add_f64_e32 v[167:168], v[167:168], v[171:172]
	v_fma_f64 v[171:172], v[4:5], v[26:27], v[175:176]
	v_fma_f64 v[173:174], v[2:3], v[26:27], -v[28:29]
	ds_load_b128 v[2:5], v1 offset:1296
	s_wait_loadcnt_dscnt 0x901
	v_mul_f64_e32 v[169:170], v[161:162], v[32:33]
	v_mul_f64_e32 v[32:33], v[163:164], v[32:33]
	scratch_load_b128 v[26:29], off, off offset:592
	s_wait_loadcnt_dscnt 0x900
	v_mul_f64_e32 v[175:176], v[2:3], v[40:41]
	v_mul_f64_e32 v[40:41], v[4:5], v[40:41]
	v_add_f64_e32 v[165:166], v[165:166], v[153:154]
	v_add_f64_e32 v[167:168], v[167:168], v[155:156]
	ds_load_b128 v[153:156], v1 offset:1312
	v_fma_f64 v[163:164], v[163:164], v[30:31], v[169:170]
	v_fma_f64 v[161:162], v[161:162], v[30:31], -v[32:33]
	scratch_load_b128 v[30:33], off, off offset:608
	v_add_f64_e32 v[165:166], v[165:166], v[173:174]
	v_add_f64_e32 v[167:168], v[167:168], v[171:172]
	v_fma_f64 v[173:174], v[4:5], v[38:39], v[175:176]
	v_fma_f64 v[175:176], v[2:3], v[38:39], -v[40:41]
	ds_load_b128 v[2:5], v1 offset:1328
	s_wait_loadcnt_dscnt 0x801
	v_mul_f64_e32 v[169:170], v[153:154], v[159:160]
	v_mul_f64_e32 v[171:172], v[155:156], v[159:160]
	scratch_load_b128 v[38:41], off, off offset:624
	v_add_f64_e32 v[165:166], v[165:166], v[161:162]
	v_add_f64_e32 v[163:164], v[167:168], v[163:164]
	ds_load_b128 v[159:162], v1 offset:1344
	v_fma_f64 v[169:170], v[155:156], v[157:158], v[169:170]
	v_fma_f64 v[157:158], v[153:154], v[157:158], -v[171:172]
	scratch_load_b128 v[153:156], off, off offset:640
	s_wait_loadcnt_dscnt 0x901
	v_mul_f64_e32 v[167:168], v[2:3], v[36:37]
	v_mul_f64_e32 v[36:37], v[4:5], v[36:37]
	v_add_f64_e32 v[165:166], v[165:166], v[175:176]
	v_add_f64_e32 v[163:164], v[163:164], v[173:174]
	s_delay_alu instid0(VALU_DEP_4) | instskip(NEXT) | instid1(VALU_DEP_4)
	v_fma_f64 v[167:168], v[4:5], v[34:35], v[167:168]
	v_fma_f64 v[173:174], v[2:3], v[34:35], -v[36:37]
	ds_load_b128 v[2:5], v1 offset:1360
	s_wait_loadcnt_dscnt 0x801
	v_mul_f64_e32 v[171:172], v[159:160], v[8:9]
	v_mul_f64_e32 v[8:9], v[161:162], v[8:9]
	scratch_load_b128 v[34:37], off, off offset:656
	s_wait_loadcnt_dscnt 0x800
	v_mul_f64_e32 v[175:176], v[2:3], v[12:13]
	v_add_f64_e32 v[157:158], v[165:166], v[157:158]
	v_add_f64_e32 v[169:170], v[163:164], v[169:170]
	v_mul_f64_e32 v[12:13], v[4:5], v[12:13]
	ds_load_b128 v[163:166], v1 offset:1376
	v_fma_f64 v[161:162], v[161:162], v[6:7], v[171:172]
	v_fma_f64 v[159:160], v[159:160], v[6:7], -v[8:9]
	scratch_load_b128 v[6:9], off, off offset:672
	v_fma_f64 v[171:172], v[4:5], v[10:11], v[175:176]
	v_add_f64_e32 v[157:158], v[157:158], v[173:174]
	v_add_f64_e32 v[167:168], v[169:170], v[167:168]
	v_fma_f64 v[173:174], v[2:3], v[10:11], -v[12:13]
	ds_load_b128 v[2:5], v1 offset:1392
	s_wait_loadcnt_dscnt 0x801
	v_mul_f64_e32 v[169:170], v[163:164], v[16:17]
	v_mul_f64_e32 v[16:17], v[165:166], v[16:17]
	scratch_load_b128 v[10:13], off, off offset:688
	v_add_f64_e32 v[175:176], v[157:158], v[159:160]
	v_add_f64_e32 v[161:162], v[167:168], v[161:162]
	s_wait_loadcnt_dscnt 0x800
	v_mul_f64_e32 v[167:168], v[2:3], v[20:21]
	v_mul_f64_e32 v[20:21], v[4:5], v[20:21]
	v_fma_f64 v[165:166], v[165:166], v[14:15], v[169:170]
	v_fma_f64 v[163:164], v[163:164], v[14:15], -v[16:17]
	ds_load_b128 v[157:160], v1 offset:1408
	scratch_load_b128 v[14:17], off, off offset:704
	v_add_f64_e32 v[169:170], v[175:176], v[173:174]
	v_add_f64_e32 v[161:162], v[161:162], v[171:172]
	v_fma_f64 v[167:168], v[4:5], v[18:19], v[167:168]
	v_fma_f64 v[173:174], v[2:3], v[18:19], -v[20:21]
	ds_load_b128 v[2:5], v1 offset:1424
	s_wait_loadcnt_dscnt 0x801
	v_mul_f64_e32 v[171:172], v[157:158], v[24:25]
	v_mul_f64_e32 v[24:25], v[159:160], v[24:25]
	scratch_load_b128 v[18:21], off, off offset:720
	s_wait_loadcnt_dscnt 0x800
	v_mul_f64_e32 v[175:176], v[2:3], v[28:29]
	v_mul_f64_e32 v[28:29], v[4:5], v[28:29]
	v_add_f64_e32 v[169:170], v[169:170], v[163:164]
	v_add_f64_e32 v[165:166], v[161:162], v[165:166]
	ds_load_b128 v[161:164], v1 offset:1440
	v_fma_f64 v[159:160], v[159:160], v[22:23], v[171:172]
	v_fma_f64 v[157:158], v[157:158], v[22:23], -v[24:25]
	scratch_load_b128 v[22:25], off, off offset:736
	v_fma_f64 v[171:172], v[4:5], v[26:27], v[175:176]
	v_add_f64_e32 v[169:170], v[169:170], v[173:174]
	v_add_f64_e32 v[165:166], v[165:166], v[167:168]
	v_fma_f64 v[173:174], v[2:3], v[26:27], -v[28:29]
	ds_load_b128 v[2:5], v1 offset:1456
	s_wait_loadcnt_dscnt 0x801
	v_mul_f64_e32 v[167:168], v[161:162], v[32:33]
	v_mul_f64_e32 v[32:33], v[163:164], v[32:33]
	scratch_load_b128 v[26:29], off, off offset:752
	s_wait_loadcnt_dscnt 0x800
	v_mul_f64_e32 v[175:176], v[2:3], v[40:41]
	v_mul_f64_e32 v[40:41], v[4:5], v[40:41]
	v_add_f64_e32 v[169:170], v[169:170], v[157:158]
	v_add_f64_e32 v[165:166], v[165:166], v[159:160]
	ds_load_b128 v[157:160], v1 offset:1472
	v_fma_f64 v[163:164], v[163:164], v[30:31], v[167:168]
	v_fma_f64 v[161:162], v[161:162], v[30:31], -v[32:33]
	scratch_load_b128 v[30:33], off, off offset:768
	v_add_f64_e32 v[167:168], v[169:170], v[173:174]
	v_add_f64_e32 v[165:166], v[165:166], v[171:172]
	v_fma_f64 v[171:172], v[4:5], v[38:39], v[175:176]
	v_fma_f64 v[173:174], v[2:3], v[38:39], -v[40:41]
	ds_load_b128 v[2:5], v1 offset:1488
	s_wait_loadcnt_dscnt 0x801
	v_mul_f64_e32 v[169:170], v[157:158], v[155:156]
	v_mul_f64_e32 v[155:156], v[159:160], v[155:156]
	scratch_load_b128 v[38:41], off, off offset:784
	s_wait_loadcnt_dscnt 0x800
	v_mul_f64_e32 v[175:176], v[2:3], v[36:37]
	v_mul_f64_e32 v[36:37], v[4:5], v[36:37]
	v_add_f64_e32 v[167:168], v[167:168], v[161:162]
	v_add_f64_e32 v[165:166], v[165:166], v[163:164]
	ds_load_b128 v[161:164], v1 offset:1504
	v_fma_f64 v[159:160], v[159:160], v[153:154], v[169:170]
	v_fma_f64 v[157:158], v[157:158], v[153:154], -v[155:156]
	scratch_load_b128 v[153:156], off, off offset:800
	v_add_f64_e32 v[167:168], v[167:168], v[173:174]
	v_add_f64_e32 v[165:166], v[165:166], v[171:172]
	v_fma_f64 v[171:172], v[4:5], v[34:35], v[175:176]
	;; [unrolled: 18-line block ×3, first 2 shown]
	v_fma_f64 v[173:174], v[2:3], v[10:11], -v[12:13]
	ds_load_b128 v[2:5], v1 offset:1552
	s_wait_loadcnt_dscnt 0x801
	v_mul_f64_e32 v[169:170], v[157:158], v[16:17]
	v_mul_f64_e32 v[16:17], v[159:160], v[16:17]
	scratch_load_b128 v[10:13], off, off offset:848
	s_wait_loadcnt_dscnt 0x800
	v_mul_f64_e32 v[175:176], v[2:3], v[20:21]
	v_mul_f64_e32 v[20:21], v[4:5], v[20:21]
	v_add_f64_e32 v[167:168], v[167:168], v[161:162]
	v_add_f64_e32 v[165:166], v[165:166], v[163:164]
	ds_load_b128 v[161:164], v1 offset:1568
	v_fma_f64 v[159:160], v[159:160], v[14:15], v[169:170]
	v_fma_f64 v[14:15], v[157:158], v[14:15], -v[16:17]
	v_add_f64_e32 v[16:17], v[167:168], v[173:174]
	v_add_f64_e32 v[157:158], v[165:166], v[171:172]
	s_wait_loadcnt_dscnt 0x700
	v_mul_f64_e32 v[165:166], v[161:162], v[24:25]
	v_mul_f64_e32 v[24:25], v[163:164], v[24:25]
	v_fma_f64 v[167:168], v[4:5], v[18:19], v[175:176]
	v_fma_f64 v[18:19], v[2:3], v[18:19], -v[20:21]
	v_add_f64_e32 v[20:21], v[16:17], v[14:15]
	v_add_f64_e32 v[157:158], v[157:158], v[159:160]
	ds_load_b128 v[2:5], v1 offset:1584
	ds_load_b128 v[14:17], v1 offset:1600
	v_fma_f64 v[163:164], v[163:164], v[22:23], v[165:166]
	v_fma_f64 v[22:23], v[161:162], v[22:23], -v[24:25]
	s_wait_loadcnt_dscnt 0x601
	v_mul_f64_e32 v[159:160], v[2:3], v[28:29]
	v_mul_f64_e32 v[28:29], v[4:5], v[28:29]
	s_wait_loadcnt_dscnt 0x500
	v_mul_f64_e32 v[24:25], v[14:15], v[32:33]
	v_mul_f64_e32 v[32:33], v[16:17], v[32:33]
	v_add_f64_e32 v[18:19], v[20:21], v[18:19]
	v_add_f64_e32 v[20:21], v[157:158], v[167:168]
	v_fma_f64 v[157:158], v[4:5], v[26:27], v[159:160]
	v_fma_f64 v[26:27], v[2:3], v[26:27], -v[28:29]
	v_fma_f64 v[16:17], v[16:17], v[30:31], v[24:25]
	v_fma_f64 v[14:15], v[14:15], v[30:31], -v[32:33]
	v_add_f64_e32 v[22:23], v[18:19], v[22:23]
	v_add_f64_e32 v[28:29], v[20:21], v[163:164]
	ds_load_b128 v[2:5], v1 offset:1616
	ds_load_b128 v[18:21], v1 offset:1632
	s_wait_loadcnt_dscnt 0x401
	v_mul_f64_e32 v[159:160], v[2:3], v[40:41]
	v_mul_f64_e32 v[40:41], v[4:5], v[40:41]
	v_add_f64_e32 v[22:23], v[22:23], v[26:27]
	v_add_f64_e32 v[24:25], v[28:29], v[157:158]
	s_wait_loadcnt_dscnt 0x300
	v_mul_f64_e32 v[26:27], v[18:19], v[155:156]
	v_mul_f64_e32 v[28:29], v[20:21], v[155:156]
	v_fma_f64 v[30:31], v[4:5], v[38:39], v[159:160]
	v_fma_f64 v[32:33], v[2:3], v[38:39], -v[40:41]
	v_add_f64_e32 v[22:23], v[22:23], v[14:15]
	v_add_f64_e32 v[24:25], v[24:25], v[16:17]
	ds_load_b128 v[2:5], v1 offset:1648
	ds_load_b128 v[14:17], v1 offset:1664
	v_fma_f64 v[20:21], v[20:21], v[153:154], v[26:27]
	v_fma_f64 v[18:19], v[18:19], v[153:154], -v[28:29]
	s_wait_loadcnt_dscnt 0x201
	v_mul_f64_e32 v[38:39], v[2:3], v[36:37]
	v_mul_f64_e32 v[36:37], v[4:5], v[36:37]
	s_wait_loadcnt_dscnt 0x100
	v_mul_f64_e32 v[26:27], v[14:15], v[8:9]
	v_mul_f64_e32 v[8:9], v[16:17], v[8:9]
	v_add_f64_e32 v[22:23], v[22:23], v[32:33]
	v_add_f64_e32 v[24:25], v[24:25], v[30:31]
	v_fma_f64 v[28:29], v[4:5], v[34:35], v[38:39]
	v_fma_f64 v[30:31], v[2:3], v[34:35], -v[36:37]
	ds_load_b128 v[2:5], v1 offset:1680
	v_fma_f64 v[16:17], v[16:17], v[6:7], v[26:27]
	v_fma_f64 v[6:7], v[14:15], v[6:7], -v[8:9]
	v_add_f64_e32 v[18:19], v[22:23], v[18:19]
	v_add_f64_e32 v[20:21], v[24:25], v[20:21]
	s_wait_loadcnt_dscnt 0x0
	v_mul_f64_e32 v[22:23], v[2:3], v[12:13]
	v_mul_f64_e32 v[12:13], v[4:5], v[12:13]
	s_delay_alu instid0(VALU_DEP_4) | instskip(NEXT) | instid1(VALU_DEP_4)
	v_add_f64_e32 v[8:9], v[18:19], v[30:31]
	v_add_f64_e32 v[14:15], v[20:21], v[28:29]
	s_delay_alu instid0(VALU_DEP_4) | instskip(NEXT) | instid1(VALU_DEP_4)
	v_fma_f64 v[4:5], v[4:5], v[10:11], v[22:23]
	v_fma_f64 v[2:3], v[2:3], v[10:11], -v[12:13]
	s_delay_alu instid0(VALU_DEP_4) | instskip(NEXT) | instid1(VALU_DEP_4)
	v_add_f64_e32 v[6:7], v[8:9], v[6:7]
	v_add_f64_e32 v[8:9], v[14:15], v[16:17]
	s_delay_alu instid0(VALU_DEP_2) | instskip(NEXT) | instid1(VALU_DEP_2)
	v_add_f64_e32 v[2:3], v[6:7], v[2:3]
	v_add_f64_e32 v[4:5], v[8:9], v[4:5]
	s_delay_alu instid0(VALU_DEP_2) | instskip(NEXT) | instid1(VALU_DEP_2)
	v_add_f64_e64 v[2:3], v[42:43], -v[2:3]
	v_add_f64_e64 v[4:5], v[44:45], -v[4:5]
	scratch_store_b128 off, v[2:5], off offset:320
	v_cmpx_lt_u32_e32 18, v0
	s_cbranch_execz .LBB52_295
; %bb.294:
	scratch_load_b128 v[5:8], off, s48
	v_dual_mov_b32 v2, v1 :: v_dual_mov_b32 v3, v1
	v_mov_b32_e32 v4, v1
	scratch_store_b128 off, v[1:4], off offset:304
	s_wait_loadcnt 0x0
	ds_store_b128 v152, v[5:8]
.LBB52_295:
	s_wait_alu 0xfffe
	s_or_b32 exec_lo, exec_lo, s0
	s_wait_storecnt_dscnt 0x0
	s_barrier_signal -1
	s_barrier_wait -1
	global_inv scope:SCOPE_SE
	s_clause 0x8
	scratch_load_b128 v[2:5], off, off offset:320
	scratch_load_b128 v[6:9], off, off offset:336
	;; [unrolled: 1-line block ×9, first 2 shown]
	ds_load_b128 v[38:41], v1 offset:1152
	ds_load_b128 v[42:45], v1 offset:1168
	s_clause 0x1
	scratch_load_b128 v[153:156], off, off offset:304
	scratch_load_b128 v[157:160], off, off offset:464
	s_mov_b32 s0, exec_lo
	s_wait_loadcnt_dscnt 0xa01
	v_mul_f64_e32 v[161:162], v[40:41], v[4:5]
	v_mul_f64_e32 v[4:5], v[38:39], v[4:5]
	s_wait_loadcnt_dscnt 0x900
	v_mul_f64_e32 v[165:166], v[42:43], v[8:9]
	v_mul_f64_e32 v[8:9], v[44:45], v[8:9]
	s_delay_alu instid0(VALU_DEP_4) | instskip(NEXT) | instid1(VALU_DEP_4)
	v_fma_f64 v[167:168], v[38:39], v[2:3], -v[161:162]
	v_fma_f64 v[169:170], v[40:41], v[2:3], v[4:5]
	ds_load_b128 v[2:5], v1 offset:1184
	ds_load_b128 v[161:164], v1 offset:1200
	scratch_load_b128 v[38:41], off, off offset:480
	v_fma_f64 v[44:45], v[44:45], v[6:7], v[165:166]
	v_fma_f64 v[42:43], v[42:43], v[6:7], -v[8:9]
	scratch_load_b128 v[6:9], off, off offset:496
	s_wait_loadcnt_dscnt 0xa01
	v_mul_f64_e32 v[171:172], v[2:3], v[12:13]
	v_mul_f64_e32 v[12:13], v[4:5], v[12:13]
	v_add_f64_e32 v[165:166], 0, v[167:168]
	v_add_f64_e32 v[167:168], 0, v[169:170]
	s_wait_loadcnt_dscnt 0x900
	v_mul_f64_e32 v[169:170], v[161:162], v[16:17]
	v_mul_f64_e32 v[16:17], v[163:164], v[16:17]
	v_fma_f64 v[171:172], v[4:5], v[10:11], v[171:172]
	v_fma_f64 v[173:174], v[2:3], v[10:11], -v[12:13]
	ds_load_b128 v[2:5], v1 offset:1216
	scratch_load_b128 v[10:13], off, off offset:512
	v_add_f64_e32 v[165:166], v[165:166], v[42:43]
	v_add_f64_e32 v[167:168], v[167:168], v[44:45]
	ds_load_b128 v[42:45], v1 offset:1232
	v_fma_f64 v[163:164], v[163:164], v[14:15], v[169:170]
	v_fma_f64 v[161:162], v[161:162], v[14:15], -v[16:17]
	scratch_load_b128 v[14:17], off, off offset:528
	s_wait_loadcnt_dscnt 0xa01
	v_mul_f64_e32 v[175:176], v[2:3], v[20:21]
	v_mul_f64_e32 v[20:21], v[4:5], v[20:21]
	s_wait_loadcnt_dscnt 0x900
	v_mul_f64_e32 v[169:170], v[42:43], v[24:25]
	v_mul_f64_e32 v[24:25], v[44:45], v[24:25]
	v_add_f64_e32 v[165:166], v[165:166], v[173:174]
	v_add_f64_e32 v[167:168], v[167:168], v[171:172]
	v_fma_f64 v[171:172], v[4:5], v[18:19], v[175:176]
	v_fma_f64 v[173:174], v[2:3], v[18:19], -v[20:21]
	ds_load_b128 v[2:5], v1 offset:1248
	scratch_load_b128 v[18:21], off, off offset:544
	v_fma_f64 v[44:45], v[44:45], v[22:23], v[169:170]
	v_fma_f64 v[42:43], v[42:43], v[22:23], -v[24:25]
	scratch_load_b128 v[22:25], off, off offset:560
	v_add_f64_e32 v[165:166], v[165:166], v[161:162]
	v_add_f64_e32 v[167:168], v[167:168], v[163:164]
	ds_load_b128 v[161:164], v1 offset:1264
	s_wait_loadcnt_dscnt 0xa01
	v_mul_f64_e32 v[175:176], v[2:3], v[28:29]
	v_mul_f64_e32 v[28:29], v[4:5], v[28:29]
	s_wait_loadcnt_dscnt 0x900
	v_mul_f64_e32 v[169:170], v[161:162], v[32:33]
	v_mul_f64_e32 v[32:33], v[163:164], v[32:33]
	v_add_f64_e32 v[165:166], v[165:166], v[173:174]
	v_add_f64_e32 v[167:168], v[167:168], v[171:172]
	v_fma_f64 v[171:172], v[4:5], v[26:27], v[175:176]
	v_fma_f64 v[173:174], v[2:3], v[26:27], -v[28:29]
	ds_load_b128 v[2:5], v1 offset:1280
	scratch_load_b128 v[26:29], off, off offset:576
	v_fma_f64 v[163:164], v[163:164], v[30:31], v[169:170]
	v_fma_f64 v[161:162], v[161:162], v[30:31], -v[32:33]
	scratch_load_b128 v[30:33], off, off offset:592
	v_add_f64_e32 v[165:166], v[165:166], v[42:43]
	v_add_f64_e32 v[167:168], v[167:168], v[44:45]
	ds_load_b128 v[42:45], v1 offset:1296
	s_wait_loadcnt_dscnt 0xa01
	v_mul_f64_e32 v[175:176], v[2:3], v[36:37]
	v_mul_f64_e32 v[36:37], v[4:5], v[36:37]
	s_wait_loadcnt_dscnt 0x800
	v_mul_f64_e32 v[169:170], v[42:43], v[159:160]
	v_add_f64_e32 v[165:166], v[165:166], v[173:174]
	v_add_f64_e32 v[167:168], v[167:168], v[171:172]
	v_mul_f64_e32 v[171:172], v[44:45], v[159:160]
	v_fma_f64 v[173:174], v[4:5], v[34:35], v[175:176]
	v_fma_f64 v[175:176], v[2:3], v[34:35], -v[36:37]
	ds_load_b128 v[2:5], v1 offset:1312
	scratch_load_b128 v[34:37], off, off offset:608
	v_fma_f64 v[44:45], v[44:45], v[157:158], v[169:170]
	v_add_f64_e32 v[165:166], v[165:166], v[161:162]
	v_add_f64_e32 v[163:164], v[167:168], v[163:164]
	ds_load_b128 v[159:162], v1 offset:1328
	v_fma_f64 v[157:158], v[42:43], v[157:158], -v[171:172]
	s_wait_loadcnt_dscnt 0x801
	v_mul_f64_e32 v[167:168], v[2:3], v[40:41]
	v_mul_f64_e32 v[177:178], v[4:5], v[40:41]
	scratch_load_b128 v[40:43], off, off offset:624
	s_wait_loadcnt_dscnt 0x800
	v_mul_f64_e32 v[171:172], v[159:160], v[8:9]
	v_mul_f64_e32 v[8:9], v[161:162], v[8:9]
	v_add_f64_e32 v[165:166], v[165:166], v[175:176]
	v_add_f64_e32 v[163:164], v[163:164], v[173:174]
	v_fma_f64 v[173:174], v[4:5], v[38:39], v[167:168]
	v_fma_f64 v[38:39], v[2:3], v[38:39], -v[177:178]
	ds_load_b128 v[2:5], v1 offset:1344
	ds_load_b128 v[167:170], v1 offset:1360
	v_fma_f64 v[161:162], v[161:162], v[6:7], v[171:172]
	v_fma_f64 v[159:160], v[159:160], v[6:7], -v[8:9]
	scratch_load_b128 v[6:9], off, off offset:656
	v_add_f64_e32 v[157:158], v[165:166], v[157:158]
	v_add_f64_e32 v[44:45], v[163:164], v[44:45]
	scratch_load_b128 v[163:166], off, off offset:640
	s_wait_loadcnt_dscnt 0x901
	v_mul_f64_e32 v[175:176], v[2:3], v[12:13]
	v_mul_f64_e32 v[12:13], v[4:5], v[12:13]
	s_wait_loadcnt_dscnt 0x800
	v_mul_f64_e32 v[171:172], v[167:168], v[16:17]
	v_mul_f64_e32 v[16:17], v[169:170], v[16:17]
	v_add_f64_e32 v[38:39], v[157:158], v[38:39]
	v_add_f64_e32 v[44:45], v[44:45], v[173:174]
	v_fma_f64 v[173:174], v[4:5], v[10:11], v[175:176]
	v_fma_f64 v[175:176], v[2:3], v[10:11], -v[12:13]
	ds_load_b128 v[2:5], v1 offset:1376
	scratch_load_b128 v[10:13], off, off offset:672
	v_fma_f64 v[169:170], v[169:170], v[14:15], v[171:172]
	v_fma_f64 v[167:168], v[167:168], v[14:15], -v[16:17]
	scratch_load_b128 v[14:17], off, off offset:688
	v_add_f64_e32 v[38:39], v[38:39], v[159:160]
	v_add_f64_e32 v[44:45], v[44:45], v[161:162]
	ds_load_b128 v[157:160], v1 offset:1392
	s_wait_loadcnt_dscnt 0x901
	v_mul_f64_e32 v[161:162], v[2:3], v[20:21]
	v_mul_f64_e32 v[20:21], v[4:5], v[20:21]
	s_wait_loadcnt_dscnt 0x800
	v_mul_f64_e32 v[171:172], v[157:158], v[24:25]
	v_mul_f64_e32 v[24:25], v[159:160], v[24:25]
	v_add_f64_e32 v[38:39], v[38:39], v[175:176]
	v_add_f64_e32 v[44:45], v[44:45], v[173:174]
	v_fma_f64 v[161:162], v[4:5], v[18:19], v[161:162]
	v_fma_f64 v[173:174], v[2:3], v[18:19], -v[20:21]
	ds_load_b128 v[2:5], v1 offset:1408
	scratch_load_b128 v[18:21], off, off offset:704
	v_fma_f64 v[159:160], v[159:160], v[22:23], v[171:172]
	v_fma_f64 v[157:158], v[157:158], v[22:23], -v[24:25]
	scratch_load_b128 v[22:25], off, off offset:720
	v_add_f64_e32 v[38:39], v[38:39], v[167:168]
	v_add_f64_e32 v[44:45], v[44:45], v[169:170]
	ds_load_b128 v[167:170], v1 offset:1424
	s_wait_loadcnt_dscnt 0x901
	v_mul_f64_e32 v[175:176], v[2:3], v[28:29]
	v_mul_f64_e32 v[28:29], v[4:5], v[28:29]
	v_add_f64_e32 v[38:39], v[38:39], v[173:174]
	v_add_f64_e32 v[44:45], v[44:45], v[161:162]
	s_wait_loadcnt_dscnt 0x800
	v_mul_f64_e32 v[161:162], v[167:168], v[32:33]
	v_mul_f64_e32 v[32:33], v[169:170], v[32:33]
	v_fma_f64 v[171:172], v[4:5], v[26:27], v[175:176]
	v_fma_f64 v[173:174], v[2:3], v[26:27], -v[28:29]
	ds_load_b128 v[2:5], v1 offset:1440
	scratch_load_b128 v[26:29], off, off offset:736
	v_add_f64_e32 v[38:39], v[38:39], v[157:158]
	v_add_f64_e32 v[44:45], v[44:45], v[159:160]
	ds_load_b128 v[157:160], v1 offset:1456
	s_wait_loadcnt_dscnt 0x801
	v_mul_f64_e32 v[175:176], v[2:3], v[36:37]
	v_mul_f64_e32 v[36:37], v[4:5], v[36:37]
	v_fma_f64 v[161:162], v[169:170], v[30:31], v[161:162]
	v_fma_f64 v[167:168], v[167:168], v[30:31], -v[32:33]
	scratch_load_b128 v[30:33], off, off offset:752
	s_wait_loadcnt_dscnt 0x800
	v_mul_f64_e32 v[169:170], v[157:158], v[42:43]
	v_add_f64_e32 v[38:39], v[38:39], v[173:174]
	v_add_f64_e32 v[44:45], v[44:45], v[171:172]
	v_mul_f64_e32 v[171:172], v[159:160], v[42:43]
	v_fma_f64 v[173:174], v[4:5], v[34:35], v[175:176]
	v_fma_f64 v[175:176], v[2:3], v[34:35], -v[36:37]
	ds_load_b128 v[2:5], v1 offset:1472
	scratch_load_b128 v[34:37], off, off offset:768
	v_fma_f64 v[159:160], v[159:160], v[40:41], v[169:170]
	v_add_f64_e32 v[38:39], v[38:39], v[167:168]
	v_add_f64_e32 v[161:162], v[44:45], v[161:162]
	ds_load_b128 v[42:45], v1 offset:1488
	v_fma_f64 v[157:158], v[157:158], v[40:41], -v[171:172]
	s_wait_loadcnt_dscnt 0x701
	v_mul_f64_e32 v[167:168], v[2:3], v[165:166]
	v_mul_f64_e32 v[165:166], v[4:5], v[165:166]
	s_wait_dscnt 0x0
	v_mul_f64_e32 v[171:172], v[42:43], v[8:9]
	v_mul_f64_e32 v[8:9], v[44:45], v[8:9]
	v_add_f64_e32 v[169:170], v[38:39], v[175:176]
	v_add_f64_e32 v[161:162], v[161:162], v[173:174]
	scratch_load_b128 v[38:41], off, off offset:784
	v_fma_f64 v[167:168], v[4:5], v[163:164], v[167:168]
	v_fma_f64 v[165:166], v[2:3], v[163:164], -v[165:166]
	ds_load_b128 v[2:5], v1 offset:1504
	v_fma_f64 v[44:45], v[44:45], v[6:7], v[171:172]
	v_fma_f64 v[42:43], v[42:43], v[6:7], -v[8:9]
	scratch_load_b128 v[6:9], off, off offset:816
	v_add_f64_e32 v[169:170], v[169:170], v[157:158]
	v_add_f64_e32 v[173:174], v[161:162], v[159:160]
	scratch_load_b128 v[157:160], off, off offset:800
	ds_load_b128 v[161:164], v1 offset:1520
	s_wait_loadcnt_dscnt 0x901
	v_mul_f64_e32 v[175:176], v[2:3], v[12:13]
	v_mul_f64_e32 v[12:13], v[4:5], v[12:13]
	v_add_f64_e32 v[165:166], v[169:170], v[165:166]
	v_add_f64_e32 v[167:168], v[173:174], v[167:168]
	s_wait_loadcnt_dscnt 0x800
	v_mul_f64_e32 v[169:170], v[161:162], v[16:17]
	v_mul_f64_e32 v[16:17], v[163:164], v[16:17]
	v_fma_f64 v[171:172], v[4:5], v[10:11], v[175:176]
	v_fma_f64 v[173:174], v[2:3], v[10:11], -v[12:13]
	ds_load_b128 v[2:5], v1 offset:1536
	scratch_load_b128 v[10:13], off, off offset:832
	v_add_f64_e32 v[165:166], v[165:166], v[42:43]
	v_add_f64_e32 v[167:168], v[167:168], v[44:45]
	ds_load_b128 v[42:45], v1 offset:1552
	s_wait_loadcnt_dscnt 0x801
	v_mul_f64_e32 v[175:176], v[2:3], v[20:21]
	v_mul_f64_e32 v[20:21], v[4:5], v[20:21]
	v_fma_f64 v[163:164], v[163:164], v[14:15], v[169:170]
	v_fma_f64 v[161:162], v[161:162], v[14:15], -v[16:17]
	scratch_load_b128 v[14:17], off, off offset:848
	s_wait_loadcnt_dscnt 0x800
	v_mul_f64_e32 v[169:170], v[42:43], v[24:25]
	v_mul_f64_e32 v[24:25], v[44:45], v[24:25]
	v_add_f64_e32 v[165:166], v[165:166], v[173:174]
	v_add_f64_e32 v[167:168], v[167:168], v[171:172]
	v_fma_f64 v[171:172], v[4:5], v[18:19], v[175:176]
	v_fma_f64 v[173:174], v[2:3], v[18:19], -v[20:21]
	ds_load_b128 v[2:5], v1 offset:1568
	ds_load_b128 v[18:21], v1 offset:1584
	v_fma_f64 v[44:45], v[44:45], v[22:23], v[169:170]
	v_fma_f64 v[22:23], v[42:43], v[22:23], -v[24:25]
	v_add_f64_e32 v[161:162], v[165:166], v[161:162]
	v_add_f64_e32 v[163:164], v[167:168], v[163:164]
	s_wait_loadcnt_dscnt 0x701
	v_mul_f64_e32 v[165:166], v[2:3], v[28:29]
	v_mul_f64_e32 v[28:29], v[4:5], v[28:29]
	s_delay_alu instid0(VALU_DEP_4) | instskip(NEXT) | instid1(VALU_DEP_4)
	v_add_f64_e32 v[24:25], v[161:162], v[173:174]
	v_add_f64_e32 v[42:43], v[163:164], v[171:172]
	s_wait_loadcnt_dscnt 0x600
	v_mul_f64_e32 v[161:162], v[18:19], v[32:33]
	v_mul_f64_e32 v[32:33], v[20:21], v[32:33]
	v_fma_f64 v[163:164], v[4:5], v[26:27], v[165:166]
	v_fma_f64 v[26:27], v[2:3], v[26:27], -v[28:29]
	v_add_f64_e32 v[28:29], v[24:25], v[22:23]
	v_add_f64_e32 v[42:43], v[42:43], v[44:45]
	ds_load_b128 v[2:5], v1 offset:1600
	ds_load_b128 v[22:25], v1 offset:1616
	v_fma_f64 v[20:21], v[20:21], v[30:31], v[161:162]
	v_fma_f64 v[18:19], v[18:19], v[30:31], -v[32:33]
	s_wait_loadcnt_dscnt 0x501
	v_mul_f64_e32 v[44:45], v[2:3], v[36:37]
	v_mul_f64_e32 v[36:37], v[4:5], v[36:37]
	v_add_f64_e32 v[26:27], v[28:29], v[26:27]
	v_add_f64_e32 v[28:29], v[42:43], v[163:164]
	s_wait_loadcnt_dscnt 0x400
	v_mul_f64_e32 v[30:31], v[22:23], v[40:41]
	v_mul_f64_e32 v[32:33], v[24:25], v[40:41]
	v_fma_f64 v[40:41], v[4:5], v[34:35], v[44:45]
	v_fma_f64 v[34:35], v[2:3], v[34:35], -v[36:37]
	v_add_f64_e32 v[26:27], v[26:27], v[18:19]
	v_add_f64_e32 v[28:29], v[28:29], v[20:21]
	ds_load_b128 v[2:5], v1 offset:1632
	ds_load_b128 v[18:21], v1 offset:1648
	v_fma_f64 v[24:25], v[24:25], v[38:39], v[30:31]
	v_fma_f64 v[22:23], v[22:23], v[38:39], -v[32:33]
	s_wait_loadcnt_dscnt 0x201
	v_mul_f64_e32 v[36:37], v[2:3], v[159:160]
	v_mul_f64_e32 v[42:43], v[4:5], v[159:160]
	s_wait_dscnt 0x0
	v_mul_f64_e32 v[30:31], v[18:19], v[8:9]
	v_mul_f64_e32 v[8:9], v[20:21], v[8:9]
	v_add_f64_e32 v[26:27], v[26:27], v[34:35]
	v_add_f64_e32 v[28:29], v[28:29], v[40:41]
	v_fma_f64 v[32:33], v[4:5], v[157:158], v[36:37]
	v_fma_f64 v[34:35], v[2:3], v[157:158], -v[42:43]
	v_fma_f64 v[20:21], v[20:21], v[6:7], v[30:31]
	v_fma_f64 v[6:7], v[18:19], v[6:7], -v[8:9]
	v_add_f64_e32 v[26:27], v[26:27], v[22:23]
	v_add_f64_e32 v[28:29], v[28:29], v[24:25]
	ds_load_b128 v[2:5], v1 offset:1664
	ds_load_b128 v[22:25], v1 offset:1680
	s_wait_loadcnt_dscnt 0x101
	v_mul_f64_e32 v[36:37], v[2:3], v[12:13]
	v_mul_f64_e32 v[12:13], v[4:5], v[12:13]
	v_add_f64_e32 v[8:9], v[26:27], v[34:35]
	v_add_f64_e32 v[18:19], v[28:29], v[32:33]
	s_wait_loadcnt_dscnt 0x0
	v_mul_f64_e32 v[26:27], v[22:23], v[16:17]
	v_mul_f64_e32 v[16:17], v[24:25], v[16:17]
	v_fma_f64 v[4:5], v[4:5], v[10:11], v[36:37]
	v_fma_f64 v[1:2], v[2:3], v[10:11], -v[12:13]
	v_add_f64_e32 v[6:7], v[8:9], v[6:7]
	v_add_f64_e32 v[8:9], v[18:19], v[20:21]
	v_fma_f64 v[10:11], v[24:25], v[14:15], v[26:27]
	v_fma_f64 v[12:13], v[22:23], v[14:15], -v[16:17]
	s_delay_alu instid0(VALU_DEP_4) | instskip(NEXT) | instid1(VALU_DEP_4)
	v_add_f64_e32 v[1:2], v[6:7], v[1:2]
	v_add_f64_e32 v[3:4], v[8:9], v[4:5]
	s_delay_alu instid0(VALU_DEP_2) | instskip(NEXT) | instid1(VALU_DEP_2)
	v_add_f64_e32 v[1:2], v[1:2], v[12:13]
	v_add_f64_e32 v[3:4], v[3:4], v[10:11]
	s_delay_alu instid0(VALU_DEP_2) | instskip(NEXT) | instid1(VALU_DEP_2)
	v_add_f64_e64 v[1:2], v[153:154], -v[1:2]
	v_add_f64_e64 v[3:4], v[155:156], -v[3:4]
	scratch_store_b128 off, v[1:4], off offset:304
	v_cmpx_lt_u32_e32 17, v0
	s_cbranch_execz .LBB52_297
; %bb.296:
	scratch_load_b128 v[1:4], off, s49
	v_mov_b32_e32 v5, 0
	s_delay_alu instid0(VALU_DEP_1)
	v_dual_mov_b32 v6, v5 :: v_dual_mov_b32 v7, v5
	v_mov_b32_e32 v8, v5
	scratch_store_b128 off, v[5:8], off offset:288
	s_wait_loadcnt 0x0
	ds_store_b128 v152, v[1:4]
.LBB52_297:
	s_wait_alu 0xfffe
	s_or_b32 exec_lo, exec_lo, s0
	s_wait_storecnt_dscnt 0x0
	s_barrier_signal -1
	s_barrier_wait -1
	global_inv scope:SCOPE_SE
	s_clause 0x7
	scratch_load_b128 v[2:5], off, off offset:304
	scratch_load_b128 v[6:9], off, off offset:320
	;; [unrolled: 1-line block ×8, first 2 shown]
	v_mov_b32_e32 v1, 0
	s_mov_b32 s0, exec_lo
	ds_load_b128 v[38:41], v1 offset:1136
	s_clause 0x1
	scratch_load_b128 v[34:37], off, off offset:432
	scratch_load_b128 v[42:45], off, off offset:288
	ds_load_b128 v[153:156], v1 offset:1152
	scratch_load_b128 v[157:160], off, off offset:448
	s_wait_loadcnt_dscnt 0xa01
	v_mul_f64_e32 v[161:162], v[40:41], v[4:5]
	v_mul_f64_e32 v[4:5], v[38:39], v[4:5]
	s_delay_alu instid0(VALU_DEP_2) | instskip(NEXT) | instid1(VALU_DEP_2)
	v_fma_f64 v[167:168], v[38:39], v[2:3], -v[161:162]
	v_fma_f64 v[169:170], v[40:41], v[2:3], v[4:5]
	ds_load_b128 v[2:5], v1 offset:1168
	s_wait_loadcnt_dscnt 0x901
	v_mul_f64_e32 v[165:166], v[153:154], v[8:9]
	v_mul_f64_e32 v[8:9], v[155:156], v[8:9]
	scratch_load_b128 v[38:41], off, off offset:464
	ds_load_b128 v[161:164], v1 offset:1184
	s_wait_loadcnt_dscnt 0x901
	v_mul_f64_e32 v[171:172], v[2:3], v[12:13]
	v_mul_f64_e32 v[12:13], v[4:5], v[12:13]
	v_fma_f64 v[155:156], v[155:156], v[6:7], v[165:166]
	v_fma_f64 v[153:154], v[153:154], v[6:7], -v[8:9]
	v_add_f64_e32 v[165:166], 0, v[167:168]
	v_add_f64_e32 v[167:168], 0, v[169:170]
	scratch_load_b128 v[6:9], off, off offset:480
	v_fma_f64 v[171:172], v[4:5], v[10:11], v[171:172]
	v_fma_f64 v[173:174], v[2:3], v[10:11], -v[12:13]
	ds_load_b128 v[2:5], v1 offset:1200
	s_wait_loadcnt_dscnt 0x901
	v_mul_f64_e32 v[169:170], v[161:162], v[16:17]
	v_mul_f64_e32 v[16:17], v[163:164], v[16:17]
	scratch_load_b128 v[10:13], off, off offset:496
	v_add_f64_e32 v[165:166], v[165:166], v[153:154]
	v_add_f64_e32 v[167:168], v[167:168], v[155:156]
	s_wait_loadcnt_dscnt 0x900
	v_mul_f64_e32 v[175:176], v[2:3], v[20:21]
	v_mul_f64_e32 v[20:21], v[4:5], v[20:21]
	ds_load_b128 v[153:156], v1 offset:1216
	v_fma_f64 v[163:164], v[163:164], v[14:15], v[169:170]
	v_fma_f64 v[161:162], v[161:162], v[14:15], -v[16:17]
	scratch_load_b128 v[14:17], off, off offset:512
	v_add_f64_e32 v[165:166], v[165:166], v[173:174]
	v_add_f64_e32 v[167:168], v[167:168], v[171:172]
	v_fma_f64 v[171:172], v[4:5], v[18:19], v[175:176]
	v_fma_f64 v[173:174], v[2:3], v[18:19], -v[20:21]
	ds_load_b128 v[2:5], v1 offset:1232
	s_wait_loadcnt_dscnt 0x901
	v_mul_f64_e32 v[169:170], v[153:154], v[24:25]
	v_mul_f64_e32 v[24:25], v[155:156], v[24:25]
	scratch_load_b128 v[18:21], off, off offset:528
	s_wait_loadcnt_dscnt 0x900
	v_mul_f64_e32 v[175:176], v[2:3], v[28:29]
	v_mul_f64_e32 v[28:29], v[4:5], v[28:29]
	v_add_f64_e32 v[165:166], v[165:166], v[161:162]
	v_add_f64_e32 v[167:168], v[167:168], v[163:164]
	ds_load_b128 v[161:164], v1 offset:1248
	v_fma_f64 v[155:156], v[155:156], v[22:23], v[169:170]
	v_fma_f64 v[153:154], v[153:154], v[22:23], -v[24:25]
	scratch_load_b128 v[22:25], off, off offset:544
	v_add_f64_e32 v[165:166], v[165:166], v[173:174]
	v_add_f64_e32 v[167:168], v[167:168], v[171:172]
	v_fma_f64 v[171:172], v[4:5], v[26:27], v[175:176]
	v_fma_f64 v[173:174], v[2:3], v[26:27], -v[28:29]
	ds_load_b128 v[2:5], v1 offset:1264
	s_wait_loadcnt_dscnt 0x901
	v_mul_f64_e32 v[169:170], v[161:162], v[32:33]
	v_mul_f64_e32 v[32:33], v[163:164], v[32:33]
	scratch_load_b128 v[26:29], off, off offset:560
	s_wait_loadcnt_dscnt 0x900
	v_mul_f64_e32 v[175:176], v[2:3], v[36:37]
	v_mul_f64_e32 v[36:37], v[4:5], v[36:37]
	v_add_f64_e32 v[165:166], v[165:166], v[153:154]
	v_add_f64_e32 v[167:168], v[167:168], v[155:156]
	ds_load_b128 v[153:156], v1 offset:1280
	v_fma_f64 v[163:164], v[163:164], v[30:31], v[169:170]
	v_fma_f64 v[161:162], v[161:162], v[30:31], -v[32:33]
	scratch_load_b128 v[30:33], off, off offset:576
	v_add_f64_e32 v[165:166], v[165:166], v[173:174]
	v_add_f64_e32 v[167:168], v[167:168], v[171:172]
	v_fma_f64 v[173:174], v[4:5], v[34:35], v[175:176]
	v_fma_f64 v[175:176], v[2:3], v[34:35], -v[36:37]
	ds_load_b128 v[2:5], v1 offset:1296
	s_wait_loadcnt_dscnt 0x801
	v_mul_f64_e32 v[169:170], v[153:154], v[159:160]
	v_mul_f64_e32 v[171:172], v[155:156], v[159:160]
	scratch_load_b128 v[34:37], off, off offset:592
	v_add_f64_e32 v[165:166], v[165:166], v[161:162]
	v_add_f64_e32 v[163:164], v[167:168], v[163:164]
	ds_load_b128 v[159:162], v1 offset:1312
	v_fma_f64 v[169:170], v[155:156], v[157:158], v[169:170]
	v_fma_f64 v[157:158], v[153:154], v[157:158], -v[171:172]
	scratch_load_b128 v[153:156], off, off offset:608
	s_wait_loadcnt_dscnt 0x901
	v_mul_f64_e32 v[167:168], v[2:3], v[40:41]
	v_mul_f64_e32 v[40:41], v[4:5], v[40:41]
	v_add_f64_e32 v[165:166], v[165:166], v[175:176]
	v_add_f64_e32 v[163:164], v[163:164], v[173:174]
	s_delay_alu instid0(VALU_DEP_4) | instskip(NEXT) | instid1(VALU_DEP_4)
	v_fma_f64 v[167:168], v[4:5], v[38:39], v[167:168]
	v_fma_f64 v[173:174], v[2:3], v[38:39], -v[40:41]
	ds_load_b128 v[2:5], v1 offset:1328
	s_wait_loadcnt_dscnt 0x801
	v_mul_f64_e32 v[171:172], v[159:160], v[8:9]
	v_mul_f64_e32 v[8:9], v[161:162], v[8:9]
	scratch_load_b128 v[38:41], off, off offset:624
	s_wait_loadcnt_dscnt 0x800
	v_mul_f64_e32 v[175:176], v[2:3], v[12:13]
	v_add_f64_e32 v[157:158], v[165:166], v[157:158]
	v_add_f64_e32 v[169:170], v[163:164], v[169:170]
	v_mul_f64_e32 v[12:13], v[4:5], v[12:13]
	ds_load_b128 v[163:166], v1 offset:1344
	v_fma_f64 v[161:162], v[161:162], v[6:7], v[171:172]
	v_fma_f64 v[159:160], v[159:160], v[6:7], -v[8:9]
	scratch_load_b128 v[6:9], off, off offset:640
	v_fma_f64 v[171:172], v[4:5], v[10:11], v[175:176]
	v_add_f64_e32 v[157:158], v[157:158], v[173:174]
	v_add_f64_e32 v[167:168], v[169:170], v[167:168]
	v_fma_f64 v[173:174], v[2:3], v[10:11], -v[12:13]
	ds_load_b128 v[2:5], v1 offset:1360
	s_wait_loadcnt_dscnt 0x801
	v_mul_f64_e32 v[169:170], v[163:164], v[16:17]
	v_mul_f64_e32 v[16:17], v[165:166], v[16:17]
	scratch_load_b128 v[10:13], off, off offset:656
	v_add_f64_e32 v[175:176], v[157:158], v[159:160]
	v_add_f64_e32 v[161:162], v[167:168], v[161:162]
	s_wait_loadcnt_dscnt 0x800
	v_mul_f64_e32 v[167:168], v[2:3], v[20:21]
	v_mul_f64_e32 v[20:21], v[4:5], v[20:21]
	v_fma_f64 v[165:166], v[165:166], v[14:15], v[169:170]
	v_fma_f64 v[163:164], v[163:164], v[14:15], -v[16:17]
	ds_load_b128 v[157:160], v1 offset:1376
	scratch_load_b128 v[14:17], off, off offset:672
	v_add_f64_e32 v[169:170], v[175:176], v[173:174]
	v_add_f64_e32 v[161:162], v[161:162], v[171:172]
	v_fma_f64 v[167:168], v[4:5], v[18:19], v[167:168]
	v_fma_f64 v[173:174], v[2:3], v[18:19], -v[20:21]
	ds_load_b128 v[2:5], v1 offset:1392
	s_wait_loadcnt_dscnt 0x801
	v_mul_f64_e32 v[171:172], v[157:158], v[24:25]
	v_mul_f64_e32 v[24:25], v[159:160], v[24:25]
	scratch_load_b128 v[18:21], off, off offset:688
	s_wait_loadcnt_dscnt 0x800
	v_mul_f64_e32 v[175:176], v[2:3], v[28:29]
	v_mul_f64_e32 v[28:29], v[4:5], v[28:29]
	v_add_f64_e32 v[169:170], v[169:170], v[163:164]
	v_add_f64_e32 v[165:166], v[161:162], v[165:166]
	ds_load_b128 v[161:164], v1 offset:1408
	v_fma_f64 v[159:160], v[159:160], v[22:23], v[171:172]
	v_fma_f64 v[157:158], v[157:158], v[22:23], -v[24:25]
	scratch_load_b128 v[22:25], off, off offset:704
	v_fma_f64 v[171:172], v[4:5], v[26:27], v[175:176]
	v_add_f64_e32 v[169:170], v[169:170], v[173:174]
	v_add_f64_e32 v[165:166], v[165:166], v[167:168]
	v_fma_f64 v[173:174], v[2:3], v[26:27], -v[28:29]
	ds_load_b128 v[2:5], v1 offset:1424
	s_wait_loadcnt_dscnt 0x801
	v_mul_f64_e32 v[167:168], v[161:162], v[32:33]
	v_mul_f64_e32 v[32:33], v[163:164], v[32:33]
	scratch_load_b128 v[26:29], off, off offset:720
	s_wait_loadcnt_dscnt 0x800
	v_mul_f64_e32 v[175:176], v[2:3], v[36:37]
	v_mul_f64_e32 v[36:37], v[4:5], v[36:37]
	v_add_f64_e32 v[169:170], v[169:170], v[157:158]
	v_add_f64_e32 v[165:166], v[165:166], v[159:160]
	ds_load_b128 v[157:160], v1 offset:1440
	v_fma_f64 v[163:164], v[163:164], v[30:31], v[167:168]
	v_fma_f64 v[161:162], v[161:162], v[30:31], -v[32:33]
	scratch_load_b128 v[30:33], off, off offset:736
	v_add_f64_e32 v[167:168], v[169:170], v[173:174]
	v_add_f64_e32 v[165:166], v[165:166], v[171:172]
	v_fma_f64 v[171:172], v[4:5], v[34:35], v[175:176]
	v_fma_f64 v[173:174], v[2:3], v[34:35], -v[36:37]
	ds_load_b128 v[2:5], v1 offset:1456
	s_wait_loadcnt_dscnt 0x801
	v_mul_f64_e32 v[169:170], v[157:158], v[155:156]
	v_mul_f64_e32 v[155:156], v[159:160], v[155:156]
	scratch_load_b128 v[34:37], off, off offset:752
	s_wait_loadcnt_dscnt 0x800
	v_mul_f64_e32 v[175:176], v[2:3], v[40:41]
	v_mul_f64_e32 v[40:41], v[4:5], v[40:41]
	v_add_f64_e32 v[167:168], v[167:168], v[161:162]
	v_add_f64_e32 v[165:166], v[165:166], v[163:164]
	ds_load_b128 v[161:164], v1 offset:1472
	v_fma_f64 v[159:160], v[159:160], v[153:154], v[169:170]
	v_fma_f64 v[157:158], v[157:158], v[153:154], -v[155:156]
	scratch_load_b128 v[153:156], off, off offset:768
	v_add_f64_e32 v[167:168], v[167:168], v[173:174]
	v_add_f64_e32 v[165:166], v[165:166], v[171:172]
	v_fma_f64 v[171:172], v[4:5], v[38:39], v[175:176]
	;; [unrolled: 18-line block ×4, first 2 shown]
	v_fma_f64 v[173:174], v[2:3], v[18:19], -v[20:21]
	ds_load_b128 v[2:5], v1 offset:1552
	s_wait_loadcnt_dscnt 0x801
	v_mul_f64_e32 v[169:170], v[161:162], v[24:25]
	v_mul_f64_e32 v[24:25], v[163:164], v[24:25]
	scratch_load_b128 v[18:21], off, off offset:848
	s_wait_loadcnt_dscnt 0x800
	v_mul_f64_e32 v[175:176], v[2:3], v[28:29]
	v_mul_f64_e32 v[28:29], v[4:5], v[28:29]
	v_add_f64_e32 v[167:168], v[167:168], v[157:158]
	v_add_f64_e32 v[165:166], v[165:166], v[159:160]
	ds_load_b128 v[157:160], v1 offset:1568
	v_fma_f64 v[163:164], v[163:164], v[22:23], v[169:170]
	v_fma_f64 v[22:23], v[161:162], v[22:23], -v[24:25]
	v_add_f64_e32 v[24:25], v[167:168], v[173:174]
	v_add_f64_e32 v[161:162], v[165:166], v[171:172]
	s_wait_loadcnt_dscnt 0x700
	v_mul_f64_e32 v[165:166], v[157:158], v[32:33]
	v_mul_f64_e32 v[32:33], v[159:160], v[32:33]
	v_fma_f64 v[167:168], v[4:5], v[26:27], v[175:176]
	v_fma_f64 v[26:27], v[2:3], v[26:27], -v[28:29]
	v_add_f64_e32 v[28:29], v[24:25], v[22:23]
	v_add_f64_e32 v[161:162], v[161:162], v[163:164]
	ds_load_b128 v[2:5], v1 offset:1584
	ds_load_b128 v[22:25], v1 offset:1600
	v_fma_f64 v[159:160], v[159:160], v[30:31], v[165:166]
	v_fma_f64 v[30:31], v[157:158], v[30:31], -v[32:33]
	s_wait_loadcnt_dscnt 0x601
	v_mul_f64_e32 v[163:164], v[2:3], v[36:37]
	v_mul_f64_e32 v[36:37], v[4:5], v[36:37]
	s_wait_loadcnt_dscnt 0x500
	v_mul_f64_e32 v[32:33], v[22:23], v[155:156]
	v_mul_f64_e32 v[155:156], v[24:25], v[155:156]
	v_add_f64_e32 v[26:27], v[28:29], v[26:27]
	v_add_f64_e32 v[28:29], v[161:162], v[167:168]
	v_fma_f64 v[157:158], v[4:5], v[34:35], v[163:164]
	v_fma_f64 v[34:35], v[2:3], v[34:35], -v[36:37]
	v_fma_f64 v[24:25], v[24:25], v[153:154], v[32:33]
	v_fma_f64 v[22:23], v[22:23], v[153:154], -v[155:156]
	v_add_f64_e32 v[30:31], v[26:27], v[30:31]
	v_add_f64_e32 v[36:37], v[28:29], v[159:160]
	ds_load_b128 v[2:5], v1 offset:1616
	ds_load_b128 v[26:29], v1 offset:1632
	s_wait_loadcnt_dscnt 0x401
	v_mul_f64_e32 v[159:160], v[2:3], v[40:41]
	v_mul_f64_e32 v[40:41], v[4:5], v[40:41]
	v_add_f64_e32 v[30:31], v[30:31], v[34:35]
	v_add_f64_e32 v[32:33], v[36:37], v[157:158]
	s_wait_loadcnt_dscnt 0x300
	v_mul_f64_e32 v[34:35], v[26:27], v[8:9]
	v_mul_f64_e32 v[8:9], v[28:29], v[8:9]
	v_fma_f64 v[36:37], v[4:5], v[38:39], v[159:160]
	v_fma_f64 v[38:39], v[2:3], v[38:39], -v[40:41]
	v_add_f64_e32 v[30:31], v[30:31], v[22:23]
	v_add_f64_e32 v[32:33], v[32:33], v[24:25]
	ds_load_b128 v[2:5], v1 offset:1648
	ds_load_b128 v[22:25], v1 offset:1664
	v_fma_f64 v[28:29], v[28:29], v[6:7], v[34:35]
	v_fma_f64 v[6:7], v[26:27], v[6:7], -v[8:9]
	s_wait_loadcnt_dscnt 0x201
	v_mul_f64_e32 v[40:41], v[2:3], v[12:13]
	v_mul_f64_e32 v[12:13], v[4:5], v[12:13]
	v_add_f64_e32 v[8:9], v[30:31], v[38:39]
	v_add_f64_e32 v[26:27], v[32:33], v[36:37]
	s_wait_loadcnt_dscnt 0x100
	v_mul_f64_e32 v[30:31], v[22:23], v[16:17]
	v_mul_f64_e32 v[16:17], v[24:25], v[16:17]
	v_fma_f64 v[32:33], v[4:5], v[10:11], v[40:41]
	v_fma_f64 v[10:11], v[2:3], v[10:11], -v[12:13]
	ds_load_b128 v[2:5], v1 offset:1680
	v_add_f64_e32 v[6:7], v[8:9], v[6:7]
	v_add_f64_e32 v[8:9], v[26:27], v[28:29]
	v_fma_f64 v[24:25], v[24:25], v[14:15], v[30:31]
	v_fma_f64 v[14:15], v[22:23], v[14:15], -v[16:17]
	s_wait_loadcnt_dscnt 0x0
	v_mul_f64_e32 v[12:13], v[2:3], v[20:21]
	v_mul_f64_e32 v[20:21], v[4:5], v[20:21]
	v_add_f64_e32 v[6:7], v[6:7], v[10:11]
	v_add_f64_e32 v[8:9], v[8:9], v[32:33]
	s_delay_alu instid0(VALU_DEP_4) | instskip(NEXT) | instid1(VALU_DEP_4)
	v_fma_f64 v[4:5], v[4:5], v[18:19], v[12:13]
	v_fma_f64 v[2:3], v[2:3], v[18:19], -v[20:21]
	s_delay_alu instid0(VALU_DEP_4) | instskip(NEXT) | instid1(VALU_DEP_4)
	v_add_f64_e32 v[6:7], v[6:7], v[14:15]
	v_add_f64_e32 v[8:9], v[8:9], v[24:25]
	s_delay_alu instid0(VALU_DEP_2) | instskip(NEXT) | instid1(VALU_DEP_2)
	v_add_f64_e32 v[2:3], v[6:7], v[2:3]
	v_add_f64_e32 v[4:5], v[8:9], v[4:5]
	s_delay_alu instid0(VALU_DEP_2) | instskip(NEXT) | instid1(VALU_DEP_2)
	v_add_f64_e64 v[2:3], v[42:43], -v[2:3]
	v_add_f64_e64 v[4:5], v[44:45], -v[4:5]
	scratch_store_b128 off, v[2:5], off offset:288
	v_cmpx_lt_u32_e32 16, v0
	s_cbranch_execz .LBB52_299
; %bb.298:
	scratch_load_b128 v[5:8], off, s50
	v_dual_mov_b32 v2, v1 :: v_dual_mov_b32 v3, v1
	v_mov_b32_e32 v4, v1
	scratch_store_b128 off, v[1:4], off offset:272
	s_wait_loadcnt 0x0
	ds_store_b128 v152, v[5:8]
.LBB52_299:
	s_wait_alu 0xfffe
	s_or_b32 exec_lo, exec_lo, s0
	s_wait_storecnt_dscnt 0x0
	s_barrier_signal -1
	s_barrier_wait -1
	global_inv scope:SCOPE_SE
	s_clause 0x8
	scratch_load_b128 v[2:5], off, off offset:288
	scratch_load_b128 v[6:9], off, off offset:304
	;; [unrolled: 1-line block ×9, first 2 shown]
	ds_load_b128 v[38:41], v1 offset:1120
	ds_load_b128 v[42:45], v1 offset:1136
	s_clause 0x1
	scratch_load_b128 v[153:156], off, off offset:272
	scratch_load_b128 v[157:160], off, off offset:432
	s_mov_b32 s0, exec_lo
	s_wait_loadcnt_dscnt 0xa01
	v_mul_f64_e32 v[161:162], v[40:41], v[4:5]
	v_mul_f64_e32 v[4:5], v[38:39], v[4:5]
	s_wait_loadcnt_dscnt 0x900
	v_mul_f64_e32 v[165:166], v[42:43], v[8:9]
	v_mul_f64_e32 v[8:9], v[44:45], v[8:9]
	s_delay_alu instid0(VALU_DEP_4) | instskip(NEXT) | instid1(VALU_DEP_4)
	v_fma_f64 v[167:168], v[38:39], v[2:3], -v[161:162]
	v_fma_f64 v[169:170], v[40:41], v[2:3], v[4:5]
	ds_load_b128 v[2:5], v1 offset:1152
	ds_load_b128 v[161:164], v1 offset:1168
	scratch_load_b128 v[38:41], off, off offset:448
	v_fma_f64 v[44:45], v[44:45], v[6:7], v[165:166]
	v_fma_f64 v[42:43], v[42:43], v[6:7], -v[8:9]
	scratch_load_b128 v[6:9], off, off offset:464
	s_wait_loadcnt_dscnt 0xa01
	v_mul_f64_e32 v[171:172], v[2:3], v[12:13]
	v_mul_f64_e32 v[12:13], v[4:5], v[12:13]
	v_add_f64_e32 v[165:166], 0, v[167:168]
	v_add_f64_e32 v[167:168], 0, v[169:170]
	s_wait_loadcnt_dscnt 0x900
	v_mul_f64_e32 v[169:170], v[161:162], v[16:17]
	v_mul_f64_e32 v[16:17], v[163:164], v[16:17]
	v_fma_f64 v[171:172], v[4:5], v[10:11], v[171:172]
	v_fma_f64 v[173:174], v[2:3], v[10:11], -v[12:13]
	ds_load_b128 v[2:5], v1 offset:1184
	scratch_load_b128 v[10:13], off, off offset:480
	v_add_f64_e32 v[165:166], v[165:166], v[42:43]
	v_add_f64_e32 v[167:168], v[167:168], v[44:45]
	ds_load_b128 v[42:45], v1 offset:1200
	v_fma_f64 v[163:164], v[163:164], v[14:15], v[169:170]
	v_fma_f64 v[161:162], v[161:162], v[14:15], -v[16:17]
	scratch_load_b128 v[14:17], off, off offset:496
	s_wait_loadcnt_dscnt 0xa01
	v_mul_f64_e32 v[175:176], v[2:3], v[20:21]
	v_mul_f64_e32 v[20:21], v[4:5], v[20:21]
	s_wait_loadcnt_dscnt 0x900
	v_mul_f64_e32 v[169:170], v[42:43], v[24:25]
	v_mul_f64_e32 v[24:25], v[44:45], v[24:25]
	v_add_f64_e32 v[165:166], v[165:166], v[173:174]
	v_add_f64_e32 v[167:168], v[167:168], v[171:172]
	v_fma_f64 v[171:172], v[4:5], v[18:19], v[175:176]
	v_fma_f64 v[173:174], v[2:3], v[18:19], -v[20:21]
	ds_load_b128 v[2:5], v1 offset:1216
	scratch_load_b128 v[18:21], off, off offset:512
	v_fma_f64 v[44:45], v[44:45], v[22:23], v[169:170]
	v_fma_f64 v[42:43], v[42:43], v[22:23], -v[24:25]
	scratch_load_b128 v[22:25], off, off offset:528
	v_add_f64_e32 v[165:166], v[165:166], v[161:162]
	v_add_f64_e32 v[167:168], v[167:168], v[163:164]
	ds_load_b128 v[161:164], v1 offset:1232
	s_wait_loadcnt_dscnt 0xa01
	v_mul_f64_e32 v[175:176], v[2:3], v[28:29]
	v_mul_f64_e32 v[28:29], v[4:5], v[28:29]
	s_wait_loadcnt_dscnt 0x900
	v_mul_f64_e32 v[169:170], v[161:162], v[32:33]
	v_mul_f64_e32 v[32:33], v[163:164], v[32:33]
	v_add_f64_e32 v[165:166], v[165:166], v[173:174]
	v_add_f64_e32 v[167:168], v[167:168], v[171:172]
	v_fma_f64 v[171:172], v[4:5], v[26:27], v[175:176]
	v_fma_f64 v[173:174], v[2:3], v[26:27], -v[28:29]
	ds_load_b128 v[2:5], v1 offset:1248
	scratch_load_b128 v[26:29], off, off offset:544
	v_fma_f64 v[163:164], v[163:164], v[30:31], v[169:170]
	v_fma_f64 v[161:162], v[161:162], v[30:31], -v[32:33]
	scratch_load_b128 v[30:33], off, off offset:560
	v_add_f64_e32 v[165:166], v[165:166], v[42:43]
	v_add_f64_e32 v[167:168], v[167:168], v[44:45]
	ds_load_b128 v[42:45], v1 offset:1264
	s_wait_loadcnt_dscnt 0xa01
	v_mul_f64_e32 v[175:176], v[2:3], v[36:37]
	v_mul_f64_e32 v[36:37], v[4:5], v[36:37]
	s_wait_loadcnt_dscnt 0x800
	v_mul_f64_e32 v[169:170], v[42:43], v[159:160]
	v_add_f64_e32 v[165:166], v[165:166], v[173:174]
	v_add_f64_e32 v[167:168], v[167:168], v[171:172]
	v_mul_f64_e32 v[171:172], v[44:45], v[159:160]
	v_fma_f64 v[173:174], v[4:5], v[34:35], v[175:176]
	v_fma_f64 v[175:176], v[2:3], v[34:35], -v[36:37]
	ds_load_b128 v[2:5], v1 offset:1280
	scratch_load_b128 v[34:37], off, off offset:576
	v_fma_f64 v[44:45], v[44:45], v[157:158], v[169:170]
	v_add_f64_e32 v[165:166], v[165:166], v[161:162]
	v_add_f64_e32 v[163:164], v[167:168], v[163:164]
	ds_load_b128 v[159:162], v1 offset:1296
	v_fma_f64 v[157:158], v[42:43], v[157:158], -v[171:172]
	s_wait_loadcnt_dscnt 0x801
	v_mul_f64_e32 v[167:168], v[2:3], v[40:41]
	v_mul_f64_e32 v[177:178], v[4:5], v[40:41]
	scratch_load_b128 v[40:43], off, off offset:592
	s_wait_loadcnt_dscnt 0x800
	v_mul_f64_e32 v[171:172], v[159:160], v[8:9]
	v_mul_f64_e32 v[8:9], v[161:162], v[8:9]
	v_add_f64_e32 v[165:166], v[165:166], v[175:176]
	v_add_f64_e32 v[163:164], v[163:164], v[173:174]
	v_fma_f64 v[173:174], v[4:5], v[38:39], v[167:168]
	v_fma_f64 v[38:39], v[2:3], v[38:39], -v[177:178]
	ds_load_b128 v[2:5], v1 offset:1312
	ds_load_b128 v[167:170], v1 offset:1328
	v_fma_f64 v[161:162], v[161:162], v[6:7], v[171:172]
	v_fma_f64 v[159:160], v[159:160], v[6:7], -v[8:9]
	scratch_load_b128 v[6:9], off, off offset:624
	v_add_f64_e32 v[157:158], v[165:166], v[157:158]
	v_add_f64_e32 v[44:45], v[163:164], v[44:45]
	scratch_load_b128 v[163:166], off, off offset:608
	s_wait_loadcnt_dscnt 0x901
	v_mul_f64_e32 v[175:176], v[2:3], v[12:13]
	v_mul_f64_e32 v[12:13], v[4:5], v[12:13]
	s_wait_loadcnt_dscnt 0x800
	v_mul_f64_e32 v[171:172], v[167:168], v[16:17]
	v_mul_f64_e32 v[16:17], v[169:170], v[16:17]
	v_add_f64_e32 v[38:39], v[157:158], v[38:39]
	v_add_f64_e32 v[44:45], v[44:45], v[173:174]
	v_fma_f64 v[173:174], v[4:5], v[10:11], v[175:176]
	v_fma_f64 v[175:176], v[2:3], v[10:11], -v[12:13]
	ds_load_b128 v[2:5], v1 offset:1344
	scratch_load_b128 v[10:13], off, off offset:640
	v_fma_f64 v[169:170], v[169:170], v[14:15], v[171:172]
	v_fma_f64 v[167:168], v[167:168], v[14:15], -v[16:17]
	scratch_load_b128 v[14:17], off, off offset:656
	v_add_f64_e32 v[38:39], v[38:39], v[159:160]
	v_add_f64_e32 v[44:45], v[44:45], v[161:162]
	ds_load_b128 v[157:160], v1 offset:1360
	s_wait_loadcnt_dscnt 0x901
	v_mul_f64_e32 v[161:162], v[2:3], v[20:21]
	v_mul_f64_e32 v[20:21], v[4:5], v[20:21]
	s_wait_loadcnt_dscnt 0x800
	v_mul_f64_e32 v[171:172], v[157:158], v[24:25]
	v_mul_f64_e32 v[24:25], v[159:160], v[24:25]
	v_add_f64_e32 v[38:39], v[38:39], v[175:176]
	v_add_f64_e32 v[44:45], v[44:45], v[173:174]
	v_fma_f64 v[161:162], v[4:5], v[18:19], v[161:162]
	v_fma_f64 v[173:174], v[2:3], v[18:19], -v[20:21]
	ds_load_b128 v[2:5], v1 offset:1376
	scratch_load_b128 v[18:21], off, off offset:672
	v_fma_f64 v[159:160], v[159:160], v[22:23], v[171:172]
	v_fma_f64 v[157:158], v[157:158], v[22:23], -v[24:25]
	scratch_load_b128 v[22:25], off, off offset:688
	v_add_f64_e32 v[38:39], v[38:39], v[167:168]
	v_add_f64_e32 v[44:45], v[44:45], v[169:170]
	ds_load_b128 v[167:170], v1 offset:1392
	s_wait_loadcnt_dscnt 0x901
	v_mul_f64_e32 v[175:176], v[2:3], v[28:29]
	v_mul_f64_e32 v[28:29], v[4:5], v[28:29]
	v_add_f64_e32 v[38:39], v[38:39], v[173:174]
	v_add_f64_e32 v[44:45], v[44:45], v[161:162]
	s_wait_loadcnt_dscnt 0x800
	v_mul_f64_e32 v[161:162], v[167:168], v[32:33]
	v_mul_f64_e32 v[32:33], v[169:170], v[32:33]
	v_fma_f64 v[171:172], v[4:5], v[26:27], v[175:176]
	v_fma_f64 v[173:174], v[2:3], v[26:27], -v[28:29]
	ds_load_b128 v[2:5], v1 offset:1408
	scratch_load_b128 v[26:29], off, off offset:704
	v_add_f64_e32 v[38:39], v[38:39], v[157:158]
	v_add_f64_e32 v[44:45], v[44:45], v[159:160]
	ds_load_b128 v[157:160], v1 offset:1424
	s_wait_loadcnt_dscnt 0x801
	v_mul_f64_e32 v[175:176], v[2:3], v[36:37]
	v_mul_f64_e32 v[36:37], v[4:5], v[36:37]
	v_fma_f64 v[161:162], v[169:170], v[30:31], v[161:162]
	v_fma_f64 v[167:168], v[167:168], v[30:31], -v[32:33]
	scratch_load_b128 v[30:33], off, off offset:720
	s_wait_loadcnt_dscnt 0x800
	v_mul_f64_e32 v[169:170], v[157:158], v[42:43]
	v_add_f64_e32 v[38:39], v[38:39], v[173:174]
	v_add_f64_e32 v[44:45], v[44:45], v[171:172]
	v_mul_f64_e32 v[171:172], v[159:160], v[42:43]
	v_fma_f64 v[173:174], v[4:5], v[34:35], v[175:176]
	v_fma_f64 v[175:176], v[2:3], v[34:35], -v[36:37]
	ds_load_b128 v[2:5], v1 offset:1440
	scratch_load_b128 v[34:37], off, off offset:736
	v_fma_f64 v[159:160], v[159:160], v[40:41], v[169:170]
	v_add_f64_e32 v[38:39], v[38:39], v[167:168]
	v_add_f64_e32 v[161:162], v[44:45], v[161:162]
	ds_load_b128 v[42:45], v1 offset:1456
	v_fma_f64 v[157:158], v[157:158], v[40:41], -v[171:172]
	s_wait_loadcnt_dscnt 0x701
	v_mul_f64_e32 v[167:168], v[2:3], v[165:166]
	v_mul_f64_e32 v[165:166], v[4:5], v[165:166]
	s_wait_dscnt 0x0
	v_mul_f64_e32 v[171:172], v[42:43], v[8:9]
	v_mul_f64_e32 v[8:9], v[44:45], v[8:9]
	v_add_f64_e32 v[169:170], v[38:39], v[175:176]
	v_add_f64_e32 v[161:162], v[161:162], v[173:174]
	scratch_load_b128 v[38:41], off, off offset:752
	v_fma_f64 v[167:168], v[4:5], v[163:164], v[167:168]
	v_fma_f64 v[165:166], v[2:3], v[163:164], -v[165:166]
	ds_load_b128 v[2:5], v1 offset:1472
	v_fma_f64 v[44:45], v[44:45], v[6:7], v[171:172]
	v_fma_f64 v[42:43], v[42:43], v[6:7], -v[8:9]
	scratch_load_b128 v[6:9], off, off offset:784
	v_add_f64_e32 v[169:170], v[169:170], v[157:158]
	v_add_f64_e32 v[173:174], v[161:162], v[159:160]
	scratch_load_b128 v[157:160], off, off offset:768
	ds_load_b128 v[161:164], v1 offset:1488
	s_wait_loadcnt_dscnt 0x901
	v_mul_f64_e32 v[175:176], v[2:3], v[12:13]
	v_mul_f64_e32 v[12:13], v[4:5], v[12:13]
	v_add_f64_e32 v[165:166], v[169:170], v[165:166]
	v_add_f64_e32 v[167:168], v[173:174], v[167:168]
	s_wait_loadcnt_dscnt 0x800
	v_mul_f64_e32 v[169:170], v[161:162], v[16:17]
	v_mul_f64_e32 v[16:17], v[163:164], v[16:17]
	v_fma_f64 v[171:172], v[4:5], v[10:11], v[175:176]
	v_fma_f64 v[173:174], v[2:3], v[10:11], -v[12:13]
	ds_load_b128 v[2:5], v1 offset:1504
	scratch_load_b128 v[10:13], off, off offset:800
	v_add_f64_e32 v[165:166], v[165:166], v[42:43]
	v_add_f64_e32 v[167:168], v[167:168], v[44:45]
	ds_load_b128 v[42:45], v1 offset:1520
	s_wait_loadcnt_dscnt 0x801
	v_mul_f64_e32 v[175:176], v[2:3], v[20:21]
	v_mul_f64_e32 v[20:21], v[4:5], v[20:21]
	v_fma_f64 v[163:164], v[163:164], v[14:15], v[169:170]
	v_fma_f64 v[161:162], v[161:162], v[14:15], -v[16:17]
	scratch_load_b128 v[14:17], off, off offset:816
	s_wait_loadcnt_dscnt 0x800
	v_mul_f64_e32 v[169:170], v[42:43], v[24:25]
	v_mul_f64_e32 v[24:25], v[44:45], v[24:25]
	v_add_f64_e32 v[165:166], v[165:166], v[173:174]
	v_add_f64_e32 v[167:168], v[167:168], v[171:172]
	v_fma_f64 v[171:172], v[4:5], v[18:19], v[175:176]
	v_fma_f64 v[173:174], v[2:3], v[18:19], -v[20:21]
	ds_load_b128 v[2:5], v1 offset:1536
	scratch_load_b128 v[18:21], off, off offset:832
	v_fma_f64 v[44:45], v[44:45], v[22:23], v[169:170]
	v_fma_f64 v[42:43], v[42:43], v[22:23], -v[24:25]
	scratch_load_b128 v[22:25], off, off offset:848
	v_add_f64_e32 v[165:166], v[165:166], v[161:162]
	v_add_f64_e32 v[167:168], v[167:168], v[163:164]
	ds_load_b128 v[161:164], v1 offset:1552
	s_wait_loadcnt_dscnt 0x901
	v_mul_f64_e32 v[175:176], v[2:3], v[28:29]
	v_mul_f64_e32 v[28:29], v[4:5], v[28:29]
	s_wait_loadcnt_dscnt 0x800
	v_mul_f64_e32 v[169:170], v[161:162], v[32:33]
	v_mul_f64_e32 v[32:33], v[163:164], v[32:33]
	v_add_f64_e32 v[165:166], v[165:166], v[173:174]
	v_add_f64_e32 v[167:168], v[167:168], v[171:172]
	v_fma_f64 v[171:172], v[4:5], v[26:27], v[175:176]
	v_fma_f64 v[173:174], v[2:3], v[26:27], -v[28:29]
	ds_load_b128 v[2:5], v1 offset:1568
	ds_load_b128 v[26:29], v1 offset:1584
	v_fma_f64 v[163:164], v[163:164], v[30:31], v[169:170]
	v_fma_f64 v[30:31], v[161:162], v[30:31], -v[32:33]
	v_add_f64_e32 v[42:43], v[165:166], v[42:43]
	v_add_f64_e32 v[44:45], v[167:168], v[44:45]
	s_wait_loadcnt_dscnt 0x701
	v_mul_f64_e32 v[165:166], v[2:3], v[36:37]
	v_mul_f64_e32 v[36:37], v[4:5], v[36:37]
	s_delay_alu instid0(VALU_DEP_4) | instskip(NEXT) | instid1(VALU_DEP_4)
	v_add_f64_e32 v[32:33], v[42:43], v[173:174]
	v_add_f64_e32 v[42:43], v[44:45], v[171:172]
	s_delay_alu instid0(VALU_DEP_4) | instskip(NEXT) | instid1(VALU_DEP_4)
	v_fma_f64 v[161:162], v[4:5], v[34:35], v[165:166]
	v_fma_f64 v[34:35], v[2:3], v[34:35], -v[36:37]
	s_wait_loadcnt_dscnt 0x600
	v_mul_f64_e32 v[44:45], v[26:27], v[40:41]
	v_mul_f64_e32 v[40:41], v[28:29], v[40:41]
	v_add_f64_e32 v[36:37], v[32:33], v[30:31]
	v_add_f64_e32 v[42:43], v[42:43], v[163:164]
	ds_load_b128 v[2:5], v1 offset:1600
	ds_load_b128 v[30:33], v1 offset:1616
	v_fma_f64 v[28:29], v[28:29], v[38:39], v[44:45]
	v_fma_f64 v[26:27], v[26:27], v[38:39], -v[40:41]
	s_wait_loadcnt_dscnt 0x401
	v_mul_f64_e32 v[163:164], v[2:3], v[159:160]
	v_mul_f64_e32 v[159:160], v[4:5], v[159:160]
	s_wait_dscnt 0x0
	v_mul_f64_e32 v[38:39], v[30:31], v[8:9]
	v_mul_f64_e32 v[8:9], v[32:33], v[8:9]
	v_add_f64_e32 v[34:35], v[36:37], v[34:35]
	v_add_f64_e32 v[36:37], v[42:43], v[161:162]
	v_fma_f64 v[40:41], v[4:5], v[157:158], v[163:164]
	v_fma_f64 v[42:43], v[2:3], v[157:158], -v[159:160]
	v_fma_f64 v[32:33], v[32:33], v[6:7], v[38:39]
	v_fma_f64 v[6:7], v[30:31], v[6:7], -v[8:9]
	v_add_f64_e32 v[34:35], v[34:35], v[26:27]
	v_add_f64_e32 v[36:37], v[36:37], v[28:29]
	ds_load_b128 v[2:5], v1 offset:1632
	ds_load_b128 v[26:29], v1 offset:1648
	s_wait_loadcnt_dscnt 0x301
	v_mul_f64_e32 v[44:45], v[2:3], v[12:13]
	v_mul_f64_e32 v[12:13], v[4:5], v[12:13]
	v_add_f64_e32 v[8:9], v[34:35], v[42:43]
	v_add_f64_e32 v[30:31], v[36:37], v[40:41]
	s_wait_loadcnt_dscnt 0x200
	v_mul_f64_e32 v[34:35], v[26:27], v[16:17]
	v_mul_f64_e32 v[16:17], v[28:29], v[16:17]
	v_fma_f64 v[36:37], v[4:5], v[10:11], v[44:45]
	v_fma_f64 v[10:11], v[2:3], v[10:11], -v[12:13]
	v_add_f64_e32 v[12:13], v[8:9], v[6:7]
	v_add_f64_e32 v[30:31], v[30:31], v[32:33]
	ds_load_b128 v[2:5], v1 offset:1664
	ds_load_b128 v[6:9], v1 offset:1680
	v_fma_f64 v[28:29], v[28:29], v[14:15], v[34:35]
	v_fma_f64 v[14:15], v[26:27], v[14:15], -v[16:17]
	s_wait_loadcnt_dscnt 0x101
	v_mul_f64_e32 v[32:33], v[2:3], v[20:21]
	v_mul_f64_e32 v[20:21], v[4:5], v[20:21]
	s_wait_loadcnt_dscnt 0x0
	v_mul_f64_e32 v[16:17], v[6:7], v[24:25]
	v_mul_f64_e32 v[24:25], v[8:9], v[24:25]
	v_add_f64_e32 v[10:11], v[12:13], v[10:11]
	v_add_f64_e32 v[12:13], v[30:31], v[36:37]
	v_fma_f64 v[4:5], v[4:5], v[18:19], v[32:33]
	v_fma_f64 v[1:2], v[2:3], v[18:19], -v[20:21]
	v_fma_f64 v[8:9], v[8:9], v[22:23], v[16:17]
	v_fma_f64 v[6:7], v[6:7], v[22:23], -v[24:25]
	v_add_f64_e32 v[10:11], v[10:11], v[14:15]
	v_add_f64_e32 v[12:13], v[12:13], v[28:29]
	s_delay_alu instid0(VALU_DEP_2) | instskip(NEXT) | instid1(VALU_DEP_2)
	v_add_f64_e32 v[1:2], v[10:11], v[1:2]
	v_add_f64_e32 v[3:4], v[12:13], v[4:5]
	s_delay_alu instid0(VALU_DEP_2) | instskip(NEXT) | instid1(VALU_DEP_2)
	;; [unrolled: 3-line block ×3, first 2 shown]
	v_add_f64_e64 v[1:2], v[153:154], -v[1:2]
	v_add_f64_e64 v[3:4], v[155:156], -v[3:4]
	scratch_store_b128 off, v[1:4], off offset:272
	v_cmpx_lt_u32_e32 15, v0
	s_cbranch_execz .LBB52_301
; %bb.300:
	scratch_load_b128 v[1:4], off, s51
	v_mov_b32_e32 v5, 0
	s_delay_alu instid0(VALU_DEP_1)
	v_dual_mov_b32 v6, v5 :: v_dual_mov_b32 v7, v5
	v_mov_b32_e32 v8, v5
	scratch_store_b128 off, v[5:8], off offset:256
	s_wait_loadcnt 0x0
	ds_store_b128 v152, v[1:4]
.LBB52_301:
	s_wait_alu 0xfffe
	s_or_b32 exec_lo, exec_lo, s0
	s_wait_storecnt_dscnt 0x0
	s_barrier_signal -1
	s_barrier_wait -1
	global_inv scope:SCOPE_SE
	s_clause 0x7
	scratch_load_b128 v[2:5], off, off offset:272
	scratch_load_b128 v[6:9], off, off offset:288
	;; [unrolled: 1-line block ×8, first 2 shown]
	v_mov_b32_e32 v1, 0
	s_mov_b32 s0, exec_lo
	ds_load_b128 v[38:41], v1 offset:1104
	s_clause 0x1
	scratch_load_b128 v[34:37], off, off offset:400
	scratch_load_b128 v[42:45], off, off offset:256
	ds_load_b128 v[153:156], v1 offset:1120
	scratch_load_b128 v[157:160], off, off offset:416
	s_wait_loadcnt_dscnt 0xa01
	v_mul_f64_e32 v[161:162], v[40:41], v[4:5]
	v_mul_f64_e32 v[4:5], v[38:39], v[4:5]
	s_delay_alu instid0(VALU_DEP_2) | instskip(NEXT) | instid1(VALU_DEP_2)
	v_fma_f64 v[167:168], v[38:39], v[2:3], -v[161:162]
	v_fma_f64 v[169:170], v[40:41], v[2:3], v[4:5]
	ds_load_b128 v[2:5], v1 offset:1136
	s_wait_loadcnt_dscnt 0x901
	v_mul_f64_e32 v[165:166], v[153:154], v[8:9]
	v_mul_f64_e32 v[8:9], v[155:156], v[8:9]
	scratch_load_b128 v[38:41], off, off offset:432
	ds_load_b128 v[161:164], v1 offset:1152
	s_wait_loadcnt_dscnt 0x901
	v_mul_f64_e32 v[171:172], v[2:3], v[12:13]
	v_mul_f64_e32 v[12:13], v[4:5], v[12:13]
	v_fma_f64 v[155:156], v[155:156], v[6:7], v[165:166]
	v_fma_f64 v[153:154], v[153:154], v[6:7], -v[8:9]
	v_add_f64_e32 v[165:166], 0, v[167:168]
	v_add_f64_e32 v[167:168], 0, v[169:170]
	scratch_load_b128 v[6:9], off, off offset:448
	v_fma_f64 v[171:172], v[4:5], v[10:11], v[171:172]
	v_fma_f64 v[173:174], v[2:3], v[10:11], -v[12:13]
	ds_load_b128 v[2:5], v1 offset:1168
	s_wait_loadcnt_dscnt 0x901
	v_mul_f64_e32 v[169:170], v[161:162], v[16:17]
	v_mul_f64_e32 v[16:17], v[163:164], v[16:17]
	scratch_load_b128 v[10:13], off, off offset:464
	v_add_f64_e32 v[165:166], v[165:166], v[153:154]
	v_add_f64_e32 v[167:168], v[167:168], v[155:156]
	s_wait_loadcnt_dscnt 0x900
	v_mul_f64_e32 v[175:176], v[2:3], v[20:21]
	v_mul_f64_e32 v[20:21], v[4:5], v[20:21]
	ds_load_b128 v[153:156], v1 offset:1184
	v_fma_f64 v[163:164], v[163:164], v[14:15], v[169:170]
	v_fma_f64 v[161:162], v[161:162], v[14:15], -v[16:17]
	scratch_load_b128 v[14:17], off, off offset:480
	v_add_f64_e32 v[165:166], v[165:166], v[173:174]
	v_add_f64_e32 v[167:168], v[167:168], v[171:172]
	v_fma_f64 v[171:172], v[4:5], v[18:19], v[175:176]
	v_fma_f64 v[173:174], v[2:3], v[18:19], -v[20:21]
	ds_load_b128 v[2:5], v1 offset:1200
	s_wait_loadcnt_dscnt 0x901
	v_mul_f64_e32 v[169:170], v[153:154], v[24:25]
	v_mul_f64_e32 v[24:25], v[155:156], v[24:25]
	scratch_load_b128 v[18:21], off, off offset:496
	s_wait_loadcnt_dscnt 0x900
	v_mul_f64_e32 v[175:176], v[2:3], v[28:29]
	v_mul_f64_e32 v[28:29], v[4:5], v[28:29]
	v_add_f64_e32 v[165:166], v[165:166], v[161:162]
	v_add_f64_e32 v[167:168], v[167:168], v[163:164]
	ds_load_b128 v[161:164], v1 offset:1216
	v_fma_f64 v[155:156], v[155:156], v[22:23], v[169:170]
	v_fma_f64 v[153:154], v[153:154], v[22:23], -v[24:25]
	scratch_load_b128 v[22:25], off, off offset:512
	v_add_f64_e32 v[165:166], v[165:166], v[173:174]
	v_add_f64_e32 v[167:168], v[167:168], v[171:172]
	v_fma_f64 v[171:172], v[4:5], v[26:27], v[175:176]
	v_fma_f64 v[173:174], v[2:3], v[26:27], -v[28:29]
	ds_load_b128 v[2:5], v1 offset:1232
	s_wait_loadcnt_dscnt 0x901
	v_mul_f64_e32 v[169:170], v[161:162], v[32:33]
	v_mul_f64_e32 v[32:33], v[163:164], v[32:33]
	scratch_load_b128 v[26:29], off, off offset:528
	s_wait_loadcnt_dscnt 0x900
	v_mul_f64_e32 v[175:176], v[2:3], v[36:37]
	v_mul_f64_e32 v[36:37], v[4:5], v[36:37]
	v_add_f64_e32 v[165:166], v[165:166], v[153:154]
	v_add_f64_e32 v[167:168], v[167:168], v[155:156]
	ds_load_b128 v[153:156], v1 offset:1248
	v_fma_f64 v[163:164], v[163:164], v[30:31], v[169:170]
	v_fma_f64 v[161:162], v[161:162], v[30:31], -v[32:33]
	scratch_load_b128 v[30:33], off, off offset:544
	v_add_f64_e32 v[165:166], v[165:166], v[173:174]
	v_add_f64_e32 v[167:168], v[167:168], v[171:172]
	v_fma_f64 v[173:174], v[4:5], v[34:35], v[175:176]
	v_fma_f64 v[175:176], v[2:3], v[34:35], -v[36:37]
	ds_load_b128 v[2:5], v1 offset:1264
	s_wait_loadcnt_dscnt 0x801
	v_mul_f64_e32 v[169:170], v[153:154], v[159:160]
	v_mul_f64_e32 v[171:172], v[155:156], v[159:160]
	scratch_load_b128 v[34:37], off, off offset:560
	v_add_f64_e32 v[165:166], v[165:166], v[161:162]
	v_add_f64_e32 v[163:164], v[167:168], v[163:164]
	ds_load_b128 v[159:162], v1 offset:1280
	v_fma_f64 v[169:170], v[155:156], v[157:158], v[169:170]
	v_fma_f64 v[157:158], v[153:154], v[157:158], -v[171:172]
	scratch_load_b128 v[153:156], off, off offset:576
	s_wait_loadcnt_dscnt 0x901
	v_mul_f64_e32 v[167:168], v[2:3], v[40:41]
	v_mul_f64_e32 v[40:41], v[4:5], v[40:41]
	v_add_f64_e32 v[165:166], v[165:166], v[175:176]
	v_add_f64_e32 v[163:164], v[163:164], v[173:174]
	s_delay_alu instid0(VALU_DEP_4) | instskip(NEXT) | instid1(VALU_DEP_4)
	v_fma_f64 v[167:168], v[4:5], v[38:39], v[167:168]
	v_fma_f64 v[173:174], v[2:3], v[38:39], -v[40:41]
	ds_load_b128 v[2:5], v1 offset:1296
	s_wait_loadcnt_dscnt 0x801
	v_mul_f64_e32 v[171:172], v[159:160], v[8:9]
	v_mul_f64_e32 v[8:9], v[161:162], v[8:9]
	scratch_load_b128 v[38:41], off, off offset:592
	s_wait_loadcnt_dscnt 0x800
	v_mul_f64_e32 v[175:176], v[2:3], v[12:13]
	v_add_f64_e32 v[157:158], v[165:166], v[157:158]
	v_add_f64_e32 v[169:170], v[163:164], v[169:170]
	v_mul_f64_e32 v[12:13], v[4:5], v[12:13]
	ds_load_b128 v[163:166], v1 offset:1312
	v_fma_f64 v[161:162], v[161:162], v[6:7], v[171:172]
	v_fma_f64 v[159:160], v[159:160], v[6:7], -v[8:9]
	scratch_load_b128 v[6:9], off, off offset:608
	v_fma_f64 v[171:172], v[4:5], v[10:11], v[175:176]
	v_add_f64_e32 v[157:158], v[157:158], v[173:174]
	v_add_f64_e32 v[167:168], v[169:170], v[167:168]
	v_fma_f64 v[173:174], v[2:3], v[10:11], -v[12:13]
	ds_load_b128 v[2:5], v1 offset:1328
	s_wait_loadcnt_dscnt 0x801
	v_mul_f64_e32 v[169:170], v[163:164], v[16:17]
	v_mul_f64_e32 v[16:17], v[165:166], v[16:17]
	scratch_load_b128 v[10:13], off, off offset:624
	v_add_f64_e32 v[175:176], v[157:158], v[159:160]
	v_add_f64_e32 v[161:162], v[167:168], v[161:162]
	s_wait_loadcnt_dscnt 0x800
	v_mul_f64_e32 v[167:168], v[2:3], v[20:21]
	v_mul_f64_e32 v[20:21], v[4:5], v[20:21]
	v_fma_f64 v[165:166], v[165:166], v[14:15], v[169:170]
	v_fma_f64 v[163:164], v[163:164], v[14:15], -v[16:17]
	ds_load_b128 v[157:160], v1 offset:1344
	scratch_load_b128 v[14:17], off, off offset:640
	v_add_f64_e32 v[169:170], v[175:176], v[173:174]
	v_add_f64_e32 v[161:162], v[161:162], v[171:172]
	v_fma_f64 v[167:168], v[4:5], v[18:19], v[167:168]
	v_fma_f64 v[173:174], v[2:3], v[18:19], -v[20:21]
	ds_load_b128 v[2:5], v1 offset:1360
	s_wait_loadcnt_dscnt 0x801
	v_mul_f64_e32 v[171:172], v[157:158], v[24:25]
	v_mul_f64_e32 v[24:25], v[159:160], v[24:25]
	scratch_load_b128 v[18:21], off, off offset:656
	s_wait_loadcnt_dscnt 0x800
	v_mul_f64_e32 v[175:176], v[2:3], v[28:29]
	v_mul_f64_e32 v[28:29], v[4:5], v[28:29]
	v_add_f64_e32 v[169:170], v[169:170], v[163:164]
	v_add_f64_e32 v[165:166], v[161:162], v[165:166]
	ds_load_b128 v[161:164], v1 offset:1376
	v_fma_f64 v[159:160], v[159:160], v[22:23], v[171:172]
	v_fma_f64 v[157:158], v[157:158], v[22:23], -v[24:25]
	scratch_load_b128 v[22:25], off, off offset:672
	v_fma_f64 v[171:172], v[4:5], v[26:27], v[175:176]
	v_add_f64_e32 v[169:170], v[169:170], v[173:174]
	v_add_f64_e32 v[165:166], v[165:166], v[167:168]
	v_fma_f64 v[173:174], v[2:3], v[26:27], -v[28:29]
	ds_load_b128 v[2:5], v1 offset:1392
	s_wait_loadcnt_dscnt 0x801
	v_mul_f64_e32 v[167:168], v[161:162], v[32:33]
	v_mul_f64_e32 v[32:33], v[163:164], v[32:33]
	scratch_load_b128 v[26:29], off, off offset:688
	s_wait_loadcnt_dscnt 0x800
	v_mul_f64_e32 v[175:176], v[2:3], v[36:37]
	v_mul_f64_e32 v[36:37], v[4:5], v[36:37]
	v_add_f64_e32 v[169:170], v[169:170], v[157:158]
	v_add_f64_e32 v[165:166], v[165:166], v[159:160]
	ds_load_b128 v[157:160], v1 offset:1408
	v_fma_f64 v[163:164], v[163:164], v[30:31], v[167:168]
	v_fma_f64 v[161:162], v[161:162], v[30:31], -v[32:33]
	scratch_load_b128 v[30:33], off, off offset:704
	v_add_f64_e32 v[167:168], v[169:170], v[173:174]
	v_add_f64_e32 v[165:166], v[165:166], v[171:172]
	v_fma_f64 v[171:172], v[4:5], v[34:35], v[175:176]
	v_fma_f64 v[173:174], v[2:3], v[34:35], -v[36:37]
	ds_load_b128 v[2:5], v1 offset:1424
	s_wait_loadcnt_dscnt 0x801
	v_mul_f64_e32 v[169:170], v[157:158], v[155:156]
	v_mul_f64_e32 v[155:156], v[159:160], v[155:156]
	scratch_load_b128 v[34:37], off, off offset:720
	s_wait_loadcnt_dscnt 0x800
	v_mul_f64_e32 v[175:176], v[2:3], v[40:41]
	v_mul_f64_e32 v[40:41], v[4:5], v[40:41]
	v_add_f64_e32 v[167:168], v[167:168], v[161:162]
	v_add_f64_e32 v[165:166], v[165:166], v[163:164]
	ds_load_b128 v[161:164], v1 offset:1440
	v_fma_f64 v[159:160], v[159:160], v[153:154], v[169:170]
	v_fma_f64 v[157:158], v[157:158], v[153:154], -v[155:156]
	scratch_load_b128 v[153:156], off, off offset:736
	v_add_f64_e32 v[167:168], v[167:168], v[173:174]
	v_add_f64_e32 v[165:166], v[165:166], v[171:172]
	v_fma_f64 v[171:172], v[4:5], v[38:39], v[175:176]
	;; [unrolled: 18-line block ×5, first 2 shown]
	v_fma_f64 v[173:174], v[2:3], v[26:27], -v[28:29]
	ds_load_b128 v[2:5], v1 offset:1552
	s_wait_loadcnt_dscnt 0x801
	v_mul_f64_e32 v[169:170], v[157:158], v[32:33]
	v_mul_f64_e32 v[32:33], v[159:160], v[32:33]
	scratch_load_b128 v[26:29], off, off offset:848
	s_wait_loadcnt_dscnt 0x800
	v_mul_f64_e32 v[175:176], v[2:3], v[36:37]
	v_mul_f64_e32 v[36:37], v[4:5], v[36:37]
	v_add_f64_e32 v[167:168], v[167:168], v[161:162]
	v_add_f64_e32 v[165:166], v[165:166], v[163:164]
	ds_load_b128 v[161:164], v1 offset:1568
	v_fma_f64 v[159:160], v[159:160], v[30:31], v[169:170]
	v_fma_f64 v[30:31], v[157:158], v[30:31], -v[32:33]
	v_add_f64_e32 v[32:33], v[167:168], v[173:174]
	v_add_f64_e32 v[157:158], v[165:166], v[171:172]
	s_wait_loadcnt_dscnt 0x700
	v_mul_f64_e32 v[165:166], v[161:162], v[155:156]
	v_mul_f64_e32 v[155:156], v[163:164], v[155:156]
	v_fma_f64 v[167:168], v[4:5], v[34:35], v[175:176]
	v_fma_f64 v[34:35], v[2:3], v[34:35], -v[36:37]
	v_add_f64_e32 v[36:37], v[32:33], v[30:31]
	v_add_f64_e32 v[157:158], v[157:158], v[159:160]
	ds_load_b128 v[2:5], v1 offset:1584
	ds_load_b128 v[30:33], v1 offset:1600
	v_fma_f64 v[163:164], v[163:164], v[153:154], v[165:166]
	v_fma_f64 v[153:154], v[161:162], v[153:154], -v[155:156]
	s_wait_loadcnt_dscnt 0x601
	v_mul_f64_e32 v[159:160], v[2:3], v[40:41]
	v_mul_f64_e32 v[40:41], v[4:5], v[40:41]
	s_wait_loadcnt_dscnt 0x500
	v_mul_f64_e32 v[155:156], v[30:31], v[8:9]
	v_mul_f64_e32 v[8:9], v[32:33], v[8:9]
	v_add_f64_e32 v[34:35], v[36:37], v[34:35]
	v_add_f64_e32 v[36:37], v[157:158], v[167:168]
	v_fma_f64 v[157:158], v[4:5], v[38:39], v[159:160]
	v_fma_f64 v[38:39], v[2:3], v[38:39], -v[40:41]
	v_fma_f64 v[32:33], v[32:33], v[6:7], v[155:156]
	v_fma_f64 v[6:7], v[30:31], v[6:7], -v[8:9]
	v_add_f64_e32 v[40:41], v[34:35], v[153:154]
	v_add_f64_e32 v[153:154], v[36:37], v[163:164]
	ds_load_b128 v[2:5], v1 offset:1616
	ds_load_b128 v[34:37], v1 offset:1632
	s_wait_loadcnt_dscnt 0x401
	v_mul_f64_e32 v[159:160], v[2:3], v[12:13]
	v_mul_f64_e32 v[12:13], v[4:5], v[12:13]
	v_add_f64_e32 v[8:9], v[40:41], v[38:39]
	v_add_f64_e32 v[30:31], v[153:154], v[157:158]
	s_wait_loadcnt_dscnt 0x300
	v_mul_f64_e32 v[38:39], v[34:35], v[16:17]
	v_mul_f64_e32 v[16:17], v[36:37], v[16:17]
	v_fma_f64 v[40:41], v[4:5], v[10:11], v[159:160]
	v_fma_f64 v[10:11], v[2:3], v[10:11], -v[12:13]
	v_add_f64_e32 v[12:13], v[8:9], v[6:7]
	v_add_f64_e32 v[30:31], v[30:31], v[32:33]
	ds_load_b128 v[2:5], v1 offset:1648
	ds_load_b128 v[6:9], v1 offset:1664
	v_fma_f64 v[36:37], v[36:37], v[14:15], v[38:39]
	v_fma_f64 v[14:15], v[34:35], v[14:15], -v[16:17]
	s_wait_loadcnt_dscnt 0x201
	v_mul_f64_e32 v[32:33], v[2:3], v[20:21]
	v_mul_f64_e32 v[20:21], v[4:5], v[20:21]
	s_wait_loadcnt_dscnt 0x100
	v_mul_f64_e32 v[16:17], v[6:7], v[24:25]
	v_mul_f64_e32 v[24:25], v[8:9], v[24:25]
	v_add_f64_e32 v[10:11], v[12:13], v[10:11]
	v_add_f64_e32 v[12:13], v[30:31], v[40:41]
	v_fma_f64 v[30:31], v[4:5], v[18:19], v[32:33]
	v_fma_f64 v[18:19], v[2:3], v[18:19], -v[20:21]
	ds_load_b128 v[2:5], v1 offset:1680
	v_fma_f64 v[8:9], v[8:9], v[22:23], v[16:17]
	v_fma_f64 v[6:7], v[6:7], v[22:23], -v[24:25]
	v_add_f64_e32 v[10:11], v[10:11], v[14:15]
	v_add_f64_e32 v[12:13], v[12:13], v[36:37]
	s_wait_loadcnt_dscnt 0x0
	v_mul_f64_e32 v[14:15], v[2:3], v[28:29]
	v_mul_f64_e32 v[20:21], v[4:5], v[28:29]
	s_delay_alu instid0(VALU_DEP_4) | instskip(NEXT) | instid1(VALU_DEP_4)
	v_add_f64_e32 v[10:11], v[10:11], v[18:19]
	v_add_f64_e32 v[12:13], v[12:13], v[30:31]
	s_delay_alu instid0(VALU_DEP_4) | instskip(NEXT) | instid1(VALU_DEP_4)
	v_fma_f64 v[4:5], v[4:5], v[26:27], v[14:15]
	v_fma_f64 v[2:3], v[2:3], v[26:27], -v[20:21]
	s_delay_alu instid0(VALU_DEP_4) | instskip(NEXT) | instid1(VALU_DEP_4)
	v_add_f64_e32 v[6:7], v[10:11], v[6:7]
	v_add_f64_e32 v[8:9], v[12:13], v[8:9]
	s_delay_alu instid0(VALU_DEP_2) | instskip(NEXT) | instid1(VALU_DEP_2)
	v_add_f64_e32 v[2:3], v[6:7], v[2:3]
	v_add_f64_e32 v[4:5], v[8:9], v[4:5]
	s_delay_alu instid0(VALU_DEP_2) | instskip(NEXT) | instid1(VALU_DEP_2)
	v_add_f64_e64 v[2:3], v[42:43], -v[2:3]
	v_add_f64_e64 v[4:5], v[44:45], -v[4:5]
	scratch_store_b128 off, v[2:5], off offset:256
	v_cmpx_lt_u32_e32 14, v0
	s_cbranch_execz .LBB52_303
; %bb.302:
	scratch_load_b128 v[5:8], off, s52
	v_dual_mov_b32 v2, v1 :: v_dual_mov_b32 v3, v1
	v_mov_b32_e32 v4, v1
	scratch_store_b128 off, v[1:4], off offset:240
	s_wait_loadcnt 0x0
	ds_store_b128 v152, v[5:8]
.LBB52_303:
	s_wait_alu 0xfffe
	s_or_b32 exec_lo, exec_lo, s0
	s_wait_storecnt_dscnt 0x0
	s_barrier_signal -1
	s_barrier_wait -1
	global_inv scope:SCOPE_SE
	s_clause 0x8
	scratch_load_b128 v[2:5], off, off offset:256
	scratch_load_b128 v[6:9], off, off offset:272
	;; [unrolled: 1-line block ×9, first 2 shown]
	ds_load_b128 v[42:45], v1 offset:1088
	ds_load_b128 v[38:41], v1 offset:1104
	s_clause 0x1
	scratch_load_b128 v[153:156], off, off offset:240
	scratch_load_b128 v[157:160], off, off offset:400
	s_mov_b32 s0, exec_lo
	s_wait_loadcnt_dscnt 0xa01
	v_mul_f64_e32 v[161:162], v[44:45], v[4:5]
	v_mul_f64_e32 v[4:5], v[42:43], v[4:5]
	s_wait_loadcnt_dscnt 0x900
	v_mul_f64_e32 v[165:166], v[38:39], v[8:9]
	v_mul_f64_e32 v[8:9], v[40:41], v[8:9]
	s_delay_alu instid0(VALU_DEP_4) | instskip(NEXT) | instid1(VALU_DEP_4)
	v_fma_f64 v[167:168], v[42:43], v[2:3], -v[161:162]
	v_fma_f64 v[169:170], v[44:45], v[2:3], v[4:5]
	ds_load_b128 v[2:5], v1 offset:1120
	ds_load_b128 v[161:164], v1 offset:1136
	scratch_load_b128 v[42:45], off, off offset:416
	v_fma_f64 v[40:41], v[40:41], v[6:7], v[165:166]
	v_fma_f64 v[38:39], v[38:39], v[6:7], -v[8:9]
	scratch_load_b128 v[6:9], off, off offset:432
	s_wait_loadcnt_dscnt 0xa01
	v_mul_f64_e32 v[171:172], v[2:3], v[12:13]
	v_mul_f64_e32 v[12:13], v[4:5], v[12:13]
	v_add_f64_e32 v[165:166], 0, v[167:168]
	v_add_f64_e32 v[167:168], 0, v[169:170]
	s_wait_loadcnt_dscnt 0x900
	v_mul_f64_e32 v[169:170], v[161:162], v[16:17]
	v_mul_f64_e32 v[16:17], v[163:164], v[16:17]
	v_fma_f64 v[171:172], v[4:5], v[10:11], v[171:172]
	v_fma_f64 v[173:174], v[2:3], v[10:11], -v[12:13]
	ds_load_b128 v[2:5], v1 offset:1152
	scratch_load_b128 v[10:13], off, off offset:448
	v_add_f64_e32 v[165:166], v[165:166], v[38:39]
	v_add_f64_e32 v[167:168], v[167:168], v[40:41]
	ds_load_b128 v[38:41], v1 offset:1168
	v_fma_f64 v[163:164], v[163:164], v[14:15], v[169:170]
	v_fma_f64 v[161:162], v[161:162], v[14:15], -v[16:17]
	scratch_load_b128 v[14:17], off, off offset:464
	s_wait_loadcnt_dscnt 0xa01
	v_mul_f64_e32 v[175:176], v[2:3], v[20:21]
	v_mul_f64_e32 v[20:21], v[4:5], v[20:21]
	s_wait_loadcnt_dscnt 0x900
	v_mul_f64_e32 v[169:170], v[38:39], v[24:25]
	v_mul_f64_e32 v[24:25], v[40:41], v[24:25]
	v_add_f64_e32 v[165:166], v[165:166], v[173:174]
	v_add_f64_e32 v[167:168], v[167:168], v[171:172]
	v_fma_f64 v[171:172], v[4:5], v[18:19], v[175:176]
	v_fma_f64 v[173:174], v[2:3], v[18:19], -v[20:21]
	ds_load_b128 v[2:5], v1 offset:1184
	scratch_load_b128 v[18:21], off, off offset:480
	v_fma_f64 v[40:41], v[40:41], v[22:23], v[169:170]
	v_fma_f64 v[38:39], v[38:39], v[22:23], -v[24:25]
	scratch_load_b128 v[22:25], off, off offset:496
	v_add_f64_e32 v[165:166], v[165:166], v[161:162]
	v_add_f64_e32 v[167:168], v[167:168], v[163:164]
	ds_load_b128 v[161:164], v1 offset:1200
	s_wait_loadcnt_dscnt 0xa01
	v_mul_f64_e32 v[175:176], v[2:3], v[28:29]
	v_mul_f64_e32 v[28:29], v[4:5], v[28:29]
	s_wait_loadcnt_dscnt 0x900
	v_mul_f64_e32 v[169:170], v[161:162], v[32:33]
	v_mul_f64_e32 v[32:33], v[163:164], v[32:33]
	v_add_f64_e32 v[165:166], v[165:166], v[173:174]
	v_add_f64_e32 v[167:168], v[167:168], v[171:172]
	v_fma_f64 v[171:172], v[4:5], v[26:27], v[175:176]
	v_fma_f64 v[173:174], v[2:3], v[26:27], -v[28:29]
	ds_load_b128 v[2:5], v1 offset:1216
	scratch_load_b128 v[26:29], off, off offset:512
	v_fma_f64 v[163:164], v[163:164], v[30:31], v[169:170]
	v_fma_f64 v[161:162], v[161:162], v[30:31], -v[32:33]
	scratch_load_b128 v[30:33], off, off offset:528
	v_add_f64_e32 v[165:166], v[165:166], v[38:39]
	v_add_f64_e32 v[167:168], v[167:168], v[40:41]
	ds_load_b128 v[38:41], v1 offset:1232
	s_wait_loadcnt_dscnt 0xa01
	v_mul_f64_e32 v[175:176], v[2:3], v[36:37]
	v_mul_f64_e32 v[36:37], v[4:5], v[36:37]
	s_wait_loadcnt_dscnt 0x800
	v_mul_f64_e32 v[169:170], v[38:39], v[159:160]
	v_add_f64_e32 v[165:166], v[165:166], v[173:174]
	v_add_f64_e32 v[167:168], v[167:168], v[171:172]
	v_mul_f64_e32 v[171:172], v[40:41], v[159:160]
	v_fma_f64 v[173:174], v[4:5], v[34:35], v[175:176]
	v_fma_f64 v[175:176], v[2:3], v[34:35], -v[36:37]
	ds_load_b128 v[2:5], v1 offset:1248
	scratch_load_b128 v[34:37], off, off offset:544
	v_fma_f64 v[169:170], v[40:41], v[157:158], v[169:170]
	v_add_f64_e32 v[165:166], v[165:166], v[161:162]
	v_add_f64_e32 v[163:164], v[167:168], v[163:164]
	ds_load_b128 v[159:162], v1 offset:1264
	v_fma_f64 v[157:158], v[38:39], v[157:158], -v[171:172]
	scratch_load_b128 v[38:41], off, off offset:560
	s_wait_loadcnt_dscnt 0x901
	v_mul_f64_e32 v[167:168], v[2:3], v[44:45]
	v_mul_f64_e32 v[44:45], v[4:5], v[44:45]
	s_wait_loadcnt_dscnt 0x800
	v_mul_f64_e32 v[171:172], v[159:160], v[8:9]
	v_mul_f64_e32 v[8:9], v[161:162], v[8:9]
	v_add_f64_e32 v[165:166], v[165:166], v[175:176]
	v_add_f64_e32 v[163:164], v[163:164], v[173:174]
	v_fma_f64 v[167:168], v[4:5], v[42:43], v[167:168]
	v_fma_f64 v[173:174], v[2:3], v[42:43], -v[44:45]
	ds_load_b128 v[2:5], v1 offset:1280
	scratch_load_b128 v[42:45], off, off offset:576
	v_fma_f64 v[161:162], v[161:162], v[6:7], v[171:172]
	v_fma_f64 v[159:160], v[159:160], v[6:7], -v[8:9]
	scratch_load_b128 v[6:9], off, off offset:592
	v_add_f64_e32 v[157:158], v[165:166], v[157:158]
	v_add_f64_e32 v[169:170], v[163:164], v[169:170]
	ds_load_b128 v[163:166], v1 offset:1296
	s_wait_loadcnt_dscnt 0x901
	v_mul_f64_e32 v[175:176], v[2:3], v[12:13]
	v_mul_f64_e32 v[12:13], v[4:5], v[12:13]
	v_add_f64_e32 v[157:158], v[157:158], v[173:174]
	v_add_f64_e32 v[167:168], v[169:170], v[167:168]
	s_wait_loadcnt_dscnt 0x800
	v_mul_f64_e32 v[169:170], v[163:164], v[16:17]
	v_mul_f64_e32 v[16:17], v[165:166], v[16:17]
	v_fma_f64 v[171:172], v[4:5], v[10:11], v[175:176]
	v_fma_f64 v[173:174], v[2:3], v[10:11], -v[12:13]
	ds_load_b128 v[2:5], v1 offset:1312
	scratch_load_b128 v[10:13], off, off offset:608
	v_add_f64_e32 v[175:176], v[157:158], v[159:160]
	v_add_f64_e32 v[161:162], v[167:168], v[161:162]
	ds_load_b128 v[157:160], v1 offset:1328
	s_wait_loadcnt_dscnt 0x801
	v_mul_f64_e32 v[167:168], v[2:3], v[20:21]
	v_mul_f64_e32 v[20:21], v[4:5], v[20:21]
	v_fma_f64 v[165:166], v[165:166], v[14:15], v[169:170]
	v_fma_f64 v[163:164], v[163:164], v[14:15], -v[16:17]
	scratch_load_b128 v[14:17], off, off offset:624
	v_add_f64_e32 v[169:170], v[175:176], v[173:174]
	v_add_f64_e32 v[161:162], v[161:162], v[171:172]
	s_wait_loadcnt_dscnt 0x800
	v_mul_f64_e32 v[171:172], v[157:158], v[24:25]
	v_mul_f64_e32 v[24:25], v[159:160], v[24:25]
	v_fma_f64 v[167:168], v[4:5], v[18:19], v[167:168]
	v_fma_f64 v[173:174], v[2:3], v[18:19], -v[20:21]
	ds_load_b128 v[2:5], v1 offset:1344
	scratch_load_b128 v[18:21], off, off offset:640
	v_add_f64_e32 v[169:170], v[169:170], v[163:164]
	v_add_f64_e32 v[165:166], v[161:162], v[165:166]
	ds_load_b128 v[161:164], v1 offset:1360
	s_wait_loadcnt_dscnt 0x801
	v_mul_f64_e32 v[175:176], v[2:3], v[28:29]
	v_mul_f64_e32 v[28:29], v[4:5], v[28:29]
	v_fma_f64 v[159:160], v[159:160], v[22:23], v[171:172]
	v_fma_f64 v[157:158], v[157:158], v[22:23], -v[24:25]
	scratch_load_b128 v[22:25], off, off offset:656
	;; [unrolled: 18-line block ×4, first 2 shown]
	s_wait_loadcnt_dscnt 0x800
	v_mul_f64_e32 v[169:170], v[161:162], v[8:9]
	v_mul_f64_e32 v[8:9], v[163:164], v[8:9]
	v_add_f64_e32 v[167:168], v[167:168], v[173:174]
	v_add_f64_e32 v[165:166], v[165:166], v[171:172]
	v_fma_f64 v[171:172], v[4:5], v[42:43], v[175:176]
	v_fma_f64 v[173:174], v[2:3], v[42:43], -v[44:45]
	ds_load_b128 v[2:5], v1 offset:1440
	scratch_load_b128 v[42:45], off, off offset:736
	v_fma_f64 v[163:164], v[163:164], v[6:7], v[169:170]
	v_fma_f64 v[161:162], v[161:162], v[6:7], -v[8:9]
	scratch_load_b128 v[6:9], off, off offset:752
	v_add_f64_e32 v[167:168], v[167:168], v[157:158]
	v_add_f64_e32 v[165:166], v[165:166], v[159:160]
	ds_load_b128 v[157:160], v1 offset:1456
	s_wait_loadcnt_dscnt 0x901
	v_mul_f64_e32 v[175:176], v[2:3], v[12:13]
	v_mul_f64_e32 v[12:13], v[4:5], v[12:13]
	s_wait_loadcnt_dscnt 0x800
	v_mul_f64_e32 v[169:170], v[157:158], v[16:17]
	v_mul_f64_e32 v[16:17], v[159:160], v[16:17]
	v_add_f64_e32 v[167:168], v[167:168], v[173:174]
	v_add_f64_e32 v[165:166], v[165:166], v[171:172]
	v_fma_f64 v[171:172], v[4:5], v[10:11], v[175:176]
	v_fma_f64 v[173:174], v[2:3], v[10:11], -v[12:13]
	ds_load_b128 v[2:5], v1 offset:1472
	scratch_load_b128 v[10:13], off, off offset:768
	v_fma_f64 v[159:160], v[159:160], v[14:15], v[169:170]
	v_fma_f64 v[157:158], v[157:158], v[14:15], -v[16:17]
	scratch_load_b128 v[14:17], off, off offset:784
	v_add_f64_e32 v[167:168], v[167:168], v[161:162]
	v_add_f64_e32 v[165:166], v[165:166], v[163:164]
	ds_load_b128 v[161:164], v1 offset:1488
	s_wait_loadcnt_dscnt 0x901
	v_mul_f64_e32 v[175:176], v[2:3], v[20:21]
	v_mul_f64_e32 v[20:21], v[4:5], v[20:21]
	;; [unrolled: 18-line block ×4, first 2 shown]
	s_wait_loadcnt_dscnt 0x800
	v_mul_f64_e32 v[169:170], v[161:162], v[40:41]
	v_mul_f64_e32 v[40:41], v[163:164], v[40:41]
	v_add_f64_e32 v[167:168], v[167:168], v[173:174]
	v_add_f64_e32 v[165:166], v[165:166], v[171:172]
	v_fma_f64 v[171:172], v[4:5], v[34:35], v[175:176]
	v_fma_f64 v[173:174], v[2:3], v[34:35], -v[36:37]
	ds_load_b128 v[2:5], v1 offset:1568
	ds_load_b128 v[34:37], v1 offset:1584
	v_fma_f64 v[163:164], v[163:164], v[38:39], v[169:170]
	v_fma_f64 v[38:39], v[161:162], v[38:39], -v[40:41]
	v_add_f64_e32 v[157:158], v[167:168], v[157:158]
	v_add_f64_e32 v[159:160], v[165:166], v[159:160]
	s_wait_loadcnt_dscnt 0x701
	v_mul_f64_e32 v[165:166], v[2:3], v[44:45]
	v_mul_f64_e32 v[44:45], v[4:5], v[44:45]
	s_delay_alu instid0(VALU_DEP_4) | instskip(NEXT) | instid1(VALU_DEP_4)
	v_add_f64_e32 v[40:41], v[157:158], v[173:174]
	v_add_f64_e32 v[157:158], v[159:160], v[171:172]
	s_wait_loadcnt_dscnt 0x600
	v_mul_f64_e32 v[159:160], v[34:35], v[8:9]
	v_mul_f64_e32 v[8:9], v[36:37], v[8:9]
	v_fma_f64 v[161:162], v[4:5], v[42:43], v[165:166]
	v_fma_f64 v[42:43], v[2:3], v[42:43], -v[44:45]
	v_add_f64_e32 v[44:45], v[40:41], v[38:39]
	v_add_f64_e32 v[157:158], v[157:158], v[163:164]
	ds_load_b128 v[2:5], v1 offset:1600
	ds_load_b128 v[38:41], v1 offset:1616
	v_fma_f64 v[36:37], v[36:37], v[6:7], v[159:160]
	v_fma_f64 v[6:7], v[34:35], v[6:7], -v[8:9]
	s_wait_loadcnt_dscnt 0x501
	v_mul_f64_e32 v[163:164], v[2:3], v[12:13]
	v_mul_f64_e32 v[12:13], v[4:5], v[12:13]
	v_add_f64_e32 v[8:9], v[44:45], v[42:43]
	v_add_f64_e32 v[34:35], v[157:158], v[161:162]
	s_wait_loadcnt_dscnt 0x400
	v_mul_f64_e32 v[42:43], v[38:39], v[16:17]
	v_mul_f64_e32 v[16:17], v[40:41], v[16:17]
	v_fma_f64 v[44:45], v[4:5], v[10:11], v[163:164]
	v_fma_f64 v[10:11], v[2:3], v[10:11], -v[12:13]
	v_add_f64_e32 v[12:13], v[8:9], v[6:7]
	v_add_f64_e32 v[34:35], v[34:35], v[36:37]
	ds_load_b128 v[2:5], v1 offset:1632
	ds_load_b128 v[6:9], v1 offset:1648
	v_fma_f64 v[40:41], v[40:41], v[14:15], v[42:43]
	v_fma_f64 v[14:15], v[38:39], v[14:15], -v[16:17]
	s_wait_loadcnt_dscnt 0x301
	v_mul_f64_e32 v[36:37], v[2:3], v[20:21]
	v_mul_f64_e32 v[20:21], v[4:5], v[20:21]
	s_wait_loadcnt_dscnt 0x200
	v_mul_f64_e32 v[16:17], v[6:7], v[24:25]
	v_mul_f64_e32 v[24:25], v[8:9], v[24:25]
	v_add_f64_e32 v[10:11], v[12:13], v[10:11]
	v_add_f64_e32 v[12:13], v[34:35], v[44:45]
	v_fma_f64 v[34:35], v[4:5], v[18:19], v[36:37]
	v_fma_f64 v[18:19], v[2:3], v[18:19], -v[20:21]
	v_fma_f64 v[8:9], v[8:9], v[22:23], v[16:17]
	v_fma_f64 v[6:7], v[6:7], v[22:23], -v[24:25]
	v_add_f64_e32 v[14:15], v[10:11], v[14:15]
	v_add_f64_e32 v[20:21], v[12:13], v[40:41]
	ds_load_b128 v[2:5], v1 offset:1664
	ds_load_b128 v[10:13], v1 offset:1680
	s_wait_loadcnt_dscnt 0x101
	v_mul_f64_e32 v[36:37], v[2:3], v[28:29]
	v_mul_f64_e32 v[28:29], v[4:5], v[28:29]
	v_add_f64_e32 v[14:15], v[14:15], v[18:19]
	v_add_f64_e32 v[16:17], v[20:21], v[34:35]
	s_wait_loadcnt_dscnt 0x0
	v_mul_f64_e32 v[18:19], v[10:11], v[32:33]
	v_mul_f64_e32 v[20:21], v[12:13], v[32:33]
	v_fma_f64 v[4:5], v[4:5], v[26:27], v[36:37]
	v_fma_f64 v[1:2], v[2:3], v[26:27], -v[28:29]
	v_add_f64_e32 v[6:7], v[14:15], v[6:7]
	v_add_f64_e32 v[8:9], v[16:17], v[8:9]
	v_fma_f64 v[12:13], v[12:13], v[30:31], v[18:19]
	v_fma_f64 v[10:11], v[10:11], v[30:31], -v[20:21]
	s_delay_alu instid0(VALU_DEP_4) | instskip(NEXT) | instid1(VALU_DEP_4)
	v_add_f64_e32 v[1:2], v[6:7], v[1:2]
	v_add_f64_e32 v[3:4], v[8:9], v[4:5]
	s_delay_alu instid0(VALU_DEP_2) | instskip(NEXT) | instid1(VALU_DEP_2)
	v_add_f64_e32 v[1:2], v[1:2], v[10:11]
	v_add_f64_e32 v[3:4], v[3:4], v[12:13]
	s_delay_alu instid0(VALU_DEP_2) | instskip(NEXT) | instid1(VALU_DEP_2)
	v_add_f64_e64 v[1:2], v[153:154], -v[1:2]
	v_add_f64_e64 v[3:4], v[155:156], -v[3:4]
	scratch_store_b128 off, v[1:4], off offset:240
	v_cmpx_lt_u32_e32 13, v0
	s_cbranch_execz .LBB52_305
; %bb.304:
	scratch_load_b128 v[1:4], off, s53
	v_mov_b32_e32 v5, 0
	s_delay_alu instid0(VALU_DEP_1)
	v_dual_mov_b32 v6, v5 :: v_dual_mov_b32 v7, v5
	v_mov_b32_e32 v8, v5
	scratch_store_b128 off, v[5:8], off offset:224
	s_wait_loadcnt 0x0
	ds_store_b128 v152, v[1:4]
.LBB52_305:
	s_wait_alu 0xfffe
	s_or_b32 exec_lo, exec_lo, s0
	s_wait_storecnt_dscnt 0x0
	s_barrier_signal -1
	s_barrier_wait -1
	global_inv scope:SCOPE_SE
	s_clause 0x7
	scratch_load_b128 v[2:5], off, off offset:240
	scratch_load_b128 v[6:9], off, off offset:256
	;; [unrolled: 1-line block ×8, first 2 shown]
	v_mov_b32_e32 v1, 0
	s_mov_b32 s0, exec_lo
	ds_load_b128 v[38:41], v1 offset:1072
	s_clause 0x1
	scratch_load_b128 v[34:37], off, off offset:368
	scratch_load_b128 v[42:45], off, off offset:224
	ds_load_b128 v[153:156], v1 offset:1088
	scratch_load_b128 v[157:160], off, off offset:384
	s_wait_loadcnt_dscnt 0xa01
	v_mul_f64_e32 v[161:162], v[40:41], v[4:5]
	v_mul_f64_e32 v[4:5], v[38:39], v[4:5]
	s_delay_alu instid0(VALU_DEP_2) | instskip(NEXT) | instid1(VALU_DEP_2)
	v_fma_f64 v[167:168], v[38:39], v[2:3], -v[161:162]
	v_fma_f64 v[169:170], v[40:41], v[2:3], v[4:5]
	ds_load_b128 v[2:5], v1 offset:1104
	s_wait_loadcnt_dscnt 0x901
	v_mul_f64_e32 v[165:166], v[153:154], v[8:9]
	v_mul_f64_e32 v[8:9], v[155:156], v[8:9]
	scratch_load_b128 v[38:41], off, off offset:400
	ds_load_b128 v[161:164], v1 offset:1120
	s_wait_loadcnt_dscnt 0x901
	v_mul_f64_e32 v[171:172], v[2:3], v[12:13]
	v_mul_f64_e32 v[12:13], v[4:5], v[12:13]
	v_fma_f64 v[155:156], v[155:156], v[6:7], v[165:166]
	v_fma_f64 v[153:154], v[153:154], v[6:7], -v[8:9]
	v_add_f64_e32 v[165:166], 0, v[167:168]
	v_add_f64_e32 v[167:168], 0, v[169:170]
	scratch_load_b128 v[6:9], off, off offset:416
	v_fma_f64 v[171:172], v[4:5], v[10:11], v[171:172]
	v_fma_f64 v[173:174], v[2:3], v[10:11], -v[12:13]
	ds_load_b128 v[2:5], v1 offset:1136
	s_wait_loadcnt_dscnt 0x901
	v_mul_f64_e32 v[169:170], v[161:162], v[16:17]
	v_mul_f64_e32 v[16:17], v[163:164], v[16:17]
	scratch_load_b128 v[10:13], off, off offset:432
	v_add_f64_e32 v[165:166], v[165:166], v[153:154]
	v_add_f64_e32 v[167:168], v[167:168], v[155:156]
	s_wait_loadcnt_dscnt 0x900
	v_mul_f64_e32 v[175:176], v[2:3], v[20:21]
	v_mul_f64_e32 v[20:21], v[4:5], v[20:21]
	ds_load_b128 v[153:156], v1 offset:1152
	v_fma_f64 v[163:164], v[163:164], v[14:15], v[169:170]
	v_fma_f64 v[161:162], v[161:162], v[14:15], -v[16:17]
	scratch_load_b128 v[14:17], off, off offset:448
	v_add_f64_e32 v[165:166], v[165:166], v[173:174]
	v_add_f64_e32 v[167:168], v[167:168], v[171:172]
	v_fma_f64 v[171:172], v[4:5], v[18:19], v[175:176]
	v_fma_f64 v[173:174], v[2:3], v[18:19], -v[20:21]
	ds_load_b128 v[2:5], v1 offset:1168
	s_wait_loadcnt_dscnt 0x901
	v_mul_f64_e32 v[169:170], v[153:154], v[24:25]
	v_mul_f64_e32 v[24:25], v[155:156], v[24:25]
	scratch_load_b128 v[18:21], off, off offset:464
	s_wait_loadcnt_dscnt 0x900
	v_mul_f64_e32 v[175:176], v[2:3], v[28:29]
	v_mul_f64_e32 v[28:29], v[4:5], v[28:29]
	v_add_f64_e32 v[165:166], v[165:166], v[161:162]
	v_add_f64_e32 v[167:168], v[167:168], v[163:164]
	ds_load_b128 v[161:164], v1 offset:1184
	v_fma_f64 v[155:156], v[155:156], v[22:23], v[169:170]
	v_fma_f64 v[153:154], v[153:154], v[22:23], -v[24:25]
	scratch_load_b128 v[22:25], off, off offset:480
	v_add_f64_e32 v[165:166], v[165:166], v[173:174]
	v_add_f64_e32 v[167:168], v[167:168], v[171:172]
	v_fma_f64 v[171:172], v[4:5], v[26:27], v[175:176]
	v_fma_f64 v[173:174], v[2:3], v[26:27], -v[28:29]
	ds_load_b128 v[2:5], v1 offset:1200
	s_wait_loadcnt_dscnt 0x901
	v_mul_f64_e32 v[169:170], v[161:162], v[32:33]
	v_mul_f64_e32 v[32:33], v[163:164], v[32:33]
	scratch_load_b128 v[26:29], off, off offset:496
	s_wait_loadcnt_dscnt 0x900
	v_mul_f64_e32 v[175:176], v[2:3], v[36:37]
	v_mul_f64_e32 v[36:37], v[4:5], v[36:37]
	v_add_f64_e32 v[165:166], v[165:166], v[153:154]
	v_add_f64_e32 v[167:168], v[167:168], v[155:156]
	ds_load_b128 v[153:156], v1 offset:1216
	v_fma_f64 v[163:164], v[163:164], v[30:31], v[169:170]
	v_fma_f64 v[161:162], v[161:162], v[30:31], -v[32:33]
	scratch_load_b128 v[30:33], off, off offset:512
	v_add_f64_e32 v[165:166], v[165:166], v[173:174]
	v_add_f64_e32 v[167:168], v[167:168], v[171:172]
	v_fma_f64 v[173:174], v[4:5], v[34:35], v[175:176]
	v_fma_f64 v[175:176], v[2:3], v[34:35], -v[36:37]
	ds_load_b128 v[2:5], v1 offset:1232
	s_wait_loadcnt_dscnt 0x801
	v_mul_f64_e32 v[169:170], v[153:154], v[159:160]
	v_mul_f64_e32 v[171:172], v[155:156], v[159:160]
	scratch_load_b128 v[34:37], off, off offset:528
	v_add_f64_e32 v[165:166], v[165:166], v[161:162]
	v_add_f64_e32 v[163:164], v[167:168], v[163:164]
	ds_load_b128 v[159:162], v1 offset:1248
	v_fma_f64 v[169:170], v[155:156], v[157:158], v[169:170]
	v_fma_f64 v[157:158], v[153:154], v[157:158], -v[171:172]
	scratch_load_b128 v[153:156], off, off offset:544
	s_wait_loadcnt_dscnt 0x901
	v_mul_f64_e32 v[167:168], v[2:3], v[40:41]
	v_mul_f64_e32 v[40:41], v[4:5], v[40:41]
	v_add_f64_e32 v[165:166], v[165:166], v[175:176]
	v_add_f64_e32 v[163:164], v[163:164], v[173:174]
	s_delay_alu instid0(VALU_DEP_4) | instskip(NEXT) | instid1(VALU_DEP_4)
	v_fma_f64 v[167:168], v[4:5], v[38:39], v[167:168]
	v_fma_f64 v[173:174], v[2:3], v[38:39], -v[40:41]
	ds_load_b128 v[2:5], v1 offset:1264
	s_wait_loadcnt_dscnt 0x801
	v_mul_f64_e32 v[171:172], v[159:160], v[8:9]
	v_mul_f64_e32 v[8:9], v[161:162], v[8:9]
	scratch_load_b128 v[38:41], off, off offset:560
	s_wait_loadcnt_dscnt 0x800
	v_mul_f64_e32 v[175:176], v[2:3], v[12:13]
	v_add_f64_e32 v[157:158], v[165:166], v[157:158]
	v_add_f64_e32 v[169:170], v[163:164], v[169:170]
	v_mul_f64_e32 v[12:13], v[4:5], v[12:13]
	ds_load_b128 v[163:166], v1 offset:1280
	v_fma_f64 v[161:162], v[161:162], v[6:7], v[171:172]
	v_fma_f64 v[159:160], v[159:160], v[6:7], -v[8:9]
	scratch_load_b128 v[6:9], off, off offset:576
	v_fma_f64 v[171:172], v[4:5], v[10:11], v[175:176]
	v_add_f64_e32 v[157:158], v[157:158], v[173:174]
	v_add_f64_e32 v[167:168], v[169:170], v[167:168]
	v_fma_f64 v[173:174], v[2:3], v[10:11], -v[12:13]
	ds_load_b128 v[2:5], v1 offset:1296
	s_wait_loadcnt_dscnt 0x801
	v_mul_f64_e32 v[169:170], v[163:164], v[16:17]
	v_mul_f64_e32 v[16:17], v[165:166], v[16:17]
	scratch_load_b128 v[10:13], off, off offset:592
	v_add_f64_e32 v[175:176], v[157:158], v[159:160]
	v_add_f64_e32 v[161:162], v[167:168], v[161:162]
	s_wait_loadcnt_dscnt 0x800
	v_mul_f64_e32 v[167:168], v[2:3], v[20:21]
	v_mul_f64_e32 v[20:21], v[4:5], v[20:21]
	v_fma_f64 v[165:166], v[165:166], v[14:15], v[169:170]
	v_fma_f64 v[163:164], v[163:164], v[14:15], -v[16:17]
	ds_load_b128 v[157:160], v1 offset:1312
	scratch_load_b128 v[14:17], off, off offset:608
	v_add_f64_e32 v[169:170], v[175:176], v[173:174]
	v_add_f64_e32 v[161:162], v[161:162], v[171:172]
	v_fma_f64 v[167:168], v[4:5], v[18:19], v[167:168]
	v_fma_f64 v[173:174], v[2:3], v[18:19], -v[20:21]
	ds_load_b128 v[2:5], v1 offset:1328
	s_wait_loadcnt_dscnt 0x801
	v_mul_f64_e32 v[171:172], v[157:158], v[24:25]
	v_mul_f64_e32 v[24:25], v[159:160], v[24:25]
	scratch_load_b128 v[18:21], off, off offset:624
	s_wait_loadcnt_dscnt 0x800
	v_mul_f64_e32 v[175:176], v[2:3], v[28:29]
	v_mul_f64_e32 v[28:29], v[4:5], v[28:29]
	v_add_f64_e32 v[169:170], v[169:170], v[163:164]
	v_add_f64_e32 v[165:166], v[161:162], v[165:166]
	ds_load_b128 v[161:164], v1 offset:1344
	v_fma_f64 v[159:160], v[159:160], v[22:23], v[171:172]
	v_fma_f64 v[157:158], v[157:158], v[22:23], -v[24:25]
	scratch_load_b128 v[22:25], off, off offset:640
	v_fma_f64 v[171:172], v[4:5], v[26:27], v[175:176]
	v_add_f64_e32 v[169:170], v[169:170], v[173:174]
	v_add_f64_e32 v[165:166], v[165:166], v[167:168]
	v_fma_f64 v[173:174], v[2:3], v[26:27], -v[28:29]
	ds_load_b128 v[2:5], v1 offset:1360
	s_wait_loadcnt_dscnt 0x801
	v_mul_f64_e32 v[167:168], v[161:162], v[32:33]
	v_mul_f64_e32 v[32:33], v[163:164], v[32:33]
	scratch_load_b128 v[26:29], off, off offset:656
	s_wait_loadcnt_dscnt 0x800
	v_mul_f64_e32 v[175:176], v[2:3], v[36:37]
	v_mul_f64_e32 v[36:37], v[4:5], v[36:37]
	v_add_f64_e32 v[169:170], v[169:170], v[157:158]
	v_add_f64_e32 v[165:166], v[165:166], v[159:160]
	ds_load_b128 v[157:160], v1 offset:1376
	v_fma_f64 v[163:164], v[163:164], v[30:31], v[167:168]
	v_fma_f64 v[161:162], v[161:162], v[30:31], -v[32:33]
	scratch_load_b128 v[30:33], off, off offset:672
	v_add_f64_e32 v[167:168], v[169:170], v[173:174]
	v_add_f64_e32 v[165:166], v[165:166], v[171:172]
	v_fma_f64 v[171:172], v[4:5], v[34:35], v[175:176]
	v_fma_f64 v[173:174], v[2:3], v[34:35], -v[36:37]
	ds_load_b128 v[2:5], v1 offset:1392
	s_wait_loadcnt_dscnt 0x801
	v_mul_f64_e32 v[169:170], v[157:158], v[155:156]
	v_mul_f64_e32 v[155:156], v[159:160], v[155:156]
	scratch_load_b128 v[34:37], off, off offset:688
	s_wait_loadcnt_dscnt 0x800
	v_mul_f64_e32 v[175:176], v[2:3], v[40:41]
	v_mul_f64_e32 v[40:41], v[4:5], v[40:41]
	v_add_f64_e32 v[167:168], v[167:168], v[161:162]
	v_add_f64_e32 v[165:166], v[165:166], v[163:164]
	ds_load_b128 v[161:164], v1 offset:1408
	v_fma_f64 v[159:160], v[159:160], v[153:154], v[169:170]
	v_fma_f64 v[157:158], v[157:158], v[153:154], -v[155:156]
	scratch_load_b128 v[153:156], off, off offset:704
	v_add_f64_e32 v[167:168], v[167:168], v[173:174]
	v_add_f64_e32 v[165:166], v[165:166], v[171:172]
	v_fma_f64 v[171:172], v[4:5], v[38:39], v[175:176]
	;; [unrolled: 18-line block ×6, first 2 shown]
	v_fma_f64 v[175:176], v[2:3], v[34:35], -v[36:37]
	ds_load_b128 v[2:5], v1 offset:1552
	s_wait_loadcnt_dscnt 0x801
	v_mul_f64_e32 v[169:170], v[161:162], v[155:156]
	v_mul_f64_e32 v[171:172], v[163:164], v[155:156]
	scratch_load_b128 v[34:37], off, off offset:848
	v_add_f64_e32 v[167:168], v[167:168], v[157:158]
	v_add_f64_e32 v[159:160], v[165:166], v[159:160]
	s_wait_loadcnt_dscnt 0x800
	v_mul_f64_e32 v[165:166], v[2:3], v[40:41]
	v_mul_f64_e32 v[40:41], v[4:5], v[40:41]
	ds_load_b128 v[155:158], v1 offset:1568
	v_fma_f64 v[163:164], v[163:164], v[153:154], v[169:170]
	v_fma_f64 v[153:154], v[161:162], v[153:154], -v[171:172]
	v_add_f64_e32 v[161:162], v[167:168], v[175:176]
	v_add_f64_e32 v[159:160], v[159:160], v[173:174]
	s_wait_loadcnt_dscnt 0x700
	v_mul_f64_e32 v[167:168], v[155:156], v[8:9]
	v_mul_f64_e32 v[8:9], v[157:158], v[8:9]
	v_fma_f64 v[165:166], v[4:5], v[38:39], v[165:166]
	v_fma_f64 v[169:170], v[2:3], v[38:39], -v[40:41]
	ds_load_b128 v[2:5], v1 offset:1584
	ds_load_b128 v[38:41], v1 offset:1600
	v_add_f64_e32 v[153:154], v[161:162], v[153:154]
	v_add_f64_e32 v[159:160], v[159:160], v[163:164]
	s_wait_loadcnt_dscnt 0x601
	v_mul_f64_e32 v[161:162], v[2:3], v[12:13]
	v_mul_f64_e32 v[12:13], v[4:5], v[12:13]
	v_fma_f64 v[157:158], v[157:158], v[6:7], v[167:168]
	v_fma_f64 v[6:7], v[155:156], v[6:7], -v[8:9]
	s_wait_loadcnt_dscnt 0x500
	v_mul_f64_e32 v[155:156], v[38:39], v[16:17]
	v_mul_f64_e32 v[16:17], v[40:41], v[16:17]
	v_add_f64_e32 v[8:9], v[153:154], v[169:170]
	v_add_f64_e32 v[153:154], v[159:160], v[165:166]
	v_fma_f64 v[159:160], v[4:5], v[10:11], v[161:162]
	v_fma_f64 v[10:11], v[2:3], v[10:11], -v[12:13]
	v_fma_f64 v[40:41], v[40:41], v[14:15], v[155:156]
	v_fma_f64 v[14:15], v[38:39], v[14:15], -v[16:17]
	v_add_f64_e32 v[12:13], v[8:9], v[6:7]
	v_add_f64_e32 v[153:154], v[153:154], v[157:158]
	ds_load_b128 v[2:5], v1 offset:1616
	ds_load_b128 v[6:9], v1 offset:1632
	s_wait_loadcnt_dscnt 0x401
	v_mul_f64_e32 v[157:158], v[2:3], v[20:21]
	v_mul_f64_e32 v[20:21], v[4:5], v[20:21]
	s_wait_loadcnt_dscnt 0x300
	v_mul_f64_e32 v[16:17], v[6:7], v[24:25]
	v_mul_f64_e32 v[24:25], v[8:9], v[24:25]
	v_add_f64_e32 v[10:11], v[12:13], v[10:11]
	v_add_f64_e32 v[12:13], v[153:154], v[159:160]
	v_fma_f64 v[38:39], v[4:5], v[18:19], v[157:158]
	v_fma_f64 v[18:19], v[2:3], v[18:19], -v[20:21]
	v_fma_f64 v[8:9], v[8:9], v[22:23], v[16:17]
	v_fma_f64 v[6:7], v[6:7], v[22:23], -v[24:25]
	v_add_f64_e32 v[14:15], v[10:11], v[14:15]
	v_add_f64_e32 v[20:21], v[12:13], v[40:41]
	ds_load_b128 v[2:5], v1 offset:1648
	ds_load_b128 v[10:13], v1 offset:1664
	s_wait_loadcnt_dscnt 0x201
	v_mul_f64_e32 v[40:41], v[2:3], v[28:29]
	v_mul_f64_e32 v[28:29], v[4:5], v[28:29]
	v_add_f64_e32 v[14:15], v[14:15], v[18:19]
	v_add_f64_e32 v[16:17], v[20:21], v[38:39]
	s_wait_loadcnt_dscnt 0x100
	v_mul_f64_e32 v[18:19], v[10:11], v[32:33]
	v_mul_f64_e32 v[20:21], v[12:13], v[32:33]
	v_fma_f64 v[22:23], v[4:5], v[26:27], v[40:41]
	v_fma_f64 v[24:25], v[2:3], v[26:27], -v[28:29]
	ds_load_b128 v[2:5], v1 offset:1680
	v_add_f64_e32 v[6:7], v[14:15], v[6:7]
	v_add_f64_e32 v[8:9], v[16:17], v[8:9]
	v_fma_f64 v[12:13], v[12:13], v[30:31], v[18:19]
	v_fma_f64 v[10:11], v[10:11], v[30:31], -v[20:21]
	s_wait_loadcnt_dscnt 0x0
	v_mul_f64_e32 v[14:15], v[2:3], v[36:37]
	v_mul_f64_e32 v[16:17], v[4:5], v[36:37]
	v_add_f64_e32 v[6:7], v[6:7], v[24:25]
	v_add_f64_e32 v[8:9], v[8:9], v[22:23]
	s_delay_alu instid0(VALU_DEP_4) | instskip(NEXT) | instid1(VALU_DEP_4)
	v_fma_f64 v[4:5], v[4:5], v[34:35], v[14:15]
	v_fma_f64 v[2:3], v[2:3], v[34:35], -v[16:17]
	s_delay_alu instid0(VALU_DEP_4) | instskip(NEXT) | instid1(VALU_DEP_4)
	v_add_f64_e32 v[6:7], v[6:7], v[10:11]
	v_add_f64_e32 v[8:9], v[8:9], v[12:13]
	s_delay_alu instid0(VALU_DEP_2) | instskip(NEXT) | instid1(VALU_DEP_2)
	v_add_f64_e32 v[2:3], v[6:7], v[2:3]
	v_add_f64_e32 v[4:5], v[8:9], v[4:5]
	s_delay_alu instid0(VALU_DEP_2) | instskip(NEXT) | instid1(VALU_DEP_2)
	v_add_f64_e64 v[2:3], v[42:43], -v[2:3]
	v_add_f64_e64 v[4:5], v[44:45], -v[4:5]
	scratch_store_b128 off, v[2:5], off offset:224
	v_cmpx_lt_u32_e32 12, v0
	s_cbranch_execz .LBB52_307
; %bb.306:
	scratch_load_b128 v[5:8], off, s54
	v_dual_mov_b32 v2, v1 :: v_dual_mov_b32 v3, v1
	v_mov_b32_e32 v4, v1
	scratch_store_b128 off, v[1:4], off offset:208
	s_wait_loadcnt 0x0
	ds_store_b128 v152, v[5:8]
.LBB52_307:
	s_wait_alu 0xfffe
	s_or_b32 exec_lo, exec_lo, s0
	s_wait_storecnt_dscnt 0x0
	s_barrier_signal -1
	s_barrier_wait -1
	global_inv scope:SCOPE_SE
	s_clause 0x8
	scratch_load_b128 v[2:5], off, off offset:224
	scratch_load_b128 v[6:9], off, off offset:240
	;; [unrolled: 1-line block ×9, first 2 shown]
	ds_load_b128 v[42:45], v1 offset:1056
	ds_load_b128 v[38:41], v1 offset:1072
	s_clause 0x1
	scratch_load_b128 v[153:156], off, off offset:208
	scratch_load_b128 v[157:160], off, off offset:368
	s_mov_b32 s0, exec_lo
	s_wait_loadcnt_dscnt 0xa01
	v_mul_f64_e32 v[161:162], v[44:45], v[4:5]
	v_mul_f64_e32 v[4:5], v[42:43], v[4:5]
	s_wait_loadcnt_dscnt 0x900
	v_mul_f64_e32 v[165:166], v[38:39], v[8:9]
	v_mul_f64_e32 v[8:9], v[40:41], v[8:9]
	s_delay_alu instid0(VALU_DEP_4) | instskip(NEXT) | instid1(VALU_DEP_4)
	v_fma_f64 v[167:168], v[42:43], v[2:3], -v[161:162]
	v_fma_f64 v[169:170], v[44:45], v[2:3], v[4:5]
	ds_load_b128 v[2:5], v1 offset:1088
	ds_load_b128 v[161:164], v1 offset:1104
	scratch_load_b128 v[42:45], off, off offset:384
	v_fma_f64 v[40:41], v[40:41], v[6:7], v[165:166]
	v_fma_f64 v[38:39], v[38:39], v[6:7], -v[8:9]
	scratch_load_b128 v[6:9], off, off offset:400
	s_wait_loadcnt_dscnt 0xa01
	v_mul_f64_e32 v[171:172], v[2:3], v[12:13]
	v_mul_f64_e32 v[12:13], v[4:5], v[12:13]
	v_add_f64_e32 v[165:166], 0, v[167:168]
	v_add_f64_e32 v[167:168], 0, v[169:170]
	s_wait_loadcnt_dscnt 0x900
	v_mul_f64_e32 v[169:170], v[161:162], v[16:17]
	v_mul_f64_e32 v[16:17], v[163:164], v[16:17]
	v_fma_f64 v[171:172], v[4:5], v[10:11], v[171:172]
	v_fma_f64 v[173:174], v[2:3], v[10:11], -v[12:13]
	ds_load_b128 v[2:5], v1 offset:1120
	scratch_load_b128 v[10:13], off, off offset:416
	v_add_f64_e32 v[165:166], v[165:166], v[38:39]
	v_add_f64_e32 v[167:168], v[167:168], v[40:41]
	ds_load_b128 v[38:41], v1 offset:1136
	v_fma_f64 v[163:164], v[163:164], v[14:15], v[169:170]
	v_fma_f64 v[161:162], v[161:162], v[14:15], -v[16:17]
	scratch_load_b128 v[14:17], off, off offset:432
	s_wait_loadcnt_dscnt 0xa01
	v_mul_f64_e32 v[175:176], v[2:3], v[20:21]
	v_mul_f64_e32 v[20:21], v[4:5], v[20:21]
	s_wait_loadcnt_dscnt 0x900
	v_mul_f64_e32 v[169:170], v[38:39], v[24:25]
	v_mul_f64_e32 v[24:25], v[40:41], v[24:25]
	v_add_f64_e32 v[165:166], v[165:166], v[173:174]
	v_add_f64_e32 v[167:168], v[167:168], v[171:172]
	v_fma_f64 v[171:172], v[4:5], v[18:19], v[175:176]
	v_fma_f64 v[173:174], v[2:3], v[18:19], -v[20:21]
	ds_load_b128 v[2:5], v1 offset:1152
	scratch_load_b128 v[18:21], off, off offset:448
	v_fma_f64 v[40:41], v[40:41], v[22:23], v[169:170]
	v_fma_f64 v[38:39], v[38:39], v[22:23], -v[24:25]
	scratch_load_b128 v[22:25], off, off offset:464
	v_add_f64_e32 v[165:166], v[165:166], v[161:162]
	v_add_f64_e32 v[167:168], v[167:168], v[163:164]
	ds_load_b128 v[161:164], v1 offset:1168
	s_wait_loadcnt_dscnt 0xa01
	v_mul_f64_e32 v[175:176], v[2:3], v[28:29]
	v_mul_f64_e32 v[28:29], v[4:5], v[28:29]
	s_wait_loadcnt_dscnt 0x900
	v_mul_f64_e32 v[169:170], v[161:162], v[32:33]
	v_mul_f64_e32 v[32:33], v[163:164], v[32:33]
	v_add_f64_e32 v[165:166], v[165:166], v[173:174]
	v_add_f64_e32 v[167:168], v[167:168], v[171:172]
	v_fma_f64 v[171:172], v[4:5], v[26:27], v[175:176]
	v_fma_f64 v[173:174], v[2:3], v[26:27], -v[28:29]
	ds_load_b128 v[2:5], v1 offset:1184
	scratch_load_b128 v[26:29], off, off offset:480
	v_fma_f64 v[163:164], v[163:164], v[30:31], v[169:170]
	v_fma_f64 v[161:162], v[161:162], v[30:31], -v[32:33]
	scratch_load_b128 v[30:33], off, off offset:496
	v_add_f64_e32 v[165:166], v[165:166], v[38:39]
	v_add_f64_e32 v[167:168], v[167:168], v[40:41]
	ds_load_b128 v[38:41], v1 offset:1200
	s_wait_loadcnt_dscnt 0xa01
	v_mul_f64_e32 v[175:176], v[2:3], v[36:37]
	v_mul_f64_e32 v[36:37], v[4:5], v[36:37]
	s_wait_loadcnt_dscnt 0x800
	v_mul_f64_e32 v[169:170], v[38:39], v[159:160]
	v_add_f64_e32 v[165:166], v[165:166], v[173:174]
	v_add_f64_e32 v[167:168], v[167:168], v[171:172]
	v_mul_f64_e32 v[171:172], v[40:41], v[159:160]
	v_fma_f64 v[173:174], v[4:5], v[34:35], v[175:176]
	v_fma_f64 v[175:176], v[2:3], v[34:35], -v[36:37]
	ds_load_b128 v[2:5], v1 offset:1216
	scratch_load_b128 v[34:37], off, off offset:512
	v_fma_f64 v[169:170], v[40:41], v[157:158], v[169:170]
	v_add_f64_e32 v[165:166], v[165:166], v[161:162]
	v_add_f64_e32 v[163:164], v[167:168], v[163:164]
	ds_load_b128 v[159:162], v1 offset:1232
	v_fma_f64 v[157:158], v[38:39], v[157:158], -v[171:172]
	scratch_load_b128 v[38:41], off, off offset:528
	s_wait_loadcnt_dscnt 0x901
	v_mul_f64_e32 v[167:168], v[2:3], v[44:45]
	v_mul_f64_e32 v[44:45], v[4:5], v[44:45]
	s_wait_loadcnt_dscnt 0x800
	v_mul_f64_e32 v[171:172], v[159:160], v[8:9]
	v_mul_f64_e32 v[8:9], v[161:162], v[8:9]
	v_add_f64_e32 v[165:166], v[165:166], v[175:176]
	v_add_f64_e32 v[163:164], v[163:164], v[173:174]
	v_fma_f64 v[167:168], v[4:5], v[42:43], v[167:168]
	v_fma_f64 v[173:174], v[2:3], v[42:43], -v[44:45]
	ds_load_b128 v[2:5], v1 offset:1248
	scratch_load_b128 v[42:45], off, off offset:544
	v_fma_f64 v[161:162], v[161:162], v[6:7], v[171:172]
	v_fma_f64 v[159:160], v[159:160], v[6:7], -v[8:9]
	scratch_load_b128 v[6:9], off, off offset:560
	v_add_f64_e32 v[157:158], v[165:166], v[157:158]
	v_add_f64_e32 v[169:170], v[163:164], v[169:170]
	ds_load_b128 v[163:166], v1 offset:1264
	s_wait_loadcnt_dscnt 0x901
	v_mul_f64_e32 v[175:176], v[2:3], v[12:13]
	v_mul_f64_e32 v[12:13], v[4:5], v[12:13]
	v_add_f64_e32 v[157:158], v[157:158], v[173:174]
	v_add_f64_e32 v[167:168], v[169:170], v[167:168]
	s_wait_loadcnt_dscnt 0x800
	v_mul_f64_e32 v[169:170], v[163:164], v[16:17]
	v_mul_f64_e32 v[16:17], v[165:166], v[16:17]
	v_fma_f64 v[171:172], v[4:5], v[10:11], v[175:176]
	v_fma_f64 v[173:174], v[2:3], v[10:11], -v[12:13]
	ds_load_b128 v[2:5], v1 offset:1280
	scratch_load_b128 v[10:13], off, off offset:576
	v_add_f64_e32 v[175:176], v[157:158], v[159:160]
	v_add_f64_e32 v[161:162], v[167:168], v[161:162]
	ds_load_b128 v[157:160], v1 offset:1296
	s_wait_loadcnt_dscnt 0x801
	v_mul_f64_e32 v[167:168], v[2:3], v[20:21]
	v_mul_f64_e32 v[20:21], v[4:5], v[20:21]
	v_fma_f64 v[165:166], v[165:166], v[14:15], v[169:170]
	v_fma_f64 v[163:164], v[163:164], v[14:15], -v[16:17]
	scratch_load_b128 v[14:17], off, off offset:592
	v_add_f64_e32 v[169:170], v[175:176], v[173:174]
	v_add_f64_e32 v[161:162], v[161:162], v[171:172]
	s_wait_loadcnt_dscnt 0x800
	v_mul_f64_e32 v[171:172], v[157:158], v[24:25]
	v_mul_f64_e32 v[24:25], v[159:160], v[24:25]
	v_fma_f64 v[167:168], v[4:5], v[18:19], v[167:168]
	v_fma_f64 v[173:174], v[2:3], v[18:19], -v[20:21]
	ds_load_b128 v[2:5], v1 offset:1312
	scratch_load_b128 v[18:21], off, off offset:608
	v_add_f64_e32 v[169:170], v[169:170], v[163:164]
	v_add_f64_e32 v[165:166], v[161:162], v[165:166]
	ds_load_b128 v[161:164], v1 offset:1328
	s_wait_loadcnt_dscnt 0x801
	v_mul_f64_e32 v[175:176], v[2:3], v[28:29]
	v_mul_f64_e32 v[28:29], v[4:5], v[28:29]
	v_fma_f64 v[159:160], v[159:160], v[22:23], v[171:172]
	v_fma_f64 v[157:158], v[157:158], v[22:23], -v[24:25]
	scratch_load_b128 v[22:25], off, off offset:624
	;; [unrolled: 18-line block ×4, first 2 shown]
	s_wait_loadcnt_dscnt 0x800
	v_mul_f64_e32 v[169:170], v[161:162], v[8:9]
	v_mul_f64_e32 v[8:9], v[163:164], v[8:9]
	v_add_f64_e32 v[167:168], v[167:168], v[173:174]
	v_add_f64_e32 v[165:166], v[165:166], v[171:172]
	v_fma_f64 v[171:172], v[4:5], v[42:43], v[175:176]
	v_fma_f64 v[173:174], v[2:3], v[42:43], -v[44:45]
	ds_load_b128 v[2:5], v1 offset:1408
	scratch_load_b128 v[42:45], off, off offset:704
	v_fma_f64 v[163:164], v[163:164], v[6:7], v[169:170]
	v_fma_f64 v[161:162], v[161:162], v[6:7], -v[8:9]
	scratch_load_b128 v[6:9], off, off offset:720
	v_add_f64_e32 v[167:168], v[167:168], v[157:158]
	v_add_f64_e32 v[165:166], v[165:166], v[159:160]
	ds_load_b128 v[157:160], v1 offset:1424
	s_wait_loadcnt_dscnt 0x901
	v_mul_f64_e32 v[175:176], v[2:3], v[12:13]
	v_mul_f64_e32 v[12:13], v[4:5], v[12:13]
	s_wait_loadcnt_dscnt 0x800
	v_mul_f64_e32 v[169:170], v[157:158], v[16:17]
	v_mul_f64_e32 v[16:17], v[159:160], v[16:17]
	v_add_f64_e32 v[167:168], v[167:168], v[173:174]
	v_add_f64_e32 v[165:166], v[165:166], v[171:172]
	v_fma_f64 v[171:172], v[4:5], v[10:11], v[175:176]
	v_fma_f64 v[173:174], v[2:3], v[10:11], -v[12:13]
	ds_load_b128 v[2:5], v1 offset:1440
	scratch_load_b128 v[10:13], off, off offset:736
	v_fma_f64 v[159:160], v[159:160], v[14:15], v[169:170]
	v_fma_f64 v[157:158], v[157:158], v[14:15], -v[16:17]
	scratch_load_b128 v[14:17], off, off offset:752
	v_add_f64_e32 v[167:168], v[167:168], v[161:162]
	v_add_f64_e32 v[165:166], v[165:166], v[163:164]
	ds_load_b128 v[161:164], v1 offset:1456
	s_wait_loadcnt_dscnt 0x901
	v_mul_f64_e32 v[175:176], v[2:3], v[20:21]
	v_mul_f64_e32 v[20:21], v[4:5], v[20:21]
	;; [unrolled: 18-line block ×5, first 2 shown]
	s_wait_loadcnt_dscnt 0x800
	v_mul_f64_e32 v[169:170], v[157:158], v[8:9]
	v_mul_f64_e32 v[8:9], v[159:160], v[8:9]
	v_add_f64_e32 v[167:168], v[167:168], v[173:174]
	v_add_f64_e32 v[165:166], v[165:166], v[171:172]
	v_fma_f64 v[171:172], v[4:5], v[42:43], v[175:176]
	v_fma_f64 v[173:174], v[2:3], v[42:43], -v[44:45]
	ds_load_b128 v[2:5], v1 offset:1568
	ds_load_b128 v[42:45], v1 offset:1584
	v_fma_f64 v[159:160], v[159:160], v[6:7], v[169:170]
	v_fma_f64 v[6:7], v[157:158], v[6:7], -v[8:9]
	v_add_f64_e32 v[161:162], v[167:168], v[161:162]
	v_add_f64_e32 v[163:164], v[165:166], v[163:164]
	s_wait_loadcnt_dscnt 0x701
	v_mul_f64_e32 v[165:166], v[2:3], v[12:13]
	v_mul_f64_e32 v[12:13], v[4:5], v[12:13]
	s_delay_alu instid0(VALU_DEP_4) | instskip(NEXT) | instid1(VALU_DEP_4)
	v_add_f64_e32 v[8:9], v[161:162], v[173:174]
	v_add_f64_e32 v[157:158], v[163:164], v[171:172]
	s_wait_loadcnt_dscnt 0x600
	v_mul_f64_e32 v[161:162], v[42:43], v[16:17]
	v_mul_f64_e32 v[16:17], v[44:45], v[16:17]
	v_fma_f64 v[163:164], v[4:5], v[10:11], v[165:166]
	v_fma_f64 v[10:11], v[2:3], v[10:11], -v[12:13]
	v_add_f64_e32 v[12:13], v[8:9], v[6:7]
	v_add_f64_e32 v[157:158], v[157:158], v[159:160]
	ds_load_b128 v[2:5], v1 offset:1600
	ds_load_b128 v[6:9], v1 offset:1616
	v_fma_f64 v[44:45], v[44:45], v[14:15], v[161:162]
	v_fma_f64 v[14:15], v[42:43], v[14:15], -v[16:17]
	s_wait_loadcnt_dscnt 0x501
	v_mul_f64_e32 v[159:160], v[2:3], v[20:21]
	v_mul_f64_e32 v[20:21], v[4:5], v[20:21]
	s_wait_loadcnt_dscnt 0x400
	v_mul_f64_e32 v[16:17], v[6:7], v[24:25]
	v_mul_f64_e32 v[24:25], v[8:9], v[24:25]
	v_add_f64_e32 v[10:11], v[12:13], v[10:11]
	v_add_f64_e32 v[12:13], v[157:158], v[163:164]
	v_fma_f64 v[42:43], v[4:5], v[18:19], v[159:160]
	v_fma_f64 v[18:19], v[2:3], v[18:19], -v[20:21]
	v_fma_f64 v[8:9], v[8:9], v[22:23], v[16:17]
	v_fma_f64 v[6:7], v[6:7], v[22:23], -v[24:25]
	v_add_f64_e32 v[14:15], v[10:11], v[14:15]
	v_add_f64_e32 v[20:21], v[12:13], v[44:45]
	ds_load_b128 v[2:5], v1 offset:1632
	ds_load_b128 v[10:13], v1 offset:1648
	s_wait_loadcnt_dscnt 0x301
	v_mul_f64_e32 v[44:45], v[2:3], v[28:29]
	v_mul_f64_e32 v[28:29], v[4:5], v[28:29]
	v_add_f64_e32 v[14:15], v[14:15], v[18:19]
	v_add_f64_e32 v[16:17], v[20:21], v[42:43]
	s_wait_loadcnt_dscnt 0x200
	v_mul_f64_e32 v[18:19], v[10:11], v[32:33]
	v_mul_f64_e32 v[20:21], v[12:13], v[32:33]
	v_fma_f64 v[22:23], v[4:5], v[26:27], v[44:45]
	v_fma_f64 v[24:25], v[2:3], v[26:27], -v[28:29]
	v_add_f64_e32 v[14:15], v[14:15], v[6:7]
	v_add_f64_e32 v[16:17], v[16:17], v[8:9]
	ds_load_b128 v[2:5], v1 offset:1664
	ds_load_b128 v[6:9], v1 offset:1680
	v_fma_f64 v[12:13], v[12:13], v[30:31], v[18:19]
	v_fma_f64 v[10:11], v[10:11], v[30:31], -v[20:21]
	s_wait_loadcnt_dscnt 0x101
	v_mul_f64_e32 v[26:27], v[2:3], v[36:37]
	v_mul_f64_e32 v[28:29], v[4:5], v[36:37]
	s_wait_loadcnt_dscnt 0x0
	v_mul_f64_e32 v[18:19], v[6:7], v[40:41]
	v_mul_f64_e32 v[20:21], v[8:9], v[40:41]
	v_add_f64_e32 v[14:15], v[14:15], v[24:25]
	v_add_f64_e32 v[16:17], v[16:17], v[22:23]
	v_fma_f64 v[4:5], v[4:5], v[34:35], v[26:27]
	v_fma_f64 v[1:2], v[2:3], v[34:35], -v[28:29]
	v_fma_f64 v[8:9], v[8:9], v[38:39], v[18:19]
	v_fma_f64 v[6:7], v[6:7], v[38:39], -v[20:21]
	v_add_f64_e32 v[10:11], v[14:15], v[10:11]
	v_add_f64_e32 v[12:13], v[16:17], v[12:13]
	s_delay_alu instid0(VALU_DEP_2) | instskip(NEXT) | instid1(VALU_DEP_2)
	v_add_f64_e32 v[1:2], v[10:11], v[1:2]
	v_add_f64_e32 v[3:4], v[12:13], v[4:5]
	s_delay_alu instid0(VALU_DEP_2) | instskip(NEXT) | instid1(VALU_DEP_2)
	;; [unrolled: 3-line block ×3, first 2 shown]
	v_add_f64_e64 v[1:2], v[153:154], -v[1:2]
	v_add_f64_e64 v[3:4], v[155:156], -v[3:4]
	scratch_store_b128 off, v[1:4], off offset:208
	v_cmpx_lt_u32_e32 11, v0
	s_cbranch_execz .LBB52_309
; %bb.308:
	scratch_load_b128 v[1:4], off, s55
	v_mov_b32_e32 v5, 0
	s_delay_alu instid0(VALU_DEP_1)
	v_dual_mov_b32 v6, v5 :: v_dual_mov_b32 v7, v5
	v_mov_b32_e32 v8, v5
	scratch_store_b128 off, v[5:8], off offset:192
	s_wait_loadcnt 0x0
	ds_store_b128 v152, v[1:4]
.LBB52_309:
	s_wait_alu 0xfffe
	s_or_b32 exec_lo, exec_lo, s0
	s_wait_storecnt_dscnt 0x0
	s_barrier_signal -1
	s_barrier_wait -1
	global_inv scope:SCOPE_SE
	s_clause 0x7
	scratch_load_b128 v[2:5], off, off offset:208
	scratch_load_b128 v[6:9], off, off offset:224
	scratch_load_b128 v[10:13], off, off offset:240
	scratch_load_b128 v[14:17], off, off offset:256
	scratch_load_b128 v[18:21], off, off offset:272
	scratch_load_b128 v[22:25], off, off offset:288
	scratch_load_b128 v[26:29], off, off offset:304
	scratch_load_b128 v[30:33], off, off offset:320
	v_mov_b32_e32 v1, 0
	s_mov_b32 s0, exec_lo
	ds_load_b128 v[38:41], v1 offset:1040
	s_clause 0x1
	scratch_load_b128 v[34:37], off, off offset:336
	scratch_load_b128 v[42:45], off, off offset:192
	ds_load_b128 v[153:156], v1 offset:1056
	scratch_load_b128 v[157:160], off, off offset:352
	s_wait_loadcnt_dscnt 0xa01
	v_mul_f64_e32 v[161:162], v[40:41], v[4:5]
	v_mul_f64_e32 v[4:5], v[38:39], v[4:5]
	s_delay_alu instid0(VALU_DEP_2) | instskip(NEXT) | instid1(VALU_DEP_2)
	v_fma_f64 v[167:168], v[38:39], v[2:3], -v[161:162]
	v_fma_f64 v[169:170], v[40:41], v[2:3], v[4:5]
	ds_load_b128 v[2:5], v1 offset:1072
	s_wait_loadcnt_dscnt 0x901
	v_mul_f64_e32 v[165:166], v[153:154], v[8:9]
	v_mul_f64_e32 v[8:9], v[155:156], v[8:9]
	scratch_load_b128 v[38:41], off, off offset:368
	ds_load_b128 v[161:164], v1 offset:1088
	s_wait_loadcnt_dscnt 0x901
	v_mul_f64_e32 v[171:172], v[2:3], v[12:13]
	v_mul_f64_e32 v[12:13], v[4:5], v[12:13]
	v_fma_f64 v[155:156], v[155:156], v[6:7], v[165:166]
	v_fma_f64 v[153:154], v[153:154], v[6:7], -v[8:9]
	v_add_f64_e32 v[165:166], 0, v[167:168]
	v_add_f64_e32 v[167:168], 0, v[169:170]
	scratch_load_b128 v[6:9], off, off offset:384
	v_fma_f64 v[171:172], v[4:5], v[10:11], v[171:172]
	v_fma_f64 v[173:174], v[2:3], v[10:11], -v[12:13]
	ds_load_b128 v[2:5], v1 offset:1104
	s_wait_loadcnt_dscnt 0x901
	v_mul_f64_e32 v[169:170], v[161:162], v[16:17]
	v_mul_f64_e32 v[16:17], v[163:164], v[16:17]
	scratch_load_b128 v[10:13], off, off offset:400
	v_add_f64_e32 v[165:166], v[165:166], v[153:154]
	v_add_f64_e32 v[167:168], v[167:168], v[155:156]
	s_wait_loadcnt_dscnt 0x900
	v_mul_f64_e32 v[175:176], v[2:3], v[20:21]
	v_mul_f64_e32 v[20:21], v[4:5], v[20:21]
	ds_load_b128 v[153:156], v1 offset:1120
	v_fma_f64 v[163:164], v[163:164], v[14:15], v[169:170]
	v_fma_f64 v[161:162], v[161:162], v[14:15], -v[16:17]
	scratch_load_b128 v[14:17], off, off offset:416
	v_add_f64_e32 v[165:166], v[165:166], v[173:174]
	v_add_f64_e32 v[167:168], v[167:168], v[171:172]
	v_fma_f64 v[171:172], v[4:5], v[18:19], v[175:176]
	v_fma_f64 v[173:174], v[2:3], v[18:19], -v[20:21]
	ds_load_b128 v[2:5], v1 offset:1136
	s_wait_loadcnt_dscnt 0x901
	v_mul_f64_e32 v[169:170], v[153:154], v[24:25]
	v_mul_f64_e32 v[24:25], v[155:156], v[24:25]
	scratch_load_b128 v[18:21], off, off offset:432
	s_wait_loadcnt_dscnt 0x900
	v_mul_f64_e32 v[175:176], v[2:3], v[28:29]
	v_mul_f64_e32 v[28:29], v[4:5], v[28:29]
	v_add_f64_e32 v[165:166], v[165:166], v[161:162]
	v_add_f64_e32 v[167:168], v[167:168], v[163:164]
	ds_load_b128 v[161:164], v1 offset:1152
	v_fma_f64 v[155:156], v[155:156], v[22:23], v[169:170]
	v_fma_f64 v[153:154], v[153:154], v[22:23], -v[24:25]
	scratch_load_b128 v[22:25], off, off offset:448
	v_add_f64_e32 v[165:166], v[165:166], v[173:174]
	v_add_f64_e32 v[167:168], v[167:168], v[171:172]
	v_fma_f64 v[171:172], v[4:5], v[26:27], v[175:176]
	v_fma_f64 v[173:174], v[2:3], v[26:27], -v[28:29]
	ds_load_b128 v[2:5], v1 offset:1168
	s_wait_loadcnt_dscnt 0x901
	v_mul_f64_e32 v[169:170], v[161:162], v[32:33]
	v_mul_f64_e32 v[32:33], v[163:164], v[32:33]
	scratch_load_b128 v[26:29], off, off offset:464
	s_wait_loadcnt_dscnt 0x900
	v_mul_f64_e32 v[175:176], v[2:3], v[36:37]
	v_mul_f64_e32 v[36:37], v[4:5], v[36:37]
	v_add_f64_e32 v[165:166], v[165:166], v[153:154]
	v_add_f64_e32 v[167:168], v[167:168], v[155:156]
	ds_load_b128 v[153:156], v1 offset:1184
	v_fma_f64 v[163:164], v[163:164], v[30:31], v[169:170]
	v_fma_f64 v[161:162], v[161:162], v[30:31], -v[32:33]
	scratch_load_b128 v[30:33], off, off offset:480
	v_add_f64_e32 v[165:166], v[165:166], v[173:174]
	v_add_f64_e32 v[167:168], v[167:168], v[171:172]
	v_fma_f64 v[173:174], v[4:5], v[34:35], v[175:176]
	v_fma_f64 v[175:176], v[2:3], v[34:35], -v[36:37]
	ds_load_b128 v[2:5], v1 offset:1200
	s_wait_loadcnt_dscnt 0x801
	v_mul_f64_e32 v[169:170], v[153:154], v[159:160]
	v_mul_f64_e32 v[171:172], v[155:156], v[159:160]
	scratch_load_b128 v[34:37], off, off offset:496
	v_add_f64_e32 v[165:166], v[165:166], v[161:162]
	v_add_f64_e32 v[163:164], v[167:168], v[163:164]
	ds_load_b128 v[159:162], v1 offset:1216
	v_fma_f64 v[169:170], v[155:156], v[157:158], v[169:170]
	v_fma_f64 v[157:158], v[153:154], v[157:158], -v[171:172]
	scratch_load_b128 v[153:156], off, off offset:512
	s_wait_loadcnt_dscnt 0x901
	v_mul_f64_e32 v[167:168], v[2:3], v[40:41]
	v_mul_f64_e32 v[40:41], v[4:5], v[40:41]
	v_add_f64_e32 v[165:166], v[165:166], v[175:176]
	v_add_f64_e32 v[163:164], v[163:164], v[173:174]
	s_delay_alu instid0(VALU_DEP_4) | instskip(NEXT) | instid1(VALU_DEP_4)
	v_fma_f64 v[167:168], v[4:5], v[38:39], v[167:168]
	v_fma_f64 v[173:174], v[2:3], v[38:39], -v[40:41]
	ds_load_b128 v[2:5], v1 offset:1232
	s_wait_loadcnt_dscnt 0x801
	v_mul_f64_e32 v[171:172], v[159:160], v[8:9]
	v_mul_f64_e32 v[8:9], v[161:162], v[8:9]
	scratch_load_b128 v[38:41], off, off offset:528
	s_wait_loadcnt_dscnt 0x800
	v_mul_f64_e32 v[175:176], v[2:3], v[12:13]
	v_add_f64_e32 v[157:158], v[165:166], v[157:158]
	v_add_f64_e32 v[169:170], v[163:164], v[169:170]
	v_mul_f64_e32 v[12:13], v[4:5], v[12:13]
	ds_load_b128 v[163:166], v1 offset:1248
	v_fma_f64 v[161:162], v[161:162], v[6:7], v[171:172]
	v_fma_f64 v[159:160], v[159:160], v[6:7], -v[8:9]
	scratch_load_b128 v[6:9], off, off offset:544
	v_fma_f64 v[171:172], v[4:5], v[10:11], v[175:176]
	v_add_f64_e32 v[157:158], v[157:158], v[173:174]
	v_add_f64_e32 v[167:168], v[169:170], v[167:168]
	v_fma_f64 v[173:174], v[2:3], v[10:11], -v[12:13]
	ds_load_b128 v[2:5], v1 offset:1264
	s_wait_loadcnt_dscnt 0x801
	v_mul_f64_e32 v[169:170], v[163:164], v[16:17]
	v_mul_f64_e32 v[16:17], v[165:166], v[16:17]
	scratch_load_b128 v[10:13], off, off offset:560
	v_add_f64_e32 v[175:176], v[157:158], v[159:160]
	v_add_f64_e32 v[161:162], v[167:168], v[161:162]
	s_wait_loadcnt_dscnt 0x800
	v_mul_f64_e32 v[167:168], v[2:3], v[20:21]
	v_mul_f64_e32 v[20:21], v[4:5], v[20:21]
	v_fma_f64 v[165:166], v[165:166], v[14:15], v[169:170]
	v_fma_f64 v[163:164], v[163:164], v[14:15], -v[16:17]
	ds_load_b128 v[157:160], v1 offset:1280
	scratch_load_b128 v[14:17], off, off offset:576
	v_add_f64_e32 v[169:170], v[175:176], v[173:174]
	v_add_f64_e32 v[161:162], v[161:162], v[171:172]
	v_fma_f64 v[167:168], v[4:5], v[18:19], v[167:168]
	v_fma_f64 v[173:174], v[2:3], v[18:19], -v[20:21]
	ds_load_b128 v[2:5], v1 offset:1296
	s_wait_loadcnt_dscnt 0x801
	v_mul_f64_e32 v[171:172], v[157:158], v[24:25]
	v_mul_f64_e32 v[24:25], v[159:160], v[24:25]
	scratch_load_b128 v[18:21], off, off offset:592
	s_wait_loadcnt_dscnt 0x800
	v_mul_f64_e32 v[175:176], v[2:3], v[28:29]
	v_mul_f64_e32 v[28:29], v[4:5], v[28:29]
	v_add_f64_e32 v[169:170], v[169:170], v[163:164]
	v_add_f64_e32 v[165:166], v[161:162], v[165:166]
	ds_load_b128 v[161:164], v1 offset:1312
	v_fma_f64 v[159:160], v[159:160], v[22:23], v[171:172]
	v_fma_f64 v[157:158], v[157:158], v[22:23], -v[24:25]
	scratch_load_b128 v[22:25], off, off offset:608
	v_fma_f64 v[171:172], v[4:5], v[26:27], v[175:176]
	v_add_f64_e32 v[169:170], v[169:170], v[173:174]
	v_add_f64_e32 v[165:166], v[165:166], v[167:168]
	v_fma_f64 v[173:174], v[2:3], v[26:27], -v[28:29]
	ds_load_b128 v[2:5], v1 offset:1328
	s_wait_loadcnt_dscnt 0x801
	v_mul_f64_e32 v[167:168], v[161:162], v[32:33]
	v_mul_f64_e32 v[32:33], v[163:164], v[32:33]
	scratch_load_b128 v[26:29], off, off offset:624
	s_wait_loadcnt_dscnt 0x800
	v_mul_f64_e32 v[175:176], v[2:3], v[36:37]
	v_mul_f64_e32 v[36:37], v[4:5], v[36:37]
	v_add_f64_e32 v[169:170], v[169:170], v[157:158]
	v_add_f64_e32 v[165:166], v[165:166], v[159:160]
	ds_load_b128 v[157:160], v1 offset:1344
	v_fma_f64 v[163:164], v[163:164], v[30:31], v[167:168]
	v_fma_f64 v[161:162], v[161:162], v[30:31], -v[32:33]
	scratch_load_b128 v[30:33], off, off offset:640
	v_add_f64_e32 v[167:168], v[169:170], v[173:174]
	v_add_f64_e32 v[165:166], v[165:166], v[171:172]
	v_fma_f64 v[171:172], v[4:5], v[34:35], v[175:176]
	v_fma_f64 v[173:174], v[2:3], v[34:35], -v[36:37]
	ds_load_b128 v[2:5], v1 offset:1360
	s_wait_loadcnt_dscnt 0x801
	v_mul_f64_e32 v[169:170], v[157:158], v[155:156]
	v_mul_f64_e32 v[155:156], v[159:160], v[155:156]
	scratch_load_b128 v[34:37], off, off offset:656
	s_wait_loadcnt_dscnt 0x800
	v_mul_f64_e32 v[175:176], v[2:3], v[40:41]
	v_mul_f64_e32 v[40:41], v[4:5], v[40:41]
	v_add_f64_e32 v[167:168], v[167:168], v[161:162]
	v_add_f64_e32 v[165:166], v[165:166], v[163:164]
	ds_load_b128 v[161:164], v1 offset:1376
	v_fma_f64 v[159:160], v[159:160], v[153:154], v[169:170]
	v_fma_f64 v[157:158], v[157:158], v[153:154], -v[155:156]
	scratch_load_b128 v[153:156], off, off offset:672
	v_add_f64_e32 v[167:168], v[167:168], v[173:174]
	v_add_f64_e32 v[165:166], v[165:166], v[171:172]
	v_fma_f64 v[171:172], v[4:5], v[38:39], v[175:176]
	;; [unrolled: 18-line block ×6, first 2 shown]
	v_fma_f64 v[175:176], v[2:3], v[34:35], -v[36:37]
	ds_load_b128 v[2:5], v1 offset:1520
	s_wait_loadcnt_dscnt 0x801
	v_mul_f64_e32 v[169:170], v[161:162], v[155:156]
	v_mul_f64_e32 v[171:172], v[163:164], v[155:156]
	scratch_load_b128 v[34:37], off, off offset:816
	v_add_f64_e32 v[167:168], v[167:168], v[157:158]
	v_add_f64_e32 v[159:160], v[165:166], v[159:160]
	s_wait_loadcnt_dscnt 0x800
	v_mul_f64_e32 v[165:166], v[2:3], v[40:41]
	v_mul_f64_e32 v[40:41], v[4:5], v[40:41]
	ds_load_b128 v[155:158], v1 offset:1536
	v_fma_f64 v[163:164], v[163:164], v[153:154], v[169:170]
	v_fma_f64 v[153:154], v[161:162], v[153:154], -v[171:172]
	v_add_f64_e32 v[167:168], v[167:168], v[175:176]
	v_add_f64_e32 v[169:170], v[159:160], v[173:174]
	scratch_load_b128 v[159:162], off, off offset:832
	v_fma_f64 v[173:174], v[4:5], v[38:39], v[165:166]
	v_fma_f64 v[175:176], v[2:3], v[38:39], -v[40:41]
	ds_load_b128 v[2:5], v1 offset:1552
	s_wait_loadcnt_dscnt 0x801
	v_mul_f64_e32 v[171:172], v[155:156], v[8:9]
	v_mul_f64_e32 v[8:9], v[157:158], v[8:9]
	scratch_load_b128 v[38:41], off, off offset:848
	v_add_f64_e32 v[153:154], v[167:168], v[153:154]
	v_add_f64_e32 v[167:168], v[169:170], v[163:164]
	s_wait_loadcnt_dscnt 0x800
	v_mul_f64_e32 v[169:170], v[2:3], v[12:13]
	v_mul_f64_e32 v[12:13], v[4:5], v[12:13]
	ds_load_b128 v[163:166], v1 offset:1568
	v_fma_f64 v[157:158], v[157:158], v[6:7], v[171:172]
	v_fma_f64 v[6:7], v[155:156], v[6:7], -v[8:9]
	s_wait_loadcnt_dscnt 0x700
	v_mul_f64_e32 v[155:156], v[163:164], v[16:17]
	v_mul_f64_e32 v[16:17], v[165:166], v[16:17]
	v_add_f64_e32 v[8:9], v[153:154], v[175:176]
	v_add_f64_e32 v[153:154], v[167:168], v[173:174]
	v_fma_f64 v[167:168], v[4:5], v[10:11], v[169:170]
	v_fma_f64 v[10:11], v[2:3], v[10:11], -v[12:13]
	v_fma_f64 v[155:156], v[165:166], v[14:15], v[155:156]
	v_fma_f64 v[14:15], v[163:164], v[14:15], -v[16:17]
	v_add_f64_e32 v[12:13], v[8:9], v[6:7]
	v_add_f64_e32 v[153:154], v[153:154], v[157:158]
	ds_load_b128 v[2:5], v1 offset:1584
	ds_load_b128 v[6:9], v1 offset:1600
	s_wait_loadcnt_dscnt 0x601
	v_mul_f64_e32 v[157:158], v[2:3], v[20:21]
	v_mul_f64_e32 v[20:21], v[4:5], v[20:21]
	s_wait_loadcnt_dscnt 0x500
	v_mul_f64_e32 v[16:17], v[6:7], v[24:25]
	v_mul_f64_e32 v[24:25], v[8:9], v[24:25]
	v_add_f64_e32 v[10:11], v[12:13], v[10:11]
	v_add_f64_e32 v[12:13], v[153:154], v[167:168]
	v_fma_f64 v[153:154], v[4:5], v[18:19], v[157:158]
	v_fma_f64 v[18:19], v[2:3], v[18:19], -v[20:21]
	v_fma_f64 v[8:9], v[8:9], v[22:23], v[16:17]
	v_fma_f64 v[6:7], v[6:7], v[22:23], -v[24:25]
	v_add_f64_e32 v[14:15], v[10:11], v[14:15]
	v_add_f64_e32 v[20:21], v[12:13], v[155:156]
	ds_load_b128 v[2:5], v1 offset:1616
	ds_load_b128 v[10:13], v1 offset:1632
	s_wait_loadcnt_dscnt 0x401
	v_mul_f64_e32 v[155:156], v[2:3], v[28:29]
	v_mul_f64_e32 v[28:29], v[4:5], v[28:29]
	v_add_f64_e32 v[14:15], v[14:15], v[18:19]
	v_add_f64_e32 v[16:17], v[20:21], v[153:154]
	s_wait_loadcnt_dscnt 0x300
	v_mul_f64_e32 v[18:19], v[10:11], v[32:33]
	v_mul_f64_e32 v[20:21], v[12:13], v[32:33]
	v_fma_f64 v[22:23], v[4:5], v[26:27], v[155:156]
	v_fma_f64 v[24:25], v[2:3], v[26:27], -v[28:29]
	v_add_f64_e32 v[14:15], v[14:15], v[6:7]
	v_add_f64_e32 v[16:17], v[16:17], v[8:9]
	ds_load_b128 v[2:5], v1 offset:1648
	ds_load_b128 v[6:9], v1 offset:1664
	v_fma_f64 v[12:13], v[12:13], v[30:31], v[18:19]
	v_fma_f64 v[10:11], v[10:11], v[30:31], -v[20:21]
	s_wait_loadcnt_dscnt 0x201
	v_mul_f64_e32 v[26:27], v[2:3], v[36:37]
	v_mul_f64_e32 v[28:29], v[4:5], v[36:37]
	v_add_f64_e32 v[14:15], v[14:15], v[24:25]
	v_add_f64_e32 v[16:17], v[16:17], v[22:23]
	s_wait_loadcnt_dscnt 0x100
	v_mul_f64_e32 v[18:19], v[6:7], v[161:162]
	v_mul_f64_e32 v[20:21], v[8:9], v[161:162]
	v_fma_f64 v[22:23], v[4:5], v[34:35], v[26:27]
	v_fma_f64 v[24:25], v[2:3], v[34:35], -v[28:29]
	ds_load_b128 v[2:5], v1 offset:1680
	v_add_f64_e32 v[10:11], v[14:15], v[10:11]
	v_add_f64_e32 v[12:13], v[16:17], v[12:13]
	s_wait_loadcnt_dscnt 0x0
	v_mul_f64_e32 v[14:15], v[2:3], v[40:41]
	v_mul_f64_e32 v[16:17], v[4:5], v[40:41]
	v_fma_f64 v[8:9], v[8:9], v[159:160], v[18:19]
	v_fma_f64 v[6:7], v[6:7], v[159:160], -v[20:21]
	v_add_f64_e32 v[10:11], v[10:11], v[24:25]
	v_add_f64_e32 v[12:13], v[12:13], v[22:23]
	v_fma_f64 v[4:5], v[4:5], v[38:39], v[14:15]
	v_fma_f64 v[2:3], v[2:3], v[38:39], -v[16:17]
	s_delay_alu instid0(VALU_DEP_4) | instskip(NEXT) | instid1(VALU_DEP_4)
	v_add_f64_e32 v[6:7], v[10:11], v[6:7]
	v_add_f64_e32 v[8:9], v[12:13], v[8:9]
	s_delay_alu instid0(VALU_DEP_2) | instskip(NEXT) | instid1(VALU_DEP_2)
	v_add_f64_e32 v[2:3], v[6:7], v[2:3]
	v_add_f64_e32 v[4:5], v[8:9], v[4:5]
	s_delay_alu instid0(VALU_DEP_2) | instskip(NEXT) | instid1(VALU_DEP_2)
	v_add_f64_e64 v[2:3], v[42:43], -v[2:3]
	v_add_f64_e64 v[4:5], v[44:45], -v[4:5]
	scratch_store_b128 off, v[2:5], off offset:192
	v_cmpx_lt_u32_e32 10, v0
	s_cbranch_execz .LBB52_311
; %bb.310:
	scratch_load_b128 v[5:8], off, s56
	v_dual_mov_b32 v2, v1 :: v_dual_mov_b32 v3, v1
	v_mov_b32_e32 v4, v1
	scratch_store_b128 off, v[1:4], off offset:176
	s_wait_loadcnt 0x0
	ds_store_b128 v152, v[5:8]
.LBB52_311:
	s_wait_alu 0xfffe
	s_or_b32 exec_lo, exec_lo, s0
	s_wait_storecnt_dscnt 0x0
	s_barrier_signal -1
	s_barrier_wait -1
	global_inv scope:SCOPE_SE
	s_clause 0x8
	scratch_load_b128 v[2:5], off, off offset:192
	scratch_load_b128 v[6:9], off, off offset:208
	;; [unrolled: 1-line block ×9, first 2 shown]
	ds_load_b128 v[42:45], v1 offset:1024
	ds_load_b128 v[38:41], v1 offset:1040
	s_clause 0x1
	scratch_load_b128 v[153:156], off, off offset:176
	scratch_load_b128 v[157:160], off, off offset:336
	s_mov_b32 s0, exec_lo
	s_wait_loadcnt_dscnt 0xa01
	v_mul_f64_e32 v[161:162], v[44:45], v[4:5]
	v_mul_f64_e32 v[4:5], v[42:43], v[4:5]
	s_wait_loadcnt_dscnt 0x900
	v_mul_f64_e32 v[165:166], v[38:39], v[8:9]
	v_mul_f64_e32 v[8:9], v[40:41], v[8:9]
	s_delay_alu instid0(VALU_DEP_4) | instskip(NEXT) | instid1(VALU_DEP_4)
	v_fma_f64 v[167:168], v[42:43], v[2:3], -v[161:162]
	v_fma_f64 v[169:170], v[44:45], v[2:3], v[4:5]
	ds_load_b128 v[2:5], v1 offset:1056
	ds_load_b128 v[161:164], v1 offset:1072
	scratch_load_b128 v[42:45], off, off offset:352
	v_fma_f64 v[40:41], v[40:41], v[6:7], v[165:166]
	v_fma_f64 v[38:39], v[38:39], v[6:7], -v[8:9]
	scratch_load_b128 v[6:9], off, off offset:368
	s_wait_loadcnt_dscnt 0xa01
	v_mul_f64_e32 v[171:172], v[2:3], v[12:13]
	v_mul_f64_e32 v[12:13], v[4:5], v[12:13]
	v_add_f64_e32 v[165:166], 0, v[167:168]
	v_add_f64_e32 v[167:168], 0, v[169:170]
	s_wait_loadcnt_dscnt 0x900
	v_mul_f64_e32 v[169:170], v[161:162], v[16:17]
	v_mul_f64_e32 v[16:17], v[163:164], v[16:17]
	v_fma_f64 v[171:172], v[4:5], v[10:11], v[171:172]
	v_fma_f64 v[173:174], v[2:3], v[10:11], -v[12:13]
	ds_load_b128 v[2:5], v1 offset:1088
	scratch_load_b128 v[10:13], off, off offset:384
	v_add_f64_e32 v[165:166], v[165:166], v[38:39]
	v_add_f64_e32 v[167:168], v[167:168], v[40:41]
	ds_load_b128 v[38:41], v1 offset:1104
	v_fma_f64 v[163:164], v[163:164], v[14:15], v[169:170]
	v_fma_f64 v[161:162], v[161:162], v[14:15], -v[16:17]
	scratch_load_b128 v[14:17], off, off offset:400
	s_wait_loadcnt_dscnt 0xa01
	v_mul_f64_e32 v[175:176], v[2:3], v[20:21]
	v_mul_f64_e32 v[20:21], v[4:5], v[20:21]
	s_wait_loadcnt_dscnt 0x900
	v_mul_f64_e32 v[169:170], v[38:39], v[24:25]
	v_mul_f64_e32 v[24:25], v[40:41], v[24:25]
	v_add_f64_e32 v[165:166], v[165:166], v[173:174]
	v_add_f64_e32 v[167:168], v[167:168], v[171:172]
	v_fma_f64 v[171:172], v[4:5], v[18:19], v[175:176]
	v_fma_f64 v[173:174], v[2:3], v[18:19], -v[20:21]
	ds_load_b128 v[2:5], v1 offset:1120
	scratch_load_b128 v[18:21], off, off offset:416
	v_fma_f64 v[40:41], v[40:41], v[22:23], v[169:170]
	v_fma_f64 v[38:39], v[38:39], v[22:23], -v[24:25]
	scratch_load_b128 v[22:25], off, off offset:432
	v_add_f64_e32 v[165:166], v[165:166], v[161:162]
	v_add_f64_e32 v[167:168], v[167:168], v[163:164]
	ds_load_b128 v[161:164], v1 offset:1136
	s_wait_loadcnt_dscnt 0xa01
	v_mul_f64_e32 v[175:176], v[2:3], v[28:29]
	v_mul_f64_e32 v[28:29], v[4:5], v[28:29]
	s_wait_loadcnt_dscnt 0x900
	v_mul_f64_e32 v[169:170], v[161:162], v[32:33]
	v_mul_f64_e32 v[32:33], v[163:164], v[32:33]
	v_add_f64_e32 v[165:166], v[165:166], v[173:174]
	v_add_f64_e32 v[167:168], v[167:168], v[171:172]
	v_fma_f64 v[171:172], v[4:5], v[26:27], v[175:176]
	v_fma_f64 v[173:174], v[2:3], v[26:27], -v[28:29]
	ds_load_b128 v[2:5], v1 offset:1152
	scratch_load_b128 v[26:29], off, off offset:448
	v_fma_f64 v[163:164], v[163:164], v[30:31], v[169:170]
	v_fma_f64 v[161:162], v[161:162], v[30:31], -v[32:33]
	scratch_load_b128 v[30:33], off, off offset:464
	v_add_f64_e32 v[165:166], v[165:166], v[38:39]
	v_add_f64_e32 v[167:168], v[167:168], v[40:41]
	ds_load_b128 v[38:41], v1 offset:1168
	s_wait_loadcnt_dscnt 0xa01
	v_mul_f64_e32 v[175:176], v[2:3], v[36:37]
	v_mul_f64_e32 v[36:37], v[4:5], v[36:37]
	s_wait_loadcnt_dscnt 0x800
	v_mul_f64_e32 v[169:170], v[38:39], v[159:160]
	v_add_f64_e32 v[165:166], v[165:166], v[173:174]
	v_add_f64_e32 v[167:168], v[167:168], v[171:172]
	v_mul_f64_e32 v[171:172], v[40:41], v[159:160]
	v_fma_f64 v[173:174], v[4:5], v[34:35], v[175:176]
	v_fma_f64 v[175:176], v[2:3], v[34:35], -v[36:37]
	ds_load_b128 v[2:5], v1 offset:1184
	scratch_load_b128 v[34:37], off, off offset:480
	v_fma_f64 v[169:170], v[40:41], v[157:158], v[169:170]
	v_add_f64_e32 v[165:166], v[165:166], v[161:162]
	v_add_f64_e32 v[163:164], v[167:168], v[163:164]
	ds_load_b128 v[159:162], v1 offset:1200
	v_fma_f64 v[157:158], v[38:39], v[157:158], -v[171:172]
	scratch_load_b128 v[38:41], off, off offset:496
	s_wait_loadcnt_dscnt 0x901
	v_mul_f64_e32 v[167:168], v[2:3], v[44:45]
	v_mul_f64_e32 v[44:45], v[4:5], v[44:45]
	s_wait_loadcnt_dscnt 0x800
	v_mul_f64_e32 v[171:172], v[159:160], v[8:9]
	v_mul_f64_e32 v[8:9], v[161:162], v[8:9]
	v_add_f64_e32 v[165:166], v[165:166], v[175:176]
	v_add_f64_e32 v[163:164], v[163:164], v[173:174]
	v_fma_f64 v[167:168], v[4:5], v[42:43], v[167:168]
	v_fma_f64 v[173:174], v[2:3], v[42:43], -v[44:45]
	ds_load_b128 v[2:5], v1 offset:1216
	scratch_load_b128 v[42:45], off, off offset:512
	v_fma_f64 v[161:162], v[161:162], v[6:7], v[171:172]
	v_fma_f64 v[159:160], v[159:160], v[6:7], -v[8:9]
	scratch_load_b128 v[6:9], off, off offset:528
	v_add_f64_e32 v[157:158], v[165:166], v[157:158]
	v_add_f64_e32 v[169:170], v[163:164], v[169:170]
	ds_load_b128 v[163:166], v1 offset:1232
	s_wait_loadcnt_dscnt 0x901
	v_mul_f64_e32 v[175:176], v[2:3], v[12:13]
	v_mul_f64_e32 v[12:13], v[4:5], v[12:13]
	v_add_f64_e32 v[157:158], v[157:158], v[173:174]
	v_add_f64_e32 v[167:168], v[169:170], v[167:168]
	s_wait_loadcnt_dscnt 0x800
	v_mul_f64_e32 v[169:170], v[163:164], v[16:17]
	v_mul_f64_e32 v[16:17], v[165:166], v[16:17]
	v_fma_f64 v[171:172], v[4:5], v[10:11], v[175:176]
	v_fma_f64 v[173:174], v[2:3], v[10:11], -v[12:13]
	ds_load_b128 v[2:5], v1 offset:1248
	scratch_load_b128 v[10:13], off, off offset:544
	v_add_f64_e32 v[175:176], v[157:158], v[159:160]
	v_add_f64_e32 v[161:162], v[167:168], v[161:162]
	ds_load_b128 v[157:160], v1 offset:1264
	s_wait_loadcnt_dscnt 0x801
	v_mul_f64_e32 v[167:168], v[2:3], v[20:21]
	v_mul_f64_e32 v[20:21], v[4:5], v[20:21]
	v_fma_f64 v[165:166], v[165:166], v[14:15], v[169:170]
	v_fma_f64 v[163:164], v[163:164], v[14:15], -v[16:17]
	scratch_load_b128 v[14:17], off, off offset:560
	v_add_f64_e32 v[169:170], v[175:176], v[173:174]
	v_add_f64_e32 v[161:162], v[161:162], v[171:172]
	s_wait_loadcnt_dscnt 0x800
	v_mul_f64_e32 v[171:172], v[157:158], v[24:25]
	v_mul_f64_e32 v[24:25], v[159:160], v[24:25]
	v_fma_f64 v[167:168], v[4:5], v[18:19], v[167:168]
	v_fma_f64 v[173:174], v[2:3], v[18:19], -v[20:21]
	ds_load_b128 v[2:5], v1 offset:1280
	scratch_load_b128 v[18:21], off, off offset:576
	v_add_f64_e32 v[169:170], v[169:170], v[163:164]
	v_add_f64_e32 v[165:166], v[161:162], v[165:166]
	ds_load_b128 v[161:164], v1 offset:1296
	s_wait_loadcnt_dscnt 0x801
	v_mul_f64_e32 v[175:176], v[2:3], v[28:29]
	v_mul_f64_e32 v[28:29], v[4:5], v[28:29]
	v_fma_f64 v[159:160], v[159:160], v[22:23], v[171:172]
	v_fma_f64 v[157:158], v[157:158], v[22:23], -v[24:25]
	scratch_load_b128 v[22:25], off, off offset:592
	;; [unrolled: 18-line block ×4, first 2 shown]
	s_wait_loadcnt_dscnt 0x800
	v_mul_f64_e32 v[169:170], v[161:162], v[8:9]
	v_mul_f64_e32 v[8:9], v[163:164], v[8:9]
	v_add_f64_e32 v[167:168], v[167:168], v[173:174]
	v_add_f64_e32 v[165:166], v[165:166], v[171:172]
	v_fma_f64 v[171:172], v[4:5], v[42:43], v[175:176]
	v_fma_f64 v[173:174], v[2:3], v[42:43], -v[44:45]
	ds_load_b128 v[2:5], v1 offset:1376
	scratch_load_b128 v[42:45], off, off offset:672
	v_fma_f64 v[163:164], v[163:164], v[6:7], v[169:170]
	v_fma_f64 v[161:162], v[161:162], v[6:7], -v[8:9]
	scratch_load_b128 v[6:9], off, off offset:688
	v_add_f64_e32 v[167:168], v[167:168], v[157:158]
	v_add_f64_e32 v[165:166], v[165:166], v[159:160]
	ds_load_b128 v[157:160], v1 offset:1392
	s_wait_loadcnt_dscnt 0x901
	v_mul_f64_e32 v[175:176], v[2:3], v[12:13]
	v_mul_f64_e32 v[12:13], v[4:5], v[12:13]
	s_wait_loadcnt_dscnt 0x800
	v_mul_f64_e32 v[169:170], v[157:158], v[16:17]
	v_mul_f64_e32 v[16:17], v[159:160], v[16:17]
	v_add_f64_e32 v[167:168], v[167:168], v[173:174]
	v_add_f64_e32 v[165:166], v[165:166], v[171:172]
	v_fma_f64 v[171:172], v[4:5], v[10:11], v[175:176]
	v_fma_f64 v[173:174], v[2:3], v[10:11], -v[12:13]
	ds_load_b128 v[2:5], v1 offset:1408
	scratch_load_b128 v[10:13], off, off offset:704
	v_fma_f64 v[159:160], v[159:160], v[14:15], v[169:170]
	v_fma_f64 v[157:158], v[157:158], v[14:15], -v[16:17]
	scratch_load_b128 v[14:17], off, off offset:720
	v_add_f64_e32 v[167:168], v[167:168], v[161:162]
	v_add_f64_e32 v[165:166], v[165:166], v[163:164]
	ds_load_b128 v[161:164], v1 offset:1424
	s_wait_loadcnt_dscnt 0x901
	v_mul_f64_e32 v[175:176], v[2:3], v[20:21]
	v_mul_f64_e32 v[20:21], v[4:5], v[20:21]
	;; [unrolled: 18-line block ×6, first 2 shown]
	s_wait_loadcnt_dscnt 0x800
	v_mul_f64_e32 v[169:170], v[161:162], v[16:17]
	v_mul_f64_e32 v[16:17], v[163:164], v[16:17]
	v_add_f64_e32 v[167:168], v[167:168], v[173:174]
	v_add_f64_e32 v[165:166], v[165:166], v[171:172]
	v_fma_f64 v[171:172], v[4:5], v[10:11], v[175:176]
	v_fma_f64 v[173:174], v[2:3], v[10:11], -v[12:13]
	ds_load_b128 v[2:5], v1 offset:1568
	ds_load_b128 v[10:13], v1 offset:1584
	v_fma_f64 v[163:164], v[163:164], v[14:15], v[169:170]
	v_fma_f64 v[14:15], v[161:162], v[14:15], -v[16:17]
	v_add_f64_e32 v[157:158], v[167:168], v[157:158]
	v_add_f64_e32 v[159:160], v[165:166], v[159:160]
	s_wait_loadcnt_dscnt 0x701
	v_mul_f64_e32 v[165:166], v[2:3], v[20:21]
	v_mul_f64_e32 v[20:21], v[4:5], v[20:21]
	s_delay_alu instid0(VALU_DEP_4) | instskip(NEXT) | instid1(VALU_DEP_4)
	v_add_f64_e32 v[16:17], v[157:158], v[173:174]
	v_add_f64_e32 v[157:158], v[159:160], v[171:172]
	s_wait_loadcnt_dscnt 0x600
	v_mul_f64_e32 v[159:160], v[10:11], v[24:25]
	v_mul_f64_e32 v[24:25], v[12:13], v[24:25]
	v_fma_f64 v[161:162], v[4:5], v[18:19], v[165:166]
	v_fma_f64 v[18:19], v[2:3], v[18:19], -v[20:21]
	v_add_f64_e32 v[20:21], v[16:17], v[14:15]
	v_add_f64_e32 v[157:158], v[157:158], v[163:164]
	ds_load_b128 v[2:5], v1 offset:1600
	ds_load_b128 v[14:17], v1 offset:1616
	v_fma_f64 v[12:13], v[12:13], v[22:23], v[159:160]
	v_fma_f64 v[10:11], v[10:11], v[22:23], -v[24:25]
	s_wait_loadcnt_dscnt 0x501
	v_mul_f64_e32 v[163:164], v[2:3], v[28:29]
	v_mul_f64_e32 v[28:29], v[4:5], v[28:29]
	s_wait_loadcnt_dscnt 0x400
	v_mul_f64_e32 v[22:23], v[14:15], v[32:33]
	v_mul_f64_e32 v[24:25], v[16:17], v[32:33]
	v_add_f64_e32 v[18:19], v[20:21], v[18:19]
	v_add_f64_e32 v[20:21], v[157:158], v[161:162]
	v_fma_f64 v[32:33], v[4:5], v[26:27], v[163:164]
	v_fma_f64 v[26:27], v[2:3], v[26:27], -v[28:29]
	v_fma_f64 v[16:17], v[16:17], v[30:31], v[22:23]
	v_fma_f64 v[14:15], v[14:15], v[30:31], -v[24:25]
	v_add_f64_e32 v[18:19], v[18:19], v[10:11]
	v_add_f64_e32 v[20:21], v[20:21], v[12:13]
	ds_load_b128 v[2:5], v1 offset:1632
	ds_load_b128 v[10:13], v1 offset:1648
	s_wait_loadcnt_dscnt 0x301
	v_mul_f64_e32 v[28:29], v[2:3], v[36:37]
	v_mul_f64_e32 v[36:37], v[4:5], v[36:37]
	s_wait_loadcnt_dscnt 0x200
	v_mul_f64_e32 v[22:23], v[10:11], v[40:41]
	v_mul_f64_e32 v[24:25], v[12:13], v[40:41]
	v_add_f64_e32 v[18:19], v[18:19], v[26:27]
	v_add_f64_e32 v[20:21], v[20:21], v[32:33]
	v_fma_f64 v[26:27], v[4:5], v[34:35], v[28:29]
	v_fma_f64 v[28:29], v[2:3], v[34:35], -v[36:37]
	v_fma_f64 v[12:13], v[12:13], v[38:39], v[22:23]
	v_fma_f64 v[10:11], v[10:11], v[38:39], -v[24:25]
	v_add_f64_e32 v[18:19], v[18:19], v[14:15]
	v_add_f64_e32 v[20:21], v[20:21], v[16:17]
	ds_load_b128 v[2:5], v1 offset:1664
	ds_load_b128 v[14:17], v1 offset:1680
	s_wait_loadcnt_dscnt 0x101
	v_mul_f64_e32 v[30:31], v[2:3], v[44:45]
	v_mul_f64_e32 v[32:33], v[4:5], v[44:45]
	s_wait_loadcnt_dscnt 0x0
	v_mul_f64_e32 v[22:23], v[14:15], v[8:9]
	v_mul_f64_e32 v[8:9], v[16:17], v[8:9]
	v_add_f64_e32 v[18:19], v[18:19], v[28:29]
	v_add_f64_e32 v[20:21], v[20:21], v[26:27]
	v_fma_f64 v[4:5], v[4:5], v[42:43], v[30:31]
	v_fma_f64 v[1:2], v[2:3], v[42:43], -v[32:33]
	v_fma_f64 v[16:17], v[16:17], v[6:7], v[22:23]
	v_fma_f64 v[6:7], v[14:15], v[6:7], -v[8:9]
	v_add_f64_e32 v[10:11], v[18:19], v[10:11]
	v_add_f64_e32 v[12:13], v[20:21], v[12:13]
	s_delay_alu instid0(VALU_DEP_2) | instskip(NEXT) | instid1(VALU_DEP_2)
	v_add_f64_e32 v[1:2], v[10:11], v[1:2]
	v_add_f64_e32 v[3:4], v[12:13], v[4:5]
	s_delay_alu instid0(VALU_DEP_2) | instskip(NEXT) | instid1(VALU_DEP_2)
	;; [unrolled: 3-line block ×3, first 2 shown]
	v_add_f64_e64 v[1:2], v[153:154], -v[1:2]
	v_add_f64_e64 v[3:4], v[155:156], -v[3:4]
	scratch_store_b128 off, v[1:4], off offset:176
	v_cmpx_lt_u32_e32 9, v0
	s_cbranch_execz .LBB52_313
; %bb.312:
	scratch_load_b128 v[1:4], off, s57
	v_mov_b32_e32 v5, 0
	s_delay_alu instid0(VALU_DEP_1)
	v_dual_mov_b32 v6, v5 :: v_dual_mov_b32 v7, v5
	v_mov_b32_e32 v8, v5
	scratch_store_b128 off, v[5:8], off offset:160
	s_wait_loadcnt 0x0
	ds_store_b128 v152, v[1:4]
.LBB52_313:
	s_wait_alu 0xfffe
	s_or_b32 exec_lo, exec_lo, s0
	s_wait_storecnt_dscnt 0x0
	s_barrier_signal -1
	s_barrier_wait -1
	global_inv scope:SCOPE_SE
	s_clause 0x7
	scratch_load_b128 v[2:5], off, off offset:176
	scratch_load_b128 v[6:9], off, off offset:192
	;; [unrolled: 1-line block ×8, first 2 shown]
	v_mov_b32_e32 v1, 0
	s_mov_b32 s0, exec_lo
	ds_load_b128 v[38:41], v1 offset:1008
	s_clause 0x1
	scratch_load_b128 v[34:37], off, off offset:304
	scratch_load_b128 v[42:45], off, off offset:160
	ds_load_b128 v[153:156], v1 offset:1024
	scratch_load_b128 v[157:160], off, off offset:320
	s_wait_loadcnt_dscnt 0xa01
	v_mul_f64_e32 v[161:162], v[40:41], v[4:5]
	v_mul_f64_e32 v[4:5], v[38:39], v[4:5]
	s_delay_alu instid0(VALU_DEP_2) | instskip(NEXT) | instid1(VALU_DEP_2)
	v_fma_f64 v[167:168], v[38:39], v[2:3], -v[161:162]
	v_fma_f64 v[169:170], v[40:41], v[2:3], v[4:5]
	ds_load_b128 v[2:5], v1 offset:1040
	s_wait_loadcnt_dscnt 0x901
	v_mul_f64_e32 v[165:166], v[153:154], v[8:9]
	v_mul_f64_e32 v[8:9], v[155:156], v[8:9]
	scratch_load_b128 v[38:41], off, off offset:336
	ds_load_b128 v[161:164], v1 offset:1056
	s_wait_loadcnt_dscnt 0x901
	v_mul_f64_e32 v[171:172], v[2:3], v[12:13]
	v_mul_f64_e32 v[12:13], v[4:5], v[12:13]
	v_fma_f64 v[155:156], v[155:156], v[6:7], v[165:166]
	v_fma_f64 v[153:154], v[153:154], v[6:7], -v[8:9]
	v_add_f64_e32 v[165:166], 0, v[167:168]
	v_add_f64_e32 v[167:168], 0, v[169:170]
	scratch_load_b128 v[6:9], off, off offset:352
	v_fma_f64 v[171:172], v[4:5], v[10:11], v[171:172]
	v_fma_f64 v[173:174], v[2:3], v[10:11], -v[12:13]
	ds_load_b128 v[2:5], v1 offset:1072
	s_wait_loadcnt_dscnt 0x901
	v_mul_f64_e32 v[169:170], v[161:162], v[16:17]
	v_mul_f64_e32 v[16:17], v[163:164], v[16:17]
	scratch_load_b128 v[10:13], off, off offset:368
	v_add_f64_e32 v[165:166], v[165:166], v[153:154]
	v_add_f64_e32 v[167:168], v[167:168], v[155:156]
	s_wait_loadcnt_dscnt 0x900
	v_mul_f64_e32 v[175:176], v[2:3], v[20:21]
	v_mul_f64_e32 v[20:21], v[4:5], v[20:21]
	ds_load_b128 v[153:156], v1 offset:1088
	v_fma_f64 v[163:164], v[163:164], v[14:15], v[169:170]
	v_fma_f64 v[161:162], v[161:162], v[14:15], -v[16:17]
	scratch_load_b128 v[14:17], off, off offset:384
	v_add_f64_e32 v[165:166], v[165:166], v[173:174]
	v_add_f64_e32 v[167:168], v[167:168], v[171:172]
	v_fma_f64 v[171:172], v[4:5], v[18:19], v[175:176]
	v_fma_f64 v[173:174], v[2:3], v[18:19], -v[20:21]
	ds_load_b128 v[2:5], v1 offset:1104
	s_wait_loadcnt_dscnt 0x901
	v_mul_f64_e32 v[169:170], v[153:154], v[24:25]
	v_mul_f64_e32 v[24:25], v[155:156], v[24:25]
	scratch_load_b128 v[18:21], off, off offset:400
	s_wait_loadcnt_dscnt 0x900
	v_mul_f64_e32 v[175:176], v[2:3], v[28:29]
	v_mul_f64_e32 v[28:29], v[4:5], v[28:29]
	v_add_f64_e32 v[165:166], v[165:166], v[161:162]
	v_add_f64_e32 v[167:168], v[167:168], v[163:164]
	ds_load_b128 v[161:164], v1 offset:1120
	v_fma_f64 v[155:156], v[155:156], v[22:23], v[169:170]
	v_fma_f64 v[153:154], v[153:154], v[22:23], -v[24:25]
	scratch_load_b128 v[22:25], off, off offset:416
	v_add_f64_e32 v[165:166], v[165:166], v[173:174]
	v_add_f64_e32 v[167:168], v[167:168], v[171:172]
	v_fma_f64 v[171:172], v[4:5], v[26:27], v[175:176]
	v_fma_f64 v[173:174], v[2:3], v[26:27], -v[28:29]
	ds_load_b128 v[2:5], v1 offset:1136
	s_wait_loadcnt_dscnt 0x901
	v_mul_f64_e32 v[169:170], v[161:162], v[32:33]
	v_mul_f64_e32 v[32:33], v[163:164], v[32:33]
	scratch_load_b128 v[26:29], off, off offset:432
	s_wait_loadcnt_dscnt 0x900
	v_mul_f64_e32 v[175:176], v[2:3], v[36:37]
	v_mul_f64_e32 v[36:37], v[4:5], v[36:37]
	v_add_f64_e32 v[165:166], v[165:166], v[153:154]
	v_add_f64_e32 v[167:168], v[167:168], v[155:156]
	ds_load_b128 v[153:156], v1 offset:1152
	v_fma_f64 v[163:164], v[163:164], v[30:31], v[169:170]
	v_fma_f64 v[161:162], v[161:162], v[30:31], -v[32:33]
	scratch_load_b128 v[30:33], off, off offset:448
	v_add_f64_e32 v[165:166], v[165:166], v[173:174]
	v_add_f64_e32 v[167:168], v[167:168], v[171:172]
	v_fma_f64 v[173:174], v[4:5], v[34:35], v[175:176]
	v_fma_f64 v[175:176], v[2:3], v[34:35], -v[36:37]
	ds_load_b128 v[2:5], v1 offset:1168
	s_wait_loadcnt_dscnt 0x801
	v_mul_f64_e32 v[169:170], v[153:154], v[159:160]
	v_mul_f64_e32 v[171:172], v[155:156], v[159:160]
	scratch_load_b128 v[34:37], off, off offset:464
	v_add_f64_e32 v[165:166], v[165:166], v[161:162]
	v_add_f64_e32 v[163:164], v[167:168], v[163:164]
	ds_load_b128 v[159:162], v1 offset:1184
	v_fma_f64 v[169:170], v[155:156], v[157:158], v[169:170]
	v_fma_f64 v[157:158], v[153:154], v[157:158], -v[171:172]
	scratch_load_b128 v[153:156], off, off offset:480
	s_wait_loadcnt_dscnt 0x901
	v_mul_f64_e32 v[167:168], v[2:3], v[40:41]
	v_mul_f64_e32 v[40:41], v[4:5], v[40:41]
	v_add_f64_e32 v[165:166], v[165:166], v[175:176]
	v_add_f64_e32 v[163:164], v[163:164], v[173:174]
	s_delay_alu instid0(VALU_DEP_4) | instskip(NEXT) | instid1(VALU_DEP_4)
	v_fma_f64 v[167:168], v[4:5], v[38:39], v[167:168]
	v_fma_f64 v[173:174], v[2:3], v[38:39], -v[40:41]
	ds_load_b128 v[2:5], v1 offset:1200
	s_wait_loadcnt_dscnt 0x801
	v_mul_f64_e32 v[171:172], v[159:160], v[8:9]
	v_mul_f64_e32 v[8:9], v[161:162], v[8:9]
	scratch_load_b128 v[38:41], off, off offset:496
	s_wait_loadcnt_dscnt 0x800
	v_mul_f64_e32 v[175:176], v[2:3], v[12:13]
	v_add_f64_e32 v[157:158], v[165:166], v[157:158]
	v_add_f64_e32 v[169:170], v[163:164], v[169:170]
	v_mul_f64_e32 v[12:13], v[4:5], v[12:13]
	ds_load_b128 v[163:166], v1 offset:1216
	v_fma_f64 v[161:162], v[161:162], v[6:7], v[171:172]
	v_fma_f64 v[159:160], v[159:160], v[6:7], -v[8:9]
	scratch_load_b128 v[6:9], off, off offset:512
	v_fma_f64 v[171:172], v[4:5], v[10:11], v[175:176]
	v_add_f64_e32 v[157:158], v[157:158], v[173:174]
	v_add_f64_e32 v[167:168], v[169:170], v[167:168]
	v_fma_f64 v[173:174], v[2:3], v[10:11], -v[12:13]
	ds_load_b128 v[2:5], v1 offset:1232
	s_wait_loadcnt_dscnt 0x801
	v_mul_f64_e32 v[169:170], v[163:164], v[16:17]
	v_mul_f64_e32 v[16:17], v[165:166], v[16:17]
	scratch_load_b128 v[10:13], off, off offset:528
	v_add_f64_e32 v[175:176], v[157:158], v[159:160]
	v_add_f64_e32 v[161:162], v[167:168], v[161:162]
	s_wait_loadcnt_dscnt 0x800
	v_mul_f64_e32 v[167:168], v[2:3], v[20:21]
	v_mul_f64_e32 v[20:21], v[4:5], v[20:21]
	v_fma_f64 v[165:166], v[165:166], v[14:15], v[169:170]
	v_fma_f64 v[163:164], v[163:164], v[14:15], -v[16:17]
	ds_load_b128 v[157:160], v1 offset:1248
	scratch_load_b128 v[14:17], off, off offset:544
	v_add_f64_e32 v[169:170], v[175:176], v[173:174]
	v_add_f64_e32 v[161:162], v[161:162], v[171:172]
	v_fma_f64 v[167:168], v[4:5], v[18:19], v[167:168]
	v_fma_f64 v[173:174], v[2:3], v[18:19], -v[20:21]
	ds_load_b128 v[2:5], v1 offset:1264
	s_wait_loadcnt_dscnt 0x801
	v_mul_f64_e32 v[171:172], v[157:158], v[24:25]
	v_mul_f64_e32 v[24:25], v[159:160], v[24:25]
	scratch_load_b128 v[18:21], off, off offset:560
	s_wait_loadcnt_dscnt 0x800
	v_mul_f64_e32 v[175:176], v[2:3], v[28:29]
	v_mul_f64_e32 v[28:29], v[4:5], v[28:29]
	v_add_f64_e32 v[169:170], v[169:170], v[163:164]
	v_add_f64_e32 v[165:166], v[161:162], v[165:166]
	ds_load_b128 v[161:164], v1 offset:1280
	v_fma_f64 v[159:160], v[159:160], v[22:23], v[171:172]
	v_fma_f64 v[157:158], v[157:158], v[22:23], -v[24:25]
	scratch_load_b128 v[22:25], off, off offset:576
	v_fma_f64 v[171:172], v[4:5], v[26:27], v[175:176]
	v_add_f64_e32 v[169:170], v[169:170], v[173:174]
	v_add_f64_e32 v[165:166], v[165:166], v[167:168]
	v_fma_f64 v[173:174], v[2:3], v[26:27], -v[28:29]
	ds_load_b128 v[2:5], v1 offset:1296
	s_wait_loadcnt_dscnt 0x801
	v_mul_f64_e32 v[167:168], v[161:162], v[32:33]
	v_mul_f64_e32 v[32:33], v[163:164], v[32:33]
	scratch_load_b128 v[26:29], off, off offset:592
	s_wait_loadcnt_dscnt 0x800
	v_mul_f64_e32 v[175:176], v[2:3], v[36:37]
	v_mul_f64_e32 v[36:37], v[4:5], v[36:37]
	v_add_f64_e32 v[169:170], v[169:170], v[157:158]
	v_add_f64_e32 v[165:166], v[165:166], v[159:160]
	ds_load_b128 v[157:160], v1 offset:1312
	v_fma_f64 v[163:164], v[163:164], v[30:31], v[167:168]
	v_fma_f64 v[161:162], v[161:162], v[30:31], -v[32:33]
	scratch_load_b128 v[30:33], off, off offset:608
	v_add_f64_e32 v[167:168], v[169:170], v[173:174]
	v_add_f64_e32 v[165:166], v[165:166], v[171:172]
	v_fma_f64 v[171:172], v[4:5], v[34:35], v[175:176]
	v_fma_f64 v[173:174], v[2:3], v[34:35], -v[36:37]
	ds_load_b128 v[2:5], v1 offset:1328
	s_wait_loadcnt_dscnt 0x801
	v_mul_f64_e32 v[169:170], v[157:158], v[155:156]
	v_mul_f64_e32 v[155:156], v[159:160], v[155:156]
	scratch_load_b128 v[34:37], off, off offset:624
	s_wait_loadcnt_dscnt 0x800
	v_mul_f64_e32 v[175:176], v[2:3], v[40:41]
	v_mul_f64_e32 v[40:41], v[4:5], v[40:41]
	v_add_f64_e32 v[167:168], v[167:168], v[161:162]
	v_add_f64_e32 v[165:166], v[165:166], v[163:164]
	ds_load_b128 v[161:164], v1 offset:1344
	v_fma_f64 v[159:160], v[159:160], v[153:154], v[169:170]
	v_fma_f64 v[157:158], v[157:158], v[153:154], -v[155:156]
	scratch_load_b128 v[153:156], off, off offset:640
	v_add_f64_e32 v[167:168], v[167:168], v[173:174]
	v_add_f64_e32 v[165:166], v[165:166], v[171:172]
	v_fma_f64 v[171:172], v[4:5], v[38:39], v[175:176]
	;; [unrolled: 18-line block ×6, first 2 shown]
	v_fma_f64 v[175:176], v[2:3], v[34:35], -v[36:37]
	ds_load_b128 v[2:5], v1 offset:1488
	s_wait_loadcnt_dscnt 0x801
	v_mul_f64_e32 v[169:170], v[161:162], v[155:156]
	v_mul_f64_e32 v[171:172], v[163:164], v[155:156]
	scratch_load_b128 v[34:37], off, off offset:784
	v_add_f64_e32 v[167:168], v[167:168], v[157:158]
	v_add_f64_e32 v[159:160], v[165:166], v[159:160]
	s_wait_loadcnt_dscnt 0x800
	v_mul_f64_e32 v[165:166], v[2:3], v[40:41]
	v_mul_f64_e32 v[40:41], v[4:5], v[40:41]
	ds_load_b128 v[155:158], v1 offset:1504
	v_fma_f64 v[163:164], v[163:164], v[153:154], v[169:170]
	v_fma_f64 v[153:154], v[161:162], v[153:154], -v[171:172]
	v_add_f64_e32 v[167:168], v[167:168], v[175:176]
	v_add_f64_e32 v[169:170], v[159:160], v[173:174]
	scratch_load_b128 v[159:162], off, off offset:800
	v_fma_f64 v[173:174], v[4:5], v[38:39], v[165:166]
	v_fma_f64 v[175:176], v[2:3], v[38:39], -v[40:41]
	ds_load_b128 v[2:5], v1 offset:1520
	s_wait_loadcnt_dscnt 0x801
	v_mul_f64_e32 v[171:172], v[155:156], v[8:9]
	v_mul_f64_e32 v[8:9], v[157:158], v[8:9]
	scratch_load_b128 v[38:41], off, off offset:816
	v_add_f64_e32 v[153:154], v[167:168], v[153:154]
	v_add_f64_e32 v[167:168], v[169:170], v[163:164]
	s_wait_loadcnt_dscnt 0x800
	v_mul_f64_e32 v[169:170], v[2:3], v[12:13]
	v_mul_f64_e32 v[12:13], v[4:5], v[12:13]
	ds_load_b128 v[163:166], v1 offset:1536
	v_fma_f64 v[157:158], v[157:158], v[6:7], v[171:172]
	v_fma_f64 v[155:156], v[155:156], v[6:7], -v[8:9]
	scratch_load_b128 v[6:9], off, off offset:832
	v_add_f64_e32 v[153:154], v[153:154], v[175:176]
	v_add_f64_e32 v[167:168], v[167:168], v[173:174]
	v_fma_f64 v[169:170], v[4:5], v[10:11], v[169:170]
	v_fma_f64 v[173:174], v[2:3], v[10:11], -v[12:13]
	ds_load_b128 v[2:5], v1 offset:1552
	s_wait_loadcnt_dscnt 0x801
	v_mul_f64_e32 v[171:172], v[163:164], v[16:17]
	v_mul_f64_e32 v[16:17], v[165:166], v[16:17]
	scratch_load_b128 v[10:13], off, off offset:848
	v_add_f64_e32 v[175:176], v[153:154], v[155:156]
	v_add_f64_e32 v[157:158], v[167:168], v[157:158]
	s_wait_loadcnt_dscnt 0x800
	v_mul_f64_e32 v[167:168], v[2:3], v[20:21]
	v_mul_f64_e32 v[20:21], v[4:5], v[20:21]
	ds_load_b128 v[153:156], v1 offset:1568
	v_fma_f64 v[165:166], v[165:166], v[14:15], v[171:172]
	v_fma_f64 v[14:15], v[163:164], v[14:15], -v[16:17]
	s_wait_loadcnt_dscnt 0x700
	v_mul_f64_e32 v[163:164], v[153:154], v[24:25]
	v_mul_f64_e32 v[24:25], v[155:156], v[24:25]
	v_add_f64_e32 v[16:17], v[175:176], v[173:174]
	v_add_f64_e32 v[157:158], v[157:158], v[169:170]
	v_fma_f64 v[167:168], v[4:5], v[18:19], v[167:168]
	v_fma_f64 v[18:19], v[2:3], v[18:19], -v[20:21]
	v_fma_f64 v[155:156], v[155:156], v[22:23], v[163:164]
	v_fma_f64 v[22:23], v[153:154], v[22:23], -v[24:25]
	v_add_f64_e32 v[20:21], v[16:17], v[14:15]
	v_add_f64_e32 v[157:158], v[157:158], v[165:166]
	ds_load_b128 v[2:5], v1 offset:1584
	ds_load_b128 v[14:17], v1 offset:1600
	s_wait_loadcnt_dscnt 0x601
	v_mul_f64_e32 v[165:166], v[2:3], v[28:29]
	v_mul_f64_e32 v[28:29], v[4:5], v[28:29]
	s_wait_loadcnt_dscnt 0x500
	v_mul_f64_e32 v[24:25], v[14:15], v[32:33]
	v_mul_f64_e32 v[32:33], v[16:17], v[32:33]
	v_add_f64_e32 v[18:19], v[20:21], v[18:19]
	v_add_f64_e32 v[20:21], v[157:158], v[167:168]
	v_fma_f64 v[153:154], v[4:5], v[26:27], v[165:166]
	v_fma_f64 v[26:27], v[2:3], v[26:27], -v[28:29]
	v_fma_f64 v[16:17], v[16:17], v[30:31], v[24:25]
	v_fma_f64 v[14:15], v[14:15], v[30:31], -v[32:33]
	v_add_f64_e32 v[22:23], v[18:19], v[22:23]
	v_add_f64_e32 v[28:29], v[20:21], v[155:156]
	ds_load_b128 v[2:5], v1 offset:1616
	ds_load_b128 v[18:21], v1 offset:1632
	s_wait_loadcnt_dscnt 0x401
	v_mul_f64_e32 v[155:156], v[2:3], v[36:37]
	v_mul_f64_e32 v[36:37], v[4:5], v[36:37]
	v_add_f64_e32 v[22:23], v[22:23], v[26:27]
	v_add_f64_e32 v[24:25], v[28:29], v[153:154]
	s_wait_loadcnt_dscnt 0x300
	v_mul_f64_e32 v[26:27], v[18:19], v[161:162]
	v_mul_f64_e32 v[28:29], v[20:21], v[161:162]
	v_fma_f64 v[30:31], v[4:5], v[34:35], v[155:156]
	v_fma_f64 v[32:33], v[2:3], v[34:35], -v[36:37]
	v_add_f64_e32 v[22:23], v[22:23], v[14:15]
	v_add_f64_e32 v[24:25], v[24:25], v[16:17]
	ds_load_b128 v[2:5], v1 offset:1648
	ds_load_b128 v[14:17], v1 offset:1664
	v_fma_f64 v[20:21], v[20:21], v[159:160], v[26:27]
	v_fma_f64 v[18:19], v[18:19], v[159:160], -v[28:29]
	s_wait_loadcnt_dscnt 0x201
	v_mul_f64_e32 v[34:35], v[2:3], v[40:41]
	v_mul_f64_e32 v[36:37], v[4:5], v[40:41]
	s_wait_loadcnt_dscnt 0x100
	v_mul_f64_e32 v[26:27], v[14:15], v[8:9]
	v_mul_f64_e32 v[8:9], v[16:17], v[8:9]
	v_add_f64_e32 v[22:23], v[22:23], v[32:33]
	v_add_f64_e32 v[24:25], v[24:25], v[30:31]
	v_fma_f64 v[28:29], v[4:5], v[38:39], v[34:35]
	v_fma_f64 v[30:31], v[2:3], v[38:39], -v[36:37]
	ds_load_b128 v[2:5], v1 offset:1680
	v_fma_f64 v[16:17], v[16:17], v[6:7], v[26:27]
	v_fma_f64 v[6:7], v[14:15], v[6:7], -v[8:9]
	v_add_f64_e32 v[18:19], v[22:23], v[18:19]
	v_add_f64_e32 v[20:21], v[24:25], v[20:21]
	s_wait_loadcnt_dscnt 0x0
	v_mul_f64_e32 v[22:23], v[2:3], v[12:13]
	v_mul_f64_e32 v[12:13], v[4:5], v[12:13]
	s_delay_alu instid0(VALU_DEP_4) | instskip(NEXT) | instid1(VALU_DEP_4)
	v_add_f64_e32 v[8:9], v[18:19], v[30:31]
	v_add_f64_e32 v[14:15], v[20:21], v[28:29]
	s_delay_alu instid0(VALU_DEP_4) | instskip(NEXT) | instid1(VALU_DEP_4)
	v_fma_f64 v[4:5], v[4:5], v[10:11], v[22:23]
	v_fma_f64 v[2:3], v[2:3], v[10:11], -v[12:13]
	s_delay_alu instid0(VALU_DEP_4) | instskip(NEXT) | instid1(VALU_DEP_4)
	v_add_f64_e32 v[6:7], v[8:9], v[6:7]
	v_add_f64_e32 v[8:9], v[14:15], v[16:17]
	s_delay_alu instid0(VALU_DEP_2) | instskip(NEXT) | instid1(VALU_DEP_2)
	v_add_f64_e32 v[2:3], v[6:7], v[2:3]
	v_add_f64_e32 v[4:5], v[8:9], v[4:5]
	s_delay_alu instid0(VALU_DEP_2) | instskip(NEXT) | instid1(VALU_DEP_2)
	v_add_f64_e64 v[2:3], v[42:43], -v[2:3]
	v_add_f64_e64 v[4:5], v[44:45], -v[4:5]
	scratch_store_b128 off, v[2:5], off offset:160
	v_cmpx_lt_u32_e32 8, v0
	s_cbranch_execz .LBB52_315
; %bb.314:
	scratch_load_b128 v[5:8], off, s58
	v_dual_mov_b32 v2, v1 :: v_dual_mov_b32 v3, v1
	v_mov_b32_e32 v4, v1
	scratch_store_b128 off, v[1:4], off offset:144
	s_wait_loadcnt 0x0
	ds_store_b128 v152, v[5:8]
.LBB52_315:
	s_wait_alu 0xfffe
	s_or_b32 exec_lo, exec_lo, s0
	s_wait_storecnt_dscnt 0x0
	s_barrier_signal -1
	s_barrier_wait -1
	global_inv scope:SCOPE_SE
	s_clause 0x8
	scratch_load_b128 v[2:5], off, off offset:160
	scratch_load_b128 v[6:9], off, off offset:176
	;; [unrolled: 1-line block ×9, first 2 shown]
	ds_load_b128 v[42:45], v1 offset:992
	ds_load_b128 v[38:41], v1 offset:1008
	s_clause 0x1
	scratch_load_b128 v[153:156], off, off offset:144
	scratch_load_b128 v[157:160], off, off offset:304
	s_mov_b32 s0, exec_lo
	s_wait_loadcnt_dscnt 0xa01
	v_mul_f64_e32 v[161:162], v[44:45], v[4:5]
	v_mul_f64_e32 v[4:5], v[42:43], v[4:5]
	s_wait_loadcnt_dscnt 0x900
	v_mul_f64_e32 v[165:166], v[38:39], v[8:9]
	v_mul_f64_e32 v[8:9], v[40:41], v[8:9]
	s_delay_alu instid0(VALU_DEP_4) | instskip(NEXT) | instid1(VALU_DEP_4)
	v_fma_f64 v[167:168], v[42:43], v[2:3], -v[161:162]
	v_fma_f64 v[169:170], v[44:45], v[2:3], v[4:5]
	ds_load_b128 v[2:5], v1 offset:1024
	ds_load_b128 v[161:164], v1 offset:1040
	scratch_load_b128 v[42:45], off, off offset:320
	v_fma_f64 v[40:41], v[40:41], v[6:7], v[165:166]
	v_fma_f64 v[38:39], v[38:39], v[6:7], -v[8:9]
	scratch_load_b128 v[6:9], off, off offset:336
	s_wait_loadcnt_dscnt 0xa01
	v_mul_f64_e32 v[171:172], v[2:3], v[12:13]
	v_mul_f64_e32 v[12:13], v[4:5], v[12:13]
	v_add_f64_e32 v[165:166], 0, v[167:168]
	v_add_f64_e32 v[167:168], 0, v[169:170]
	s_wait_loadcnt_dscnt 0x900
	v_mul_f64_e32 v[169:170], v[161:162], v[16:17]
	v_mul_f64_e32 v[16:17], v[163:164], v[16:17]
	v_fma_f64 v[171:172], v[4:5], v[10:11], v[171:172]
	v_fma_f64 v[173:174], v[2:3], v[10:11], -v[12:13]
	ds_load_b128 v[2:5], v1 offset:1056
	scratch_load_b128 v[10:13], off, off offset:352
	v_add_f64_e32 v[165:166], v[165:166], v[38:39]
	v_add_f64_e32 v[167:168], v[167:168], v[40:41]
	ds_load_b128 v[38:41], v1 offset:1072
	v_fma_f64 v[163:164], v[163:164], v[14:15], v[169:170]
	v_fma_f64 v[161:162], v[161:162], v[14:15], -v[16:17]
	scratch_load_b128 v[14:17], off, off offset:368
	s_wait_loadcnt_dscnt 0xa01
	v_mul_f64_e32 v[175:176], v[2:3], v[20:21]
	v_mul_f64_e32 v[20:21], v[4:5], v[20:21]
	s_wait_loadcnt_dscnt 0x900
	v_mul_f64_e32 v[169:170], v[38:39], v[24:25]
	v_mul_f64_e32 v[24:25], v[40:41], v[24:25]
	v_add_f64_e32 v[165:166], v[165:166], v[173:174]
	v_add_f64_e32 v[167:168], v[167:168], v[171:172]
	v_fma_f64 v[171:172], v[4:5], v[18:19], v[175:176]
	v_fma_f64 v[173:174], v[2:3], v[18:19], -v[20:21]
	ds_load_b128 v[2:5], v1 offset:1088
	scratch_load_b128 v[18:21], off, off offset:384
	v_fma_f64 v[40:41], v[40:41], v[22:23], v[169:170]
	v_fma_f64 v[38:39], v[38:39], v[22:23], -v[24:25]
	scratch_load_b128 v[22:25], off, off offset:400
	v_add_f64_e32 v[165:166], v[165:166], v[161:162]
	v_add_f64_e32 v[167:168], v[167:168], v[163:164]
	ds_load_b128 v[161:164], v1 offset:1104
	s_wait_loadcnt_dscnt 0xa01
	v_mul_f64_e32 v[175:176], v[2:3], v[28:29]
	v_mul_f64_e32 v[28:29], v[4:5], v[28:29]
	s_wait_loadcnt_dscnt 0x900
	v_mul_f64_e32 v[169:170], v[161:162], v[32:33]
	v_mul_f64_e32 v[32:33], v[163:164], v[32:33]
	v_add_f64_e32 v[165:166], v[165:166], v[173:174]
	v_add_f64_e32 v[167:168], v[167:168], v[171:172]
	v_fma_f64 v[171:172], v[4:5], v[26:27], v[175:176]
	v_fma_f64 v[173:174], v[2:3], v[26:27], -v[28:29]
	ds_load_b128 v[2:5], v1 offset:1120
	scratch_load_b128 v[26:29], off, off offset:416
	v_fma_f64 v[163:164], v[163:164], v[30:31], v[169:170]
	v_fma_f64 v[161:162], v[161:162], v[30:31], -v[32:33]
	scratch_load_b128 v[30:33], off, off offset:432
	v_add_f64_e32 v[165:166], v[165:166], v[38:39]
	v_add_f64_e32 v[167:168], v[167:168], v[40:41]
	ds_load_b128 v[38:41], v1 offset:1136
	s_wait_loadcnt_dscnt 0xa01
	v_mul_f64_e32 v[175:176], v[2:3], v[36:37]
	v_mul_f64_e32 v[36:37], v[4:5], v[36:37]
	s_wait_loadcnt_dscnt 0x800
	v_mul_f64_e32 v[169:170], v[38:39], v[159:160]
	v_add_f64_e32 v[165:166], v[165:166], v[173:174]
	v_add_f64_e32 v[167:168], v[167:168], v[171:172]
	v_mul_f64_e32 v[171:172], v[40:41], v[159:160]
	v_fma_f64 v[173:174], v[4:5], v[34:35], v[175:176]
	v_fma_f64 v[175:176], v[2:3], v[34:35], -v[36:37]
	ds_load_b128 v[2:5], v1 offset:1152
	scratch_load_b128 v[34:37], off, off offset:448
	v_fma_f64 v[169:170], v[40:41], v[157:158], v[169:170]
	v_add_f64_e32 v[165:166], v[165:166], v[161:162]
	v_add_f64_e32 v[163:164], v[167:168], v[163:164]
	ds_load_b128 v[159:162], v1 offset:1168
	v_fma_f64 v[157:158], v[38:39], v[157:158], -v[171:172]
	scratch_load_b128 v[38:41], off, off offset:464
	s_wait_loadcnt_dscnt 0x901
	v_mul_f64_e32 v[167:168], v[2:3], v[44:45]
	v_mul_f64_e32 v[44:45], v[4:5], v[44:45]
	s_wait_loadcnt_dscnt 0x800
	v_mul_f64_e32 v[171:172], v[159:160], v[8:9]
	v_mul_f64_e32 v[8:9], v[161:162], v[8:9]
	v_add_f64_e32 v[165:166], v[165:166], v[175:176]
	v_add_f64_e32 v[163:164], v[163:164], v[173:174]
	v_fma_f64 v[167:168], v[4:5], v[42:43], v[167:168]
	v_fma_f64 v[173:174], v[2:3], v[42:43], -v[44:45]
	ds_load_b128 v[2:5], v1 offset:1184
	scratch_load_b128 v[42:45], off, off offset:480
	v_fma_f64 v[161:162], v[161:162], v[6:7], v[171:172]
	v_fma_f64 v[159:160], v[159:160], v[6:7], -v[8:9]
	scratch_load_b128 v[6:9], off, off offset:496
	v_add_f64_e32 v[157:158], v[165:166], v[157:158]
	v_add_f64_e32 v[169:170], v[163:164], v[169:170]
	ds_load_b128 v[163:166], v1 offset:1200
	s_wait_loadcnt_dscnt 0x901
	v_mul_f64_e32 v[175:176], v[2:3], v[12:13]
	v_mul_f64_e32 v[12:13], v[4:5], v[12:13]
	v_add_f64_e32 v[157:158], v[157:158], v[173:174]
	v_add_f64_e32 v[167:168], v[169:170], v[167:168]
	s_wait_loadcnt_dscnt 0x800
	v_mul_f64_e32 v[169:170], v[163:164], v[16:17]
	v_mul_f64_e32 v[16:17], v[165:166], v[16:17]
	v_fma_f64 v[171:172], v[4:5], v[10:11], v[175:176]
	v_fma_f64 v[173:174], v[2:3], v[10:11], -v[12:13]
	ds_load_b128 v[2:5], v1 offset:1216
	scratch_load_b128 v[10:13], off, off offset:512
	v_add_f64_e32 v[175:176], v[157:158], v[159:160]
	v_add_f64_e32 v[161:162], v[167:168], v[161:162]
	ds_load_b128 v[157:160], v1 offset:1232
	s_wait_loadcnt_dscnt 0x801
	v_mul_f64_e32 v[167:168], v[2:3], v[20:21]
	v_mul_f64_e32 v[20:21], v[4:5], v[20:21]
	v_fma_f64 v[165:166], v[165:166], v[14:15], v[169:170]
	v_fma_f64 v[163:164], v[163:164], v[14:15], -v[16:17]
	scratch_load_b128 v[14:17], off, off offset:528
	v_add_f64_e32 v[169:170], v[175:176], v[173:174]
	v_add_f64_e32 v[161:162], v[161:162], v[171:172]
	s_wait_loadcnt_dscnt 0x800
	v_mul_f64_e32 v[171:172], v[157:158], v[24:25]
	v_mul_f64_e32 v[24:25], v[159:160], v[24:25]
	v_fma_f64 v[167:168], v[4:5], v[18:19], v[167:168]
	v_fma_f64 v[173:174], v[2:3], v[18:19], -v[20:21]
	ds_load_b128 v[2:5], v1 offset:1248
	scratch_load_b128 v[18:21], off, off offset:544
	v_add_f64_e32 v[169:170], v[169:170], v[163:164]
	v_add_f64_e32 v[165:166], v[161:162], v[165:166]
	ds_load_b128 v[161:164], v1 offset:1264
	s_wait_loadcnt_dscnt 0x801
	v_mul_f64_e32 v[175:176], v[2:3], v[28:29]
	v_mul_f64_e32 v[28:29], v[4:5], v[28:29]
	v_fma_f64 v[159:160], v[159:160], v[22:23], v[171:172]
	v_fma_f64 v[157:158], v[157:158], v[22:23], -v[24:25]
	scratch_load_b128 v[22:25], off, off offset:560
	;; [unrolled: 18-line block ×4, first 2 shown]
	s_wait_loadcnt_dscnt 0x800
	v_mul_f64_e32 v[169:170], v[161:162], v[8:9]
	v_mul_f64_e32 v[8:9], v[163:164], v[8:9]
	v_add_f64_e32 v[167:168], v[167:168], v[173:174]
	v_add_f64_e32 v[165:166], v[165:166], v[171:172]
	v_fma_f64 v[171:172], v[4:5], v[42:43], v[175:176]
	v_fma_f64 v[173:174], v[2:3], v[42:43], -v[44:45]
	ds_load_b128 v[2:5], v1 offset:1344
	scratch_load_b128 v[42:45], off, off offset:640
	v_fma_f64 v[163:164], v[163:164], v[6:7], v[169:170]
	v_fma_f64 v[161:162], v[161:162], v[6:7], -v[8:9]
	scratch_load_b128 v[6:9], off, off offset:656
	v_add_f64_e32 v[167:168], v[167:168], v[157:158]
	v_add_f64_e32 v[165:166], v[165:166], v[159:160]
	ds_load_b128 v[157:160], v1 offset:1360
	s_wait_loadcnt_dscnt 0x901
	v_mul_f64_e32 v[175:176], v[2:3], v[12:13]
	v_mul_f64_e32 v[12:13], v[4:5], v[12:13]
	s_wait_loadcnt_dscnt 0x800
	v_mul_f64_e32 v[169:170], v[157:158], v[16:17]
	v_mul_f64_e32 v[16:17], v[159:160], v[16:17]
	v_add_f64_e32 v[167:168], v[167:168], v[173:174]
	v_add_f64_e32 v[165:166], v[165:166], v[171:172]
	v_fma_f64 v[171:172], v[4:5], v[10:11], v[175:176]
	v_fma_f64 v[173:174], v[2:3], v[10:11], -v[12:13]
	ds_load_b128 v[2:5], v1 offset:1376
	scratch_load_b128 v[10:13], off, off offset:672
	v_fma_f64 v[159:160], v[159:160], v[14:15], v[169:170]
	v_fma_f64 v[157:158], v[157:158], v[14:15], -v[16:17]
	scratch_load_b128 v[14:17], off, off offset:688
	v_add_f64_e32 v[167:168], v[167:168], v[161:162]
	v_add_f64_e32 v[165:166], v[165:166], v[163:164]
	ds_load_b128 v[161:164], v1 offset:1392
	s_wait_loadcnt_dscnt 0x901
	v_mul_f64_e32 v[175:176], v[2:3], v[20:21]
	v_mul_f64_e32 v[20:21], v[4:5], v[20:21]
	;; [unrolled: 18-line block ×7, first 2 shown]
	s_wait_loadcnt_dscnt 0x800
	v_mul_f64_e32 v[169:170], v[157:158], v[24:25]
	v_mul_f64_e32 v[24:25], v[159:160], v[24:25]
	v_add_f64_e32 v[167:168], v[167:168], v[173:174]
	v_add_f64_e32 v[165:166], v[165:166], v[171:172]
	v_fma_f64 v[171:172], v[4:5], v[18:19], v[175:176]
	v_fma_f64 v[173:174], v[2:3], v[18:19], -v[20:21]
	ds_load_b128 v[2:5], v1 offset:1568
	ds_load_b128 v[18:21], v1 offset:1584
	v_fma_f64 v[159:160], v[159:160], v[22:23], v[169:170]
	v_fma_f64 v[22:23], v[157:158], v[22:23], -v[24:25]
	v_add_f64_e32 v[161:162], v[167:168], v[161:162]
	v_add_f64_e32 v[163:164], v[165:166], v[163:164]
	s_wait_loadcnt_dscnt 0x701
	v_mul_f64_e32 v[165:166], v[2:3], v[28:29]
	v_mul_f64_e32 v[28:29], v[4:5], v[28:29]
	s_delay_alu instid0(VALU_DEP_4) | instskip(NEXT) | instid1(VALU_DEP_4)
	v_add_f64_e32 v[24:25], v[161:162], v[173:174]
	v_add_f64_e32 v[157:158], v[163:164], v[171:172]
	s_wait_loadcnt_dscnt 0x600
	v_mul_f64_e32 v[161:162], v[18:19], v[32:33]
	v_mul_f64_e32 v[32:33], v[20:21], v[32:33]
	v_fma_f64 v[163:164], v[4:5], v[26:27], v[165:166]
	v_fma_f64 v[26:27], v[2:3], v[26:27], -v[28:29]
	v_add_f64_e32 v[28:29], v[24:25], v[22:23]
	v_add_f64_e32 v[157:158], v[157:158], v[159:160]
	ds_load_b128 v[2:5], v1 offset:1600
	ds_load_b128 v[22:25], v1 offset:1616
	v_fma_f64 v[20:21], v[20:21], v[30:31], v[161:162]
	v_fma_f64 v[18:19], v[18:19], v[30:31], -v[32:33]
	s_wait_loadcnt_dscnt 0x501
	v_mul_f64_e32 v[159:160], v[2:3], v[36:37]
	v_mul_f64_e32 v[36:37], v[4:5], v[36:37]
	s_wait_loadcnt_dscnt 0x400
	v_mul_f64_e32 v[30:31], v[22:23], v[40:41]
	v_mul_f64_e32 v[32:33], v[24:25], v[40:41]
	v_add_f64_e32 v[26:27], v[28:29], v[26:27]
	v_add_f64_e32 v[28:29], v[157:158], v[163:164]
	v_fma_f64 v[40:41], v[4:5], v[34:35], v[159:160]
	v_fma_f64 v[34:35], v[2:3], v[34:35], -v[36:37]
	v_fma_f64 v[24:25], v[24:25], v[38:39], v[30:31]
	v_fma_f64 v[22:23], v[22:23], v[38:39], -v[32:33]
	v_add_f64_e32 v[26:27], v[26:27], v[18:19]
	v_add_f64_e32 v[28:29], v[28:29], v[20:21]
	ds_load_b128 v[2:5], v1 offset:1632
	ds_load_b128 v[18:21], v1 offset:1648
	s_wait_loadcnt_dscnt 0x301
	v_mul_f64_e32 v[36:37], v[2:3], v[44:45]
	v_mul_f64_e32 v[44:45], v[4:5], v[44:45]
	s_wait_loadcnt_dscnt 0x200
	v_mul_f64_e32 v[30:31], v[18:19], v[8:9]
	v_mul_f64_e32 v[8:9], v[20:21], v[8:9]
	v_add_f64_e32 v[26:27], v[26:27], v[34:35]
	v_add_f64_e32 v[28:29], v[28:29], v[40:41]
	v_fma_f64 v[32:33], v[4:5], v[42:43], v[36:37]
	v_fma_f64 v[34:35], v[2:3], v[42:43], -v[44:45]
	v_fma_f64 v[20:21], v[20:21], v[6:7], v[30:31]
	v_fma_f64 v[6:7], v[18:19], v[6:7], -v[8:9]
	v_add_f64_e32 v[26:27], v[26:27], v[22:23]
	v_add_f64_e32 v[28:29], v[28:29], v[24:25]
	ds_load_b128 v[2:5], v1 offset:1664
	ds_load_b128 v[22:25], v1 offset:1680
	s_wait_loadcnt_dscnt 0x101
	v_mul_f64_e32 v[36:37], v[2:3], v[12:13]
	v_mul_f64_e32 v[12:13], v[4:5], v[12:13]
	v_add_f64_e32 v[8:9], v[26:27], v[34:35]
	v_add_f64_e32 v[18:19], v[28:29], v[32:33]
	s_wait_loadcnt_dscnt 0x0
	v_mul_f64_e32 v[26:27], v[22:23], v[16:17]
	v_mul_f64_e32 v[16:17], v[24:25], v[16:17]
	v_fma_f64 v[4:5], v[4:5], v[10:11], v[36:37]
	v_fma_f64 v[1:2], v[2:3], v[10:11], -v[12:13]
	v_add_f64_e32 v[6:7], v[8:9], v[6:7]
	v_add_f64_e32 v[8:9], v[18:19], v[20:21]
	v_fma_f64 v[10:11], v[24:25], v[14:15], v[26:27]
	v_fma_f64 v[12:13], v[22:23], v[14:15], -v[16:17]
	s_delay_alu instid0(VALU_DEP_4) | instskip(NEXT) | instid1(VALU_DEP_4)
	v_add_f64_e32 v[1:2], v[6:7], v[1:2]
	v_add_f64_e32 v[3:4], v[8:9], v[4:5]
	s_delay_alu instid0(VALU_DEP_2) | instskip(NEXT) | instid1(VALU_DEP_2)
	v_add_f64_e32 v[1:2], v[1:2], v[12:13]
	v_add_f64_e32 v[3:4], v[3:4], v[10:11]
	s_delay_alu instid0(VALU_DEP_2) | instskip(NEXT) | instid1(VALU_DEP_2)
	v_add_f64_e64 v[1:2], v[153:154], -v[1:2]
	v_add_f64_e64 v[3:4], v[155:156], -v[3:4]
	scratch_store_b128 off, v[1:4], off offset:144
	v_cmpx_lt_u32_e32 7, v0
	s_cbranch_execz .LBB52_317
; %bb.316:
	scratch_load_b128 v[1:4], off, s59
	v_mov_b32_e32 v5, 0
	s_delay_alu instid0(VALU_DEP_1)
	v_dual_mov_b32 v6, v5 :: v_dual_mov_b32 v7, v5
	v_mov_b32_e32 v8, v5
	scratch_store_b128 off, v[5:8], off offset:128
	s_wait_loadcnt 0x0
	ds_store_b128 v152, v[1:4]
.LBB52_317:
	s_wait_alu 0xfffe
	s_or_b32 exec_lo, exec_lo, s0
	s_wait_storecnt_dscnt 0x0
	s_barrier_signal -1
	s_barrier_wait -1
	global_inv scope:SCOPE_SE
	s_clause 0x7
	scratch_load_b128 v[2:5], off, off offset:144
	scratch_load_b128 v[6:9], off, off offset:160
	;; [unrolled: 1-line block ×8, first 2 shown]
	v_mov_b32_e32 v1, 0
	s_mov_b32 s0, exec_lo
	ds_load_b128 v[38:41], v1 offset:976
	s_clause 0x1
	scratch_load_b128 v[34:37], off, off offset:272
	scratch_load_b128 v[42:45], off, off offset:128
	ds_load_b128 v[153:156], v1 offset:992
	scratch_load_b128 v[157:160], off, off offset:288
	s_wait_loadcnt_dscnt 0xa01
	v_mul_f64_e32 v[161:162], v[40:41], v[4:5]
	v_mul_f64_e32 v[4:5], v[38:39], v[4:5]
	s_delay_alu instid0(VALU_DEP_2) | instskip(NEXT) | instid1(VALU_DEP_2)
	v_fma_f64 v[167:168], v[38:39], v[2:3], -v[161:162]
	v_fma_f64 v[169:170], v[40:41], v[2:3], v[4:5]
	ds_load_b128 v[2:5], v1 offset:1008
	s_wait_loadcnt_dscnt 0x901
	v_mul_f64_e32 v[165:166], v[153:154], v[8:9]
	v_mul_f64_e32 v[8:9], v[155:156], v[8:9]
	scratch_load_b128 v[38:41], off, off offset:304
	ds_load_b128 v[161:164], v1 offset:1024
	s_wait_loadcnt_dscnt 0x901
	v_mul_f64_e32 v[171:172], v[2:3], v[12:13]
	v_mul_f64_e32 v[12:13], v[4:5], v[12:13]
	v_fma_f64 v[155:156], v[155:156], v[6:7], v[165:166]
	v_fma_f64 v[153:154], v[153:154], v[6:7], -v[8:9]
	v_add_f64_e32 v[165:166], 0, v[167:168]
	v_add_f64_e32 v[167:168], 0, v[169:170]
	scratch_load_b128 v[6:9], off, off offset:320
	v_fma_f64 v[171:172], v[4:5], v[10:11], v[171:172]
	v_fma_f64 v[173:174], v[2:3], v[10:11], -v[12:13]
	ds_load_b128 v[2:5], v1 offset:1040
	s_wait_loadcnt_dscnt 0x901
	v_mul_f64_e32 v[169:170], v[161:162], v[16:17]
	v_mul_f64_e32 v[16:17], v[163:164], v[16:17]
	scratch_load_b128 v[10:13], off, off offset:336
	v_add_f64_e32 v[165:166], v[165:166], v[153:154]
	v_add_f64_e32 v[167:168], v[167:168], v[155:156]
	s_wait_loadcnt_dscnt 0x900
	v_mul_f64_e32 v[175:176], v[2:3], v[20:21]
	v_mul_f64_e32 v[20:21], v[4:5], v[20:21]
	ds_load_b128 v[153:156], v1 offset:1056
	v_fma_f64 v[163:164], v[163:164], v[14:15], v[169:170]
	v_fma_f64 v[161:162], v[161:162], v[14:15], -v[16:17]
	scratch_load_b128 v[14:17], off, off offset:352
	v_add_f64_e32 v[165:166], v[165:166], v[173:174]
	v_add_f64_e32 v[167:168], v[167:168], v[171:172]
	v_fma_f64 v[171:172], v[4:5], v[18:19], v[175:176]
	v_fma_f64 v[173:174], v[2:3], v[18:19], -v[20:21]
	ds_load_b128 v[2:5], v1 offset:1072
	s_wait_loadcnt_dscnt 0x901
	v_mul_f64_e32 v[169:170], v[153:154], v[24:25]
	v_mul_f64_e32 v[24:25], v[155:156], v[24:25]
	scratch_load_b128 v[18:21], off, off offset:368
	s_wait_loadcnt_dscnt 0x900
	v_mul_f64_e32 v[175:176], v[2:3], v[28:29]
	v_mul_f64_e32 v[28:29], v[4:5], v[28:29]
	v_add_f64_e32 v[165:166], v[165:166], v[161:162]
	v_add_f64_e32 v[167:168], v[167:168], v[163:164]
	ds_load_b128 v[161:164], v1 offset:1088
	v_fma_f64 v[155:156], v[155:156], v[22:23], v[169:170]
	v_fma_f64 v[153:154], v[153:154], v[22:23], -v[24:25]
	scratch_load_b128 v[22:25], off, off offset:384
	v_add_f64_e32 v[165:166], v[165:166], v[173:174]
	v_add_f64_e32 v[167:168], v[167:168], v[171:172]
	v_fma_f64 v[171:172], v[4:5], v[26:27], v[175:176]
	v_fma_f64 v[173:174], v[2:3], v[26:27], -v[28:29]
	ds_load_b128 v[2:5], v1 offset:1104
	s_wait_loadcnt_dscnt 0x901
	v_mul_f64_e32 v[169:170], v[161:162], v[32:33]
	v_mul_f64_e32 v[32:33], v[163:164], v[32:33]
	scratch_load_b128 v[26:29], off, off offset:400
	s_wait_loadcnt_dscnt 0x900
	v_mul_f64_e32 v[175:176], v[2:3], v[36:37]
	v_mul_f64_e32 v[36:37], v[4:5], v[36:37]
	v_add_f64_e32 v[165:166], v[165:166], v[153:154]
	v_add_f64_e32 v[167:168], v[167:168], v[155:156]
	ds_load_b128 v[153:156], v1 offset:1120
	v_fma_f64 v[163:164], v[163:164], v[30:31], v[169:170]
	v_fma_f64 v[161:162], v[161:162], v[30:31], -v[32:33]
	scratch_load_b128 v[30:33], off, off offset:416
	v_add_f64_e32 v[165:166], v[165:166], v[173:174]
	v_add_f64_e32 v[167:168], v[167:168], v[171:172]
	v_fma_f64 v[173:174], v[4:5], v[34:35], v[175:176]
	v_fma_f64 v[175:176], v[2:3], v[34:35], -v[36:37]
	ds_load_b128 v[2:5], v1 offset:1136
	s_wait_loadcnt_dscnt 0x801
	v_mul_f64_e32 v[169:170], v[153:154], v[159:160]
	v_mul_f64_e32 v[171:172], v[155:156], v[159:160]
	scratch_load_b128 v[34:37], off, off offset:432
	v_add_f64_e32 v[165:166], v[165:166], v[161:162]
	v_add_f64_e32 v[163:164], v[167:168], v[163:164]
	ds_load_b128 v[159:162], v1 offset:1152
	v_fma_f64 v[169:170], v[155:156], v[157:158], v[169:170]
	v_fma_f64 v[157:158], v[153:154], v[157:158], -v[171:172]
	scratch_load_b128 v[153:156], off, off offset:448
	s_wait_loadcnt_dscnt 0x901
	v_mul_f64_e32 v[167:168], v[2:3], v[40:41]
	v_mul_f64_e32 v[40:41], v[4:5], v[40:41]
	v_add_f64_e32 v[165:166], v[165:166], v[175:176]
	v_add_f64_e32 v[163:164], v[163:164], v[173:174]
	s_delay_alu instid0(VALU_DEP_4) | instskip(NEXT) | instid1(VALU_DEP_4)
	v_fma_f64 v[167:168], v[4:5], v[38:39], v[167:168]
	v_fma_f64 v[173:174], v[2:3], v[38:39], -v[40:41]
	ds_load_b128 v[2:5], v1 offset:1168
	s_wait_loadcnt_dscnt 0x801
	v_mul_f64_e32 v[171:172], v[159:160], v[8:9]
	v_mul_f64_e32 v[8:9], v[161:162], v[8:9]
	scratch_load_b128 v[38:41], off, off offset:464
	s_wait_loadcnt_dscnt 0x800
	v_mul_f64_e32 v[175:176], v[2:3], v[12:13]
	v_add_f64_e32 v[157:158], v[165:166], v[157:158]
	v_add_f64_e32 v[169:170], v[163:164], v[169:170]
	v_mul_f64_e32 v[12:13], v[4:5], v[12:13]
	ds_load_b128 v[163:166], v1 offset:1184
	v_fma_f64 v[161:162], v[161:162], v[6:7], v[171:172]
	v_fma_f64 v[159:160], v[159:160], v[6:7], -v[8:9]
	scratch_load_b128 v[6:9], off, off offset:480
	v_fma_f64 v[171:172], v[4:5], v[10:11], v[175:176]
	v_add_f64_e32 v[157:158], v[157:158], v[173:174]
	v_add_f64_e32 v[167:168], v[169:170], v[167:168]
	v_fma_f64 v[173:174], v[2:3], v[10:11], -v[12:13]
	ds_load_b128 v[2:5], v1 offset:1200
	s_wait_loadcnt_dscnt 0x801
	v_mul_f64_e32 v[169:170], v[163:164], v[16:17]
	v_mul_f64_e32 v[16:17], v[165:166], v[16:17]
	scratch_load_b128 v[10:13], off, off offset:496
	v_add_f64_e32 v[175:176], v[157:158], v[159:160]
	v_add_f64_e32 v[161:162], v[167:168], v[161:162]
	s_wait_loadcnt_dscnt 0x800
	v_mul_f64_e32 v[167:168], v[2:3], v[20:21]
	v_mul_f64_e32 v[20:21], v[4:5], v[20:21]
	v_fma_f64 v[165:166], v[165:166], v[14:15], v[169:170]
	v_fma_f64 v[163:164], v[163:164], v[14:15], -v[16:17]
	ds_load_b128 v[157:160], v1 offset:1216
	scratch_load_b128 v[14:17], off, off offset:512
	v_add_f64_e32 v[169:170], v[175:176], v[173:174]
	v_add_f64_e32 v[161:162], v[161:162], v[171:172]
	v_fma_f64 v[167:168], v[4:5], v[18:19], v[167:168]
	v_fma_f64 v[173:174], v[2:3], v[18:19], -v[20:21]
	ds_load_b128 v[2:5], v1 offset:1232
	s_wait_loadcnt_dscnt 0x801
	v_mul_f64_e32 v[171:172], v[157:158], v[24:25]
	v_mul_f64_e32 v[24:25], v[159:160], v[24:25]
	scratch_load_b128 v[18:21], off, off offset:528
	s_wait_loadcnt_dscnt 0x800
	v_mul_f64_e32 v[175:176], v[2:3], v[28:29]
	v_mul_f64_e32 v[28:29], v[4:5], v[28:29]
	v_add_f64_e32 v[169:170], v[169:170], v[163:164]
	v_add_f64_e32 v[165:166], v[161:162], v[165:166]
	ds_load_b128 v[161:164], v1 offset:1248
	v_fma_f64 v[159:160], v[159:160], v[22:23], v[171:172]
	v_fma_f64 v[157:158], v[157:158], v[22:23], -v[24:25]
	scratch_load_b128 v[22:25], off, off offset:544
	v_fma_f64 v[171:172], v[4:5], v[26:27], v[175:176]
	v_add_f64_e32 v[169:170], v[169:170], v[173:174]
	v_add_f64_e32 v[165:166], v[165:166], v[167:168]
	v_fma_f64 v[173:174], v[2:3], v[26:27], -v[28:29]
	ds_load_b128 v[2:5], v1 offset:1264
	s_wait_loadcnt_dscnt 0x801
	v_mul_f64_e32 v[167:168], v[161:162], v[32:33]
	v_mul_f64_e32 v[32:33], v[163:164], v[32:33]
	scratch_load_b128 v[26:29], off, off offset:560
	s_wait_loadcnt_dscnt 0x800
	v_mul_f64_e32 v[175:176], v[2:3], v[36:37]
	v_mul_f64_e32 v[36:37], v[4:5], v[36:37]
	v_add_f64_e32 v[169:170], v[169:170], v[157:158]
	v_add_f64_e32 v[165:166], v[165:166], v[159:160]
	ds_load_b128 v[157:160], v1 offset:1280
	v_fma_f64 v[163:164], v[163:164], v[30:31], v[167:168]
	v_fma_f64 v[161:162], v[161:162], v[30:31], -v[32:33]
	scratch_load_b128 v[30:33], off, off offset:576
	v_add_f64_e32 v[167:168], v[169:170], v[173:174]
	v_add_f64_e32 v[165:166], v[165:166], v[171:172]
	v_fma_f64 v[171:172], v[4:5], v[34:35], v[175:176]
	v_fma_f64 v[173:174], v[2:3], v[34:35], -v[36:37]
	ds_load_b128 v[2:5], v1 offset:1296
	s_wait_loadcnt_dscnt 0x801
	v_mul_f64_e32 v[169:170], v[157:158], v[155:156]
	v_mul_f64_e32 v[155:156], v[159:160], v[155:156]
	scratch_load_b128 v[34:37], off, off offset:592
	s_wait_loadcnt_dscnt 0x800
	v_mul_f64_e32 v[175:176], v[2:3], v[40:41]
	v_mul_f64_e32 v[40:41], v[4:5], v[40:41]
	v_add_f64_e32 v[167:168], v[167:168], v[161:162]
	v_add_f64_e32 v[165:166], v[165:166], v[163:164]
	ds_load_b128 v[161:164], v1 offset:1312
	v_fma_f64 v[159:160], v[159:160], v[153:154], v[169:170]
	v_fma_f64 v[157:158], v[157:158], v[153:154], -v[155:156]
	scratch_load_b128 v[153:156], off, off offset:608
	v_add_f64_e32 v[167:168], v[167:168], v[173:174]
	v_add_f64_e32 v[165:166], v[165:166], v[171:172]
	v_fma_f64 v[171:172], v[4:5], v[38:39], v[175:176]
	;; [unrolled: 18-line block ×6, first 2 shown]
	v_fma_f64 v[175:176], v[2:3], v[34:35], -v[36:37]
	ds_load_b128 v[2:5], v1 offset:1456
	s_wait_loadcnt_dscnt 0x801
	v_mul_f64_e32 v[169:170], v[161:162], v[155:156]
	v_mul_f64_e32 v[171:172], v[163:164], v[155:156]
	scratch_load_b128 v[34:37], off, off offset:752
	v_add_f64_e32 v[167:168], v[167:168], v[157:158]
	v_add_f64_e32 v[159:160], v[165:166], v[159:160]
	s_wait_loadcnt_dscnt 0x800
	v_mul_f64_e32 v[165:166], v[2:3], v[40:41]
	v_mul_f64_e32 v[40:41], v[4:5], v[40:41]
	ds_load_b128 v[155:158], v1 offset:1472
	v_fma_f64 v[163:164], v[163:164], v[153:154], v[169:170]
	v_fma_f64 v[153:154], v[161:162], v[153:154], -v[171:172]
	v_add_f64_e32 v[167:168], v[167:168], v[175:176]
	v_add_f64_e32 v[169:170], v[159:160], v[173:174]
	scratch_load_b128 v[159:162], off, off offset:768
	v_fma_f64 v[173:174], v[4:5], v[38:39], v[165:166]
	v_fma_f64 v[175:176], v[2:3], v[38:39], -v[40:41]
	ds_load_b128 v[2:5], v1 offset:1488
	s_wait_loadcnt_dscnt 0x801
	v_mul_f64_e32 v[171:172], v[155:156], v[8:9]
	v_mul_f64_e32 v[8:9], v[157:158], v[8:9]
	scratch_load_b128 v[38:41], off, off offset:784
	v_add_f64_e32 v[153:154], v[167:168], v[153:154]
	v_add_f64_e32 v[167:168], v[169:170], v[163:164]
	s_wait_loadcnt_dscnt 0x800
	v_mul_f64_e32 v[169:170], v[2:3], v[12:13]
	v_mul_f64_e32 v[12:13], v[4:5], v[12:13]
	ds_load_b128 v[163:166], v1 offset:1504
	v_fma_f64 v[157:158], v[157:158], v[6:7], v[171:172]
	v_fma_f64 v[155:156], v[155:156], v[6:7], -v[8:9]
	scratch_load_b128 v[6:9], off, off offset:800
	v_add_f64_e32 v[153:154], v[153:154], v[175:176]
	v_add_f64_e32 v[167:168], v[167:168], v[173:174]
	v_fma_f64 v[169:170], v[4:5], v[10:11], v[169:170]
	v_fma_f64 v[173:174], v[2:3], v[10:11], -v[12:13]
	ds_load_b128 v[2:5], v1 offset:1520
	s_wait_loadcnt_dscnt 0x801
	v_mul_f64_e32 v[171:172], v[163:164], v[16:17]
	v_mul_f64_e32 v[16:17], v[165:166], v[16:17]
	scratch_load_b128 v[10:13], off, off offset:816
	v_add_f64_e32 v[175:176], v[153:154], v[155:156]
	v_add_f64_e32 v[157:158], v[167:168], v[157:158]
	s_wait_loadcnt_dscnt 0x800
	v_mul_f64_e32 v[167:168], v[2:3], v[20:21]
	v_mul_f64_e32 v[20:21], v[4:5], v[20:21]
	ds_load_b128 v[153:156], v1 offset:1536
	v_fma_f64 v[165:166], v[165:166], v[14:15], v[171:172]
	v_fma_f64 v[163:164], v[163:164], v[14:15], -v[16:17]
	scratch_load_b128 v[14:17], off, off offset:832
	v_add_f64_e32 v[171:172], v[175:176], v[173:174]
	v_add_f64_e32 v[157:158], v[157:158], v[169:170]
	v_fma_f64 v[167:168], v[4:5], v[18:19], v[167:168]
	v_fma_f64 v[173:174], v[2:3], v[18:19], -v[20:21]
	ds_load_b128 v[2:5], v1 offset:1552
	s_wait_loadcnt_dscnt 0x801
	v_mul_f64_e32 v[169:170], v[153:154], v[24:25]
	v_mul_f64_e32 v[24:25], v[155:156], v[24:25]
	scratch_load_b128 v[18:21], off, off offset:848
	s_wait_loadcnt_dscnt 0x800
	v_mul_f64_e32 v[175:176], v[2:3], v[28:29]
	v_mul_f64_e32 v[28:29], v[4:5], v[28:29]
	v_add_f64_e32 v[171:172], v[171:172], v[163:164]
	v_add_f64_e32 v[157:158], v[157:158], v[165:166]
	ds_load_b128 v[163:166], v1 offset:1568
	v_fma_f64 v[155:156], v[155:156], v[22:23], v[169:170]
	v_fma_f64 v[22:23], v[153:154], v[22:23], -v[24:25]
	v_add_f64_e32 v[24:25], v[171:172], v[173:174]
	v_add_f64_e32 v[153:154], v[157:158], v[167:168]
	s_wait_loadcnt_dscnt 0x700
	v_mul_f64_e32 v[157:158], v[163:164], v[32:33]
	v_mul_f64_e32 v[32:33], v[165:166], v[32:33]
	v_fma_f64 v[167:168], v[4:5], v[26:27], v[175:176]
	v_fma_f64 v[26:27], v[2:3], v[26:27], -v[28:29]
	v_add_f64_e32 v[28:29], v[24:25], v[22:23]
	v_add_f64_e32 v[153:154], v[153:154], v[155:156]
	ds_load_b128 v[2:5], v1 offset:1584
	ds_load_b128 v[22:25], v1 offset:1600
	v_fma_f64 v[157:158], v[165:166], v[30:31], v[157:158]
	v_fma_f64 v[30:31], v[163:164], v[30:31], -v[32:33]
	s_wait_loadcnt_dscnt 0x601
	v_mul_f64_e32 v[155:156], v[2:3], v[36:37]
	v_mul_f64_e32 v[36:37], v[4:5], v[36:37]
	v_add_f64_e32 v[26:27], v[28:29], v[26:27]
	v_add_f64_e32 v[28:29], v[153:154], v[167:168]
	s_wait_loadcnt_dscnt 0x500
	v_mul_f64_e32 v[32:33], v[22:23], v[161:162]
	v_mul_f64_e32 v[153:154], v[24:25], v[161:162]
	v_fma_f64 v[155:156], v[4:5], v[34:35], v[155:156]
	v_fma_f64 v[34:35], v[2:3], v[34:35], -v[36:37]
	v_add_f64_e32 v[30:31], v[26:27], v[30:31]
	v_add_f64_e32 v[36:37], v[28:29], v[157:158]
	ds_load_b128 v[2:5], v1 offset:1616
	ds_load_b128 v[26:29], v1 offset:1632
	v_fma_f64 v[24:25], v[24:25], v[159:160], v[32:33]
	v_fma_f64 v[22:23], v[22:23], v[159:160], -v[153:154]
	s_wait_loadcnt_dscnt 0x401
	v_mul_f64_e32 v[157:158], v[2:3], v[40:41]
	v_mul_f64_e32 v[40:41], v[4:5], v[40:41]
	;; [unrolled: 16-line block ×3, first 2 shown]
	v_add_f64_e32 v[8:9], v[30:31], v[38:39]
	v_add_f64_e32 v[26:27], v[32:33], v[36:37]
	s_wait_loadcnt_dscnt 0x100
	v_mul_f64_e32 v[30:31], v[22:23], v[16:17]
	v_mul_f64_e32 v[16:17], v[24:25], v[16:17]
	v_fma_f64 v[32:33], v[4:5], v[10:11], v[40:41]
	v_fma_f64 v[10:11], v[2:3], v[10:11], -v[12:13]
	ds_load_b128 v[2:5], v1 offset:1680
	v_add_f64_e32 v[6:7], v[8:9], v[6:7]
	v_add_f64_e32 v[8:9], v[26:27], v[28:29]
	v_fma_f64 v[24:25], v[24:25], v[14:15], v[30:31]
	v_fma_f64 v[14:15], v[22:23], v[14:15], -v[16:17]
	s_wait_loadcnt_dscnt 0x0
	v_mul_f64_e32 v[12:13], v[2:3], v[20:21]
	v_mul_f64_e32 v[20:21], v[4:5], v[20:21]
	v_add_f64_e32 v[6:7], v[6:7], v[10:11]
	v_add_f64_e32 v[8:9], v[8:9], v[32:33]
	s_delay_alu instid0(VALU_DEP_4) | instskip(NEXT) | instid1(VALU_DEP_4)
	v_fma_f64 v[4:5], v[4:5], v[18:19], v[12:13]
	v_fma_f64 v[2:3], v[2:3], v[18:19], -v[20:21]
	s_delay_alu instid0(VALU_DEP_4) | instskip(NEXT) | instid1(VALU_DEP_4)
	v_add_f64_e32 v[6:7], v[6:7], v[14:15]
	v_add_f64_e32 v[8:9], v[8:9], v[24:25]
	s_delay_alu instid0(VALU_DEP_2) | instskip(NEXT) | instid1(VALU_DEP_2)
	v_add_f64_e32 v[2:3], v[6:7], v[2:3]
	v_add_f64_e32 v[4:5], v[8:9], v[4:5]
	s_delay_alu instid0(VALU_DEP_2) | instskip(NEXT) | instid1(VALU_DEP_2)
	v_add_f64_e64 v[2:3], v[42:43], -v[2:3]
	v_add_f64_e64 v[4:5], v[44:45], -v[4:5]
	scratch_store_b128 off, v[2:5], off offset:128
	v_cmpx_lt_u32_e32 6, v0
	s_cbranch_execz .LBB52_319
; %bb.318:
	scratch_load_b128 v[5:8], off, s60
	v_dual_mov_b32 v2, v1 :: v_dual_mov_b32 v3, v1
	v_mov_b32_e32 v4, v1
	scratch_store_b128 off, v[1:4], off offset:112
	s_wait_loadcnt 0x0
	ds_store_b128 v152, v[5:8]
.LBB52_319:
	s_wait_alu 0xfffe
	s_or_b32 exec_lo, exec_lo, s0
	s_wait_storecnt_dscnt 0x0
	s_barrier_signal -1
	s_barrier_wait -1
	global_inv scope:SCOPE_SE
	s_clause 0x8
	scratch_load_b128 v[2:5], off, off offset:128
	scratch_load_b128 v[6:9], off, off offset:144
	;; [unrolled: 1-line block ×9, first 2 shown]
	ds_load_b128 v[42:45], v1 offset:960
	ds_load_b128 v[38:41], v1 offset:976
	s_clause 0x1
	scratch_load_b128 v[153:156], off, off offset:112
	scratch_load_b128 v[157:160], off, off offset:272
	s_mov_b32 s0, exec_lo
	s_wait_loadcnt_dscnt 0xa01
	v_mul_f64_e32 v[161:162], v[44:45], v[4:5]
	v_mul_f64_e32 v[4:5], v[42:43], v[4:5]
	s_wait_loadcnt_dscnt 0x900
	v_mul_f64_e32 v[165:166], v[38:39], v[8:9]
	v_mul_f64_e32 v[8:9], v[40:41], v[8:9]
	s_delay_alu instid0(VALU_DEP_4) | instskip(NEXT) | instid1(VALU_DEP_4)
	v_fma_f64 v[167:168], v[42:43], v[2:3], -v[161:162]
	v_fma_f64 v[169:170], v[44:45], v[2:3], v[4:5]
	ds_load_b128 v[2:5], v1 offset:992
	ds_load_b128 v[161:164], v1 offset:1008
	scratch_load_b128 v[42:45], off, off offset:288
	v_fma_f64 v[40:41], v[40:41], v[6:7], v[165:166]
	v_fma_f64 v[38:39], v[38:39], v[6:7], -v[8:9]
	scratch_load_b128 v[6:9], off, off offset:304
	s_wait_loadcnt_dscnt 0xa01
	v_mul_f64_e32 v[171:172], v[2:3], v[12:13]
	v_mul_f64_e32 v[12:13], v[4:5], v[12:13]
	v_add_f64_e32 v[165:166], 0, v[167:168]
	v_add_f64_e32 v[167:168], 0, v[169:170]
	s_wait_loadcnt_dscnt 0x900
	v_mul_f64_e32 v[169:170], v[161:162], v[16:17]
	v_mul_f64_e32 v[16:17], v[163:164], v[16:17]
	v_fma_f64 v[171:172], v[4:5], v[10:11], v[171:172]
	v_fma_f64 v[173:174], v[2:3], v[10:11], -v[12:13]
	ds_load_b128 v[2:5], v1 offset:1024
	scratch_load_b128 v[10:13], off, off offset:320
	v_add_f64_e32 v[165:166], v[165:166], v[38:39]
	v_add_f64_e32 v[167:168], v[167:168], v[40:41]
	ds_load_b128 v[38:41], v1 offset:1040
	v_fma_f64 v[163:164], v[163:164], v[14:15], v[169:170]
	v_fma_f64 v[161:162], v[161:162], v[14:15], -v[16:17]
	scratch_load_b128 v[14:17], off, off offset:336
	s_wait_loadcnt_dscnt 0xa01
	v_mul_f64_e32 v[175:176], v[2:3], v[20:21]
	v_mul_f64_e32 v[20:21], v[4:5], v[20:21]
	s_wait_loadcnt_dscnt 0x900
	v_mul_f64_e32 v[169:170], v[38:39], v[24:25]
	v_mul_f64_e32 v[24:25], v[40:41], v[24:25]
	v_add_f64_e32 v[165:166], v[165:166], v[173:174]
	v_add_f64_e32 v[167:168], v[167:168], v[171:172]
	v_fma_f64 v[171:172], v[4:5], v[18:19], v[175:176]
	v_fma_f64 v[173:174], v[2:3], v[18:19], -v[20:21]
	ds_load_b128 v[2:5], v1 offset:1056
	scratch_load_b128 v[18:21], off, off offset:352
	v_fma_f64 v[40:41], v[40:41], v[22:23], v[169:170]
	v_fma_f64 v[38:39], v[38:39], v[22:23], -v[24:25]
	scratch_load_b128 v[22:25], off, off offset:368
	v_add_f64_e32 v[165:166], v[165:166], v[161:162]
	v_add_f64_e32 v[167:168], v[167:168], v[163:164]
	ds_load_b128 v[161:164], v1 offset:1072
	s_wait_loadcnt_dscnt 0xa01
	v_mul_f64_e32 v[175:176], v[2:3], v[28:29]
	v_mul_f64_e32 v[28:29], v[4:5], v[28:29]
	s_wait_loadcnt_dscnt 0x900
	v_mul_f64_e32 v[169:170], v[161:162], v[32:33]
	v_mul_f64_e32 v[32:33], v[163:164], v[32:33]
	v_add_f64_e32 v[165:166], v[165:166], v[173:174]
	v_add_f64_e32 v[167:168], v[167:168], v[171:172]
	v_fma_f64 v[171:172], v[4:5], v[26:27], v[175:176]
	v_fma_f64 v[173:174], v[2:3], v[26:27], -v[28:29]
	ds_load_b128 v[2:5], v1 offset:1088
	scratch_load_b128 v[26:29], off, off offset:384
	v_fma_f64 v[163:164], v[163:164], v[30:31], v[169:170]
	v_fma_f64 v[161:162], v[161:162], v[30:31], -v[32:33]
	scratch_load_b128 v[30:33], off, off offset:400
	v_add_f64_e32 v[165:166], v[165:166], v[38:39]
	v_add_f64_e32 v[167:168], v[167:168], v[40:41]
	ds_load_b128 v[38:41], v1 offset:1104
	s_wait_loadcnt_dscnt 0xa01
	v_mul_f64_e32 v[175:176], v[2:3], v[36:37]
	v_mul_f64_e32 v[36:37], v[4:5], v[36:37]
	s_wait_loadcnt_dscnt 0x800
	v_mul_f64_e32 v[169:170], v[38:39], v[159:160]
	v_add_f64_e32 v[165:166], v[165:166], v[173:174]
	v_add_f64_e32 v[167:168], v[167:168], v[171:172]
	v_mul_f64_e32 v[171:172], v[40:41], v[159:160]
	v_fma_f64 v[173:174], v[4:5], v[34:35], v[175:176]
	v_fma_f64 v[175:176], v[2:3], v[34:35], -v[36:37]
	ds_load_b128 v[2:5], v1 offset:1120
	scratch_load_b128 v[34:37], off, off offset:416
	v_fma_f64 v[169:170], v[40:41], v[157:158], v[169:170]
	v_add_f64_e32 v[165:166], v[165:166], v[161:162]
	v_add_f64_e32 v[163:164], v[167:168], v[163:164]
	ds_load_b128 v[159:162], v1 offset:1136
	v_fma_f64 v[157:158], v[38:39], v[157:158], -v[171:172]
	scratch_load_b128 v[38:41], off, off offset:432
	s_wait_loadcnt_dscnt 0x901
	v_mul_f64_e32 v[167:168], v[2:3], v[44:45]
	v_mul_f64_e32 v[44:45], v[4:5], v[44:45]
	s_wait_loadcnt_dscnt 0x800
	v_mul_f64_e32 v[171:172], v[159:160], v[8:9]
	v_mul_f64_e32 v[8:9], v[161:162], v[8:9]
	v_add_f64_e32 v[165:166], v[165:166], v[175:176]
	v_add_f64_e32 v[163:164], v[163:164], v[173:174]
	v_fma_f64 v[167:168], v[4:5], v[42:43], v[167:168]
	v_fma_f64 v[173:174], v[2:3], v[42:43], -v[44:45]
	ds_load_b128 v[2:5], v1 offset:1152
	scratch_load_b128 v[42:45], off, off offset:448
	v_fma_f64 v[161:162], v[161:162], v[6:7], v[171:172]
	v_fma_f64 v[159:160], v[159:160], v[6:7], -v[8:9]
	scratch_load_b128 v[6:9], off, off offset:464
	v_add_f64_e32 v[157:158], v[165:166], v[157:158]
	v_add_f64_e32 v[169:170], v[163:164], v[169:170]
	ds_load_b128 v[163:166], v1 offset:1168
	s_wait_loadcnt_dscnt 0x901
	v_mul_f64_e32 v[175:176], v[2:3], v[12:13]
	v_mul_f64_e32 v[12:13], v[4:5], v[12:13]
	v_add_f64_e32 v[157:158], v[157:158], v[173:174]
	v_add_f64_e32 v[167:168], v[169:170], v[167:168]
	s_wait_loadcnt_dscnt 0x800
	v_mul_f64_e32 v[169:170], v[163:164], v[16:17]
	v_mul_f64_e32 v[16:17], v[165:166], v[16:17]
	v_fma_f64 v[171:172], v[4:5], v[10:11], v[175:176]
	v_fma_f64 v[173:174], v[2:3], v[10:11], -v[12:13]
	ds_load_b128 v[2:5], v1 offset:1184
	scratch_load_b128 v[10:13], off, off offset:480
	v_add_f64_e32 v[175:176], v[157:158], v[159:160]
	v_add_f64_e32 v[161:162], v[167:168], v[161:162]
	ds_load_b128 v[157:160], v1 offset:1200
	s_wait_loadcnt_dscnt 0x801
	v_mul_f64_e32 v[167:168], v[2:3], v[20:21]
	v_mul_f64_e32 v[20:21], v[4:5], v[20:21]
	v_fma_f64 v[165:166], v[165:166], v[14:15], v[169:170]
	v_fma_f64 v[163:164], v[163:164], v[14:15], -v[16:17]
	scratch_load_b128 v[14:17], off, off offset:496
	v_add_f64_e32 v[169:170], v[175:176], v[173:174]
	v_add_f64_e32 v[161:162], v[161:162], v[171:172]
	s_wait_loadcnt_dscnt 0x800
	v_mul_f64_e32 v[171:172], v[157:158], v[24:25]
	v_mul_f64_e32 v[24:25], v[159:160], v[24:25]
	v_fma_f64 v[167:168], v[4:5], v[18:19], v[167:168]
	v_fma_f64 v[173:174], v[2:3], v[18:19], -v[20:21]
	ds_load_b128 v[2:5], v1 offset:1216
	scratch_load_b128 v[18:21], off, off offset:512
	v_add_f64_e32 v[169:170], v[169:170], v[163:164]
	v_add_f64_e32 v[165:166], v[161:162], v[165:166]
	ds_load_b128 v[161:164], v1 offset:1232
	s_wait_loadcnt_dscnt 0x801
	v_mul_f64_e32 v[175:176], v[2:3], v[28:29]
	v_mul_f64_e32 v[28:29], v[4:5], v[28:29]
	v_fma_f64 v[159:160], v[159:160], v[22:23], v[171:172]
	v_fma_f64 v[157:158], v[157:158], v[22:23], -v[24:25]
	scratch_load_b128 v[22:25], off, off offset:528
	;; [unrolled: 18-line block ×4, first 2 shown]
	s_wait_loadcnt_dscnt 0x800
	v_mul_f64_e32 v[169:170], v[161:162], v[8:9]
	v_mul_f64_e32 v[8:9], v[163:164], v[8:9]
	v_add_f64_e32 v[167:168], v[167:168], v[173:174]
	v_add_f64_e32 v[165:166], v[165:166], v[171:172]
	v_fma_f64 v[171:172], v[4:5], v[42:43], v[175:176]
	v_fma_f64 v[173:174], v[2:3], v[42:43], -v[44:45]
	ds_load_b128 v[2:5], v1 offset:1312
	scratch_load_b128 v[42:45], off, off offset:608
	v_fma_f64 v[163:164], v[163:164], v[6:7], v[169:170]
	v_fma_f64 v[161:162], v[161:162], v[6:7], -v[8:9]
	scratch_load_b128 v[6:9], off, off offset:624
	v_add_f64_e32 v[167:168], v[167:168], v[157:158]
	v_add_f64_e32 v[165:166], v[165:166], v[159:160]
	ds_load_b128 v[157:160], v1 offset:1328
	s_wait_loadcnt_dscnt 0x901
	v_mul_f64_e32 v[175:176], v[2:3], v[12:13]
	v_mul_f64_e32 v[12:13], v[4:5], v[12:13]
	s_wait_loadcnt_dscnt 0x800
	v_mul_f64_e32 v[169:170], v[157:158], v[16:17]
	v_mul_f64_e32 v[16:17], v[159:160], v[16:17]
	v_add_f64_e32 v[167:168], v[167:168], v[173:174]
	v_add_f64_e32 v[165:166], v[165:166], v[171:172]
	v_fma_f64 v[171:172], v[4:5], v[10:11], v[175:176]
	v_fma_f64 v[173:174], v[2:3], v[10:11], -v[12:13]
	ds_load_b128 v[2:5], v1 offset:1344
	scratch_load_b128 v[10:13], off, off offset:640
	v_fma_f64 v[159:160], v[159:160], v[14:15], v[169:170]
	v_fma_f64 v[157:158], v[157:158], v[14:15], -v[16:17]
	scratch_load_b128 v[14:17], off, off offset:656
	v_add_f64_e32 v[167:168], v[167:168], v[161:162]
	v_add_f64_e32 v[165:166], v[165:166], v[163:164]
	ds_load_b128 v[161:164], v1 offset:1360
	s_wait_loadcnt_dscnt 0x901
	v_mul_f64_e32 v[175:176], v[2:3], v[20:21]
	v_mul_f64_e32 v[20:21], v[4:5], v[20:21]
	;; [unrolled: 18-line block ×8, first 2 shown]
	s_wait_loadcnt_dscnt 0x800
	v_mul_f64_e32 v[169:170], v[161:162], v[32:33]
	v_mul_f64_e32 v[32:33], v[163:164], v[32:33]
	v_add_f64_e32 v[167:168], v[167:168], v[173:174]
	v_add_f64_e32 v[165:166], v[165:166], v[171:172]
	v_fma_f64 v[171:172], v[4:5], v[26:27], v[175:176]
	v_fma_f64 v[173:174], v[2:3], v[26:27], -v[28:29]
	ds_load_b128 v[2:5], v1 offset:1568
	ds_load_b128 v[26:29], v1 offset:1584
	v_fma_f64 v[163:164], v[163:164], v[30:31], v[169:170]
	v_fma_f64 v[30:31], v[161:162], v[30:31], -v[32:33]
	v_add_f64_e32 v[157:158], v[167:168], v[157:158]
	v_add_f64_e32 v[159:160], v[165:166], v[159:160]
	s_wait_loadcnt_dscnt 0x701
	v_mul_f64_e32 v[165:166], v[2:3], v[36:37]
	v_mul_f64_e32 v[36:37], v[4:5], v[36:37]
	s_delay_alu instid0(VALU_DEP_4) | instskip(NEXT) | instid1(VALU_DEP_4)
	v_add_f64_e32 v[32:33], v[157:158], v[173:174]
	v_add_f64_e32 v[157:158], v[159:160], v[171:172]
	s_wait_loadcnt_dscnt 0x600
	v_mul_f64_e32 v[159:160], v[26:27], v[40:41]
	v_mul_f64_e32 v[40:41], v[28:29], v[40:41]
	v_fma_f64 v[161:162], v[4:5], v[34:35], v[165:166]
	v_fma_f64 v[34:35], v[2:3], v[34:35], -v[36:37]
	v_add_f64_e32 v[36:37], v[32:33], v[30:31]
	v_add_f64_e32 v[157:158], v[157:158], v[163:164]
	ds_load_b128 v[2:5], v1 offset:1600
	ds_load_b128 v[30:33], v1 offset:1616
	v_fma_f64 v[28:29], v[28:29], v[38:39], v[159:160]
	v_fma_f64 v[26:27], v[26:27], v[38:39], -v[40:41]
	s_wait_loadcnt_dscnt 0x501
	v_mul_f64_e32 v[163:164], v[2:3], v[44:45]
	v_mul_f64_e32 v[44:45], v[4:5], v[44:45]
	s_wait_loadcnt_dscnt 0x400
	v_mul_f64_e32 v[38:39], v[30:31], v[8:9]
	v_mul_f64_e32 v[8:9], v[32:33], v[8:9]
	v_add_f64_e32 v[34:35], v[36:37], v[34:35]
	v_add_f64_e32 v[36:37], v[157:158], v[161:162]
	v_fma_f64 v[40:41], v[4:5], v[42:43], v[163:164]
	v_fma_f64 v[42:43], v[2:3], v[42:43], -v[44:45]
	v_fma_f64 v[32:33], v[32:33], v[6:7], v[38:39]
	v_fma_f64 v[6:7], v[30:31], v[6:7], -v[8:9]
	v_add_f64_e32 v[34:35], v[34:35], v[26:27]
	v_add_f64_e32 v[36:37], v[36:37], v[28:29]
	ds_load_b128 v[2:5], v1 offset:1632
	ds_load_b128 v[26:29], v1 offset:1648
	s_wait_loadcnt_dscnt 0x301
	v_mul_f64_e32 v[44:45], v[2:3], v[12:13]
	v_mul_f64_e32 v[12:13], v[4:5], v[12:13]
	v_add_f64_e32 v[8:9], v[34:35], v[42:43]
	v_add_f64_e32 v[30:31], v[36:37], v[40:41]
	s_wait_loadcnt_dscnt 0x200
	v_mul_f64_e32 v[34:35], v[26:27], v[16:17]
	v_mul_f64_e32 v[16:17], v[28:29], v[16:17]
	v_fma_f64 v[36:37], v[4:5], v[10:11], v[44:45]
	v_fma_f64 v[10:11], v[2:3], v[10:11], -v[12:13]
	v_add_f64_e32 v[12:13], v[8:9], v[6:7]
	v_add_f64_e32 v[30:31], v[30:31], v[32:33]
	ds_load_b128 v[2:5], v1 offset:1664
	ds_load_b128 v[6:9], v1 offset:1680
	v_fma_f64 v[28:29], v[28:29], v[14:15], v[34:35]
	v_fma_f64 v[14:15], v[26:27], v[14:15], -v[16:17]
	s_wait_loadcnt_dscnt 0x101
	v_mul_f64_e32 v[32:33], v[2:3], v[20:21]
	v_mul_f64_e32 v[20:21], v[4:5], v[20:21]
	s_wait_loadcnt_dscnt 0x0
	v_mul_f64_e32 v[16:17], v[6:7], v[24:25]
	v_mul_f64_e32 v[24:25], v[8:9], v[24:25]
	v_add_f64_e32 v[10:11], v[12:13], v[10:11]
	v_add_f64_e32 v[12:13], v[30:31], v[36:37]
	v_fma_f64 v[4:5], v[4:5], v[18:19], v[32:33]
	v_fma_f64 v[1:2], v[2:3], v[18:19], -v[20:21]
	v_fma_f64 v[8:9], v[8:9], v[22:23], v[16:17]
	v_fma_f64 v[6:7], v[6:7], v[22:23], -v[24:25]
	v_add_f64_e32 v[10:11], v[10:11], v[14:15]
	v_add_f64_e32 v[12:13], v[12:13], v[28:29]
	s_delay_alu instid0(VALU_DEP_2) | instskip(NEXT) | instid1(VALU_DEP_2)
	v_add_f64_e32 v[1:2], v[10:11], v[1:2]
	v_add_f64_e32 v[3:4], v[12:13], v[4:5]
	s_delay_alu instid0(VALU_DEP_2) | instskip(NEXT) | instid1(VALU_DEP_2)
	;; [unrolled: 3-line block ×3, first 2 shown]
	v_add_f64_e64 v[1:2], v[153:154], -v[1:2]
	v_add_f64_e64 v[3:4], v[155:156], -v[3:4]
	scratch_store_b128 off, v[1:4], off offset:112
	v_cmpx_lt_u32_e32 5, v0
	s_cbranch_execz .LBB52_321
; %bb.320:
	scratch_load_b128 v[1:4], off, s61
	v_mov_b32_e32 v5, 0
	s_delay_alu instid0(VALU_DEP_1)
	v_dual_mov_b32 v6, v5 :: v_dual_mov_b32 v7, v5
	v_mov_b32_e32 v8, v5
	scratch_store_b128 off, v[5:8], off offset:96
	s_wait_loadcnt 0x0
	ds_store_b128 v152, v[1:4]
.LBB52_321:
	s_wait_alu 0xfffe
	s_or_b32 exec_lo, exec_lo, s0
	s_wait_storecnt_dscnt 0x0
	s_barrier_signal -1
	s_barrier_wait -1
	global_inv scope:SCOPE_SE
	s_clause 0x7
	scratch_load_b128 v[2:5], off, off offset:112
	scratch_load_b128 v[6:9], off, off offset:128
	;; [unrolled: 1-line block ×8, first 2 shown]
	v_mov_b32_e32 v1, 0
	s_mov_b32 s0, exec_lo
	ds_load_b128 v[38:41], v1 offset:944
	s_clause 0x1
	scratch_load_b128 v[34:37], off, off offset:240
	scratch_load_b128 v[42:45], off, off offset:96
	ds_load_b128 v[153:156], v1 offset:960
	scratch_load_b128 v[157:160], off, off offset:256
	s_wait_loadcnt_dscnt 0xa01
	v_mul_f64_e32 v[161:162], v[40:41], v[4:5]
	v_mul_f64_e32 v[4:5], v[38:39], v[4:5]
	s_delay_alu instid0(VALU_DEP_2) | instskip(NEXT) | instid1(VALU_DEP_2)
	v_fma_f64 v[167:168], v[38:39], v[2:3], -v[161:162]
	v_fma_f64 v[169:170], v[40:41], v[2:3], v[4:5]
	ds_load_b128 v[2:5], v1 offset:976
	s_wait_loadcnt_dscnt 0x901
	v_mul_f64_e32 v[165:166], v[153:154], v[8:9]
	v_mul_f64_e32 v[8:9], v[155:156], v[8:9]
	scratch_load_b128 v[38:41], off, off offset:272
	ds_load_b128 v[161:164], v1 offset:992
	s_wait_loadcnt_dscnt 0x901
	v_mul_f64_e32 v[171:172], v[2:3], v[12:13]
	v_mul_f64_e32 v[12:13], v[4:5], v[12:13]
	v_fma_f64 v[155:156], v[155:156], v[6:7], v[165:166]
	v_fma_f64 v[153:154], v[153:154], v[6:7], -v[8:9]
	v_add_f64_e32 v[165:166], 0, v[167:168]
	v_add_f64_e32 v[167:168], 0, v[169:170]
	scratch_load_b128 v[6:9], off, off offset:288
	v_fma_f64 v[171:172], v[4:5], v[10:11], v[171:172]
	v_fma_f64 v[173:174], v[2:3], v[10:11], -v[12:13]
	ds_load_b128 v[2:5], v1 offset:1008
	s_wait_loadcnt_dscnt 0x901
	v_mul_f64_e32 v[169:170], v[161:162], v[16:17]
	v_mul_f64_e32 v[16:17], v[163:164], v[16:17]
	scratch_load_b128 v[10:13], off, off offset:304
	v_add_f64_e32 v[165:166], v[165:166], v[153:154]
	v_add_f64_e32 v[167:168], v[167:168], v[155:156]
	s_wait_loadcnt_dscnt 0x900
	v_mul_f64_e32 v[175:176], v[2:3], v[20:21]
	v_mul_f64_e32 v[20:21], v[4:5], v[20:21]
	ds_load_b128 v[153:156], v1 offset:1024
	v_fma_f64 v[163:164], v[163:164], v[14:15], v[169:170]
	v_fma_f64 v[161:162], v[161:162], v[14:15], -v[16:17]
	scratch_load_b128 v[14:17], off, off offset:320
	v_add_f64_e32 v[165:166], v[165:166], v[173:174]
	v_add_f64_e32 v[167:168], v[167:168], v[171:172]
	v_fma_f64 v[171:172], v[4:5], v[18:19], v[175:176]
	v_fma_f64 v[173:174], v[2:3], v[18:19], -v[20:21]
	ds_load_b128 v[2:5], v1 offset:1040
	s_wait_loadcnt_dscnt 0x901
	v_mul_f64_e32 v[169:170], v[153:154], v[24:25]
	v_mul_f64_e32 v[24:25], v[155:156], v[24:25]
	scratch_load_b128 v[18:21], off, off offset:336
	s_wait_loadcnt_dscnt 0x900
	v_mul_f64_e32 v[175:176], v[2:3], v[28:29]
	v_mul_f64_e32 v[28:29], v[4:5], v[28:29]
	v_add_f64_e32 v[165:166], v[165:166], v[161:162]
	v_add_f64_e32 v[167:168], v[167:168], v[163:164]
	ds_load_b128 v[161:164], v1 offset:1056
	v_fma_f64 v[155:156], v[155:156], v[22:23], v[169:170]
	v_fma_f64 v[153:154], v[153:154], v[22:23], -v[24:25]
	scratch_load_b128 v[22:25], off, off offset:352
	v_add_f64_e32 v[165:166], v[165:166], v[173:174]
	v_add_f64_e32 v[167:168], v[167:168], v[171:172]
	v_fma_f64 v[171:172], v[4:5], v[26:27], v[175:176]
	v_fma_f64 v[173:174], v[2:3], v[26:27], -v[28:29]
	ds_load_b128 v[2:5], v1 offset:1072
	s_wait_loadcnt_dscnt 0x901
	v_mul_f64_e32 v[169:170], v[161:162], v[32:33]
	v_mul_f64_e32 v[32:33], v[163:164], v[32:33]
	scratch_load_b128 v[26:29], off, off offset:368
	s_wait_loadcnt_dscnt 0x900
	v_mul_f64_e32 v[175:176], v[2:3], v[36:37]
	v_mul_f64_e32 v[36:37], v[4:5], v[36:37]
	v_add_f64_e32 v[165:166], v[165:166], v[153:154]
	v_add_f64_e32 v[167:168], v[167:168], v[155:156]
	ds_load_b128 v[153:156], v1 offset:1088
	v_fma_f64 v[163:164], v[163:164], v[30:31], v[169:170]
	v_fma_f64 v[161:162], v[161:162], v[30:31], -v[32:33]
	scratch_load_b128 v[30:33], off, off offset:384
	v_add_f64_e32 v[165:166], v[165:166], v[173:174]
	v_add_f64_e32 v[167:168], v[167:168], v[171:172]
	v_fma_f64 v[173:174], v[4:5], v[34:35], v[175:176]
	v_fma_f64 v[175:176], v[2:3], v[34:35], -v[36:37]
	ds_load_b128 v[2:5], v1 offset:1104
	s_wait_loadcnt_dscnt 0x801
	v_mul_f64_e32 v[169:170], v[153:154], v[159:160]
	v_mul_f64_e32 v[171:172], v[155:156], v[159:160]
	scratch_load_b128 v[34:37], off, off offset:400
	v_add_f64_e32 v[165:166], v[165:166], v[161:162]
	v_add_f64_e32 v[163:164], v[167:168], v[163:164]
	ds_load_b128 v[159:162], v1 offset:1120
	v_fma_f64 v[169:170], v[155:156], v[157:158], v[169:170]
	v_fma_f64 v[157:158], v[153:154], v[157:158], -v[171:172]
	scratch_load_b128 v[153:156], off, off offset:416
	s_wait_loadcnt_dscnt 0x901
	v_mul_f64_e32 v[167:168], v[2:3], v[40:41]
	v_mul_f64_e32 v[40:41], v[4:5], v[40:41]
	v_add_f64_e32 v[165:166], v[165:166], v[175:176]
	v_add_f64_e32 v[163:164], v[163:164], v[173:174]
	s_delay_alu instid0(VALU_DEP_4) | instskip(NEXT) | instid1(VALU_DEP_4)
	v_fma_f64 v[167:168], v[4:5], v[38:39], v[167:168]
	v_fma_f64 v[173:174], v[2:3], v[38:39], -v[40:41]
	ds_load_b128 v[2:5], v1 offset:1136
	s_wait_loadcnt_dscnt 0x801
	v_mul_f64_e32 v[171:172], v[159:160], v[8:9]
	v_mul_f64_e32 v[8:9], v[161:162], v[8:9]
	scratch_load_b128 v[38:41], off, off offset:432
	s_wait_loadcnt_dscnt 0x800
	v_mul_f64_e32 v[175:176], v[2:3], v[12:13]
	v_add_f64_e32 v[157:158], v[165:166], v[157:158]
	v_add_f64_e32 v[169:170], v[163:164], v[169:170]
	v_mul_f64_e32 v[12:13], v[4:5], v[12:13]
	ds_load_b128 v[163:166], v1 offset:1152
	v_fma_f64 v[161:162], v[161:162], v[6:7], v[171:172]
	v_fma_f64 v[159:160], v[159:160], v[6:7], -v[8:9]
	scratch_load_b128 v[6:9], off, off offset:448
	v_fma_f64 v[171:172], v[4:5], v[10:11], v[175:176]
	v_add_f64_e32 v[157:158], v[157:158], v[173:174]
	v_add_f64_e32 v[167:168], v[169:170], v[167:168]
	v_fma_f64 v[173:174], v[2:3], v[10:11], -v[12:13]
	ds_load_b128 v[2:5], v1 offset:1168
	s_wait_loadcnt_dscnt 0x801
	v_mul_f64_e32 v[169:170], v[163:164], v[16:17]
	v_mul_f64_e32 v[16:17], v[165:166], v[16:17]
	scratch_load_b128 v[10:13], off, off offset:464
	v_add_f64_e32 v[175:176], v[157:158], v[159:160]
	v_add_f64_e32 v[161:162], v[167:168], v[161:162]
	s_wait_loadcnt_dscnt 0x800
	v_mul_f64_e32 v[167:168], v[2:3], v[20:21]
	v_mul_f64_e32 v[20:21], v[4:5], v[20:21]
	v_fma_f64 v[165:166], v[165:166], v[14:15], v[169:170]
	v_fma_f64 v[163:164], v[163:164], v[14:15], -v[16:17]
	ds_load_b128 v[157:160], v1 offset:1184
	scratch_load_b128 v[14:17], off, off offset:480
	v_add_f64_e32 v[169:170], v[175:176], v[173:174]
	v_add_f64_e32 v[161:162], v[161:162], v[171:172]
	v_fma_f64 v[167:168], v[4:5], v[18:19], v[167:168]
	v_fma_f64 v[173:174], v[2:3], v[18:19], -v[20:21]
	ds_load_b128 v[2:5], v1 offset:1200
	s_wait_loadcnt_dscnt 0x801
	v_mul_f64_e32 v[171:172], v[157:158], v[24:25]
	v_mul_f64_e32 v[24:25], v[159:160], v[24:25]
	scratch_load_b128 v[18:21], off, off offset:496
	s_wait_loadcnt_dscnt 0x800
	v_mul_f64_e32 v[175:176], v[2:3], v[28:29]
	v_mul_f64_e32 v[28:29], v[4:5], v[28:29]
	v_add_f64_e32 v[169:170], v[169:170], v[163:164]
	v_add_f64_e32 v[165:166], v[161:162], v[165:166]
	ds_load_b128 v[161:164], v1 offset:1216
	v_fma_f64 v[159:160], v[159:160], v[22:23], v[171:172]
	v_fma_f64 v[157:158], v[157:158], v[22:23], -v[24:25]
	scratch_load_b128 v[22:25], off, off offset:512
	v_fma_f64 v[171:172], v[4:5], v[26:27], v[175:176]
	v_add_f64_e32 v[169:170], v[169:170], v[173:174]
	v_add_f64_e32 v[165:166], v[165:166], v[167:168]
	v_fma_f64 v[173:174], v[2:3], v[26:27], -v[28:29]
	ds_load_b128 v[2:5], v1 offset:1232
	s_wait_loadcnt_dscnt 0x801
	v_mul_f64_e32 v[167:168], v[161:162], v[32:33]
	v_mul_f64_e32 v[32:33], v[163:164], v[32:33]
	scratch_load_b128 v[26:29], off, off offset:528
	s_wait_loadcnt_dscnt 0x800
	v_mul_f64_e32 v[175:176], v[2:3], v[36:37]
	v_mul_f64_e32 v[36:37], v[4:5], v[36:37]
	v_add_f64_e32 v[169:170], v[169:170], v[157:158]
	v_add_f64_e32 v[165:166], v[165:166], v[159:160]
	ds_load_b128 v[157:160], v1 offset:1248
	v_fma_f64 v[163:164], v[163:164], v[30:31], v[167:168]
	v_fma_f64 v[161:162], v[161:162], v[30:31], -v[32:33]
	scratch_load_b128 v[30:33], off, off offset:544
	v_add_f64_e32 v[167:168], v[169:170], v[173:174]
	v_add_f64_e32 v[165:166], v[165:166], v[171:172]
	v_fma_f64 v[171:172], v[4:5], v[34:35], v[175:176]
	v_fma_f64 v[173:174], v[2:3], v[34:35], -v[36:37]
	ds_load_b128 v[2:5], v1 offset:1264
	s_wait_loadcnt_dscnt 0x801
	v_mul_f64_e32 v[169:170], v[157:158], v[155:156]
	v_mul_f64_e32 v[155:156], v[159:160], v[155:156]
	scratch_load_b128 v[34:37], off, off offset:560
	s_wait_loadcnt_dscnt 0x800
	v_mul_f64_e32 v[175:176], v[2:3], v[40:41]
	v_mul_f64_e32 v[40:41], v[4:5], v[40:41]
	v_add_f64_e32 v[167:168], v[167:168], v[161:162]
	v_add_f64_e32 v[165:166], v[165:166], v[163:164]
	ds_load_b128 v[161:164], v1 offset:1280
	v_fma_f64 v[159:160], v[159:160], v[153:154], v[169:170]
	v_fma_f64 v[157:158], v[157:158], v[153:154], -v[155:156]
	scratch_load_b128 v[153:156], off, off offset:576
	v_add_f64_e32 v[167:168], v[167:168], v[173:174]
	v_add_f64_e32 v[165:166], v[165:166], v[171:172]
	v_fma_f64 v[171:172], v[4:5], v[38:39], v[175:176]
	;; [unrolled: 18-line block ×6, first 2 shown]
	v_fma_f64 v[175:176], v[2:3], v[34:35], -v[36:37]
	ds_load_b128 v[2:5], v1 offset:1424
	s_wait_loadcnt_dscnt 0x801
	v_mul_f64_e32 v[169:170], v[161:162], v[155:156]
	v_mul_f64_e32 v[171:172], v[163:164], v[155:156]
	scratch_load_b128 v[34:37], off, off offset:720
	v_add_f64_e32 v[167:168], v[167:168], v[157:158]
	v_add_f64_e32 v[159:160], v[165:166], v[159:160]
	s_wait_loadcnt_dscnt 0x800
	v_mul_f64_e32 v[165:166], v[2:3], v[40:41]
	v_mul_f64_e32 v[40:41], v[4:5], v[40:41]
	ds_load_b128 v[155:158], v1 offset:1440
	v_fma_f64 v[163:164], v[163:164], v[153:154], v[169:170]
	v_fma_f64 v[153:154], v[161:162], v[153:154], -v[171:172]
	v_add_f64_e32 v[167:168], v[167:168], v[175:176]
	v_add_f64_e32 v[169:170], v[159:160], v[173:174]
	scratch_load_b128 v[159:162], off, off offset:736
	v_fma_f64 v[173:174], v[4:5], v[38:39], v[165:166]
	v_fma_f64 v[175:176], v[2:3], v[38:39], -v[40:41]
	ds_load_b128 v[2:5], v1 offset:1456
	s_wait_loadcnt_dscnt 0x801
	v_mul_f64_e32 v[171:172], v[155:156], v[8:9]
	v_mul_f64_e32 v[8:9], v[157:158], v[8:9]
	scratch_load_b128 v[38:41], off, off offset:752
	v_add_f64_e32 v[153:154], v[167:168], v[153:154]
	v_add_f64_e32 v[167:168], v[169:170], v[163:164]
	s_wait_loadcnt_dscnt 0x800
	v_mul_f64_e32 v[169:170], v[2:3], v[12:13]
	v_mul_f64_e32 v[12:13], v[4:5], v[12:13]
	ds_load_b128 v[163:166], v1 offset:1472
	v_fma_f64 v[157:158], v[157:158], v[6:7], v[171:172]
	v_fma_f64 v[155:156], v[155:156], v[6:7], -v[8:9]
	scratch_load_b128 v[6:9], off, off offset:768
	v_add_f64_e32 v[153:154], v[153:154], v[175:176]
	v_add_f64_e32 v[167:168], v[167:168], v[173:174]
	v_fma_f64 v[169:170], v[4:5], v[10:11], v[169:170]
	v_fma_f64 v[173:174], v[2:3], v[10:11], -v[12:13]
	ds_load_b128 v[2:5], v1 offset:1488
	s_wait_loadcnt_dscnt 0x801
	v_mul_f64_e32 v[171:172], v[163:164], v[16:17]
	v_mul_f64_e32 v[16:17], v[165:166], v[16:17]
	scratch_load_b128 v[10:13], off, off offset:784
	v_add_f64_e32 v[175:176], v[153:154], v[155:156]
	v_add_f64_e32 v[157:158], v[167:168], v[157:158]
	s_wait_loadcnt_dscnt 0x800
	v_mul_f64_e32 v[167:168], v[2:3], v[20:21]
	v_mul_f64_e32 v[20:21], v[4:5], v[20:21]
	ds_load_b128 v[153:156], v1 offset:1504
	v_fma_f64 v[165:166], v[165:166], v[14:15], v[171:172]
	v_fma_f64 v[163:164], v[163:164], v[14:15], -v[16:17]
	scratch_load_b128 v[14:17], off, off offset:800
	v_add_f64_e32 v[171:172], v[175:176], v[173:174]
	v_add_f64_e32 v[157:158], v[157:158], v[169:170]
	v_fma_f64 v[167:168], v[4:5], v[18:19], v[167:168]
	v_fma_f64 v[173:174], v[2:3], v[18:19], -v[20:21]
	ds_load_b128 v[2:5], v1 offset:1520
	s_wait_loadcnt_dscnt 0x801
	v_mul_f64_e32 v[169:170], v[153:154], v[24:25]
	v_mul_f64_e32 v[24:25], v[155:156], v[24:25]
	scratch_load_b128 v[18:21], off, off offset:816
	s_wait_loadcnt_dscnt 0x800
	v_mul_f64_e32 v[175:176], v[2:3], v[28:29]
	v_mul_f64_e32 v[28:29], v[4:5], v[28:29]
	v_add_f64_e32 v[171:172], v[171:172], v[163:164]
	v_add_f64_e32 v[157:158], v[157:158], v[165:166]
	ds_load_b128 v[163:166], v1 offset:1536
	v_fma_f64 v[155:156], v[155:156], v[22:23], v[169:170]
	v_fma_f64 v[153:154], v[153:154], v[22:23], -v[24:25]
	scratch_load_b128 v[22:25], off, off offset:832
	v_add_f64_e32 v[169:170], v[171:172], v[173:174]
	v_add_f64_e32 v[157:158], v[157:158], v[167:168]
	v_fma_f64 v[171:172], v[4:5], v[26:27], v[175:176]
	v_fma_f64 v[173:174], v[2:3], v[26:27], -v[28:29]
	ds_load_b128 v[2:5], v1 offset:1552
	s_wait_loadcnt_dscnt 0x801
	v_mul_f64_e32 v[167:168], v[163:164], v[32:33]
	v_mul_f64_e32 v[32:33], v[165:166], v[32:33]
	scratch_load_b128 v[26:29], off, off offset:848
	s_wait_loadcnt_dscnt 0x800
	v_mul_f64_e32 v[175:176], v[2:3], v[36:37]
	v_mul_f64_e32 v[36:37], v[4:5], v[36:37]
	v_add_f64_e32 v[169:170], v[169:170], v[153:154]
	v_add_f64_e32 v[157:158], v[157:158], v[155:156]
	ds_load_b128 v[153:156], v1 offset:1568
	v_fma_f64 v[165:166], v[165:166], v[30:31], v[167:168]
	v_fma_f64 v[30:31], v[163:164], v[30:31], -v[32:33]
	v_fma_f64 v[167:168], v[4:5], v[34:35], v[175:176]
	v_fma_f64 v[34:35], v[2:3], v[34:35], -v[36:37]
	v_add_f64_e32 v[32:33], v[169:170], v[173:174]
	v_add_f64_e32 v[157:158], v[157:158], v[171:172]
	s_wait_loadcnt_dscnt 0x700
	v_mul_f64_e32 v[163:164], v[153:154], v[161:162]
	v_mul_f64_e32 v[161:162], v[155:156], v[161:162]
	s_delay_alu instid0(VALU_DEP_4) | instskip(NEXT) | instid1(VALU_DEP_4)
	v_add_f64_e32 v[36:37], v[32:33], v[30:31]
	v_add_f64_e32 v[157:158], v[157:158], v[165:166]
	ds_load_b128 v[2:5], v1 offset:1584
	ds_load_b128 v[30:33], v1 offset:1600
	v_fma_f64 v[155:156], v[155:156], v[159:160], v[163:164]
	v_fma_f64 v[153:154], v[153:154], v[159:160], -v[161:162]
	s_wait_loadcnt_dscnt 0x601
	v_mul_f64_e32 v[165:166], v[2:3], v[40:41]
	v_mul_f64_e32 v[40:41], v[4:5], v[40:41]
	v_add_f64_e32 v[34:35], v[36:37], v[34:35]
	v_add_f64_e32 v[36:37], v[157:158], v[167:168]
	s_wait_loadcnt_dscnt 0x500
	v_mul_f64_e32 v[157:158], v[30:31], v[8:9]
	v_mul_f64_e32 v[8:9], v[32:33], v[8:9]
	v_fma_f64 v[159:160], v[4:5], v[38:39], v[165:166]
	v_fma_f64 v[38:39], v[2:3], v[38:39], -v[40:41]
	v_add_f64_e32 v[40:41], v[34:35], v[153:154]
	v_add_f64_e32 v[153:154], v[36:37], v[155:156]
	ds_load_b128 v[2:5], v1 offset:1616
	ds_load_b128 v[34:37], v1 offset:1632
	v_fma_f64 v[32:33], v[32:33], v[6:7], v[157:158]
	v_fma_f64 v[6:7], v[30:31], v[6:7], -v[8:9]
	s_wait_loadcnt_dscnt 0x401
	v_mul_f64_e32 v[155:156], v[2:3], v[12:13]
	v_mul_f64_e32 v[12:13], v[4:5], v[12:13]
	v_add_f64_e32 v[8:9], v[40:41], v[38:39]
	v_add_f64_e32 v[30:31], v[153:154], v[159:160]
	s_wait_loadcnt_dscnt 0x300
	v_mul_f64_e32 v[38:39], v[34:35], v[16:17]
	v_mul_f64_e32 v[16:17], v[36:37], v[16:17]
	v_fma_f64 v[40:41], v[4:5], v[10:11], v[155:156]
	v_fma_f64 v[10:11], v[2:3], v[10:11], -v[12:13]
	v_add_f64_e32 v[12:13], v[8:9], v[6:7]
	v_add_f64_e32 v[30:31], v[30:31], v[32:33]
	ds_load_b128 v[2:5], v1 offset:1648
	ds_load_b128 v[6:9], v1 offset:1664
	v_fma_f64 v[36:37], v[36:37], v[14:15], v[38:39]
	v_fma_f64 v[14:15], v[34:35], v[14:15], -v[16:17]
	s_wait_loadcnt_dscnt 0x201
	v_mul_f64_e32 v[32:33], v[2:3], v[20:21]
	v_mul_f64_e32 v[20:21], v[4:5], v[20:21]
	s_wait_loadcnt_dscnt 0x100
	v_mul_f64_e32 v[16:17], v[6:7], v[24:25]
	v_mul_f64_e32 v[24:25], v[8:9], v[24:25]
	v_add_f64_e32 v[10:11], v[12:13], v[10:11]
	v_add_f64_e32 v[12:13], v[30:31], v[40:41]
	v_fma_f64 v[30:31], v[4:5], v[18:19], v[32:33]
	v_fma_f64 v[18:19], v[2:3], v[18:19], -v[20:21]
	ds_load_b128 v[2:5], v1 offset:1680
	v_fma_f64 v[8:9], v[8:9], v[22:23], v[16:17]
	v_fma_f64 v[6:7], v[6:7], v[22:23], -v[24:25]
	v_add_f64_e32 v[10:11], v[10:11], v[14:15]
	v_add_f64_e32 v[12:13], v[12:13], v[36:37]
	s_wait_loadcnt_dscnt 0x0
	v_mul_f64_e32 v[14:15], v[2:3], v[28:29]
	v_mul_f64_e32 v[20:21], v[4:5], v[28:29]
	s_delay_alu instid0(VALU_DEP_4) | instskip(NEXT) | instid1(VALU_DEP_4)
	v_add_f64_e32 v[10:11], v[10:11], v[18:19]
	v_add_f64_e32 v[12:13], v[12:13], v[30:31]
	s_delay_alu instid0(VALU_DEP_4) | instskip(NEXT) | instid1(VALU_DEP_4)
	v_fma_f64 v[4:5], v[4:5], v[26:27], v[14:15]
	v_fma_f64 v[2:3], v[2:3], v[26:27], -v[20:21]
	s_delay_alu instid0(VALU_DEP_4) | instskip(NEXT) | instid1(VALU_DEP_4)
	v_add_f64_e32 v[6:7], v[10:11], v[6:7]
	v_add_f64_e32 v[8:9], v[12:13], v[8:9]
	s_delay_alu instid0(VALU_DEP_2) | instskip(NEXT) | instid1(VALU_DEP_2)
	v_add_f64_e32 v[2:3], v[6:7], v[2:3]
	v_add_f64_e32 v[4:5], v[8:9], v[4:5]
	s_delay_alu instid0(VALU_DEP_2) | instskip(NEXT) | instid1(VALU_DEP_2)
	v_add_f64_e64 v[2:3], v[42:43], -v[2:3]
	v_add_f64_e64 v[4:5], v[44:45], -v[4:5]
	scratch_store_b128 off, v[2:5], off offset:96
	v_cmpx_lt_u32_e32 4, v0
	s_cbranch_execz .LBB52_323
; %bb.322:
	scratch_load_b128 v[5:8], off, s22
	v_dual_mov_b32 v2, v1 :: v_dual_mov_b32 v3, v1
	v_mov_b32_e32 v4, v1
	scratch_store_b128 off, v[1:4], off offset:80
	s_wait_loadcnt 0x0
	ds_store_b128 v152, v[5:8]
.LBB52_323:
	s_wait_alu 0xfffe
	s_or_b32 exec_lo, exec_lo, s0
	s_wait_storecnt_dscnt 0x0
	s_barrier_signal -1
	s_barrier_wait -1
	global_inv scope:SCOPE_SE
	s_clause 0x8
	scratch_load_b128 v[2:5], off, off offset:96
	scratch_load_b128 v[6:9], off, off offset:112
	;; [unrolled: 1-line block ×9, first 2 shown]
	ds_load_b128 v[42:45], v1 offset:928
	ds_load_b128 v[38:41], v1 offset:944
	s_clause 0x1
	scratch_load_b128 v[153:156], off, off offset:80
	scratch_load_b128 v[157:160], off, off offset:240
	s_mov_b32 s0, exec_lo
	s_wait_loadcnt_dscnt 0xa01
	v_mul_f64_e32 v[161:162], v[44:45], v[4:5]
	v_mul_f64_e32 v[4:5], v[42:43], v[4:5]
	s_wait_loadcnt_dscnt 0x900
	v_mul_f64_e32 v[165:166], v[38:39], v[8:9]
	v_mul_f64_e32 v[8:9], v[40:41], v[8:9]
	s_delay_alu instid0(VALU_DEP_4) | instskip(NEXT) | instid1(VALU_DEP_4)
	v_fma_f64 v[167:168], v[42:43], v[2:3], -v[161:162]
	v_fma_f64 v[169:170], v[44:45], v[2:3], v[4:5]
	ds_load_b128 v[2:5], v1 offset:960
	ds_load_b128 v[161:164], v1 offset:976
	scratch_load_b128 v[42:45], off, off offset:256
	v_fma_f64 v[40:41], v[40:41], v[6:7], v[165:166]
	v_fma_f64 v[38:39], v[38:39], v[6:7], -v[8:9]
	scratch_load_b128 v[6:9], off, off offset:272
	s_wait_loadcnt_dscnt 0xa01
	v_mul_f64_e32 v[171:172], v[2:3], v[12:13]
	v_mul_f64_e32 v[12:13], v[4:5], v[12:13]
	v_add_f64_e32 v[165:166], 0, v[167:168]
	v_add_f64_e32 v[167:168], 0, v[169:170]
	s_wait_loadcnt_dscnt 0x900
	v_mul_f64_e32 v[169:170], v[161:162], v[16:17]
	v_mul_f64_e32 v[16:17], v[163:164], v[16:17]
	v_fma_f64 v[171:172], v[4:5], v[10:11], v[171:172]
	v_fma_f64 v[173:174], v[2:3], v[10:11], -v[12:13]
	ds_load_b128 v[2:5], v1 offset:992
	scratch_load_b128 v[10:13], off, off offset:288
	v_add_f64_e32 v[165:166], v[165:166], v[38:39]
	v_add_f64_e32 v[167:168], v[167:168], v[40:41]
	ds_load_b128 v[38:41], v1 offset:1008
	v_fma_f64 v[163:164], v[163:164], v[14:15], v[169:170]
	v_fma_f64 v[161:162], v[161:162], v[14:15], -v[16:17]
	scratch_load_b128 v[14:17], off, off offset:304
	s_wait_loadcnt_dscnt 0xa01
	v_mul_f64_e32 v[175:176], v[2:3], v[20:21]
	v_mul_f64_e32 v[20:21], v[4:5], v[20:21]
	s_wait_loadcnt_dscnt 0x900
	v_mul_f64_e32 v[169:170], v[38:39], v[24:25]
	v_mul_f64_e32 v[24:25], v[40:41], v[24:25]
	v_add_f64_e32 v[165:166], v[165:166], v[173:174]
	v_add_f64_e32 v[167:168], v[167:168], v[171:172]
	v_fma_f64 v[171:172], v[4:5], v[18:19], v[175:176]
	v_fma_f64 v[173:174], v[2:3], v[18:19], -v[20:21]
	ds_load_b128 v[2:5], v1 offset:1024
	scratch_load_b128 v[18:21], off, off offset:320
	v_fma_f64 v[40:41], v[40:41], v[22:23], v[169:170]
	v_fma_f64 v[38:39], v[38:39], v[22:23], -v[24:25]
	scratch_load_b128 v[22:25], off, off offset:336
	v_add_f64_e32 v[165:166], v[165:166], v[161:162]
	v_add_f64_e32 v[167:168], v[167:168], v[163:164]
	ds_load_b128 v[161:164], v1 offset:1040
	s_wait_loadcnt_dscnt 0xa01
	v_mul_f64_e32 v[175:176], v[2:3], v[28:29]
	v_mul_f64_e32 v[28:29], v[4:5], v[28:29]
	s_wait_loadcnt_dscnt 0x900
	v_mul_f64_e32 v[169:170], v[161:162], v[32:33]
	v_mul_f64_e32 v[32:33], v[163:164], v[32:33]
	v_add_f64_e32 v[165:166], v[165:166], v[173:174]
	v_add_f64_e32 v[167:168], v[167:168], v[171:172]
	v_fma_f64 v[171:172], v[4:5], v[26:27], v[175:176]
	v_fma_f64 v[173:174], v[2:3], v[26:27], -v[28:29]
	ds_load_b128 v[2:5], v1 offset:1056
	scratch_load_b128 v[26:29], off, off offset:352
	v_fma_f64 v[163:164], v[163:164], v[30:31], v[169:170]
	v_fma_f64 v[161:162], v[161:162], v[30:31], -v[32:33]
	scratch_load_b128 v[30:33], off, off offset:368
	v_add_f64_e32 v[165:166], v[165:166], v[38:39]
	v_add_f64_e32 v[167:168], v[167:168], v[40:41]
	ds_load_b128 v[38:41], v1 offset:1072
	s_wait_loadcnt_dscnt 0xa01
	v_mul_f64_e32 v[175:176], v[2:3], v[36:37]
	v_mul_f64_e32 v[36:37], v[4:5], v[36:37]
	s_wait_loadcnt_dscnt 0x800
	v_mul_f64_e32 v[169:170], v[38:39], v[159:160]
	v_add_f64_e32 v[165:166], v[165:166], v[173:174]
	v_add_f64_e32 v[167:168], v[167:168], v[171:172]
	v_mul_f64_e32 v[171:172], v[40:41], v[159:160]
	v_fma_f64 v[173:174], v[4:5], v[34:35], v[175:176]
	v_fma_f64 v[175:176], v[2:3], v[34:35], -v[36:37]
	ds_load_b128 v[2:5], v1 offset:1088
	scratch_load_b128 v[34:37], off, off offset:384
	v_fma_f64 v[169:170], v[40:41], v[157:158], v[169:170]
	v_add_f64_e32 v[165:166], v[165:166], v[161:162]
	v_add_f64_e32 v[163:164], v[167:168], v[163:164]
	ds_load_b128 v[159:162], v1 offset:1104
	v_fma_f64 v[157:158], v[38:39], v[157:158], -v[171:172]
	scratch_load_b128 v[38:41], off, off offset:400
	s_wait_loadcnt_dscnt 0x901
	v_mul_f64_e32 v[167:168], v[2:3], v[44:45]
	v_mul_f64_e32 v[44:45], v[4:5], v[44:45]
	s_wait_loadcnt_dscnt 0x800
	v_mul_f64_e32 v[171:172], v[159:160], v[8:9]
	v_mul_f64_e32 v[8:9], v[161:162], v[8:9]
	v_add_f64_e32 v[165:166], v[165:166], v[175:176]
	v_add_f64_e32 v[163:164], v[163:164], v[173:174]
	v_fma_f64 v[167:168], v[4:5], v[42:43], v[167:168]
	v_fma_f64 v[173:174], v[2:3], v[42:43], -v[44:45]
	ds_load_b128 v[2:5], v1 offset:1120
	scratch_load_b128 v[42:45], off, off offset:416
	v_fma_f64 v[161:162], v[161:162], v[6:7], v[171:172]
	v_fma_f64 v[159:160], v[159:160], v[6:7], -v[8:9]
	scratch_load_b128 v[6:9], off, off offset:432
	v_add_f64_e32 v[157:158], v[165:166], v[157:158]
	v_add_f64_e32 v[169:170], v[163:164], v[169:170]
	ds_load_b128 v[163:166], v1 offset:1136
	s_wait_loadcnt_dscnt 0x901
	v_mul_f64_e32 v[175:176], v[2:3], v[12:13]
	v_mul_f64_e32 v[12:13], v[4:5], v[12:13]
	v_add_f64_e32 v[157:158], v[157:158], v[173:174]
	v_add_f64_e32 v[167:168], v[169:170], v[167:168]
	s_wait_loadcnt_dscnt 0x800
	v_mul_f64_e32 v[169:170], v[163:164], v[16:17]
	v_mul_f64_e32 v[16:17], v[165:166], v[16:17]
	v_fma_f64 v[171:172], v[4:5], v[10:11], v[175:176]
	v_fma_f64 v[173:174], v[2:3], v[10:11], -v[12:13]
	ds_load_b128 v[2:5], v1 offset:1152
	scratch_load_b128 v[10:13], off, off offset:448
	v_add_f64_e32 v[175:176], v[157:158], v[159:160]
	v_add_f64_e32 v[161:162], v[167:168], v[161:162]
	ds_load_b128 v[157:160], v1 offset:1168
	s_wait_loadcnt_dscnt 0x801
	v_mul_f64_e32 v[167:168], v[2:3], v[20:21]
	v_mul_f64_e32 v[20:21], v[4:5], v[20:21]
	v_fma_f64 v[165:166], v[165:166], v[14:15], v[169:170]
	v_fma_f64 v[163:164], v[163:164], v[14:15], -v[16:17]
	scratch_load_b128 v[14:17], off, off offset:464
	v_add_f64_e32 v[169:170], v[175:176], v[173:174]
	v_add_f64_e32 v[161:162], v[161:162], v[171:172]
	s_wait_loadcnt_dscnt 0x800
	v_mul_f64_e32 v[171:172], v[157:158], v[24:25]
	v_mul_f64_e32 v[24:25], v[159:160], v[24:25]
	v_fma_f64 v[167:168], v[4:5], v[18:19], v[167:168]
	v_fma_f64 v[173:174], v[2:3], v[18:19], -v[20:21]
	ds_load_b128 v[2:5], v1 offset:1184
	scratch_load_b128 v[18:21], off, off offset:480
	v_add_f64_e32 v[169:170], v[169:170], v[163:164]
	v_add_f64_e32 v[165:166], v[161:162], v[165:166]
	ds_load_b128 v[161:164], v1 offset:1200
	s_wait_loadcnt_dscnt 0x801
	v_mul_f64_e32 v[175:176], v[2:3], v[28:29]
	v_mul_f64_e32 v[28:29], v[4:5], v[28:29]
	v_fma_f64 v[159:160], v[159:160], v[22:23], v[171:172]
	v_fma_f64 v[157:158], v[157:158], v[22:23], -v[24:25]
	scratch_load_b128 v[22:25], off, off offset:496
	;; [unrolled: 18-line block ×4, first 2 shown]
	s_wait_loadcnt_dscnt 0x800
	v_mul_f64_e32 v[169:170], v[161:162], v[8:9]
	v_mul_f64_e32 v[8:9], v[163:164], v[8:9]
	v_add_f64_e32 v[167:168], v[167:168], v[173:174]
	v_add_f64_e32 v[165:166], v[165:166], v[171:172]
	v_fma_f64 v[171:172], v[4:5], v[42:43], v[175:176]
	v_fma_f64 v[173:174], v[2:3], v[42:43], -v[44:45]
	ds_load_b128 v[2:5], v1 offset:1280
	scratch_load_b128 v[42:45], off, off offset:576
	v_fma_f64 v[163:164], v[163:164], v[6:7], v[169:170]
	v_fma_f64 v[161:162], v[161:162], v[6:7], -v[8:9]
	scratch_load_b128 v[6:9], off, off offset:592
	v_add_f64_e32 v[167:168], v[167:168], v[157:158]
	v_add_f64_e32 v[165:166], v[165:166], v[159:160]
	ds_load_b128 v[157:160], v1 offset:1296
	s_wait_loadcnt_dscnt 0x901
	v_mul_f64_e32 v[175:176], v[2:3], v[12:13]
	v_mul_f64_e32 v[12:13], v[4:5], v[12:13]
	s_wait_loadcnt_dscnt 0x800
	v_mul_f64_e32 v[169:170], v[157:158], v[16:17]
	v_mul_f64_e32 v[16:17], v[159:160], v[16:17]
	v_add_f64_e32 v[167:168], v[167:168], v[173:174]
	v_add_f64_e32 v[165:166], v[165:166], v[171:172]
	v_fma_f64 v[171:172], v[4:5], v[10:11], v[175:176]
	v_fma_f64 v[173:174], v[2:3], v[10:11], -v[12:13]
	ds_load_b128 v[2:5], v1 offset:1312
	scratch_load_b128 v[10:13], off, off offset:608
	v_fma_f64 v[159:160], v[159:160], v[14:15], v[169:170]
	v_fma_f64 v[157:158], v[157:158], v[14:15], -v[16:17]
	scratch_load_b128 v[14:17], off, off offset:624
	v_add_f64_e32 v[167:168], v[167:168], v[161:162]
	v_add_f64_e32 v[165:166], v[165:166], v[163:164]
	ds_load_b128 v[161:164], v1 offset:1328
	s_wait_loadcnt_dscnt 0x901
	v_mul_f64_e32 v[175:176], v[2:3], v[20:21]
	v_mul_f64_e32 v[20:21], v[4:5], v[20:21]
	;; [unrolled: 18-line block ×9, first 2 shown]
	s_wait_loadcnt_dscnt 0x800
	v_mul_f64_e32 v[169:170], v[157:158], v[40:41]
	v_mul_f64_e32 v[40:41], v[159:160], v[40:41]
	v_add_f64_e32 v[167:168], v[167:168], v[173:174]
	v_add_f64_e32 v[165:166], v[165:166], v[171:172]
	v_fma_f64 v[171:172], v[4:5], v[34:35], v[175:176]
	v_fma_f64 v[173:174], v[2:3], v[34:35], -v[36:37]
	ds_load_b128 v[2:5], v1 offset:1568
	ds_load_b128 v[34:37], v1 offset:1584
	v_fma_f64 v[159:160], v[159:160], v[38:39], v[169:170]
	v_fma_f64 v[38:39], v[157:158], v[38:39], -v[40:41]
	v_add_f64_e32 v[161:162], v[167:168], v[161:162]
	v_add_f64_e32 v[163:164], v[165:166], v[163:164]
	s_wait_loadcnt_dscnt 0x701
	v_mul_f64_e32 v[165:166], v[2:3], v[44:45]
	v_mul_f64_e32 v[44:45], v[4:5], v[44:45]
	s_delay_alu instid0(VALU_DEP_4) | instskip(NEXT) | instid1(VALU_DEP_4)
	v_add_f64_e32 v[40:41], v[161:162], v[173:174]
	v_add_f64_e32 v[157:158], v[163:164], v[171:172]
	s_wait_loadcnt_dscnt 0x600
	v_mul_f64_e32 v[161:162], v[34:35], v[8:9]
	v_mul_f64_e32 v[8:9], v[36:37], v[8:9]
	v_fma_f64 v[163:164], v[4:5], v[42:43], v[165:166]
	v_fma_f64 v[42:43], v[2:3], v[42:43], -v[44:45]
	v_add_f64_e32 v[44:45], v[40:41], v[38:39]
	v_add_f64_e32 v[157:158], v[157:158], v[159:160]
	ds_load_b128 v[2:5], v1 offset:1600
	ds_load_b128 v[38:41], v1 offset:1616
	v_fma_f64 v[36:37], v[36:37], v[6:7], v[161:162]
	v_fma_f64 v[6:7], v[34:35], v[6:7], -v[8:9]
	s_wait_loadcnt_dscnt 0x501
	v_mul_f64_e32 v[159:160], v[2:3], v[12:13]
	v_mul_f64_e32 v[12:13], v[4:5], v[12:13]
	v_add_f64_e32 v[8:9], v[44:45], v[42:43]
	v_add_f64_e32 v[34:35], v[157:158], v[163:164]
	s_wait_loadcnt_dscnt 0x400
	v_mul_f64_e32 v[42:43], v[38:39], v[16:17]
	v_mul_f64_e32 v[16:17], v[40:41], v[16:17]
	v_fma_f64 v[44:45], v[4:5], v[10:11], v[159:160]
	v_fma_f64 v[10:11], v[2:3], v[10:11], -v[12:13]
	v_add_f64_e32 v[12:13], v[8:9], v[6:7]
	v_add_f64_e32 v[34:35], v[34:35], v[36:37]
	ds_load_b128 v[2:5], v1 offset:1632
	ds_load_b128 v[6:9], v1 offset:1648
	v_fma_f64 v[40:41], v[40:41], v[14:15], v[42:43]
	v_fma_f64 v[14:15], v[38:39], v[14:15], -v[16:17]
	s_wait_loadcnt_dscnt 0x301
	v_mul_f64_e32 v[36:37], v[2:3], v[20:21]
	v_mul_f64_e32 v[20:21], v[4:5], v[20:21]
	s_wait_loadcnt_dscnt 0x200
	v_mul_f64_e32 v[16:17], v[6:7], v[24:25]
	v_mul_f64_e32 v[24:25], v[8:9], v[24:25]
	v_add_f64_e32 v[10:11], v[12:13], v[10:11]
	v_add_f64_e32 v[12:13], v[34:35], v[44:45]
	v_fma_f64 v[34:35], v[4:5], v[18:19], v[36:37]
	v_fma_f64 v[18:19], v[2:3], v[18:19], -v[20:21]
	v_fma_f64 v[8:9], v[8:9], v[22:23], v[16:17]
	v_fma_f64 v[6:7], v[6:7], v[22:23], -v[24:25]
	v_add_f64_e32 v[14:15], v[10:11], v[14:15]
	v_add_f64_e32 v[20:21], v[12:13], v[40:41]
	ds_load_b128 v[2:5], v1 offset:1664
	ds_load_b128 v[10:13], v1 offset:1680
	s_wait_loadcnt_dscnt 0x101
	v_mul_f64_e32 v[36:37], v[2:3], v[28:29]
	v_mul_f64_e32 v[28:29], v[4:5], v[28:29]
	v_add_f64_e32 v[14:15], v[14:15], v[18:19]
	v_add_f64_e32 v[16:17], v[20:21], v[34:35]
	s_wait_loadcnt_dscnt 0x0
	v_mul_f64_e32 v[18:19], v[10:11], v[32:33]
	v_mul_f64_e32 v[20:21], v[12:13], v[32:33]
	v_fma_f64 v[4:5], v[4:5], v[26:27], v[36:37]
	v_fma_f64 v[1:2], v[2:3], v[26:27], -v[28:29]
	v_add_f64_e32 v[6:7], v[14:15], v[6:7]
	v_add_f64_e32 v[8:9], v[16:17], v[8:9]
	v_fma_f64 v[12:13], v[12:13], v[30:31], v[18:19]
	v_fma_f64 v[10:11], v[10:11], v[30:31], -v[20:21]
	s_delay_alu instid0(VALU_DEP_4) | instskip(NEXT) | instid1(VALU_DEP_4)
	v_add_f64_e32 v[1:2], v[6:7], v[1:2]
	v_add_f64_e32 v[3:4], v[8:9], v[4:5]
	s_delay_alu instid0(VALU_DEP_2) | instskip(NEXT) | instid1(VALU_DEP_2)
	v_add_f64_e32 v[1:2], v[1:2], v[10:11]
	v_add_f64_e32 v[3:4], v[3:4], v[12:13]
	s_delay_alu instid0(VALU_DEP_2) | instskip(NEXT) | instid1(VALU_DEP_2)
	v_add_f64_e64 v[1:2], v[153:154], -v[1:2]
	v_add_f64_e64 v[3:4], v[155:156], -v[3:4]
	scratch_store_b128 off, v[1:4], off offset:80
	v_cmpx_lt_u32_e32 3, v0
	s_cbranch_execz .LBB52_325
; %bb.324:
	scratch_load_b128 v[1:4], off, s24
	v_mov_b32_e32 v5, 0
	s_delay_alu instid0(VALU_DEP_1)
	v_dual_mov_b32 v6, v5 :: v_dual_mov_b32 v7, v5
	v_mov_b32_e32 v8, v5
	scratch_store_b128 off, v[5:8], off offset:64
	s_wait_loadcnt 0x0
	ds_store_b128 v152, v[1:4]
.LBB52_325:
	s_wait_alu 0xfffe
	s_or_b32 exec_lo, exec_lo, s0
	s_wait_storecnt_dscnt 0x0
	s_barrier_signal -1
	s_barrier_wait -1
	global_inv scope:SCOPE_SE
	s_clause 0x7
	scratch_load_b128 v[2:5], off, off offset:80
	scratch_load_b128 v[6:9], off, off offset:96
	;; [unrolled: 1-line block ×8, first 2 shown]
	v_mov_b32_e32 v1, 0
	s_mov_b32 s0, exec_lo
	ds_load_b128 v[38:41], v1 offset:912
	s_clause 0x1
	scratch_load_b128 v[34:37], off, off offset:208
	scratch_load_b128 v[42:45], off, off offset:64
	ds_load_b128 v[153:156], v1 offset:928
	scratch_load_b128 v[157:160], off, off offset:224
	s_wait_loadcnt_dscnt 0xa01
	v_mul_f64_e32 v[161:162], v[40:41], v[4:5]
	v_mul_f64_e32 v[4:5], v[38:39], v[4:5]
	s_delay_alu instid0(VALU_DEP_2) | instskip(NEXT) | instid1(VALU_DEP_2)
	v_fma_f64 v[167:168], v[38:39], v[2:3], -v[161:162]
	v_fma_f64 v[169:170], v[40:41], v[2:3], v[4:5]
	ds_load_b128 v[2:5], v1 offset:944
	s_wait_loadcnt_dscnt 0x901
	v_mul_f64_e32 v[165:166], v[153:154], v[8:9]
	v_mul_f64_e32 v[8:9], v[155:156], v[8:9]
	scratch_load_b128 v[38:41], off, off offset:240
	ds_load_b128 v[161:164], v1 offset:960
	s_wait_loadcnt_dscnt 0x901
	v_mul_f64_e32 v[171:172], v[2:3], v[12:13]
	v_mul_f64_e32 v[12:13], v[4:5], v[12:13]
	v_fma_f64 v[155:156], v[155:156], v[6:7], v[165:166]
	v_fma_f64 v[153:154], v[153:154], v[6:7], -v[8:9]
	v_add_f64_e32 v[165:166], 0, v[167:168]
	v_add_f64_e32 v[167:168], 0, v[169:170]
	scratch_load_b128 v[6:9], off, off offset:256
	v_fma_f64 v[171:172], v[4:5], v[10:11], v[171:172]
	v_fma_f64 v[173:174], v[2:3], v[10:11], -v[12:13]
	ds_load_b128 v[2:5], v1 offset:976
	s_wait_loadcnt_dscnt 0x901
	v_mul_f64_e32 v[169:170], v[161:162], v[16:17]
	v_mul_f64_e32 v[16:17], v[163:164], v[16:17]
	scratch_load_b128 v[10:13], off, off offset:272
	v_add_f64_e32 v[165:166], v[165:166], v[153:154]
	v_add_f64_e32 v[167:168], v[167:168], v[155:156]
	s_wait_loadcnt_dscnt 0x900
	v_mul_f64_e32 v[175:176], v[2:3], v[20:21]
	v_mul_f64_e32 v[20:21], v[4:5], v[20:21]
	ds_load_b128 v[153:156], v1 offset:992
	v_fma_f64 v[163:164], v[163:164], v[14:15], v[169:170]
	v_fma_f64 v[161:162], v[161:162], v[14:15], -v[16:17]
	scratch_load_b128 v[14:17], off, off offset:288
	v_add_f64_e32 v[165:166], v[165:166], v[173:174]
	v_add_f64_e32 v[167:168], v[167:168], v[171:172]
	v_fma_f64 v[171:172], v[4:5], v[18:19], v[175:176]
	v_fma_f64 v[173:174], v[2:3], v[18:19], -v[20:21]
	ds_load_b128 v[2:5], v1 offset:1008
	s_wait_loadcnt_dscnt 0x901
	v_mul_f64_e32 v[169:170], v[153:154], v[24:25]
	v_mul_f64_e32 v[24:25], v[155:156], v[24:25]
	scratch_load_b128 v[18:21], off, off offset:304
	s_wait_loadcnt_dscnt 0x900
	v_mul_f64_e32 v[175:176], v[2:3], v[28:29]
	v_mul_f64_e32 v[28:29], v[4:5], v[28:29]
	v_add_f64_e32 v[165:166], v[165:166], v[161:162]
	v_add_f64_e32 v[167:168], v[167:168], v[163:164]
	ds_load_b128 v[161:164], v1 offset:1024
	v_fma_f64 v[155:156], v[155:156], v[22:23], v[169:170]
	v_fma_f64 v[153:154], v[153:154], v[22:23], -v[24:25]
	scratch_load_b128 v[22:25], off, off offset:320
	v_add_f64_e32 v[165:166], v[165:166], v[173:174]
	v_add_f64_e32 v[167:168], v[167:168], v[171:172]
	v_fma_f64 v[171:172], v[4:5], v[26:27], v[175:176]
	v_fma_f64 v[173:174], v[2:3], v[26:27], -v[28:29]
	ds_load_b128 v[2:5], v1 offset:1040
	s_wait_loadcnt_dscnt 0x901
	v_mul_f64_e32 v[169:170], v[161:162], v[32:33]
	v_mul_f64_e32 v[32:33], v[163:164], v[32:33]
	scratch_load_b128 v[26:29], off, off offset:336
	s_wait_loadcnt_dscnt 0x900
	v_mul_f64_e32 v[175:176], v[2:3], v[36:37]
	v_mul_f64_e32 v[36:37], v[4:5], v[36:37]
	v_add_f64_e32 v[165:166], v[165:166], v[153:154]
	v_add_f64_e32 v[167:168], v[167:168], v[155:156]
	ds_load_b128 v[153:156], v1 offset:1056
	v_fma_f64 v[163:164], v[163:164], v[30:31], v[169:170]
	v_fma_f64 v[161:162], v[161:162], v[30:31], -v[32:33]
	scratch_load_b128 v[30:33], off, off offset:352
	v_add_f64_e32 v[165:166], v[165:166], v[173:174]
	v_add_f64_e32 v[167:168], v[167:168], v[171:172]
	v_fma_f64 v[173:174], v[4:5], v[34:35], v[175:176]
	v_fma_f64 v[175:176], v[2:3], v[34:35], -v[36:37]
	ds_load_b128 v[2:5], v1 offset:1072
	s_wait_loadcnt_dscnt 0x801
	v_mul_f64_e32 v[169:170], v[153:154], v[159:160]
	v_mul_f64_e32 v[171:172], v[155:156], v[159:160]
	scratch_load_b128 v[34:37], off, off offset:368
	v_add_f64_e32 v[165:166], v[165:166], v[161:162]
	v_add_f64_e32 v[163:164], v[167:168], v[163:164]
	ds_load_b128 v[159:162], v1 offset:1088
	v_fma_f64 v[169:170], v[155:156], v[157:158], v[169:170]
	v_fma_f64 v[157:158], v[153:154], v[157:158], -v[171:172]
	scratch_load_b128 v[153:156], off, off offset:384
	s_wait_loadcnt_dscnt 0x901
	v_mul_f64_e32 v[167:168], v[2:3], v[40:41]
	v_mul_f64_e32 v[40:41], v[4:5], v[40:41]
	v_add_f64_e32 v[165:166], v[165:166], v[175:176]
	v_add_f64_e32 v[163:164], v[163:164], v[173:174]
	s_delay_alu instid0(VALU_DEP_4) | instskip(NEXT) | instid1(VALU_DEP_4)
	v_fma_f64 v[167:168], v[4:5], v[38:39], v[167:168]
	v_fma_f64 v[173:174], v[2:3], v[38:39], -v[40:41]
	ds_load_b128 v[2:5], v1 offset:1104
	s_wait_loadcnt_dscnt 0x801
	v_mul_f64_e32 v[171:172], v[159:160], v[8:9]
	v_mul_f64_e32 v[8:9], v[161:162], v[8:9]
	scratch_load_b128 v[38:41], off, off offset:400
	s_wait_loadcnt_dscnt 0x800
	v_mul_f64_e32 v[175:176], v[2:3], v[12:13]
	v_add_f64_e32 v[157:158], v[165:166], v[157:158]
	v_add_f64_e32 v[169:170], v[163:164], v[169:170]
	v_mul_f64_e32 v[12:13], v[4:5], v[12:13]
	ds_load_b128 v[163:166], v1 offset:1120
	v_fma_f64 v[161:162], v[161:162], v[6:7], v[171:172]
	v_fma_f64 v[159:160], v[159:160], v[6:7], -v[8:9]
	scratch_load_b128 v[6:9], off, off offset:416
	v_fma_f64 v[171:172], v[4:5], v[10:11], v[175:176]
	v_add_f64_e32 v[157:158], v[157:158], v[173:174]
	v_add_f64_e32 v[167:168], v[169:170], v[167:168]
	v_fma_f64 v[173:174], v[2:3], v[10:11], -v[12:13]
	ds_load_b128 v[2:5], v1 offset:1136
	s_wait_loadcnt_dscnt 0x801
	v_mul_f64_e32 v[169:170], v[163:164], v[16:17]
	v_mul_f64_e32 v[16:17], v[165:166], v[16:17]
	scratch_load_b128 v[10:13], off, off offset:432
	v_add_f64_e32 v[175:176], v[157:158], v[159:160]
	v_add_f64_e32 v[161:162], v[167:168], v[161:162]
	s_wait_loadcnt_dscnt 0x800
	v_mul_f64_e32 v[167:168], v[2:3], v[20:21]
	v_mul_f64_e32 v[20:21], v[4:5], v[20:21]
	v_fma_f64 v[165:166], v[165:166], v[14:15], v[169:170]
	v_fma_f64 v[163:164], v[163:164], v[14:15], -v[16:17]
	ds_load_b128 v[157:160], v1 offset:1152
	scratch_load_b128 v[14:17], off, off offset:448
	v_add_f64_e32 v[169:170], v[175:176], v[173:174]
	v_add_f64_e32 v[161:162], v[161:162], v[171:172]
	v_fma_f64 v[167:168], v[4:5], v[18:19], v[167:168]
	v_fma_f64 v[173:174], v[2:3], v[18:19], -v[20:21]
	ds_load_b128 v[2:5], v1 offset:1168
	s_wait_loadcnt_dscnt 0x801
	v_mul_f64_e32 v[171:172], v[157:158], v[24:25]
	v_mul_f64_e32 v[24:25], v[159:160], v[24:25]
	scratch_load_b128 v[18:21], off, off offset:464
	s_wait_loadcnt_dscnt 0x800
	v_mul_f64_e32 v[175:176], v[2:3], v[28:29]
	v_mul_f64_e32 v[28:29], v[4:5], v[28:29]
	v_add_f64_e32 v[169:170], v[169:170], v[163:164]
	v_add_f64_e32 v[165:166], v[161:162], v[165:166]
	ds_load_b128 v[161:164], v1 offset:1184
	v_fma_f64 v[159:160], v[159:160], v[22:23], v[171:172]
	v_fma_f64 v[157:158], v[157:158], v[22:23], -v[24:25]
	scratch_load_b128 v[22:25], off, off offset:480
	v_fma_f64 v[171:172], v[4:5], v[26:27], v[175:176]
	v_add_f64_e32 v[169:170], v[169:170], v[173:174]
	v_add_f64_e32 v[165:166], v[165:166], v[167:168]
	v_fma_f64 v[173:174], v[2:3], v[26:27], -v[28:29]
	ds_load_b128 v[2:5], v1 offset:1200
	s_wait_loadcnt_dscnt 0x801
	v_mul_f64_e32 v[167:168], v[161:162], v[32:33]
	v_mul_f64_e32 v[32:33], v[163:164], v[32:33]
	scratch_load_b128 v[26:29], off, off offset:496
	s_wait_loadcnt_dscnt 0x800
	v_mul_f64_e32 v[175:176], v[2:3], v[36:37]
	v_mul_f64_e32 v[36:37], v[4:5], v[36:37]
	v_add_f64_e32 v[169:170], v[169:170], v[157:158]
	v_add_f64_e32 v[165:166], v[165:166], v[159:160]
	ds_load_b128 v[157:160], v1 offset:1216
	v_fma_f64 v[163:164], v[163:164], v[30:31], v[167:168]
	v_fma_f64 v[161:162], v[161:162], v[30:31], -v[32:33]
	scratch_load_b128 v[30:33], off, off offset:512
	v_add_f64_e32 v[167:168], v[169:170], v[173:174]
	v_add_f64_e32 v[165:166], v[165:166], v[171:172]
	v_fma_f64 v[171:172], v[4:5], v[34:35], v[175:176]
	v_fma_f64 v[173:174], v[2:3], v[34:35], -v[36:37]
	ds_load_b128 v[2:5], v1 offset:1232
	s_wait_loadcnt_dscnt 0x801
	v_mul_f64_e32 v[169:170], v[157:158], v[155:156]
	v_mul_f64_e32 v[155:156], v[159:160], v[155:156]
	scratch_load_b128 v[34:37], off, off offset:528
	s_wait_loadcnt_dscnt 0x800
	v_mul_f64_e32 v[175:176], v[2:3], v[40:41]
	v_mul_f64_e32 v[40:41], v[4:5], v[40:41]
	v_add_f64_e32 v[167:168], v[167:168], v[161:162]
	v_add_f64_e32 v[165:166], v[165:166], v[163:164]
	ds_load_b128 v[161:164], v1 offset:1248
	v_fma_f64 v[159:160], v[159:160], v[153:154], v[169:170]
	v_fma_f64 v[157:158], v[157:158], v[153:154], -v[155:156]
	scratch_load_b128 v[153:156], off, off offset:544
	v_add_f64_e32 v[167:168], v[167:168], v[173:174]
	v_add_f64_e32 v[165:166], v[165:166], v[171:172]
	v_fma_f64 v[171:172], v[4:5], v[38:39], v[175:176]
	;; [unrolled: 18-line block ×6, first 2 shown]
	v_fma_f64 v[175:176], v[2:3], v[34:35], -v[36:37]
	ds_load_b128 v[2:5], v1 offset:1392
	s_wait_loadcnt_dscnt 0x801
	v_mul_f64_e32 v[169:170], v[161:162], v[155:156]
	v_mul_f64_e32 v[171:172], v[163:164], v[155:156]
	scratch_load_b128 v[34:37], off, off offset:688
	v_add_f64_e32 v[167:168], v[167:168], v[157:158]
	v_add_f64_e32 v[159:160], v[165:166], v[159:160]
	s_wait_loadcnt_dscnt 0x800
	v_mul_f64_e32 v[165:166], v[2:3], v[40:41]
	v_mul_f64_e32 v[40:41], v[4:5], v[40:41]
	ds_load_b128 v[155:158], v1 offset:1408
	v_fma_f64 v[163:164], v[163:164], v[153:154], v[169:170]
	v_fma_f64 v[153:154], v[161:162], v[153:154], -v[171:172]
	v_add_f64_e32 v[167:168], v[167:168], v[175:176]
	v_add_f64_e32 v[169:170], v[159:160], v[173:174]
	scratch_load_b128 v[159:162], off, off offset:704
	v_fma_f64 v[173:174], v[4:5], v[38:39], v[165:166]
	v_fma_f64 v[175:176], v[2:3], v[38:39], -v[40:41]
	ds_load_b128 v[2:5], v1 offset:1424
	s_wait_loadcnt_dscnt 0x801
	v_mul_f64_e32 v[171:172], v[155:156], v[8:9]
	v_mul_f64_e32 v[8:9], v[157:158], v[8:9]
	scratch_load_b128 v[38:41], off, off offset:720
	v_add_f64_e32 v[153:154], v[167:168], v[153:154]
	v_add_f64_e32 v[167:168], v[169:170], v[163:164]
	s_wait_loadcnt_dscnt 0x800
	v_mul_f64_e32 v[169:170], v[2:3], v[12:13]
	v_mul_f64_e32 v[12:13], v[4:5], v[12:13]
	ds_load_b128 v[163:166], v1 offset:1440
	v_fma_f64 v[157:158], v[157:158], v[6:7], v[171:172]
	v_fma_f64 v[155:156], v[155:156], v[6:7], -v[8:9]
	scratch_load_b128 v[6:9], off, off offset:736
	v_add_f64_e32 v[153:154], v[153:154], v[175:176]
	v_add_f64_e32 v[167:168], v[167:168], v[173:174]
	v_fma_f64 v[169:170], v[4:5], v[10:11], v[169:170]
	v_fma_f64 v[173:174], v[2:3], v[10:11], -v[12:13]
	ds_load_b128 v[2:5], v1 offset:1456
	s_wait_loadcnt_dscnt 0x801
	v_mul_f64_e32 v[171:172], v[163:164], v[16:17]
	v_mul_f64_e32 v[16:17], v[165:166], v[16:17]
	scratch_load_b128 v[10:13], off, off offset:752
	v_add_f64_e32 v[175:176], v[153:154], v[155:156]
	v_add_f64_e32 v[157:158], v[167:168], v[157:158]
	s_wait_loadcnt_dscnt 0x800
	v_mul_f64_e32 v[167:168], v[2:3], v[20:21]
	v_mul_f64_e32 v[20:21], v[4:5], v[20:21]
	ds_load_b128 v[153:156], v1 offset:1472
	v_fma_f64 v[165:166], v[165:166], v[14:15], v[171:172]
	v_fma_f64 v[163:164], v[163:164], v[14:15], -v[16:17]
	scratch_load_b128 v[14:17], off, off offset:768
	v_add_f64_e32 v[171:172], v[175:176], v[173:174]
	v_add_f64_e32 v[157:158], v[157:158], v[169:170]
	v_fma_f64 v[167:168], v[4:5], v[18:19], v[167:168]
	v_fma_f64 v[173:174], v[2:3], v[18:19], -v[20:21]
	ds_load_b128 v[2:5], v1 offset:1488
	s_wait_loadcnt_dscnt 0x801
	v_mul_f64_e32 v[169:170], v[153:154], v[24:25]
	v_mul_f64_e32 v[24:25], v[155:156], v[24:25]
	scratch_load_b128 v[18:21], off, off offset:784
	s_wait_loadcnt_dscnt 0x800
	v_mul_f64_e32 v[175:176], v[2:3], v[28:29]
	v_mul_f64_e32 v[28:29], v[4:5], v[28:29]
	v_add_f64_e32 v[171:172], v[171:172], v[163:164]
	v_add_f64_e32 v[157:158], v[157:158], v[165:166]
	ds_load_b128 v[163:166], v1 offset:1504
	v_fma_f64 v[155:156], v[155:156], v[22:23], v[169:170]
	v_fma_f64 v[153:154], v[153:154], v[22:23], -v[24:25]
	scratch_load_b128 v[22:25], off, off offset:800
	v_add_f64_e32 v[169:170], v[171:172], v[173:174]
	v_add_f64_e32 v[157:158], v[157:158], v[167:168]
	v_fma_f64 v[171:172], v[4:5], v[26:27], v[175:176]
	v_fma_f64 v[173:174], v[2:3], v[26:27], -v[28:29]
	ds_load_b128 v[2:5], v1 offset:1520
	s_wait_loadcnt_dscnt 0x801
	v_mul_f64_e32 v[167:168], v[163:164], v[32:33]
	v_mul_f64_e32 v[32:33], v[165:166], v[32:33]
	scratch_load_b128 v[26:29], off, off offset:816
	s_wait_loadcnt_dscnt 0x800
	v_mul_f64_e32 v[175:176], v[2:3], v[36:37]
	v_mul_f64_e32 v[36:37], v[4:5], v[36:37]
	v_add_f64_e32 v[169:170], v[169:170], v[153:154]
	v_add_f64_e32 v[157:158], v[157:158], v[155:156]
	ds_load_b128 v[153:156], v1 offset:1536
	v_fma_f64 v[165:166], v[165:166], v[30:31], v[167:168]
	v_fma_f64 v[163:164], v[163:164], v[30:31], -v[32:33]
	scratch_load_b128 v[30:33], off, off offset:832
	v_add_f64_e32 v[167:168], v[169:170], v[173:174]
	v_add_f64_e32 v[157:158], v[157:158], v[171:172]
	v_fma_f64 v[173:174], v[4:5], v[34:35], v[175:176]
	v_fma_f64 v[175:176], v[2:3], v[34:35], -v[36:37]
	ds_load_b128 v[2:5], v1 offset:1552
	scratch_load_b128 v[34:37], off, off offset:848
	s_wait_loadcnt_dscnt 0x901
	v_mul_f64_e32 v[169:170], v[153:154], v[161:162]
	v_mul_f64_e32 v[171:172], v[155:156], v[161:162]
	v_add_f64_e32 v[167:168], v[167:168], v[163:164]
	v_add_f64_e32 v[157:158], v[157:158], v[165:166]
	s_wait_loadcnt_dscnt 0x800
	v_mul_f64_e32 v[165:166], v[2:3], v[40:41]
	v_mul_f64_e32 v[40:41], v[4:5], v[40:41]
	ds_load_b128 v[161:164], v1 offset:1568
	v_fma_f64 v[155:156], v[155:156], v[159:160], v[169:170]
	v_fma_f64 v[153:154], v[153:154], v[159:160], -v[171:172]
	v_add_f64_e32 v[159:160], v[167:168], v[175:176]
	v_add_f64_e32 v[157:158], v[157:158], v[173:174]
	s_wait_loadcnt_dscnt 0x700
	v_mul_f64_e32 v[167:168], v[161:162], v[8:9]
	v_mul_f64_e32 v[8:9], v[163:164], v[8:9]
	v_fma_f64 v[165:166], v[4:5], v[38:39], v[165:166]
	v_fma_f64 v[169:170], v[2:3], v[38:39], -v[40:41]
	ds_load_b128 v[2:5], v1 offset:1584
	ds_load_b128 v[38:41], v1 offset:1600
	v_add_f64_e32 v[153:154], v[159:160], v[153:154]
	v_add_f64_e32 v[155:156], v[157:158], v[155:156]
	s_wait_loadcnt_dscnt 0x601
	v_mul_f64_e32 v[157:158], v[2:3], v[12:13]
	v_mul_f64_e32 v[12:13], v[4:5], v[12:13]
	v_fma_f64 v[159:160], v[163:164], v[6:7], v[167:168]
	v_fma_f64 v[6:7], v[161:162], v[6:7], -v[8:9]
	v_add_f64_e32 v[8:9], v[153:154], v[169:170]
	v_add_f64_e32 v[153:154], v[155:156], v[165:166]
	s_wait_loadcnt_dscnt 0x500
	v_mul_f64_e32 v[155:156], v[38:39], v[16:17]
	v_mul_f64_e32 v[16:17], v[40:41], v[16:17]
	v_fma_f64 v[157:158], v[4:5], v[10:11], v[157:158]
	v_fma_f64 v[10:11], v[2:3], v[10:11], -v[12:13]
	v_add_f64_e32 v[12:13], v[8:9], v[6:7]
	v_add_f64_e32 v[153:154], v[153:154], v[159:160]
	ds_load_b128 v[2:5], v1 offset:1616
	ds_load_b128 v[6:9], v1 offset:1632
	v_fma_f64 v[40:41], v[40:41], v[14:15], v[155:156]
	v_fma_f64 v[14:15], v[38:39], v[14:15], -v[16:17]
	s_wait_loadcnt_dscnt 0x401
	v_mul_f64_e32 v[159:160], v[2:3], v[20:21]
	v_mul_f64_e32 v[20:21], v[4:5], v[20:21]
	s_wait_loadcnt_dscnt 0x300
	v_mul_f64_e32 v[16:17], v[6:7], v[24:25]
	v_mul_f64_e32 v[24:25], v[8:9], v[24:25]
	v_add_f64_e32 v[10:11], v[12:13], v[10:11]
	v_add_f64_e32 v[12:13], v[153:154], v[157:158]
	v_fma_f64 v[38:39], v[4:5], v[18:19], v[159:160]
	v_fma_f64 v[18:19], v[2:3], v[18:19], -v[20:21]
	v_fma_f64 v[8:9], v[8:9], v[22:23], v[16:17]
	v_fma_f64 v[6:7], v[6:7], v[22:23], -v[24:25]
	v_add_f64_e32 v[14:15], v[10:11], v[14:15]
	v_add_f64_e32 v[20:21], v[12:13], v[40:41]
	ds_load_b128 v[2:5], v1 offset:1648
	ds_load_b128 v[10:13], v1 offset:1664
	s_wait_loadcnt_dscnt 0x201
	v_mul_f64_e32 v[40:41], v[2:3], v[28:29]
	v_mul_f64_e32 v[28:29], v[4:5], v[28:29]
	v_add_f64_e32 v[14:15], v[14:15], v[18:19]
	v_add_f64_e32 v[16:17], v[20:21], v[38:39]
	s_wait_loadcnt_dscnt 0x100
	v_mul_f64_e32 v[18:19], v[10:11], v[32:33]
	v_mul_f64_e32 v[20:21], v[12:13], v[32:33]
	v_fma_f64 v[22:23], v[4:5], v[26:27], v[40:41]
	v_fma_f64 v[24:25], v[2:3], v[26:27], -v[28:29]
	ds_load_b128 v[2:5], v1 offset:1680
	v_add_f64_e32 v[6:7], v[14:15], v[6:7]
	v_add_f64_e32 v[8:9], v[16:17], v[8:9]
	v_fma_f64 v[12:13], v[12:13], v[30:31], v[18:19]
	v_fma_f64 v[10:11], v[10:11], v[30:31], -v[20:21]
	s_wait_loadcnt_dscnt 0x0
	v_mul_f64_e32 v[14:15], v[2:3], v[36:37]
	v_mul_f64_e32 v[16:17], v[4:5], v[36:37]
	v_add_f64_e32 v[6:7], v[6:7], v[24:25]
	v_add_f64_e32 v[8:9], v[8:9], v[22:23]
	s_delay_alu instid0(VALU_DEP_4) | instskip(NEXT) | instid1(VALU_DEP_4)
	v_fma_f64 v[4:5], v[4:5], v[34:35], v[14:15]
	v_fma_f64 v[2:3], v[2:3], v[34:35], -v[16:17]
	s_delay_alu instid0(VALU_DEP_4) | instskip(NEXT) | instid1(VALU_DEP_4)
	v_add_f64_e32 v[6:7], v[6:7], v[10:11]
	v_add_f64_e32 v[8:9], v[8:9], v[12:13]
	s_delay_alu instid0(VALU_DEP_2) | instskip(NEXT) | instid1(VALU_DEP_2)
	v_add_f64_e32 v[2:3], v[6:7], v[2:3]
	v_add_f64_e32 v[4:5], v[8:9], v[4:5]
	s_delay_alu instid0(VALU_DEP_2) | instskip(NEXT) | instid1(VALU_DEP_2)
	v_add_f64_e64 v[2:3], v[42:43], -v[2:3]
	v_add_f64_e64 v[4:5], v[44:45], -v[4:5]
	scratch_store_b128 off, v[2:5], off offset:64
	v_cmpx_lt_u32_e32 2, v0
	s_cbranch_execz .LBB52_327
; %bb.326:
	scratch_load_b128 v[5:8], off, s26
	v_dual_mov_b32 v2, v1 :: v_dual_mov_b32 v3, v1
	v_mov_b32_e32 v4, v1
	scratch_store_b128 off, v[1:4], off offset:48
	s_wait_loadcnt 0x0
	ds_store_b128 v152, v[5:8]
.LBB52_327:
	s_wait_alu 0xfffe
	s_or_b32 exec_lo, exec_lo, s0
	s_wait_storecnt_dscnt 0x0
	s_barrier_signal -1
	s_barrier_wait -1
	global_inv scope:SCOPE_SE
	s_clause 0x8
	scratch_load_b128 v[2:5], off, off offset:64
	scratch_load_b128 v[6:9], off, off offset:80
	;; [unrolled: 1-line block ×9, first 2 shown]
	ds_load_b128 v[42:45], v1 offset:896
	ds_load_b128 v[38:41], v1 offset:912
	s_clause 0x1
	scratch_load_b128 v[153:156], off, off offset:48
	scratch_load_b128 v[157:160], off, off offset:208
	s_mov_b32 s0, exec_lo
	s_wait_loadcnt_dscnt 0xa01
	v_mul_f64_e32 v[161:162], v[44:45], v[4:5]
	v_mul_f64_e32 v[4:5], v[42:43], v[4:5]
	s_wait_loadcnt_dscnt 0x900
	v_mul_f64_e32 v[165:166], v[38:39], v[8:9]
	v_mul_f64_e32 v[8:9], v[40:41], v[8:9]
	s_delay_alu instid0(VALU_DEP_4) | instskip(NEXT) | instid1(VALU_DEP_4)
	v_fma_f64 v[167:168], v[42:43], v[2:3], -v[161:162]
	v_fma_f64 v[169:170], v[44:45], v[2:3], v[4:5]
	ds_load_b128 v[2:5], v1 offset:928
	ds_load_b128 v[161:164], v1 offset:944
	scratch_load_b128 v[42:45], off, off offset:224
	v_fma_f64 v[40:41], v[40:41], v[6:7], v[165:166]
	v_fma_f64 v[38:39], v[38:39], v[6:7], -v[8:9]
	scratch_load_b128 v[6:9], off, off offset:240
	s_wait_loadcnt_dscnt 0xa01
	v_mul_f64_e32 v[171:172], v[2:3], v[12:13]
	v_mul_f64_e32 v[12:13], v[4:5], v[12:13]
	v_add_f64_e32 v[165:166], 0, v[167:168]
	v_add_f64_e32 v[167:168], 0, v[169:170]
	s_wait_loadcnt_dscnt 0x900
	v_mul_f64_e32 v[169:170], v[161:162], v[16:17]
	v_mul_f64_e32 v[16:17], v[163:164], v[16:17]
	v_fma_f64 v[171:172], v[4:5], v[10:11], v[171:172]
	v_fma_f64 v[173:174], v[2:3], v[10:11], -v[12:13]
	ds_load_b128 v[2:5], v1 offset:960
	scratch_load_b128 v[10:13], off, off offset:256
	v_add_f64_e32 v[165:166], v[165:166], v[38:39]
	v_add_f64_e32 v[167:168], v[167:168], v[40:41]
	ds_load_b128 v[38:41], v1 offset:976
	v_fma_f64 v[163:164], v[163:164], v[14:15], v[169:170]
	v_fma_f64 v[161:162], v[161:162], v[14:15], -v[16:17]
	scratch_load_b128 v[14:17], off, off offset:272
	s_wait_loadcnt_dscnt 0xa01
	v_mul_f64_e32 v[175:176], v[2:3], v[20:21]
	v_mul_f64_e32 v[20:21], v[4:5], v[20:21]
	s_wait_loadcnt_dscnt 0x900
	v_mul_f64_e32 v[169:170], v[38:39], v[24:25]
	v_mul_f64_e32 v[24:25], v[40:41], v[24:25]
	v_add_f64_e32 v[165:166], v[165:166], v[173:174]
	v_add_f64_e32 v[167:168], v[167:168], v[171:172]
	v_fma_f64 v[171:172], v[4:5], v[18:19], v[175:176]
	v_fma_f64 v[173:174], v[2:3], v[18:19], -v[20:21]
	ds_load_b128 v[2:5], v1 offset:992
	scratch_load_b128 v[18:21], off, off offset:288
	v_fma_f64 v[40:41], v[40:41], v[22:23], v[169:170]
	v_fma_f64 v[38:39], v[38:39], v[22:23], -v[24:25]
	scratch_load_b128 v[22:25], off, off offset:304
	v_add_f64_e32 v[165:166], v[165:166], v[161:162]
	v_add_f64_e32 v[167:168], v[167:168], v[163:164]
	ds_load_b128 v[161:164], v1 offset:1008
	s_wait_loadcnt_dscnt 0xa01
	v_mul_f64_e32 v[175:176], v[2:3], v[28:29]
	v_mul_f64_e32 v[28:29], v[4:5], v[28:29]
	s_wait_loadcnt_dscnt 0x900
	v_mul_f64_e32 v[169:170], v[161:162], v[32:33]
	v_mul_f64_e32 v[32:33], v[163:164], v[32:33]
	v_add_f64_e32 v[165:166], v[165:166], v[173:174]
	v_add_f64_e32 v[167:168], v[167:168], v[171:172]
	v_fma_f64 v[171:172], v[4:5], v[26:27], v[175:176]
	v_fma_f64 v[173:174], v[2:3], v[26:27], -v[28:29]
	ds_load_b128 v[2:5], v1 offset:1024
	scratch_load_b128 v[26:29], off, off offset:320
	v_fma_f64 v[163:164], v[163:164], v[30:31], v[169:170]
	v_fma_f64 v[161:162], v[161:162], v[30:31], -v[32:33]
	scratch_load_b128 v[30:33], off, off offset:336
	v_add_f64_e32 v[165:166], v[165:166], v[38:39]
	v_add_f64_e32 v[167:168], v[167:168], v[40:41]
	ds_load_b128 v[38:41], v1 offset:1040
	s_wait_loadcnt_dscnt 0xa01
	v_mul_f64_e32 v[175:176], v[2:3], v[36:37]
	v_mul_f64_e32 v[36:37], v[4:5], v[36:37]
	s_wait_loadcnt_dscnt 0x800
	v_mul_f64_e32 v[169:170], v[38:39], v[159:160]
	v_add_f64_e32 v[165:166], v[165:166], v[173:174]
	v_add_f64_e32 v[167:168], v[167:168], v[171:172]
	v_mul_f64_e32 v[171:172], v[40:41], v[159:160]
	v_fma_f64 v[173:174], v[4:5], v[34:35], v[175:176]
	v_fma_f64 v[175:176], v[2:3], v[34:35], -v[36:37]
	ds_load_b128 v[2:5], v1 offset:1056
	scratch_load_b128 v[34:37], off, off offset:352
	v_fma_f64 v[169:170], v[40:41], v[157:158], v[169:170]
	v_add_f64_e32 v[165:166], v[165:166], v[161:162]
	v_add_f64_e32 v[163:164], v[167:168], v[163:164]
	ds_load_b128 v[159:162], v1 offset:1072
	v_fma_f64 v[157:158], v[38:39], v[157:158], -v[171:172]
	scratch_load_b128 v[38:41], off, off offset:368
	s_wait_loadcnt_dscnt 0x901
	v_mul_f64_e32 v[167:168], v[2:3], v[44:45]
	v_mul_f64_e32 v[44:45], v[4:5], v[44:45]
	s_wait_loadcnt_dscnt 0x800
	v_mul_f64_e32 v[171:172], v[159:160], v[8:9]
	v_mul_f64_e32 v[8:9], v[161:162], v[8:9]
	v_add_f64_e32 v[165:166], v[165:166], v[175:176]
	v_add_f64_e32 v[163:164], v[163:164], v[173:174]
	v_fma_f64 v[167:168], v[4:5], v[42:43], v[167:168]
	v_fma_f64 v[173:174], v[2:3], v[42:43], -v[44:45]
	ds_load_b128 v[2:5], v1 offset:1088
	scratch_load_b128 v[42:45], off, off offset:384
	v_fma_f64 v[161:162], v[161:162], v[6:7], v[171:172]
	v_fma_f64 v[159:160], v[159:160], v[6:7], -v[8:9]
	scratch_load_b128 v[6:9], off, off offset:400
	v_add_f64_e32 v[157:158], v[165:166], v[157:158]
	v_add_f64_e32 v[169:170], v[163:164], v[169:170]
	ds_load_b128 v[163:166], v1 offset:1104
	s_wait_loadcnt_dscnt 0x901
	v_mul_f64_e32 v[175:176], v[2:3], v[12:13]
	v_mul_f64_e32 v[12:13], v[4:5], v[12:13]
	v_add_f64_e32 v[157:158], v[157:158], v[173:174]
	v_add_f64_e32 v[167:168], v[169:170], v[167:168]
	s_wait_loadcnt_dscnt 0x800
	v_mul_f64_e32 v[169:170], v[163:164], v[16:17]
	v_mul_f64_e32 v[16:17], v[165:166], v[16:17]
	v_fma_f64 v[171:172], v[4:5], v[10:11], v[175:176]
	v_fma_f64 v[173:174], v[2:3], v[10:11], -v[12:13]
	ds_load_b128 v[2:5], v1 offset:1120
	scratch_load_b128 v[10:13], off, off offset:416
	v_add_f64_e32 v[175:176], v[157:158], v[159:160]
	v_add_f64_e32 v[161:162], v[167:168], v[161:162]
	ds_load_b128 v[157:160], v1 offset:1136
	s_wait_loadcnt_dscnt 0x801
	v_mul_f64_e32 v[167:168], v[2:3], v[20:21]
	v_mul_f64_e32 v[20:21], v[4:5], v[20:21]
	v_fma_f64 v[165:166], v[165:166], v[14:15], v[169:170]
	v_fma_f64 v[163:164], v[163:164], v[14:15], -v[16:17]
	scratch_load_b128 v[14:17], off, off offset:432
	v_add_f64_e32 v[169:170], v[175:176], v[173:174]
	v_add_f64_e32 v[161:162], v[161:162], v[171:172]
	s_wait_loadcnt_dscnt 0x800
	v_mul_f64_e32 v[171:172], v[157:158], v[24:25]
	v_mul_f64_e32 v[24:25], v[159:160], v[24:25]
	v_fma_f64 v[167:168], v[4:5], v[18:19], v[167:168]
	v_fma_f64 v[173:174], v[2:3], v[18:19], -v[20:21]
	ds_load_b128 v[2:5], v1 offset:1152
	scratch_load_b128 v[18:21], off, off offset:448
	v_add_f64_e32 v[169:170], v[169:170], v[163:164]
	v_add_f64_e32 v[165:166], v[161:162], v[165:166]
	ds_load_b128 v[161:164], v1 offset:1168
	s_wait_loadcnt_dscnt 0x801
	v_mul_f64_e32 v[175:176], v[2:3], v[28:29]
	v_mul_f64_e32 v[28:29], v[4:5], v[28:29]
	v_fma_f64 v[159:160], v[159:160], v[22:23], v[171:172]
	v_fma_f64 v[157:158], v[157:158], v[22:23], -v[24:25]
	scratch_load_b128 v[22:25], off, off offset:464
	;; [unrolled: 18-line block ×4, first 2 shown]
	s_wait_loadcnt_dscnt 0x800
	v_mul_f64_e32 v[169:170], v[161:162], v[8:9]
	v_mul_f64_e32 v[8:9], v[163:164], v[8:9]
	v_add_f64_e32 v[167:168], v[167:168], v[173:174]
	v_add_f64_e32 v[165:166], v[165:166], v[171:172]
	v_fma_f64 v[171:172], v[4:5], v[42:43], v[175:176]
	v_fma_f64 v[173:174], v[2:3], v[42:43], -v[44:45]
	ds_load_b128 v[2:5], v1 offset:1248
	scratch_load_b128 v[42:45], off, off offset:544
	v_fma_f64 v[163:164], v[163:164], v[6:7], v[169:170]
	v_fma_f64 v[161:162], v[161:162], v[6:7], -v[8:9]
	scratch_load_b128 v[6:9], off, off offset:560
	v_add_f64_e32 v[167:168], v[167:168], v[157:158]
	v_add_f64_e32 v[165:166], v[165:166], v[159:160]
	ds_load_b128 v[157:160], v1 offset:1264
	s_wait_loadcnt_dscnt 0x901
	v_mul_f64_e32 v[175:176], v[2:3], v[12:13]
	v_mul_f64_e32 v[12:13], v[4:5], v[12:13]
	s_wait_loadcnt_dscnt 0x800
	v_mul_f64_e32 v[169:170], v[157:158], v[16:17]
	v_mul_f64_e32 v[16:17], v[159:160], v[16:17]
	v_add_f64_e32 v[167:168], v[167:168], v[173:174]
	v_add_f64_e32 v[165:166], v[165:166], v[171:172]
	v_fma_f64 v[171:172], v[4:5], v[10:11], v[175:176]
	v_fma_f64 v[173:174], v[2:3], v[10:11], -v[12:13]
	ds_load_b128 v[2:5], v1 offset:1280
	scratch_load_b128 v[10:13], off, off offset:576
	v_fma_f64 v[159:160], v[159:160], v[14:15], v[169:170]
	v_fma_f64 v[157:158], v[157:158], v[14:15], -v[16:17]
	scratch_load_b128 v[14:17], off, off offset:592
	v_add_f64_e32 v[167:168], v[167:168], v[161:162]
	v_add_f64_e32 v[165:166], v[165:166], v[163:164]
	ds_load_b128 v[161:164], v1 offset:1296
	s_wait_loadcnt_dscnt 0x901
	v_mul_f64_e32 v[175:176], v[2:3], v[20:21]
	v_mul_f64_e32 v[20:21], v[4:5], v[20:21]
	;; [unrolled: 18-line block ×10, first 2 shown]
	s_wait_loadcnt_dscnt 0x800
	v_mul_f64_e32 v[169:170], v[161:162], v[8:9]
	v_mul_f64_e32 v[8:9], v[163:164], v[8:9]
	v_add_f64_e32 v[167:168], v[167:168], v[173:174]
	v_add_f64_e32 v[165:166], v[165:166], v[171:172]
	v_fma_f64 v[171:172], v[4:5], v[42:43], v[175:176]
	v_fma_f64 v[173:174], v[2:3], v[42:43], -v[44:45]
	ds_load_b128 v[2:5], v1 offset:1568
	ds_load_b128 v[42:45], v1 offset:1584
	v_fma_f64 v[163:164], v[163:164], v[6:7], v[169:170]
	v_fma_f64 v[6:7], v[161:162], v[6:7], -v[8:9]
	v_add_f64_e32 v[157:158], v[167:168], v[157:158]
	v_add_f64_e32 v[159:160], v[165:166], v[159:160]
	s_wait_loadcnt_dscnt 0x701
	v_mul_f64_e32 v[165:166], v[2:3], v[12:13]
	v_mul_f64_e32 v[12:13], v[4:5], v[12:13]
	s_delay_alu instid0(VALU_DEP_4) | instskip(NEXT) | instid1(VALU_DEP_4)
	v_add_f64_e32 v[8:9], v[157:158], v[173:174]
	v_add_f64_e32 v[157:158], v[159:160], v[171:172]
	s_wait_loadcnt_dscnt 0x600
	v_mul_f64_e32 v[159:160], v[42:43], v[16:17]
	v_mul_f64_e32 v[16:17], v[44:45], v[16:17]
	v_fma_f64 v[161:162], v[4:5], v[10:11], v[165:166]
	v_fma_f64 v[10:11], v[2:3], v[10:11], -v[12:13]
	v_add_f64_e32 v[12:13], v[8:9], v[6:7]
	v_add_f64_e32 v[157:158], v[157:158], v[163:164]
	ds_load_b128 v[2:5], v1 offset:1600
	ds_load_b128 v[6:9], v1 offset:1616
	v_fma_f64 v[44:45], v[44:45], v[14:15], v[159:160]
	v_fma_f64 v[14:15], v[42:43], v[14:15], -v[16:17]
	s_wait_loadcnt_dscnt 0x501
	v_mul_f64_e32 v[163:164], v[2:3], v[20:21]
	v_mul_f64_e32 v[20:21], v[4:5], v[20:21]
	s_wait_loadcnt_dscnt 0x400
	v_mul_f64_e32 v[16:17], v[6:7], v[24:25]
	v_mul_f64_e32 v[24:25], v[8:9], v[24:25]
	v_add_f64_e32 v[10:11], v[12:13], v[10:11]
	v_add_f64_e32 v[12:13], v[157:158], v[161:162]
	v_fma_f64 v[42:43], v[4:5], v[18:19], v[163:164]
	v_fma_f64 v[18:19], v[2:3], v[18:19], -v[20:21]
	v_fma_f64 v[8:9], v[8:9], v[22:23], v[16:17]
	v_fma_f64 v[6:7], v[6:7], v[22:23], -v[24:25]
	v_add_f64_e32 v[14:15], v[10:11], v[14:15]
	v_add_f64_e32 v[20:21], v[12:13], v[44:45]
	ds_load_b128 v[2:5], v1 offset:1632
	ds_load_b128 v[10:13], v1 offset:1648
	s_wait_loadcnt_dscnt 0x301
	v_mul_f64_e32 v[44:45], v[2:3], v[28:29]
	v_mul_f64_e32 v[28:29], v[4:5], v[28:29]
	v_add_f64_e32 v[14:15], v[14:15], v[18:19]
	v_add_f64_e32 v[16:17], v[20:21], v[42:43]
	s_wait_loadcnt_dscnt 0x200
	v_mul_f64_e32 v[18:19], v[10:11], v[32:33]
	v_mul_f64_e32 v[20:21], v[12:13], v[32:33]
	v_fma_f64 v[22:23], v[4:5], v[26:27], v[44:45]
	v_fma_f64 v[24:25], v[2:3], v[26:27], -v[28:29]
	v_add_f64_e32 v[14:15], v[14:15], v[6:7]
	v_add_f64_e32 v[16:17], v[16:17], v[8:9]
	ds_load_b128 v[2:5], v1 offset:1664
	ds_load_b128 v[6:9], v1 offset:1680
	v_fma_f64 v[12:13], v[12:13], v[30:31], v[18:19]
	v_fma_f64 v[10:11], v[10:11], v[30:31], -v[20:21]
	s_wait_loadcnt_dscnt 0x101
	v_mul_f64_e32 v[26:27], v[2:3], v[36:37]
	v_mul_f64_e32 v[28:29], v[4:5], v[36:37]
	s_wait_loadcnt_dscnt 0x0
	v_mul_f64_e32 v[18:19], v[6:7], v[40:41]
	v_mul_f64_e32 v[20:21], v[8:9], v[40:41]
	v_add_f64_e32 v[14:15], v[14:15], v[24:25]
	v_add_f64_e32 v[16:17], v[16:17], v[22:23]
	v_fma_f64 v[4:5], v[4:5], v[34:35], v[26:27]
	v_fma_f64 v[1:2], v[2:3], v[34:35], -v[28:29]
	v_fma_f64 v[8:9], v[8:9], v[38:39], v[18:19]
	v_fma_f64 v[6:7], v[6:7], v[38:39], -v[20:21]
	v_add_f64_e32 v[10:11], v[14:15], v[10:11]
	v_add_f64_e32 v[12:13], v[16:17], v[12:13]
	s_delay_alu instid0(VALU_DEP_2) | instskip(NEXT) | instid1(VALU_DEP_2)
	v_add_f64_e32 v[1:2], v[10:11], v[1:2]
	v_add_f64_e32 v[3:4], v[12:13], v[4:5]
	s_delay_alu instid0(VALU_DEP_2) | instskip(NEXT) | instid1(VALU_DEP_2)
	;; [unrolled: 3-line block ×3, first 2 shown]
	v_add_f64_e64 v[1:2], v[153:154], -v[1:2]
	v_add_f64_e64 v[3:4], v[155:156], -v[3:4]
	scratch_store_b128 off, v[1:4], off offset:48
	v_cmpx_lt_u32_e32 1, v0
	s_cbranch_execz .LBB52_329
; %bb.328:
	scratch_load_b128 v[1:4], off, s28
	v_mov_b32_e32 v5, 0
	s_delay_alu instid0(VALU_DEP_1)
	v_dual_mov_b32 v6, v5 :: v_dual_mov_b32 v7, v5
	v_mov_b32_e32 v8, v5
	scratch_store_b128 off, v[5:8], off offset:32
	s_wait_loadcnt 0x0
	ds_store_b128 v152, v[1:4]
.LBB52_329:
	s_wait_alu 0xfffe
	s_or_b32 exec_lo, exec_lo, s0
	s_wait_storecnt_dscnt 0x0
	s_barrier_signal -1
	s_barrier_wait -1
	global_inv scope:SCOPE_SE
	s_clause 0x7
	scratch_load_b128 v[2:5], off, off offset:48
	scratch_load_b128 v[6:9], off, off offset:64
	;; [unrolled: 1-line block ×8, first 2 shown]
	v_mov_b32_e32 v1, 0
	s_mov_b32 s0, exec_lo
	ds_load_b128 v[38:41], v1 offset:880
	s_clause 0x1
	scratch_load_b128 v[34:37], off, off offset:176
	scratch_load_b128 v[42:45], off, off offset:32
	ds_load_b128 v[153:156], v1 offset:896
	scratch_load_b128 v[157:160], off, off offset:192
	s_wait_loadcnt_dscnt 0xa01
	v_mul_f64_e32 v[161:162], v[40:41], v[4:5]
	v_mul_f64_e32 v[4:5], v[38:39], v[4:5]
	s_delay_alu instid0(VALU_DEP_2) | instskip(NEXT) | instid1(VALU_DEP_2)
	v_fma_f64 v[167:168], v[38:39], v[2:3], -v[161:162]
	v_fma_f64 v[169:170], v[40:41], v[2:3], v[4:5]
	ds_load_b128 v[2:5], v1 offset:912
	s_wait_loadcnt_dscnt 0x901
	v_mul_f64_e32 v[165:166], v[153:154], v[8:9]
	v_mul_f64_e32 v[8:9], v[155:156], v[8:9]
	scratch_load_b128 v[38:41], off, off offset:208
	ds_load_b128 v[161:164], v1 offset:928
	s_wait_loadcnt_dscnt 0x901
	v_mul_f64_e32 v[171:172], v[2:3], v[12:13]
	v_mul_f64_e32 v[12:13], v[4:5], v[12:13]
	v_fma_f64 v[155:156], v[155:156], v[6:7], v[165:166]
	v_fma_f64 v[153:154], v[153:154], v[6:7], -v[8:9]
	v_add_f64_e32 v[165:166], 0, v[167:168]
	v_add_f64_e32 v[167:168], 0, v[169:170]
	scratch_load_b128 v[6:9], off, off offset:224
	v_fma_f64 v[171:172], v[4:5], v[10:11], v[171:172]
	v_fma_f64 v[173:174], v[2:3], v[10:11], -v[12:13]
	ds_load_b128 v[2:5], v1 offset:944
	s_wait_loadcnt_dscnt 0x901
	v_mul_f64_e32 v[169:170], v[161:162], v[16:17]
	v_mul_f64_e32 v[16:17], v[163:164], v[16:17]
	scratch_load_b128 v[10:13], off, off offset:240
	v_add_f64_e32 v[165:166], v[165:166], v[153:154]
	v_add_f64_e32 v[167:168], v[167:168], v[155:156]
	s_wait_loadcnt_dscnt 0x900
	v_mul_f64_e32 v[175:176], v[2:3], v[20:21]
	v_mul_f64_e32 v[20:21], v[4:5], v[20:21]
	ds_load_b128 v[153:156], v1 offset:960
	v_fma_f64 v[163:164], v[163:164], v[14:15], v[169:170]
	v_fma_f64 v[161:162], v[161:162], v[14:15], -v[16:17]
	scratch_load_b128 v[14:17], off, off offset:256
	v_add_f64_e32 v[165:166], v[165:166], v[173:174]
	v_add_f64_e32 v[167:168], v[167:168], v[171:172]
	v_fma_f64 v[171:172], v[4:5], v[18:19], v[175:176]
	v_fma_f64 v[173:174], v[2:3], v[18:19], -v[20:21]
	ds_load_b128 v[2:5], v1 offset:976
	s_wait_loadcnt_dscnt 0x901
	v_mul_f64_e32 v[169:170], v[153:154], v[24:25]
	v_mul_f64_e32 v[24:25], v[155:156], v[24:25]
	scratch_load_b128 v[18:21], off, off offset:272
	s_wait_loadcnt_dscnt 0x900
	v_mul_f64_e32 v[175:176], v[2:3], v[28:29]
	v_mul_f64_e32 v[28:29], v[4:5], v[28:29]
	v_add_f64_e32 v[165:166], v[165:166], v[161:162]
	v_add_f64_e32 v[167:168], v[167:168], v[163:164]
	ds_load_b128 v[161:164], v1 offset:992
	v_fma_f64 v[155:156], v[155:156], v[22:23], v[169:170]
	v_fma_f64 v[153:154], v[153:154], v[22:23], -v[24:25]
	scratch_load_b128 v[22:25], off, off offset:288
	v_add_f64_e32 v[165:166], v[165:166], v[173:174]
	v_add_f64_e32 v[167:168], v[167:168], v[171:172]
	v_fma_f64 v[171:172], v[4:5], v[26:27], v[175:176]
	v_fma_f64 v[173:174], v[2:3], v[26:27], -v[28:29]
	ds_load_b128 v[2:5], v1 offset:1008
	s_wait_loadcnt_dscnt 0x901
	v_mul_f64_e32 v[169:170], v[161:162], v[32:33]
	v_mul_f64_e32 v[32:33], v[163:164], v[32:33]
	scratch_load_b128 v[26:29], off, off offset:304
	s_wait_loadcnt_dscnt 0x900
	v_mul_f64_e32 v[175:176], v[2:3], v[36:37]
	v_mul_f64_e32 v[36:37], v[4:5], v[36:37]
	v_add_f64_e32 v[165:166], v[165:166], v[153:154]
	v_add_f64_e32 v[167:168], v[167:168], v[155:156]
	ds_load_b128 v[153:156], v1 offset:1024
	v_fma_f64 v[163:164], v[163:164], v[30:31], v[169:170]
	v_fma_f64 v[161:162], v[161:162], v[30:31], -v[32:33]
	scratch_load_b128 v[30:33], off, off offset:320
	v_add_f64_e32 v[165:166], v[165:166], v[173:174]
	v_add_f64_e32 v[167:168], v[167:168], v[171:172]
	v_fma_f64 v[173:174], v[4:5], v[34:35], v[175:176]
	v_fma_f64 v[175:176], v[2:3], v[34:35], -v[36:37]
	ds_load_b128 v[2:5], v1 offset:1040
	s_wait_loadcnt_dscnt 0x801
	v_mul_f64_e32 v[169:170], v[153:154], v[159:160]
	v_mul_f64_e32 v[171:172], v[155:156], v[159:160]
	scratch_load_b128 v[34:37], off, off offset:336
	v_add_f64_e32 v[165:166], v[165:166], v[161:162]
	v_add_f64_e32 v[163:164], v[167:168], v[163:164]
	ds_load_b128 v[159:162], v1 offset:1056
	v_fma_f64 v[169:170], v[155:156], v[157:158], v[169:170]
	v_fma_f64 v[157:158], v[153:154], v[157:158], -v[171:172]
	scratch_load_b128 v[153:156], off, off offset:352
	s_wait_loadcnt_dscnt 0x901
	v_mul_f64_e32 v[167:168], v[2:3], v[40:41]
	v_mul_f64_e32 v[40:41], v[4:5], v[40:41]
	v_add_f64_e32 v[165:166], v[165:166], v[175:176]
	v_add_f64_e32 v[163:164], v[163:164], v[173:174]
	s_delay_alu instid0(VALU_DEP_4) | instskip(NEXT) | instid1(VALU_DEP_4)
	v_fma_f64 v[167:168], v[4:5], v[38:39], v[167:168]
	v_fma_f64 v[173:174], v[2:3], v[38:39], -v[40:41]
	ds_load_b128 v[2:5], v1 offset:1072
	s_wait_loadcnt_dscnt 0x801
	v_mul_f64_e32 v[171:172], v[159:160], v[8:9]
	v_mul_f64_e32 v[8:9], v[161:162], v[8:9]
	scratch_load_b128 v[38:41], off, off offset:368
	s_wait_loadcnt_dscnt 0x800
	v_mul_f64_e32 v[175:176], v[2:3], v[12:13]
	v_add_f64_e32 v[157:158], v[165:166], v[157:158]
	v_add_f64_e32 v[169:170], v[163:164], v[169:170]
	v_mul_f64_e32 v[12:13], v[4:5], v[12:13]
	ds_load_b128 v[163:166], v1 offset:1088
	v_fma_f64 v[161:162], v[161:162], v[6:7], v[171:172]
	v_fma_f64 v[159:160], v[159:160], v[6:7], -v[8:9]
	scratch_load_b128 v[6:9], off, off offset:384
	v_fma_f64 v[171:172], v[4:5], v[10:11], v[175:176]
	v_add_f64_e32 v[157:158], v[157:158], v[173:174]
	v_add_f64_e32 v[167:168], v[169:170], v[167:168]
	v_fma_f64 v[173:174], v[2:3], v[10:11], -v[12:13]
	ds_load_b128 v[2:5], v1 offset:1104
	s_wait_loadcnt_dscnt 0x801
	v_mul_f64_e32 v[169:170], v[163:164], v[16:17]
	v_mul_f64_e32 v[16:17], v[165:166], v[16:17]
	scratch_load_b128 v[10:13], off, off offset:400
	v_add_f64_e32 v[175:176], v[157:158], v[159:160]
	v_add_f64_e32 v[161:162], v[167:168], v[161:162]
	s_wait_loadcnt_dscnt 0x800
	v_mul_f64_e32 v[167:168], v[2:3], v[20:21]
	v_mul_f64_e32 v[20:21], v[4:5], v[20:21]
	v_fma_f64 v[165:166], v[165:166], v[14:15], v[169:170]
	v_fma_f64 v[163:164], v[163:164], v[14:15], -v[16:17]
	ds_load_b128 v[157:160], v1 offset:1120
	scratch_load_b128 v[14:17], off, off offset:416
	v_add_f64_e32 v[169:170], v[175:176], v[173:174]
	v_add_f64_e32 v[161:162], v[161:162], v[171:172]
	v_fma_f64 v[167:168], v[4:5], v[18:19], v[167:168]
	v_fma_f64 v[173:174], v[2:3], v[18:19], -v[20:21]
	ds_load_b128 v[2:5], v1 offset:1136
	s_wait_loadcnt_dscnt 0x801
	v_mul_f64_e32 v[171:172], v[157:158], v[24:25]
	v_mul_f64_e32 v[24:25], v[159:160], v[24:25]
	scratch_load_b128 v[18:21], off, off offset:432
	s_wait_loadcnt_dscnt 0x800
	v_mul_f64_e32 v[175:176], v[2:3], v[28:29]
	v_mul_f64_e32 v[28:29], v[4:5], v[28:29]
	v_add_f64_e32 v[169:170], v[169:170], v[163:164]
	v_add_f64_e32 v[165:166], v[161:162], v[165:166]
	ds_load_b128 v[161:164], v1 offset:1152
	v_fma_f64 v[159:160], v[159:160], v[22:23], v[171:172]
	v_fma_f64 v[157:158], v[157:158], v[22:23], -v[24:25]
	scratch_load_b128 v[22:25], off, off offset:448
	v_fma_f64 v[171:172], v[4:5], v[26:27], v[175:176]
	v_add_f64_e32 v[169:170], v[169:170], v[173:174]
	v_add_f64_e32 v[165:166], v[165:166], v[167:168]
	v_fma_f64 v[173:174], v[2:3], v[26:27], -v[28:29]
	ds_load_b128 v[2:5], v1 offset:1168
	s_wait_loadcnt_dscnt 0x801
	v_mul_f64_e32 v[167:168], v[161:162], v[32:33]
	v_mul_f64_e32 v[32:33], v[163:164], v[32:33]
	scratch_load_b128 v[26:29], off, off offset:464
	s_wait_loadcnt_dscnt 0x800
	v_mul_f64_e32 v[175:176], v[2:3], v[36:37]
	v_mul_f64_e32 v[36:37], v[4:5], v[36:37]
	v_add_f64_e32 v[169:170], v[169:170], v[157:158]
	v_add_f64_e32 v[165:166], v[165:166], v[159:160]
	ds_load_b128 v[157:160], v1 offset:1184
	v_fma_f64 v[163:164], v[163:164], v[30:31], v[167:168]
	v_fma_f64 v[161:162], v[161:162], v[30:31], -v[32:33]
	scratch_load_b128 v[30:33], off, off offset:480
	v_add_f64_e32 v[167:168], v[169:170], v[173:174]
	v_add_f64_e32 v[165:166], v[165:166], v[171:172]
	v_fma_f64 v[171:172], v[4:5], v[34:35], v[175:176]
	v_fma_f64 v[173:174], v[2:3], v[34:35], -v[36:37]
	ds_load_b128 v[2:5], v1 offset:1200
	s_wait_loadcnt_dscnt 0x801
	v_mul_f64_e32 v[169:170], v[157:158], v[155:156]
	v_mul_f64_e32 v[155:156], v[159:160], v[155:156]
	scratch_load_b128 v[34:37], off, off offset:496
	s_wait_loadcnt_dscnt 0x800
	v_mul_f64_e32 v[175:176], v[2:3], v[40:41]
	v_mul_f64_e32 v[40:41], v[4:5], v[40:41]
	v_add_f64_e32 v[167:168], v[167:168], v[161:162]
	v_add_f64_e32 v[165:166], v[165:166], v[163:164]
	ds_load_b128 v[161:164], v1 offset:1216
	v_fma_f64 v[159:160], v[159:160], v[153:154], v[169:170]
	v_fma_f64 v[157:158], v[157:158], v[153:154], -v[155:156]
	scratch_load_b128 v[153:156], off, off offset:512
	v_add_f64_e32 v[167:168], v[167:168], v[173:174]
	v_add_f64_e32 v[165:166], v[165:166], v[171:172]
	v_fma_f64 v[171:172], v[4:5], v[38:39], v[175:176]
	;; [unrolled: 18-line block ×6, first 2 shown]
	v_fma_f64 v[175:176], v[2:3], v[34:35], -v[36:37]
	ds_load_b128 v[2:5], v1 offset:1360
	s_wait_loadcnt_dscnt 0x801
	v_mul_f64_e32 v[169:170], v[161:162], v[155:156]
	v_mul_f64_e32 v[171:172], v[163:164], v[155:156]
	scratch_load_b128 v[34:37], off, off offset:656
	v_add_f64_e32 v[167:168], v[167:168], v[157:158]
	v_add_f64_e32 v[159:160], v[165:166], v[159:160]
	s_wait_loadcnt_dscnt 0x800
	v_mul_f64_e32 v[165:166], v[2:3], v[40:41]
	v_mul_f64_e32 v[40:41], v[4:5], v[40:41]
	ds_load_b128 v[155:158], v1 offset:1376
	v_fma_f64 v[163:164], v[163:164], v[153:154], v[169:170]
	v_fma_f64 v[153:154], v[161:162], v[153:154], -v[171:172]
	v_add_f64_e32 v[167:168], v[167:168], v[175:176]
	v_add_f64_e32 v[169:170], v[159:160], v[173:174]
	scratch_load_b128 v[159:162], off, off offset:672
	v_fma_f64 v[173:174], v[4:5], v[38:39], v[165:166]
	v_fma_f64 v[175:176], v[2:3], v[38:39], -v[40:41]
	ds_load_b128 v[2:5], v1 offset:1392
	s_wait_loadcnt_dscnt 0x801
	v_mul_f64_e32 v[171:172], v[155:156], v[8:9]
	v_mul_f64_e32 v[8:9], v[157:158], v[8:9]
	scratch_load_b128 v[38:41], off, off offset:688
	v_add_f64_e32 v[153:154], v[167:168], v[153:154]
	v_add_f64_e32 v[167:168], v[169:170], v[163:164]
	s_wait_loadcnt_dscnt 0x800
	v_mul_f64_e32 v[169:170], v[2:3], v[12:13]
	v_mul_f64_e32 v[12:13], v[4:5], v[12:13]
	ds_load_b128 v[163:166], v1 offset:1408
	v_fma_f64 v[157:158], v[157:158], v[6:7], v[171:172]
	v_fma_f64 v[155:156], v[155:156], v[6:7], -v[8:9]
	scratch_load_b128 v[6:9], off, off offset:704
	v_add_f64_e32 v[153:154], v[153:154], v[175:176]
	v_add_f64_e32 v[167:168], v[167:168], v[173:174]
	v_fma_f64 v[169:170], v[4:5], v[10:11], v[169:170]
	v_fma_f64 v[173:174], v[2:3], v[10:11], -v[12:13]
	ds_load_b128 v[2:5], v1 offset:1424
	s_wait_loadcnt_dscnt 0x801
	v_mul_f64_e32 v[171:172], v[163:164], v[16:17]
	v_mul_f64_e32 v[16:17], v[165:166], v[16:17]
	scratch_load_b128 v[10:13], off, off offset:720
	v_add_f64_e32 v[175:176], v[153:154], v[155:156]
	v_add_f64_e32 v[157:158], v[167:168], v[157:158]
	s_wait_loadcnt_dscnt 0x800
	v_mul_f64_e32 v[167:168], v[2:3], v[20:21]
	v_mul_f64_e32 v[20:21], v[4:5], v[20:21]
	ds_load_b128 v[153:156], v1 offset:1440
	v_fma_f64 v[165:166], v[165:166], v[14:15], v[171:172]
	v_fma_f64 v[163:164], v[163:164], v[14:15], -v[16:17]
	scratch_load_b128 v[14:17], off, off offset:736
	v_add_f64_e32 v[171:172], v[175:176], v[173:174]
	v_add_f64_e32 v[157:158], v[157:158], v[169:170]
	v_fma_f64 v[167:168], v[4:5], v[18:19], v[167:168]
	v_fma_f64 v[173:174], v[2:3], v[18:19], -v[20:21]
	ds_load_b128 v[2:5], v1 offset:1456
	s_wait_loadcnt_dscnt 0x801
	v_mul_f64_e32 v[169:170], v[153:154], v[24:25]
	v_mul_f64_e32 v[24:25], v[155:156], v[24:25]
	scratch_load_b128 v[18:21], off, off offset:752
	s_wait_loadcnt_dscnt 0x800
	v_mul_f64_e32 v[175:176], v[2:3], v[28:29]
	v_mul_f64_e32 v[28:29], v[4:5], v[28:29]
	v_add_f64_e32 v[171:172], v[171:172], v[163:164]
	v_add_f64_e32 v[157:158], v[157:158], v[165:166]
	ds_load_b128 v[163:166], v1 offset:1472
	v_fma_f64 v[155:156], v[155:156], v[22:23], v[169:170]
	v_fma_f64 v[153:154], v[153:154], v[22:23], -v[24:25]
	scratch_load_b128 v[22:25], off, off offset:768
	v_add_f64_e32 v[169:170], v[171:172], v[173:174]
	v_add_f64_e32 v[157:158], v[157:158], v[167:168]
	v_fma_f64 v[171:172], v[4:5], v[26:27], v[175:176]
	v_fma_f64 v[173:174], v[2:3], v[26:27], -v[28:29]
	ds_load_b128 v[2:5], v1 offset:1488
	s_wait_loadcnt_dscnt 0x801
	v_mul_f64_e32 v[167:168], v[163:164], v[32:33]
	v_mul_f64_e32 v[32:33], v[165:166], v[32:33]
	scratch_load_b128 v[26:29], off, off offset:784
	s_wait_loadcnt_dscnt 0x800
	v_mul_f64_e32 v[175:176], v[2:3], v[36:37]
	v_mul_f64_e32 v[36:37], v[4:5], v[36:37]
	v_add_f64_e32 v[169:170], v[169:170], v[153:154]
	v_add_f64_e32 v[157:158], v[157:158], v[155:156]
	ds_load_b128 v[153:156], v1 offset:1504
	v_fma_f64 v[165:166], v[165:166], v[30:31], v[167:168]
	v_fma_f64 v[163:164], v[163:164], v[30:31], -v[32:33]
	scratch_load_b128 v[30:33], off, off offset:800
	v_add_f64_e32 v[167:168], v[169:170], v[173:174]
	v_add_f64_e32 v[157:158], v[157:158], v[171:172]
	v_fma_f64 v[173:174], v[4:5], v[34:35], v[175:176]
	v_fma_f64 v[175:176], v[2:3], v[34:35], -v[36:37]
	ds_load_b128 v[2:5], v1 offset:1520
	scratch_load_b128 v[34:37], off, off offset:816
	s_wait_loadcnt_dscnt 0x901
	v_mul_f64_e32 v[169:170], v[153:154], v[161:162]
	v_mul_f64_e32 v[171:172], v[155:156], v[161:162]
	v_add_f64_e32 v[167:168], v[167:168], v[163:164]
	v_add_f64_e32 v[157:158], v[157:158], v[165:166]
	s_wait_loadcnt_dscnt 0x800
	v_mul_f64_e32 v[165:166], v[2:3], v[40:41]
	v_mul_f64_e32 v[40:41], v[4:5], v[40:41]
	ds_load_b128 v[161:164], v1 offset:1536
	v_fma_f64 v[169:170], v[155:156], v[159:160], v[169:170]
	v_fma_f64 v[159:160], v[153:154], v[159:160], -v[171:172]
	scratch_load_b128 v[153:156], off, off offset:832
	v_add_f64_e32 v[167:168], v[167:168], v[175:176]
	v_add_f64_e32 v[157:158], v[157:158], v[173:174]
	v_fma_f64 v[165:166], v[4:5], v[38:39], v[165:166]
	v_fma_f64 v[173:174], v[2:3], v[38:39], -v[40:41]
	ds_load_b128 v[2:5], v1 offset:1552
	s_wait_loadcnt_dscnt 0x801
	v_mul_f64_e32 v[171:172], v[161:162], v[8:9]
	v_mul_f64_e32 v[8:9], v[163:164], v[8:9]
	scratch_load_b128 v[38:41], off, off offset:848
	s_wait_loadcnt_dscnt 0x800
	v_mul_f64_e32 v[175:176], v[2:3], v[12:13]
	v_mul_f64_e32 v[12:13], v[4:5], v[12:13]
	v_add_f64_e32 v[167:168], v[167:168], v[159:160]
	v_add_f64_e32 v[169:170], v[157:158], v[169:170]
	ds_load_b128 v[157:160], v1 offset:1568
	v_fma_f64 v[163:164], v[163:164], v[6:7], v[171:172]
	v_fma_f64 v[6:7], v[161:162], v[6:7], -v[8:9]
	v_add_f64_e32 v[8:9], v[167:168], v[173:174]
	v_add_f64_e32 v[161:162], v[169:170], v[165:166]
	s_wait_loadcnt_dscnt 0x700
	v_mul_f64_e32 v[165:166], v[157:158], v[16:17]
	v_mul_f64_e32 v[16:17], v[159:160], v[16:17]
	v_fma_f64 v[167:168], v[4:5], v[10:11], v[175:176]
	v_fma_f64 v[10:11], v[2:3], v[10:11], -v[12:13]
	v_add_f64_e32 v[12:13], v[8:9], v[6:7]
	v_add_f64_e32 v[161:162], v[161:162], v[163:164]
	ds_load_b128 v[2:5], v1 offset:1584
	ds_load_b128 v[6:9], v1 offset:1600
	v_fma_f64 v[159:160], v[159:160], v[14:15], v[165:166]
	v_fma_f64 v[14:15], v[157:158], v[14:15], -v[16:17]
	s_wait_loadcnt_dscnt 0x601
	v_mul_f64_e32 v[163:164], v[2:3], v[20:21]
	v_mul_f64_e32 v[20:21], v[4:5], v[20:21]
	s_wait_loadcnt_dscnt 0x500
	v_mul_f64_e32 v[16:17], v[6:7], v[24:25]
	v_mul_f64_e32 v[24:25], v[8:9], v[24:25]
	v_add_f64_e32 v[10:11], v[12:13], v[10:11]
	v_add_f64_e32 v[12:13], v[161:162], v[167:168]
	v_fma_f64 v[157:158], v[4:5], v[18:19], v[163:164]
	v_fma_f64 v[18:19], v[2:3], v[18:19], -v[20:21]
	v_fma_f64 v[8:9], v[8:9], v[22:23], v[16:17]
	v_fma_f64 v[6:7], v[6:7], v[22:23], -v[24:25]
	v_add_f64_e32 v[14:15], v[10:11], v[14:15]
	v_add_f64_e32 v[20:21], v[12:13], v[159:160]
	ds_load_b128 v[2:5], v1 offset:1616
	ds_load_b128 v[10:13], v1 offset:1632
	s_wait_loadcnt_dscnt 0x401
	v_mul_f64_e32 v[159:160], v[2:3], v[28:29]
	v_mul_f64_e32 v[28:29], v[4:5], v[28:29]
	v_add_f64_e32 v[14:15], v[14:15], v[18:19]
	v_add_f64_e32 v[16:17], v[20:21], v[157:158]
	s_wait_loadcnt_dscnt 0x300
	v_mul_f64_e32 v[18:19], v[10:11], v[32:33]
	v_mul_f64_e32 v[20:21], v[12:13], v[32:33]
	v_fma_f64 v[22:23], v[4:5], v[26:27], v[159:160]
	v_fma_f64 v[24:25], v[2:3], v[26:27], -v[28:29]
	v_add_f64_e32 v[14:15], v[14:15], v[6:7]
	v_add_f64_e32 v[16:17], v[16:17], v[8:9]
	ds_load_b128 v[2:5], v1 offset:1648
	ds_load_b128 v[6:9], v1 offset:1664
	v_fma_f64 v[12:13], v[12:13], v[30:31], v[18:19]
	v_fma_f64 v[10:11], v[10:11], v[30:31], -v[20:21]
	s_wait_loadcnt_dscnt 0x201
	v_mul_f64_e32 v[26:27], v[2:3], v[36:37]
	v_mul_f64_e32 v[28:29], v[4:5], v[36:37]
	s_wait_loadcnt_dscnt 0x100
	v_mul_f64_e32 v[18:19], v[6:7], v[155:156]
	v_mul_f64_e32 v[20:21], v[8:9], v[155:156]
	v_add_f64_e32 v[14:15], v[14:15], v[24:25]
	v_add_f64_e32 v[16:17], v[16:17], v[22:23]
	v_fma_f64 v[22:23], v[4:5], v[34:35], v[26:27]
	v_fma_f64 v[24:25], v[2:3], v[34:35], -v[28:29]
	ds_load_b128 v[2:5], v1 offset:1680
	v_fma_f64 v[8:9], v[8:9], v[153:154], v[18:19]
	v_fma_f64 v[6:7], v[6:7], v[153:154], -v[20:21]
	v_add_f64_e32 v[10:11], v[14:15], v[10:11]
	v_add_f64_e32 v[12:13], v[16:17], v[12:13]
	s_wait_loadcnt_dscnt 0x0
	v_mul_f64_e32 v[14:15], v[2:3], v[40:41]
	v_mul_f64_e32 v[16:17], v[4:5], v[40:41]
	s_delay_alu instid0(VALU_DEP_4) | instskip(NEXT) | instid1(VALU_DEP_4)
	v_add_f64_e32 v[10:11], v[10:11], v[24:25]
	v_add_f64_e32 v[12:13], v[12:13], v[22:23]
	s_delay_alu instid0(VALU_DEP_4) | instskip(NEXT) | instid1(VALU_DEP_4)
	v_fma_f64 v[4:5], v[4:5], v[38:39], v[14:15]
	v_fma_f64 v[2:3], v[2:3], v[38:39], -v[16:17]
	s_delay_alu instid0(VALU_DEP_4) | instskip(NEXT) | instid1(VALU_DEP_4)
	v_add_f64_e32 v[6:7], v[10:11], v[6:7]
	v_add_f64_e32 v[8:9], v[12:13], v[8:9]
	s_delay_alu instid0(VALU_DEP_2) | instskip(NEXT) | instid1(VALU_DEP_2)
	v_add_f64_e32 v[2:3], v[6:7], v[2:3]
	v_add_f64_e32 v[4:5], v[8:9], v[4:5]
	s_delay_alu instid0(VALU_DEP_2) | instskip(NEXT) | instid1(VALU_DEP_2)
	v_add_f64_e64 v[2:3], v[42:43], -v[2:3]
	v_add_f64_e64 v[4:5], v[44:45], -v[4:5]
	scratch_store_b128 off, v[2:5], off offset:32
	v_cmpx_ne_u32_e32 0, v0
	s_cbranch_execz .LBB52_331
; %bb.330:
	scratch_load_b128 v[5:8], off, off offset:16
	v_dual_mov_b32 v2, v1 :: v_dual_mov_b32 v3, v1
	v_mov_b32_e32 v4, v1
	scratch_store_b128 off, v[1:4], off offset:16
	s_wait_loadcnt 0x0
	ds_store_b128 v152, v[5:8]
.LBB52_331:
	s_wait_alu 0xfffe
	s_or_b32 exec_lo, exec_lo, s0
	s_wait_storecnt_dscnt 0x0
	s_barrier_signal -1
	s_barrier_wait -1
	global_inv scope:SCOPE_SE
	s_clause 0x8
	scratch_load_b128 v[2:5], off, off offset:32
	scratch_load_b128 v[6:9], off, off offset:48
	;; [unrolled: 1-line block ×9, first 2 shown]
	ds_load_b128 v[42:45], v1 offset:864
	ds_load_b128 v[38:41], v1 offset:880
	s_clause 0x1
	scratch_load_b128 v[152:155], off, off offset:16
	scratch_load_b128 v[156:159], off, off offset:176
	s_and_b32 vcc_lo, exec_lo, s18
	s_wait_loadcnt_dscnt 0xa01
	v_mul_f64_e32 v[160:161], v[44:45], v[4:5]
	v_mul_f64_e32 v[4:5], v[42:43], v[4:5]
	s_wait_loadcnt_dscnt 0x900
	v_mul_f64_e32 v[164:165], v[38:39], v[8:9]
	v_mul_f64_e32 v[8:9], v[40:41], v[8:9]
	s_delay_alu instid0(VALU_DEP_4) | instskip(NEXT) | instid1(VALU_DEP_4)
	v_fma_f64 v[166:167], v[42:43], v[2:3], -v[160:161]
	v_fma_f64 v[168:169], v[44:45], v[2:3], v[4:5]
	ds_load_b128 v[2:5], v1 offset:896
	ds_load_b128 v[160:163], v1 offset:912
	scratch_load_b128 v[42:45], off, off offset:192
	v_fma_f64 v[40:41], v[40:41], v[6:7], v[164:165]
	v_fma_f64 v[38:39], v[38:39], v[6:7], -v[8:9]
	scratch_load_b128 v[6:9], off, off offset:208
	s_wait_loadcnt_dscnt 0xa01
	v_mul_f64_e32 v[170:171], v[2:3], v[12:13]
	v_mul_f64_e32 v[12:13], v[4:5], v[12:13]
	v_add_f64_e32 v[164:165], 0, v[166:167]
	v_add_f64_e32 v[166:167], 0, v[168:169]
	s_wait_loadcnt_dscnt 0x900
	v_mul_f64_e32 v[168:169], v[160:161], v[16:17]
	v_mul_f64_e32 v[16:17], v[162:163], v[16:17]
	v_fma_f64 v[170:171], v[4:5], v[10:11], v[170:171]
	v_fma_f64 v[172:173], v[2:3], v[10:11], -v[12:13]
	ds_load_b128 v[2:5], v1 offset:928
	scratch_load_b128 v[10:13], off, off offset:224
	v_add_f64_e32 v[164:165], v[164:165], v[38:39]
	v_add_f64_e32 v[166:167], v[166:167], v[40:41]
	ds_load_b128 v[38:41], v1 offset:944
	v_fma_f64 v[162:163], v[162:163], v[14:15], v[168:169]
	v_fma_f64 v[160:161], v[160:161], v[14:15], -v[16:17]
	scratch_load_b128 v[14:17], off, off offset:240
	s_wait_loadcnt_dscnt 0xa01
	v_mul_f64_e32 v[174:175], v[2:3], v[20:21]
	v_mul_f64_e32 v[20:21], v[4:5], v[20:21]
	s_wait_loadcnt_dscnt 0x900
	v_mul_f64_e32 v[168:169], v[38:39], v[24:25]
	v_mul_f64_e32 v[24:25], v[40:41], v[24:25]
	v_add_f64_e32 v[164:165], v[164:165], v[172:173]
	v_add_f64_e32 v[166:167], v[166:167], v[170:171]
	v_fma_f64 v[170:171], v[4:5], v[18:19], v[174:175]
	v_fma_f64 v[172:173], v[2:3], v[18:19], -v[20:21]
	ds_load_b128 v[2:5], v1 offset:960
	scratch_load_b128 v[18:21], off, off offset:256
	v_fma_f64 v[40:41], v[40:41], v[22:23], v[168:169]
	v_fma_f64 v[38:39], v[38:39], v[22:23], -v[24:25]
	scratch_load_b128 v[22:25], off, off offset:272
	v_add_f64_e32 v[164:165], v[164:165], v[160:161]
	v_add_f64_e32 v[166:167], v[166:167], v[162:163]
	ds_load_b128 v[160:163], v1 offset:976
	s_wait_loadcnt_dscnt 0xa01
	v_mul_f64_e32 v[174:175], v[2:3], v[28:29]
	v_mul_f64_e32 v[28:29], v[4:5], v[28:29]
	s_wait_loadcnt_dscnt 0x900
	v_mul_f64_e32 v[168:169], v[160:161], v[32:33]
	v_mul_f64_e32 v[32:33], v[162:163], v[32:33]
	v_add_f64_e32 v[164:165], v[164:165], v[172:173]
	v_add_f64_e32 v[166:167], v[166:167], v[170:171]
	v_fma_f64 v[170:171], v[4:5], v[26:27], v[174:175]
	v_fma_f64 v[172:173], v[2:3], v[26:27], -v[28:29]
	ds_load_b128 v[2:5], v1 offset:992
	scratch_load_b128 v[26:29], off, off offset:288
	v_fma_f64 v[162:163], v[162:163], v[30:31], v[168:169]
	v_fma_f64 v[160:161], v[160:161], v[30:31], -v[32:33]
	scratch_load_b128 v[30:33], off, off offset:304
	v_add_f64_e32 v[164:165], v[164:165], v[38:39]
	v_add_f64_e32 v[166:167], v[166:167], v[40:41]
	ds_load_b128 v[38:41], v1 offset:1008
	s_wait_loadcnt_dscnt 0xa01
	v_mul_f64_e32 v[174:175], v[2:3], v[36:37]
	v_mul_f64_e32 v[36:37], v[4:5], v[36:37]
	s_wait_loadcnt_dscnt 0x800
	v_mul_f64_e32 v[168:169], v[38:39], v[158:159]
	v_add_f64_e32 v[164:165], v[164:165], v[172:173]
	v_add_f64_e32 v[166:167], v[166:167], v[170:171]
	v_mul_f64_e32 v[170:171], v[40:41], v[158:159]
	v_fma_f64 v[172:173], v[4:5], v[34:35], v[174:175]
	v_fma_f64 v[174:175], v[2:3], v[34:35], -v[36:37]
	ds_load_b128 v[2:5], v1 offset:1024
	scratch_load_b128 v[34:37], off, off offset:320
	v_fma_f64 v[168:169], v[40:41], v[156:157], v[168:169]
	v_add_f64_e32 v[164:165], v[164:165], v[160:161]
	v_add_f64_e32 v[162:163], v[166:167], v[162:163]
	ds_load_b128 v[158:161], v1 offset:1040
	v_fma_f64 v[156:157], v[38:39], v[156:157], -v[170:171]
	scratch_load_b128 v[38:41], off, off offset:336
	s_wait_loadcnt_dscnt 0x901
	v_mul_f64_e32 v[166:167], v[2:3], v[44:45]
	v_mul_f64_e32 v[44:45], v[4:5], v[44:45]
	s_wait_loadcnt_dscnt 0x800
	v_mul_f64_e32 v[170:171], v[158:159], v[8:9]
	v_mul_f64_e32 v[8:9], v[160:161], v[8:9]
	v_add_f64_e32 v[164:165], v[164:165], v[174:175]
	v_add_f64_e32 v[162:163], v[162:163], v[172:173]
	v_fma_f64 v[166:167], v[4:5], v[42:43], v[166:167]
	v_fma_f64 v[172:173], v[2:3], v[42:43], -v[44:45]
	ds_load_b128 v[2:5], v1 offset:1056
	scratch_load_b128 v[42:45], off, off offset:352
	v_fma_f64 v[160:161], v[160:161], v[6:7], v[170:171]
	v_fma_f64 v[158:159], v[158:159], v[6:7], -v[8:9]
	scratch_load_b128 v[6:9], off, off offset:368
	v_add_f64_e32 v[156:157], v[164:165], v[156:157]
	v_add_f64_e32 v[168:169], v[162:163], v[168:169]
	ds_load_b128 v[162:165], v1 offset:1072
	s_wait_loadcnt_dscnt 0x901
	v_mul_f64_e32 v[174:175], v[2:3], v[12:13]
	v_mul_f64_e32 v[12:13], v[4:5], v[12:13]
	v_add_f64_e32 v[156:157], v[156:157], v[172:173]
	v_add_f64_e32 v[166:167], v[168:169], v[166:167]
	s_wait_loadcnt_dscnt 0x800
	v_mul_f64_e32 v[168:169], v[162:163], v[16:17]
	v_mul_f64_e32 v[16:17], v[164:165], v[16:17]
	v_fma_f64 v[170:171], v[4:5], v[10:11], v[174:175]
	v_fma_f64 v[172:173], v[2:3], v[10:11], -v[12:13]
	ds_load_b128 v[2:5], v1 offset:1088
	scratch_load_b128 v[10:13], off, off offset:384
	v_add_f64_e32 v[174:175], v[156:157], v[158:159]
	v_add_f64_e32 v[160:161], v[166:167], v[160:161]
	ds_load_b128 v[156:159], v1 offset:1104
	s_wait_loadcnt_dscnt 0x801
	v_mul_f64_e32 v[166:167], v[2:3], v[20:21]
	v_mul_f64_e32 v[20:21], v[4:5], v[20:21]
	v_fma_f64 v[164:165], v[164:165], v[14:15], v[168:169]
	v_fma_f64 v[162:163], v[162:163], v[14:15], -v[16:17]
	scratch_load_b128 v[14:17], off, off offset:400
	v_add_f64_e32 v[168:169], v[174:175], v[172:173]
	v_add_f64_e32 v[160:161], v[160:161], v[170:171]
	s_wait_loadcnt_dscnt 0x800
	v_mul_f64_e32 v[170:171], v[156:157], v[24:25]
	v_mul_f64_e32 v[24:25], v[158:159], v[24:25]
	v_fma_f64 v[166:167], v[4:5], v[18:19], v[166:167]
	v_fma_f64 v[172:173], v[2:3], v[18:19], -v[20:21]
	ds_load_b128 v[2:5], v1 offset:1120
	scratch_load_b128 v[18:21], off, off offset:416
	v_add_f64_e32 v[168:169], v[168:169], v[162:163]
	v_add_f64_e32 v[164:165], v[160:161], v[164:165]
	ds_load_b128 v[160:163], v1 offset:1136
	s_wait_loadcnt_dscnt 0x801
	v_mul_f64_e32 v[174:175], v[2:3], v[28:29]
	v_mul_f64_e32 v[28:29], v[4:5], v[28:29]
	v_fma_f64 v[158:159], v[158:159], v[22:23], v[170:171]
	v_fma_f64 v[156:157], v[156:157], v[22:23], -v[24:25]
	scratch_load_b128 v[22:25], off, off offset:432
	;; [unrolled: 18-line block ×4, first 2 shown]
	s_wait_loadcnt_dscnt 0x800
	v_mul_f64_e32 v[168:169], v[160:161], v[8:9]
	v_mul_f64_e32 v[8:9], v[162:163], v[8:9]
	v_add_f64_e32 v[166:167], v[166:167], v[172:173]
	v_add_f64_e32 v[164:165], v[164:165], v[170:171]
	v_fma_f64 v[170:171], v[4:5], v[42:43], v[174:175]
	v_fma_f64 v[172:173], v[2:3], v[42:43], -v[44:45]
	ds_load_b128 v[2:5], v1 offset:1216
	scratch_load_b128 v[42:45], off, off offset:512
	v_fma_f64 v[162:163], v[162:163], v[6:7], v[168:169]
	v_fma_f64 v[160:161], v[160:161], v[6:7], -v[8:9]
	scratch_load_b128 v[6:9], off, off offset:528
	v_add_f64_e32 v[166:167], v[166:167], v[156:157]
	v_add_f64_e32 v[164:165], v[164:165], v[158:159]
	ds_load_b128 v[156:159], v1 offset:1232
	s_wait_loadcnt_dscnt 0x901
	v_mul_f64_e32 v[174:175], v[2:3], v[12:13]
	v_mul_f64_e32 v[12:13], v[4:5], v[12:13]
	s_wait_loadcnt_dscnt 0x800
	v_mul_f64_e32 v[168:169], v[156:157], v[16:17]
	v_mul_f64_e32 v[16:17], v[158:159], v[16:17]
	v_add_f64_e32 v[166:167], v[166:167], v[172:173]
	v_add_f64_e32 v[164:165], v[164:165], v[170:171]
	v_fma_f64 v[170:171], v[4:5], v[10:11], v[174:175]
	v_fma_f64 v[172:173], v[2:3], v[10:11], -v[12:13]
	ds_load_b128 v[2:5], v1 offset:1248
	scratch_load_b128 v[10:13], off, off offset:544
	v_fma_f64 v[158:159], v[158:159], v[14:15], v[168:169]
	v_fma_f64 v[156:157], v[156:157], v[14:15], -v[16:17]
	scratch_load_b128 v[14:17], off, off offset:560
	v_add_f64_e32 v[166:167], v[166:167], v[160:161]
	v_add_f64_e32 v[164:165], v[164:165], v[162:163]
	ds_load_b128 v[160:163], v1 offset:1264
	s_wait_loadcnt_dscnt 0x901
	v_mul_f64_e32 v[174:175], v[2:3], v[20:21]
	v_mul_f64_e32 v[20:21], v[4:5], v[20:21]
	;; [unrolled: 18-line block ×11, first 2 shown]
	s_wait_loadcnt_dscnt 0x800
	v_mul_f64_e32 v[168:169], v[156:157], v[16:17]
	v_mul_f64_e32 v[16:17], v[158:159], v[16:17]
	v_add_f64_e32 v[166:167], v[166:167], v[172:173]
	v_add_f64_e32 v[164:165], v[164:165], v[170:171]
	v_fma_f64 v[170:171], v[4:5], v[10:11], v[174:175]
	v_fma_f64 v[172:173], v[2:3], v[10:11], -v[12:13]
	ds_load_b128 v[2:5], v1 offset:1568
	ds_load_b128 v[10:13], v1 offset:1584
	v_fma_f64 v[158:159], v[158:159], v[14:15], v[168:169]
	v_fma_f64 v[14:15], v[156:157], v[14:15], -v[16:17]
	v_add_f64_e32 v[160:161], v[166:167], v[160:161]
	v_add_f64_e32 v[162:163], v[164:165], v[162:163]
	s_wait_loadcnt_dscnt 0x701
	v_mul_f64_e32 v[164:165], v[2:3], v[20:21]
	v_mul_f64_e32 v[20:21], v[4:5], v[20:21]
	s_delay_alu instid0(VALU_DEP_4) | instskip(NEXT) | instid1(VALU_DEP_4)
	v_add_f64_e32 v[16:17], v[160:161], v[172:173]
	v_add_f64_e32 v[156:157], v[162:163], v[170:171]
	s_wait_loadcnt_dscnt 0x600
	v_mul_f64_e32 v[160:161], v[10:11], v[24:25]
	v_mul_f64_e32 v[24:25], v[12:13], v[24:25]
	v_fma_f64 v[162:163], v[4:5], v[18:19], v[164:165]
	v_fma_f64 v[18:19], v[2:3], v[18:19], -v[20:21]
	v_add_f64_e32 v[20:21], v[16:17], v[14:15]
	v_add_f64_e32 v[156:157], v[156:157], v[158:159]
	ds_load_b128 v[2:5], v1 offset:1600
	ds_load_b128 v[14:17], v1 offset:1616
	v_fma_f64 v[12:13], v[12:13], v[22:23], v[160:161]
	v_fma_f64 v[10:11], v[10:11], v[22:23], -v[24:25]
	s_wait_loadcnt_dscnt 0x501
	v_mul_f64_e32 v[158:159], v[2:3], v[28:29]
	v_mul_f64_e32 v[28:29], v[4:5], v[28:29]
	s_wait_loadcnt_dscnt 0x400
	v_mul_f64_e32 v[22:23], v[14:15], v[32:33]
	v_mul_f64_e32 v[24:25], v[16:17], v[32:33]
	v_add_f64_e32 v[18:19], v[20:21], v[18:19]
	v_add_f64_e32 v[20:21], v[156:157], v[162:163]
	v_fma_f64 v[32:33], v[4:5], v[26:27], v[158:159]
	v_fma_f64 v[26:27], v[2:3], v[26:27], -v[28:29]
	v_fma_f64 v[16:17], v[16:17], v[30:31], v[22:23]
	v_fma_f64 v[14:15], v[14:15], v[30:31], -v[24:25]
	v_add_f64_e32 v[18:19], v[18:19], v[10:11]
	v_add_f64_e32 v[20:21], v[20:21], v[12:13]
	ds_load_b128 v[2:5], v1 offset:1632
	ds_load_b128 v[10:13], v1 offset:1648
	s_wait_loadcnt_dscnt 0x301
	v_mul_f64_e32 v[28:29], v[2:3], v[36:37]
	v_mul_f64_e32 v[36:37], v[4:5], v[36:37]
	s_wait_loadcnt_dscnt 0x200
	v_mul_f64_e32 v[22:23], v[10:11], v[40:41]
	v_mul_f64_e32 v[24:25], v[12:13], v[40:41]
	v_add_f64_e32 v[18:19], v[18:19], v[26:27]
	v_add_f64_e32 v[20:21], v[20:21], v[32:33]
	v_fma_f64 v[26:27], v[4:5], v[34:35], v[28:29]
	v_fma_f64 v[28:29], v[2:3], v[34:35], -v[36:37]
	v_fma_f64 v[12:13], v[12:13], v[38:39], v[22:23]
	v_fma_f64 v[10:11], v[10:11], v[38:39], -v[24:25]
	v_add_f64_e32 v[18:19], v[18:19], v[14:15]
	v_add_f64_e32 v[20:21], v[20:21], v[16:17]
	ds_load_b128 v[2:5], v1 offset:1664
	ds_load_b128 v[14:17], v1 offset:1680
	s_wait_loadcnt_dscnt 0x101
	v_mul_f64_e32 v[0:1], v[2:3], v[44:45]
	v_mul_f64_e32 v[30:31], v[4:5], v[44:45]
	s_wait_loadcnt_dscnt 0x0
	v_mul_f64_e32 v[22:23], v[14:15], v[8:9]
	v_mul_f64_e32 v[8:9], v[16:17], v[8:9]
	v_add_f64_e32 v[18:19], v[18:19], v[28:29]
	v_add_f64_e32 v[20:21], v[20:21], v[26:27]
	v_fma_f64 v[0:1], v[4:5], v[42:43], v[0:1]
	v_fma_f64 v[2:3], v[2:3], v[42:43], -v[30:31]
	s_delay_alu instid0(VALU_DEP_4) | instskip(NEXT) | instid1(VALU_DEP_4)
	v_add_f64_e32 v[4:5], v[18:19], v[10:11]
	v_add_f64_e32 v[10:11], v[20:21], v[12:13]
	v_fma_f64 v[12:13], v[16:17], v[6:7], v[22:23]
	v_fma_f64 v[6:7], v[14:15], v[6:7], -v[8:9]
	s_delay_alu instid0(VALU_DEP_4) | instskip(NEXT) | instid1(VALU_DEP_4)
	v_add_f64_e32 v[2:3], v[4:5], v[2:3]
	v_add_f64_e32 v[0:1], v[10:11], v[0:1]
	s_delay_alu instid0(VALU_DEP_2) | instskip(NEXT) | instid1(VALU_DEP_2)
	v_add_f64_e32 v[2:3], v[2:3], v[6:7]
	v_add_f64_e32 v[4:5], v[0:1], v[12:13]
	s_delay_alu instid0(VALU_DEP_2) | instskip(NEXT) | instid1(VALU_DEP_2)
	v_add_f64_e64 v[0:1], v[152:153], -v[2:3]
	v_add_f64_e64 v[2:3], v[154:155], -v[4:5]
	scratch_store_b128 off, v[0:3], off offset:16
	s_wait_alu 0xfffe
	s_cbranch_vccz .LBB52_436
; %bb.332:
	v_mov_b32_e32 v0, 0
	global_load_b32 v1, v0, s[2:3] offset:204
	s_wait_loadcnt 0x0
	v_cmp_ne_u32_e32 vcc_lo, 52, v1
	s_cbranch_vccz .LBB52_334
; %bb.333:
	v_lshlrev_b32_e32 v1, 4, v1
	s_delay_alu instid0(VALU_DEP_1)
	v_add_nc_u32_e32 v9, 16, v1
	s_clause 0x1
	scratch_load_b128 v[1:4], v9, off offset:-16
	scratch_load_b128 v[5:8], off, s20
	s_wait_loadcnt 0x1
	scratch_store_b128 off, v[1:4], s20
	s_wait_loadcnt 0x0
	scratch_store_b128 v9, v[5:8], off offset:-16
.LBB52_334:
	global_load_b32 v0, v0, s[2:3] offset:200
	s_wait_loadcnt 0x0
	v_cmp_eq_u32_e32 vcc_lo, 51, v0
	s_cbranch_vccnz .LBB52_336
; %bb.335:
	v_lshlrev_b32_e32 v0, 4, v0
	s_delay_alu instid0(VALU_DEP_1)
	v_add_nc_u32_e32 v8, 16, v0
	s_clause 0x1
	scratch_load_b128 v[0:3], v8, off offset:-16
	scratch_load_b128 v[4:7], off, s23
	s_wait_loadcnt 0x1
	scratch_store_b128 off, v[0:3], s23
	s_wait_loadcnt 0x0
	scratch_store_b128 v8, v[4:7], off offset:-16
.LBB52_336:
	v_mov_b32_e32 v0, 0
	global_load_b32 v1, v0, s[2:3] offset:196
	s_wait_loadcnt 0x0
	v_cmp_eq_u32_e32 vcc_lo, 50, v1
	s_cbranch_vccnz .LBB52_338
; %bb.337:
	v_lshlrev_b32_e32 v1, 4, v1
	s_delay_alu instid0(VALU_DEP_1)
	v_add_nc_u32_e32 v9, 16, v1
	s_clause 0x1
	scratch_load_b128 v[1:4], v9, off offset:-16
	scratch_load_b128 v[5:8], off, s4
	s_wait_loadcnt 0x1
	scratch_store_b128 off, v[1:4], s4
	s_wait_loadcnt 0x0
	scratch_store_b128 v9, v[5:8], off offset:-16
.LBB52_338:
	global_load_b32 v0, v0, s[2:3] offset:192
	s_wait_loadcnt 0x0
	v_cmp_eq_u32_e32 vcc_lo, 49, v0
	s_cbranch_vccnz .LBB52_340
; %bb.339:
	v_lshlrev_b32_e32 v0, 4, v0
	s_delay_alu instid0(VALU_DEP_1)
	v_add_nc_u32_e32 v8, 16, v0
	s_clause 0x1
	scratch_load_b128 v[0:3], v8, off offset:-16
	scratch_load_b128 v[4:7], off, s5
	s_wait_loadcnt 0x1
	scratch_store_b128 off, v[0:3], s5
	s_wait_loadcnt 0x0
	scratch_store_b128 v8, v[4:7], off offset:-16
.LBB52_340:
	v_mov_b32_e32 v0, 0
	global_load_b32 v1, v0, s[2:3] offset:188
	s_wait_loadcnt 0x0
	v_cmp_eq_u32_e32 vcc_lo, 48, v1
	s_cbranch_vccnz .LBB52_342
; %bb.341:
	v_lshlrev_b32_e32 v1, 4, v1
	s_delay_alu instid0(VALU_DEP_1)
	v_add_nc_u32_e32 v9, 16, v1
	s_clause 0x1
	scratch_load_b128 v[1:4], v9, off offset:-16
	scratch_load_b128 v[5:8], off, s8
	s_wait_loadcnt 0x1
	scratch_store_b128 off, v[1:4], s8
	s_wait_loadcnt 0x0
	scratch_store_b128 v9, v[5:8], off offset:-16
.LBB52_342:
	;; [unrolled: 33-line block ×25, first 2 shown]
	global_load_b32 v0, v0, s[2:3]
	s_wait_loadcnt 0x0
	v_cmp_eq_u32_e32 vcc_lo, 1, v0
	s_cbranch_vccnz .LBB52_436
; %bb.435:
	v_lshlrev_b32_e32 v0, 4, v0
	s_delay_alu instid0(VALU_DEP_1)
	v_add_nc_u32_e32 v8, 16, v0
	scratch_load_b128 v[0:3], v8, off offset:-16
	scratch_load_b128 v[4:7], off, off offset:16
	s_wait_loadcnt 0x1
	scratch_store_b128 off, v[0:3], off offset:16
	s_wait_loadcnt 0x0
	scratch_store_b128 v8, v[4:7], off offset:-16
.LBB52_436:
	scratch_load_b128 v[0:3], off, off offset:16
	s_clause 0x11
	scratch_load_b128 v[4:7], off, s28
	scratch_load_b128 v[8:11], off, s26
	;; [unrolled: 1-line block ×18, first 2 shown]
	s_wait_loadcnt 0x12
	global_store_b128 v[46:47], v[0:3], off
	s_clause 0x2
	scratch_load_b128 v[0:3], off, s47
	scratch_load_b128 v[44:47], off, s46
	;; [unrolled: 1-line block ×3, first 2 shown]
	s_wait_loadcnt 0x14
	global_store_b128 v[48:49], v[4:7], off
	s_wait_loadcnt 0x13
	global_store_b128 v[50:51], v[8:11], off
	s_clause 0x2
	scratch_load_b128 v[4:7], off, s44
	scratch_load_b128 v[8:11], off, s43
	;; [unrolled: 1-line block ×3, first 2 shown]
	s_wait_loadcnt 0x15
	global_store_b128 v[52:53], v[12:15], off
	s_wait_loadcnt 0x14
	global_store_b128 v[54:55], v[16:19], off
	s_clause 0x1
	scratch_load_b128 v[12:15], off, s41
	scratch_load_b128 v[16:19], off, s40
	s_wait_loadcnt 0x15
	global_store_b128 v[56:57], v[20:23], off
	s_clause 0x1
	scratch_load_b128 v[20:23], off, s39
	scratch_load_b128 v[52:55], off, s38
	s_wait_loadcnt 0x16
	global_store_b128 v[58:59], v[24:27], off
	s_clause 0x1
	scratch_load_b128 v[24:27], off, s37
	scratch_load_b128 v[56:59], off, s36
	s_wait_loadcnt 0x17
	global_store_b128 v[60:61], v[28:31], off
	s_wait_loadcnt 0x16
	global_store_b128 v[64:65], v[32:35], off
	s_clause 0x1
	scratch_load_b128 v[28:31], off, s35
	scratch_load_b128 v[32:35], off, s34
	s_wait_loadcnt 0x17
	global_store_b128 v[62:63], v[36:39], off
	s_clause 0x1
	scratch_load_b128 v[36:39], off, s33
	scratch_load_b128 v[60:63], off, s31
	s_wait_loadcnt 0x18
	global_store_b128 v[66:67], v[40:43], off
	s_clause 0x1
	scratch_load_b128 v[40:43], off, s30
	scratch_load_b128 v[64:67], off, s29
	;; [unrolled: 17-line block ×4, first 2 shown]
	s_wait_loadcnt 0x1d
	global_store_b128 v[84:85], v[0:3], off
	s_wait_loadcnt 0x1c
	global_store_b128 v[86:87], v[44:47], off
	s_clause 0x1
	scratch_load_b128 v[0:3], off, s4
	scratch_load_b128 v[44:47], off, s23
	s_wait_loadcnt 0x1d
	global_store_b128 v[88:89], v[184:187], off
	s_clause 0x1
	scratch_load_b128 v[84:87], off, s20
	scratch_load_b128 v[184:187], off, s15
	s_wait_loadcnt 0x1e
	global_store_b128 v[90:91], v[4:7], off
	s_wait_loadcnt 0x1d
	global_store_b128 v[92:93], v[8:11], off
	;; [unrolled: 2-line block ×31, first 2 shown]
	s_nop 0
	s_sendmsg sendmsg(MSG_DEALLOC_VGPRS)
	s_endpgm
	.section	.rodata,"a",@progbits
	.p2align	6, 0x0
	.amdhsa_kernel _ZN9rocsolver6v33100L18getri_kernel_smallILi53E19rocblas_complex_numIdEPS3_EEvT1_iilPiilS6_bb
		.amdhsa_group_segment_fixed_size 1704
		.amdhsa_private_segment_fixed_size 880
		.amdhsa_kernarg_size 60
		.amdhsa_user_sgpr_count 2
		.amdhsa_user_sgpr_dispatch_ptr 0
		.amdhsa_user_sgpr_queue_ptr 0
		.amdhsa_user_sgpr_kernarg_segment_ptr 1
		.amdhsa_user_sgpr_dispatch_id 0
		.amdhsa_user_sgpr_private_segment_size 0
		.amdhsa_wavefront_size32 1
		.amdhsa_uses_dynamic_stack 0
		.amdhsa_enable_private_segment 1
		.amdhsa_system_sgpr_workgroup_id_x 1
		.amdhsa_system_sgpr_workgroup_id_y 0
		.amdhsa_system_sgpr_workgroup_id_z 0
		.amdhsa_system_sgpr_workgroup_info 0
		.amdhsa_system_vgpr_workitem_id 0
		.amdhsa_next_free_vgpr 198
		.amdhsa_next_free_sgpr 86
		.amdhsa_reserve_vcc 1
		.amdhsa_float_round_mode_32 0
		.amdhsa_float_round_mode_16_64 0
		.amdhsa_float_denorm_mode_32 3
		.amdhsa_float_denorm_mode_16_64 3
		.amdhsa_fp16_overflow 0
		.amdhsa_workgroup_processor_mode 1
		.amdhsa_memory_ordered 1
		.amdhsa_forward_progress 1
		.amdhsa_inst_pref_size 255
		.amdhsa_round_robin_scheduling 0
		.amdhsa_exception_fp_ieee_invalid_op 0
		.amdhsa_exception_fp_denorm_src 0
		.amdhsa_exception_fp_ieee_div_zero 0
		.amdhsa_exception_fp_ieee_overflow 0
		.amdhsa_exception_fp_ieee_underflow 0
		.amdhsa_exception_fp_ieee_inexact 0
		.amdhsa_exception_int_div_zero 0
	.end_amdhsa_kernel
	.section	.text._ZN9rocsolver6v33100L18getri_kernel_smallILi53E19rocblas_complex_numIdEPS3_EEvT1_iilPiilS6_bb,"axG",@progbits,_ZN9rocsolver6v33100L18getri_kernel_smallILi53E19rocblas_complex_numIdEPS3_EEvT1_iilPiilS6_bb,comdat
.Lfunc_end52:
	.size	_ZN9rocsolver6v33100L18getri_kernel_smallILi53E19rocblas_complex_numIdEPS3_EEvT1_iilPiilS6_bb, .Lfunc_end52-_ZN9rocsolver6v33100L18getri_kernel_smallILi53E19rocblas_complex_numIdEPS3_EEvT1_iilPiilS6_bb
                                        ; -- End function
	.set _ZN9rocsolver6v33100L18getri_kernel_smallILi53E19rocblas_complex_numIdEPS3_EEvT1_iilPiilS6_bb.num_vgpr, 198
	.set _ZN9rocsolver6v33100L18getri_kernel_smallILi53E19rocblas_complex_numIdEPS3_EEvT1_iilPiilS6_bb.num_agpr, 0
	.set _ZN9rocsolver6v33100L18getri_kernel_smallILi53E19rocblas_complex_numIdEPS3_EEvT1_iilPiilS6_bb.numbered_sgpr, 86
	.set _ZN9rocsolver6v33100L18getri_kernel_smallILi53E19rocblas_complex_numIdEPS3_EEvT1_iilPiilS6_bb.num_named_barrier, 0
	.set _ZN9rocsolver6v33100L18getri_kernel_smallILi53E19rocblas_complex_numIdEPS3_EEvT1_iilPiilS6_bb.private_seg_size, 880
	.set _ZN9rocsolver6v33100L18getri_kernel_smallILi53E19rocblas_complex_numIdEPS3_EEvT1_iilPiilS6_bb.uses_vcc, 1
	.set _ZN9rocsolver6v33100L18getri_kernel_smallILi53E19rocblas_complex_numIdEPS3_EEvT1_iilPiilS6_bb.uses_flat_scratch, 1
	.set _ZN9rocsolver6v33100L18getri_kernel_smallILi53E19rocblas_complex_numIdEPS3_EEvT1_iilPiilS6_bb.has_dyn_sized_stack, 0
	.set _ZN9rocsolver6v33100L18getri_kernel_smallILi53E19rocblas_complex_numIdEPS3_EEvT1_iilPiilS6_bb.has_recursion, 0
	.set _ZN9rocsolver6v33100L18getri_kernel_smallILi53E19rocblas_complex_numIdEPS3_EEvT1_iilPiilS6_bb.has_indirect_call, 0
	.section	.AMDGPU.csdata,"",@progbits
; Kernel info:
; codeLenInByte = 112744
; TotalNumSgprs: 88
; NumVgprs: 198
; ScratchSize: 880
; MemoryBound: 0
; FloatMode: 240
; IeeeMode: 1
; LDSByteSize: 1704 bytes/workgroup (compile time only)
; SGPRBlocks: 0
; VGPRBlocks: 24
; NumSGPRsForWavesPerEU: 88
; NumVGPRsForWavesPerEU: 198
; Occupancy: 7
; WaveLimiterHint : 1
; COMPUTE_PGM_RSRC2:SCRATCH_EN: 1
; COMPUTE_PGM_RSRC2:USER_SGPR: 2
; COMPUTE_PGM_RSRC2:TRAP_HANDLER: 0
; COMPUTE_PGM_RSRC2:TGID_X_EN: 1
; COMPUTE_PGM_RSRC2:TGID_Y_EN: 0
; COMPUTE_PGM_RSRC2:TGID_Z_EN: 0
; COMPUTE_PGM_RSRC2:TIDIG_COMP_CNT: 0
	.section	.text._ZN9rocsolver6v33100L18getri_kernel_smallILi54E19rocblas_complex_numIdEPS3_EEvT1_iilPiilS6_bb,"axG",@progbits,_ZN9rocsolver6v33100L18getri_kernel_smallILi54E19rocblas_complex_numIdEPS3_EEvT1_iilPiilS6_bb,comdat
	.globl	_ZN9rocsolver6v33100L18getri_kernel_smallILi54E19rocblas_complex_numIdEPS3_EEvT1_iilPiilS6_bb ; -- Begin function _ZN9rocsolver6v33100L18getri_kernel_smallILi54E19rocblas_complex_numIdEPS3_EEvT1_iilPiilS6_bb
	.p2align	8
	.type	_ZN9rocsolver6v33100L18getri_kernel_smallILi54E19rocblas_complex_numIdEPS3_EEvT1_iilPiilS6_bb,@function
_ZN9rocsolver6v33100L18getri_kernel_smallILi54E19rocblas_complex_numIdEPS3_EEvT1_iilPiilS6_bb: ; @_ZN9rocsolver6v33100L18getri_kernel_smallILi54E19rocblas_complex_numIdEPS3_EEvT1_iilPiilS6_bb
; %bb.0:
	s_mov_b32 s2, exec_lo
	v_cmpx_gt_u32_e32 54, v0
	s_cbranch_execz .LBB53_230
; %bb.1:
	s_clause 0x2
	s_load_b32 s2, s[0:1], 0x38
	s_load_b128 s[12:15], s[0:1], 0x10
	s_load_b128 s[4:7], s[0:1], 0x28
	s_mov_b32 s16, ttmp9
	s_wait_kmcnt 0x0
	s_bitcmp1_b32 s2, 8
	s_cselect_b32 s18, -1, 0
	s_bfe_u32 s2, s2, 0x10008
	s_ashr_i32 s17, ttmp9, 31
	s_cmp_eq_u32 s2, 0
                                        ; implicit-def: $sgpr2_sgpr3
	s_cbranch_scc1 .LBB53_3
; %bb.2:
	s_load_b32 s2, s[0:1], 0x20
	s_mul_u64 s[4:5], s[4:5], s[16:17]
	s_delay_alu instid0(SALU_CYCLE_1) | instskip(NEXT) | instid1(SALU_CYCLE_1)
	s_lshl_b64 s[4:5], s[4:5], 2
	s_add_nc_u64 s[4:5], s[14:15], s[4:5]
	s_wait_kmcnt 0x0
	s_ashr_i32 s3, s2, 31
	s_delay_alu instid0(SALU_CYCLE_1) | instskip(NEXT) | instid1(SALU_CYCLE_1)
	s_lshl_b64 s[2:3], s[2:3], 2
	s_add_nc_u64 s[2:3], s[4:5], s[2:3]
.LBB53_3:
	s_clause 0x1
	s_load_b128 s[8:11], s[0:1], 0x0
	s_load_b32 s63, s[0:1], 0x38
	s_mul_u64 s[0:1], s[12:13], s[16:17]
	v_lshlrev_b32_e32 v13, 4, v0
	s_lshl_b64 s[0:1], s[0:1], 4
	s_movk_i32 s12, 0xd0
	s_movk_i32 s13, 0xe0
	;; [unrolled: 1-line block ×15, first 2 shown]
	s_wait_kmcnt 0x0
	v_add3_u32 v5, s11, s11, v0
	s_ashr_i32 s5, s10, 31
	s_mov_b32 s4, s10
	s_add_nc_u64 s[0:1], s[8:9], s[0:1]
	s_lshl_b64 s[4:5], s[4:5], 4
	v_add_nc_u32_e32 v7, s11, v5
	v_ashrrev_i32_e32 v6, 31, v5
	s_add_nc_u64 s[0:1], s[0:1], s[4:5]
	s_ashr_i32 s9, s11, 31
	v_add_co_u32 v46, s4, s0, v13
	v_add_nc_u32_e32 v9, s11, v7
	v_ashrrev_i32_e32 v8, 31, v7
	s_mov_b32 s8, s11
	v_lshlrev_b64_e32 v[11:12], 4, v[5:6]
	v_add_co_ci_u32_e64 v47, null, s1, 0, s4
	v_ashrrev_i32_e32 v10, 31, v9
	s_lshl_b64 s[8:9], s[8:9], 4
	v_lshlrev_b64_e32 v[14:15], 4, v[7:8]
	v_add_co_u32 v48, vcc_lo, v46, s8
	s_delay_alu instid0(VALU_DEP_3)
	v_lshlrev_b64_e32 v[18:19], 4, v[9:10]
	v_add_co_ci_u32_e64 v49, null, s9, v47, vcc_lo
	v_add_nc_u32_e32 v16, s11, v9
	v_add_co_u32 v50, vcc_lo, s0, v11
	s_wait_alu 0xfffd
	v_add_co_ci_u32_e64 v51, null, s1, v12, vcc_lo
	v_add_co_u32 v52, vcc_lo, s0, v14
	s_wait_alu 0xfffd
	v_add_co_ci_u32_e64 v53, null, s1, v15, vcc_lo
	v_add_co_u32 v54, vcc_lo, s0, v18
	v_ashrrev_i32_e32 v17, 31, v16
	s_wait_alu 0xfffd
	v_add_co_ci_u32_e64 v55, null, s1, v19, vcc_lo
	s_clause 0x1
	global_load_b128 v[1:4], v13, s[0:1]
	global_load_b128 v[5:8], v[48:49], off
	v_add_nc_u32_e32 v9, s11, v16
	v_lshlrev_b64_e32 v[11:12], 4, v[16:17]
	s_clause 0x2
	global_load_b128 v[14:17], v[50:51], off
	global_load_b128 v[18:21], v[52:53], off
	;; [unrolled: 1-line block ×3, first 2 shown]
	s_movk_i32 s4, 0x70
	v_ashrrev_i32_e32 v10, 31, v9
	s_movk_i32 s5, 0x80
	v_add_co_u32 v58, vcc_lo, s0, v11
	s_wait_alu 0xfffd
	v_add_co_ci_u32_e64 v59, null, s1, v12, vcc_lo
	v_lshlrev_b64_e32 v[26:27], 4, v[9:10]
	v_add_nc_u32_e32 v9, s11, v9
	s_movk_i32 s8, 0x90
	s_movk_i32 s9, 0xa0
	;; [unrolled: 1-line block ×4, first 2 shown]
	v_add_nc_u32_e32 v11, s11, v9
	v_ashrrev_i32_e32 v10, 31, v9
	v_add_co_u32 v56, vcc_lo, s0, v26
	s_wait_alu 0xfffd
	v_add_co_ci_u32_e64 v57, null, s1, v27, vcc_lo
	v_add_nc_u32_e32 v34, s11, v11
	v_lshlrev_b64_e32 v[9:10], 4, v[9:10]
	v_ashrrev_i32_e32 v12, 31, v11
	s_clause 0x1
	global_load_b128 v[26:29], v[58:59], off
	global_load_b128 v[30:33], v[56:57], off
	s_movk_i32 s34, 0x1d0
	v_add_nc_u32_e32 v36, s11, v34
	v_ashrrev_i32_e32 v35, 31, v34
	v_lshlrev_b64_e32 v[11:12], 4, v[11:12]
	v_add_co_u32 v60, vcc_lo, s0, v9
	s_delay_alu instid0(VALU_DEP_4)
	v_add_nc_u32_e32 v38, s11, v36
	v_ashrrev_i32_e32 v37, 31, v36
	s_wait_alu 0xfffd
	v_add_co_ci_u32_e64 v61, null, s1, v10, vcc_lo
	v_lshlrev_b64_e32 v[9:10], 4, v[34:35]
	v_add_nc_u32_e32 v42, s11, v38
	v_ashrrev_i32_e32 v39, 31, v38
	v_lshlrev_b64_e32 v[40:41], 4, v[36:37]
	v_add_co_u32 v62, vcc_lo, s0, v11
	s_delay_alu instid0(VALU_DEP_4)
	v_add_nc_u32_e32 v70, s11, v42
	v_ashrrev_i32_e32 v43, 31, v42
	v_lshlrev_b64_e32 v[38:39], 4, v[38:39]
	s_wait_alu 0xfffd
	v_add_co_ci_u32_e64 v63, null, s1, v12, vcc_lo
	v_add_nc_u32_e32 v74, s11, v70
	v_ashrrev_i32_e32 v71, 31, v70
	v_add_co_u32 v64, vcc_lo, s0, v9
	v_lshlrev_b64_e32 v[72:73], 4, v[42:43]
	s_delay_alu instid0(VALU_DEP_4)
	v_add_nc_u32_e32 v78, s11, v74
	s_wait_alu 0xfffd
	v_add_co_ci_u32_e64 v65, null, s1, v10, vcc_lo
	v_add_co_u32 v66, vcc_lo, s0, v40
	v_lshlrev_b64_e32 v[76:77], 4, v[70:71]
	s_wait_alu 0xfffd
	v_add_co_ci_u32_e64 v67, null, s1, v41, vcc_lo
	v_add_co_u32 v68, vcc_lo, s0, v38
	v_ashrrev_i32_e32 v79, 31, v78
	v_add_nc_u32_e32 v80, s11, v78
	s_wait_alu 0xfffd
	v_add_co_ci_u32_e64 v69, null, s1, v39, vcc_lo
	v_add_co_u32 v70, vcc_lo, s0, v72
	s_wait_alu 0xfffd
	v_add_co_ci_u32_e64 v71, null, s1, v73, vcc_lo
	v_add_co_u32 v72, vcc_lo, s0, v76
	s_clause 0x1
	global_load_b128 v[9:12], v[60:61], off
	global_load_b128 v[34:37], v[62:63], off
	s_wait_alu 0xfffd
	v_add_co_ci_u32_e64 v73, null, s1, v77, vcc_lo
	v_lshlrev_b64_e32 v[76:77], 4, v[78:79]
	v_add_nc_u32_e32 v78, s11, v80
	v_ashrrev_i32_e32 v75, 31, v74
	v_ashrrev_i32_e32 v81, 31, v80
	s_clause 0x3
	global_load_b128 v[38:41], v[64:65], off
	global_load_b128 v[42:45], v[66:67], off
	;; [unrolled: 1-line block ×4, first 2 shown]
	v_add_nc_u32_e32 v82, s11, v78
	v_lshlrev_b64_e32 v[74:75], 4, v[74:75]
	v_ashrrev_i32_e32 v79, 31, v78
	v_lshlrev_b64_e32 v[80:81], 4, v[80:81]
	s_movk_i32 s35, 0x1e0
	v_add_nc_u32_e32 v86, s11, v82
	v_ashrrev_i32_e32 v83, 31, v82
	v_add_co_u32 v74, vcc_lo, s0, v74
	v_lshlrev_b64_e32 v[84:85], 4, v[78:79]
	s_wait_alu 0xfffd
	v_add_co_ci_u32_e64 v75, null, s1, v75, vcc_lo
	v_add_co_u32 v76, vcc_lo, s0, v76
	v_ashrrev_i32_e32 v87, 31, v86
	v_add_nc_u32_e32 v88, s11, v86
	s_wait_alu 0xfffd
	v_add_co_ci_u32_e64 v77, null, s1, v77, vcc_lo
	v_add_co_u32 v78, vcc_lo, s0, v80
	s_wait_alu 0xfffd
	v_add_co_ci_u32_e64 v79, null, s1, v81, vcc_lo
	v_add_co_u32 v80, vcc_lo, s0, v84
	s_wait_alu 0xfffd
	v_add_co_ci_u32_e64 v81, null, s1, v85, vcc_lo
	v_lshlrev_b64_e32 v[84:85], 4, v[86:87]
	v_add_nc_u32_e32 v86, s11, v88
	v_ashrrev_i32_e32 v89, 31, v88
	v_lshlrev_b64_e32 v[82:83], 4, v[82:83]
	s_clause 0x3
	global_load_b128 v[130:133], v[72:73], off
	global_load_b128 v[134:137], v[74:75], off
	;; [unrolled: 1-line block ×4, first 2 shown]
	v_add_nc_u32_e32 v90, s11, v86
	v_ashrrev_i32_e32 v87, 31, v86
	v_lshlrev_b64_e32 v[88:89], 4, v[88:89]
	v_add_co_u32 v82, vcc_lo, s0, v82
	s_delay_alu instid0(VALU_DEP_4) | instskip(NEXT) | instid1(VALU_DEP_4)
	v_add_nc_u32_e32 v94, s11, v90
	v_lshlrev_b64_e32 v[92:93], 4, v[86:87]
	s_wait_alu 0xfffd
	v_add_co_ci_u32_e64 v83, null, s1, v83, vcc_lo
	v_add_co_u32 v84, vcc_lo, s0, v84
	v_ashrrev_i32_e32 v95, 31, v94
	v_add_nc_u32_e32 v96, s11, v94
	s_wait_alu 0xfffd
	v_add_co_ci_u32_e64 v85, null, s1, v85, vcc_lo
	v_add_co_u32 v86, vcc_lo, s0, v88
	s_wait_alu 0xfffd
	v_add_co_ci_u32_e64 v87, null, s1, v89, vcc_lo
	v_add_co_u32 v88, vcc_lo, s0, v92
	s_wait_alu 0xfffd
	v_add_co_ci_u32_e64 v89, null, s1, v93, vcc_lo
	v_lshlrev_b64_e32 v[92:93], 4, v[94:95]
	v_add_nc_u32_e32 v94, s11, v96
	v_ashrrev_i32_e32 v91, 31, v90
	v_ashrrev_i32_e32 v97, 31, v96
	s_clause 0x3
	global_load_b128 v[146:149], v[80:81], off
	global_load_b128 v[150:153], v[82:83], off
	;; [unrolled: 1-line block ×4, first 2 shown]
	v_add_nc_u32_e32 v98, s11, v94
	v_lshlrev_b64_e32 v[90:91], 4, v[90:91]
	v_ashrrev_i32_e32 v95, 31, v94
	v_lshlrev_b64_e32 v[96:97], 4, v[96:97]
	s_movk_i32 s39, 0x1f0
	v_add_nc_u32_e32 v102, s11, v98
	v_ashrrev_i32_e32 v99, 31, v98
	v_add_co_u32 v90, vcc_lo, s0, v90
	v_lshlrev_b64_e32 v[100:101], 4, v[94:95]
	s_wait_alu 0xfffd
	v_add_co_ci_u32_e64 v91, null, s1, v91, vcc_lo
	v_add_co_u32 v92, vcc_lo, s0, v92
	v_ashrrev_i32_e32 v103, 31, v102
	v_add_nc_u32_e32 v104, s11, v102
	s_wait_alu 0xfffd
	v_add_co_ci_u32_e64 v93, null, s1, v93, vcc_lo
	v_add_co_u32 v94, vcc_lo, s0, v96
	s_wait_alu 0xfffd
	v_add_co_ci_u32_e64 v95, null, s1, v97, vcc_lo
	v_add_co_u32 v96, vcc_lo, s0, v100
	s_wait_alu 0xfffd
	v_add_co_ci_u32_e64 v97, null, s1, v101, vcc_lo
	v_lshlrev_b64_e32 v[100:101], 4, v[102:103]
	v_add_nc_u32_e32 v102, s11, v104
	v_lshlrev_b64_e32 v[98:99], 4, v[98:99]
	v_ashrrev_i32_e32 v105, 31, v104
	s_clause 0x3
	global_load_b128 v[162:165], v[88:89], off
	global_load_b128 v[166:169], v[90:91], off
	;; [unrolled: 1-line block ×4, first 2 shown]
	v_add_nc_u32_e32 v106, s11, v102
	v_ashrrev_i32_e32 v103, 31, v102
	v_add_co_u32 v98, vcc_lo, s0, v98
	s_wait_alu 0xfffd
	v_add_co_ci_u32_e64 v99, null, s1, v99, vcc_lo
	v_add_nc_u32_e32 v110, s11, v106
	v_lshlrev_b64_e32 v[104:105], 4, v[104:105]
	v_lshlrev_b64_e32 v[108:109], 4, v[102:103]
	v_ashrrev_i32_e32 v107, 31, v106
	v_add_co_u32 v100, vcc_lo, s0, v100
	v_add_nc_u32_e32 v112, s11, v110
	s_clause 0x1
	global_load_b128 v[178:181], v[96:97], off
	global_load_b128 v[182:185], v[98:99], off
	v_ashrrev_i32_e32 v111, 31, v110
	s_wait_alu 0xfffd
	v_add_co_ci_u32_e64 v101, null, s1, v101, vcc_lo
	v_add_nc_u32_e32 v114, s11, v112
	v_add_co_u32 v102, vcc_lo, s0, v104
	v_ashrrev_i32_e32 v113, 31, v112
	s_wait_alu 0xfffd
	v_add_co_ci_u32_e64 v103, null, s1, v105, vcc_lo
	v_lshlrev_b64_e32 v[106:107], 4, v[106:107]
	v_add_co_u32 v104, vcc_lo, s0, v108
	v_ashrrev_i32_e32 v115, 31, v114
	s_wait_alu 0xfffd
	v_add_co_ci_u32_e64 v105, null, s1, v109, vcc_lo
	v_lshlrev_b64_e32 v[108:109], 4, v[110:111]
	v_lshlrev_b64_e32 v[110:111], 4, v[112:113]
	v_add_co_u32 v106, vcc_lo, s0, v106
	v_lshlrev_b64_e32 v[112:113], 4, v[114:115]
	s_wait_alu 0xfffd
	v_add_co_ci_u32_e64 v107, null, s1, v107, vcc_lo
	v_add_co_u32 v108, vcc_lo, s0, v108
	s_wait_alu 0xfffd
	v_add_co_ci_u32_e64 v109, null, s1, v109, vcc_lo
	v_add_co_u32 v110, vcc_lo, s0, v110
	;; [unrolled: 3-line block ×3, first 2 shown]
	s_wait_alu 0xfffd
	v_add_co_ci_u32_e64 v113, null, s1, v113, vcc_lo
	s_clause 0x1
	global_load_b128 v[186:189], v[100:101], off
	global_load_b128 v[190:193], v[102:103], off
	v_add_nc_u32_e32 v116, s11, v114
	s_movk_i32 s40, 0x200
	s_movk_i32 s48, 0x210
	;; [unrolled: 1-line block ×4, first 2 shown]
	v_ashrrev_i32_e32 v117, 31, v116
	s_movk_i32 s66, 0x240
	s_movk_i32 s67, 0x250
	;; [unrolled: 1-line block ×4, first 2 shown]
	v_lshlrev_b64_e32 v[114:115], 4, v[116:117]
	s_movk_i32 s70, 0x280
	s_movk_i32 s71, 0x290
	s_movk_i32 s72, 0x2a0
	s_movk_i32 s73, 0x2b0
	s_movk_i32 s74, 0x2c0
	v_add_co_u32 v114, vcc_lo, s0, v114
	s_wait_alu 0xfffd
	v_add_co_ci_u32_e64 v115, null, s1, v115, vcc_lo
	s_movk_i32 s75, 0x2d0
	s_movk_i32 s76, 0x2e0
	;; [unrolled: 1-line block ×9, first 2 shown]
	s_wait_alu 0xfffe
	s_add_co_i32 s60, s4, 16
	s_add_co_i32 s59, s5, 16
	;; [unrolled: 1-line block ×45, first 2 shown]
	s_mov_b32 s47, 32
	s_mov_b32 s46, 48
	;; [unrolled: 1-line block ×3, first 2 shown]
	s_movk_i32 s44, 0x50
	s_wait_loadcnt 0x1c
	scratch_store_b128 off, v[1:4], off offset:16
	s_wait_loadcnt 0x1b
	scratch_store_b128 off, v[5:8], off offset:32
	s_clause 0x1
	global_load_b128 v[1:4], v[104:105], off
	global_load_b128 v[5:8], v[106:107], off
	s_wait_loadcnt 0x1c
	scratch_store_b128 off, v[14:17], off offset:48
	s_wait_loadcnt 0x1b
	scratch_store_b128 off, v[18:21], off offset:64
	s_clause 0x1
	global_load_b128 v[14:17], v[108:109], off
	global_load_b128 v[18:21], v[110:111], off
	s_wait_loadcnt 0x1c
	scratch_store_b128 off, v[22:25], off offset:80
	global_load_b128 v[22:25], v[112:113], off
	s_wait_loadcnt 0x1c
	scratch_store_b128 off, v[26:29], off offset:96
	s_wait_loadcnt 0x1b
	scratch_store_b128 off, v[30:33], off offset:112
	v_add_nc_u32_e32 v30, s11, v116
	global_load_b128 v[26:29], v[114:115], off
	v_ashrrev_i32_e32 v31, 31, v30
	v_add_nc_u32_e32 v32, s11, v30
	s_delay_alu instid0(VALU_DEP_1)
	v_ashrrev_i32_e32 v33, 31, v32
	s_wait_loadcnt 0x1b
	scratch_store_b128 off, v[9:12], off offset:128
	v_lshlrev_b64_e32 v[11:12], 4, v[30:31]
	v_add_nc_u32_e32 v9, s11, v32
	s_wait_loadcnt 0x1a
	scratch_store_b128 off, v[34:37], off offset:144
	v_lshlrev_b64_e32 v[30:31], 4, v[32:33]
	s_wait_loadcnt 0x19
	scratch_store_b128 off, v[38:41], off offset:160
	s_wait_loadcnt 0x18
	scratch_store_b128 off, v[42:45], off offset:176
	v_add_co_u32 v116, vcc_lo, s0, v11
	v_add_nc_u32_e32 v11, s11, v9
	v_ashrrev_i32_e32 v10, 31, v9
	s_wait_alu 0xfffd
	v_add_co_ci_u32_e64 v117, null, s1, v12, vcc_lo
	v_add_co_u32 v118, vcc_lo, s0, v30
	v_add_nc_u32_e32 v34, s11, v11
	v_ashrrev_i32_e32 v12, 31, v11
	v_lshlrev_b64_e32 v[9:10], 4, v[9:10]
	s_wait_alu 0xfffd
	v_add_co_ci_u32_e64 v119, null, s1, v31, vcc_lo
	v_add_nc_u32_e32 v194, s11, v34
	v_ashrrev_i32_e32 v35, 31, v34
	v_lshlrev_b64_e32 v[36:37], 4, v[11:12]
	v_add_co_u32 v120, vcc_lo, s0, v9
	s_delay_alu instid0(VALU_DEP_4)
	v_ashrrev_i32_e32 v195, 31, v194
	v_add_nc_u32_e32 v42, s11, v194
	v_lshlrev_b64_e32 v[34:35], 4, v[34:35]
	s_wait_alu 0xfffd
	v_add_co_ci_u32_e64 v121, null, s1, v10, vcc_lo
	v_lshlrev_b64_e32 v[44:45], 4, v[194:195]
	v_add_nc_u32_e32 v194, s11, v42
	s_clause 0x1
	global_load_b128 v[9:12], v[116:117], off
	global_load_b128 v[30:33], v[118:119], off
	s_wait_loadcnt 0x19
	scratch_store_b128 off, v[122:125], off offset:192
	v_add_co_u32 v122, vcc_lo, s0, v36
	s_wait_loadcnt 0x18
	scratch_store_b128 off, v[126:129], off offset:208
	s_wait_loadcnt 0x17
	scratch_store_b128 off, v[130:133], off offset:224
	v_add_nc_u32_e32 v130, s11, v194
	v_ashrrev_i32_e32 v43, 31, v42
	s_wait_alu 0xfffd
	v_add_co_ci_u32_e64 v123, null, s1, v37, vcc_lo
	v_ashrrev_i32_e32 v195, 31, v194
	v_add_co_u32 v124, vcc_lo, s0, v34
	v_ashrrev_i32_e32 v131, 31, v130
	s_wait_alu 0xfffd
	v_add_co_ci_u32_e64 v125, null, s1, v35, vcc_lo
	s_clause 0x1
	global_load_b128 v[34:37], v[120:121], off
	global_load_b128 v[38:41], v[122:123], off
	v_lshlrev_b64_e32 v[42:43], 4, v[42:43]
	s_wait_loadcnt 0x18
	scratch_store_b128 off, v[134:137], off offset:240
	v_add_nc_u32_e32 v134, s11, v130
	v_lshlrev_b64_e32 v[132:133], 4, v[194:195]
	v_add_co_u32 v126, vcc_lo, s0, v44
	v_lshlrev_b64_e32 v[136:137], 4, v[130:131]
	s_wait_loadcnt 0x17
	scratch_store_b128 off, v[138:141], off offset:256
	s_wait_loadcnt 0x16
	scratch_store_b128 off, v[142:145], off offset:272
	v_add_nc_u32_e32 v138, s11, v134
	s_wait_alu 0xfffd
	v_add_co_ci_u32_e64 v127, null, s1, v45, vcc_lo
	v_add_co_u32 v128, vcc_lo, s0, v42
	s_wait_alu 0xfffd
	v_add_co_ci_u32_e64 v129, null, s1, v43, vcc_lo
	v_add_co_u32 v130, vcc_lo, s0, v132
	s_wait_alu 0xfffd
	v_add_co_ci_u32_e64 v131, null, s1, v133, vcc_lo
	v_add_co_u32 v132, vcc_lo, s0, v136
	v_add_nc_u32_e32 v136, s11, v138
	v_ashrrev_i32_e32 v135, 31, v134
	v_ashrrev_i32_e32 v139, 31, v138
	s_wait_alu 0xfffd
	v_add_co_ci_u32_e64 v133, null, s1, v137, vcc_lo
	v_add_nc_u32_e32 v140, s11, v136
	v_ashrrev_i32_e32 v137, 31, v136
	v_lshlrev_b64_e32 v[134:135], 4, v[134:135]
	v_lshlrev_b64_e32 v[138:139], 4, v[138:139]
	s_clause 0x1
	global_load_b128 v[42:45], v[124:125], off
	global_load_b128 v[194:197], v[126:127], off
	v_add_nc_u32_e32 v144, s11, v140
	v_lshlrev_b64_e32 v[142:143], 4, v[136:137]
	s_wait_loadcnt 0x17
	scratch_store_b128 off, v[146:149], off offset:288
	v_add_co_u32 v134, vcc_lo, s0, v134
	v_ashrrev_i32_e32 v145, 31, v144
	v_add_nc_u32_e32 v146, s11, v144
	s_wait_alu 0xfffd
	v_add_co_ci_u32_e64 v135, null, s1, v135, vcc_lo
	v_add_co_u32 v136, vcc_lo, s0, v138
	s_wait_alu 0xfffd
	v_add_co_ci_u32_e64 v137, null, s1, v139, vcc_lo
	v_add_co_u32 v138, vcc_lo, s0, v142
	s_wait_alu 0xfffd
	v_add_co_ci_u32_e64 v139, null, s1, v143, vcc_lo
	v_lshlrev_b64_e32 v[142:143], 4, v[144:145]
	v_add_nc_u32_e32 v144, s11, v146
	v_ashrrev_i32_e32 v141, 31, v140
	v_ashrrev_i32_e32 v147, 31, v146
	s_wait_loadcnt 0x16
	scratch_store_b128 off, v[150:153], off offset:304
	s_wait_loadcnt 0x15
	scratch_store_b128 off, v[154:157], off offset:320
	s_clause 0x1
	global_load_b128 v[154:157], v[128:129], off
	global_load_b128 v[198:201], v[130:131], off
	v_add_nc_u32_e32 v148, s11, v144
	v_lshlrev_b64_e32 v[140:141], 4, v[140:141]
	v_ashrrev_i32_e32 v145, 31, v144
	s_wait_loadcnt 0x16
	scratch_store_b128 off, v[158:161], off offset:336
	s_wait_loadcnt 0x15
	scratch_store_b128 off, v[162:165], off offset:352
	s_wait_loadcnt 0x14
	scratch_store_b128 off, v[166:169], off offset:368
	v_add_nc_u32_e32 v152, s11, v148
	v_lshlrev_b64_e32 v[146:147], 4, v[146:147]
	s_clause 0x1
	global_load_b128 v[158:161], v[132:133], off
	global_load_b128 v[162:165], v[134:135], off
	s_wait_loadcnt 0x15
	scratch_store_b128 off, v[170:173], off offset:384
	s_wait_loadcnt 0x14
	scratch_store_b128 off, v[174:177], off offset:400
	;; [unrolled: 2-line block ×3, first 2 shown]
	v_add_co_u32 v140, vcc_lo, s0, v140
	s_clause 0x1
	global_load_b128 v[166:169], v[136:137], off
	global_load_b128 v[170:173], v[138:139], off
	s_wait_loadcnt 0x14
	scratch_store_b128 off, v[182:185], off offset:432
	v_lshlrev_b64_e32 v[150:151], 4, v[144:145]
	v_add_nc_u32_e32 v182, s11, v152
	v_ashrrev_i32_e32 v149, 31, v148
	s_wait_alu 0xfffd
	v_add_co_ci_u32_e64 v141, null, s1, v141, vcc_lo
	v_add_co_u32 v142, vcc_lo, s0, v142
	v_ashrrev_i32_e32 v153, 31, v152
	s_wait_alu 0xfffd
	v_add_co_ci_u32_e64 v143, null, s1, v143, vcc_lo
	v_add_co_u32 v144, vcc_lo, s0, v146
	v_ashrrev_i32_e32 v183, 31, v182
	s_wait_alu 0xfffd
	v_add_co_ci_u32_e64 v145, null, s1, v147, vcc_lo
	v_lshlrev_b64_e32 v[148:149], 4, v[148:149]
	v_add_co_u32 v146, vcc_lo, s0, v150
	s_wait_alu 0xfffd
	v_add_co_ci_u32_e64 v147, null, s1, v151, vcc_lo
	v_lshlrev_b64_e32 v[150:151], 4, v[152:153]
	v_lshlrev_b64_e32 v[152:153], 4, v[182:183]
	v_add_co_u32 v148, vcc_lo, s0, v148
	s_wait_alu 0xfffd
	v_add_co_ci_u32_e64 v149, null, s1, v149, vcc_lo
	s_delay_alu instid0(VALU_DEP_4)
	v_add_co_u32 v150, vcc_lo, s0, v150
	s_wait_alu 0xfffd
	v_add_co_ci_u32_e64 v151, null, s1, v151, vcc_lo
	v_add_co_u32 v152, vcc_lo, s0, v152
	s_wait_alu 0xfffd
	v_add_co_ci_u32_e64 v153, null, s1, v153, vcc_lo
	s_wait_loadcnt 0x13
	scratch_store_b128 off, v[186:189], off offset:448
	s_wait_loadcnt 0x12
	scratch_store_b128 off, v[190:193], off offset:464
	s_clause 0x1
	global_load_b128 v[174:177], v[140:141], off
	global_load_b128 v[178:181], v[142:143], off
	s_movk_i32 s0, 0x50
	s_movk_i32 s1, 0x60
	;; [unrolled: 1-line block ×3, first 2 shown]
	s_wait_alu 0xfffe
	s_add_co_i32 s62, s0, 16
	s_add_co_i32 s61, s1, 16
	s_add_co_i32 s55, s11, 16
	s_add_co_i32 s11, s72, 16
	s_bitcmp0_b32 s63, 0
	s_mov_b32 s1, -1
	s_wait_loadcnt 0x13
	scratch_store_b128 off, v[1:4], off offset:480
	s_wait_loadcnt 0x12
	scratch_store_b128 off, v[5:8], off offset:496
	;; [unrolled: 2-line block ×3, first 2 shown]
	s_clause 0x1
	global_load_b128 v[1:4], v[144:145], off
	global_load_b128 v[5:8], v[146:147], off
	s_wait_loadcnt 0x12
	scratch_store_b128 off, v[18:21], off offset:528
	s_clause 0x1
	global_load_b128 v[14:17], v[148:149], off
	global_load_b128 v[18:21], v[150:151], off
	s_wait_loadcnt 0x13
	scratch_store_b128 off, v[22:25], off offset:544
	global_load_b128 v[22:25], v[152:153], off
	s_wait_loadcnt 0x13
	scratch_store_b128 off, v[26:29], off offset:560
	s_wait_loadcnt 0x12
	scratch_store_b128 off, v[9:12], off offset:576
	;; [unrolled: 2-line block ×20, first 2 shown]
	s_cbranch_scc1 .LBB53_228
; %bb.4:
	v_cmp_eq_u32_e64 s0, 0, v0
	s_and_saveexec_b32 s1, s0
; %bb.5:
	v_mov_b32_e32 v1, 0
	ds_store_b32 v1, v1 offset:1728
; %bb.6:
	s_wait_alu 0xfffe
	s_or_b32 exec_lo, exec_lo, s1
	s_wait_storecnt_dscnt 0x0
	s_barrier_signal -1
	s_barrier_wait -1
	global_inv scope:SCOPE_SE
	scratch_load_b128 v[1:4], v13, off offset:16
	s_wait_loadcnt 0x0
	v_cmp_eq_f64_e32 vcc_lo, 0, v[1:2]
	v_cmp_eq_f64_e64 s1, 0, v[3:4]
	s_and_b32 s1, vcc_lo, s1
	s_wait_alu 0xfffe
	s_and_saveexec_b32 s63, s1
	s_cbranch_execz .LBB53_10
; %bb.7:
	v_mov_b32_e32 v1, 0
	s_mov_b32 s64, 0
	ds_load_b32 v2, v1 offset:1728
	s_wait_dscnt 0x0
	v_readfirstlane_b32 s1, v2
	v_add_nc_u32_e32 v2, 1, v0
	s_cmp_eq_u32 s1, 0
	s_delay_alu instid0(VALU_DEP_1) | instskip(SKIP_1) | instid1(SALU_CYCLE_1)
	v_cmp_gt_i32_e32 vcc_lo, s1, v2
	s_cselect_b32 s65, -1, 0
	s_or_b32 s65, s65, vcc_lo
	s_delay_alu instid0(SALU_CYCLE_1)
	s_and_b32 exec_lo, exec_lo, s65
	s_cbranch_execz .LBB53_10
; %bb.8:
	v_mov_b32_e32 v3, s1
.LBB53_9:                               ; =>This Inner Loop Header: Depth=1
	ds_cmpstore_rtn_b32 v3, v1, v2, v3 offset:1728
	s_wait_dscnt 0x0
	v_cmp_ne_u32_e32 vcc_lo, 0, v3
	v_cmp_le_i32_e64 s1, v3, v2
	s_and_b32 s1, vcc_lo, s1
	s_wait_alu 0xfffe
	s_and_b32 s1, exec_lo, s1
	s_wait_alu 0xfffe
	s_or_b32 s64, s1, s64
	s_delay_alu instid0(SALU_CYCLE_1)
	s_and_not1_b32 exec_lo, exec_lo, s64
	s_cbranch_execnz .LBB53_9
.LBB53_10:
	s_or_b32 exec_lo, exec_lo, s63
	v_mov_b32_e32 v1, 0
	s_barrier_signal -1
	s_barrier_wait -1
	global_inv scope:SCOPE_SE
	ds_load_b32 v2, v1 offset:1728
	s_and_saveexec_b32 s1, s0
	s_cbranch_execz .LBB53_12
; %bb.11:
	s_lshl_b64 s[64:65], s[16:17], 2
	s_delay_alu instid0(SALU_CYCLE_1)
	s_add_nc_u64 s[64:65], s[6:7], s[64:65]
	s_wait_dscnt 0x0
	global_store_b32 v1, v2, s[64:65]
.LBB53_12:
	s_wait_alu 0xfffe
	s_or_b32 exec_lo, exec_lo, s1
	s_wait_dscnt 0x0
	v_cmp_ne_u32_e32 vcc_lo, 0, v2
	s_mov_b32 s1, 0
	s_cbranch_vccnz .LBB53_228
; %bb.13:
	v_add_nc_u32_e32 v14, 16, v13
                                        ; implicit-def: $vgpr1_vgpr2
                                        ; implicit-def: $vgpr9_vgpr10
	scratch_load_b128 v[5:8], v14, off
	s_wait_loadcnt 0x0
	v_cmp_ngt_f64_e64 s1, |v[5:6]|, |v[7:8]|
	s_wait_alu 0xfffe
	s_and_saveexec_b32 s63, s1
	s_delay_alu instid0(SALU_CYCLE_1)
	s_xor_b32 s1, exec_lo, s63
	s_cbranch_execz .LBB53_15
; %bb.14:
	v_div_scale_f64 v[1:2], null, v[7:8], v[7:8], v[5:6]
	v_div_scale_f64 v[11:12], vcc_lo, v[5:6], v[7:8], v[5:6]
	s_delay_alu instid0(VALU_DEP_2) | instskip(NEXT) | instid1(TRANS32_DEP_1)
	v_rcp_f64_e32 v[3:4], v[1:2]
	v_fma_f64 v[9:10], -v[1:2], v[3:4], 1.0
	s_delay_alu instid0(VALU_DEP_1) | instskip(NEXT) | instid1(VALU_DEP_1)
	v_fma_f64 v[3:4], v[3:4], v[9:10], v[3:4]
	v_fma_f64 v[9:10], -v[1:2], v[3:4], 1.0
	s_delay_alu instid0(VALU_DEP_1) | instskip(NEXT) | instid1(VALU_DEP_1)
	v_fma_f64 v[3:4], v[3:4], v[9:10], v[3:4]
	v_mul_f64_e32 v[9:10], v[11:12], v[3:4]
	s_delay_alu instid0(VALU_DEP_1) | instskip(SKIP_1) | instid1(VALU_DEP_1)
	v_fma_f64 v[1:2], -v[1:2], v[9:10], v[11:12]
	s_wait_alu 0xfffd
	v_div_fmas_f64 v[1:2], v[1:2], v[3:4], v[9:10]
	s_delay_alu instid0(VALU_DEP_1) | instskip(NEXT) | instid1(VALU_DEP_1)
	v_div_fixup_f64 v[1:2], v[1:2], v[7:8], v[5:6]
	v_fma_f64 v[3:4], v[5:6], v[1:2], v[7:8]
	s_delay_alu instid0(VALU_DEP_1) | instskip(SKIP_1) | instid1(VALU_DEP_2)
	v_div_scale_f64 v[5:6], null, v[3:4], v[3:4], 1.0
	v_div_scale_f64 v[11:12], vcc_lo, 1.0, v[3:4], 1.0
	v_rcp_f64_e32 v[7:8], v[5:6]
	s_delay_alu instid0(TRANS32_DEP_1) | instskip(NEXT) | instid1(VALU_DEP_1)
	v_fma_f64 v[9:10], -v[5:6], v[7:8], 1.0
	v_fma_f64 v[7:8], v[7:8], v[9:10], v[7:8]
	s_delay_alu instid0(VALU_DEP_1) | instskip(NEXT) | instid1(VALU_DEP_1)
	v_fma_f64 v[9:10], -v[5:6], v[7:8], 1.0
	v_fma_f64 v[7:8], v[7:8], v[9:10], v[7:8]
	s_delay_alu instid0(VALU_DEP_1) | instskip(NEXT) | instid1(VALU_DEP_1)
	v_mul_f64_e32 v[9:10], v[11:12], v[7:8]
	v_fma_f64 v[5:6], -v[5:6], v[9:10], v[11:12]
	s_wait_alu 0xfffd
	s_delay_alu instid0(VALU_DEP_1) | instskip(NEXT) | instid1(VALU_DEP_1)
	v_div_fmas_f64 v[5:6], v[5:6], v[7:8], v[9:10]
	v_div_fixup_f64 v[3:4], v[5:6], v[3:4], 1.0
                                        ; implicit-def: $vgpr5_vgpr6
	s_delay_alu instid0(VALU_DEP_1) | instskip(SKIP_1) | instid1(VALU_DEP_2)
	v_mul_f64_e32 v[1:2], v[1:2], v[3:4]
	v_xor_b32_e32 v4, 0x80000000, v4
	v_xor_b32_e32 v10, 0x80000000, v2
	s_delay_alu instid0(VALU_DEP_3)
	v_mov_b32_e32 v9, v1
.LBB53_15:
	s_wait_alu 0xfffe
	s_and_not1_saveexec_b32 s1, s1
	s_cbranch_execz .LBB53_17
; %bb.16:
	v_div_scale_f64 v[1:2], null, v[5:6], v[5:6], v[7:8]
	v_div_scale_f64 v[11:12], vcc_lo, v[7:8], v[5:6], v[7:8]
	s_delay_alu instid0(VALU_DEP_2) | instskip(NEXT) | instid1(TRANS32_DEP_1)
	v_rcp_f64_e32 v[3:4], v[1:2]
	v_fma_f64 v[9:10], -v[1:2], v[3:4], 1.0
	s_delay_alu instid0(VALU_DEP_1) | instskip(NEXT) | instid1(VALU_DEP_1)
	v_fma_f64 v[3:4], v[3:4], v[9:10], v[3:4]
	v_fma_f64 v[9:10], -v[1:2], v[3:4], 1.0
	s_delay_alu instid0(VALU_DEP_1) | instskip(NEXT) | instid1(VALU_DEP_1)
	v_fma_f64 v[3:4], v[3:4], v[9:10], v[3:4]
	v_mul_f64_e32 v[9:10], v[11:12], v[3:4]
	s_delay_alu instid0(VALU_DEP_1) | instskip(SKIP_1) | instid1(VALU_DEP_1)
	v_fma_f64 v[1:2], -v[1:2], v[9:10], v[11:12]
	s_wait_alu 0xfffd
	v_div_fmas_f64 v[1:2], v[1:2], v[3:4], v[9:10]
	s_delay_alu instid0(VALU_DEP_1) | instskip(NEXT) | instid1(VALU_DEP_1)
	v_div_fixup_f64 v[3:4], v[1:2], v[5:6], v[7:8]
	v_fma_f64 v[1:2], v[7:8], v[3:4], v[5:6]
	s_delay_alu instid0(VALU_DEP_1) | instskip(NEXT) | instid1(VALU_DEP_1)
	v_div_scale_f64 v[5:6], null, v[1:2], v[1:2], 1.0
	v_rcp_f64_e32 v[7:8], v[5:6]
	s_delay_alu instid0(TRANS32_DEP_1) | instskip(NEXT) | instid1(VALU_DEP_1)
	v_fma_f64 v[9:10], -v[5:6], v[7:8], 1.0
	v_fma_f64 v[7:8], v[7:8], v[9:10], v[7:8]
	s_delay_alu instid0(VALU_DEP_1) | instskip(NEXT) | instid1(VALU_DEP_1)
	v_fma_f64 v[9:10], -v[5:6], v[7:8], 1.0
	v_fma_f64 v[7:8], v[7:8], v[9:10], v[7:8]
	v_div_scale_f64 v[9:10], vcc_lo, 1.0, v[1:2], 1.0
	s_delay_alu instid0(VALU_DEP_1) | instskip(NEXT) | instid1(VALU_DEP_1)
	v_mul_f64_e32 v[11:12], v[9:10], v[7:8]
	v_fma_f64 v[5:6], -v[5:6], v[11:12], v[9:10]
	s_wait_alu 0xfffd
	s_delay_alu instid0(VALU_DEP_1) | instskip(NEXT) | instid1(VALU_DEP_1)
	v_div_fmas_f64 v[5:6], v[5:6], v[7:8], v[11:12]
	v_div_fixup_f64 v[1:2], v[5:6], v[1:2], 1.0
	s_delay_alu instid0(VALU_DEP_1)
	v_mul_f64_e64 v[3:4], v[3:4], -v[1:2]
	v_xor_b32_e32 v10, 0x80000000, v2
	v_mov_b32_e32 v9, v1
.LBB53_17:
	s_wait_alu 0xfffe
	s_or_b32 exec_lo, exec_lo, s1
	scratch_store_b128 v14, v[1:4], off
	scratch_load_b128 v[15:18], off, s47
	v_xor_b32_e32 v12, 0x80000000, v4
	v_mov_b32_e32 v11, v3
	v_add_nc_u32_e32 v5, 0x360, v13
	ds_store_b128 v13, v[9:12]
	s_wait_loadcnt 0x0
	ds_store_b128 v13, v[15:18] offset:864
	s_wait_storecnt_dscnt 0x0
	s_barrier_signal -1
	s_barrier_wait -1
	global_inv scope:SCOPE_SE
	s_and_saveexec_b32 s1, s0
	s_cbranch_execz .LBB53_19
; %bb.18:
	scratch_load_b128 v[1:4], v14, off
	ds_load_b128 v[6:9], v5
	v_mov_b32_e32 v10, 0
	ds_load_b128 v[15:18], v10 offset:16
	s_wait_loadcnt_dscnt 0x1
	v_mul_f64_e32 v[10:11], v[6:7], v[3:4]
	v_mul_f64_e32 v[3:4], v[8:9], v[3:4]
	s_delay_alu instid0(VALU_DEP_2) | instskip(NEXT) | instid1(VALU_DEP_2)
	v_fma_f64 v[8:9], v[8:9], v[1:2], v[10:11]
	v_fma_f64 v[1:2], v[6:7], v[1:2], -v[3:4]
	s_delay_alu instid0(VALU_DEP_2) | instskip(NEXT) | instid1(VALU_DEP_2)
	v_add_f64_e32 v[3:4], 0, v[8:9]
	v_add_f64_e32 v[1:2], 0, v[1:2]
	s_wait_dscnt 0x0
	s_delay_alu instid0(VALU_DEP_2) | instskip(NEXT) | instid1(VALU_DEP_2)
	v_mul_f64_e32 v[6:7], v[3:4], v[17:18]
	v_mul_f64_e32 v[8:9], v[1:2], v[17:18]
	s_delay_alu instid0(VALU_DEP_2) | instskip(NEXT) | instid1(VALU_DEP_2)
	v_fma_f64 v[1:2], v[1:2], v[15:16], -v[6:7]
	v_fma_f64 v[3:4], v[3:4], v[15:16], v[8:9]
	scratch_store_b128 off, v[1:4], off offset:32
.LBB53_19:
	s_wait_alu 0xfffe
	s_or_b32 exec_lo, exec_lo, s1
	s_wait_loadcnt 0x0
	s_wait_storecnt 0x0
	s_barrier_signal -1
	s_barrier_wait -1
	global_inv scope:SCOPE_SE
	scratch_load_b128 v[1:4], off, s46
	s_mov_b32 s1, exec_lo
	s_wait_loadcnt 0x0
	ds_store_b128 v5, v[1:4]
	s_wait_dscnt 0x0
	s_barrier_signal -1
	s_barrier_wait -1
	global_inv scope:SCOPE_SE
	v_cmpx_gt_u32_e32 2, v0
	s_cbranch_execz .LBB53_23
; %bb.20:
	scratch_load_b128 v[1:4], v14, off
	ds_load_b128 v[6:9], v5
	s_wait_loadcnt_dscnt 0x0
	v_mul_f64_e32 v[10:11], v[8:9], v[3:4]
	v_mul_f64_e32 v[3:4], v[6:7], v[3:4]
	s_delay_alu instid0(VALU_DEP_2) | instskip(NEXT) | instid1(VALU_DEP_2)
	v_fma_f64 v[6:7], v[6:7], v[1:2], -v[10:11]
	v_fma_f64 v[3:4], v[8:9], v[1:2], v[3:4]
	s_delay_alu instid0(VALU_DEP_2) | instskip(NEXT) | instid1(VALU_DEP_2)
	v_add_f64_e32 v[1:2], 0, v[6:7]
	v_add_f64_e32 v[3:4], 0, v[3:4]
	s_and_saveexec_b32 s63, s0
	s_cbranch_execz .LBB53_22
; %bb.21:
	scratch_load_b128 v[6:9], off, off offset:32
	v_mov_b32_e32 v10, 0
	ds_load_b128 v[15:18], v10 offset:880
	s_wait_loadcnt_dscnt 0x0
	v_mul_f64_e32 v[10:11], v[15:16], v[8:9]
	v_mul_f64_e32 v[8:9], v[17:18], v[8:9]
	s_delay_alu instid0(VALU_DEP_2) | instskip(NEXT) | instid1(VALU_DEP_2)
	v_fma_f64 v[10:11], v[17:18], v[6:7], v[10:11]
	v_fma_f64 v[6:7], v[15:16], v[6:7], -v[8:9]
	s_delay_alu instid0(VALU_DEP_2) | instskip(NEXT) | instid1(VALU_DEP_2)
	v_add_f64_e32 v[3:4], v[3:4], v[10:11]
	v_add_f64_e32 v[1:2], v[1:2], v[6:7]
.LBB53_22:
	s_or_b32 exec_lo, exec_lo, s63
	v_mov_b32_e32 v6, 0
	ds_load_b128 v[6:9], v6 offset:32
	s_wait_dscnt 0x0
	v_mul_f64_e32 v[10:11], v[3:4], v[8:9]
	v_mul_f64_e32 v[8:9], v[1:2], v[8:9]
	s_delay_alu instid0(VALU_DEP_2) | instskip(NEXT) | instid1(VALU_DEP_2)
	v_fma_f64 v[1:2], v[1:2], v[6:7], -v[10:11]
	v_fma_f64 v[3:4], v[3:4], v[6:7], v[8:9]
	scratch_store_b128 off, v[1:4], off offset:48
.LBB53_23:
	s_wait_alu 0xfffe
	s_or_b32 exec_lo, exec_lo, s1
	s_wait_loadcnt 0x0
	s_wait_storecnt 0x0
	s_barrier_signal -1
	s_barrier_wait -1
	global_inv scope:SCOPE_SE
	scratch_load_b128 v[1:4], off, s45
	v_add_nc_u32_e32 v6, -1, v0
	s_mov_b32 s0, exec_lo
	s_wait_loadcnt 0x0
	ds_store_b128 v5, v[1:4]
	s_wait_dscnt 0x0
	s_barrier_signal -1
	s_barrier_wait -1
	global_inv scope:SCOPE_SE
	v_cmpx_gt_u32_e32 3, v0
	s_cbranch_execz .LBB53_27
; %bb.24:
	v_dual_mov_b32 v1, 0 :: v_dual_add_nc_u32 v8, 0x360, v13
	v_mov_b32_e32 v3, 0
	v_dual_mov_b32 v2, 0 :: v_dual_add_nc_u32 v7, -1, v0
	v_mov_b32_e32 v4, 0
	v_or_b32_e32 v9, 8, v14
	s_mov_b32 s1, 0
.LBB53_25:                              ; =>This Inner Loop Header: Depth=1
	scratch_load_b128 v[15:18], v9, off offset:-8
	ds_load_b128 v[19:22], v8
	v_add_nc_u32_e32 v7, 1, v7
	v_add_nc_u32_e32 v8, 16, v8
	v_add_nc_u32_e32 v9, 16, v9
	s_delay_alu instid0(VALU_DEP_3)
	v_cmp_lt_u32_e32 vcc_lo, 1, v7
	s_wait_alu 0xfffe
	s_or_b32 s1, vcc_lo, s1
	s_wait_loadcnt_dscnt 0x0
	v_mul_f64_e32 v[10:11], v[21:22], v[17:18]
	v_mul_f64_e32 v[17:18], v[19:20], v[17:18]
	s_delay_alu instid0(VALU_DEP_2) | instskip(NEXT) | instid1(VALU_DEP_2)
	v_fma_f64 v[10:11], v[19:20], v[15:16], -v[10:11]
	v_fma_f64 v[15:16], v[21:22], v[15:16], v[17:18]
	s_delay_alu instid0(VALU_DEP_2) | instskip(NEXT) | instid1(VALU_DEP_2)
	v_add_f64_e32 v[3:4], v[3:4], v[10:11]
	v_add_f64_e32 v[1:2], v[1:2], v[15:16]
	s_wait_alu 0xfffe
	s_and_not1_b32 exec_lo, exec_lo, s1
	s_cbranch_execnz .LBB53_25
; %bb.26:
	s_or_b32 exec_lo, exec_lo, s1
	v_mov_b32_e32 v7, 0
	ds_load_b128 v[7:10], v7 offset:48
	s_wait_dscnt 0x0
	v_mul_f64_e32 v[11:12], v[1:2], v[9:10]
	v_mul_f64_e32 v[15:16], v[3:4], v[9:10]
	s_delay_alu instid0(VALU_DEP_2) | instskip(NEXT) | instid1(VALU_DEP_2)
	v_fma_f64 v[9:10], v[3:4], v[7:8], -v[11:12]
	v_fma_f64 v[11:12], v[1:2], v[7:8], v[15:16]
	scratch_store_b128 off, v[9:12], off offset:64
.LBB53_27:
	s_wait_alu 0xfffe
	s_or_b32 exec_lo, exec_lo, s0
	s_wait_loadcnt 0x0
	s_wait_storecnt 0x0
	s_barrier_signal -1
	s_barrier_wait -1
	global_inv scope:SCOPE_SE
	scratch_load_b128 v[1:4], off, s44
	s_mov_b32 s0, exec_lo
	s_wait_loadcnt 0x0
	ds_store_b128 v5, v[1:4]
	s_wait_dscnt 0x0
	s_barrier_signal -1
	s_barrier_wait -1
	global_inv scope:SCOPE_SE
	v_cmpx_gt_u32_e32 4, v0
	s_cbranch_execz .LBB53_31
; %bb.28:
	v_dual_mov_b32 v1, 0 :: v_dual_add_nc_u32 v8, 0x360, v13
	v_mov_b32_e32 v3, 0
	v_dual_mov_b32 v2, 0 :: v_dual_add_nc_u32 v7, -1, v0
	v_mov_b32_e32 v4, 0
	v_or_b32_e32 v9, 8, v14
	s_mov_b32 s1, 0
.LBB53_29:                              ; =>This Inner Loop Header: Depth=1
	scratch_load_b128 v[15:18], v9, off offset:-8
	ds_load_b128 v[19:22], v8
	v_add_nc_u32_e32 v7, 1, v7
	v_add_nc_u32_e32 v8, 16, v8
	v_add_nc_u32_e32 v9, 16, v9
	s_delay_alu instid0(VALU_DEP_3)
	v_cmp_lt_u32_e32 vcc_lo, 2, v7
	s_wait_alu 0xfffe
	s_or_b32 s1, vcc_lo, s1
	s_wait_loadcnt_dscnt 0x0
	v_mul_f64_e32 v[10:11], v[21:22], v[17:18]
	v_mul_f64_e32 v[17:18], v[19:20], v[17:18]
	s_delay_alu instid0(VALU_DEP_2) | instskip(NEXT) | instid1(VALU_DEP_2)
	v_fma_f64 v[10:11], v[19:20], v[15:16], -v[10:11]
	v_fma_f64 v[15:16], v[21:22], v[15:16], v[17:18]
	s_delay_alu instid0(VALU_DEP_2) | instskip(NEXT) | instid1(VALU_DEP_2)
	v_add_f64_e32 v[3:4], v[3:4], v[10:11]
	v_add_f64_e32 v[1:2], v[1:2], v[15:16]
	s_wait_alu 0xfffe
	s_and_not1_b32 exec_lo, exec_lo, s1
	s_cbranch_execnz .LBB53_29
; %bb.30:
	s_or_b32 exec_lo, exec_lo, s1
	v_mov_b32_e32 v7, 0
	ds_load_b128 v[7:10], v7 offset:64
	s_wait_dscnt 0x0
	v_mul_f64_e32 v[11:12], v[1:2], v[9:10]
	v_mul_f64_e32 v[15:16], v[3:4], v[9:10]
	s_delay_alu instid0(VALU_DEP_2) | instskip(NEXT) | instid1(VALU_DEP_2)
	v_fma_f64 v[9:10], v[3:4], v[7:8], -v[11:12]
	v_fma_f64 v[11:12], v[1:2], v[7:8], v[15:16]
	scratch_store_b128 off, v[9:12], off offset:80
.LBB53_31:
	s_wait_alu 0xfffe
	s_or_b32 exec_lo, exec_lo, s0
	s_wait_loadcnt 0x0
	s_wait_storecnt 0x0
	s_barrier_signal -1
	s_barrier_wait -1
	global_inv scope:SCOPE_SE
	scratch_load_b128 v[1:4], off, s62
	s_mov_b32 s0, exec_lo
	s_wait_loadcnt 0x0
	ds_store_b128 v5, v[1:4]
	s_wait_dscnt 0x0
	s_barrier_signal -1
	s_barrier_wait -1
	global_inv scope:SCOPE_SE
	v_cmpx_gt_u32_e32 5, v0
	s_cbranch_execz .LBB53_35
; %bb.32:
	v_dual_mov_b32 v1, 0 :: v_dual_add_nc_u32 v8, 0x360, v13
	v_mov_b32_e32 v3, 0
	v_dual_mov_b32 v2, 0 :: v_dual_add_nc_u32 v7, -1, v0
	v_mov_b32_e32 v4, 0
	v_or_b32_e32 v9, 8, v14
	s_mov_b32 s1, 0
.LBB53_33:                              ; =>This Inner Loop Header: Depth=1
	scratch_load_b128 v[15:18], v9, off offset:-8
	ds_load_b128 v[19:22], v8
	v_add_nc_u32_e32 v7, 1, v7
	v_add_nc_u32_e32 v8, 16, v8
	v_add_nc_u32_e32 v9, 16, v9
	s_delay_alu instid0(VALU_DEP_3)
	v_cmp_lt_u32_e32 vcc_lo, 3, v7
	s_wait_alu 0xfffe
	s_or_b32 s1, vcc_lo, s1
	s_wait_loadcnt_dscnt 0x0
	v_mul_f64_e32 v[10:11], v[21:22], v[17:18]
	v_mul_f64_e32 v[17:18], v[19:20], v[17:18]
	s_delay_alu instid0(VALU_DEP_2) | instskip(NEXT) | instid1(VALU_DEP_2)
	v_fma_f64 v[10:11], v[19:20], v[15:16], -v[10:11]
	v_fma_f64 v[15:16], v[21:22], v[15:16], v[17:18]
	s_delay_alu instid0(VALU_DEP_2) | instskip(NEXT) | instid1(VALU_DEP_2)
	v_add_f64_e32 v[3:4], v[3:4], v[10:11]
	v_add_f64_e32 v[1:2], v[1:2], v[15:16]
	s_wait_alu 0xfffe
	s_and_not1_b32 exec_lo, exec_lo, s1
	s_cbranch_execnz .LBB53_33
; %bb.34:
	s_or_b32 exec_lo, exec_lo, s1
	v_mov_b32_e32 v7, 0
	ds_load_b128 v[7:10], v7 offset:80
	s_wait_dscnt 0x0
	v_mul_f64_e32 v[11:12], v[1:2], v[9:10]
	v_mul_f64_e32 v[15:16], v[3:4], v[9:10]
	s_delay_alu instid0(VALU_DEP_2) | instskip(NEXT) | instid1(VALU_DEP_2)
	v_fma_f64 v[9:10], v[3:4], v[7:8], -v[11:12]
	v_fma_f64 v[11:12], v[1:2], v[7:8], v[15:16]
	scratch_store_b128 off, v[9:12], off offset:96
.LBB53_35:
	s_wait_alu 0xfffe
	s_or_b32 exec_lo, exec_lo, s0
	s_wait_loadcnt 0x0
	s_wait_storecnt 0x0
	s_barrier_signal -1
	s_barrier_wait -1
	global_inv scope:SCOPE_SE
	scratch_load_b128 v[1:4], off, s61
	s_mov_b32 s0, exec_lo
	s_wait_loadcnt 0x0
	ds_store_b128 v5, v[1:4]
	s_wait_dscnt 0x0
	s_barrier_signal -1
	s_barrier_wait -1
	global_inv scope:SCOPE_SE
	v_cmpx_gt_u32_e32 6, v0
	s_cbranch_execz .LBB53_39
; %bb.36:
	v_dual_mov_b32 v1, 0 :: v_dual_add_nc_u32 v8, 0x360, v13
	v_mov_b32_e32 v3, 0
	v_dual_mov_b32 v2, 0 :: v_dual_add_nc_u32 v7, -1, v0
	v_mov_b32_e32 v4, 0
	v_or_b32_e32 v9, 8, v14
	s_mov_b32 s1, 0
.LBB53_37:                              ; =>This Inner Loop Header: Depth=1
	scratch_load_b128 v[15:18], v9, off offset:-8
	ds_load_b128 v[19:22], v8
	v_add_nc_u32_e32 v7, 1, v7
	v_add_nc_u32_e32 v8, 16, v8
	v_add_nc_u32_e32 v9, 16, v9
	s_delay_alu instid0(VALU_DEP_3)
	v_cmp_lt_u32_e32 vcc_lo, 4, v7
	s_wait_alu 0xfffe
	s_or_b32 s1, vcc_lo, s1
	s_wait_loadcnt_dscnt 0x0
	v_mul_f64_e32 v[10:11], v[21:22], v[17:18]
	v_mul_f64_e32 v[17:18], v[19:20], v[17:18]
	s_delay_alu instid0(VALU_DEP_2) | instskip(NEXT) | instid1(VALU_DEP_2)
	v_fma_f64 v[10:11], v[19:20], v[15:16], -v[10:11]
	v_fma_f64 v[15:16], v[21:22], v[15:16], v[17:18]
	s_delay_alu instid0(VALU_DEP_2) | instskip(NEXT) | instid1(VALU_DEP_2)
	v_add_f64_e32 v[3:4], v[3:4], v[10:11]
	v_add_f64_e32 v[1:2], v[1:2], v[15:16]
	s_wait_alu 0xfffe
	s_and_not1_b32 exec_lo, exec_lo, s1
	s_cbranch_execnz .LBB53_37
; %bb.38:
	s_or_b32 exec_lo, exec_lo, s1
	v_mov_b32_e32 v7, 0
	ds_load_b128 v[7:10], v7 offset:96
	s_wait_dscnt 0x0
	v_mul_f64_e32 v[11:12], v[1:2], v[9:10]
	v_mul_f64_e32 v[15:16], v[3:4], v[9:10]
	s_delay_alu instid0(VALU_DEP_2) | instskip(NEXT) | instid1(VALU_DEP_2)
	v_fma_f64 v[9:10], v[3:4], v[7:8], -v[11:12]
	v_fma_f64 v[11:12], v[1:2], v[7:8], v[15:16]
	scratch_store_b128 off, v[9:12], off offset:112
.LBB53_39:
	s_wait_alu 0xfffe
	s_or_b32 exec_lo, exec_lo, s0
	s_wait_loadcnt 0x0
	s_wait_storecnt 0x0
	s_barrier_signal -1
	s_barrier_wait -1
	global_inv scope:SCOPE_SE
	scratch_load_b128 v[1:4], off, s60
	s_mov_b32 s0, exec_lo
	s_wait_loadcnt 0x0
	ds_store_b128 v5, v[1:4]
	s_wait_dscnt 0x0
	s_barrier_signal -1
	s_barrier_wait -1
	global_inv scope:SCOPE_SE
	v_cmpx_gt_u32_e32 7, v0
	s_cbranch_execz .LBB53_43
; %bb.40:
	v_dual_mov_b32 v1, 0 :: v_dual_add_nc_u32 v8, 0x360, v13
	v_mov_b32_e32 v3, 0
	v_dual_mov_b32 v2, 0 :: v_dual_add_nc_u32 v7, -1, v0
	v_mov_b32_e32 v4, 0
	v_or_b32_e32 v9, 8, v14
	s_mov_b32 s1, 0
.LBB53_41:                              ; =>This Inner Loop Header: Depth=1
	scratch_load_b128 v[15:18], v9, off offset:-8
	ds_load_b128 v[19:22], v8
	v_add_nc_u32_e32 v7, 1, v7
	v_add_nc_u32_e32 v8, 16, v8
	v_add_nc_u32_e32 v9, 16, v9
	s_delay_alu instid0(VALU_DEP_3)
	v_cmp_lt_u32_e32 vcc_lo, 5, v7
	s_wait_alu 0xfffe
	s_or_b32 s1, vcc_lo, s1
	s_wait_loadcnt_dscnt 0x0
	v_mul_f64_e32 v[10:11], v[21:22], v[17:18]
	v_mul_f64_e32 v[17:18], v[19:20], v[17:18]
	s_delay_alu instid0(VALU_DEP_2) | instskip(NEXT) | instid1(VALU_DEP_2)
	v_fma_f64 v[10:11], v[19:20], v[15:16], -v[10:11]
	v_fma_f64 v[15:16], v[21:22], v[15:16], v[17:18]
	s_delay_alu instid0(VALU_DEP_2) | instskip(NEXT) | instid1(VALU_DEP_2)
	v_add_f64_e32 v[3:4], v[3:4], v[10:11]
	v_add_f64_e32 v[1:2], v[1:2], v[15:16]
	s_wait_alu 0xfffe
	s_and_not1_b32 exec_lo, exec_lo, s1
	s_cbranch_execnz .LBB53_41
; %bb.42:
	s_or_b32 exec_lo, exec_lo, s1
	v_mov_b32_e32 v7, 0
	ds_load_b128 v[7:10], v7 offset:112
	s_wait_dscnt 0x0
	v_mul_f64_e32 v[11:12], v[1:2], v[9:10]
	v_mul_f64_e32 v[15:16], v[3:4], v[9:10]
	s_delay_alu instid0(VALU_DEP_2) | instskip(NEXT) | instid1(VALU_DEP_2)
	v_fma_f64 v[9:10], v[3:4], v[7:8], -v[11:12]
	v_fma_f64 v[11:12], v[1:2], v[7:8], v[15:16]
	scratch_store_b128 off, v[9:12], off offset:128
.LBB53_43:
	s_wait_alu 0xfffe
	s_or_b32 exec_lo, exec_lo, s0
	s_wait_loadcnt 0x0
	s_wait_storecnt 0x0
	s_barrier_signal -1
	s_barrier_wait -1
	global_inv scope:SCOPE_SE
	scratch_load_b128 v[1:4], off, s59
	s_mov_b32 s0, exec_lo
	s_wait_loadcnt 0x0
	ds_store_b128 v5, v[1:4]
	s_wait_dscnt 0x0
	s_barrier_signal -1
	s_barrier_wait -1
	global_inv scope:SCOPE_SE
	v_cmpx_gt_u32_e32 8, v0
	s_cbranch_execz .LBB53_47
; %bb.44:
	v_dual_mov_b32 v1, 0 :: v_dual_add_nc_u32 v8, 0x360, v13
	v_mov_b32_e32 v3, 0
	v_dual_mov_b32 v2, 0 :: v_dual_add_nc_u32 v7, -1, v0
	v_mov_b32_e32 v4, 0
	v_or_b32_e32 v9, 8, v14
	s_mov_b32 s1, 0
.LBB53_45:                              ; =>This Inner Loop Header: Depth=1
	scratch_load_b128 v[15:18], v9, off offset:-8
	ds_load_b128 v[19:22], v8
	v_add_nc_u32_e32 v7, 1, v7
	v_add_nc_u32_e32 v8, 16, v8
	v_add_nc_u32_e32 v9, 16, v9
	s_delay_alu instid0(VALU_DEP_3)
	v_cmp_lt_u32_e32 vcc_lo, 6, v7
	s_wait_alu 0xfffe
	s_or_b32 s1, vcc_lo, s1
	s_wait_loadcnt_dscnt 0x0
	v_mul_f64_e32 v[10:11], v[21:22], v[17:18]
	v_mul_f64_e32 v[17:18], v[19:20], v[17:18]
	s_delay_alu instid0(VALU_DEP_2) | instskip(NEXT) | instid1(VALU_DEP_2)
	v_fma_f64 v[10:11], v[19:20], v[15:16], -v[10:11]
	v_fma_f64 v[15:16], v[21:22], v[15:16], v[17:18]
	s_delay_alu instid0(VALU_DEP_2) | instskip(NEXT) | instid1(VALU_DEP_2)
	v_add_f64_e32 v[3:4], v[3:4], v[10:11]
	v_add_f64_e32 v[1:2], v[1:2], v[15:16]
	s_wait_alu 0xfffe
	s_and_not1_b32 exec_lo, exec_lo, s1
	s_cbranch_execnz .LBB53_45
; %bb.46:
	s_or_b32 exec_lo, exec_lo, s1
	v_mov_b32_e32 v7, 0
	ds_load_b128 v[7:10], v7 offset:128
	s_wait_dscnt 0x0
	v_mul_f64_e32 v[11:12], v[1:2], v[9:10]
	v_mul_f64_e32 v[15:16], v[3:4], v[9:10]
	s_delay_alu instid0(VALU_DEP_2) | instskip(NEXT) | instid1(VALU_DEP_2)
	v_fma_f64 v[9:10], v[3:4], v[7:8], -v[11:12]
	v_fma_f64 v[11:12], v[1:2], v[7:8], v[15:16]
	scratch_store_b128 off, v[9:12], off offset:144
.LBB53_47:
	s_wait_alu 0xfffe
	s_or_b32 exec_lo, exec_lo, s0
	s_wait_loadcnt 0x0
	s_wait_storecnt 0x0
	s_barrier_signal -1
	s_barrier_wait -1
	global_inv scope:SCOPE_SE
	scratch_load_b128 v[1:4], off, s58
	s_mov_b32 s0, exec_lo
	s_wait_loadcnt 0x0
	ds_store_b128 v5, v[1:4]
	s_wait_dscnt 0x0
	s_barrier_signal -1
	s_barrier_wait -1
	global_inv scope:SCOPE_SE
	v_cmpx_gt_u32_e32 9, v0
	s_cbranch_execz .LBB53_51
; %bb.48:
	v_dual_mov_b32 v1, 0 :: v_dual_add_nc_u32 v8, 0x360, v13
	v_mov_b32_e32 v3, 0
	v_dual_mov_b32 v2, 0 :: v_dual_add_nc_u32 v7, -1, v0
	v_mov_b32_e32 v4, 0
	v_or_b32_e32 v9, 8, v14
	s_mov_b32 s1, 0
.LBB53_49:                              ; =>This Inner Loop Header: Depth=1
	scratch_load_b128 v[15:18], v9, off offset:-8
	ds_load_b128 v[19:22], v8
	v_add_nc_u32_e32 v7, 1, v7
	v_add_nc_u32_e32 v8, 16, v8
	v_add_nc_u32_e32 v9, 16, v9
	s_delay_alu instid0(VALU_DEP_3)
	v_cmp_lt_u32_e32 vcc_lo, 7, v7
	s_wait_alu 0xfffe
	s_or_b32 s1, vcc_lo, s1
	s_wait_loadcnt_dscnt 0x0
	v_mul_f64_e32 v[10:11], v[21:22], v[17:18]
	v_mul_f64_e32 v[17:18], v[19:20], v[17:18]
	s_delay_alu instid0(VALU_DEP_2) | instskip(NEXT) | instid1(VALU_DEP_2)
	v_fma_f64 v[10:11], v[19:20], v[15:16], -v[10:11]
	v_fma_f64 v[15:16], v[21:22], v[15:16], v[17:18]
	s_delay_alu instid0(VALU_DEP_2) | instskip(NEXT) | instid1(VALU_DEP_2)
	v_add_f64_e32 v[3:4], v[3:4], v[10:11]
	v_add_f64_e32 v[1:2], v[1:2], v[15:16]
	s_wait_alu 0xfffe
	s_and_not1_b32 exec_lo, exec_lo, s1
	s_cbranch_execnz .LBB53_49
; %bb.50:
	s_or_b32 exec_lo, exec_lo, s1
	v_mov_b32_e32 v7, 0
	ds_load_b128 v[7:10], v7 offset:144
	s_wait_dscnt 0x0
	v_mul_f64_e32 v[11:12], v[1:2], v[9:10]
	v_mul_f64_e32 v[15:16], v[3:4], v[9:10]
	s_delay_alu instid0(VALU_DEP_2) | instskip(NEXT) | instid1(VALU_DEP_2)
	v_fma_f64 v[9:10], v[3:4], v[7:8], -v[11:12]
	v_fma_f64 v[11:12], v[1:2], v[7:8], v[15:16]
	scratch_store_b128 off, v[9:12], off offset:160
.LBB53_51:
	s_wait_alu 0xfffe
	s_or_b32 exec_lo, exec_lo, s0
	s_wait_loadcnt 0x0
	s_wait_storecnt 0x0
	s_barrier_signal -1
	s_barrier_wait -1
	global_inv scope:SCOPE_SE
	scratch_load_b128 v[1:4], off, s57
	s_mov_b32 s0, exec_lo
	s_wait_loadcnt 0x0
	ds_store_b128 v5, v[1:4]
	s_wait_dscnt 0x0
	s_barrier_signal -1
	s_barrier_wait -1
	global_inv scope:SCOPE_SE
	v_cmpx_gt_u32_e32 10, v0
	s_cbranch_execz .LBB53_55
; %bb.52:
	v_dual_mov_b32 v1, 0 :: v_dual_add_nc_u32 v8, 0x360, v13
	v_mov_b32_e32 v3, 0
	v_dual_mov_b32 v2, 0 :: v_dual_add_nc_u32 v7, -1, v0
	v_mov_b32_e32 v4, 0
	v_or_b32_e32 v9, 8, v14
	s_mov_b32 s1, 0
.LBB53_53:                              ; =>This Inner Loop Header: Depth=1
	scratch_load_b128 v[15:18], v9, off offset:-8
	ds_load_b128 v[19:22], v8
	v_add_nc_u32_e32 v7, 1, v7
	v_add_nc_u32_e32 v8, 16, v8
	v_add_nc_u32_e32 v9, 16, v9
	s_delay_alu instid0(VALU_DEP_3)
	v_cmp_lt_u32_e32 vcc_lo, 8, v7
	s_wait_alu 0xfffe
	s_or_b32 s1, vcc_lo, s1
	s_wait_loadcnt_dscnt 0x0
	v_mul_f64_e32 v[10:11], v[21:22], v[17:18]
	v_mul_f64_e32 v[17:18], v[19:20], v[17:18]
	s_delay_alu instid0(VALU_DEP_2) | instskip(NEXT) | instid1(VALU_DEP_2)
	v_fma_f64 v[10:11], v[19:20], v[15:16], -v[10:11]
	v_fma_f64 v[15:16], v[21:22], v[15:16], v[17:18]
	s_delay_alu instid0(VALU_DEP_2) | instskip(NEXT) | instid1(VALU_DEP_2)
	v_add_f64_e32 v[3:4], v[3:4], v[10:11]
	v_add_f64_e32 v[1:2], v[1:2], v[15:16]
	s_wait_alu 0xfffe
	s_and_not1_b32 exec_lo, exec_lo, s1
	s_cbranch_execnz .LBB53_53
; %bb.54:
	s_or_b32 exec_lo, exec_lo, s1
	v_mov_b32_e32 v7, 0
	ds_load_b128 v[7:10], v7 offset:160
	s_wait_dscnt 0x0
	v_mul_f64_e32 v[11:12], v[1:2], v[9:10]
	v_mul_f64_e32 v[15:16], v[3:4], v[9:10]
	s_delay_alu instid0(VALU_DEP_2) | instskip(NEXT) | instid1(VALU_DEP_2)
	v_fma_f64 v[9:10], v[3:4], v[7:8], -v[11:12]
	v_fma_f64 v[11:12], v[1:2], v[7:8], v[15:16]
	scratch_store_b128 off, v[9:12], off offset:176
.LBB53_55:
	s_wait_alu 0xfffe
	s_or_b32 exec_lo, exec_lo, s0
	s_wait_loadcnt 0x0
	s_wait_storecnt 0x0
	s_barrier_signal -1
	s_barrier_wait -1
	global_inv scope:SCOPE_SE
	scratch_load_b128 v[1:4], off, s56
	s_mov_b32 s0, exec_lo
	s_wait_loadcnt 0x0
	ds_store_b128 v5, v[1:4]
	s_wait_dscnt 0x0
	s_barrier_signal -1
	s_barrier_wait -1
	global_inv scope:SCOPE_SE
	v_cmpx_gt_u32_e32 11, v0
	s_cbranch_execz .LBB53_59
; %bb.56:
	v_dual_mov_b32 v1, 0 :: v_dual_add_nc_u32 v8, 0x360, v13
	v_mov_b32_e32 v3, 0
	v_dual_mov_b32 v2, 0 :: v_dual_add_nc_u32 v7, -1, v0
	v_mov_b32_e32 v4, 0
	v_or_b32_e32 v9, 8, v14
	s_mov_b32 s1, 0
.LBB53_57:                              ; =>This Inner Loop Header: Depth=1
	scratch_load_b128 v[15:18], v9, off offset:-8
	ds_load_b128 v[19:22], v8
	v_add_nc_u32_e32 v7, 1, v7
	v_add_nc_u32_e32 v8, 16, v8
	v_add_nc_u32_e32 v9, 16, v9
	s_delay_alu instid0(VALU_DEP_3)
	v_cmp_lt_u32_e32 vcc_lo, 9, v7
	s_wait_alu 0xfffe
	s_or_b32 s1, vcc_lo, s1
	s_wait_loadcnt_dscnt 0x0
	v_mul_f64_e32 v[10:11], v[21:22], v[17:18]
	v_mul_f64_e32 v[17:18], v[19:20], v[17:18]
	s_delay_alu instid0(VALU_DEP_2) | instskip(NEXT) | instid1(VALU_DEP_2)
	v_fma_f64 v[10:11], v[19:20], v[15:16], -v[10:11]
	v_fma_f64 v[15:16], v[21:22], v[15:16], v[17:18]
	s_delay_alu instid0(VALU_DEP_2) | instskip(NEXT) | instid1(VALU_DEP_2)
	v_add_f64_e32 v[3:4], v[3:4], v[10:11]
	v_add_f64_e32 v[1:2], v[1:2], v[15:16]
	s_wait_alu 0xfffe
	s_and_not1_b32 exec_lo, exec_lo, s1
	s_cbranch_execnz .LBB53_57
; %bb.58:
	s_or_b32 exec_lo, exec_lo, s1
	v_mov_b32_e32 v7, 0
	ds_load_b128 v[7:10], v7 offset:176
	s_wait_dscnt 0x0
	v_mul_f64_e32 v[11:12], v[1:2], v[9:10]
	v_mul_f64_e32 v[15:16], v[3:4], v[9:10]
	s_delay_alu instid0(VALU_DEP_2) | instskip(NEXT) | instid1(VALU_DEP_2)
	v_fma_f64 v[9:10], v[3:4], v[7:8], -v[11:12]
	v_fma_f64 v[11:12], v[1:2], v[7:8], v[15:16]
	scratch_store_b128 off, v[9:12], off offset:192
.LBB53_59:
	s_wait_alu 0xfffe
	s_or_b32 exec_lo, exec_lo, s0
	s_wait_loadcnt 0x0
	s_wait_storecnt 0x0
	s_barrier_signal -1
	s_barrier_wait -1
	global_inv scope:SCOPE_SE
	scratch_load_b128 v[1:4], off, s55
	s_mov_b32 s0, exec_lo
	s_wait_loadcnt 0x0
	ds_store_b128 v5, v[1:4]
	s_wait_dscnt 0x0
	s_barrier_signal -1
	s_barrier_wait -1
	global_inv scope:SCOPE_SE
	v_cmpx_gt_u32_e32 12, v0
	s_cbranch_execz .LBB53_63
; %bb.60:
	v_dual_mov_b32 v1, 0 :: v_dual_add_nc_u32 v8, 0x360, v13
	v_mov_b32_e32 v3, 0
	v_dual_mov_b32 v2, 0 :: v_dual_add_nc_u32 v7, -1, v0
	v_mov_b32_e32 v4, 0
	v_or_b32_e32 v9, 8, v14
	s_mov_b32 s1, 0
.LBB53_61:                              ; =>This Inner Loop Header: Depth=1
	scratch_load_b128 v[15:18], v9, off offset:-8
	ds_load_b128 v[19:22], v8
	v_add_nc_u32_e32 v7, 1, v7
	v_add_nc_u32_e32 v8, 16, v8
	v_add_nc_u32_e32 v9, 16, v9
	s_delay_alu instid0(VALU_DEP_3)
	v_cmp_lt_u32_e32 vcc_lo, 10, v7
	s_wait_alu 0xfffe
	s_or_b32 s1, vcc_lo, s1
	s_wait_loadcnt_dscnt 0x0
	v_mul_f64_e32 v[10:11], v[21:22], v[17:18]
	v_mul_f64_e32 v[17:18], v[19:20], v[17:18]
	s_delay_alu instid0(VALU_DEP_2) | instskip(NEXT) | instid1(VALU_DEP_2)
	v_fma_f64 v[10:11], v[19:20], v[15:16], -v[10:11]
	v_fma_f64 v[15:16], v[21:22], v[15:16], v[17:18]
	s_delay_alu instid0(VALU_DEP_2) | instskip(NEXT) | instid1(VALU_DEP_2)
	v_add_f64_e32 v[3:4], v[3:4], v[10:11]
	v_add_f64_e32 v[1:2], v[1:2], v[15:16]
	s_wait_alu 0xfffe
	s_and_not1_b32 exec_lo, exec_lo, s1
	s_cbranch_execnz .LBB53_61
; %bb.62:
	s_or_b32 exec_lo, exec_lo, s1
	v_mov_b32_e32 v7, 0
	ds_load_b128 v[7:10], v7 offset:192
	s_wait_dscnt 0x0
	v_mul_f64_e32 v[11:12], v[1:2], v[9:10]
	v_mul_f64_e32 v[15:16], v[3:4], v[9:10]
	s_delay_alu instid0(VALU_DEP_2) | instskip(NEXT) | instid1(VALU_DEP_2)
	v_fma_f64 v[9:10], v[3:4], v[7:8], -v[11:12]
	v_fma_f64 v[11:12], v[1:2], v[7:8], v[15:16]
	scratch_store_b128 off, v[9:12], off offset:208
.LBB53_63:
	s_wait_alu 0xfffe
	s_or_b32 exec_lo, exec_lo, s0
	s_wait_loadcnt 0x0
	s_wait_storecnt 0x0
	s_barrier_signal -1
	s_barrier_wait -1
	global_inv scope:SCOPE_SE
	scratch_load_b128 v[1:4], off, s54
	s_mov_b32 s0, exec_lo
	s_wait_loadcnt 0x0
	ds_store_b128 v5, v[1:4]
	s_wait_dscnt 0x0
	s_barrier_signal -1
	s_barrier_wait -1
	global_inv scope:SCOPE_SE
	v_cmpx_gt_u32_e32 13, v0
	s_cbranch_execz .LBB53_67
; %bb.64:
	v_dual_mov_b32 v1, 0 :: v_dual_add_nc_u32 v8, 0x360, v13
	v_mov_b32_e32 v3, 0
	v_dual_mov_b32 v2, 0 :: v_dual_add_nc_u32 v7, -1, v0
	v_mov_b32_e32 v4, 0
	v_or_b32_e32 v9, 8, v14
	s_mov_b32 s1, 0
.LBB53_65:                              ; =>This Inner Loop Header: Depth=1
	scratch_load_b128 v[15:18], v9, off offset:-8
	ds_load_b128 v[19:22], v8
	v_add_nc_u32_e32 v7, 1, v7
	v_add_nc_u32_e32 v8, 16, v8
	v_add_nc_u32_e32 v9, 16, v9
	s_delay_alu instid0(VALU_DEP_3)
	v_cmp_lt_u32_e32 vcc_lo, 11, v7
	s_wait_alu 0xfffe
	s_or_b32 s1, vcc_lo, s1
	s_wait_loadcnt_dscnt 0x0
	v_mul_f64_e32 v[10:11], v[21:22], v[17:18]
	v_mul_f64_e32 v[17:18], v[19:20], v[17:18]
	s_delay_alu instid0(VALU_DEP_2) | instskip(NEXT) | instid1(VALU_DEP_2)
	v_fma_f64 v[10:11], v[19:20], v[15:16], -v[10:11]
	v_fma_f64 v[15:16], v[21:22], v[15:16], v[17:18]
	s_delay_alu instid0(VALU_DEP_2) | instskip(NEXT) | instid1(VALU_DEP_2)
	v_add_f64_e32 v[3:4], v[3:4], v[10:11]
	v_add_f64_e32 v[1:2], v[1:2], v[15:16]
	s_wait_alu 0xfffe
	s_and_not1_b32 exec_lo, exec_lo, s1
	s_cbranch_execnz .LBB53_65
; %bb.66:
	s_or_b32 exec_lo, exec_lo, s1
	v_mov_b32_e32 v7, 0
	ds_load_b128 v[7:10], v7 offset:208
	s_wait_dscnt 0x0
	v_mul_f64_e32 v[11:12], v[1:2], v[9:10]
	v_mul_f64_e32 v[15:16], v[3:4], v[9:10]
	s_delay_alu instid0(VALU_DEP_2) | instskip(NEXT) | instid1(VALU_DEP_2)
	v_fma_f64 v[9:10], v[3:4], v[7:8], -v[11:12]
	v_fma_f64 v[11:12], v[1:2], v[7:8], v[15:16]
	scratch_store_b128 off, v[9:12], off offset:224
.LBB53_67:
	s_wait_alu 0xfffe
	s_or_b32 exec_lo, exec_lo, s0
	s_wait_loadcnt 0x0
	s_wait_storecnt 0x0
	s_barrier_signal -1
	s_barrier_wait -1
	global_inv scope:SCOPE_SE
	scratch_load_b128 v[1:4], off, s53
	s_mov_b32 s0, exec_lo
	s_wait_loadcnt 0x0
	ds_store_b128 v5, v[1:4]
	s_wait_dscnt 0x0
	s_barrier_signal -1
	s_barrier_wait -1
	global_inv scope:SCOPE_SE
	v_cmpx_gt_u32_e32 14, v0
	s_cbranch_execz .LBB53_71
; %bb.68:
	v_dual_mov_b32 v1, 0 :: v_dual_add_nc_u32 v8, 0x360, v13
	v_mov_b32_e32 v3, 0
	v_dual_mov_b32 v2, 0 :: v_dual_add_nc_u32 v7, -1, v0
	v_mov_b32_e32 v4, 0
	v_or_b32_e32 v9, 8, v14
	s_mov_b32 s1, 0
.LBB53_69:                              ; =>This Inner Loop Header: Depth=1
	scratch_load_b128 v[15:18], v9, off offset:-8
	ds_load_b128 v[19:22], v8
	v_add_nc_u32_e32 v7, 1, v7
	v_add_nc_u32_e32 v8, 16, v8
	v_add_nc_u32_e32 v9, 16, v9
	s_delay_alu instid0(VALU_DEP_3)
	v_cmp_lt_u32_e32 vcc_lo, 12, v7
	s_wait_alu 0xfffe
	s_or_b32 s1, vcc_lo, s1
	s_wait_loadcnt_dscnt 0x0
	v_mul_f64_e32 v[10:11], v[21:22], v[17:18]
	v_mul_f64_e32 v[17:18], v[19:20], v[17:18]
	s_delay_alu instid0(VALU_DEP_2) | instskip(NEXT) | instid1(VALU_DEP_2)
	v_fma_f64 v[10:11], v[19:20], v[15:16], -v[10:11]
	v_fma_f64 v[15:16], v[21:22], v[15:16], v[17:18]
	s_delay_alu instid0(VALU_DEP_2) | instskip(NEXT) | instid1(VALU_DEP_2)
	v_add_f64_e32 v[3:4], v[3:4], v[10:11]
	v_add_f64_e32 v[1:2], v[1:2], v[15:16]
	s_wait_alu 0xfffe
	s_and_not1_b32 exec_lo, exec_lo, s1
	s_cbranch_execnz .LBB53_69
; %bb.70:
	s_or_b32 exec_lo, exec_lo, s1
	v_mov_b32_e32 v7, 0
	ds_load_b128 v[7:10], v7 offset:224
	s_wait_dscnt 0x0
	v_mul_f64_e32 v[11:12], v[1:2], v[9:10]
	v_mul_f64_e32 v[15:16], v[3:4], v[9:10]
	s_delay_alu instid0(VALU_DEP_2) | instskip(NEXT) | instid1(VALU_DEP_2)
	v_fma_f64 v[9:10], v[3:4], v[7:8], -v[11:12]
	v_fma_f64 v[11:12], v[1:2], v[7:8], v[15:16]
	scratch_store_b128 off, v[9:12], off offset:240
.LBB53_71:
	s_wait_alu 0xfffe
	s_or_b32 exec_lo, exec_lo, s0
	s_wait_loadcnt 0x0
	s_wait_storecnt 0x0
	s_barrier_signal -1
	s_barrier_wait -1
	global_inv scope:SCOPE_SE
	scratch_load_b128 v[1:4], off, s52
	s_mov_b32 s0, exec_lo
	s_wait_loadcnt 0x0
	ds_store_b128 v5, v[1:4]
	s_wait_dscnt 0x0
	s_barrier_signal -1
	s_barrier_wait -1
	global_inv scope:SCOPE_SE
	v_cmpx_gt_u32_e32 15, v0
	s_cbranch_execz .LBB53_75
; %bb.72:
	v_dual_mov_b32 v1, 0 :: v_dual_add_nc_u32 v8, 0x360, v13
	v_mov_b32_e32 v3, 0
	v_dual_mov_b32 v2, 0 :: v_dual_add_nc_u32 v7, -1, v0
	v_mov_b32_e32 v4, 0
	v_or_b32_e32 v9, 8, v14
	s_mov_b32 s1, 0
.LBB53_73:                              ; =>This Inner Loop Header: Depth=1
	scratch_load_b128 v[15:18], v9, off offset:-8
	ds_load_b128 v[19:22], v8
	v_add_nc_u32_e32 v7, 1, v7
	v_add_nc_u32_e32 v8, 16, v8
	v_add_nc_u32_e32 v9, 16, v9
	s_delay_alu instid0(VALU_DEP_3)
	v_cmp_lt_u32_e32 vcc_lo, 13, v7
	s_wait_alu 0xfffe
	s_or_b32 s1, vcc_lo, s1
	s_wait_loadcnt_dscnt 0x0
	v_mul_f64_e32 v[10:11], v[21:22], v[17:18]
	v_mul_f64_e32 v[17:18], v[19:20], v[17:18]
	s_delay_alu instid0(VALU_DEP_2) | instskip(NEXT) | instid1(VALU_DEP_2)
	v_fma_f64 v[10:11], v[19:20], v[15:16], -v[10:11]
	v_fma_f64 v[15:16], v[21:22], v[15:16], v[17:18]
	s_delay_alu instid0(VALU_DEP_2) | instskip(NEXT) | instid1(VALU_DEP_2)
	v_add_f64_e32 v[3:4], v[3:4], v[10:11]
	v_add_f64_e32 v[1:2], v[1:2], v[15:16]
	s_wait_alu 0xfffe
	s_and_not1_b32 exec_lo, exec_lo, s1
	s_cbranch_execnz .LBB53_73
; %bb.74:
	s_or_b32 exec_lo, exec_lo, s1
	v_mov_b32_e32 v7, 0
	ds_load_b128 v[7:10], v7 offset:240
	s_wait_dscnt 0x0
	v_mul_f64_e32 v[11:12], v[1:2], v[9:10]
	v_mul_f64_e32 v[15:16], v[3:4], v[9:10]
	s_delay_alu instid0(VALU_DEP_2) | instskip(NEXT) | instid1(VALU_DEP_2)
	v_fma_f64 v[9:10], v[3:4], v[7:8], -v[11:12]
	v_fma_f64 v[11:12], v[1:2], v[7:8], v[15:16]
	scratch_store_b128 off, v[9:12], off offset:256
.LBB53_75:
	s_wait_alu 0xfffe
	s_or_b32 exec_lo, exec_lo, s0
	s_wait_loadcnt 0x0
	s_wait_storecnt 0x0
	s_barrier_signal -1
	s_barrier_wait -1
	global_inv scope:SCOPE_SE
	scratch_load_b128 v[1:4], off, s51
	s_mov_b32 s0, exec_lo
	s_wait_loadcnt 0x0
	ds_store_b128 v5, v[1:4]
	s_wait_dscnt 0x0
	s_barrier_signal -1
	s_barrier_wait -1
	global_inv scope:SCOPE_SE
	v_cmpx_gt_u32_e32 16, v0
	s_cbranch_execz .LBB53_79
; %bb.76:
	v_dual_mov_b32 v1, 0 :: v_dual_add_nc_u32 v8, 0x360, v13
	v_mov_b32_e32 v3, 0
	v_dual_mov_b32 v2, 0 :: v_dual_add_nc_u32 v7, -1, v0
	v_mov_b32_e32 v4, 0
	v_or_b32_e32 v9, 8, v14
	s_mov_b32 s1, 0
.LBB53_77:                              ; =>This Inner Loop Header: Depth=1
	scratch_load_b128 v[15:18], v9, off offset:-8
	ds_load_b128 v[19:22], v8
	v_add_nc_u32_e32 v7, 1, v7
	v_add_nc_u32_e32 v8, 16, v8
	v_add_nc_u32_e32 v9, 16, v9
	s_delay_alu instid0(VALU_DEP_3)
	v_cmp_lt_u32_e32 vcc_lo, 14, v7
	s_wait_alu 0xfffe
	s_or_b32 s1, vcc_lo, s1
	s_wait_loadcnt_dscnt 0x0
	v_mul_f64_e32 v[10:11], v[21:22], v[17:18]
	v_mul_f64_e32 v[17:18], v[19:20], v[17:18]
	s_delay_alu instid0(VALU_DEP_2) | instskip(NEXT) | instid1(VALU_DEP_2)
	v_fma_f64 v[10:11], v[19:20], v[15:16], -v[10:11]
	v_fma_f64 v[15:16], v[21:22], v[15:16], v[17:18]
	s_delay_alu instid0(VALU_DEP_2) | instskip(NEXT) | instid1(VALU_DEP_2)
	v_add_f64_e32 v[3:4], v[3:4], v[10:11]
	v_add_f64_e32 v[1:2], v[1:2], v[15:16]
	s_wait_alu 0xfffe
	s_and_not1_b32 exec_lo, exec_lo, s1
	s_cbranch_execnz .LBB53_77
; %bb.78:
	s_or_b32 exec_lo, exec_lo, s1
	v_mov_b32_e32 v7, 0
	ds_load_b128 v[7:10], v7 offset:256
	s_wait_dscnt 0x0
	v_mul_f64_e32 v[11:12], v[1:2], v[9:10]
	v_mul_f64_e32 v[15:16], v[3:4], v[9:10]
	s_delay_alu instid0(VALU_DEP_2) | instskip(NEXT) | instid1(VALU_DEP_2)
	v_fma_f64 v[9:10], v[3:4], v[7:8], -v[11:12]
	v_fma_f64 v[11:12], v[1:2], v[7:8], v[15:16]
	scratch_store_b128 off, v[9:12], off offset:272
.LBB53_79:
	s_wait_alu 0xfffe
	s_or_b32 exec_lo, exec_lo, s0
	s_wait_loadcnt 0x0
	s_wait_storecnt 0x0
	s_barrier_signal -1
	s_barrier_wait -1
	global_inv scope:SCOPE_SE
	scratch_load_b128 v[1:4], off, s50
	s_mov_b32 s0, exec_lo
	s_wait_loadcnt 0x0
	ds_store_b128 v5, v[1:4]
	s_wait_dscnt 0x0
	s_barrier_signal -1
	s_barrier_wait -1
	global_inv scope:SCOPE_SE
	v_cmpx_gt_u32_e32 17, v0
	s_cbranch_execz .LBB53_83
; %bb.80:
	v_dual_mov_b32 v1, 0 :: v_dual_add_nc_u32 v8, 0x360, v13
	v_mov_b32_e32 v3, 0
	v_dual_mov_b32 v2, 0 :: v_dual_add_nc_u32 v7, -1, v0
	v_mov_b32_e32 v4, 0
	v_or_b32_e32 v9, 8, v14
	s_mov_b32 s1, 0
.LBB53_81:                              ; =>This Inner Loop Header: Depth=1
	scratch_load_b128 v[15:18], v9, off offset:-8
	ds_load_b128 v[19:22], v8
	v_add_nc_u32_e32 v7, 1, v7
	v_add_nc_u32_e32 v8, 16, v8
	v_add_nc_u32_e32 v9, 16, v9
	s_delay_alu instid0(VALU_DEP_3)
	v_cmp_lt_u32_e32 vcc_lo, 15, v7
	s_wait_alu 0xfffe
	s_or_b32 s1, vcc_lo, s1
	s_wait_loadcnt_dscnt 0x0
	v_mul_f64_e32 v[10:11], v[21:22], v[17:18]
	v_mul_f64_e32 v[17:18], v[19:20], v[17:18]
	s_delay_alu instid0(VALU_DEP_2) | instskip(NEXT) | instid1(VALU_DEP_2)
	v_fma_f64 v[10:11], v[19:20], v[15:16], -v[10:11]
	v_fma_f64 v[15:16], v[21:22], v[15:16], v[17:18]
	s_delay_alu instid0(VALU_DEP_2) | instskip(NEXT) | instid1(VALU_DEP_2)
	v_add_f64_e32 v[3:4], v[3:4], v[10:11]
	v_add_f64_e32 v[1:2], v[1:2], v[15:16]
	s_wait_alu 0xfffe
	s_and_not1_b32 exec_lo, exec_lo, s1
	s_cbranch_execnz .LBB53_81
; %bb.82:
	s_or_b32 exec_lo, exec_lo, s1
	v_mov_b32_e32 v7, 0
	ds_load_b128 v[7:10], v7 offset:272
	s_wait_dscnt 0x0
	v_mul_f64_e32 v[11:12], v[1:2], v[9:10]
	v_mul_f64_e32 v[15:16], v[3:4], v[9:10]
	s_delay_alu instid0(VALU_DEP_2) | instskip(NEXT) | instid1(VALU_DEP_2)
	v_fma_f64 v[9:10], v[3:4], v[7:8], -v[11:12]
	v_fma_f64 v[11:12], v[1:2], v[7:8], v[15:16]
	scratch_store_b128 off, v[9:12], off offset:288
.LBB53_83:
	s_wait_alu 0xfffe
	s_or_b32 exec_lo, exec_lo, s0
	s_wait_loadcnt 0x0
	s_wait_storecnt 0x0
	s_barrier_signal -1
	s_barrier_wait -1
	global_inv scope:SCOPE_SE
	scratch_load_b128 v[1:4], off, s49
	s_mov_b32 s0, exec_lo
	s_wait_loadcnt 0x0
	ds_store_b128 v5, v[1:4]
	s_wait_dscnt 0x0
	s_barrier_signal -1
	s_barrier_wait -1
	global_inv scope:SCOPE_SE
	v_cmpx_gt_u32_e32 18, v0
	s_cbranch_execz .LBB53_87
; %bb.84:
	v_dual_mov_b32 v1, 0 :: v_dual_add_nc_u32 v8, 0x360, v13
	v_mov_b32_e32 v3, 0
	v_dual_mov_b32 v2, 0 :: v_dual_add_nc_u32 v7, -1, v0
	v_mov_b32_e32 v4, 0
	v_or_b32_e32 v9, 8, v14
	s_mov_b32 s1, 0
.LBB53_85:                              ; =>This Inner Loop Header: Depth=1
	scratch_load_b128 v[15:18], v9, off offset:-8
	ds_load_b128 v[19:22], v8
	v_add_nc_u32_e32 v7, 1, v7
	v_add_nc_u32_e32 v8, 16, v8
	v_add_nc_u32_e32 v9, 16, v9
	s_delay_alu instid0(VALU_DEP_3)
	v_cmp_lt_u32_e32 vcc_lo, 16, v7
	s_wait_alu 0xfffe
	s_or_b32 s1, vcc_lo, s1
	s_wait_loadcnt_dscnt 0x0
	v_mul_f64_e32 v[10:11], v[21:22], v[17:18]
	v_mul_f64_e32 v[17:18], v[19:20], v[17:18]
	s_delay_alu instid0(VALU_DEP_2) | instskip(NEXT) | instid1(VALU_DEP_2)
	v_fma_f64 v[10:11], v[19:20], v[15:16], -v[10:11]
	v_fma_f64 v[15:16], v[21:22], v[15:16], v[17:18]
	s_delay_alu instid0(VALU_DEP_2) | instskip(NEXT) | instid1(VALU_DEP_2)
	v_add_f64_e32 v[3:4], v[3:4], v[10:11]
	v_add_f64_e32 v[1:2], v[1:2], v[15:16]
	s_wait_alu 0xfffe
	s_and_not1_b32 exec_lo, exec_lo, s1
	s_cbranch_execnz .LBB53_85
; %bb.86:
	s_or_b32 exec_lo, exec_lo, s1
	v_mov_b32_e32 v7, 0
	ds_load_b128 v[7:10], v7 offset:288
	s_wait_dscnt 0x0
	v_mul_f64_e32 v[11:12], v[1:2], v[9:10]
	v_mul_f64_e32 v[15:16], v[3:4], v[9:10]
	s_delay_alu instid0(VALU_DEP_2) | instskip(NEXT) | instid1(VALU_DEP_2)
	v_fma_f64 v[9:10], v[3:4], v[7:8], -v[11:12]
	v_fma_f64 v[11:12], v[1:2], v[7:8], v[15:16]
	scratch_store_b128 off, v[9:12], off offset:304
.LBB53_87:
	s_wait_alu 0xfffe
	s_or_b32 exec_lo, exec_lo, s0
	s_wait_loadcnt 0x0
	s_wait_storecnt 0x0
	s_barrier_signal -1
	s_barrier_wait -1
	global_inv scope:SCOPE_SE
	scratch_load_b128 v[1:4], off, s43
	s_mov_b32 s0, exec_lo
	s_wait_loadcnt 0x0
	ds_store_b128 v5, v[1:4]
	s_wait_dscnt 0x0
	s_barrier_signal -1
	s_barrier_wait -1
	global_inv scope:SCOPE_SE
	v_cmpx_gt_u32_e32 19, v0
	s_cbranch_execz .LBB53_91
; %bb.88:
	v_dual_mov_b32 v1, 0 :: v_dual_add_nc_u32 v8, 0x360, v13
	v_mov_b32_e32 v3, 0
	v_dual_mov_b32 v2, 0 :: v_dual_add_nc_u32 v7, -1, v0
	v_mov_b32_e32 v4, 0
	v_or_b32_e32 v9, 8, v14
	s_mov_b32 s1, 0
.LBB53_89:                              ; =>This Inner Loop Header: Depth=1
	scratch_load_b128 v[15:18], v9, off offset:-8
	ds_load_b128 v[19:22], v8
	v_add_nc_u32_e32 v7, 1, v7
	v_add_nc_u32_e32 v8, 16, v8
	v_add_nc_u32_e32 v9, 16, v9
	s_delay_alu instid0(VALU_DEP_3)
	v_cmp_lt_u32_e32 vcc_lo, 17, v7
	s_wait_alu 0xfffe
	s_or_b32 s1, vcc_lo, s1
	s_wait_loadcnt_dscnt 0x0
	v_mul_f64_e32 v[10:11], v[21:22], v[17:18]
	v_mul_f64_e32 v[17:18], v[19:20], v[17:18]
	s_delay_alu instid0(VALU_DEP_2) | instskip(NEXT) | instid1(VALU_DEP_2)
	v_fma_f64 v[10:11], v[19:20], v[15:16], -v[10:11]
	v_fma_f64 v[15:16], v[21:22], v[15:16], v[17:18]
	s_delay_alu instid0(VALU_DEP_2) | instskip(NEXT) | instid1(VALU_DEP_2)
	v_add_f64_e32 v[3:4], v[3:4], v[10:11]
	v_add_f64_e32 v[1:2], v[1:2], v[15:16]
	s_wait_alu 0xfffe
	s_and_not1_b32 exec_lo, exec_lo, s1
	s_cbranch_execnz .LBB53_89
; %bb.90:
	s_or_b32 exec_lo, exec_lo, s1
	v_mov_b32_e32 v7, 0
	ds_load_b128 v[7:10], v7 offset:304
	s_wait_dscnt 0x0
	v_mul_f64_e32 v[11:12], v[1:2], v[9:10]
	v_mul_f64_e32 v[15:16], v[3:4], v[9:10]
	s_delay_alu instid0(VALU_DEP_2) | instskip(NEXT) | instid1(VALU_DEP_2)
	v_fma_f64 v[9:10], v[3:4], v[7:8], -v[11:12]
	v_fma_f64 v[11:12], v[1:2], v[7:8], v[15:16]
	scratch_store_b128 off, v[9:12], off offset:320
.LBB53_91:
	s_wait_alu 0xfffe
	s_or_b32 exec_lo, exec_lo, s0
	s_wait_loadcnt 0x0
	s_wait_storecnt 0x0
	s_barrier_signal -1
	s_barrier_wait -1
	global_inv scope:SCOPE_SE
	scratch_load_b128 v[1:4], off, s41
	s_mov_b32 s0, exec_lo
	s_wait_loadcnt 0x0
	ds_store_b128 v5, v[1:4]
	s_wait_dscnt 0x0
	s_barrier_signal -1
	s_barrier_wait -1
	global_inv scope:SCOPE_SE
	v_cmpx_gt_u32_e32 20, v0
	s_cbranch_execz .LBB53_95
; %bb.92:
	v_dual_mov_b32 v1, 0 :: v_dual_add_nc_u32 v8, 0x360, v13
	v_mov_b32_e32 v3, 0
	v_dual_mov_b32 v2, 0 :: v_dual_add_nc_u32 v7, -1, v0
	v_mov_b32_e32 v4, 0
	v_or_b32_e32 v9, 8, v14
	s_mov_b32 s1, 0
.LBB53_93:                              ; =>This Inner Loop Header: Depth=1
	scratch_load_b128 v[15:18], v9, off offset:-8
	ds_load_b128 v[19:22], v8
	v_add_nc_u32_e32 v7, 1, v7
	v_add_nc_u32_e32 v8, 16, v8
	v_add_nc_u32_e32 v9, 16, v9
	s_delay_alu instid0(VALU_DEP_3)
	v_cmp_lt_u32_e32 vcc_lo, 18, v7
	s_wait_alu 0xfffe
	s_or_b32 s1, vcc_lo, s1
	s_wait_loadcnt_dscnt 0x0
	v_mul_f64_e32 v[10:11], v[21:22], v[17:18]
	v_mul_f64_e32 v[17:18], v[19:20], v[17:18]
	s_delay_alu instid0(VALU_DEP_2) | instskip(NEXT) | instid1(VALU_DEP_2)
	v_fma_f64 v[10:11], v[19:20], v[15:16], -v[10:11]
	v_fma_f64 v[15:16], v[21:22], v[15:16], v[17:18]
	s_delay_alu instid0(VALU_DEP_2) | instskip(NEXT) | instid1(VALU_DEP_2)
	v_add_f64_e32 v[3:4], v[3:4], v[10:11]
	v_add_f64_e32 v[1:2], v[1:2], v[15:16]
	s_wait_alu 0xfffe
	s_and_not1_b32 exec_lo, exec_lo, s1
	s_cbranch_execnz .LBB53_93
; %bb.94:
	s_or_b32 exec_lo, exec_lo, s1
	v_mov_b32_e32 v7, 0
	ds_load_b128 v[7:10], v7 offset:320
	s_wait_dscnt 0x0
	v_mul_f64_e32 v[11:12], v[1:2], v[9:10]
	v_mul_f64_e32 v[15:16], v[3:4], v[9:10]
	s_delay_alu instid0(VALU_DEP_2) | instskip(NEXT) | instid1(VALU_DEP_2)
	v_fma_f64 v[9:10], v[3:4], v[7:8], -v[11:12]
	v_fma_f64 v[11:12], v[1:2], v[7:8], v[15:16]
	scratch_store_b128 off, v[9:12], off offset:336
.LBB53_95:
	s_wait_alu 0xfffe
	s_or_b32 exec_lo, exec_lo, s0
	s_wait_loadcnt 0x0
	s_wait_storecnt 0x0
	s_barrier_signal -1
	s_barrier_wait -1
	global_inv scope:SCOPE_SE
	scratch_load_b128 v[1:4], off, s42
	s_mov_b32 s0, exec_lo
	s_wait_loadcnt 0x0
	ds_store_b128 v5, v[1:4]
	s_wait_dscnt 0x0
	s_barrier_signal -1
	s_barrier_wait -1
	global_inv scope:SCOPE_SE
	v_cmpx_gt_u32_e32 21, v0
	s_cbranch_execz .LBB53_99
; %bb.96:
	v_dual_mov_b32 v1, 0 :: v_dual_add_nc_u32 v8, 0x360, v13
	v_mov_b32_e32 v3, 0
	v_dual_mov_b32 v2, 0 :: v_dual_add_nc_u32 v7, -1, v0
	v_mov_b32_e32 v4, 0
	v_or_b32_e32 v9, 8, v14
	s_mov_b32 s1, 0
.LBB53_97:                              ; =>This Inner Loop Header: Depth=1
	scratch_load_b128 v[15:18], v9, off offset:-8
	ds_load_b128 v[19:22], v8
	v_add_nc_u32_e32 v7, 1, v7
	v_add_nc_u32_e32 v8, 16, v8
	v_add_nc_u32_e32 v9, 16, v9
	s_delay_alu instid0(VALU_DEP_3)
	v_cmp_lt_u32_e32 vcc_lo, 19, v7
	s_wait_alu 0xfffe
	s_or_b32 s1, vcc_lo, s1
	s_wait_loadcnt_dscnt 0x0
	v_mul_f64_e32 v[10:11], v[21:22], v[17:18]
	v_mul_f64_e32 v[17:18], v[19:20], v[17:18]
	s_delay_alu instid0(VALU_DEP_2) | instskip(NEXT) | instid1(VALU_DEP_2)
	v_fma_f64 v[10:11], v[19:20], v[15:16], -v[10:11]
	v_fma_f64 v[15:16], v[21:22], v[15:16], v[17:18]
	s_delay_alu instid0(VALU_DEP_2) | instskip(NEXT) | instid1(VALU_DEP_2)
	v_add_f64_e32 v[3:4], v[3:4], v[10:11]
	v_add_f64_e32 v[1:2], v[1:2], v[15:16]
	s_wait_alu 0xfffe
	s_and_not1_b32 exec_lo, exec_lo, s1
	s_cbranch_execnz .LBB53_97
; %bb.98:
	s_or_b32 exec_lo, exec_lo, s1
	v_mov_b32_e32 v7, 0
	ds_load_b128 v[7:10], v7 offset:336
	s_wait_dscnt 0x0
	v_mul_f64_e32 v[11:12], v[1:2], v[9:10]
	v_mul_f64_e32 v[15:16], v[3:4], v[9:10]
	s_delay_alu instid0(VALU_DEP_2) | instskip(NEXT) | instid1(VALU_DEP_2)
	v_fma_f64 v[9:10], v[3:4], v[7:8], -v[11:12]
	v_fma_f64 v[11:12], v[1:2], v[7:8], v[15:16]
	scratch_store_b128 off, v[9:12], off offset:352
.LBB53_99:
	s_wait_alu 0xfffe
	s_or_b32 exec_lo, exec_lo, s0
	s_wait_loadcnt 0x0
	s_wait_storecnt 0x0
	s_barrier_signal -1
	s_barrier_wait -1
	global_inv scope:SCOPE_SE
	scratch_load_b128 v[1:4], off, s38
	s_mov_b32 s0, exec_lo
	s_wait_loadcnt 0x0
	ds_store_b128 v5, v[1:4]
	s_wait_dscnt 0x0
	s_barrier_signal -1
	s_barrier_wait -1
	global_inv scope:SCOPE_SE
	v_cmpx_gt_u32_e32 22, v0
	s_cbranch_execz .LBB53_103
; %bb.100:
	v_dual_mov_b32 v1, 0 :: v_dual_add_nc_u32 v8, 0x360, v13
	v_mov_b32_e32 v3, 0
	v_dual_mov_b32 v2, 0 :: v_dual_add_nc_u32 v7, -1, v0
	v_mov_b32_e32 v4, 0
	v_or_b32_e32 v9, 8, v14
	s_mov_b32 s1, 0
.LBB53_101:                             ; =>This Inner Loop Header: Depth=1
	scratch_load_b128 v[15:18], v9, off offset:-8
	ds_load_b128 v[19:22], v8
	v_add_nc_u32_e32 v7, 1, v7
	v_add_nc_u32_e32 v8, 16, v8
	v_add_nc_u32_e32 v9, 16, v9
	s_delay_alu instid0(VALU_DEP_3)
	v_cmp_lt_u32_e32 vcc_lo, 20, v7
	s_wait_alu 0xfffe
	s_or_b32 s1, vcc_lo, s1
	s_wait_loadcnt_dscnt 0x0
	v_mul_f64_e32 v[10:11], v[21:22], v[17:18]
	v_mul_f64_e32 v[17:18], v[19:20], v[17:18]
	s_delay_alu instid0(VALU_DEP_2) | instskip(NEXT) | instid1(VALU_DEP_2)
	v_fma_f64 v[10:11], v[19:20], v[15:16], -v[10:11]
	v_fma_f64 v[15:16], v[21:22], v[15:16], v[17:18]
	s_delay_alu instid0(VALU_DEP_2) | instskip(NEXT) | instid1(VALU_DEP_2)
	v_add_f64_e32 v[3:4], v[3:4], v[10:11]
	v_add_f64_e32 v[1:2], v[1:2], v[15:16]
	s_wait_alu 0xfffe
	s_and_not1_b32 exec_lo, exec_lo, s1
	s_cbranch_execnz .LBB53_101
; %bb.102:
	s_or_b32 exec_lo, exec_lo, s1
	v_mov_b32_e32 v7, 0
	ds_load_b128 v[7:10], v7 offset:352
	s_wait_dscnt 0x0
	v_mul_f64_e32 v[11:12], v[1:2], v[9:10]
	v_mul_f64_e32 v[15:16], v[3:4], v[9:10]
	s_delay_alu instid0(VALU_DEP_2) | instskip(NEXT) | instid1(VALU_DEP_2)
	v_fma_f64 v[9:10], v[3:4], v[7:8], -v[11:12]
	v_fma_f64 v[11:12], v[1:2], v[7:8], v[15:16]
	scratch_store_b128 off, v[9:12], off offset:368
.LBB53_103:
	s_wait_alu 0xfffe
	s_or_b32 exec_lo, exec_lo, s0
	s_wait_loadcnt 0x0
	s_wait_storecnt 0x0
	s_barrier_signal -1
	s_barrier_wait -1
	global_inv scope:SCOPE_SE
	scratch_load_b128 v[1:4], off, s36
	s_mov_b32 s0, exec_lo
	s_wait_loadcnt 0x0
	ds_store_b128 v5, v[1:4]
	s_wait_dscnt 0x0
	s_barrier_signal -1
	s_barrier_wait -1
	global_inv scope:SCOPE_SE
	v_cmpx_gt_u32_e32 23, v0
	s_cbranch_execz .LBB53_107
; %bb.104:
	v_dual_mov_b32 v1, 0 :: v_dual_add_nc_u32 v8, 0x360, v13
	v_mov_b32_e32 v3, 0
	v_dual_mov_b32 v2, 0 :: v_dual_add_nc_u32 v7, -1, v0
	v_mov_b32_e32 v4, 0
	v_or_b32_e32 v9, 8, v14
	s_mov_b32 s1, 0
.LBB53_105:                             ; =>This Inner Loop Header: Depth=1
	scratch_load_b128 v[15:18], v9, off offset:-8
	ds_load_b128 v[19:22], v8
	v_add_nc_u32_e32 v7, 1, v7
	v_add_nc_u32_e32 v8, 16, v8
	v_add_nc_u32_e32 v9, 16, v9
	s_delay_alu instid0(VALU_DEP_3)
	v_cmp_lt_u32_e32 vcc_lo, 21, v7
	s_wait_alu 0xfffe
	s_or_b32 s1, vcc_lo, s1
	s_wait_loadcnt_dscnt 0x0
	v_mul_f64_e32 v[10:11], v[21:22], v[17:18]
	v_mul_f64_e32 v[17:18], v[19:20], v[17:18]
	s_delay_alu instid0(VALU_DEP_2) | instskip(NEXT) | instid1(VALU_DEP_2)
	v_fma_f64 v[10:11], v[19:20], v[15:16], -v[10:11]
	v_fma_f64 v[15:16], v[21:22], v[15:16], v[17:18]
	s_delay_alu instid0(VALU_DEP_2) | instskip(NEXT) | instid1(VALU_DEP_2)
	v_add_f64_e32 v[3:4], v[3:4], v[10:11]
	v_add_f64_e32 v[1:2], v[1:2], v[15:16]
	s_wait_alu 0xfffe
	s_and_not1_b32 exec_lo, exec_lo, s1
	s_cbranch_execnz .LBB53_105
; %bb.106:
	s_or_b32 exec_lo, exec_lo, s1
	v_mov_b32_e32 v7, 0
	ds_load_b128 v[7:10], v7 offset:368
	s_wait_dscnt 0x0
	v_mul_f64_e32 v[11:12], v[1:2], v[9:10]
	v_mul_f64_e32 v[15:16], v[3:4], v[9:10]
	s_delay_alu instid0(VALU_DEP_2) | instskip(NEXT) | instid1(VALU_DEP_2)
	v_fma_f64 v[9:10], v[3:4], v[7:8], -v[11:12]
	v_fma_f64 v[11:12], v[1:2], v[7:8], v[15:16]
	scratch_store_b128 off, v[9:12], off offset:384
.LBB53_107:
	s_wait_alu 0xfffe
	s_or_b32 exec_lo, exec_lo, s0
	s_wait_loadcnt 0x0
	s_wait_storecnt 0x0
	s_barrier_signal -1
	s_barrier_wait -1
	global_inv scope:SCOPE_SE
	scratch_load_b128 v[1:4], off, s37
	;; [unrolled: 58-line block ×31, first 2 shown]
	s_mov_b32 s0, exec_lo
	s_wait_loadcnt 0x0
	ds_store_b128 v5, v[1:4]
	s_wait_dscnt 0x0
	s_barrier_signal -1
	s_barrier_wait -1
	global_inv scope:SCOPE_SE
	v_cmpx_ne_u32_e32 53, v0
	s_cbranch_execz .LBB53_227
; %bb.224:
	v_mov_b32_e32 v1, 0
	v_dual_mov_b32 v2, 0 :: v_dual_mov_b32 v3, 0
	v_mov_b32_e32 v4, 0
	v_or_b32_e32 v7, 8, v14
	s_mov_b32 s1, 0
.LBB53_225:                             ; =>This Inner Loop Header: Depth=1
	scratch_load_b128 v[8:11], v7, off offset:-8
	ds_load_b128 v[12:15], v5
	v_add_nc_u32_e32 v6, 1, v6
	v_add_nc_u32_e32 v5, 16, v5
	;; [unrolled: 1-line block ×3, first 2 shown]
	s_delay_alu instid0(VALU_DEP_3)
	v_cmp_lt_u32_e32 vcc_lo, 51, v6
	s_wait_alu 0xfffe
	s_or_b32 s1, vcc_lo, s1
	s_wait_loadcnt_dscnt 0x0
	v_mul_f64_e32 v[16:17], v[14:15], v[10:11]
	v_mul_f64_e32 v[10:11], v[12:13], v[10:11]
	s_delay_alu instid0(VALU_DEP_2) | instskip(NEXT) | instid1(VALU_DEP_2)
	v_fma_f64 v[12:13], v[12:13], v[8:9], -v[16:17]
	v_fma_f64 v[8:9], v[14:15], v[8:9], v[10:11]
	s_delay_alu instid0(VALU_DEP_2) | instskip(NEXT) | instid1(VALU_DEP_2)
	v_add_f64_e32 v[3:4], v[3:4], v[12:13]
	v_add_f64_e32 v[1:2], v[1:2], v[8:9]
	s_wait_alu 0xfffe
	s_and_not1_b32 exec_lo, exec_lo, s1
	s_cbranch_execnz .LBB53_225
; %bb.226:
	s_or_b32 exec_lo, exec_lo, s1
	v_mov_b32_e32 v5, 0
	ds_load_b128 v[5:8], v5 offset:848
	s_wait_dscnt 0x0
	v_mul_f64_e32 v[9:10], v[1:2], v[7:8]
	v_mul_f64_e32 v[7:8], v[3:4], v[7:8]
	s_delay_alu instid0(VALU_DEP_2) | instskip(NEXT) | instid1(VALU_DEP_2)
	v_fma_f64 v[3:4], v[3:4], v[5:6], -v[9:10]
	v_fma_f64 v[5:6], v[1:2], v[5:6], v[7:8]
	scratch_store_b128 off, v[3:6], off offset:864
.LBB53_227:
	s_wait_alu 0xfffe
	s_or_b32 exec_lo, exec_lo, s0
	s_mov_b32 s1, -1
	s_wait_loadcnt 0x0
	s_wait_storecnt 0x0
	s_barrier_signal -1
	s_barrier_wait -1
	global_inv scope:SCOPE_SE
.LBB53_228:
	s_wait_alu 0xfffe
	s_and_b32 vcc_lo, exec_lo, s1
	s_wait_alu 0xfffe
	s_cbranch_vccz .LBB53_230
; %bb.229:
	v_mov_b32_e32 v1, 0
	s_lshl_b64 s[0:1], s[16:17], 2
	s_wait_alu 0xfffe
	s_add_nc_u64 s[0:1], s[6:7], s[0:1]
	global_load_b32 v1, v1, s[0:1]
	s_wait_loadcnt 0x0
	v_cmp_ne_u32_e32 vcc_lo, 0, v1
	s_cbranch_vccz .LBB53_231
.LBB53_230:
	s_nop 0
	s_sendmsg sendmsg(MSG_DEALLOC_VGPRS)
	s_endpgm
.LBB53_231:
	v_lshl_add_u32 v154, v0, 4, 0x360
	s_mov_b32 s0, exec_lo
	v_cmpx_eq_u32_e32 53, v0
	s_cbranch_execz .LBB53_233
; %bb.232:
	scratch_load_b128 v[1:4], off, s33
	v_mov_b32_e32 v5, 0
	s_delay_alu instid0(VALU_DEP_1)
	v_dual_mov_b32 v6, v5 :: v_dual_mov_b32 v7, v5
	v_mov_b32_e32 v8, v5
	scratch_store_b128 off, v[5:8], off offset:848
	s_wait_loadcnt 0x0
	ds_store_b128 v154, v[1:4]
.LBB53_233:
	s_wait_alu 0xfffe
	s_or_b32 exec_lo, exec_lo, s0
	s_wait_storecnt_dscnt 0x0
	s_barrier_signal -1
	s_barrier_wait -1
	global_inv scope:SCOPE_SE
	s_clause 0x1
	scratch_load_b128 v[2:5], off, off offset:864
	scratch_load_b128 v[6:9], off, off offset:848
	v_mov_b32_e32 v1, 0
	s_mov_b32 s0, exec_lo
	ds_load_b128 v[10:13], v1 offset:1712
	s_wait_loadcnt_dscnt 0x100
	v_mul_f64_e32 v[14:15], v[12:13], v[4:5]
	v_mul_f64_e32 v[4:5], v[10:11], v[4:5]
	s_delay_alu instid0(VALU_DEP_2) | instskip(NEXT) | instid1(VALU_DEP_2)
	v_fma_f64 v[10:11], v[10:11], v[2:3], -v[14:15]
	v_fma_f64 v[2:3], v[12:13], v[2:3], v[4:5]
	s_delay_alu instid0(VALU_DEP_2) | instskip(NEXT) | instid1(VALU_DEP_2)
	v_add_f64_e32 v[4:5], 0, v[10:11]
	v_add_f64_e32 v[10:11], 0, v[2:3]
	s_wait_loadcnt 0x0
	s_delay_alu instid0(VALU_DEP_2) | instskip(NEXT) | instid1(VALU_DEP_2)
	v_add_f64_e64 v[2:3], v[6:7], -v[4:5]
	v_add_f64_e64 v[4:5], v[8:9], -v[10:11]
	scratch_store_b128 off, v[2:5], off offset:848
	v_cmpx_lt_u32_e32 51, v0
	s_cbranch_execz .LBB53_235
; %bb.234:
	scratch_load_b128 v[5:8], off, s31
	v_dual_mov_b32 v2, v1 :: v_dual_mov_b32 v3, v1
	v_mov_b32_e32 v4, v1
	scratch_store_b128 off, v[1:4], off offset:832
	s_wait_loadcnt 0x0
	ds_store_b128 v154, v[5:8]
.LBB53_235:
	s_wait_alu 0xfffe
	s_or_b32 exec_lo, exec_lo, s0
	s_wait_storecnt_dscnt 0x0
	s_barrier_signal -1
	s_barrier_wait -1
	global_inv scope:SCOPE_SE
	s_clause 0x2
	scratch_load_b128 v[2:5], off, off offset:848
	scratch_load_b128 v[6:9], off, off offset:864
	;; [unrolled: 1-line block ×3, first 2 shown]
	ds_load_b128 v[14:17], v1 offset:1696
	ds_load_b128 v[18:21], v1 offset:1712
	s_mov_b32 s0, exec_lo
	s_wait_loadcnt_dscnt 0x201
	v_mul_f64_e32 v[22:23], v[16:17], v[4:5]
	v_mul_f64_e32 v[4:5], v[14:15], v[4:5]
	s_wait_loadcnt_dscnt 0x100
	v_mul_f64_e32 v[24:25], v[18:19], v[8:9]
	v_mul_f64_e32 v[8:9], v[20:21], v[8:9]
	s_delay_alu instid0(VALU_DEP_4) | instskip(NEXT) | instid1(VALU_DEP_4)
	v_fma_f64 v[14:15], v[14:15], v[2:3], -v[22:23]
	v_fma_f64 v[1:2], v[16:17], v[2:3], v[4:5]
	s_delay_alu instid0(VALU_DEP_4) | instskip(NEXT) | instid1(VALU_DEP_4)
	v_fma_f64 v[3:4], v[20:21], v[6:7], v[24:25]
	v_fma_f64 v[5:6], v[18:19], v[6:7], -v[8:9]
	s_delay_alu instid0(VALU_DEP_4) | instskip(NEXT) | instid1(VALU_DEP_4)
	v_add_f64_e32 v[7:8], 0, v[14:15]
	v_add_f64_e32 v[1:2], 0, v[1:2]
	s_delay_alu instid0(VALU_DEP_2) | instskip(NEXT) | instid1(VALU_DEP_2)
	v_add_f64_e32 v[5:6], v[7:8], v[5:6]
	v_add_f64_e32 v[3:4], v[1:2], v[3:4]
	s_wait_loadcnt 0x0
	s_delay_alu instid0(VALU_DEP_2) | instskip(NEXT) | instid1(VALU_DEP_2)
	v_add_f64_e64 v[1:2], v[10:11], -v[5:6]
	v_add_f64_e64 v[3:4], v[12:13], -v[3:4]
	scratch_store_b128 off, v[1:4], off offset:832
	v_cmpx_lt_u32_e32 50, v0
	s_cbranch_execz .LBB53_237
; %bb.236:
	scratch_load_b128 v[1:4], off, s35
	v_mov_b32_e32 v5, 0
	s_delay_alu instid0(VALU_DEP_1)
	v_dual_mov_b32 v6, v5 :: v_dual_mov_b32 v7, v5
	v_mov_b32_e32 v8, v5
	scratch_store_b128 off, v[5:8], off offset:816
	s_wait_loadcnt 0x0
	ds_store_b128 v154, v[1:4]
.LBB53_237:
	s_wait_alu 0xfffe
	s_or_b32 exec_lo, exec_lo, s0
	s_wait_storecnt_dscnt 0x0
	s_barrier_signal -1
	s_barrier_wait -1
	global_inv scope:SCOPE_SE
	s_clause 0x3
	scratch_load_b128 v[2:5], off, off offset:832
	scratch_load_b128 v[6:9], off, off offset:848
	;; [unrolled: 1-line block ×4, first 2 shown]
	v_mov_b32_e32 v1, 0
	ds_load_b128 v[18:21], v1 offset:1680
	ds_load_b128 v[22:25], v1 offset:1696
	s_mov_b32 s0, exec_lo
	s_wait_loadcnt_dscnt 0x301
	v_mul_f64_e32 v[26:27], v[20:21], v[4:5]
	v_mul_f64_e32 v[4:5], v[18:19], v[4:5]
	s_wait_loadcnt_dscnt 0x200
	v_mul_f64_e32 v[28:29], v[22:23], v[8:9]
	v_mul_f64_e32 v[8:9], v[24:25], v[8:9]
	s_delay_alu instid0(VALU_DEP_4) | instskip(NEXT) | instid1(VALU_DEP_4)
	v_fma_f64 v[18:19], v[18:19], v[2:3], -v[26:27]
	v_fma_f64 v[20:21], v[20:21], v[2:3], v[4:5]
	ds_load_b128 v[2:5], v1 offset:1712
	v_fma_f64 v[24:25], v[24:25], v[6:7], v[28:29]
	v_fma_f64 v[6:7], v[22:23], v[6:7], -v[8:9]
	s_wait_loadcnt_dscnt 0x100
	v_mul_f64_e32 v[26:27], v[2:3], v[12:13]
	v_mul_f64_e32 v[12:13], v[4:5], v[12:13]
	v_add_f64_e32 v[8:9], 0, v[18:19]
	v_add_f64_e32 v[18:19], 0, v[20:21]
	s_delay_alu instid0(VALU_DEP_4) | instskip(NEXT) | instid1(VALU_DEP_4)
	v_fma_f64 v[4:5], v[4:5], v[10:11], v[26:27]
	v_fma_f64 v[2:3], v[2:3], v[10:11], -v[12:13]
	s_delay_alu instid0(VALU_DEP_4) | instskip(NEXT) | instid1(VALU_DEP_4)
	v_add_f64_e32 v[6:7], v[8:9], v[6:7]
	v_add_f64_e32 v[8:9], v[18:19], v[24:25]
	s_delay_alu instid0(VALU_DEP_2) | instskip(NEXT) | instid1(VALU_DEP_2)
	v_add_f64_e32 v[2:3], v[6:7], v[2:3]
	v_add_f64_e32 v[4:5], v[8:9], v[4:5]
	s_wait_loadcnt 0x0
	s_delay_alu instid0(VALU_DEP_2) | instskip(NEXT) | instid1(VALU_DEP_2)
	v_add_f64_e64 v[2:3], v[14:15], -v[2:3]
	v_add_f64_e64 v[4:5], v[16:17], -v[4:5]
	scratch_store_b128 off, v[2:5], off offset:816
	v_cmpx_lt_u32_e32 49, v0
	s_cbranch_execz .LBB53_239
; %bb.238:
	scratch_load_b128 v[5:8], off, s34
	v_dual_mov_b32 v2, v1 :: v_dual_mov_b32 v3, v1
	v_mov_b32_e32 v4, v1
	scratch_store_b128 off, v[1:4], off offset:800
	s_wait_loadcnt 0x0
	ds_store_b128 v154, v[5:8]
.LBB53_239:
	s_wait_alu 0xfffe
	s_or_b32 exec_lo, exec_lo, s0
	s_wait_storecnt_dscnt 0x0
	s_barrier_signal -1
	s_barrier_wait -1
	global_inv scope:SCOPE_SE
	s_clause 0x4
	scratch_load_b128 v[2:5], off, off offset:816
	scratch_load_b128 v[6:9], off, off offset:832
	;; [unrolled: 1-line block ×5, first 2 shown]
	ds_load_b128 v[22:25], v1 offset:1664
	ds_load_b128 v[26:29], v1 offset:1680
	s_mov_b32 s0, exec_lo
	s_wait_loadcnt_dscnt 0x401
	v_mul_f64_e32 v[30:31], v[24:25], v[4:5]
	v_mul_f64_e32 v[4:5], v[22:23], v[4:5]
	s_wait_loadcnt_dscnt 0x300
	v_mul_f64_e32 v[32:33], v[26:27], v[8:9]
	v_mul_f64_e32 v[8:9], v[28:29], v[8:9]
	s_delay_alu instid0(VALU_DEP_4) | instskip(NEXT) | instid1(VALU_DEP_4)
	v_fma_f64 v[30:31], v[22:23], v[2:3], -v[30:31]
	v_fma_f64 v[34:35], v[24:25], v[2:3], v[4:5]
	ds_load_b128 v[2:5], v1 offset:1696
	ds_load_b128 v[22:25], v1 offset:1712
	v_fma_f64 v[28:29], v[28:29], v[6:7], v[32:33]
	v_fma_f64 v[6:7], v[26:27], v[6:7], -v[8:9]
	s_wait_loadcnt_dscnt 0x201
	v_mul_f64_e32 v[36:37], v[2:3], v[12:13]
	v_mul_f64_e32 v[12:13], v[4:5], v[12:13]
	v_add_f64_e32 v[8:9], 0, v[30:31]
	v_add_f64_e32 v[26:27], 0, v[34:35]
	s_wait_loadcnt_dscnt 0x100
	v_mul_f64_e32 v[30:31], v[22:23], v[16:17]
	v_mul_f64_e32 v[16:17], v[24:25], v[16:17]
	v_fma_f64 v[4:5], v[4:5], v[10:11], v[36:37]
	v_fma_f64 v[1:2], v[2:3], v[10:11], -v[12:13]
	v_add_f64_e32 v[6:7], v[8:9], v[6:7]
	v_add_f64_e32 v[8:9], v[26:27], v[28:29]
	v_fma_f64 v[10:11], v[24:25], v[14:15], v[30:31]
	v_fma_f64 v[12:13], v[22:23], v[14:15], -v[16:17]
	s_delay_alu instid0(VALU_DEP_4) | instskip(NEXT) | instid1(VALU_DEP_4)
	v_add_f64_e32 v[1:2], v[6:7], v[1:2]
	v_add_f64_e32 v[3:4], v[8:9], v[4:5]
	s_delay_alu instid0(VALU_DEP_2) | instskip(NEXT) | instid1(VALU_DEP_2)
	v_add_f64_e32 v[1:2], v[1:2], v[12:13]
	v_add_f64_e32 v[3:4], v[3:4], v[10:11]
	s_wait_loadcnt 0x0
	s_delay_alu instid0(VALU_DEP_2) | instskip(NEXT) | instid1(VALU_DEP_2)
	v_add_f64_e64 v[1:2], v[18:19], -v[1:2]
	v_add_f64_e64 v[3:4], v[20:21], -v[3:4]
	scratch_store_b128 off, v[1:4], off offset:800
	v_cmpx_lt_u32_e32 48, v0
	s_cbranch_execz .LBB53_241
; %bb.240:
	scratch_load_b128 v[1:4], off, s40
	v_mov_b32_e32 v5, 0
	s_delay_alu instid0(VALU_DEP_1)
	v_dual_mov_b32 v6, v5 :: v_dual_mov_b32 v7, v5
	v_mov_b32_e32 v8, v5
	scratch_store_b128 off, v[5:8], off offset:784
	s_wait_loadcnt 0x0
	ds_store_b128 v154, v[1:4]
.LBB53_241:
	s_wait_alu 0xfffe
	s_or_b32 exec_lo, exec_lo, s0
	s_wait_storecnt_dscnt 0x0
	s_barrier_signal -1
	s_barrier_wait -1
	global_inv scope:SCOPE_SE
	s_clause 0x5
	scratch_load_b128 v[2:5], off, off offset:800
	scratch_load_b128 v[6:9], off, off offset:816
	;; [unrolled: 1-line block ×6, first 2 shown]
	v_mov_b32_e32 v1, 0
	ds_load_b128 v[26:29], v1 offset:1648
	ds_load_b128 v[30:33], v1 offset:1664
	s_mov_b32 s0, exec_lo
	s_wait_loadcnt_dscnt 0x501
	v_mul_f64_e32 v[34:35], v[28:29], v[4:5]
	v_mul_f64_e32 v[4:5], v[26:27], v[4:5]
	s_wait_loadcnt_dscnt 0x400
	v_mul_f64_e32 v[36:37], v[30:31], v[8:9]
	v_mul_f64_e32 v[8:9], v[32:33], v[8:9]
	s_delay_alu instid0(VALU_DEP_4) | instskip(NEXT) | instid1(VALU_DEP_4)
	v_fma_f64 v[34:35], v[26:27], v[2:3], -v[34:35]
	v_fma_f64 v[38:39], v[28:29], v[2:3], v[4:5]
	ds_load_b128 v[2:5], v1 offset:1680
	ds_load_b128 v[26:29], v1 offset:1696
	v_fma_f64 v[32:33], v[32:33], v[6:7], v[36:37]
	v_fma_f64 v[6:7], v[30:31], v[6:7], -v[8:9]
	s_wait_loadcnt_dscnt 0x301
	v_mul_f64_e32 v[40:41], v[2:3], v[12:13]
	v_mul_f64_e32 v[12:13], v[4:5], v[12:13]
	v_add_f64_e32 v[8:9], 0, v[34:35]
	v_add_f64_e32 v[30:31], 0, v[38:39]
	s_wait_loadcnt_dscnt 0x200
	v_mul_f64_e32 v[34:35], v[26:27], v[16:17]
	v_mul_f64_e32 v[16:17], v[28:29], v[16:17]
	v_fma_f64 v[36:37], v[4:5], v[10:11], v[40:41]
	v_fma_f64 v[10:11], v[2:3], v[10:11], -v[12:13]
	ds_load_b128 v[2:5], v1 offset:1712
	v_add_f64_e32 v[6:7], v[8:9], v[6:7]
	v_add_f64_e32 v[8:9], v[30:31], v[32:33]
	v_fma_f64 v[28:29], v[28:29], v[14:15], v[34:35]
	v_fma_f64 v[14:15], v[26:27], v[14:15], -v[16:17]
	s_wait_loadcnt_dscnt 0x100
	v_mul_f64_e32 v[12:13], v[2:3], v[20:21]
	v_mul_f64_e32 v[20:21], v[4:5], v[20:21]
	v_add_f64_e32 v[6:7], v[6:7], v[10:11]
	v_add_f64_e32 v[8:9], v[8:9], v[36:37]
	s_delay_alu instid0(VALU_DEP_4) | instskip(NEXT) | instid1(VALU_DEP_4)
	v_fma_f64 v[4:5], v[4:5], v[18:19], v[12:13]
	v_fma_f64 v[2:3], v[2:3], v[18:19], -v[20:21]
	s_delay_alu instid0(VALU_DEP_4) | instskip(NEXT) | instid1(VALU_DEP_4)
	v_add_f64_e32 v[6:7], v[6:7], v[14:15]
	v_add_f64_e32 v[8:9], v[8:9], v[28:29]
	s_delay_alu instid0(VALU_DEP_2) | instskip(NEXT) | instid1(VALU_DEP_2)
	v_add_f64_e32 v[2:3], v[6:7], v[2:3]
	v_add_f64_e32 v[4:5], v[8:9], v[4:5]
	s_wait_loadcnt 0x0
	s_delay_alu instid0(VALU_DEP_2) | instskip(NEXT) | instid1(VALU_DEP_2)
	v_add_f64_e64 v[2:3], v[22:23], -v[2:3]
	v_add_f64_e64 v[4:5], v[24:25], -v[4:5]
	scratch_store_b128 off, v[2:5], off offset:784
	v_cmpx_lt_u32_e32 47, v0
	s_cbranch_execz .LBB53_243
; %bb.242:
	scratch_load_b128 v[5:8], off, s39
	v_dual_mov_b32 v2, v1 :: v_dual_mov_b32 v3, v1
	v_mov_b32_e32 v4, v1
	scratch_store_b128 off, v[1:4], off offset:768
	s_wait_loadcnt 0x0
	ds_store_b128 v154, v[5:8]
.LBB53_243:
	s_wait_alu 0xfffe
	s_or_b32 exec_lo, exec_lo, s0
	s_wait_storecnt_dscnt 0x0
	s_barrier_signal -1
	s_barrier_wait -1
	global_inv scope:SCOPE_SE
	s_clause 0x5
	scratch_load_b128 v[2:5], off, off offset:784
	scratch_load_b128 v[6:9], off, off offset:800
	;; [unrolled: 1-line block ×6, first 2 shown]
	ds_load_b128 v[26:29], v1 offset:1632
	ds_load_b128 v[34:37], v1 offset:1648
	scratch_load_b128 v[30:33], off, off offset:768
	s_mov_b32 s0, exec_lo
	s_wait_loadcnt_dscnt 0x601
	v_mul_f64_e32 v[38:39], v[28:29], v[4:5]
	v_mul_f64_e32 v[4:5], v[26:27], v[4:5]
	s_wait_loadcnt_dscnt 0x500
	v_mul_f64_e32 v[40:41], v[34:35], v[8:9]
	v_mul_f64_e32 v[8:9], v[36:37], v[8:9]
	s_delay_alu instid0(VALU_DEP_4) | instskip(NEXT) | instid1(VALU_DEP_4)
	v_fma_f64 v[38:39], v[26:27], v[2:3], -v[38:39]
	v_fma_f64 v[42:43], v[28:29], v[2:3], v[4:5]
	ds_load_b128 v[2:5], v1 offset:1664
	ds_load_b128 v[26:29], v1 offset:1680
	v_fma_f64 v[36:37], v[36:37], v[6:7], v[40:41]
	v_fma_f64 v[6:7], v[34:35], v[6:7], -v[8:9]
	s_wait_loadcnt_dscnt 0x401
	v_mul_f64_e32 v[44:45], v[2:3], v[12:13]
	v_mul_f64_e32 v[12:13], v[4:5], v[12:13]
	v_add_f64_e32 v[8:9], 0, v[38:39]
	v_add_f64_e32 v[34:35], 0, v[42:43]
	s_wait_loadcnt_dscnt 0x300
	v_mul_f64_e32 v[38:39], v[26:27], v[16:17]
	v_mul_f64_e32 v[16:17], v[28:29], v[16:17]
	v_fma_f64 v[40:41], v[4:5], v[10:11], v[44:45]
	v_fma_f64 v[10:11], v[2:3], v[10:11], -v[12:13]
	v_add_f64_e32 v[12:13], v[8:9], v[6:7]
	v_add_f64_e32 v[34:35], v[34:35], v[36:37]
	ds_load_b128 v[2:5], v1 offset:1696
	ds_load_b128 v[6:9], v1 offset:1712
	v_fma_f64 v[28:29], v[28:29], v[14:15], v[38:39]
	v_fma_f64 v[14:15], v[26:27], v[14:15], -v[16:17]
	s_wait_loadcnt_dscnt 0x201
	v_mul_f64_e32 v[36:37], v[2:3], v[20:21]
	v_mul_f64_e32 v[20:21], v[4:5], v[20:21]
	s_wait_loadcnt_dscnt 0x100
	v_mul_f64_e32 v[16:17], v[6:7], v[24:25]
	v_mul_f64_e32 v[24:25], v[8:9], v[24:25]
	v_add_f64_e32 v[10:11], v[12:13], v[10:11]
	v_add_f64_e32 v[12:13], v[34:35], v[40:41]
	v_fma_f64 v[4:5], v[4:5], v[18:19], v[36:37]
	v_fma_f64 v[1:2], v[2:3], v[18:19], -v[20:21]
	v_fma_f64 v[8:9], v[8:9], v[22:23], v[16:17]
	v_fma_f64 v[6:7], v[6:7], v[22:23], -v[24:25]
	v_add_f64_e32 v[10:11], v[10:11], v[14:15]
	v_add_f64_e32 v[12:13], v[12:13], v[28:29]
	s_delay_alu instid0(VALU_DEP_2) | instskip(NEXT) | instid1(VALU_DEP_2)
	v_add_f64_e32 v[1:2], v[10:11], v[1:2]
	v_add_f64_e32 v[3:4], v[12:13], v[4:5]
	s_delay_alu instid0(VALU_DEP_2) | instskip(NEXT) | instid1(VALU_DEP_2)
	v_add_f64_e32 v[1:2], v[1:2], v[6:7]
	v_add_f64_e32 v[3:4], v[3:4], v[8:9]
	s_wait_loadcnt 0x0
	s_delay_alu instid0(VALU_DEP_2) | instskip(NEXT) | instid1(VALU_DEP_2)
	v_add_f64_e64 v[1:2], v[30:31], -v[1:2]
	v_add_f64_e64 v[3:4], v[32:33], -v[3:4]
	scratch_store_b128 off, v[1:4], off offset:768
	v_cmpx_lt_u32_e32 46, v0
	s_cbranch_execz .LBB53_245
; %bb.244:
	scratch_load_b128 v[1:4], off, s5
	v_mov_b32_e32 v5, 0
	s_delay_alu instid0(VALU_DEP_1)
	v_dual_mov_b32 v6, v5 :: v_dual_mov_b32 v7, v5
	v_mov_b32_e32 v8, v5
	scratch_store_b128 off, v[5:8], off offset:752
	s_wait_loadcnt 0x0
	ds_store_b128 v154, v[1:4]
.LBB53_245:
	s_wait_alu 0xfffe
	s_or_b32 exec_lo, exec_lo, s0
	s_wait_storecnt_dscnt 0x0
	s_barrier_signal -1
	s_barrier_wait -1
	global_inv scope:SCOPE_SE
	s_clause 0x6
	scratch_load_b128 v[2:5], off, off offset:768
	scratch_load_b128 v[6:9], off, off offset:784
	;; [unrolled: 1-line block ×7, first 2 shown]
	v_mov_b32_e32 v1, 0
	scratch_load_b128 v[34:37], off, off offset:752
	s_mov_b32 s0, exec_lo
	ds_load_b128 v[30:33], v1 offset:1616
	ds_load_b128 v[38:41], v1 offset:1632
	s_wait_loadcnt_dscnt 0x701
	v_mul_f64_e32 v[42:43], v[32:33], v[4:5]
	v_mul_f64_e32 v[4:5], v[30:31], v[4:5]
	s_wait_loadcnt_dscnt 0x600
	v_mul_f64_e32 v[44:45], v[38:39], v[8:9]
	v_mul_f64_e32 v[8:9], v[40:41], v[8:9]
	s_delay_alu instid0(VALU_DEP_4) | instskip(NEXT) | instid1(VALU_DEP_4)
	v_fma_f64 v[42:43], v[30:31], v[2:3], -v[42:43]
	v_fma_f64 v[155:156], v[32:33], v[2:3], v[4:5]
	ds_load_b128 v[2:5], v1 offset:1648
	ds_load_b128 v[30:33], v1 offset:1664
	v_fma_f64 v[40:41], v[40:41], v[6:7], v[44:45]
	v_fma_f64 v[6:7], v[38:39], v[6:7], -v[8:9]
	s_wait_loadcnt_dscnt 0x501
	v_mul_f64_e32 v[157:158], v[2:3], v[12:13]
	v_mul_f64_e32 v[12:13], v[4:5], v[12:13]
	v_add_f64_e32 v[8:9], 0, v[42:43]
	v_add_f64_e32 v[38:39], 0, v[155:156]
	s_wait_loadcnt_dscnt 0x400
	v_mul_f64_e32 v[42:43], v[30:31], v[16:17]
	v_mul_f64_e32 v[16:17], v[32:33], v[16:17]
	v_fma_f64 v[44:45], v[4:5], v[10:11], v[157:158]
	v_fma_f64 v[10:11], v[2:3], v[10:11], -v[12:13]
	v_add_f64_e32 v[12:13], v[8:9], v[6:7]
	v_add_f64_e32 v[38:39], v[38:39], v[40:41]
	ds_load_b128 v[2:5], v1 offset:1680
	ds_load_b128 v[6:9], v1 offset:1696
	v_fma_f64 v[32:33], v[32:33], v[14:15], v[42:43]
	v_fma_f64 v[14:15], v[30:31], v[14:15], -v[16:17]
	s_wait_loadcnt_dscnt 0x301
	v_mul_f64_e32 v[40:41], v[2:3], v[20:21]
	v_mul_f64_e32 v[20:21], v[4:5], v[20:21]
	s_wait_loadcnt_dscnt 0x200
	v_mul_f64_e32 v[16:17], v[6:7], v[24:25]
	v_mul_f64_e32 v[24:25], v[8:9], v[24:25]
	v_add_f64_e32 v[10:11], v[12:13], v[10:11]
	v_add_f64_e32 v[12:13], v[38:39], v[44:45]
	v_fma_f64 v[30:31], v[4:5], v[18:19], v[40:41]
	v_fma_f64 v[18:19], v[2:3], v[18:19], -v[20:21]
	ds_load_b128 v[2:5], v1 offset:1712
	v_fma_f64 v[8:9], v[8:9], v[22:23], v[16:17]
	v_fma_f64 v[6:7], v[6:7], v[22:23], -v[24:25]
	v_add_f64_e32 v[10:11], v[10:11], v[14:15]
	v_add_f64_e32 v[12:13], v[12:13], v[32:33]
	s_wait_loadcnt_dscnt 0x100
	v_mul_f64_e32 v[14:15], v[2:3], v[28:29]
	v_mul_f64_e32 v[20:21], v[4:5], v[28:29]
	s_delay_alu instid0(VALU_DEP_4) | instskip(NEXT) | instid1(VALU_DEP_4)
	v_add_f64_e32 v[10:11], v[10:11], v[18:19]
	v_add_f64_e32 v[12:13], v[12:13], v[30:31]
	s_delay_alu instid0(VALU_DEP_4) | instskip(NEXT) | instid1(VALU_DEP_4)
	v_fma_f64 v[4:5], v[4:5], v[26:27], v[14:15]
	v_fma_f64 v[2:3], v[2:3], v[26:27], -v[20:21]
	s_delay_alu instid0(VALU_DEP_4) | instskip(NEXT) | instid1(VALU_DEP_4)
	v_add_f64_e32 v[6:7], v[10:11], v[6:7]
	v_add_f64_e32 v[8:9], v[12:13], v[8:9]
	s_delay_alu instid0(VALU_DEP_2) | instskip(NEXT) | instid1(VALU_DEP_2)
	v_add_f64_e32 v[2:3], v[6:7], v[2:3]
	v_add_f64_e32 v[4:5], v[8:9], v[4:5]
	s_wait_loadcnt 0x0
	s_delay_alu instid0(VALU_DEP_2) | instskip(NEXT) | instid1(VALU_DEP_2)
	v_add_f64_e64 v[2:3], v[34:35], -v[2:3]
	v_add_f64_e64 v[4:5], v[36:37], -v[4:5]
	scratch_store_b128 off, v[2:5], off offset:752
	v_cmpx_lt_u32_e32 45, v0
	s_cbranch_execz .LBB53_247
; %bb.246:
	scratch_load_b128 v[5:8], off, s4
	v_dual_mov_b32 v2, v1 :: v_dual_mov_b32 v3, v1
	v_mov_b32_e32 v4, v1
	scratch_store_b128 off, v[1:4], off offset:736
	s_wait_loadcnt 0x0
	ds_store_b128 v154, v[5:8]
.LBB53_247:
	s_wait_alu 0xfffe
	s_or_b32 exec_lo, exec_lo, s0
	s_wait_storecnt_dscnt 0x0
	s_barrier_signal -1
	s_barrier_wait -1
	global_inv scope:SCOPE_SE
	s_clause 0x7
	scratch_load_b128 v[2:5], off, off offset:752
	scratch_load_b128 v[6:9], off, off offset:768
	;; [unrolled: 1-line block ×8, first 2 shown]
	ds_load_b128 v[34:37], v1 offset:1600
	ds_load_b128 v[38:41], v1 offset:1616
	scratch_load_b128 v[42:45], off, off offset:736
	s_mov_b32 s0, exec_lo
	s_wait_loadcnt_dscnt 0x801
	v_mul_f64_e32 v[155:156], v[36:37], v[4:5]
	v_mul_f64_e32 v[4:5], v[34:35], v[4:5]
	s_wait_loadcnt_dscnt 0x700
	v_mul_f64_e32 v[157:158], v[38:39], v[8:9]
	v_mul_f64_e32 v[8:9], v[40:41], v[8:9]
	s_delay_alu instid0(VALU_DEP_4) | instskip(NEXT) | instid1(VALU_DEP_4)
	v_fma_f64 v[155:156], v[34:35], v[2:3], -v[155:156]
	v_fma_f64 v[159:160], v[36:37], v[2:3], v[4:5]
	ds_load_b128 v[2:5], v1 offset:1632
	ds_load_b128 v[34:37], v1 offset:1648
	v_fma_f64 v[40:41], v[40:41], v[6:7], v[157:158]
	v_fma_f64 v[6:7], v[38:39], v[6:7], -v[8:9]
	s_wait_loadcnt_dscnt 0x601
	v_mul_f64_e32 v[161:162], v[2:3], v[12:13]
	v_mul_f64_e32 v[12:13], v[4:5], v[12:13]
	v_add_f64_e32 v[8:9], 0, v[155:156]
	v_add_f64_e32 v[38:39], 0, v[159:160]
	s_wait_loadcnt_dscnt 0x500
	v_mul_f64_e32 v[155:156], v[34:35], v[16:17]
	v_mul_f64_e32 v[16:17], v[36:37], v[16:17]
	v_fma_f64 v[157:158], v[4:5], v[10:11], v[161:162]
	v_fma_f64 v[10:11], v[2:3], v[10:11], -v[12:13]
	v_add_f64_e32 v[12:13], v[8:9], v[6:7]
	v_add_f64_e32 v[38:39], v[38:39], v[40:41]
	ds_load_b128 v[2:5], v1 offset:1664
	ds_load_b128 v[6:9], v1 offset:1680
	v_fma_f64 v[36:37], v[36:37], v[14:15], v[155:156]
	v_fma_f64 v[14:15], v[34:35], v[14:15], -v[16:17]
	s_wait_loadcnt_dscnt 0x401
	v_mul_f64_e32 v[40:41], v[2:3], v[20:21]
	v_mul_f64_e32 v[20:21], v[4:5], v[20:21]
	s_wait_loadcnt_dscnt 0x300
	v_mul_f64_e32 v[16:17], v[6:7], v[24:25]
	v_mul_f64_e32 v[24:25], v[8:9], v[24:25]
	v_add_f64_e32 v[10:11], v[12:13], v[10:11]
	v_add_f64_e32 v[12:13], v[38:39], v[157:158]
	v_fma_f64 v[34:35], v[4:5], v[18:19], v[40:41]
	v_fma_f64 v[18:19], v[2:3], v[18:19], -v[20:21]
	v_fma_f64 v[8:9], v[8:9], v[22:23], v[16:17]
	v_fma_f64 v[6:7], v[6:7], v[22:23], -v[24:25]
	v_add_f64_e32 v[14:15], v[10:11], v[14:15]
	v_add_f64_e32 v[20:21], v[12:13], v[36:37]
	ds_load_b128 v[2:5], v1 offset:1696
	ds_load_b128 v[10:13], v1 offset:1712
	s_wait_loadcnt_dscnt 0x201
	v_mul_f64_e32 v[36:37], v[2:3], v[28:29]
	v_mul_f64_e32 v[28:29], v[4:5], v[28:29]
	v_add_f64_e32 v[14:15], v[14:15], v[18:19]
	v_add_f64_e32 v[16:17], v[20:21], v[34:35]
	s_wait_loadcnt_dscnt 0x100
	v_mul_f64_e32 v[18:19], v[10:11], v[32:33]
	v_mul_f64_e32 v[20:21], v[12:13], v[32:33]
	v_fma_f64 v[4:5], v[4:5], v[26:27], v[36:37]
	v_fma_f64 v[1:2], v[2:3], v[26:27], -v[28:29]
	v_add_f64_e32 v[6:7], v[14:15], v[6:7]
	v_add_f64_e32 v[8:9], v[16:17], v[8:9]
	v_fma_f64 v[12:13], v[12:13], v[30:31], v[18:19]
	v_fma_f64 v[10:11], v[10:11], v[30:31], -v[20:21]
	s_delay_alu instid0(VALU_DEP_4) | instskip(NEXT) | instid1(VALU_DEP_4)
	v_add_f64_e32 v[1:2], v[6:7], v[1:2]
	v_add_f64_e32 v[3:4], v[8:9], v[4:5]
	s_delay_alu instid0(VALU_DEP_2) | instskip(NEXT) | instid1(VALU_DEP_2)
	v_add_f64_e32 v[1:2], v[1:2], v[10:11]
	v_add_f64_e32 v[3:4], v[3:4], v[12:13]
	s_wait_loadcnt 0x0
	s_delay_alu instid0(VALU_DEP_2) | instskip(NEXT) | instid1(VALU_DEP_2)
	v_add_f64_e64 v[1:2], v[42:43], -v[1:2]
	v_add_f64_e64 v[3:4], v[44:45], -v[3:4]
	scratch_store_b128 off, v[1:4], off offset:736
	v_cmpx_lt_u32_e32 44, v0
	s_cbranch_execz .LBB53_249
; %bb.248:
	scratch_load_b128 v[1:4], off, s9
	v_mov_b32_e32 v5, 0
	s_delay_alu instid0(VALU_DEP_1)
	v_dual_mov_b32 v6, v5 :: v_dual_mov_b32 v7, v5
	v_mov_b32_e32 v8, v5
	scratch_store_b128 off, v[5:8], off offset:720
	s_wait_loadcnt 0x0
	ds_store_b128 v154, v[1:4]
.LBB53_249:
	s_wait_alu 0xfffe
	s_or_b32 exec_lo, exec_lo, s0
	s_wait_storecnt_dscnt 0x0
	s_barrier_signal -1
	s_barrier_wait -1
	global_inv scope:SCOPE_SE
	s_clause 0x7
	scratch_load_b128 v[2:5], off, off offset:736
	scratch_load_b128 v[6:9], off, off offset:752
	;; [unrolled: 1-line block ×8, first 2 shown]
	v_mov_b32_e32 v1, 0
	scratch_load_b128 v[38:41], off, off offset:864
	s_mov_b32 s0, exec_lo
	ds_load_b128 v[34:37], v1 offset:1584
	ds_load_b128 v[42:45], v1 offset:1600
	s_wait_loadcnt_dscnt 0x801
	v_mul_f64_e32 v[155:156], v[36:37], v[4:5]
	v_mul_f64_e32 v[4:5], v[34:35], v[4:5]
	s_wait_loadcnt_dscnt 0x700
	v_mul_f64_e32 v[157:158], v[42:43], v[8:9]
	v_mul_f64_e32 v[8:9], v[44:45], v[8:9]
	s_delay_alu instid0(VALU_DEP_4) | instskip(NEXT) | instid1(VALU_DEP_4)
	v_fma_f64 v[34:35], v[34:35], v[2:3], -v[155:156]
	v_fma_f64 v[36:37], v[36:37], v[2:3], v[4:5]
	ds_load_b128 v[2:5], v1 offset:1616
	v_fma_f64 v[44:45], v[44:45], v[6:7], v[157:158]
	v_fma_f64 v[42:43], v[42:43], v[6:7], -v[8:9]
	ds_load_b128 v[6:9], v1 offset:1632
	s_wait_loadcnt_dscnt 0x601
	v_mul_f64_e32 v[155:156], v[2:3], v[12:13]
	v_mul_f64_e32 v[12:13], v[4:5], v[12:13]
	s_wait_loadcnt_dscnt 0x500
	v_mul_f64_e32 v[161:162], v[6:7], v[16:17]
	v_mul_f64_e32 v[16:17], v[8:9], v[16:17]
	v_add_f64_e32 v[157:158], 0, v[34:35]
	v_add_f64_e32 v[159:160], 0, v[36:37]
	scratch_load_b128 v[34:37], off, off offset:720
	v_fma_f64 v[155:156], v[4:5], v[10:11], v[155:156]
	v_fma_f64 v[10:11], v[2:3], v[10:11], -v[12:13]
	ds_load_b128 v[2:5], v1 offset:1648
	v_add_f64_e32 v[12:13], v[157:158], v[42:43]
	v_add_f64_e32 v[42:43], v[159:160], v[44:45]
	v_fma_f64 v[157:158], v[8:9], v[14:15], v[161:162]
	v_fma_f64 v[14:15], v[6:7], v[14:15], -v[16:17]
	ds_load_b128 v[6:9], v1 offset:1664
	s_wait_loadcnt_dscnt 0x501
	v_mul_f64_e32 v[44:45], v[2:3], v[20:21]
	v_mul_f64_e32 v[20:21], v[4:5], v[20:21]
	s_wait_loadcnt_dscnt 0x400
	v_mul_f64_e32 v[16:17], v[6:7], v[24:25]
	v_mul_f64_e32 v[24:25], v[8:9], v[24:25]
	v_add_f64_e32 v[10:11], v[12:13], v[10:11]
	v_add_f64_e32 v[12:13], v[42:43], v[155:156]
	v_fma_f64 v[42:43], v[4:5], v[18:19], v[44:45]
	v_fma_f64 v[18:19], v[2:3], v[18:19], -v[20:21]
	ds_load_b128 v[2:5], v1 offset:1680
	v_fma_f64 v[16:17], v[8:9], v[22:23], v[16:17]
	v_fma_f64 v[22:23], v[6:7], v[22:23], -v[24:25]
	ds_load_b128 v[6:9], v1 offset:1696
	s_wait_loadcnt_dscnt 0x301
	v_mul_f64_e32 v[20:21], v[4:5], v[28:29]
	v_add_f64_e32 v[10:11], v[10:11], v[14:15]
	v_add_f64_e32 v[12:13], v[12:13], v[157:158]
	v_mul_f64_e32 v[14:15], v[2:3], v[28:29]
	s_wait_loadcnt_dscnt 0x200
	v_mul_f64_e32 v[24:25], v[8:9], v[32:33]
	v_fma_f64 v[20:21], v[2:3], v[26:27], -v[20:21]
	v_add_f64_e32 v[10:11], v[10:11], v[18:19]
	v_add_f64_e32 v[12:13], v[12:13], v[42:43]
	v_mul_f64_e32 v[18:19], v[6:7], v[32:33]
	v_fma_f64 v[14:15], v[4:5], v[26:27], v[14:15]
	ds_load_b128 v[2:5], v1 offset:1712
	v_fma_f64 v[6:7], v[6:7], v[30:31], -v[24:25]
	v_add_f64_e32 v[10:11], v[10:11], v[22:23]
	v_add_f64_e32 v[12:13], v[12:13], v[16:17]
	s_wait_loadcnt_dscnt 0x100
	v_mul_f64_e32 v[16:17], v[2:3], v[40:41]
	v_mul_f64_e32 v[22:23], v[4:5], v[40:41]
	v_fma_f64 v[8:9], v[8:9], v[30:31], v[18:19]
	v_add_f64_e32 v[10:11], v[10:11], v[20:21]
	v_add_f64_e32 v[12:13], v[12:13], v[14:15]
	v_fma_f64 v[4:5], v[4:5], v[38:39], v[16:17]
	v_fma_f64 v[2:3], v[2:3], v[38:39], -v[22:23]
	s_delay_alu instid0(VALU_DEP_4) | instskip(NEXT) | instid1(VALU_DEP_4)
	v_add_f64_e32 v[6:7], v[10:11], v[6:7]
	v_add_f64_e32 v[8:9], v[12:13], v[8:9]
	s_delay_alu instid0(VALU_DEP_2) | instskip(NEXT) | instid1(VALU_DEP_2)
	v_add_f64_e32 v[2:3], v[6:7], v[2:3]
	v_add_f64_e32 v[4:5], v[8:9], v[4:5]
	s_wait_loadcnt 0x0
	s_delay_alu instid0(VALU_DEP_2) | instskip(NEXT) | instid1(VALU_DEP_2)
	v_add_f64_e64 v[2:3], v[34:35], -v[2:3]
	v_add_f64_e64 v[4:5], v[36:37], -v[4:5]
	scratch_store_b128 off, v[2:5], off offset:720
	v_cmpx_lt_u32_e32 43, v0
	s_cbranch_execz .LBB53_251
; %bb.250:
	scratch_load_b128 v[5:8], off, s8
	v_dual_mov_b32 v2, v1 :: v_dual_mov_b32 v3, v1
	v_mov_b32_e32 v4, v1
	scratch_store_b128 off, v[1:4], off offset:704
	s_wait_loadcnt 0x0
	ds_store_b128 v154, v[5:8]
.LBB53_251:
	s_wait_alu 0xfffe
	s_or_b32 exec_lo, exec_lo, s0
	s_wait_storecnt_dscnt 0x0
	s_barrier_signal -1
	s_barrier_wait -1
	global_inv scope:SCOPE_SE
	s_clause 0x7
	scratch_load_b128 v[2:5], off, off offset:720
	scratch_load_b128 v[6:9], off, off offset:736
	scratch_load_b128 v[10:13], off, off offset:752
	scratch_load_b128 v[14:17], off, off offset:768
	scratch_load_b128 v[18:21], off, off offset:784
	scratch_load_b128 v[22:25], off, off offset:800
	scratch_load_b128 v[26:29], off, off offset:816
	scratch_load_b128 v[30:33], off, off offset:832
	ds_load_b128 v[34:37], v1 offset:1568
	ds_load_b128 v[42:45], v1 offset:1584
	s_clause 0x1
	scratch_load_b128 v[38:41], off, off offset:848
	scratch_load_b128 v[155:158], off, off offset:864
	s_mov_b32 s0, exec_lo
	s_wait_loadcnt_dscnt 0x901
	v_mul_f64_e32 v[159:160], v[36:37], v[4:5]
	v_mul_f64_e32 v[4:5], v[34:35], v[4:5]
	s_wait_loadcnt_dscnt 0x800
	v_mul_f64_e32 v[161:162], v[42:43], v[8:9]
	v_mul_f64_e32 v[8:9], v[44:45], v[8:9]
	s_delay_alu instid0(VALU_DEP_4) | instskip(NEXT) | instid1(VALU_DEP_4)
	v_fma_f64 v[34:35], v[34:35], v[2:3], -v[159:160]
	v_fma_f64 v[36:37], v[36:37], v[2:3], v[4:5]
	ds_load_b128 v[2:5], v1 offset:1600
	v_fma_f64 v[44:45], v[44:45], v[6:7], v[161:162]
	v_fma_f64 v[42:43], v[42:43], v[6:7], -v[8:9]
	ds_load_b128 v[6:9], v1 offset:1616
	s_wait_loadcnt_dscnt 0x701
	v_mul_f64_e32 v[159:160], v[2:3], v[12:13]
	v_mul_f64_e32 v[12:13], v[4:5], v[12:13]
	s_wait_loadcnt_dscnt 0x600
	v_mul_f64_e32 v[161:162], v[6:7], v[16:17]
	v_mul_f64_e32 v[16:17], v[8:9], v[16:17]
	v_add_f64_e32 v[34:35], 0, v[34:35]
	v_add_f64_e32 v[36:37], 0, v[36:37]
	v_fma_f64 v[159:160], v[4:5], v[10:11], v[159:160]
	v_fma_f64 v[163:164], v[2:3], v[10:11], -v[12:13]
	ds_load_b128 v[2:5], v1 offset:1632
	scratch_load_b128 v[10:13], off, off offset:704
	v_add_f64_e32 v[34:35], v[34:35], v[42:43]
	v_add_f64_e32 v[36:37], v[36:37], v[44:45]
	v_fma_f64 v[44:45], v[8:9], v[14:15], v[161:162]
	v_fma_f64 v[14:15], v[6:7], v[14:15], -v[16:17]
	ds_load_b128 v[6:9], v1 offset:1648
	s_wait_loadcnt_dscnt 0x601
	v_mul_f64_e32 v[42:43], v[2:3], v[20:21]
	v_mul_f64_e32 v[20:21], v[4:5], v[20:21]
	v_add_f64_e32 v[16:17], v[34:35], v[163:164]
	v_add_f64_e32 v[34:35], v[36:37], v[159:160]
	s_wait_loadcnt_dscnt 0x500
	v_mul_f64_e32 v[36:37], v[6:7], v[24:25]
	v_mul_f64_e32 v[24:25], v[8:9], v[24:25]
	v_fma_f64 v[42:43], v[4:5], v[18:19], v[42:43]
	v_fma_f64 v[18:19], v[2:3], v[18:19], -v[20:21]
	ds_load_b128 v[2:5], v1 offset:1664
	v_add_f64_e32 v[14:15], v[16:17], v[14:15]
	v_add_f64_e32 v[16:17], v[34:35], v[44:45]
	v_fma_f64 v[34:35], v[8:9], v[22:23], v[36:37]
	v_fma_f64 v[22:23], v[6:7], v[22:23], -v[24:25]
	ds_load_b128 v[6:9], v1 offset:1680
	s_wait_loadcnt_dscnt 0x401
	v_mul_f64_e32 v[20:21], v[2:3], v[28:29]
	v_mul_f64_e32 v[28:29], v[4:5], v[28:29]
	s_wait_loadcnt_dscnt 0x300
	v_mul_f64_e32 v[24:25], v[8:9], v[32:33]
	v_add_f64_e32 v[14:15], v[14:15], v[18:19]
	v_add_f64_e32 v[16:17], v[16:17], v[42:43]
	v_mul_f64_e32 v[18:19], v[6:7], v[32:33]
	v_fma_f64 v[20:21], v[4:5], v[26:27], v[20:21]
	v_fma_f64 v[26:27], v[2:3], v[26:27], -v[28:29]
	ds_load_b128 v[2:5], v1 offset:1696
	v_fma_f64 v[24:25], v[6:7], v[30:31], -v[24:25]
	v_add_f64_e32 v[14:15], v[14:15], v[22:23]
	v_add_f64_e32 v[16:17], v[16:17], v[34:35]
	v_fma_f64 v[18:19], v[8:9], v[30:31], v[18:19]
	ds_load_b128 v[6:9], v1 offset:1712
	s_wait_loadcnt_dscnt 0x201
	v_mul_f64_e32 v[22:23], v[2:3], v[40:41]
	v_mul_f64_e32 v[28:29], v[4:5], v[40:41]
	v_add_f64_e32 v[14:15], v[14:15], v[26:27]
	v_add_f64_e32 v[16:17], v[16:17], v[20:21]
	s_wait_loadcnt_dscnt 0x100
	v_mul_f64_e32 v[20:21], v[6:7], v[157:158]
	v_mul_f64_e32 v[26:27], v[8:9], v[157:158]
	v_fma_f64 v[4:5], v[4:5], v[38:39], v[22:23]
	v_fma_f64 v[1:2], v[2:3], v[38:39], -v[28:29]
	v_add_f64_e32 v[14:15], v[14:15], v[24:25]
	v_add_f64_e32 v[16:17], v[16:17], v[18:19]
	v_fma_f64 v[8:9], v[8:9], v[155:156], v[20:21]
	v_fma_f64 v[6:7], v[6:7], v[155:156], -v[26:27]
	s_delay_alu instid0(VALU_DEP_4) | instskip(NEXT) | instid1(VALU_DEP_4)
	v_add_f64_e32 v[1:2], v[14:15], v[1:2]
	v_add_f64_e32 v[3:4], v[16:17], v[4:5]
	s_delay_alu instid0(VALU_DEP_2) | instskip(NEXT) | instid1(VALU_DEP_2)
	v_add_f64_e32 v[1:2], v[1:2], v[6:7]
	v_add_f64_e32 v[3:4], v[3:4], v[8:9]
	s_wait_loadcnt 0x0
	s_delay_alu instid0(VALU_DEP_2) | instskip(NEXT) | instid1(VALU_DEP_2)
	v_add_f64_e64 v[1:2], v[10:11], -v[1:2]
	v_add_f64_e64 v[3:4], v[12:13], -v[3:4]
	scratch_store_b128 off, v[1:4], off offset:704
	v_cmpx_lt_u32_e32 42, v0
	s_cbranch_execz .LBB53_253
; %bb.252:
	scratch_load_b128 v[1:4], off, s11
	v_mov_b32_e32 v5, 0
	s_delay_alu instid0(VALU_DEP_1)
	v_dual_mov_b32 v6, v5 :: v_dual_mov_b32 v7, v5
	v_mov_b32_e32 v8, v5
	scratch_store_b128 off, v[5:8], off offset:688
	s_wait_loadcnt 0x0
	ds_store_b128 v154, v[1:4]
.LBB53_253:
	s_wait_alu 0xfffe
	s_or_b32 exec_lo, exec_lo, s0
	s_wait_storecnt_dscnt 0x0
	s_barrier_signal -1
	s_barrier_wait -1
	global_inv scope:SCOPE_SE
	s_clause 0x7
	scratch_load_b128 v[2:5], off, off offset:704
	scratch_load_b128 v[6:9], off, off offset:720
	scratch_load_b128 v[10:13], off, off offset:736
	scratch_load_b128 v[14:17], off, off offset:752
	scratch_load_b128 v[18:21], off, off offset:768
	scratch_load_b128 v[22:25], off, off offset:784
	scratch_load_b128 v[26:29], off, off offset:800
	scratch_load_b128 v[30:33], off, off offset:816
	v_mov_b32_e32 v1, 0
	s_clause 0x1
	scratch_load_b128 v[38:41], off, off offset:832
	scratch_load_b128 v[155:158], off, off offset:848
	s_mov_b32 s0, exec_lo
	ds_load_b128 v[34:37], v1 offset:1552
	ds_load_b128 v[42:45], v1 offset:1568
	s_wait_loadcnt_dscnt 0x901
	v_mul_f64_e32 v[159:160], v[36:37], v[4:5]
	v_mul_f64_e32 v[4:5], v[34:35], v[4:5]
	s_wait_loadcnt_dscnt 0x800
	v_mul_f64_e32 v[161:162], v[42:43], v[8:9]
	v_mul_f64_e32 v[8:9], v[44:45], v[8:9]
	s_delay_alu instid0(VALU_DEP_4) | instskip(NEXT) | instid1(VALU_DEP_4)
	v_fma_f64 v[159:160], v[34:35], v[2:3], -v[159:160]
	v_fma_f64 v[163:164], v[36:37], v[2:3], v[4:5]
	ds_load_b128 v[2:5], v1 offset:1584
	scratch_load_b128 v[34:37], off, off offset:864
	v_fma_f64 v[44:45], v[44:45], v[6:7], v[161:162]
	v_fma_f64 v[42:43], v[42:43], v[6:7], -v[8:9]
	ds_load_b128 v[6:9], v1 offset:1600
	s_wait_loadcnt_dscnt 0x801
	v_mul_f64_e32 v[165:166], v[2:3], v[12:13]
	v_mul_f64_e32 v[12:13], v[4:5], v[12:13]
	v_add_f64_e32 v[159:160], 0, v[159:160]
	v_add_f64_e32 v[161:162], 0, v[163:164]
	s_wait_loadcnt_dscnt 0x700
	v_mul_f64_e32 v[163:164], v[6:7], v[16:17]
	v_mul_f64_e32 v[16:17], v[8:9], v[16:17]
	v_fma_f64 v[165:166], v[4:5], v[10:11], v[165:166]
	v_fma_f64 v[10:11], v[2:3], v[10:11], -v[12:13]
	ds_load_b128 v[2:5], v1 offset:1616
	v_add_f64_e32 v[12:13], v[159:160], v[42:43]
	v_add_f64_e32 v[42:43], v[161:162], v[44:45]
	v_fma_f64 v[159:160], v[8:9], v[14:15], v[163:164]
	v_fma_f64 v[14:15], v[6:7], v[14:15], -v[16:17]
	ds_load_b128 v[6:9], v1 offset:1632
	s_wait_loadcnt_dscnt 0x601
	v_mul_f64_e32 v[44:45], v[2:3], v[20:21]
	v_mul_f64_e32 v[20:21], v[4:5], v[20:21]
	s_wait_loadcnt_dscnt 0x500
	v_mul_f64_e32 v[161:162], v[6:7], v[24:25]
	v_mul_f64_e32 v[24:25], v[8:9], v[24:25]
	v_add_f64_e32 v[16:17], v[12:13], v[10:11]
	v_add_f64_e32 v[42:43], v[42:43], v[165:166]
	scratch_load_b128 v[10:13], off, off offset:688
	v_fma_f64 v[44:45], v[4:5], v[18:19], v[44:45]
	v_fma_f64 v[18:19], v[2:3], v[18:19], -v[20:21]
	ds_load_b128 v[2:5], v1 offset:1648
	v_add_f64_e32 v[14:15], v[16:17], v[14:15]
	v_add_f64_e32 v[16:17], v[42:43], v[159:160]
	v_fma_f64 v[42:43], v[8:9], v[22:23], v[161:162]
	v_fma_f64 v[22:23], v[6:7], v[22:23], -v[24:25]
	ds_load_b128 v[6:9], v1 offset:1664
	s_wait_loadcnt_dscnt 0x501
	v_mul_f64_e32 v[20:21], v[2:3], v[28:29]
	v_mul_f64_e32 v[28:29], v[4:5], v[28:29]
	s_wait_loadcnt_dscnt 0x400
	v_mul_f64_e32 v[24:25], v[8:9], v[32:33]
	v_add_f64_e32 v[14:15], v[14:15], v[18:19]
	v_add_f64_e32 v[16:17], v[16:17], v[44:45]
	v_mul_f64_e32 v[18:19], v[6:7], v[32:33]
	v_fma_f64 v[20:21], v[4:5], v[26:27], v[20:21]
	v_fma_f64 v[26:27], v[2:3], v[26:27], -v[28:29]
	ds_load_b128 v[2:5], v1 offset:1680
	v_fma_f64 v[24:25], v[6:7], v[30:31], -v[24:25]
	v_add_f64_e32 v[14:15], v[14:15], v[22:23]
	v_add_f64_e32 v[16:17], v[16:17], v[42:43]
	v_fma_f64 v[18:19], v[8:9], v[30:31], v[18:19]
	ds_load_b128 v[6:9], v1 offset:1696
	s_wait_loadcnt_dscnt 0x301
	v_mul_f64_e32 v[22:23], v[2:3], v[40:41]
	v_mul_f64_e32 v[28:29], v[4:5], v[40:41]
	v_add_f64_e32 v[14:15], v[14:15], v[26:27]
	v_add_f64_e32 v[16:17], v[16:17], v[20:21]
	s_wait_loadcnt_dscnt 0x200
	v_mul_f64_e32 v[20:21], v[6:7], v[157:158]
	v_mul_f64_e32 v[26:27], v[8:9], v[157:158]
	v_fma_f64 v[22:23], v[4:5], v[38:39], v[22:23]
	v_fma_f64 v[28:29], v[2:3], v[38:39], -v[28:29]
	ds_load_b128 v[2:5], v1 offset:1712
	v_add_f64_e32 v[14:15], v[14:15], v[24:25]
	v_add_f64_e32 v[16:17], v[16:17], v[18:19]
	v_fma_f64 v[8:9], v[8:9], v[155:156], v[20:21]
	v_fma_f64 v[6:7], v[6:7], v[155:156], -v[26:27]
	s_wait_loadcnt_dscnt 0x100
	v_mul_f64_e32 v[18:19], v[2:3], v[36:37]
	v_mul_f64_e32 v[24:25], v[4:5], v[36:37]
	v_add_f64_e32 v[14:15], v[14:15], v[28:29]
	v_add_f64_e32 v[16:17], v[16:17], v[22:23]
	s_delay_alu instid0(VALU_DEP_4) | instskip(NEXT) | instid1(VALU_DEP_4)
	v_fma_f64 v[4:5], v[4:5], v[34:35], v[18:19]
	v_fma_f64 v[2:3], v[2:3], v[34:35], -v[24:25]
	s_delay_alu instid0(VALU_DEP_4) | instskip(NEXT) | instid1(VALU_DEP_4)
	v_add_f64_e32 v[6:7], v[14:15], v[6:7]
	v_add_f64_e32 v[8:9], v[16:17], v[8:9]
	s_delay_alu instid0(VALU_DEP_2) | instskip(NEXT) | instid1(VALU_DEP_2)
	v_add_f64_e32 v[2:3], v[6:7], v[2:3]
	v_add_f64_e32 v[4:5], v[8:9], v[4:5]
	s_wait_loadcnt 0x0
	s_delay_alu instid0(VALU_DEP_2) | instskip(NEXT) | instid1(VALU_DEP_2)
	v_add_f64_e64 v[2:3], v[10:11], -v[2:3]
	v_add_f64_e64 v[4:5], v[12:13], -v[4:5]
	scratch_store_b128 off, v[2:5], off offset:688
	v_cmpx_lt_u32_e32 41, v0
	s_cbranch_execz .LBB53_255
; %bb.254:
	scratch_load_b128 v[5:8], off, s10
	v_dual_mov_b32 v2, v1 :: v_dual_mov_b32 v3, v1
	v_mov_b32_e32 v4, v1
	scratch_store_b128 off, v[1:4], off offset:672
	s_wait_loadcnt 0x0
	ds_store_b128 v154, v[5:8]
.LBB53_255:
	s_wait_alu 0xfffe
	s_or_b32 exec_lo, exec_lo, s0
	s_wait_storecnt_dscnt 0x0
	s_barrier_signal -1
	s_barrier_wait -1
	global_inv scope:SCOPE_SE
	s_clause 0x8
	scratch_load_b128 v[2:5], off, off offset:688
	scratch_load_b128 v[6:9], off, off offset:704
	;; [unrolled: 1-line block ×9, first 2 shown]
	ds_load_b128 v[38:41], v1 offset:1536
	ds_load_b128 v[42:45], v1 offset:1552
	s_clause 0x1
	scratch_load_b128 v[155:158], off, off offset:672
	scratch_load_b128 v[159:162], off, off offset:832
	s_mov_b32 s0, exec_lo
	s_wait_loadcnt_dscnt 0xa01
	v_mul_f64_e32 v[163:164], v[40:41], v[4:5]
	v_mul_f64_e32 v[4:5], v[38:39], v[4:5]
	s_wait_loadcnt_dscnt 0x900
	v_mul_f64_e32 v[167:168], v[42:43], v[8:9]
	v_mul_f64_e32 v[8:9], v[44:45], v[8:9]
	s_delay_alu instid0(VALU_DEP_4) | instskip(NEXT) | instid1(VALU_DEP_4)
	v_fma_f64 v[169:170], v[38:39], v[2:3], -v[163:164]
	v_fma_f64 v[171:172], v[40:41], v[2:3], v[4:5]
	ds_load_b128 v[2:5], v1 offset:1568
	ds_load_b128 v[163:166], v1 offset:1584
	scratch_load_b128 v[38:41], off, off offset:848
	v_fma_f64 v[44:45], v[44:45], v[6:7], v[167:168]
	v_fma_f64 v[42:43], v[42:43], v[6:7], -v[8:9]
	scratch_load_b128 v[6:9], off, off offset:864
	s_wait_loadcnt_dscnt 0xa01
	v_mul_f64_e32 v[173:174], v[2:3], v[12:13]
	v_mul_f64_e32 v[12:13], v[4:5], v[12:13]
	v_add_f64_e32 v[167:168], 0, v[169:170]
	v_add_f64_e32 v[169:170], 0, v[171:172]
	s_wait_loadcnt_dscnt 0x900
	v_mul_f64_e32 v[171:172], v[163:164], v[16:17]
	v_mul_f64_e32 v[16:17], v[165:166], v[16:17]
	v_fma_f64 v[173:174], v[4:5], v[10:11], v[173:174]
	v_fma_f64 v[175:176], v[2:3], v[10:11], -v[12:13]
	ds_load_b128 v[2:5], v1 offset:1600
	ds_load_b128 v[10:13], v1 offset:1616
	v_add_f64_e32 v[42:43], v[167:168], v[42:43]
	v_add_f64_e32 v[44:45], v[169:170], v[44:45]
	v_fma_f64 v[165:166], v[165:166], v[14:15], v[171:172]
	v_fma_f64 v[14:15], v[163:164], v[14:15], -v[16:17]
	s_wait_loadcnt_dscnt 0x801
	v_mul_f64_e32 v[167:168], v[2:3], v[20:21]
	v_mul_f64_e32 v[20:21], v[4:5], v[20:21]
	v_add_f64_e32 v[16:17], v[42:43], v[175:176]
	v_add_f64_e32 v[42:43], v[44:45], v[173:174]
	s_wait_loadcnt_dscnt 0x700
	v_mul_f64_e32 v[44:45], v[10:11], v[24:25]
	v_mul_f64_e32 v[24:25], v[12:13], v[24:25]
	v_fma_f64 v[163:164], v[4:5], v[18:19], v[167:168]
	v_fma_f64 v[18:19], v[2:3], v[18:19], -v[20:21]
	v_add_f64_e32 v[20:21], v[16:17], v[14:15]
	v_add_f64_e32 v[42:43], v[42:43], v[165:166]
	ds_load_b128 v[2:5], v1 offset:1632
	ds_load_b128 v[14:17], v1 offset:1648
	v_fma_f64 v[12:13], v[12:13], v[22:23], v[44:45]
	v_fma_f64 v[10:11], v[10:11], v[22:23], -v[24:25]
	s_wait_loadcnt_dscnt 0x601
	v_mul_f64_e32 v[165:166], v[2:3], v[28:29]
	v_mul_f64_e32 v[28:29], v[4:5], v[28:29]
	s_wait_loadcnt_dscnt 0x500
	v_mul_f64_e32 v[22:23], v[14:15], v[32:33]
	v_mul_f64_e32 v[24:25], v[16:17], v[32:33]
	v_add_f64_e32 v[18:19], v[20:21], v[18:19]
	v_add_f64_e32 v[20:21], v[42:43], v[163:164]
	v_fma_f64 v[32:33], v[4:5], v[26:27], v[165:166]
	v_fma_f64 v[26:27], v[2:3], v[26:27], -v[28:29]
	v_fma_f64 v[16:17], v[16:17], v[30:31], v[22:23]
	v_fma_f64 v[14:15], v[14:15], v[30:31], -v[24:25]
	v_add_f64_e32 v[18:19], v[18:19], v[10:11]
	v_add_f64_e32 v[20:21], v[20:21], v[12:13]
	ds_load_b128 v[2:5], v1 offset:1664
	ds_load_b128 v[10:13], v1 offset:1680
	s_wait_loadcnt_dscnt 0x401
	v_mul_f64_e32 v[28:29], v[2:3], v[36:37]
	v_mul_f64_e32 v[36:37], v[4:5], v[36:37]
	s_wait_loadcnt_dscnt 0x200
	v_mul_f64_e32 v[22:23], v[10:11], v[161:162]
	v_mul_f64_e32 v[24:25], v[12:13], v[161:162]
	v_add_f64_e32 v[18:19], v[18:19], v[26:27]
	v_add_f64_e32 v[20:21], v[20:21], v[32:33]
	v_fma_f64 v[26:27], v[4:5], v[34:35], v[28:29]
	v_fma_f64 v[28:29], v[2:3], v[34:35], -v[36:37]
	v_fma_f64 v[12:13], v[12:13], v[159:160], v[22:23]
	v_fma_f64 v[10:11], v[10:11], v[159:160], -v[24:25]
	v_add_f64_e32 v[18:19], v[18:19], v[14:15]
	v_add_f64_e32 v[20:21], v[20:21], v[16:17]
	ds_load_b128 v[2:5], v1 offset:1696
	ds_load_b128 v[14:17], v1 offset:1712
	s_wait_loadcnt_dscnt 0x101
	v_mul_f64_e32 v[30:31], v[2:3], v[40:41]
	v_mul_f64_e32 v[32:33], v[4:5], v[40:41]
	s_wait_loadcnt_dscnt 0x0
	v_mul_f64_e32 v[22:23], v[14:15], v[8:9]
	v_mul_f64_e32 v[8:9], v[16:17], v[8:9]
	v_add_f64_e32 v[18:19], v[18:19], v[28:29]
	v_add_f64_e32 v[20:21], v[20:21], v[26:27]
	v_fma_f64 v[4:5], v[4:5], v[38:39], v[30:31]
	v_fma_f64 v[1:2], v[2:3], v[38:39], -v[32:33]
	v_fma_f64 v[16:17], v[16:17], v[6:7], v[22:23]
	v_fma_f64 v[6:7], v[14:15], v[6:7], -v[8:9]
	v_add_f64_e32 v[10:11], v[18:19], v[10:11]
	v_add_f64_e32 v[12:13], v[20:21], v[12:13]
	s_delay_alu instid0(VALU_DEP_2) | instskip(NEXT) | instid1(VALU_DEP_2)
	v_add_f64_e32 v[1:2], v[10:11], v[1:2]
	v_add_f64_e32 v[3:4], v[12:13], v[4:5]
	s_delay_alu instid0(VALU_DEP_2) | instskip(NEXT) | instid1(VALU_DEP_2)
	;; [unrolled: 3-line block ×3, first 2 shown]
	v_add_f64_e64 v[1:2], v[155:156], -v[1:2]
	v_add_f64_e64 v[3:4], v[157:158], -v[3:4]
	scratch_store_b128 off, v[1:4], off offset:672
	v_cmpx_lt_u32_e32 40, v0
	s_cbranch_execz .LBB53_257
; %bb.256:
	scratch_load_b128 v[1:4], off, s13
	v_mov_b32_e32 v5, 0
	s_delay_alu instid0(VALU_DEP_1)
	v_dual_mov_b32 v6, v5 :: v_dual_mov_b32 v7, v5
	v_mov_b32_e32 v8, v5
	scratch_store_b128 off, v[5:8], off offset:656
	s_wait_loadcnt 0x0
	ds_store_b128 v154, v[1:4]
.LBB53_257:
	s_wait_alu 0xfffe
	s_or_b32 exec_lo, exec_lo, s0
	s_wait_storecnt_dscnt 0x0
	s_barrier_signal -1
	s_barrier_wait -1
	global_inv scope:SCOPE_SE
	s_clause 0x7
	scratch_load_b128 v[2:5], off, off offset:672
	scratch_load_b128 v[6:9], off, off offset:688
	scratch_load_b128 v[10:13], off, off offset:704
	scratch_load_b128 v[14:17], off, off offset:720
	scratch_load_b128 v[18:21], off, off offset:736
	scratch_load_b128 v[22:25], off, off offset:752
	scratch_load_b128 v[26:29], off, off offset:768
	scratch_load_b128 v[30:33], off, off offset:784
	v_mov_b32_e32 v1, 0
	s_mov_b32 s0, exec_lo
	ds_load_b128 v[34:37], v1 offset:1520
	s_clause 0x1
	scratch_load_b128 v[38:41], off, off offset:800
	scratch_load_b128 v[42:45], off, off offset:656
	ds_load_b128 v[155:158], v1 offset:1536
	scratch_load_b128 v[159:162], off, off offset:816
	s_wait_loadcnt_dscnt 0xa01
	v_mul_f64_e32 v[163:164], v[36:37], v[4:5]
	v_mul_f64_e32 v[4:5], v[34:35], v[4:5]
	s_delay_alu instid0(VALU_DEP_2) | instskip(NEXT) | instid1(VALU_DEP_2)
	v_fma_f64 v[169:170], v[34:35], v[2:3], -v[163:164]
	v_fma_f64 v[171:172], v[36:37], v[2:3], v[4:5]
	ds_load_b128 v[2:5], v1 offset:1552
	s_wait_loadcnt_dscnt 0x901
	v_mul_f64_e32 v[167:168], v[155:156], v[8:9]
	v_mul_f64_e32 v[8:9], v[157:158], v[8:9]
	scratch_load_b128 v[34:37], off, off offset:832
	ds_load_b128 v[163:166], v1 offset:1568
	s_wait_loadcnt_dscnt 0x901
	v_mul_f64_e32 v[173:174], v[2:3], v[12:13]
	v_mul_f64_e32 v[12:13], v[4:5], v[12:13]
	v_fma_f64 v[157:158], v[157:158], v[6:7], v[167:168]
	v_fma_f64 v[155:156], v[155:156], v[6:7], -v[8:9]
	v_add_f64_e32 v[167:168], 0, v[169:170]
	v_add_f64_e32 v[169:170], 0, v[171:172]
	scratch_load_b128 v[6:9], off, off offset:848
	v_fma_f64 v[173:174], v[4:5], v[10:11], v[173:174]
	v_fma_f64 v[175:176], v[2:3], v[10:11], -v[12:13]
	ds_load_b128 v[2:5], v1 offset:1584
	s_wait_loadcnt_dscnt 0x901
	v_mul_f64_e32 v[171:172], v[163:164], v[16:17]
	v_mul_f64_e32 v[16:17], v[165:166], v[16:17]
	scratch_load_b128 v[10:13], off, off offset:864
	v_add_f64_e32 v[167:168], v[167:168], v[155:156]
	v_add_f64_e32 v[169:170], v[169:170], v[157:158]
	s_wait_loadcnt_dscnt 0x900
	v_mul_f64_e32 v[177:178], v[2:3], v[20:21]
	v_mul_f64_e32 v[20:21], v[4:5], v[20:21]
	ds_load_b128 v[155:158], v1 offset:1600
	v_fma_f64 v[165:166], v[165:166], v[14:15], v[171:172]
	v_fma_f64 v[14:15], v[163:164], v[14:15], -v[16:17]
	v_add_f64_e32 v[16:17], v[167:168], v[175:176]
	v_add_f64_e32 v[163:164], v[169:170], v[173:174]
	s_wait_loadcnt_dscnt 0x800
	v_mul_f64_e32 v[167:168], v[155:156], v[24:25]
	v_mul_f64_e32 v[24:25], v[157:158], v[24:25]
	v_fma_f64 v[169:170], v[4:5], v[18:19], v[177:178]
	v_fma_f64 v[18:19], v[2:3], v[18:19], -v[20:21]
	v_add_f64_e32 v[20:21], v[16:17], v[14:15]
	v_add_f64_e32 v[163:164], v[163:164], v[165:166]
	ds_load_b128 v[2:5], v1 offset:1616
	ds_load_b128 v[14:17], v1 offset:1632
	v_fma_f64 v[157:158], v[157:158], v[22:23], v[167:168]
	v_fma_f64 v[22:23], v[155:156], v[22:23], -v[24:25]
	s_wait_loadcnt_dscnt 0x701
	v_mul_f64_e32 v[165:166], v[2:3], v[28:29]
	v_mul_f64_e32 v[28:29], v[4:5], v[28:29]
	s_wait_loadcnt_dscnt 0x600
	v_mul_f64_e32 v[24:25], v[14:15], v[32:33]
	v_mul_f64_e32 v[32:33], v[16:17], v[32:33]
	v_add_f64_e32 v[18:19], v[20:21], v[18:19]
	v_add_f64_e32 v[20:21], v[163:164], v[169:170]
	v_fma_f64 v[155:156], v[4:5], v[26:27], v[165:166]
	v_fma_f64 v[26:27], v[2:3], v[26:27], -v[28:29]
	v_fma_f64 v[16:17], v[16:17], v[30:31], v[24:25]
	v_fma_f64 v[14:15], v[14:15], v[30:31], -v[32:33]
	v_add_f64_e32 v[22:23], v[18:19], v[22:23]
	v_add_f64_e32 v[28:29], v[20:21], v[157:158]
	ds_load_b128 v[2:5], v1 offset:1648
	ds_load_b128 v[18:21], v1 offset:1664
	s_wait_loadcnt_dscnt 0x501
	v_mul_f64_e32 v[157:158], v[2:3], v[40:41]
	v_mul_f64_e32 v[40:41], v[4:5], v[40:41]
	v_add_f64_e32 v[22:23], v[22:23], v[26:27]
	v_add_f64_e32 v[24:25], v[28:29], v[155:156]
	s_wait_loadcnt_dscnt 0x300
	v_mul_f64_e32 v[26:27], v[18:19], v[161:162]
	v_mul_f64_e32 v[28:29], v[20:21], v[161:162]
	v_fma_f64 v[30:31], v[4:5], v[38:39], v[157:158]
	v_fma_f64 v[32:33], v[2:3], v[38:39], -v[40:41]
	v_add_f64_e32 v[22:23], v[22:23], v[14:15]
	v_add_f64_e32 v[24:25], v[24:25], v[16:17]
	ds_load_b128 v[2:5], v1 offset:1680
	ds_load_b128 v[14:17], v1 offset:1696
	v_fma_f64 v[20:21], v[20:21], v[159:160], v[26:27]
	v_fma_f64 v[18:19], v[18:19], v[159:160], -v[28:29]
	s_wait_loadcnt_dscnt 0x201
	v_mul_f64_e32 v[38:39], v[2:3], v[36:37]
	v_mul_f64_e32 v[36:37], v[4:5], v[36:37]
	v_add_f64_e32 v[22:23], v[22:23], v[32:33]
	v_add_f64_e32 v[24:25], v[24:25], v[30:31]
	s_wait_loadcnt_dscnt 0x100
	v_mul_f64_e32 v[26:27], v[14:15], v[8:9]
	v_mul_f64_e32 v[8:9], v[16:17], v[8:9]
	v_fma_f64 v[28:29], v[4:5], v[34:35], v[38:39]
	v_fma_f64 v[30:31], v[2:3], v[34:35], -v[36:37]
	ds_load_b128 v[2:5], v1 offset:1712
	v_add_f64_e32 v[18:19], v[22:23], v[18:19]
	v_add_f64_e32 v[20:21], v[24:25], v[20:21]
	s_wait_loadcnt_dscnt 0x0
	v_mul_f64_e32 v[22:23], v[2:3], v[12:13]
	v_mul_f64_e32 v[12:13], v[4:5], v[12:13]
	v_fma_f64 v[16:17], v[16:17], v[6:7], v[26:27]
	v_fma_f64 v[6:7], v[14:15], v[6:7], -v[8:9]
	v_add_f64_e32 v[8:9], v[18:19], v[30:31]
	v_add_f64_e32 v[14:15], v[20:21], v[28:29]
	v_fma_f64 v[4:5], v[4:5], v[10:11], v[22:23]
	v_fma_f64 v[2:3], v[2:3], v[10:11], -v[12:13]
	s_delay_alu instid0(VALU_DEP_4) | instskip(NEXT) | instid1(VALU_DEP_4)
	v_add_f64_e32 v[6:7], v[8:9], v[6:7]
	v_add_f64_e32 v[8:9], v[14:15], v[16:17]
	s_delay_alu instid0(VALU_DEP_2) | instskip(NEXT) | instid1(VALU_DEP_2)
	v_add_f64_e32 v[2:3], v[6:7], v[2:3]
	v_add_f64_e32 v[4:5], v[8:9], v[4:5]
	s_delay_alu instid0(VALU_DEP_2) | instskip(NEXT) | instid1(VALU_DEP_2)
	v_add_f64_e64 v[2:3], v[42:43], -v[2:3]
	v_add_f64_e64 v[4:5], v[44:45], -v[4:5]
	scratch_store_b128 off, v[2:5], off offset:656
	v_cmpx_lt_u32_e32 39, v0
	s_cbranch_execz .LBB53_259
; %bb.258:
	scratch_load_b128 v[5:8], off, s12
	v_dual_mov_b32 v2, v1 :: v_dual_mov_b32 v3, v1
	v_mov_b32_e32 v4, v1
	scratch_store_b128 off, v[1:4], off offset:640
	s_wait_loadcnt 0x0
	ds_store_b128 v154, v[5:8]
.LBB53_259:
	s_wait_alu 0xfffe
	s_or_b32 exec_lo, exec_lo, s0
	s_wait_storecnt_dscnt 0x0
	s_barrier_signal -1
	s_barrier_wait -1
	global_inv scope:SCOPE_SE
	s_clause 0x8
	scratch_load_b128 v[2:5], off, off offset:656
	scratch_load_b128 v[6:9], off, off offset:672
	;; [unrolled: 1-line block ×9, first 2 shown]
	ds_load_b128 v[38:41], v1 offset:1504
	ds_load_b128 v[42:45], v1 offset:1520
	s_clause 0x1
	scratch_load_b128 v[155:158], off, off offset:640
	scratch_load_b128 v[159:162], off, off offset:800
	s_mov_b32 s0, exec_lo
	s_wait_loadcnt_dscnt 0xa01
	v_mul_f64_e32 v[163:164], v[40:41], v[4:5]
	v_mul_f64_e32 v[4:5], v[38:39], v[4:5]
	s_wait_loadcnt_dscnt 0x900
	v_mul_f64_e32 v[167:168], v[42:43], v[8:9]
	v_mul_f64_e32 v[8:9], v[44:45], v[8:9]
	s_delay_alu instid0(VALU_DEP_4) | instskip(NEXT) | instid1(VALU_DEP_4)
	v_fma_f64 v[169:170], v[38:39], v[2:3], -v[163:164]
	v_fma_f64 v[171:172], v[40:41], v[2:3], v[4:5]
	ds_load_b128 v[2:5], v1 offset:1536
	ds_load_b128 v[163:166], v1 offset:1552
	scratch_load_b128 v[38:41], off, off offset:816
	v_fma_f64 v[44:45], v[44:45], v[6:7], v[167:168]
	v_fma_f64 v[42:43], v[42:43], v[6:7], -v[8:9]
	scratch_load_b128 v[6:9], off, off offset:832
	s_wait_loadcnt_dscnt 0xa01
	v_mul_f64_e32 v[173:174], v[2:3], v[12:13]
	v_mul_f64_e32 v[12:13], v[4:5], v[12:13]
	v_add_f64_e32 v[167:168], 0, v[169:170]
	v_add_f64_e32 v[169:170], 0, v[171:172]
	s_wait_loadcnt_dscnt 0x900
	v_mul_f64_e32 v[171:172], v[163:164], v[16:17]
	v_mul_f64_e32 v[16:17], v[165:166], v[16:17]
	v_fma_f64 v[173:174], v[4:5], v[10:11], v[173:174]
	v_fma_f64 v[175:176], v[2:3], v[10:11], -v[12:13]
	ds_load_b128 v[2:5], v1 offset:1568
	scratch_load_b128 v[10:13], off, off offset:848
	v_add_f64_e32 v[167:168], v[167:168], v[42:43]
	v_add_f64_e32 v[169:170], v[169:170], v[44:45]
	ds_load_b128 v[42:45], v1 offset:1584
	v_fma_f64 v[165:166], v[165:166], v[14:15], v[171:172]
	v_fma_f64 v[163:164], v[163:164], v[14:15], -v[16:17]
	scratch_load_b128 v[14:17], off, off offset:864
	s_wait_loadcnt_dscnt 0xa01
	v_mul_f64_e32 v[177:178], v[2:3], v[20:21]
	v_mul_f64_e32 v[20:21], v[4:5], v[20:21]
	s_wait_loadcnt_dscnt 0x900
	v_mul_f64_e32 v[171:172], v[42:43], v[24:25]
	v_mul_f64_e32 v[24:25], v[44:45], v[24:25]
	v_add_f64_e32 v[167:168], v[167:168], v[175:176]
	v_add_f64_e32 v[169:170], v[169:170], v[173:174]
	v_fma_f64 v[173:174], v[4:5], v[18:19], v[177:178]
	v_fma_f64 v[175:176], v[2:3], v[18:19], -v[20:21]
	ds_load_b128 v[2:5], v1 offset:1600
	ds_load_b128 v[18:21], v1 offset:1616
	v_fma_f64 v[44:45], v[44:45], v[22:23], v[171:172]
	v_fma_f64 v[22:23], v[42:43], v[22:23], -v[24:25]
	v_add_f64_e32 v[163:164], v[167:168], v[163:164]
	v_add_f64_e32 v[165:166], v[169:170], v[165:166]
	s_wait_loadcnt_dscnt 0x801
	v_mul_f64_e32 v[167:168], v[2:3], v[28:29]
	v_mul_f64_e32 v[28:29], v[4:5], v[28:29]
	s_delay_alu instid0(VALU_DEP_4) | instskip(NEXT) | instid1(VALU_DEP_4)
	v_add_f64_e32 v[24:25], v[163:164], v[175:176]
	v_add_f64_e32 v[42:43], v[165:166], v[173:174]
	s_wait_loadcnt_dscnt 0x700
	v_mul_f64_e32 v[163:164], v[18:19], v[32:33]
	v_mul_f64_e32 v[32:33], v[20:21], v[32:33]
	v_fma_f64 v[165:166], v[4:5], v[26:27], v[167:168]
	v_fma_f64 v[26:27], v[2:3], v[26:27], -v[28:29]
	v_add_f64_e32 v[28:29], v[24:25], v[22:23]
	v_add_f64_e32 v[42:43], v[42:43], v[44:45]
	ds_load_b128 v[2:5], v1 offset:1632
	ds_load_b128 v[22:25], v1 offset:1648
	v_fma_f64 v[20:21], v[20:21], v[30:31], v[163:164]
	v_fma_f64 v[18:19], v[18:19], v[30:31], -v[32:33]
	s_wait_loadcnt_dscnt 0x601
	v_mul_f64_e32 v[44:45], v[2:3], v[36:37]
	v_mul_f64_e32 v[36:37], v[4:5], v[36:37]
	s_wait_loadcnt_dscnt 0x400
	v_mul_f64_e32 v[30:31], v[22:23], v[161:162]
	v_mul_f64_e32 v[32:33], v[24:25], v[161:162]
	v_add_f64_e32 v[26:27], v[28:29], v[26:27]
	v_add_f64_e32 v[28:29], v[42:43], v[165:166]
	v_fma_f64 v[42:43], v[4:5], v[34:35], v[44:45]
	v_fma_f64 v[34:35], v[2:3], v[34:35], -v[36:37]
	v_fma_f64 v[24:25], v[24:25], v[159:160], v[30:31]
	v_fma_f64 v[22:23], v[22:23], v[159:160], -v[32:33]
	v_add_f64_e32 v[26:27], v[26:27], v[18:19]
	v_add_f64_e32 v[28:29], v[28:29], v[20:21]
	ds_load_b128 v[2:5], v1 offset:1664
	ds_load_b128 v[18:21], v1 offset:1680
	s_wait_loadcnt_dscnt 0x301
	v_mul_f64_e32 v[36:37], v[2:3], v[40:41]
	v_mul_f64_e32 v[40:41], v[4:5], v[40:41]
	s_wait_loadcnt_dscnt 0x200
	v_mul_f64_e32 v[30:31], v[18:19], v[8:9]
	v_mul_f64_e32 v[8:9], v[20:21], v[8:9]
	v_add_f64_e32 v[26:27], v[26:27], v[34:35]
	v_add_f64_e32 v[28:29], v[28:29], v[42:43]
	v_fma_f64 v[32:33], v[4:5], v[38:39], v[36:37]
	v_fma_f64 v[34:35], v[2:3], v[38:39], -v[40:41]
	v_fma_f64 v[20:21], v[20:21], v[6:7], v[30:31]
	v_fma_f64 v[6:7], v[18:19], v[6:7], -v[8:9]
	v_add_f64_e32 v[26:27], v[26:27], v[22:23]
	v_add_f64_e32 v[28:29], v[28:29], v[24:25]
	ds_load_b128 v[2:5], v1 offset:1696
	ds_load_b128 v[22:25], v1 offset:1712
	s_wait_loadcnt_dscnt 0x101
	v_mul_f64_e32 v[36:37], v[2:3], v[12:13]
	v_mul_f64_e32 v[12:13], v[4:5], v[12:13]
	v_add_f64_e32 v[8:9], v[26:27], v[34:35]
	v_add_f64_e32 v[18:19], v[28:29], v[32:33]
	s_wait_loadcnt_dscnt 0x0
	v_mul_f64_e32 v[26:27], v[22:23], v[16:17]
	v_mul_f64_e32 v[16:17], v[24:25], v[16:17]
	v_fma_f64 v[4:5], v[4:5], v[10:11], v[36:37]
	v_fma_f64 v[1:2], v[2:3], v[10:11], -v[12:13]
	v_add_f64_e32 v[6:7], v[8:9], v[6:7]
	v_add_f64_e32 v[8:9], v[18:19], v[20:21]
	v_fma_f64 v[10:11], v[24:25], v[14:15], v[26:27]
	v_fma_f64 v[12:13], v[22:23], v[14:15], -v[16:17]
	s_delay_alu instid0(VALU_DEP_4) | instskip(NEXT) | instid1(VALU_DEP_4)
	v_add_f64_e32 v[1:2], v[6:7], v[1:2]
	v_add_f64_e32 v[3:4], v[8:9], v[4:5]
	s_delay_alu instid0(VALU_DEP_2) | instskip(NEXT) | instid1(VALU_DEP_2)
	v_add_f64_e32 v[1:2], v[1:2], v[12:13]
	v_add_f64_e32 v[3:4], v[3:4], v[10:11]
	s_delay_alu instid0(VALU_DEP_2) | instskip(NEXT) | instid1(VALU_DEP_2)
	v_add_f64_e64 v[1:2], v[155:156], -v[1:2]
	v_add_f64_e64 v[3:4], v[157:158], -v[3:4]
	scratch_store_b128 off, v[1:4], off offset:640
	v_cmpx_lt_u32_e32 38, v0
	s_cbranch_execz .LBB53_261
; %bb.260:
	scratch_load_b128 v[1:4], off, s15
	v_mov_b32_e32 v5, 0
	s_delay_alu instid0(VALU_DEP_1)
	v_dual_mov_b32 v6, v5 :: v_dual_mov_b32 v7, v5
	v_mov_b32_e32 v8, v5
	scratch_store_b128 off, v[5:8], off offset:624
	s_wait_loadcnt 0x0
	ds_store_b128 v154, v[1:4]
.LBB53_261:
	s_wait_alu 0xfffe
	s_or_b32 exec_lo, exec_lo, s0
	s_wait_storecnt_dscnt 0x0
	s_barrier_signal -1
	s_barrier_wait -1
	global_inv scope:SCOPE_SE
	s_clause 0x7
	scratch_load_b128 v[2:5], off, off offset:640
	scratch_load_b128 v[6:9], off, off offset:656
	;; [unrolled: 1-line block ×8, first 2 shown]
	v_mov_b32_e32 v1, 0
	s_mov_b32 s0, exec_lo
	ds_load_b128 v[34:37], v1 offset:1488
	s_clause 0x1
	scratch_load_b128 v[38:41], off, off offset:768
	scratch_load_b128 v[42:45], off, off offset:624
	ds_load_b128 v[155:158], v1 offset:1504
	scratch_load_b128 v[159:162], off, off offset:784
	s_wait_loadcnt_dscnt 0xa01
	v_mul_f64_e32 v[163:164], v[36:37], v[4:5]
	v_mul_f64_e32 v[4:5], v[34:35], v[4:5]
	s_delay_alu instid0(VALU_DEP_2) | instskip(NEXT) | instid1(VALU_DEP_2)
	v_fma_f64 v[169:170], v[34:35], v[2:3], -v[163:164]
	v_fma_f64 v[171:172], v[36:37], v[2:3], v[4:5]
	ds_load_b128 v[2:5], v1 offset:1520
	s_wait_loadcnt_dscnt 0x901
	v_mul_f64_e32 v[167:168], v[155:156], v[8:9]
	v_mul_f64_e32 v[8:9], v[157:158], v[8:9]
	scratch_load_b128 v[34:37], off, off offset:800
	ds_load_b128 v[163:166], v1 offset:1536
	s_wait_loadcnt_dscnt 0x901
	v_mul_f64_e32 v[173:174], v[2:3], v[12:13]
	v_mul_f64_e32 v[12:13], v[4:5], v[12:13]
	v_fma_f64 v[157:158], v[157:158], v[6:7], v[167:168]
	v_fma_f64 v[155:156], v[155:156], v[6:7], -v[8:9]
	v_add_f64_e32 v[167:168], 0, v[169:170]
	v_add_f64_e32 v[169:170], 0, v[171:172]
	scratch_load_b128 v[6:9], off, off offset:816
	v_fma_f64 v[173:174], v[4:5], v[10:11], v[173:174]
	v_fma_f64 v[175:176], v[2:3], v[10:11], -v[12:13]
	ds_load_b128 v[2:5], v1 offset:1552
	s_wait_loadcnt_dscnt 0x901
	v_mul_f64_e32 v[171:172], v[163:164], v[16:17]
	v_mul_f64_e32 v[16:17], v[165:166], v[16:17]
	scratch_load_b128 v[10:13], off, off offset:832
	v_add_f64_e32 v[167:168], v[167:168], v[155:156]
	v_add_f64_e32 v[169:170], v[169:170], v[157:158]
	s_wait_loadcnt_dscnt 0x900
	v_mul_f64_e32 v[177:178], v[2:3], v[20:21]
	v_mul_f64_e32 v[20:21], v[4:5], v[20:21]
	ds_load_b128 v[155:158], v1 offset:1568
	v_fma_f64 v[165:166], v[165:166], v[14:15], v[171:172]
	v_fma_f64 v[163:164], v[163:164], v[14:15], -v[16:17]
	scratch_load_b128 v[14:17], off, off offset:848
	v_add_f64_e32 v[167:168], v[167:168], v[175:176]
	v_add_f64_e32 v[169:170], v[169:170], v[173:174]
	v_fma_f64 v[173:174], v[4:5], v[18:19], v[177:178]
	v_fma_f64 v[175:176], v[2:3], v[18:19], -v[20:21]
	ds_load_b128 v[2:5], v1 offset:1584
	s_wait_loadcnt_dscnt 0x901
	v_mul_f64_e32 v[171:172], v[155:156], v[24:25]
	v_mul_f64_e32 v[24:25], v[157:158], v[24:25]
	scratch_load_b128 v[18:21], off, off offset:864
	s_wait_loadcnt_dscnt 0x900
	v_mul_f64_e32 v[177:178], v[2:3], v[28:29]
	v_mul_f64_e32 v[28:29], v[4:5], v[28:29]
	v_add_f64_e32 v[167:168], v[167:168], v[163:164]
	v_add_f64_e32 v[169:170], v[169:170], v[165:166]
	ds_load_b128 v[163:166], v1 offset:1600
	v_fma_f64 v[157:158], v[157:158], v[22:23], v[171:172]
	v_fma_f64 v[22:23], v[155:156], v[22:23], -v[24:25]
	v_add_f64_e32 v[24:25], v[167:168], v[175:176]
	v_add_f64_e32 v[155:156], v[169:170], v[173:174]
	s_wait_loadcnt_dscnt 0x800
	v_mul_f64_e32 v[167:168], v[163:164], v[32:33]
	v_mul_f64_e32 v[32:33], v[165:166], v[32:33]
	v_fma_f64 v[169:170], v[4:5], v[26:27], v[177:178]
	v_fma_f64 v[26:27], v[2:3], v[26:27], -v[28:29]
	v_add_f64_e32 v[28:29], v[24:25], v[22:23]
	v_add_f64_e32 v[155:156], v[155:156], v[157:158]
	ds_load_b128 v[2:5], v1 offset:1616
	ds_load_b128 v[22:25], v1 offset:1632
	v_fma_f64 v[165:166], v[165:166], v[30:31], v[167:168]
	v_fma_f64 v[30:31], v[163:164], v[30:31], -v[32:33]
	s_wait_loadcnt_dscnt 0x701
	v_mul_f64_e32 v[157:158], v[2:3], v[40:41]
	v_mul_f64_e32 v[40:41], v[4:5], v[40:41]
	s_wait_loadcnt_dscnt 0x500
	v_mul_f64_e32 v[32:33], v[22:23], v[161:162]
	v_add_f64_e32 v[26:27], v[28:29], v[26:27]
	v_add_f64_e32 v[28:29], v[155:156], v[169:170]
	v_mul_f64_e32 v[155:156], v[24:25], v[161:162]
	v_fma_f64 v[157:158], v[4:5], v[38:39], v[157:158]
	v_fma_f64 v[38:39], v[2:3], v[38:39], -v[40:41]
	v_fma_f64 v[24:25], v[24:25], v[159:160], v[32:33]
	v_add_f64_e32 v[30:31], v[26:27], v[30:31]
	v_add_f64_e32 v[40:41], v[28:29], v[165:166]
	ds_load_b128 v[2:5], v1 offset:1648
	ds_load_b128 v[26:29], v1 offset:1664
	v_fma_f64 v[22:23], v[22:23], v[159:160], -v[155:156]
	s_wait_loadcnt_dscnt 0x401
	v_mul_f64_e32 v[161:162], v[2:3], v[36:37]
	v_mul_f64_e32 v[36:37], v[4:5], v[36:37]
	v_add_f64_e32 v[30:31], v[30:31], v[38:39]
	v_add_f64_e32 v[32:33], v[40:41], v[157:158]
	s_wait_loadcnt_dscnt 0x300
	v_mul_f64_e32 v[38:39], v[26:27], v[8:9]
	v_mul_f64_e32 v[8:9], v[28:29], v[8:9]
	v_fma_f64 v[40:41], v[4:5], v[34:35], v[161:162]
	v_fma_f64 v[34:35], v[2:3], v[34:35], -v[36:37]
	v_add_f64_e32 v[30:31], v[30:31], v[22:23]
	v_add_f64_e32 v[32:33], v[32:33], v[24:25]
	ds_load_b128 v[2:5], v1 offset:1680
	ds_load_b128 v[22:25], v1 offset:1696
	v_fma_f64 v[28:29], v[28:29], v[6:7], v[38:39]
	v_fma_f64 v[6:7], v[26:27], v[6:7], -v[8:9]
	s_wait_loadcnt_dscnt 0x201
	v_mul_f64_e32 v[36:37], v[2:3], v[12:13]
	v_mul_f64_e32 v[12:13], v[4:5], v[12:13]
	v_add_f64_e32 v[8:9], v[30:31], v[34:35]
	v_add_f64_e32 v[26:27], v[32:33], v[40:41]
	s_wait_loadcnt_dscnt 0x100
	v_mul_f64_e32 v[30:31], v[22:23], v[16:17]
	v_mul_f64_e32 v[16:17], v[24:25], v[16:17]
	v_fma_f64 v[32:33], v[4:5], v[10:11], v[36:37]
	v_fma_f64 v[10:11], v[2:3], v[10:11], -v[12:13]
	ds_load_b128 v[2:5], v1 offset:1712
	v_add_f64_e32 v[6:7], v[8:9], v[6:7]
	v_add_f64_e32 v[8:9], v[26:27], v[28:29]
	v_fma_f64 v[24:25], v[24:25], v[14:15], v[30:31]
	v_fma_f64 v[14:15], v[22:23], v[14:15], -v[16:17]
	s_wait_loadcnt_dscnt 0x0
	v_mul_f64_e32 v[12:13], v[2:3], v[20:21]
	v_mul_f64_e32 v[20:21], v[4:5], v[20:21]
	v_add_f64_e32 v[6:7], v[6:7], v[10:11]
	v_add_f64_e32 v[8:9], v[8:9], v[32:33]
	s_delay_alu instid0(VALU_DEP_4) | instskip(NEXT) | instid1(VALU_DEP_4)
	v_fma_f64 v[4:5], v[4:5], v[18:19], v[12:13]
	v_fma_f64 v[2:3], v[2:3], v[18:19], -v[20:21]
	s_delay_alu instid0(VALU_DEP_4) | instskip(NEXT) | instid1(VALU_DEP_4)
	v_add_f64_e32 v[6:7], v[6:7], v[14:15]
	v_add_f64_e32 v[8:9], v[8:9], v[24:25]
	s_delay_alu instid0(VALU_DEP_2) | instskip(NEXT) | instid1(VALU_DEP_2)
	v_add_f64_e32 v[2:3], v[6:7], v[2:3]
	v_add_f64_e32 v[4:5], v[8:9], v[4:5]
	s_delay_alu instid0(VALU_DEP_2) | instskip(NEXT) | instid1(VALU_DEP_2)
	v_add_f64_e64 v[2:3], v[42:43], -v[2:3]
	v_add_f64_e64 v[4:5], v[44:45], -v[4:5]
	scratch_store_b128 off, v[2:5], off offset:624
	v_cmpx_lt_u32_e32 37, v0
	s_cbranch_execz .LBB53_263
; %bb.262:
	scratch_load_b128 v[5:8], off, s14
	v_dual_mov_b32 v2, v1 :: v_dual_mov_b32 v3, v1
	v_mov_b32_e32 v4, v1
	scratch_store_b128 off, v[1:4], off offset:608
	s_wait_loadcnt 0x0
	ds_store_b128 v154, v[5:8]
.LBB53_263:
	s_wait_alu 0xfffe
	s_or_b32 exec_lo, exec_lo, s0
	s_wait_storecnt_dscnt 0x0
	s_barrier_signal -1
	s_barrier_wait -1
	global_inv scope:SCOPE_SE
	s_clause 0x8
	scratch_load_b128 v[2:5], off, off offset:624
	scratch_load_b128 v[6:9], off, off offset:640
	;; [unrolled: 1-line block ×9, first 2 shown]
	ds_load_b128 v[38:41], v1 offset:1472
	ds_load_b128 v[42:45], v1 offset:1488
	s_clause 0x1
	scratch_load_b128 v[155:158], off, off offset:608
	scratch_load_b128 v[159:162], off, off offset:768
	s_mov_b32 s0, exec_lo
	s_wait_loadcnt_dscnt 0xa01
	v_mul_f64_e32 v[163:164], v[40:41], v[4:5]
	v_mul_f64_e32 v[4:5], v[38:39], v[4:5]
	s_wait_loadcnt_dscnt 0x900
	v_mul_f64_e32 v[167:168], v[42:43], v[8:9]
	v_mul_f64_e32 v[8:9], v[44:45], v[8:9]
	s_delay_alu instid0(VALU_DEP_4) | instskip(NEXT) | instid1(VALU_DEP_4)
	v_fma_f64 v[169:170], v[38:39], v[2:3], -v[163:164]
	v_fma_f64 v[171:172], v[40:41], v[2:3], v[4:5]
	ds_load_b128 v[2:5], v1 offset:1504
	ds_load_b128 v[163:166], v1 offset:1520
	scratch_load_b128 v[38:41], off, off offset:784
	v_fma_f64 v[44:45], v[44:45], v[6:7], v[167:168]
	v_fma_f64 v[42:43], v[42:43], v[6:7], -v[8:9]
	scratch_load_b128 v[6:9], off, off offset:800
	s_wait_loadcnt_dscnt 0xa01
	v_mul_f64_e32 v[173:174], v[2:3], v[12:13]
	v_mul_f64_e32 v[12:13], v[4:5], v[12:13]
	v_add_f64_e32 v[167:168], 0, v[169:170]
	v_add_f64_e32 v[169:170], 0, v[171:172]
	s_wait_loadcnt_dscnt 0x900
	v_mul_f64_e32 v[171:172], v[163:164], v[16:17]
	v_mul_f64_e32 v[16:17], v[165:166], v[16:17]
	v_fma_f64 v[173:174], v[4:5], v[10:11], v[173:174]
	v_fma_f64 v[175:176], v[2:3], v[10:11], -v[12:13]
	ds_load_b128 v[2:5], v1 offset:1536
	scratch_load_b128 v[10:13], off, off offset:816
	v_add_f64_e32 v[167:168], v[167:168], v[42:43]
	v_add_f64_e32 v[169:170], v[169:170], v[44:45]
	ds_load_b128 v[42:45], v1 offset:1552
	v_fma_f64 v[165:166], v[165:166], v[14:15], v[171:172]
	v_fma_f64 v[163:164], v[163:164], v[14:15], -v[16:17]
	scratch_load_b128 v[14:17], off, off offset:832
	s_wait_loadcnt_dscnt 0xa01
	v_mul_f64_e32 v[177:178], v[2:3], v[20:21]
	v_mul_f64_e32 v[20:21], v[4:5], v[20:21]
	s_wait_loadcnt_dscnt 0x900
	v_mul_f64_e32 v[171:172], v[42:43], v[24:25]
	v_mul_f64_e32 v[24:25], v[44:45], v[24:25]
	v_add_f64_e32 v[167:168], v[167:168], v[175:176]
	v_add_f64_e32 v[169:170], v[169:170], v[173:174]
	v_fma_f64 v[173:174], v[4:5], v[18:19], v[177:178]
	v_fma_f64 v[175:176], v[2:3], v[18:19], -v[20:21]
	ds_load_b128 v[2:5], v1 offset:1568
	scratch_load_b128 v[18:21], off, off offset:848
	v_fma_f64 v[44:45], v[44:45], v[22:23], v[171:172]
	v_fma_f64 v[42:43], v[42:43], v[22:23], -v[24:25]
	scratch_load_b128 v[22:25], off, off offset:864
	v_add_f64_e32 v[167:168], v[167:168], v[163:164]
	v_add_f64_e32 v[169:170], v[169:170], v[165:166]
	ds_load_b128 v[163:166], v1 offset:1584
	s_wait_loadcnt_dscnt 0xa01
	v_mul_f64_e32 v[177:178], v[2:3], v[28:29]
	v_mul_f64_e32 v[28:29], v[4:5], v[28:29]
	s_wait_loadcnt_dscnt 0x900
	v_mul_f64_e32 v[171:172], v[163:164], v[32:33]
	v_mul_f64_e32 v[32:33], v[165:166], v[32:33]
	v_add_f64_e32 v[167:168], v[167:168], v[175:176]
	v_add_f64_e32 v[169:170], v[169:170], v[173:174]
	v_fma_f64 v[173:174], v[4:5], v[26:27], v[177:178]
	v_fma_f64 v[175:176], v[2:3], v[26:27], -v[28:29]
	ds_load_b128 v[2:5], v1 offset:1600
	ds_load_b128 v[26:29], v1 offset:1616
	v_fma_f64 v[165:166], v[165:166], v[30:31], v[171:172]
	v_fma_f64 v[30:31], v[163:164], v[30:31], -v[32:33]
	v_add_f64_e32 v[42:43], v[167:168], v[42:43]
	v_add_f64_e32 v[44:45], v[169:170], v[44:45]
	s_wait_loadcnt_dscnt 0x801
	v_mul_f64_e32 v[167:168], v[2:3], v[36:37]
	v_mul_f64_e32 v[36:37], v[4:5], v[36:37]
	s_delay_alu instid0(VALU_DEP_4) | instskip(NEXT) | instid1(VALU_DEP_4)
	v_add_f64_e32 v[32:33], v[42:43], v[175:176]
	v_add_f64_e32 v[42:43], v[44:45], v[173:174]
	s_wait_loadcnt_dscnt 0x600
	v_mul_f64_e32 v[44:45], v[26:27], v[161:162]
	v_mul_f64_e32 v[161:162], v[28:29], v[161:162]
	v_fma_f64 v[163:164], v[4:5], v[34:35], v[167:168]
	v_fma_f64 v[34:35], v[2:3], v[34:35], -v[36:37]
	v_add_f64_e32 v[36:37], v[32:33], v[30:31]
	v_add_f64_e32 v[42:43], v[42:43], v[165:166]
	ds_load_b128 v[2:5], v1 offset:1632
	ds_load_b128 v[30:33], v1 offset:1648
	v_fma_f64 v[28:29], v[28:29], v[159:160], v[44:45]
	v_fma_f64 v[26:27], v[26:27], v[159:160], -v[161:162]
	s_wait_loadcnt_dscnt 0x501
	v_mul_f64_e32 v[165:166], v[2:3], v[40:41]
	v_mul_f64_e32 v[40:41], v[4:5], v[40:41]
	v_add_f64_e32 v[34:35], v[36:37], v[34:35]
	v_add_f64_e32 v[36:37], v[42:43], v[163:164]
	s_wait_loadcnt_dscnt 0x400
	v_mul_f64_e32 v[42:43], v[30:31], v[8:9]
	v_mul_f64_e32 v[8:9], v[32:33], v[8:9]
	v_fma_f64 v[44:45], v[4:5], v[38:39], v[165:166]
	v_fma_f64 v[38:39], v[2:3], v[38:39], -v[40:41]
	v_add_f64_e32 v[34:35], v[34:35], v[26:27]
	v_add_f64_e32 v[36:37], v[36:37], v[28:29]
	ds_load_b128 v[2:5], v1 offset:1664
	ds_load_b128 v[26:29], v1 offset:1680
	v_fma_f64 v[32:33], v[32:33], v[6:7], v[42:43]
	v_fma_f64 v[6:7], v[30:31], v[6:7], -v[8:9]
	s_wait_loadcnt_dscnt 0x301
	v_mul_f64_e32 v[40:41], v[2:3], v[12:13]
	v_mul_f64_e32 v[12:13], v[4:5], v[12:13]
	;; [unrolled: 16-line block ×3, first 2 shown]
	s_wait_loadcnt_dscnt 0x0
	v_mul_f64_e32 v[16:17], v[6:7], v[24:25]
	v_mul_f64_e32 v[24:25], v[8:9], v[24:25]
	v_add_f64_e32 v[10:11], v[12:13], v[10:11]
	v_add_f64_e32 v[12:13], v[30:31], v[36:37]
	v_fma_f64 v[4:5], v[4:5], v[18:19], v[32:33]
	v_fma_f64 v[1:2], v[2:3], v[18:19], -v[20:21]
	v_fma_f64 v[8:9], v[8:9], v[22:23], v[16:17]
	v_fma_f64 v[6:7], v[6:7], v[22:23], -v[24:25]
	v_add_f64_e32 v[10:11], v[10:11], v[14:15]
	v_add_f64_e32 v[12:13], v[12:13], v[28:29]
	s_delay_alu instid0(VALU_DEP_2) | instskip(NEXT) | instid1(VALU_DEP_2)
	v_add_f64_e32 v[1:2], v[10:11], v[1:2]
	v_add_f64_e32 v[3:4], v[12:13], v[4:5]
	s_delay_alu instid0(VALU_DEP_2) | instskip(NEXT) | instid1(VALU_DEP_2)
	;; [unrolled: 3-line block ×3, first 2 shown]
	v_add_f64_e64 v[1:2], v[155:156], -v[1:2]
	v_add_f64_e64 v[3:4], v[157:158], -v[3:4]
	scratch_store_b128 off, v[1:4], off offset:608
	v_cmpx_lt_u32_e32 36, v0
	s_cbranch_execz .LBB53_265
; %bb.264:
	scratch_load_b128 v[1:4], off, s20
	v_mov_b32_e32 v5, 0
	s_delay_alu instid0(VALU_DEP_1)
	v_dual_mov_b32 v6, v5 :: v_dual_mov_b32 v7, v5
	v_mov_b32_e32 v8, v5
	scratch_store_b128 off, v[5:8], off offset:592
	s_wait_loadcnt 0x0
	ds_store_b128 v154, v[1:4]
.LBB53_265:
	s_wait_alu 0xfffe
	s_or_b32 exec_lo, exec_lo, s0
	s_wait_storecnt_dscnt 0x0
	s_barrier_signal -1
	s_barrier_wait -1
	global_inv scope:SCOPE_SE
	s_clause 0x7
	scratch_load_b128 v[2:5], off, off offset:608
	scratch_load_b128 v[6:9], off, off offset:624
	;; [unrolled: 1-line block ×8, first 2 shown]
	v_mov_b32_e32 v1, 0
	s_mov_b32 s0, exec_lo
	ds_load_b128 v[34:37], v1 offset:1456
	s_clause 0x1
	scratch_load_b128 v[38:41], off, off offset:736
	scratch_load_b128 v[42:45], off, off offset:592
	ds_load_b128 v[155:158], v1 offset:1472
	scratch_load_b128 v[159:162], off, off offset:752
	s_wait_loadcnt_dscnt 0xa01
	v_mul_f64_e32 v[163:164], v[36:37], v[4:5]
	v_mul_f64_e32 v[4:5], v[34:35], v[4:5]
	s_delay_alu instid0(VALU_DEP_2) | instskip(NEXT) | instid1(VALU_DEP_2)
	v_fma_f64 v[169:170], v[34:35], v[2:3], -v[163:164]
	v_fma_f64 v[171:172], v[36:37], v[2:3], v[4:5]
	ds_load_b128 v[2:5], v1 offset:1488
	s_wait_loadcnt_dscnt 0x901
	v_mul_f64_e32 v[167:168], v[155:156], v[8:9]
	v_mul_f64_e32 v[8:9], v[157:158], v[8:9]
	scratch_load_b128 v[34:37], off, off offset:768
	ds_load_b128 v[163:166], v1 offset:1504
	s_wait_loadcnt_dscnt 0x901
	v_mul_f64_e32 v[173:174], v[2:3], v[12:13]
	v_mul_f64_e32 v[12:13], v[4:5], v[12:13]
	v_fma_f64 v[157:158], v[157:158], v[6:7], v[167:168]
	v_fma_f64 v[155:156], v[155:156], v[6:7], -v[8:9]
	v_add_f64_e32 v[167:168], 0, v[169:170]
	v_add_f64_e32 v[169:170], 0, v[171:172]
	scratch_load_b128 v[6:9], off, off offset:784
	v_fma_f64 v[173:174], v[4:5], v[10:11], v[173:174]
	v_fma_f64 v[175:176], v[2:3], v[10:11], -v[12:13]
	ds_load_b128 v[2:5], v1 offset:1520
	s_wait_loadcnt_dscnt 0x901
	v_mul_f64_e32 v[171:172], v[163:164], v[16:17]
	v_mul_f64_e32 v[16:17], v[165:166], v[16:17]
	scratch_load_b128 v[10:13], off, off offset:800
	v_add_f64_e32 v[167:168], v[167:168], v[155:156]
	v_add_f64_e32 v[169:170], v[169:170], v[157:158]
	s_wait_loadcnt_dscnt 0x900
	v_mul_f64_e32 v[177:178], v[2:3], v[20:21]
	v_mul_f64_e32 v[20:21], v[4:5], v[20:21]
	ds_load_b128 v[155:158], v1 offset:1536
	v_fma_f64 v[165:166], v[165:166], v[14:15], v[171:172]
	v_fma_f64 v[163:164], v[163:164], v[14:15], -v[16:17]
	scratch_load_b128 v[14:17], off, off offset:816
	v_add_f64_e32 v[167:168], v[167:168], v[175:176]
	v_add_f64_e32 v[169:170], v[169:170], v[173:174]
	v_fma_f64 v[173:174], v[4:5], v[18:19], v[177:178]
	v_fma_f64 v[175:176], v[2:3], v[18:19], -v[20:21]
	ds_load_b128 v[2:5], v1 offset:1552
	s_wait_loadcnt_dscnt 0x901
	v_mul_f64_e32 v[171:172], v[155:156], v[24:25]
	v_mul_f64_e32 v[24:25], v[157:158], v[24:25]
	scratch_load_b128 v[18:21], off, off offset:832
	s_wait_loadcnt_dscnt 0x900
	v_mul_f64_e32 v[177:178], v[2:3], v[28:29]
	v_mul_f64_e32 v[28:29], v[4:5], v[28:29]
	v_add_f64_e32 v[167:168], v[167:168], v[163:164]
	v_add_f64_e32 v[169:170], v[169:170], v[165:166]
	ds_load_b128 v[163:166], v1 offset:1568
	v_fma_f64 v[157:158], v[157:158], v[22:23], v[171:172]
	v_fma_f64 v[155:156], v[155:156], v[22:23], -v[24:25]
	scratch_load_b128 v[22:25], off, off offset:848
	v_add_f64_e32 v[167:168], v[167:168], v[175:176]
	v_add_f64_e32 v[169:170], v[169:170], v[173:174]
	v_fma_f64 v[173:174], v[4:5], v[26:27], v[177:178]
	v_fma_f64 v[175:176], v[2:3], v[26:27], -v[28:29]
	ds_load_b128 v[2:5], v1 offset:1584
	s_wait_loadcnt_dscnt 0x901
	v_mul_f64_e32 v[171:172], v[163:164], v[32:33]
	v_mul_f64_e32 v[32:33], v[165:166], v[32:33]
	scratch_load_b128 v[26:29], off, off offset:864
	s_wait_loadcnt_dscnt 0x900
	v_mul_f64_e32 v[177:178], v[2:3], v[40:41]
	v_mul_f64_e32 v[40:41], v[4:5], v[40:41]
	v_add_f64_e32 v[167:168], v[167:168], v[155:156]
	v_add_f64_e32 v[169:170], v[169:170], v[157:158]
	ds_load_b128 v[155:158], v1 offset:1600
	v_fma_f64 v[165:166], v[165:166], v[30:31], v[171:172]
	v_fma_f64 v[30:31], v[163:164], v[30:31], -v[32:33]
	v_add_f64_e32 v[32:33], v[167:168], v[175:176]
	v_add_f64_e32 v[163:164], v[169:170], v[173:174]
	s_wait_loadcnt_dscnt 0x700
	v_mul_f64_e32 v[167:168], v[155:156], v[161:162]
	v_mul_f64_e32 v[161:162], v[157:158], v[161:162]
	v_fma_f64 v[169:170], v[4:5], v[38:39], v[177:178]
	v_fma_f64 v[38:39], v[2:3], v[38:39], -v[40:41]
	v_add_f64_e32 v[40:41], v[32:33], v[30:31]
	v_add_f64_e32 v[163:164], v[163:164], v[165:166]
	ds_load_b128 v[2:5], v1 offset:1616
	ds_load_b128 v[30:33], v1 offset:1632
	v_fma_f64 v[157:158], v[157:158], v[159:160], v[167:168]
	v_fma_f64 v[155:156], v[155:156], v[159:160], -v[161:162]
	s_wait_loadcnt_dscnt 0x601
	v_mul_f64_e32 v[165:166], v[2:3], v[36:37]
	v_mul_f64_e32 v[36:37], v[4:5], v[36:37]
	v_add_f64_e32 v[38:39], v[40:41], v[38:39]
	v_add_f64_e32 v[40:41], v[163:164], v[169:170]
	s_wait_loadcnt_dscnt 0x500
	v_mul_f64_e32 v[159:160], v[30:31], v[8:9]
	v_mul_f64_e32 v[8:9], v[32:33], v[8:9]
	v_fma_f64 v[161:162], v[4:5], v[34:35], v[165:166]
	v_fma_f64 v[163:164], v[2:3], v[34:35], -v[36:37]
	ds_load_b128 v[2:5], v1 offset:1648
	ds_load_b128 v[34:37], v1 offset:1664
	v_add_f64_e32 v[38:39], v[38:39], v[155:156]
	v_add_f64_e32 v[40:41], v[40:41], v[157:158]
	s_wait_loadcnt_dscnt 0x401
	v_mul_f64_e32 v[155:156], v[2:3], v[12:13]
	v_mul_f64_e32 v[12:13], v[4:5], v[12:13]
	v_fma_f64 v[32:33], v[32:33], v[6:7], v[159:160]
	v_fma_f64 v[6:7], v[30:31], v[6:7], -v[8:9]
	v_add_f64_e32 v[8:9], v[38:39], v[163:164]
	v_add_f64_e32 v[30:31], v[40:41], v[161:162]
	s_wait_loadcnt_dscnt 0x300
	v_mul_f64_e32 v[38:39], v[34:35], v[16:17]
	v_mul_f64_e32 v[16:17], v[36:37], v[16:17]
	v_fma_f64 v[40:41], v[4:5], v[10:11], v[155:156]
	v_fma_f64 v[10:11], v[2:3], v[10:11], -v[12:13]
	v_add_f64_e32 v[12:13], v[8:9], v[6:7]
	v_add_f64_e32 v[30:31], v[30:31], v[32:33]
	ds_load_b128 v[2:5], v1 offset:1680
	ds_load_b128 v[6:9], v1 offset:1696
	v_fma_f64 v[36:37], v[36:37], v[14:15], v[38:39]
	v_fma_f64 v[14:15], v[34:35], v[14:15], -v[16:17]
	s_wait_loadcnt_dscnt 0x201
	v_mul_f64_e32 v[32:33], v[2:3], v[20:21]
	v_mul_f64_e32 v[20:21], v[4:5], v[20:21]
	s_wait_loadcnt_dscnt 0x100
	v_mul_f64_e32 v[16:17], v[6:7], v[24:25]
	v_mul_f64_e32 v[24:25], v[8:9], v[24:25]
	v_add_f64_e32 v[10:11], v[12:13], v[10:11]
	v_add_f64_e32 v[12:13], v[30:31], v[40:41]
	v_fma_f64 v[30:31], v[4:5], v[18:19], v[32:33]
	v_fma_f64 v[18:19], v[2:3], v[18:19], -v[20:21]
	ds_load_b128 v[2:5], v1 offset:1712
	v_fma_f64 v[8:9], v[8:9], v[22:23], v[16:17]
	v_fma_f64 v[6:7], v[6:7], v[22:23], -v[24:25]
	v_add_f64_e32 v[10:11], v[10:11], v[14:15]
	v_add_f64_e32 v[12:13], v[12:13], v[36:37]
	s_wait_loadcnt_dscnt 0x0
	v_mul_f64_e32 v[14:15], v[2:3], v[28:29]
	v_mul_f64_e32 v[20:21], v[4:5], v[28:29]
	s_delay_alu instid0(VALU_DEP_4) | instskip(NEXT) | instid1(VALU_DEP_4)
	v_add_f64_e32 v[10:11], v[10:11], v[18:19]
	v_add_f64_e32 v[12:13], v[12:13], v[30:31]
	s_delay_alu instid0(VALU_DEP_4) | instskip(NEXT) | instid1(VALU_DEP_4)
	v_fma_f64 v[4:5], v[4:5], v[26:27], v[14:15]
	v_fma_f64 v[2:3], v[2:3], v[26:27], -v[20:21]
	s_delay_alu instid0(VALU_DEP_4) | instskip(NEXT) | instid1(VALU_DEP_4)
	v_add_f64_e32 v[6:7], v[10:11], v[6:7]
	v_add_f64_e32 v[8:9], v[12:13], v[8:9]
	s_delay_alu instid0(VALU_DEP_2) | instskip(NEXT) | instid1(VALU_DEP_2)
	v_add_f64_e32 v[2:3], v[6:7], v[2:3]
	v_add_f64_e32 v[4:5], v[8:9], v[4:5]
	s_delay_alu instid0(VALU_DEP_2) | instskip(NEXT) | instid1(VALU_DEP_2)
	v_add_f64_e64 v[2:3], v[42:43], -v[2:3]
	v_add_f64_e64 v[4:5], v[44:45], -v[4:5]
	scratch_store_b128 off, v[2:5], off offset:592
	v_cmpx_lt_u32_e32 35, v0
	s_cbranch_execz .LBB53_267
; %bb.266:
	scratch_load_b128 v[5:8], off, s19
	v_dual_mov_b32 v2, v1 :: v_dual_mov_b32 v3, v1
	v_mov_b32_e32 v4, v1
	scratch_store_b128 off, v[1:4], off offset:576
	s_wait_loadcnt 0x0
	ds_store_b128 v154, v[5:8]
.LBB53_267:
	s_wait_alu 0xfffe
	s_or_b32 exec_lo, exec_lo, s0
	s_wait_storecnt_dscnt 0x0
	s_barrier_signal -1
	s_barrier_wait -1
	global_inv scope:SCOPE_SE
	s_clause 0x8
	scratch_load_b128 v[2:5], off, off offset:592
	scratch_load_b128 v[6:9], off, off offset:608
	;; [unrolled: 1-line block ×9, first 2 shown]
	ds_load_b128 v[38:41], v1 offset:1440
	ds_load_b128 v[42:45], v1 offset:1456
	s_clause 0x1
	scratch_load_b128 v[155:158], off, off offset:576
	scratch_load_b128 v[159:162], off, off offset:736
	s_mov_b32 s0, exec_lo
	s_wait_loadcnt_dscnt 0xa01
	v_mul_f64_e32 v[163:164], v[40:41], v[4:5]
	v_mul_f64_e32 v[4:5], v[38:39], v[4:5]
	s_wait_loadcnt_dscnt 0x900
	v_mul_f64_e32 v[167:168], v[42:43], v[8:9]
	v_mul_f64_e32 v[8:9], v[44:45], v[8:9]
	s_delay_alu instid0(VALU_DEP_4) | instskip(NEXT) | instid1(VALU_DEP_4)
	v_fma_f64 v[169:170], v[38:39], v[2:3], -v[163:164]
	v_fma_f64 v[171:172], v[40:41], v[2:3], v[4:5]
	ds_load_b128 v[2:5], v1 offset:1472
	ds_load_b128 v[163:166], v1 offset:1488
	scratch_load_b128 v[38:41], off, off offset:752
	v_fma_f64 v[44:45], v[44:45], v[6:7], v[167:168]
	v_fma_f64 v[42:43], v[42:43], v[6:7], -v[8:9]
	scratch_load_b128 v[6:9], off, off offset:768
	s_wait_loadcnt_dscnt 0xa01
	v_mul_f64_e32 v[173:174], v[2:3], v[12:13]
	v_mul_f64_e32 v[12:13], v[4:5], v[12:13]
	v_add_f64_e32 v[167:168], 0, v[169:170]
	v_add_f64_e32 v[169:170], 0, v[171:172]
	s_wait_loadcnt_dscnt 0x900
	v_mul_f64_e32 v[171:172], v[163:164], v[16:17]
	v_mul_f64_e32 v[16:17], v[165:166], v[16:17]
	v_fma_f64 v[173:174], v[4:5], v[10:11], v[173:174]
	v_fma_f64 v[175:176], v[2:3], v[10:11], -v[12:13]
	ds_load_b128 v[2:5], v1 offset:1504
	scratch_load_b128 v[10:13], off, off offset:784
	v_add_f64_e32 v[167:168], v[167:168], v[42:43]
	v_add_f64_e32 v[169:170], v[169:170], v[44:45]
	ds_load_b128 v[42:45], v1 offset:1520
	v_fma_f64 v[165:166], v[165:166], v[14:15], v[171:172]
	v_fma_f64 v[163:164], v[163:164], v[14:15], -v[16:17]
	scratch_load_b128 v[14:17], off, off offset:800
	s_wait_loadcnt_dscnt 0xa01
	v_mul_f64_e32 v[177:178], v[2:3], v[20:21]
	v_mul_f64_e32 v[20:21], v[4:5], v[20:21]
	s_wait_loadcnt_dscnt 0x900
	v_mul_f64_e32 v[171:172], v[42:43], v[24:25]
	v_mul_f64_e32 v[24:25], v[44:45], v[24:25]
	v_add_f64_e32 v[167:168], v[167:168], v[175:176]
	v_add_f64_e32 v[169:170], v[169:170], v[173:174]
	v_fma_f64 v[173:174], v[4:5], v[18:19], v[177:178]
	v_fma_f64 v[175:176], v[2:3], v[18:19], -v[20:21]
	ds_load_b128 v[2:5], v1 offset:1536
	scratch_load_b128 v[18:21], off, off offset:816
	v_fma_f64 v[44:45], v[44:45], v[22:23], v[171:172]
	v_fma_f64 v[42:43], v[42:43], v[22:23], -v[24:25]
	scratch_load_b128 v[22:25], off, off offset:832
	v_add_f64_e32 v[167:168], v[167:168], v[163:164]
	v_add_f64_e32 v[169:170], v[169:170], v[165:166]
	ds_load_b128 v[163:166], v1 offset:1552
	s_wait_loadcnt_dscnt 0xa01
	v_mul_f64_e32 v[177:178], v[2:3], v[28:29]
	v_mul_f64_e32 v[28:29], v[4:5], v[28:29]
	s_wait_loadcnt_dscnt 0x900
	v_mul_f64_e32 v[171:172], v[163:164], v[32:33]
	v_mul_f64_e32 v[32:33], v[165:166], v[32:33]
	v_add_f64_e32 v[167:168], v[167:168], v[175:176]
	v_add_f64_e32 v[169:170], v[169:170], v[173:174]
	v_fma_f64 v[173:174], v[4:5], v[26:27], v[177:178]
	v_fma_f64 v[175:176], v[2:3], v[26:27], -v[28:29]
	ds_load_b128 v[2:5], v1 offset:1568
	scratch_load_b128 v[26:29], off, off offset:848
	v_fma_f64 v[165:166], v[165:166], v[30:31], v[171:172]
	v_fma_f64 v[163:164], v[163:164], v[30:31], -v[32:33]
	scratch_load_b128 v[30:33], off, off offset:864
	v_add_f64_e32 v[167:168], v[167:168], v[42:43]
	v_add_f64_e32 v[169:170], v[169:170], v[44:45]
	ds_load_b128 v[42:45], v1 offset:1584
	s_wait_loadcnt_dscnt 0xa01
	v_mul_f64_e32 v[177:178], v[2:3], v[36:37]
	v_mul_f64_e32 v[36:37], v[4:5], v[36:37]
	s_wait_loadcnt_dscnt 0x800
	v_mul_f64_e32 v[171:172], v[42:43], v[161:162]
	v_mul_f64_e32 v[161:162], v[44:45], v[161:162]
	v_add_f64_e32 v[167:168], v[167:168], v[175:176]
	v_add_f64_e32 v[169:170], v[169:170], v[173:174]
	v_fma_f64 v[173:174], v[4:5], v[34:35], v[177:178]
	v_fma_f64 v[175:176], v[2:3], v[34:35], -v[36:37]
	ds_load_b128 v[2:5], v1 offset:1600
	ds_load_b128 v[34:37], v1 offset:1616
	v_fma_f64 v[44:45], v[44:45], v[159:160], v[171:172]
	v_fma_f64 v[42:43], v[42:43], v[159:160], -v[161:162]
	v_add_f64_e32 v[163:164], v[167:168], v[163:164]
	v_add_f64_e32 v[165:166], v[169:170], v[165:166]
	s_wait_loadcnt_dscnt 0x701
	v_mul_f64_e32 v[167:168], v[2:3], v[40:41]
	v_mul_f64_e32 v[40:41], v[4:5], v[40:41]
	s_delay_alu instid0(VALU_DEP_4) | instskip(NEXT) | instid1(VALU_DEP_4)
	v_add_f64_e32 v[159:160], v[163:164], v[175:176]
	v_add_f64_e32 v[161:162], v[165:166], v[173:174]
	s_wait_loadcnt_dscnt 0x600
	v_mul_f64_e32 v[163:164], v[34:35], v[8:9]
	v_mul_f64_e32 v[8:9], v[36:37], v[8:9]
	v_fma_f64 v[165:166], v[4:5], v[38:39], v[167:168]
	v_fma_f64 v[167:168], v[2:3], v[38:39], -v[40:41]
	ds_load_b128 v[2:5], v1 offset:1632
	ds_load_b128 v[38:41], v1 offset:1648
	v_add_f64_e32 v[42:43], v[159:160], v[42:43]
	v_add_f64_e32 v[44:45], v[161:162], v[44:45]
	v_fma_f64 v[36:37], v[36:37], v[6:7], v[163:164]
	s_wait_loadcnt_dscnt 0x501
	v_mul_f64_e32 v[159:160], v[2:3], v[12:13]
	v_mul_f64_e32 v[12:13], v[4:5], v[12:13]
	v_fma_f64 v[6:7], v[34:35], v[6:7], -v[8:9]
	v_add_f64_e32 v[8:9], v[42:43], v[167:168]
	v_add_f64_e32 v[34:35], v[44:45], v[165:166]
	s_wait_loadcnt_dscnt 0x400
	v_mul_f64_e32 v[42:43], v[38:39], v[16:17]
	v_mul_f64_e32 v[16:17], v[40:41], v[16:17]
	v_fma_f64 v[44:45], v[4:5], v[10:11], v[159:160]
	v_fma_f64 v[10:11], v[2:3], v[10:11], -v[12:13]
	v_add_f64_e32 v[12:13], v[8:9], v[6:7]
	v_add_f64_e32 v[34:35], v[34:35], v[36:37]
	ds_load_b128 v[2:5], v1 offset:1664
	ds_load_b128 v[6:9], v1 offset:1680
	v_fma_f64 v[40:41], v[40:41], v[14:15], v[42:43]
	v_fma_f64 v[14:15], v[38:39], v[14:15], -v[16:17]
	s_wait_loadcnt_dscnt 0x301
	v_mul_f64_e32 v[36:37], v[2:3], v[20:21]
	v_mul_f64_e32 v[20:21], v[4:5], v[20:21]
	s_wait_loadcnt_dscnt 0x200
	v_mul_f64_e32 v[16:17], v[6:7], v[24:25]
	v_mul_f64_e32 v[24:25], v[8:9], v[24:25]
	v_add_f64_e32 v[10:11], v[12:13], v[10:11]
	v_add_f64_e32 v[12:13], v[34:35], v[44:45]
	v_fma_f64 v[34:35], v[4:5], v[18:19], v[36:37]
	v_fma_f64 v[18:19], v[2:3], v[18:19], -v[20:21]
	v_fma_f64 v[8:9], v[8:9], v[22:23], v[16:17]
	v_fma_f64 v[6:7], v[6:7], v[22:23], -v[24:25]
	v_add_f64_e32 v[14:15], v[10:11], v[14:15]
	v_add_f64_e32 v[20:21], v[12:13], v[40:41]
	ds_load_b128 v[2:5], v1 offset:1696
	ds_load_b128 v[10:13], v1 offset:1712
	s_wait_loadcnt_dscnt 0x101
	v_mul_f64_e32 v[36:37], v[2:3], v[28:29]
	v_mul_f64_e32 v[28:29], v[4:5], v[28:29]
	v_add_f64_e32 v[14:15], v[14:15], v[18:19]
	v_add_f64_e32 v[16:17], v[20:21], v[34:35]
	s_wait_loadcnt_dscnt 0x0
	v_mul_f64_e32 v[18:19], v[10:11], v[32:33]
	v_mul_f64_e32 v[20:21], v[12:13], v[32:33]
	v_fma_f64 v[4:5], v[4:5], v[26:27], v[36:37]
	v_fma_f64 v[1:2], v[2:3], v[26:27], -v[28:29]
	v_add_f64_e32 v[6:7], v[14:15], v[6:7]
	v_add_f64_e32 v[8:9], v[16:17], v[8:9]
	v_fma_f64 v[12:13], v[12:13], v[30:31], v[18:19]
	v_fma_f64 v[10:11], v[10:11], v[30:31], -v[20:21]
	s_delay_alu instid0(VALU_DEP_4) | instskip(NEXT) | instid1(VALU_DEP_4)
	v_add_f64_e32 v[1:2], v[6:7], v[1:2]
	v_add_f64_e32 v[3:4], v[8:9], v[4:5]
	s_delay_alu instid0(VALU_DEP_2) | instskip(NEXT) | instid1(VALU_DEP_2)
	v_add_f64_e32 v[1:2], v[1:2], v[10:11]
	v_add_f64_e32 v[3:4], v[3:4], v[12:13]
	s_delay_alu instid0(VALU_DEP_2) | instskip(NEXT) | instid1(VALU_DEP_2)
	v_add_f64_e64 v[1:2], v[155:156], -v[1:2]
	v_add_f64_e64 v[3:4], v[157:158], -v[3:4]
	scratch_store_b128 off, v[1:4], off offset:576
	v_cmpx_lt_u32_e32 34, v0
	s_cbranch_execz .LBB53_269
; %bb.268:
	scratch_load_b128 v[1:4], off, s22
	v_mov_b32_e32 v5, 0
	s_delay_alu instid0(VALU_DEP_1)
	v_dual_mov_b32 v6, v5 :: v_dual_mov_b32 v7, v5
	v_mov_b32_e32 v8, v5
	scratch_store_b128 off, v[5:8], off offset:560
	s_wait_loadcnt 0x0
	ds_store_b128 v154, v[1:4]
.LBB53_269:
	s_wait_alu 0xfffe
	s_or_b32 exec_lo, exec_lo, s0
	s_wait_storecnt_dscnt 0x0
	s_barrier_signal -1
	s_barrier_wait -1
	global_inv scope:SCOPE_SE
	s_clause 0x7
	scratch_load_b128 v[2:5], off, off offset:576
	scratch_load_b128 v[6:9], off, off offset:592
	;; [unrolled: 1-line block ×8, first 2 shown]
	v_mov_b32_e32 v1, 0
	s_mov_b32 s0, exec_lo
	ds_load_b128 v[34:37], v1 offset:1424
	s_clause 0x1
	scratch_load_b128 v[38:41], off, off offset:704
	scratch_load_b128 v[42:45], off, off offset:560
	ds_load_b128 v[155:158], v1 offset:1440
	scratch_load_b128 v[159:162], off, off offset:720
	s_wait_loadcnt_dscnt 0xa01
	v_mul_f64_e32 v[163:164], v[36:37], v[4:5]
	v_mul_f64_e32 v[4:5], v[34:35], v[4:5]
	s_delay_alu instid0(VALU_DEP_2) | instskip(NEXT) | instid1(VALU_DEP_2)
	v_fma_f64 v[169:170], v[34:35], v[2:3], -v[163:164]
	v_fma_f64 v[171:172], v[36:37], v[2:3], v[4:5]
	ds_load_b128 v[2:5], v1 offset:1456
	s_wait_loadcnt_dscnt 0x901
	v_mul_f64_e32 v[167:168], v[155:156], v[8:9]
	v_mul_f64_e32 v[8:9], v[157:158], v[8:9]
	scratch_load_b128 v[34:37], off, off offset:736
	ds_load_b128 v[163:166], v1 offset:1472
	s_wait_loadcnt_dscnt 0x901
	v_mul_f64_e32 v[173:174], v[2:3], v[12:13]
	v_mul_f64_e32 v[12:13], v[4:5], v[12:13]
	v_fma_f64 v[157:158], v[157:158], v[6:7], v[167:168]
	v_fma_f64 v[155:156], v[155:156], v[6:7], -v[8:9]
	v_add_f64_e32 v[167:168], 0, v[169:170]
	v_add_f64_e32 v[169:170], 0, v[171:172]
	scratch_load_b128 v[6:9], off, off offset:752
	v_fma_f64 v[173:174], v[4:5], v[10:11], v[173:174]
	v_fma_f64 v[175:176], v[2:3], v[10:11], -v[12:13]
	ds_load_b128 v[2:5], v1 offset:1488
	s_wait_loadcnt_dscnt 0x901
	v_mul_f64_e32 v[171:172], v[163:164], v[16:17]
	v_mul_f64_e32 v[16:17], v[165:166], v[16:17]
	scratch_load_b128 v[10:13], off, off offset:768
	v_add_f64_e32 v[167:168], v[167:168], v[155:156]
	v_add_f64_e32 v[169:170], v[169:170], v[157:158]
	s_wait_loadcnt_dscnt 0x900
	v_mul_f64_e32 v[177:178], v[2:3], v[20:21]
	v_mul_f64_e32 v[20:21], v[4:5], v[20:21]
	ds_load_b128 v[155:158], v1 offset:1504
	v_fma_f64 v[165:166], v[165:166], v[14:15], v[171:172]
	v_fma_f64 v[163:164], v[163:164], v[14:15], -v[16:17]
	scratch_load_b128 v[14:17], off, off offset:784
	v_add_f64_e32 v[167:168], v[167:168], v[175:176]
	v_add_f64_e32 v[169:170], v[169:170], v[173:174]
	v_fma_f64 v[173:174], v[4:5], v[18:19], v[177:178]
	v_fma_f64 v[175:176], v[2:3], v[18:19], -v[20:21]
	ds_load_b128 v[2:5], v1 offset:1520
	s_wait_loadcnt_dscnt 0x901
	v_mul_f64_e32 v[171:172], v[155:156], v[24:25]
	v_mul_f64_e32 v[24:25], v[157:158], v[24:25]
	scratch_load_b128 v[18:21], off, off offset:800
	s_wait_loadcnt_dscnt 0x900
	v_mul_f64_e32 v[177:178], v[2:3], v[28:29]
	v_mul_f64_e32 v[28:29], v[4:5], v[28:29]
	v_add_f64_e32 v[167:168], v[167:168], v[163:164]
	v_add_f64_e32 v[169:170], v[169:170], v[165:166]
	ds_load_b128 v[163:166], v1 offset:1536
	v_fma_f64 v[157:158], v[157:158], v[22:23], v[171:172]
	v_fma_f64 v[155:156], v[155:156], v[22:23], -v[24:25]
	scratch_load_b128 v[22:25], off, off offset:816
	v_add_f64_e32 v[167:168], v[167:168], v[175:176]
	v_add_f64_e32 v[169:170], v[169:170], v[173:174]
	v_fma_f64 v[173:174], v[4:5], v[26:27], v[177:178]
	v_fma_f64 v[175:176], v[2:3], v[26:27], -v[28:29]
	ds_load_b128 v[2:5], v1 offset:1552
	s_wait_loadcnt_dscnt 0x901
	v_mul_f64_e32 v[171:172], v[163:164], v[32:33]
	v_mul_f64_e32 v[32:33], v[165:166], v[32:33]
	scratch_load_b128 v[26:29], off, off offset:832
	s_wait_loadcnt_dscnt 0x900
	v_mul_f64_e32 v[177:178], v[2:3], v[40:41]
	v_mul_f64_e32 v[40:41], v[4:5], v[40:41]
	v_add_f64_e32 v[167:168], v[167:168], v[155:156]
	v_add_f64_e32 v[169:170], v[169:170], v[157:158]
	ds_load_b128 v[155:158], v1 offset:1568
	v_fma_f64 v[165:166], v[165:166], v[30:31], v[171:172]
	v_fma_f64 v[163:164], v[163:164], v[30:31], -v[32:33]
	scratch_load_b128 v[30:33], off, off offset:848
	v_add_f64_e32 v[167:168], v[167:168], v[175:176]
	v_add_f64_e32 v[169:170], v[169:170], v[173:174]
	v_fma_f64 v[175:176], v[4:5], v[38:39], v[177:178]
	v_fma_f64 v[177:178], v[2:3], v[38:39], -v[40:41]
	ds_load_b128 v[2:5], v1 offset:1584
	s_wait_loadcnt_dscnt 0x801
	v_mul_f64_e32 v[171:172], v[155:156], v[161:162]
	v_mul_f64_e32 v[173:174], v[157:158], v[161:162]
	scratch_load_b128 v[38:41], off, off offset:864
	v_add_f64_e32 v[167:168], v[167:168], v[163:164]
	v_add_f64_e32 v[165:166], v[169:170], v[165:166]
	ds_load_b128 v[161:164], v1 offset:1600
	v_fma_f64 v[157:158], v[157:158], v[159:160], v[171:172]
	v_fma_f64 v[155:156], v[155:156], v[159:160], -v[173:174]
	s_wait_loadcnt_dscnt 0x801
	v_mul_f64_e32 v[169:170], v[2:3], v[36:37]
	v_mul_f64_e32 v[36:37], v[4:5], v[36:37]
	v_add_f64_e32 v[159:160], v[167:168], v[177:178]
	v_add_f64_e32 v[165:166], v[165:166], v[175:176]
	s_delay_alu instid0(VALU_DEP_4) | instskip(NEXT) | instid1(VALU_DEP_4)
	v_fma_f64 v[169:170], v[4:5], v[34:35], v[169:170]
	v_fma_f64 v[171:172], v[2:3], v[34:35], -v[36:37]
	s_wait_loadcnt_dscnt 0x700
	v_mul_f64_e32 v[167:168], v[161:162], v[8:9]
	v_mul_f64_e32 v[8:9], v[163:164], v[8:9]
	ds_load_b128 v[2:5], v1 offset:1616
	ds_load_b128 v[34:37], v1 offset:1632
	v_add_f64_e32 v[155:156], v[159:160], v[155:156]
	v_add_f64_e32 v[157:158], v[165:166], v[157:158]
	s_wait_loadcnt_dscnt 0x601
	v_mul_f64_e32 v[159:160], v[2:3], v[12:13]
	v_mul_f64_e32 v[12:13], v[4:5], v[12:13]
	v_fma_f64 v[163:164], v[163:164], v[6:7], v[167:168]
	v_fma_f64 v[6:7], v[161:162], v[6:7], -v[8:9]
	v_add_f64_e32 v[8:9], v[155:156], v[171:172]
	v_add_f64_e32 v[155:156], v[157:158], v[169:170]
	s_wait_loadcnt_dscnt 0x500
	v_mul_f64_e32 v[157:158], v[34:35], v[16:17]
	v_mul_f64_e32 v[16:17], v[36:37], v[16:17]
	v_fma_f64 v[159:160], v[4:5], v[10:11], v[159:160]
	v_fma_f64 v[10:11], v[2:3], v[10:11], -v[12:13]
	v_add_f64_e32 v[12:13], v[8:9], v[6:7]
	v_add_f64_e32 v[155:156], v[155:156], v[163:164]
	ds_load_b128 v[2:5], v1 offset:1648
	ds_load_b128 v[6:9], v1 offset:1664
	v_fma_f64 v[36:37], v[36:37], v[14:15], v[157:158]
	v_fma_f64 v[14:15], v[34:35], v[14:15], -v[16:17]
	s_wait_loadcnt_dscnt 0x401
	v_mul_f64_e32 v[161:162], v[2:3], v[20:21]
	v_mul_f64_e32 v[20:21], v[4:5], v[20:21]
	s_wait_loadcnt_dscnt 0x300
	v_mul_f64_e32 v[16:17], v[6:7], v[24:25]
	v_mul_f64_e32 v[24:25], v[8:9], v[24:25]
	v_add_f64_e32 v[10:11], v[12:13], v[10:11]
	v_add_f64_e32 v[12:13], v[155:156], v[159:160]
	v_fma_f64 v[34:35], v[4:5], v[18:19], v[161:162]
	v_fma_f64 v[18:19], v[2:3], v[18:19], -v[20:21]
	v_fma_f64 v[8:9], v[8:9], v[22:23], v[16:17]
	v_fma_f64 v[6:7], v[6:7], v[22:23], -v[24:25]
	v_add_f64_e32 v[14:15], v[10:11], v[14:15]
	v_add_f64_e32 v[20:21], v[12:13], v[36:37]
	ds_load_b128 v[2:5], v1 offset:1680
	ds_load_b128 v[10:13], v1 offset:1696
	s_wait_loadcnt_dscnt 0x201
	v_mul_f64_e32 v[36:37], v[2:3], v[28:29]
	v_mul_f64_e32 v[28:29], v[4:5], v[28:29]
	v_add_f64_e32 v[14:15], v[14:15], v[18:19]
	v_add_f64_e32 v[16:17], v[20:21], v[34:35]
	s_wait_loadcnt_dscnt 0x100
	v_mul_f64_e32 v[18:19], v[10:11], v[32:33]
	v_mul_f64_e32 v[20:21], v[12:13], v[32:33]
	v_fma_f64 v[22:23], v[4:5], v[26:27], v[36:37]
	v_fma_f64 v[24:25], v[2:3], v[26:27], -v[28:29]
	ds_load_b128 v[2:5], v1 offset:1712
	v_add_f64_e32 v[6:7], v[14:15], v[6:7]
	v_add_f64_e32 v[8:9], v[16:17], v[8:9]
	v_fma_f64 v[12:13], v[12:13], v[30:31], v[18:19]
	v_fma_f64 v[10:11], v[10:11], v[30:31], -v[20:21]
	s_wait_loadcnt_dscnt 0x0
	v_mul_f64_e32 v[14:15], v[2:3], v[40:41]
	v_mul_f64_e32 v[16:17], v[4:5], v[40:41]
	v_add_f64_e32 v[6:7], v[6:7], v[24:25]
	v_add_f64_e32 v[8:9], v[8:9], v[22:23]
	s_delay_alu instid0(VALU_DEP_4) | instskip(NEXT) | instid1(VALU_DEP_4)
	v_fma_f64 v[4:5], v[4:5], v[38:39], v[14:15]
	v_fma_f64 v[2:3], v[2:3], v[38:39], -v[16:17]
	s_delay_alu instid0(VALU_DEP_4) | instskip(NEXT) | instid1(VALU_DEP_4)
	v_add_f64_e32 v[6:7], v[6:7], v[10:11]
	v_add_f64_e32 v[8:9], v[8:9], v[12:13]
	s_delay_alu instid0(VALU_DEP_2) | instskip(NEXT) | instid1(VALU_DEP_2)
	v_add_f64_e32 v[2:3], v[6:7], v[2:3]
	v_add_f64_e32 v[4:5], v[8:9], v[4:5]
	s_delay_alu instid0(VALU_DEP_2) | instskip(NEXT) | instid1(VALU_DEP_2)
	v_add_f64_e64 v[2:3], v[42:43], -v[2:3]
	v_add_f64_e64 v[4:5], v[44:45], -v[4:5]
	scratch_store_b128 off, v[2:5], off offset:560
	v_cmpx_lt_u32_e32 33, v0
	s_cbranch_execz .LBB53_271
; %bb.270:
	scratch_load_b128 v[5:8], off, s21
	v_dual_mov_b32 v2, v1 :: v_dual_mov_b32 v3, v1
	v_mov_b32_e32 v4, v1
	scratch_store_b128 off, v[1:4], off offset:544
	s_wait_loadcnt 0x0
	ds_store_b128 v154, v[5:8]
.LBB53_271:
	s_wait_alu 0xfffe
	s_or_b32 exec_lo, exec_lo, s0
	s_wait_storecnt_dscnt 0x0
	s_barrier_signal -1
	s_barrier_wait -1
	global_inv scope:SCOPE_SE
	s_clause 0x8
	scratch_load_b128 v[2:5], off, off offset:560
	scratch_load_b128 v[6:9], off, off offset:576
	;; [unrolled: 1-line block ×9, first 2 shown]
	ds_load_b128 v[38:41], v1 offset:1408
	ds_load_b128 v[42:45], v1 offset:1424
	s_clause 0x1
	scratch_load_b128 v[155:158], off, off offset:544
	scratch_load_b128 v[159:162], off, off offset:704
	s_mov_b32 s0, exec_lo
	s_wait_loadcnt_dscnt 0xa01
	v_mul_f64_e32 v[163:164], v[40:41], v[4:5]
	v_mul_f64_e32 v[4:5], v[38:39], v[4:5]
	s_wait_loadcnt_dscnt 0x900
	v_mul_f64_e32 v[167:168], v[42:43], v[8:9]
	v_mul_f64_e32 v[8:9], v[44:45], v[8:9]
	s_delay_alu instid0(VALU_DEP_4) | instskip(NEXT) | instid1(VALU_DEP_4)
	v_fma_f64 v[169:170], v[38:39], v[2:3], -v[163:164]
	v_fma_f64 v[171:172], v[40:41], v[2:3], v[4:5]
	ds_load_b128 v[2:5], v1 offset:1440
	ds_load_b128 v[163:166], v1 offset:1456
	scratch_load_b128 v[38:41], off, off offset:720
	v_fma_f64 v[44:45], v[44:45], v[6:7], v[167:168]
	v_fma_f64 v[42:43], v[42:43], v[6:7], -v[8:9]
	scratch_load_b128 v[6:9], off, off offset:736
	s_wait_loadcnt_dscnt 0xa01
	v_mul_f64_e32 v[173:174], v[2:3], v[12:13]
	v_mul_f64_e32 v[12:13], v[4:5], v[12:13]
	v_add_f64_e32 v[167:168], 0, v[169:170]
	v_add_f64_e32 v[169:170], 0, v[171:172]
	s_wait_loadcnt_dscnt 0x900
	v_mul_f64_e32 v[171:172], v[163:164], v[16:17]
	v_mul_f64_e32 v[16:17], v[165:166], v[16:17]
	v_fma_f64 v[173:174], v[4:5], v[10:11], v[173:174]
	v_fma_f64 v[175:176], v[2:3], v[10:11], -v[12:13]
	ds_load_b128 v[2:5], v1 offset:1472
	scratch_load_b128 v[10:13], off, off offset:752
	v_add_f64_e32 v[167:168], v[167:168], v[42:43]
	v_add_f64_e32 v[169:170], v[169:170], v[44:45]
	ds_load_b128 v[42:45], v1 offset:1488
	v_fma_f64 v[165:166], v[165:166], v[14:15], v[171:172]
	v_fma_f64 v[163:164], v[163:164], v[14:15], -v[16:17]
	scratch_load_b128 v[14:17], off, off offset:768
	s_wait_loadcnt_dscnt 0xa01
	v_mul_f64_e32 v[177:178], v[2:3], v[20:21]
	v_mul_f64_e32 v[20:21], v[4:5], v[20:21]
	s_wait_loadcnt_dscnt 0x900
	v_mul_f64_e32 v[171:172], v[42:43], v[24:25]
	v_mul_f64_e32 v[24:25], v[44:45], v[24:25]
	v_add_f64_e32 v[167:168], v[167:168], v[175:176]
	v_add_f64_e32 v[169:170], v[169:170], v[173:174]
	v_fma_f64 v[173:174], v[4:5], v[18:19], v[177:178]
	v_fma_f64 v[175:176], v[2:3], v[18:19], -v[20:21]
	ds_load_b128 v[2:5], v1 offset:1504
	scratch_load_b128 v[18:21], off, off offset:784
	v_fma_f64 v[44:45], v[44:45], v[22:23], v[171:172]
	v_fma_f64 v[42:43], v[42:43], v[22:23], -v[24:25]
	scratch_load_b128 v[22:25], off, off offset:800
	v_add_f64_e32 v[167:168], v[167:168], v[163:164]
	v_add_f64_e32 v[169:170], v[169:170], v[165:166]
	ds_load_b128 v[163:166], v1 offset:1520
	s_wait_loadcnt_dscnt 0xa01
	v_mul_f64_e32 v[177:178], v[2:3], v[28:29]
	v_mul_f64_e32 v[28:29], v[4:5], v[28:29]
	s_wait_loadcnt_dscnt 0x900
	v_mul_f64_e32 v[171:172], v[163:164], v[32:33]
	v_mul_f64_e32 v[32:33], v[165:166], v[32:33]
	v_add_f64_e32 v[167:168], v[167:168], v[175:176]
	v_add_f64_e32 v[169:170], v[169:170], v[173:174]
	v_fma_f64 v[173:174], v[4:5], v[26:27], v[177:178]
	v_fma_f64 v[175:176], v[2:3], v[26:27], -v[28:29]
	ds_load_b128 v[2:5], v1 offset:1536
	scratch_load_b128 v[26:29], off, off offset:816
	v_fma_f64 v[165:166], v[165:166], v[30:31], v[171:172]
	v_fma_f64 v[163:164], v[163:164], v[30:31], -v[32:33]
	scratch_load_b128 v[30:33], off, off offset:832
	v_add_f64_e32 v[167:168], v[167:168], v[42:43]
	v_add_f64_e32 v[169:170], v[169:170], v[44:45]
	ds_load_b128 v[42:45], v1 offset:1552
	s_wait_loadcnt_dscnt 0xa01
	v_mul_f64_e32 v[177:178], v[2:3], v[36:37]
	v_mul_f64_e32 v[36:37], v[4:5], v[36:37]
	s_wait_loadcnt_dscnt 0x800
	v_mul_f64_e32 v[171:172], v[42:43], v[161:162]
	v_add_f64_e32 v[167:168], v[167:168], v[175:176]
	v_add_f64_e32 v[169:170], v[169:170], v[173:174]
	v_mul_f64_e32 v[173:174], v[44:45], v[161:162]
	v_fma_f64 v[175:176], v[4:5], v[34:35], v[177:178]
	v_fma_f64 v[177:178], v[2:3], v[34:35], -v[36:37]
	ds_load_b128 v[2:5], v1 offset:1568
	scratch_load_b128 v[34:37], off, off offset:848
	v_fma_f64 v[44:45], v[44:45], v[159:160], v[171:172]
	v_add_f64_e32 v[167:168], v[167:168], v[163:164]
	v_add_f64_e32 v[165:166], v[169:170], v[165:166]
	ds_load_b128 v[161:164], v1 offset:1584
	v_fma_f64 v[159:160], v[42:43], v[159:160], -v[173:174]
	s_wait_loadcnt_dscnt 0x801
	v_mul_f64_e32 v[169:170], v[2:3], v[40:41]
	v_mul_f64_e32 v[179:180], v[4:5], v[40:41]
	scratch_load_b128 v[40:43], off, off offset:864
	s_wait_loadcnt_dscnt 0x800
	v_mul_f64_e32 v[171:172], v[161:162], v[8:9]
	v_mul_f64_e32 v[8:9], v[163:164], v[8:9]
	v_add_f64_e32 v[167:168], v[167:168], v[177:178]
	v_add_f64_e32 v[165:166], v[165:166], v[175:176]
	v_fma_f64 v[169:170], v[4:5], v[38:39], v[169:170]
	v_fma_f64 v[38:39], v[2:3], v[38:39], -v[179:180]
	v_fma_f64 v[163:164], v[163:164], v[6:7], v[171:172]
	v_fma_f64 v[6:7], v[161:162], v[6:7], -v[8:9]
	v_add_f64_e32 v[159:160], v[167:168], v[159:160]
	v_add_f64_e32 v[44:45], v[165:166], v[44:45]
	ds_load_b128 v[2:5], v1 offset:1600
	ds_load_b128 v[165:168], v1 offset:1616
	s_wait_loadcnt_dscnt 0x701
	v_mul_f64_e32 v[173:174], v[2:3], v[12:13]
	v_mul_f64_e32 v[12:13], v[4:5], v[12:13]
	v_add_f64_e32 v[8:9], v[159:160], v[38:39]
	v_add_f64_e32 v[38:39], v[44:45], v[169:170]
	s_wait_loadcnt_dscnt 0x600
	v_mul_f64_e32 v[44:45], v[165:166], v[16:17]
	v_mul_f64_e32 v[16:17], v[167:168], v[16:17]
	v_fma_f64 v[159:160], v[4:5], v[10:11], v[173:174]
	v_fma_f64 v[10:11], v[2:3], v[10:11], -v[12:13]
	v_add_f64_e32 v[12:13], v[8:9], v[6:7]
	v_add_f64_e32 v[38:39], v[38:39], v[163:164]
	ds_load_b128 v[2:5], v1 offset:1632
	ds_load_b128 v[6:9], v1 offset:1648
	v_fma_f64 v[44:45], v[167:168], v[14:15], v[44:45]
	v_fma_f64 v[14:15], v[165:166], v[14:15], -v[16:17]
	s_wait_loadcnt_dscnt 0x501
	v_mul_f64_e32 v[161:162], v[2:3], v[20:21]
	v_mul_f64_e32 v[20:21], v[4:5], v[20:21]
	s_wait_loadcnt_dscnt 0x400
	v_mul_f64_e32 v[16:17], v[6:7], v[24:25]
	v_mul_f64_e32 v[24:25], v[8:9], v[24:25]
	v_add_f64_e32 v[10:11], v[12:13], v[10:11]
	v_add_f64_e32 v[12:13], v[38:39], v[159:160]
	v_fma_f64 v[38:39], v[4:5], v[18:19], v[161:162]
	v_fma_f64 v[18:19], v[2:3], v[18:19], -v[20:21]
	v_fma_f64 v[8:9], v[8:9], v[22:23], v[16:17]
	v_fma_f64 v[6:7], v[6:7], v[22:23], -v[24:25]
	v_add_f64_e32 v[14:15], v[10:11], v[14:15]
	v_add_f64_e32 v[20:21], v[12:13], v[44:45]
	ds_load_b128 v[2:5], v1 offset:1664
	ds_load_b128 v[10:13], v1 offset:1680
	s_wait_loadcnt_dscnt 0x301
	v_mul_f64_e32 v[44:45], v[2:3], v[28:29]
	v_mul_f64_e32 v[28:29], v[4:5], v[28:29]
	v_add_f64_e32 v[14:15], v[14:15], v[18:19]
	v_add_f64_e32 v[16:17], v[20:21], v[38:39]
	s_wait_loadcnt_dscnt 0x200
	v_mul_f64_e32 v[18:19], v[10:11], v[32:33]
	v_mul_f64_e32 v[20:21], v[12:13], v[32:33]
	v_fma_f64 v[22:23], v[4:5], v[26:27], v[44:45]
	v_fma_f64 v[24:25], v[2:3], v[26:27], -v[28:29]
	v_add_f64_e32 v[14:15], v[14:15], v[6:7]
	v_add_f64_e32 v[16:17], v[16:17], v[8:9]
	ds_load_b128 v[2:5], v1 offset:1696
	ds_load_b128 v[6:9], v1 offset:1712
	v_fma_f64 v[12:13], v[12:13], v[30:31], v[18:19]
	v_fma_f64 v[10:11], v[10:11], v[30:31], -v[20:21]
	s_wait_loadcnt_dscnt 0x101
	v_mul_f64_e32 v[26:27], v[2:3], v[36:37]
	v_mul_f64_e32 v[28:29], v[4:5], v[36:37]
	s_wait_loadcnt_dscnt 0x0
	v_mul_f64_e32 v[18:19], v[6:7], v[42:43]
	v_add_f64_e32 v[14:15], v[14:15], v[24:25]
	v_add_f64_e32 v[16:17], v[16:17], v[22:23]
	v_mul_f64_e32 v[20:21], v[8:9], v[42:43]
	v_fma_f64 v[4:5], v[4:5], v[34:35], v[26:27]
	v_fma_f64 v[1:2], v[2:3], v[34:35], -v[28:29]
	v_fma_f64 v[8:9], v[8:9], v[40:41], v[18:19]
	v_add_f64_e32 v[10:11], v[14:15], v[10:11]
	v_add_f64_e32 v[12:13], v[16:17], v[12:13]
	v_fma_f64 v[6:7], v[6:7], v[40:41], -v[20:21]
	s_delay_alu instid0(VALU_DEP_3) | instskip(NEXT) | instid1(VALU_DEP_3)
	v_add_f64_e32 v[1:2], v[10:11], v[1:2]
	v_add_f64_e32 v[3:4], v[12:13], v[4:5]
	s_delay_alu instid0(VALU_DEP_2) | instskip(NEXT) | instid1(VALU_DEP_2)
	v_add_f64_e32 v[1:2], v[1:2], v[6:7]
	v_add_f64_e32 v[3:4], v[3:4], v[8:9]
	s_delay_alu instid0(VALU_DEP_2) | instskip(NEXT) | instid1(VALU_DEP_2)
	v_add_f64_e64 v[1:2], v[155:156], -v[1:2]
	v_add_f64_e64 v[3:4], v[157:158], -v[3:4]
	scratch_store_b128 off, v[1:4], off offset:544
	v_cmpx_lt_u32_e32 32, v0
	s_cbranch_execz .LBB53_273
; %bb.272:
	scratch_load_b128 v[1:4], off, s24
	v_mov_b32_e32 v5, 0
	s_delay_alu instid0(VALU_DEP_1)
	v_dual_mov_b32 v6, v5 :: v_dual_mov_b32 v7, v5
	v_mov_b32_e32 v8, v5
	scratch_store_b128 off, v[5:8], off offset:528
	s_wait_loadcnt 0x0
	ds_store_b128 v154, v[1:4]
.LBB53_273:
	s_wait_alu 0xfffe
	s_or_b32 exec_lo, exec_lo, s0
	s_wait_storecnt_dscnt 0x0
	s_barrier_signal -1
	s_barrier_wait -1
	global_inv scope:SCOPE_SE
	s_clause 0x7
	scratch_load_b128 v[2:5], off, off offset:544
	scratch_load_b128 v[6:9], off, off offset:560
	;; [unrolled: 1-line block ×8, first 2 shown]
	v_mov_b32_e32 v1, 0
	s_mov_b32 s0, exec_lo
	ds_load_b128 v[34:37], v1 offset:1392
	s_clause 0x1
	scratch_load_b128 v[38:41], off, off offset:672
	scratch_load_b128 v[42:45], off, off offset:528
	ds_load_b128 v[155:158], v1 offset:1408
	scratch_load_b128 v[159:162], off, off offset:688
	s_wait_loadcnt_dscnt 0xa01
	v_mul_f64_e32 v[163:164], v[36:37], v[4:5]
	v_mul_f64_e32 v[4:5], v[34:35], v[4:5]
	s_delay_alu instid0(VALU_DEP_2) | instskip(NEXT) | instid1(VALU_DEP_2)
	v_fma_f64 v[169:170], v[34:35], v[2:3], -v[163:164]
	v_fma_f64 v[171:172], v[36:37], v[2:3], v[4:5]
	ds_load_b128 v[2:5], v1 offset:1424
	s_wait_loadcnt_dscnt 0x901
	v_mul_f64_e32 v[167:168], v[155:156], v[8:9]
	v_mul_f64_e32 v[8:9], v[157:158], v[8:9]
	scratch_load_b128 v[34:37], off, off offset:704
	ds_load_b128 v[163:166], v1 offset:1440
	s_wait_loadcnt_dscnt 0x901
	v_mul_f64_e32 v[173:174], v[2:3], v[12:13]
	v_mul_f64_e32 v[12:13], v[4:5], v[12:13]
	v_fma_f64 v[157:158], v[157:158], v[6:7], v[167:168]
	v_fma_f64 v[155:156], v[155:156], v[6:7], -v[8:9]
	v_add_f64_e32 v[167:168], 0, v[169:170]
	v_add_f64_e32 v[169:170], 0, v[171:172]
	scratch_load_b128 v[6:9], off, off offset:720
	v_fma_f64 v[173:174], v[4:5], v[10:11], v[173:174]
	v_fma_f64 v[175:176], v[2:3], v[10:11], -v[12:13]
	ds_load_b128 v[2:5], v1 offset:1456
	s_wait_loadcnt_dscnt 0x901
	v_mul_f64_e32 v[171:172], v[163:164], v[16:17]
	v_mul_f64_e32 v[16:17], v[165:166], v[16:17]
	scratch_load_b128 v[10:13], off, off offset:736
	v_add_f64_e32 v[167:168], v[167:168], v[155:156]
	v_add_f64_e32 v[169:170], v[169:170], v[157:158]
	s_wait_loadcnt_dscnt 0x900
	v_mul_f64_e32 v[177:178], v[2:3], v[20:21]
	v_mul_f64_e32 v[20:21], v[4:5], v[20:21]
	ds_load_b128 v[155:158], v1 offset:1472
	v_fma_f64 v[165:166], v[165:166], v[14:15], v[171:172]
	v_fma_f64 v[163:164], v[163:164], v[14:15], -v[16:17]
	scratch_load_b128 v[14:17], off, off offset:752
	v_add_f64_e32 v[167:168], v[167:168], v[175:176]
	v_add_f64_e32 v[169:170], v[169:170], v[173:174]
	v_fma_f64 v[173:174], v[4:5], v[18:19], v[177:178]
	v_fma_f64 v[175:176], v[2:3], v[18:19], -v[20:21]
	ds_load_b128 v[2:5], v1 offset:1488
	s_wait_loadcnt_dscnt 0x901
	v_mul_f64_e32 v[171:172], v[155:156], v[24:25]
	v_mul_f64_e32 v[24:25], v[157:158], v[24:25]
	scratch_load_b128 v[18:21], off, off offset:768
	s_wait_loadcnt_dscnt 0x900
	v_mul_f64_e32 v[177:178], v[2:3], v[28:29]
	v_mul_f64_e32 v[28:29], v[4:5], v[28:29]
	v_add_f64_e32 v[167:168], v[167:168], v[163:164]
	v_add_f64_e32 v[169:170], v[169:170], v[165:166]
	ds_load_b128 v[163:166], v1 offset:1504
	v_fma_f64 v[157:158], v[157:158], v[22:23], v[171:172]
	v_fma_f64 v[155:156], v[155:156], v[22:23], -v[24:25]
	scratch_load_b128 v[22:25], off, off offset:784
	v_add_f64_e32 v[167:168], v[167:168], v[175:176]
	v_add_f64_e32 v[169:170], v[169:170], v[173:174]
	v_fma_f64 v[173:174], v[4:5], v[26:27], v[177:178]
	v_fma_f64 v[175:176], v[2:3], v[26:27], -v[28:29]
	ds_load_b128 v[2:5], v1 offset:1520
	s_wait_loadcnt_dscnt 0x901
	v_mul_f64_e32 v[171:172], v[163:164], v[32:33]
	v_mul_f64_e32 v[32:33], v[165:166], v[32:33]
	scratch_load_b128 v[26:29], off, off offset:800
	s_wait_loadcnt_dscnt 0x900
	v_mul_f64_e32 v[177:178], v[2:3], v[40:41]
	v_mul_f64_e32 v[40:41], v[4:5], v[40:41]
	v_add_f64_e32 v[167:168], v[167:168], v[155:156]
	v_add_f64_e32 v[169:170], v[169:170], v[157:158]
	ds_load_b128 v[155:158], v1 offset:1536
	v_fma_f64 v[165:166], v[165:166], v[30:31], v[171:172]
	v_fma_f64 v[163:164], v[163:164], v[30:31], -v[32:33]
	scratch_load_b128 v[30:33], off, off offset:816
	v_add_f64_e32 v[167:168], v[167:168], v[175:176]
	v_add_f64_e32 v[169:170], v[169:170], v[173:174]
	v_fma_f64 v[175:176], v[4:5], v[38:39], v[177:178]
	v_fma_f64 v[177:178], v[2:3], v[38:39], -v[40:41]
	ds_load_b128 v[2:5], v1 offset:1552
	s_wait_loadcnt_dscnt 0x801
	v_mul_f64_e32 v[171:172], v[155:156], v[161:162]
	v_mul_f64_e32 v[173:174], v[157:158], v[161:162]
	scratch_load_b128 v[38:41], off, off offset:832
	v_add_f64_e32 v[167:168], v[167:168], v[163:164]
	v_add_f64_e32 v[165:166], v[169:170], v[165:166]
	ds_load_b128 v[161:164], v1 offset:1568
	v_fma_f64 v[171:172], v[157:158], v[159:160], v[171:172]
	v_fma_f64 v[159:160], v[155:156], v[159:160], -v[173:174]
	scratch_load_b128 v[155:158], off, off offset:848
	s_wait_loadcnt_dscnt 0x901
	v_mul_f64_e32 v[169:170], v[2:3], v[36:37]
	v_mul_f64_e32 v[36:37], v[4:5], v[36:37]
	v_add_f64_e32 v[167:168], v[167:168], v[177:178]
	v_add_f64_e32 v[165:166], v[165:166], v[175:176]
	s_delay_alu instid0(VALU_DEP_4) | instskip(NEXT) | instid1(VALU_DEP_4)
	v_fma_f64 v[169:170], v[4:5], v[34:35], v[169:170]
	v_fma_f64 v[175:176], v[2:3], v[34:35], -v[36:37]
	ds_load_b128 v[2:5], v1 offset:1584
	s_wait_loadcnt_dscnt 0x801
	v_mul_f64_e32 v[173:174], v[161:162], v[8:9]
	v_mul_f64_e32 v[8:9], v[163:164], v[8:9]
	scratch_load_b128 v[34:37], off, off offset:864
	s_wait_loadcnt_dscnt 0x800
	v_mul_f64_e32 v[177:178], v[2:3], v[12:13]
	v_add_f64_e32 v[159:160], v[167:168], v[159:160]
	v_add_f64_e32 v[171:172], v[165:166], v[171:172]
	v_mul_f64_e32 v[12:13], v[4:5], v[12:13]
	ds_load_b128 v[165:168], v1 offset:1600
	v_fma_f64 v[163:164], v[163:164], v[6:7], v[173:174]
	v_fma_f64 v[6:7], v[161:162], v[6:7], -v[8:9]
	s_wait_loadcnt_dscnt 0x700
	v_mul_f64_e32 v[161:162], v[165:166], v[16:17]
	v_add_f64_e32 v[8:9], v[159:160], v[175:176]
	v_add_f64_e32 v[159:160], v[171:172], v[169:170]
	v_mul_f64_e32 v[16:17], v[167:168], v[16:17]
	v_fma_f64 v[169:170], v[4:5], v[10:11], v[177:178]
	v_fma_f64 v[10:11], v[2:3], v[10:11], -v[12:13]
	v_fma_f64 v[161:162], v[167:168], v[14:15], v[161:162]
	v_add_f64_e32 v[12:13], v[8:9], v[6:7]
	v_add_f64_e32 v[159:160], v[159:160], v[163:164]
	ds_load_b128 v[2:5], v1 offset:1616
	ds_load_b128 v[6:9], v1 offset:1632
	v_fma_f64 v[14:15], v[165:166], v[14:15], -v[16:17]
	s_wait_loadcnt_dscnt 0x601
	v_mul_f64_e32 v[163:164], v[2:3], v[20:21]
	v_mul_f64_e32 v[20:21], v[4:5], v[20:21]
	s_wait_loadcnt_dscnt 0x500
	v_mul_f64_e32 v[16:17], v[6:7], v[24:25]
	v_mul_f64_e32 v[24:25], v[8:9], v[24:25]
	v_add_f64_e32 v[10:11], v[12:13], v[10:11]
	v_add_f64_e32 v[12:13], v[159:160], v[169:170]
	v_fma_f64 v[159:160], v[4:5], v[18:19], v[163:164]
	v_fma_f64 v[18:19], v[2:3], v[18:19], -v[20:21]
	v_fma_f64 v[8:9], v[8:9], v[22:23], v[16:17]
	v_fma_f64 v[6:7], v[6:7], v[22:23], -v[24:25]
	v_add_f64_e32 v[14:15], v[10:11], v[14:15]
	v_add_f64_e32 v[20:21], v[12:13], v[161:162]
	ds_load_b128 v[2:5], v1 offset:1648
	ds_load_b128 v[10:13], v1 offset:1664
	s_wait_loadcnt_dscnt 0x401
	v_mul_f64_e32 v[161:162], v[2:3], v[28:29]
	v_mul_f64_e32 v[28:29], v[4:5], v[28:29]
	v_add_f64_e32 v[14:15], v[14:15], v[18:19]
	v_add_f64_e32 v[16:17], v[20:21], v[159:160]
	s_wait_loadcnt_dscnt 0x300
	v_mul_f64_e32 v[18:19], v[10:11], v[32:33]
	v_mul_f64_e32 v[20:21], v[12:13], v[32:33]
	v_fma_f64 v[22:23], v[4:5], v[26:27], v[161:162]
	v_fma_f64 v[24:25], v[2:3], v[26:27], -v[28:29]
	v_add_f64_e32 v[14:15], v[14:15], v[6:7]
	v_add_f64_e32 v[16:17], v[16:17], v[8:9]
	ds_load_b128 v[2:5], v1 offset:1680
	ds_load_b128 v[6:9], v1 offset:1696
	v_fma_f64 v[12:13], v[12:13], v[30:31], v[18:19]
	v_fma_f64 v[10:11], v[10:11], v[30:31], -v[20:21]
	s_wait_loadcnt_dscnt 0x201
	v_mul_f64_e32 v[26:27], v[2:3], v[40:41]
	v_mul_f64_e32 v[28:29], v[4:5], v[40:41]
	s_wait_loadcnt_dscnt 0x100
	v_mul_f64_e32 v[18:19], v[6:7], v[157:158]
	v_mul_f64_e32 v[20:21], v[8:9], v[157:158]
	v_add_f64_e32 v[14:15], v[14:15], v[24:25]
	v_add_f64_e32 v[16:17], v[16:17], v[22:23]
	v_fma_f64 v[22:23], v[4:5], v[38:39], v[26:27]
	v_fma_f64 v[24:25], v[2:3], v[38:39], -v[28:29]
	ds_load_b128 v[2:5], v1 offset:1712
	v_fma_f64 v[8:9], v[8:9], v[155:156], v[18:19]
	v_fma_f64 v[6:7], v[6:7], v[155:156], -v[20:21]
	v_add_f64_e32 v[10:11], v[14:15], v[10:11]
	v_add_f64_e32 v[12:13], v[16:17], v[12:13]
	s_wait_loadcnt_dscnt 0x0
	v_mul_f64_e32 v[14:15], v[2:3], v[36:37]
	v_mul_f64_e32 v[16:17], v[4:5], v[36:37]
	s_delay_alu instid0(VALU_DEP_4) | instskip(NEXT) | instid1(VALU_DEP_4)
	v_add_f64_e32 v[10:11], v[10:11], v[24:25]
	v_add_f64_e32 v[12:13], v[12:13], v[22:23]
	s_delay_alu instid0(VALU_DEP_4) | instskip(NEXT) | instid1(VALU_DEP_4)
	v_fma_f64 v[4:5], v[4:5], v[34:35], v[14:15]
	v_fma_f64 v[2:3], v[2:3], v[34:35], -v[16:17]
	s_delay_alu instid0(VALU_DEP_4) | instskip(NEXT) | instid1(VALU_DEP_4)
	v_add_f64_e32 v[6:7], v[10:11], v[6:7]
	v_add_f64_e32 v[8:9], v[12:13], v[8:9]
	s_delay_alu instid0(VALU_DEP_2) | instskip(NEXT) | instid1(VALU_DEP_2)
	v_add_f64_e32 v[2:3], v[6:7], v[2:3]
	v_add_f64_e32 v[4:5], v[8:9], v[4:5]
	s_delay_alu instid0(VALU_DEP_2) | instskip(NEXT) | instid1(VALU_DEP_2)
	v_add_f64_e64 v[2:3], v[42:43], -v[2:3]
	v_add_f64_e64 v[4:5], v[44:45], -v[4:5]
	scratch_store_b128 off, v[2:5], off offset:528
	v_cmpx_lt_u32_e32 31, v0
	s_cbranch_execz .LBB53_275
; %bb.274:
	scratch_load_b128 v[5:8], off, s23
	v_dual_mov_b32 v2, v1 :: v_dual_mov_b32 v3, v1
	v_mov_b32_e32 v4, v1
	scratch_store_b128 off, v[1:4], off offset:512
	s_wait_loadcnt 0x0
	ds_store_b128 v154, v[5:8]
.LBB53_275:
	s_wait_alu 0xfffe
	s_or_b32 exec_lo, exec_lo, s0
	s_wait_storecnt_dscnt 0x0
	s_barrier_signal -1
	s_barrier_wait -1
	global_inv scope:SCOPE_SE
	s_clause 0x8
	scratch_load_b128 v[2:5], off, off offset:528
	scratch_load_b128 v[6:9], off, off offset:544
	;; [unrolled: 1-line block ×9, first 2 shown]
	ds_load_b128 v[38:41], v1 offset:1376
	ds_load_b128 v[42:45], v1 offset:1392
	s_clause 0x1
	scratch_load_b128 v[155:158], off, off offset:512
	scratch_load_b128 v[159:162], off, off offset:672
	s_mov_b32 s0, exec_lo
	s_wait_loadcnt_dscnt 0xa01
	v_mul_f64_e32 v[163:164], v[40:41], v[4:5]
	v_mul_f64_e32 v[4:5], v[38:39], v[4:5]
	s_wait_loadcnt_dscnt 0x900
	v_mul_f64_e32 v[167:168], v[42:43], v[8:9]
	v_mul_f64_e32 v[8:9], v[44:45], v[8:9]
	s_delay_alu instid0(VALU_DEP_4) | instskip(NEXT) | instid1(VALU_DEP_4)
	v_fma_f64 v[169:170], v[38:39], v[2:3], -v[163:164]
	v_fma_f64 v[171:172], v[40:41], v[2:3], v[4:5]
	ds_load_b128 v[2:5], v1 offset:1408
	ds_load_b128 v[163:166], v1 offset:1424
	scratch_load_b128 v[38:41], off, off offset:688
	v_fma_f64 v[44:45], v[44:45], v[6:7], v[167:168]
	v_fma_f64 v[42:43], v[42:43], v[6:7], -v[8:9]
	scratch_load_b128 v[6:9], off, off offset:704
	s_wait_loadcnt_dscnt 0xa01
	v_mul_f64_e32 v[173:174], v[2:3], v[12:13]
	v_mul_f64_e32 v[12:13], v[4:5], v[12:13]
	v_add_f64_e32 v[167:168], 0, v[169:170]
	v_add_f64_e32 v[169:170], 0, v[171:172]
	s_wait_loadcnt_dscnt 0x900
	v_mul_f64_e32 v[171:172], v[163:164], v[16:17]
	v_mul_f64_e32 v[16:17], v[165:166], v[16:17]
	v_fma_f64 v[173:174], v[4:5], v[10:11], v[173:174]
	v_fma_f64 v[175:176], v[2:3], v[10:11], -v[12:13]
	ds_load_b128 v[2:5], v1 offset:1440
	scratch_load_b128 v[10:13], off, off offset:720
	v_add_f64_e32 v[167:168], v[167:168], v[42:43]
	v_add_f64_e32 v[169:170], v[169:170], v[44:45]
	ds_load_b128 v[42:45], v1 offset:1456
	v_fma_f64 v[165:166], v[165:166], v[14:15], v[171:172]
	v_fma_f64 v[163:164], v[163:164], v[14:15], -v[16:17]
	scratch_load_b128 v[14:17], off, off offset:736
	s_wait_loadcnt_dscnt 0xa01
	v_mul_f64_e32 v[177:178], v[2:3], v[20:21]
	v_mul_f64_e32 v[20:21], v[4:5], v[20:21]
	s_wait_loadcnt_dscnt 0x900
	v_mul_f64_e32 v[171:172], v[42:43], v[24:25]
	v_mul_f64_e32 v[24:25], v[44:45], v[24:25]
	v_add_f64_e32 v[167:168], v[167:168], v[175:176]
	v_add_f64_e32 v[169:170], v[169:170], v[173:174]
	v_fma_f64 v[173:174], v[4:5], v[18:19], v[177:178]
	v_fma_f64 v[175:176], v[2:3], v[18:19], -v[20:21]
	ds_load_b128 v[2:5], v1 offset:1472
	scratch_load_b128 v[18:21], off, off offset:752
	v_fma_f64 v[44:45], v[44:45], v[22:23], v[171:172]
	v_fma_f64 v[42:43], v[42:43], v[22:23], -v[24:25]
	scratch_load_b128 v[22:25], off, off offset:768
	v_add_f64_e32 v[167:168], v[167:168], v[163:164]
	v_add_f64_e32 v[169:170], v[169:170], v[165:166]
	ds_load_b128 v[163:166], v1 offset:1488
	s_wait_loadcnt_dscnt 0xa01
	v_mul_f64_e32 v[177:178], v[2:3], v[28:29]
	v_mul_f64_e32 v[28:29], v[4:5], v[28:29]
	s_wait_loadcnt_dscnt 0x900
	v_mul_f64_e32 v[171:172], v[163:164], v[32:33]
	v_mul_f64_e32 v[32:33], v[165:166], v[32:33]
	v_add_f64_e32 v[167:168], v[167:168], v[175:176]
	v_add_f64_e32 v[169:170], v[169:170], v[173:174]
	v_fma_f64 v[173:174], v[4:5], v[26:27], v[177:178]
	v_fma_f64 v[175:176], v[2:3], v[26:27], -v[28:29]
	ds_load_b128 v[2:5], v1 offset:1504
	scratch_load_b128 v[26:29], off, off offset:784
	v_fma_f64 v[165:166], v[165:166], v[30:31], v[171:172]
	v_fma_f64 v[163:164], v[163:164], v[30:31], -v[32:33]
	scratch_load_b128 v[30:33], off, off offset:800
	v_add_f64_e32 v[167:168], v[167:168], v[42:43]
	v_add_f64_e32 v[169:170], v[169:170], v[44:45]
	ds_load_b128 v[42:45], v1 offset:1520
	s_wait_loadcnt_dscnt 0xa01
	v_mul_f64_e32 v[177:178], v[2:3], v[36:37]
	v_mul_f64_e32 v[36:37], v[4:5], v[36:37]
	s_wait_loadcnt_dscnt 0x800
	v_mul_f64_e32 v[171:172], v[42:43], v[161:162]
	v_add_f64_e32 v[167:168], v[167:168], v[175:176]
	v_add_f64_e32 v[169:170], v[169:170], v[173:174]
	v_mul_f64_e32 v[173:174], v[44:45], v[161:162]
	v_fma_f64 v[175:176], v[4:5], v[34:35], v[177:178]
	v_fma_f64 v[177:178], v[2:3], v[34:35], -v[36:37]
	ds_load_b128 v[2:5], v1 offset:1536
	scratch_load_b128 v[34:37], off, off offset:816
	v_fma_f64 v[44:45], v[44:45], v[159:160], v[171:172]
	v_add_f64_e32 v[167:168], v[167:168], v[163:164]
	v_add_f64_e32 v[165:166], v[169:170], v[165:166]
	ds_load_b128 v[161:164], v1 offset:1552
	v_fma_f64 v[159:160], v[42:43], v[159:160], -v[173:174]
	s_wait_loadcnt_dscnt 0x801
	v_mul_f64_e32 v[169:170], v[2:3], v[40:41]
	v_mul_f64_e32 v[179:180], v[4:5], v[40:41]
	scratch_load_b128 v[40:43], off, off offset:832
	s_wait_loadcnt_dscnt 0x800
	v_mul_f64_e32 v[173:174], v[161:162], v[8:9]
	v_mul_f64_e32 v[8:9], v[163:164], v[8:9]
	v_add_f64_e32 v[167:168], v[167:168], v[177:178]
	v_add_f64_e32 v[165:166], v[165:166], v[175:176]
	v_fma_f64 v[175:176], v[4:5], v[38:39], v[169:170]
	v_fma_f64 v[38:39], v[2:3], v[38:39], -v[179:180]
	ds_load_b128 v[2:5], v1 offset:1568
	ds_load_b128 v[169:172], v1 offset:1584
	v_fma_f64 v[163:164], v[163:164], v[6:7], v[173:174]
	v_fma_f64 v[161:162], v[161:162], v[6:7], -v[8:9]
	scratch_load_b128 v[6:9], off, off offset:864
	v_add_f64_e32 v[159:160], v[167:168], v[159:160]
	v_add_f64_e32 v[44:45], v[165:166], v[44:45]
	scratch_load_b128 v[165:168], off, off offset:848
	s_wait_loadcnt_dscnt 0x901
	v_mul_f64_e32 v[177:178], v[2:3], v[12:13]
	v_mul_f64_e32 v[12:13], v[4:5], v[12:13]
	v_add_f64_e32 v[38:39], v[159:160], v[38:39]
	v_add_f64_e32 v[44:45], v[44:45], v[175:176]
	s_wait_loadcnt_dscnt 0x800
	v_mul_f64_e32 v[159:160], v[169:170], v[16:17]
	v_mul_f64_e32 v[16:17], v[171:172], v[16:17]
	v_fma_f64 v[173:174], v[4:5], v[10:11], v[177:178]
	v_fma_f64 v[175:176], v[2:3], v[10:11], -v[12:13]
	ds_load_b128 v[2:5], v1 offset:1600
	ds_load_b128 v[10:13], v1 offset:1616
	v_add_f64_e32 v[38:39], v[38:39], v[161:162]
	v_add_f64_e32 v[44:45], v[44:45], v[163:164]
	s_wait_loadcnt_dscnt 0x701
	v_mul_f64_e32 v[161:162], v[2:3], v[20:21]
	v_mul_f64_e32 v[20:21], v[4:5], v[20:21]
	v_fma_f64 v[159:160], v[171:172], v[14:15], v[159:160]
	v_fma_f64 v[14:15], v[169:170], v[14:15], -v[16:17]
	v_add_f64_e32 v[16:17], v[38:39], v[175:176]
	v_add_f64_e32 v[38:39], v[44:45], v[173:174]
	s_wait_loadcnt_dscnt 0x600
	v_mul_f64_e32 v[44:45], v[10:11], v[24:25]
	v_mul_f64_e32 v[24:25], v[12:13], v[24:25]
	v_fma_f64 v[161:162], v[4:5], v[18:19], v[161:162]
	v_fma_f64 v[18:19], v[2:3], v[18:19], -v[20:21]
	v_add_f64_e32 v[20:21], v[16:17], v[14:15]
	v_add_f64_e32 v[38:39], v[38:39], v[159:160]
	ds_load_b128 v[2:5], v1 offset:1632
	ds_load_b128 v[14:17], v1 offset:1648
	v_fma_f64 v[12:13], v[12:13], v[22:23], v[44:45]
	v_fma_f64 v[10:11], v[10:11], v[22:23], -v[24:25]
	s_wait_loadcnt_dscnt 0x501
	v_mul_f64_e32 v[159:160], v[2:3], v[28:29]
	v_mul_f64_e32 v[28:29], v[4:5], v[28:29]
	s_wait_loadcnt_dscnt 0x400
	v_mul_f64_e32 v[22:23], v[14:15], v[32:33]
	v_mul_f64_e32 v[24:25], v[16:17], v[32:33]
	v_add_f64_e32 v[18:19], v[20:21], v[18:19]
	v_add_f64_e32 v[20:21], v[38:39], v[161:162]
	v_fma_f64 v[32:33], v[4:5], v[26:27], v[159:160]
	v_fma_f64 v[26:27], v[2:3], v[26:27], -v[28:29]
	v_fma_f64 v[16:17], v[16:17], v[30:31], v[22:23]
	v_fma_f64 v[14:15], v[14:15], v[30:31], -v[24:25]
	v_add_f64_e32 v[18:19], v[18:19], v[10:11]
	v_add_f64_e32 v[20:21], v[20:21], v[12:13]
	ds_load_b128 v[2:5], v1 offset:1664
	ds_load_b128 v[10:13], v1 offset:1680
	s_wait_loadcnt_dscnt 0x301
	v_mul_f64_e32 v[28:29], v[2:3], v[36:37]
	v_mul_f64_e32 v[36:37], v[4:5], v[36:37]
	s_wait_loadcnt_dscnt 0x200
	v_mul_f64_e32 v[22:23], v[10:11], v[42:43]
	v_add_f64_e32 v[18:19], v[18:19], v[26:27]
	v_add_f64_e32 v[20:21], v[20:21], v[32:33]
	v_mul_f64_e32 v[24:25], v[12:13], v[42:43]
	v_fma_f64 v[26:27], v[4:5], v[34:35], v[28:29]
	v_fma_f64 v[28:29], v[2:3], v[34:35], -v[36:37]
	v_fma_f64 v[12:13], v[12:13], v[40:41], v[22:23]
	v_add_f64_e32 v[18:19], v[18:19], v[14:15]
	v_add_f64_e32 v[20:21], v[20:21], v[16:17]
	ds_load_b128 v[2:5], v1 offset:1696
	ds_load_b128 v[14:17], v1 offset:1712
	v_fma_f64 v[10:11], v[10:11], v[40:41], -v[24:25]
	s_wait_loadcnt_dscnt 0x1
	v_mul_f64_e32 v[30:31], v[2:3], v[167:168]
	v_mul_f64_e32 v[32:33], v[4:5], v[167:168]
	s_wait_dscnt 0x0
	v_mul_f64_e32 v[22:23], v[14:15], v[8:9]
	v_mul_f64_e32 v[8:9], v[16:17], v[8:9]
	v_add_f64_e32 v[18:19], v[18:19], v[28:29]
	v_add_f64_e32 v[20:21], v[20:21], v[26:27]
	v_fma_f64 v[4:5], v[4:5], v[165:166], v[30:31]
	v_fma_f64 v[1:2], v[2:3], v[165:166], -v[32:33]
	v_fma_f64 v[16:17], v[16:17], v[6:7], v[22:23]
	v_fma_f64 v[6:7], v[14:15], v[6:7], -v[8:9]
	v_add_f64_e32 v[10:11], v[18:19], v[10:11]
	v_add_f64_e32 v[12:13], v[20:21], v[12:13]
	s_delay_alu instid0(VALU_DEP_2) | instskip(NEXT) | instid1(VALU_DEP_2)
	v_add_f64_e32 v[1:2], v[10:11], v[1:2]
	v_add_f64_e32 v[3:4], v[12:13], v[4:5]
	s_delay_alu instid0(VALU_DEP_2) | instskip(NEXT) | instid1(VALU_DEP_2)
	v_add_f64_e32 v[1:2], v[1:2], v[6:7]
	v_add_f64_e32 v[3:4], v[3:4], v[16:17]
	s_delay_alu instid0(VALU_DEP_2) | instskip(NEXT) | instid1(VALU_DEP_2)
	v_add_f64_e64 v[1:2], v[155:156], -v[1:2]
	v_add_f64_e64 v[3:4], v[157:158], -v[3:4]
	scratch_store_b128 off, v[1:4], off offset:512
	v_cmpx_lt_u32_e32 30, v0
	s_cbranch_execz .LBB53_277
; %bb.276:
	scratch_load_b128 v[1:4], off, s26
	v_mov_b32_e32 v5, 0
	s_delay_alu instid0(VALU_DEP_1)
	v_dual_mov_b32 v6, v5 :: v_dual_mov_b32 v7, v5
	v_mov_b32_e32 v8, v5
	scratch_store_b128 off, v[5:8], off offset:496
	s_wait_loadcnt 0x0
	ds_store_b128 v154, v[1:4]
.LBB53_277:
	s_wait_alu 0xfffe
	s_or_b32 exec_lo, exec_lo, s0
	s_wait_storecnt_dscnt 0x0
	s_barrier_signal -1
	s_barrier_wait -1
	global_inv scope:SCOPE_SE
	s_clause 0x7
	scratch_load_b128 v[2:5], off, off offset:512
	scratch_load_b128 v[6:9], off, off offset:528
	scratch_load_b128 v[10:13], off, off offset:544
	scratch_load_b128 v[14:17], off, off offset:560
	scratch_load_b128 v[18:21], off, off offset:576
	scratch_load_b128 v[22:25], off, off offset:592
	scratch_load_b128 v[26:29], off, off offset:608
	scratch_load_b128 v[30:33], off, off offset:624
	v_mov_b32_e32 v1, 0
	s_mov_b32 s0, exec_lo
	ds_load_b128 v[34:37], v1 offset:1360
	s_clause 0x1
	scratch_load_b128 v[38:41], off, off offset:640
	scratch_load_b128 v[42:45], off, off offset:496
	ds_load_b128 v[155:158], v1 offset:1376
	scratch_load_b128 v[159:162], off, off offset:656
	s_wait_loadcnt_dscnt 0xa01
	v_mul_f64_e32 v[163:164], v[36:37], v[4:5]
	v_mul_f64_e32 v[4:5], v[34:35], v[4:5]
	s_delay_alu instid0(VALU_DEP_2) | instskip(NEXT) | instid1(VALU_DEP_2)
	v_fma_f64 v[169:170], v[34:35], v[2:3], -v[163:164]
	v_fma_f64 v[171:172], v[36:37], v[2:3], v[4:5]
	ds_load_b128 v[2:5], v1 offset:1392
	s_wait_loadcnt_dscnt 0x901
	v_mul_f64_e32 v[167:168], v[155:156], v[8:9]
	v_mul_f64_e32 v[8:9], v[157:158], v[8:9]
	scratch_load_b128 v[34:37], off, off offset:672
	ds_load_b128 v[163:166], v1 offset:1408
	s_wait_loadcnt_dscnt 0x901
	v_mul_f64_e32 v[173:174], v[2:3], v[12:13]
	v_mul_f64_e32 v[12:13], v[4:5], v[12:13]
	v_fma_f64 v[157:158], v[157:158], v[6:7], v[167:168]
	v_fma_f64 v[155:156], v[155:156], v[6:7], -v[8:9]
	v_add_f64_e32 v[167:168], 0, v[169:170]
	v_add_f64_e32 v[169:170], 0, v[171:172]
	scratch_load_b128 v[6:9], off, off offset:688
	v_fma_f64 v[173:174], v[4:5], v[10:11], v[173:174]
	v_fma_f64 v[175:176], v[2:3], v[10:11], -v[12:13]
	ds_load_b128 v[2:5], v1 offset:1424
	s_wait_loadcnt_dscnt 0x901
	v_mul_f64_e32 v[171:172], v[163:164], v[16:17]
	v_mul_f64_e32 v[16:17], v[165:166], v[16:17]
	scratch_load_b128 v[10:13], off, off offset:704
	v_add_f64_e32 v[167:168], v[167:168], v[155:156]
	v_add_f64_e32 v[169:170], v[169:170], v[157:158]
	s_wait_loadcnt_dscnt 0x900
	v_mul_f64_e32 v[177:178], v[2:3], v[20:21]
	v_mul_f64_e32 v[20:21], v[4:5], v[20:21]
	ds_load_b128 v[155:158], v1 offset:1440
	v_fma_f64 v[165:166], v[165:166], v[14:15], v[171:172]
	v_fma_f64 v[163:164], v[163:164], v[14:15], -v[16:17]
	scratch_load_b128 v[14:17], off, off offset:720
	v_add_f64_e32 v[167:168], v[167:168], v[175:176]
	v_add_f64_e32 v[169:170], v[169:170], v[173:174]
	v_fma_f64 v[173:174], v[4:5], v[18:19], v[177:178]
	v_fma_f64 v[175:176], v[2:3], v[18:19], -v[20:21]
	ds_load_b128 v[2:5], v1 offset:1456
	s_wait_loadcnt_dscnt 0x901
	v_mul_f64_e32 v[171:172], v[155:156], v[24:25]
	v_mul_f64_e32 v[24:25], v[157:158], v[24:25]
	scratch_load_b128 v[18:21], off, off offset:736
	s_wait_loadcnt_dscnt 0x900
	v_mul_f64_e32 v[177:178], v[2:3], v[28:29]
	v_mul_f64_e32 v[28:29], v[4:5], v[28:29]
	v_add_f64_e32 v[167:168], v[167:168], v[163:164]
	v_add_f64_e32 v[169:170], v[169:170], v[165:166]
	ds_load_b128 v[163:166], v1 offset:1472
	v_fma_f64 v[157:158], v[157:158], v[22:23], v[171:172]
	v_fma_f64 v[155:156], v[155:156], v[22:23], -v[24:25]
	scratch_load_b128 v[22:25], off, off offset:752
	v_add_f64_e32 v[167:168], v[167:168], v[175:176]
	v_add_f64_e32 v[169:170], v[169:170], v[173:174]
	v_fma_f64 v[173:174], v[4:5], v[26:27], v[177:178]
	v_fma_f64 v[175:176], v[2:3], v[26:27], -v[28:29]
	ds_load_b128 v[2:5], v1 offset:1488
	s_wait_loadcnt_dscnt 0x901
	v_mul_f64_e32 v[171:172], v[163:164], v[32:33]
	v_mul_f64_e32 v[32:33], v[165:166], v[32:33]
	scratch_load_b128 v[26:29], off, off offset:768
	s_wait_loadcnt_dscnt 0x900
	v_mul_f64_e32 v[177:178], v[2:3], v[40:41]
	v_mul_f64_e32 v[40:41], v[4:5], v[40:41]
	v_add_f64_e32 v[167:168], v[167:168], v[155:156]
	v_add_f64_e32 v[169:170], v[169:170], v[157:158]
	ds_load_b128 v[155:158], v1 offset:1504
	v_fma_f64 v[165:166], v[165:166], v[30:31], v[171:172]
	v_fma_f64 v[163:164], v[163:164], v[30:31], -v[32:33]
	scratch_load_b128 v[30:33], off, off offset:784
	v_add_f64_e32 v[167:168], v[167:168], v[175:176]
	v_add_f64_e32 v[169:170], v[169:170], v[173:174]
	v_fma_f64 v[175:176], v[4:5], v[38:39], v[177:178]
	v_fma_f64 v[177:178], v[2:3], v[38:39], -v[40:41]
	ds_load_b128 v[2:5], v1 offset:1520
	s_wait_loadcnt_dscnt 0x801
	v_mul_f64_e32 v[171:172], v[155:156], v[161:162]
	v_mul_f64_e32 v[173:174], v[157:158], v[161:162]
	scratch_load_b128 v[38:41], off, off offset:800
	v_add_f64_e32 v[167:168], v[167:168], v[163:164]
	v_add_f64_e32 v[165:166], v[169:170], v[165:166]
	ds_load_b128 v[161:164], v1 offset:1536
	v_fma_f64 v[171:172], v[157:158], v[159:160], v[171:172]
	v_fma_f64 v[159:160], v[155:156], v[159:160], -v[173:174]
	scratch_load_b128 v[155:158], off, off offset:816
	s_wait_loadcnt_dscnt 0x901
	v_mul_f64_e32 v[169:170], v[2:3], v[36:37]
	v_mul_f64_e32 v[36:37], v[4:5], v[36:37]
	v_add_f64_e32 v[167:168], v[167:168], v[177:178]
	v_add_f64_e32 v[165:166], v[165:166], v[175:176]
	s_delay_alu instid0(VALU_DEP_4) | instskip(NEXT) | instid1(VALU_DEP_4)
	v_fma_f64 v[169:170], v[4:5], v[34:35], v[169:170]
	v_fma_f64 v[175:176], v[2:3], v[34:35], -v[36:37]
	ds_load_b128 v[2:5], v1 offset:1552
	s_wait_loadcnt_dscnt 0x801
	v_mul_f64_e32 v[173:174], v[161:162], v[8:9]
	v_mul_f64_e32 v[8:9], v[163:164], v[8:9]
	scratch_load_b128 v[34:37], off, off offset:832
	s_wait_loadcnt_dscnt 0x800
	v_mul_f64_e32 v[177:178], v[2:3], v[12:13]
	v_add_f64_e32 v[159:160], v[167:168], v[159:160]
	v_add_f64_e32 v[171:172], v[165:166], v[171:172]
	v_mul_f64_e32 v[12:13], v[4:5], v[12:13]
	ds_load_b128 v[165:168], v1 offset:1568
	v_fma_f64 v[163:164], v[163:164], v[6:7], v[173:174]
	v_fma_f64 v[161:162], v[161:162], v[6:7], -v[8:9]
	scratch_load_b128 v[6:9], off, off offset:848
	v_fma_f64 v[173:174], v[4:5], v[10:11], v[177:178]
	v_add_f64_e32 v[159:160], v[159:160], v[175:176]
	v_add_f64_e32 v[169:170], v[171:172], v[169:170]
	v_fma_f64 v[175:176], v[2:3], v[10:11], -v[12:13]
	ds_load_b128 v[2:5], v1 offset:1584
	s_wait_loadcnt_dscnt 0x801
	v_mul_f64_e32 v[171:172], v[165:166], v[16:17]
	v_mul_f64_e32 v[16:17], v[167:168], v[16:17]
	scratch_load_b128 v[10:13], off, off offset:864
	v_add_f64_e32 v[177:178], v[159:160], v[161:162]
	v_add_f64_e32 v[163:164], v[169:170], v[163:164]
	s_wait_loadcnt_dscnt 0x800
	v_mul_f64_e32 v[169:170], v[2:3], v[20:21]
	v_mul_f64_e32 v[20:21], v[4:5], v[20:21]
	v_fma_f64 v[167:168], v[167:168], v[14:15], v[171:172]
	v_fma_f64 v[14:15], v[165:166], v[14:15], -v[16:17]
	ds_load_b128 v[159:162], v1 offset:1600
	s_wait_loadcnt_dscnt 0x700
	v_mul_f64_e32 v[165:166], v[159:160], v[24:25]
	v_mul_f64_e32 v[24:25], v[161:162], v[24:25]
	v_add_f64_e32 v[16:17], v[177:178], v[175:176]
	v_add_f64_e32 v[163:164], v[163:164], v[173:174]
	v_fma_f64 v[169:170], v[4:5], v[18:19], v[169:170]
	v_fma_f64 v[18:19], v[2:3], v[18:19], -v[20:21]
	v_fma_f64 v[161:162], v[161:162], v[22:23], v[165:166]
	v_fma_f64 v[22:23], v[159:160], v[22:23], -v[24:25]
	v_add_f64_e32 v[20:21], v[16:17], v[14:15]
	v_add_f64_e32 v[163:164], v[163:164], v[167:168]
	ds_load_b128 v[2:5], v1 offset:1616
	ds_load_b128 v[14:17], v1 offset:1632
	s_wait_loadcnt_dscnt 0x601
	v_mul_f64_e32 v[167:168], v[2:3], v[28:29]
	v_mul_f64_e32 v[28:29], v[4:5], v[28:29]
	s_wait_loadcnt_dscnt 0x500
	v_mul_f64_e32 v[24:25], v[14:15], v[32:33]
	v_mul_f64_e32 v[32:33], v[16:17], v[32:33]
	v_add_f64_e32 v[18:19], v[20:21], v[18:19]
	v_add_f64_e32 v[20:21], v[163:164], v[169:170]
	v_fma_f64 v[159:160], v[4:5], v[26:27], v[167:168]
	v_fma_f64 v[26:27], v[2:3], v[26:27], -v[28:29]
	v_fma_f64 v[16:17], v[16:17], v[30:31], v[24:25]
	v_fma_f64 v[14:15], v[14:15], v[30:31], -v[32:33]
	v_add_f64_e32 v[22:23], v[18:19], v[22:23]
	v_add_f64_e32 v[28:29], v[20:21], v[161:162]
	ds_load_b128 v[2:5], v1 offset:1648
	ds_load_b128 v[18:21], v1 offset:1664
	s_wait_loadcnt_dscnt 0x401
	v_mul_f64_e32 v[161:162], v[2:3], v[40:41]
	v_mul_f64_e32 v[40:41], v[4:5], v[40:41]
	v_add_f64_e32 v[22:23], v[22:23], v[26:27]
	v_add_f64_e32 v[24:25], v[28:29], v[159:160]
	s_wait_loadcnt_dscnt 0x300
	v_mul_f64_e32 v[26:27], v[18:19], v[157:158]
	v_mul_f64_e32 v[28:29], v[20:21], v[157:158]
	v_fma_f64 v[30:31], v[4:5], v[38:39], v[161:162]
	v_fma_f64 v[32:33], v[2:3], v[38:39], -v[40:41]
	v_add_f64_e32 v[22:23], v[22:23], v[14:15]
	v_add_f64_e32 v[24:25], v[24:25], v[16:17]
	ds_load_b128 v[2:5], v1 offset:1680
	ds_load_b128 v[14:17], v1 offset:1696
	v_fma_f64 v[20:21], v[20:21], v[155:156], v[26:27]
	v_fma_f64 v[18:19], v[18:19], v[155:156], -v[28:29]
	s_wait_loadcnt_dscnt 0x201
	v_mul_f64_e32 v[38:39], v[2:3], v[36:37]
	v_mul_f64_e32 v[36:37], v[4:5], v[36:37]
	s_wait_loadcnt_dscnt 0x100
	v_mul_f64_e32 v[26:27], v[14:15], v[8:9]
	v_mul_f64_e32 v[8:9], v[16:17], v[8:9]
	v_add_f64_e32 v[22:23], v[22:23], v[32:33]
	v_add_f64_e32 v[24:25], v[24:25], v[30:31]
	v_fma_f64 v[28:29], v[4:5], v[34:35], v[38:39]
	v_fma_f64 v[30:31], v[2:3], v[34:35], -v[36:37]
	ds_load_b128 v[2:5], v1 offset:1712
	v_fma_f64 v[16:17], v[16:17], v[6:7], v[26:27]
	v_fma_f64 v[6:7], v[14:15], v[6:7], -v[8:9]
	v_add_f64_e32 v[18:19], v[22:23], v[18:19]
	v_add_f64_e32 v[20:21], v[24:25], v[20:21]
	s_wait_loadcnt_dscnt 0x0
	v_mul_f64_e32 v[22:23], v[2:3], v[12:13]
	v_mul_f64_e32 v[12:13], v[4:5], v[12:13]
	s_delay_alu instid0(VALU_DEP_4) | instskip(NEXT) | instid1(VALU_DEP_4)
	v_add_f64_e32 v[8:9], v[18:19], v[30:31]
	v_add_f64_e32 v[14:15], v[20:21], v[28:29]
	s_delay_alu instid0(VALU_DEP_4) | instskip(NEXT) | instid1(VALU_DEP_4)
	v_fma_f64 v[4:5], v[4:5], v[10:11], v[22:23]
	v_fma_f64 v[2:3], v[2:3], v[10:11], -v[12:13]
	s_delay_alu instid0(VALU_DEP_4) | instskip(NEXT) | instid1(VALU_DEP_4)
	v_add_f64_e32 v[6:7], v[8:9], v[6:7]
	v_add_f64_e32 v[8:9], v[14:15], v[16:17]
	s_delay_alu instid0(VALU_DEP_2) | instskip(NEXT) | instid1(VALU_DEP_2)
	v_add_f64_e32 v[2:3], v[6:7], v[2:3]
	v_add_f64_e32 v[4:5], v[8:9], v[4:5]
	s_delay_alu instid0(VALU_DEP_2) | instskip(NEXT) | instid1(VALU_DEP_2)
	v_add_f64_e64 v[2:3], v[42:43], -v[2:3]
	v_add_f64_e64 v[4:5], v[44:45], -v[4:5]
	scratch_store_b128 off, v[2:5], off offset:496
	v_cmpx_lt_u32_e32 29, v0
	s_cbranch_execz .LBB53_279
; %bb.278:
	scratch_load_b128 v[5:8], off, s25
	v_dual_mov_b32 v2, v1 :: v_dual_mov_b32 v3, v1
	v_mov_b32_e32 v4, v1
	scratch_store_b128 off, v[1:4], off offset:480
	s_wait_loadcnt 0x0
	ds_store_b128 v154, v[5:8]
.LBB53_279:
	s_wait_alu 0xfffe
	s_or_b32 exec_lo, exec_lo, s0
	s_wait_storecnt_dscnt 0x0
	s_barrier_signal -1
	s_barrier_wait -1
	global_inv scope:SCOPE_SE
	s_clause 0x8
	scratch_load_b128 v[2:5], off, off offset:496
	scratch_load_b128 v[6:9], off, off offset:512
	;; [unrolled: 1-line block ×9, first 2 shown]
	ds_load_b128 v[38:41], v1 offset:1344
	ds_load_b128 v[42:45], v1 offset:1360
	s_clause 0x1
	scratch_load_b128 v[155:158], off, off offset:480
	scratch_load_b128 v[159:162], off, off offset:640
	s_mov_b32 s0, exec_lo
	s_wait_loadcnt_dscnt 0xa01
	v_mul_f64_e32 v[163:164], v[40:41], v[4:5]
	v_mul_f64_e32 v[4:5], v[38:39], v[4:5]
	s_wait_loadcnt_dscnt 0x900
	v_mul_f64_e32 v[167:168], v[42:43], v[8:9]
	v_mul_f64_e32 v[8:9], v[44:45], v[8:9]
	s_delay_alu instid0(VALU_DEP_4) | instskip(NEXT) | instid1(VALU_DEP_4)
	v_fma_f64 v[169:170], v[38:39], v[2:3], -v[163:164]
	v_fma_f64 v[171:172], v[40:41], v[2:3], v[4:5]
	ds_load_b128 v[2:5], v1 offset:1376
	ds_load_b128 v[163:166], v1 offset:1392
	scratch_load_b128 v[38:41], off, off offset:656
	v_fma_f64 v[44:45], v[44:45], v[6:7], v[167:168]
	v_fma_f64 v[42:43], v[42:43], v[6:7], -v[8:9]
	scratch_load_b128 v[6:9], off, off offset:672
	s_wait_loadcnt_dscnt 0xa01
	v_mul_f64_e32 v[173:174], v[2:3], v[12:13]
	v_mul_f64_e32 v[12:13], v[4:5], v[12:13]
	v_add_f64_e32 v[167:168], 0, v[169:170]
	v_add_f64_e32 v[169:170], 0, v[171:172]
	s_wait_loadcnt_dscnt 0x900
	v_mul_f64_e32 v[171:172], v[163:164], v[16:17]
	v_mul_f64_e32 v[16:17], v[165:166], v[16:17]
	v_fma_f64 v[173:174], v[4:5], v[10:11], v[173:174]
	v_fma_f64 v[175:176], v[2:3], v[10:11], -v[12:13]
	ds_load_b128 v[2:5], v1 offset:1408
	scratch_load_b128 v[10:13], off, off offset:688
	v_add_f64_e32 v[167:168], v[167:168], v[42:43]
	v_add_f64_e32 v[169:170], v[169:170], v[44:45]
	ds_load_b128 v[42:45], v1 offset:1424
	v_fma_f64 v[165:166], v[165:166], v[14:15], v[171:172]
	v_fma_f64 v[163:164], v[163:164], v[14:15], -v[16:17]
	scratch_load_b128 v[14:17], off, off offset:704
	s_wait_loadcnt_dscnt 0xa01
	v_mul_f64_e32 v[177:178], v[2:3], v[20:21]
	v_mul_f64_e32 v[20:21], v[4:5], v[20:21]
	s_wait_loadcnt_dscnt 0x900
	v_mul_f64_e32 v[171:172], v[42:43], v[24:25]
	v_mul_f64_e32 v[24:25], v[44:45], v[24:25]
	v_add_f64_e32 v[167:168], v[167:168], v[175:176]
	v_add_f64_e32 v[169:170], v[169:170], v[173:174]
	v_fma_f64 v[173:174], v[4:5], v[18:19], v[177:178]
	v_fma_f64 v[175:176], v[2:3], v[18:19], -v[20:21]
	ds_load_b128 v[2:5], v1 offset:1440
	scratch_load_b128 v[18:21], off, off offset:720
	v_fma_f64 v[44:45], v[44:45], v[22:23], v[171:172]
	v_fma_f64 v[42:43], v[42:43], v[22:23], -v[24:25]
	scratch_load_b128 v[22:25], off, off offset:736
	v_add_f64_e32 v[167:168], v[167:168], v[163:164]
	v_add_f64_e32 v[169:170], v[169:170], v[165:166]
	ds_load_b128 v[163:166], v1 offset:1456
	s_wait_loadcnt_dscnt 0xa01
	v_mul_f64_e32 v[177:178], v[2:3], v[28:29]
	v_mul_f64_e32 v[28:29], v[4:5], v[28:29]
	s_wait_loadcnt_dscnt 0x900
	v_mul_f64_e32 v[171:172], v[163:164], v[32:33]
	v_mul_f64_e32 v[32:33], v[165:166], v[32:33]
	v_add_f64_e32 v[167:168], v[167:168], v[175:176]
	v_add_f64_e32 v[169:170], v[169:170], v[173:174]
	v_fma_f64 v[173:174], v[4:5], v[26:27], v[177:178]
	v_fma_f64 v[175:176], v[2:3], v[26:27], -v[28:29]
	ds_load_b128 v[2:5], v1 offset:1472
	scratch_load_b128 v[26:29], off, off offset:752
	v_fma_f64 v[165:166], v[165:166], v[30:31], v[171:172]
	v_fma_f64 v[163:164], v[163:164], v[30:31], -v[32:33]
	scratch_load_b128 v[30:33], off, off offset:768
	v_add_f64_e32 v[167:168], v[167:168], v[42:43]
	v_add_f64_e32 v[169:170], v[169:170], v[44:45]
	ds_load_b128 v[42:45], v1 offset:1488
	s_wait_loadcnt_dscnt 0xa01
	v_mul_f64_e32 v[177:178], v[2:3], v[36:37]
	v_mul_f64_e32 v[36:37], v[4:5], v[36:37]
	s_wait_loadcnt_dscnt 0x800
	v_mul_f64_e32 v[171:172], v[42:43], v[161:162]
	v_add_f64_e32 v[167:168], v[167:168], v[175:176]
	v_add_f64_e32 v[169:170], v[169:170], v[173:174]
	v_mul_f64_e32 v[173:174], v[44:45], v[161:162]
	v_fma_f64 v[175:176], v[4:5], v[34:35], v[177:178]
	v_fma_f64 v[177:178], v[2:3], v[34:35], -v[36:37]
	ds_load_b128 v[2:5], v1 offset:1504
	scratch_load_b128 v[34:37], off, off offset:784
	v_fma_f64 v[44:45], v[44:45], v[159:160], v[171:172]
	v_add_f64_e32 v[167:168], v[167:168], v[163:164]
	v_add_f64_e32 v[165:166], v[169:170], v[165:166]
	ds_load_b128 v[161:164], v1 offset:1520
	v_fma_f64 v[159:160], v[42:43], v[159:160], -v[173:174]
	s_wait_loadcnt_dscnt 0x801
	v_mul_f64_e32 v[169:170], v[2:3], v[40:41]
	v_mul_f64_e32 v[179:180], v[4:5], v[40:41]
	scratch_load_b128 v[40:43], off, off offset:800
	s_wait_loadcnt_dscnt 0x800
	v_mul_f64_e32 v[173:174], v[161:162], v[8:9]
	v_mul_f64_e32 v[8:9], v[163:164], v[8:9]
	v_add_f64_e32 v[167:168], v[167:168], v[177:178]
	v_add_f64_e32 v[165:166], v[165:166], v[175:176]
	v_fma_f64 v[175:176], v[4:5], v[38:39], v[169:170]
	v_fma_f64 v[38:39], v[2:3], v[38:39], -v[179:180]
	ds_load_b128 v[2:5], v1 offset:1536
	ds_load_b128 v[169:172], v1 offset:1552
	v_fma_f64 v[163:164], v[163:164], v[6:7], v[173:174]
	v_fma_f64 v[161:162], v[161:162], v[6:7], -v[8:9]
	scratch_load_b128 v[6:9], off, off offset:832
	v_add_f64_e32 v[159:160], v[167:168], v[159:160]
	v_add_f64_e32 v[44:45], v[165:166], v[44:45]
	scratch_load_b128 v[165:168], off, off offset:816
	s_wait_loadcnt_dscnt 0x901
	v_mul_f64_e32 v[177:178], v[2:3], v[12:13]
	v_mul_f64_e32 v[12:13], v[4:5], v[12:13]
	s_wait_loadcnt_dscnt 0x800
	v_mul_f64_e32 v[173:174], v[169:170], v[16:17]
	v_mul_f64_e32 v[16:17], v[171:172], v[16:17]
	v_add_f64_e32 v[38:39], v[159:160], v[38:39]
	v_add_f64_e32 v[44:45], v[44:45], v[175:176]
	v_fma_f64 v[175:176], v[4:5], v[10:11], v[177:178]
	v_fma_f64 v[177:178], v[2:3], v[10:11], -v[12:13]
	ds_load_b128 v[2:5], v1 offset:1568
	scratch_load_b128 v[10:13], off, off offset:848
	v_fma_f64 v[171:172], v[171:172], v[14:15], v[173:174]
	v_fma_f64 v[169:170], v[169:170], v[14:15], -v[16:17]
	scratch_load_b128 v[14:17], off, off offset:864
	v_add_f64_e32 v[38:39], v[38:39], v[161:162]
	v_add_f64_e32 v[44:45], v[44:45], v[163:164]
	ds_load_b128 v[159:162], v1 offset:1584
	s_wait_loadcnt_dscnt 0x901
	v_mul_f64_e32 v[163:164], v[2:3], v[20:21]
	v_mul_f64_e32 v[20:21], v[4:5], v[20:21]
	s_wait_loadcnt_dscnt 0x800
	v_mul_f64_e32 v[173:174], v[159:160], v[24:25]
	v_mul_f64_e32 v[24:25], v[161:162], v[24:25]
	v_add_f64_e32 v[38:39], v[38:39], v[177:178]
	v_add_f64_e32 v[44:45], v[44:45], v[175:176]
	v_fma_f64 v[163:164], v[4:5], v[18:19], v[163:164]
	v_fma_f64 v[175:176], v[2:3], v[18:19], -v[20:21]
	ds_load_b128 v[2:5], v1 offset:1600
	ds_load_b128 v[18:21], v1 offset:1616
	v_fma_f64 v[161:162], v[161:162], v[22:23], v[173:174]
	v_fma_f64 v[22:23], v[159:160], v[22:23], -v[24:25]
	v_add_f64_e32 v[38:39], v[38:39], v[169:170]
	v_add_f64_e32 v[44:45], v[44:45], v[171:172]
	s_wait_loadcnt_dscnt 0x701
	v_mul_f64_e32 v[169:170], v[2:3], v[28:29]
	v_mul_f64_e32 v[28:29], v[4:5], v[28:29]
	s_delay_alu instid0(VALU_DEP_4) | instskip(NEXT) | instid1(VALU_DEP_4)
	v_add_f64_e32 v[24:25], v[38:39], v[175:176]
	v_add_f64_e32 v[38:39], v[44:45], v[163:164]
	s_wait_loadcnt_dscnt 0x600
	v_mul_f64_e32 v[44:45], v[18:19], v[32:33]
	v_mul_f64_e32 v[32:33], v[20:21], v[32:33]
	v_fma_f64 v[159:160], v[4:5], v[26:27], v[169:170]
	v_fma_f64 v[26:27], v[2:3], v[26:27], -v[28:29]
	v_add_f64_e32 v[28:29], v[24:25], v[22:23]
	v_add_f64_e32 v[38:39], v[38:39], v[161:162]
	ds_load_b128 v[2:5], v1 offset:1632
	ds_load_b128 v[22:25], v1 offset:1648
	v_fma_f64 v[20:21], v[20:21], v[30:31], v[44:45]
	v_fma_f64 v[18:19], v[18:19], v[30:31], -v[32:33]
	s_wait_loadcnt_dscnt 0x501
	v_mul_f64_e32 v[161:162], v[2:3], v[36:37]
	v_mul_f64_e32 v[36:37], v[4:5], v[36:37]
	s_wait_loadcnt_dscnt 0x400
	v_mul_f64_e32 v[30:31], v[22:23], v[42:43]
	v_add_f64_e32 v[26:27], v[28:29], v[26:27]
	v_add_f64_e32 v[28:29], v[38:39], v[159:160]
	v_mul_f64_e32 v[32:33], v[24:25], v[42:43]
	v_fma_f64 v[38:39], v[4:5], v[34:35], v[161:162]
	v_fma_f64 v[34:35], v[2:3], v[34:35], -v[36:37]
	v_fma_f64 v[24:25], v[24:25], v[40:41], v[30:31]
	v_add_f64_e32 v[26:27], v[26:27], v[18:19]
	v_add_f64_e32 v[28:29], v[28:29], v[20:21]
	ds_load_b128 v[2:5], v1 offset:1664
	ds_load_b128 v[18:21], v1 offset:1680
	v_fma_f64 v[22:23], v[22:23], v[40:41], -v[32:33]
	s_wait_loadcnt_dscnt 0x201
	v_mul_f64_e32 v[36:37], v[2:3], v[167:168]
	v_mul_f64_e32 v[42:43], v[4:5], v[167:168]
	s_wait_dscnt 0x0
	v_mul_f64_e32 v[30:31], v[18:19], v[8:9]
	v_mul_f64_e32 v[8:9], v[20:21], v[8:9]
	v_add_f64_e32 v[26:27], v[26:27], v[34:35]
	v_add_f64_e32 v[28:29], v[28:29], v[38:39]
	v_fma_f64 v[32:33], v[4:5], v[165:166], v[36:37]
	v_fma_f64 v[34:35], v[2:3], v[165:166], -v[42:43]
	v_fma_f64 v[20:21], v[20:21], v[6:7], v[30:31]
	v_fma_f64 v[6:7], v[18:19], v[6:7], -v[8:9]
	v_add_f64_e32 v[26:27], v[26:27], v[22:23]
	v_add_f64_e32 v[28:29], v[28:29], v[24:25]
	ds_load_b128 v[2:5], v1 offset:1696
	ds_load_b128 v[22:25], v1 offset:1712
	s_wait_loadcnt_dscnt 0x101
	v_mul_f64_e32 v[36:37], v[2:3], v[12:13]
	v_mul_f64_e32 v[12:13], v[4:5], v[12:13]
	v_add_f64_e32 v[8:9], v[26:27], v[34:35]
	v_add_f64_e32 v[18:19], v[28:29], v[32:33]
	s_wait_loadcnt_dscnt 0x0
	v_mul_f64_e32 v[26:27], v[22:23], v[16:17]
	v_mul_f64_e32 v[16:17], v[24:25], v[16:17]
	v_fma_f64 v[4:5], v[4:5], v[10:11], v[36:37]
	v_fma_f64 v[1:2], v[2:3], v[10:11], -v[12:13]
	v_add_f64_e32 v[6:7], v[8:9], v[6:7]
	v_add_f64_e32 v[8:9], v[18:19], v[20:21]
	v_fma_f64 v[10:11], v[24:25], v[14:15], v[26:27]
	v_fma_f64 v[12:13], v[22:23], v[14:15], -v[16:17]
	s_delay_alu instid0(VALU_DEP_4) | instskip(NEXT) | instid1(VALU_DEP_4)
	v_add_f64_e32 v[1:2], v[6:7], v[1:2]
	v_add_f64_e32 v[3:4], v[8:9], v[4:5]
	s_delay_alu instid0(VALU_DEP_2) | instskip(NEXT) | instid1(VALU_DEP_2)
	v_add_f64_e32 v[1:2], v[1:2], v[12:13]
	v_add_f64_e32 v[3:4], v[3:4], v[10:11]
	s_delay_alu instid0(VALU_DEP_2) | instskip(NEXT) | instid1(VALU_DEP_2)
	v_add_f64_e64 v[1:2], v[155:156], -v[1:2]
	v_add_f64_e64 v[3:4], v[157:158], -v[3:4]
	scratch_store_b128 off, v[1:4], off offset:480
	v_cmpx_lt_u32_e32 28, v0
	s_cbranch_execz .LBB53_281
; %bb.280:
	scratch_load_b128 v[1:4], off, s28
	v_mov_b32_e32 v5, 0
	s_delay_alu instid0(VALU_DEP_1)
	v_dual_mov_b32 v6, v5 :: v_dual_mov_b32 v7, v5
	v_mov_b32_e32 v8, v5
	scratch_store_b128 off, v[5:8], off offset:464
	s_wait_loadcnt 0x0
	ds_store_b128 v154, v[1:4]
.LBB53_281:
	s_wait_alu 0xfffe
	s_or_b32 exec_lo, exec_lo, s0
	s_wait_storecnt_dscnt 0x0
	s_barrier_signal -1
	s_barrier_wait -1
	global_inv scope:SCOPE_SE
	s_clause 0x7
	scratch_load_b128 v[2:5], off, off offset:480
	scratch_load_b128 v[6:9], off, off offset:496
	;; [unrolled: 1-line block ×8, first 2 shown]
	v_mov_b32_e32 v1, 0
	s_mov_b32 s0, exec_lo
	ds_load_b128 v[34:37], v1 offset:1328
	s_clause 0x1
	scratch_load_b128 v[38:41], off, off offset:608
	scratch_load_b128 v[42:45], off, off offset:464
	ds_load_b128 v[155:158], v1 offset:1344
	scratch_load_b128 v[159:162], off, off offset:624
	s_wait_loadcnt_dscnt 0xa01
	v_mul_f64_e32 v[163:164], v[36:37], v[4:5]
	v_mul_f64_e32 v[4:5], v[34:35], v[4:5]
	s_delay_alu instid0(VALU_DEP_2) | instskip(NEXT) | instid1(VALU_DEP_2)
	v_fma_f64 v[169:170], v[34:35], v[2:3], -v[163:164]
	v_fma_f64 v[171:172], v[36:37], v[2:3], v[4:5]
	ds_load_b128 v[2:5], v1 offset:1360
	s_wait_loadcnt_dscnt 0x901
	v_mul_f64_e32 v[167:168], v[155:156], v[8:9]
	v_mul_f64_e32 v[8:9], v[157:158], v[8:9]
	scratch_load_b128 v[34:37], off, off offset:640
	ds_load_b128 v[163:166], v1 offset:1376
	s_wait_loadcnt_dscnt 0x901
	v_mul_f64_e32 v[173:174], v[2:3], v[12:13]
	v_mul_f64_e32 v[12:13], v[4:5], v[12:13]
	v_fma_f64 v[157:158], v[157:158], v[6:7], v[167:168]
	v_fma_f64 v[155:156], v[155:156], v[6:7], -v[8:9]
	v_add_f64_e32 v[167:168], 0, v[169:170]
	v_add_f64_e32 v[169:170], 0, v[171:172]
	scratch_load_b128 v[6:9], off, off offset:656
	v_fma_f64 v[173:174], v[4:5], v[10:11], v[173:174]
	v_fma_f64 v[175:176], v[2:3], v[10:11], -v[12:13]
	ds_load_b128 v[2:5], v1 offset:1392
	s_wait_loadcnt_dscnt 0x901
	v_mul_f64_e32 v[171:172], v[163:164], v[16:17]
	v_mul_f64_e32 v[16:17], v[165:166], v[16:17]
	scratch_load_b128 v[10:13], off, off offset:672
	v_add_f64_e32 v[167:168], v[167:168], v[155:156]
	v_add_f64_e32 v[169:170], v[169:170], v[157:158]
	s_wait_loadcnt_dscnt 0x900
	v_mul_f64_e32 v[177:178], v[2:3], v[20:21]
	v_mul_f64_e32 v[20:21], v[4:5], v[20:21]
	ds_load_b128 v[155:158], v1 offset:1408
	v_fma_f64 v[165:166], v[165:166], v[14:15], v[171:172]
	v_fma_f64 v[163:164], v[163:164], v[14:15], -v[16:17]
	scratch_load_b128 v[14:17], off, off offset:688
	v_add_f64_e32 v[167:168], v[167:168], v[175:176]
	v_add_f64_e32 v[169:170], v[169:170], v[173:174]
	v_fma_f64 v[173:174], v[4:5], v[18:19], v[177:178]
	v_fma_f64 v[175:176], v[2:3], v[18:19], -v[20:21]
	ds_load_b128 v[2:5], v1 offset:1424
	s_wait_loadcnt_dscnt 0x901
	v_mul_f64_e32 v[171:172], v[155:156], v[24:25]
	v_mul_f64_e32 v[24:25], v[157:158], v[24:25]
	scratch_load_b128 v[18:21], off, off offset:704
	s_wait_loadcnt_dscnt 0x900
	v_mul_f64_e32 v[177:178], v[2:3], v[28:29]
	v_mul_f64_e32 v[28:29], v[4:5], v[28:29]
	v_add_f64_e32 v[167:168], v[167:168], v[163:164]
	v_add_f64_e32 v[169:170], v[169:170], v[165:166]
	ds_load_b128 v[163:166], v1 offset:1440
	v_fma_f64 v[157:158], v[157:158], v[22:23], v[171:172]
	v_fma_f64 v[155:156], v[155:156], v[22:23], -v[24:25]
	scratch_load_b128 v[22:25], off, off offset:720
	v_add_f64_e32 v[167:168], v[167:168], v[175:176]
	v_add_f64_e32 v[169:170], v[169:170], v[173:174]
	v_fma_f64 v[173:174], v[4:5], v[26:27], v[177:178]
	v_fma_f64 v[175:176], v[2:3], v[26:27], -v[28:29]
	ds_load_b128 v[2:5], v1 offset:1456
	s_wait_loadcnt_dscnt 0x901
	v_mul_f64_e32 v[171:172], v[163:164], v[32:33]
	v_mul_f64_e32 v[32:33], v[165:166], v[32:33]
	scratch_load_b128 v[26:29], off, off offset:736
	s_wait_loadcnt_dscnt 0x900
	v_mul_f64_e32 v[177:178], v[2:3], v[40:41]
	v_mul_f64_e32 v[40:41], v[4:5], v[40:41]
	v_add_f64_e32 v[167:168], v[167:168], v[155:156]
	v_add_f64_e32 v[169:170], v[169:170], v[157:158]
	ds_load_b128 v[155:158], v1 offset:1472
	v_fma_f64 v[165:166], v[165:166], v[30:31], v[171:172]
	v_fma_f64 v[163:164], v[163:164], v[30:31], -v[32:33]
	scratch_load_b128 v[30:33], off, off offset:752
	v_add_f64_e32 v[167:168], v[167:168], v[175:176]
	v_add_f64_e32 v[169:170], v[169:170], v[173:174]
	v_fma_f64 v[175:176], v[4:5], v[38:39], v[177:178]
	v_fma_f64 v[177:178], v[2:3], v[38:39], -v[40:41]
	ds_load_b128 v[2:5], v1 offset:1488
	s_wait_loadcnt_dscnt 0x801
	v_mul_f64_e32 v[171:172], v[155:156], v[161:162]
	v_mul_f64_e32 v[173:174], v[157:158], v[161:162]
	scratch_load_b128 v[38:41], off, off offset:768
	v_add_f64_e32 v[167:168], v[167:168], v[163:164]
	v_add_f64_e32 v[165:166], v[169:170], v[165:166]
	ds_load_b128 v[161:164], v1 offset:1504
	v_fma_f64 v[171:172], v[157:158], v[159:160], v[171:172]
	v_fma_f64 v[159:160], v[155:156], v[159:160], -v[173:174]
	scratch_load_b128 v[155:158], off, off offset:784
	s_wait_loadcnt_dscnt 0x901
	v_mul_f64_e32 v[169:170], v[2:3], v[36:37]
	v_mul_f64_e32 v[36:37], v[4:5], v[36:37]
	v_add_f64_e32 v[167:168], v[167:168], v[177:178]
	v_add_f64_e32 v[165:166], v[165:166], v[175:176]
	s_delay_alu instid0(VALU_DEP_4) | instskip(NEXT) | instid1(VALU_DEP_4)
	v_fma_f64 v[169:170], v[4:5], v[34:35], v[169:170]
	v_fma_f64 v[175:176], v[2:3], v[34:35], -v[36:37]
	ds_load_b128 v[2:5], v1 offset:1520
	s_wait_loadcnt_dscnt 0x801
	v_mul_f64_e32 v[173:174], v[161:162], v[8:9]
	v_mul_f64_e32 v[8:9], v[163:164], v[8:9]
	scratch_load_b128 v[34:37], off, off offset:800
	s_wait_loadcnt_dscnt 0x800
	v_mul_f64_e32 v[177:178], v[2:3], v[12:13]
	v_add_f64_e32 v[159:160], v[167:168], v[159:160]
	v_add_f64_e32 v[171:172], v[165:166], v[171:172]
	v_mul_f64_e32 v[12:13], v[4:5], v[12:13]
	ds_load_b128 v[165:168], v1 offset:1536
	v_fma_f64 v[163:164], v[163:164], v[6:7], v[173:174]
	v_fma_f64 v[161:162], v[161:162], v[6:7], -v[8:9]
	scratch_load_b128 v[6:9], off, off offset:816
	v_fma_f64 v[173:174], v[4:5], v[10:11], v[177:178]
	v_add_f64_e32 v[159:160], v[159:160], v[175:176]
	v_add_f64_e32 v[169:170], v[171:172], v[169:170]
	v_fma_f64 v[175:176], v[2:3], v[10:11], -v[12:13]
	ds_load_b128 v[2:5], v1 offset:1552
	s_wait_loadcnt_dscnt 0x801
	v_mul_f64_e32 v[171:172], v[165:166], v[16:17]
	v_mul_f64_e32 v[16:17], v[167:168], v[16:17]
	scratch_load_b128 v[10:13], off, off offset:832
	v_add_f64_e32 v[177:178], v[159:160], v[161:162]
	v_add_f64_e32 v[163:164], v[169:170], v[163:164]
	s_wait_loadcnt_dscnt 0x800
	v_mul_f64_e32 v[169:170], v[2:3], v[20:21]
	v_mul_f64_e32 v[20:21], v[4:5], v[20:21]
	v_fma_f64 v[167:168], v[167:168], v[14:15], v[171:172]
	v_fma_f64 v[165:166], v[165:166], v[14:15], -v[16:17]
	ds_load_b128 v[159:162], v1 offset:1568
	scratch_load_b128 v[14:17], off, off offset:848
	v_add_f64_e32 v[171:172], v[177:178], v[175:176]
	v_add_f64_e32 v[163:164], v[163:164], v[173:174]
	v_fma_f64 v[169:170], v[4:5], v[18:19], v[169:170]
	v_fma_f64 v[175:176], v[2:3], v[18:19], -v[20:21]
	ds_load_b128 v[2:5], v1 offset:1584
	s_wait_loadcnt_dscnt 0x801
	v_mul_f64_e32 v[173:174], v[159:160], v[24:25]
	v_mul_f64_e32 v[24:25], v[161:162], v[24:25]
	scratch_load_b128 v[18:21], off, off offset:864
	s_wait_loadcnt_dscnt 0x800
	v_mul_f64_e32 v[177:178], v[2:3], v[28:29]
	v_mul_f64_e32 v[28:29], v[4:5], v[28:29]
	v_add_f64_e32 v[171:172], v[171:172], v[165:166]
	v_add_f64_e32 v[167:168], v[163:164], v[167:168]
	ds_load_b128 v[163:166], v1 offset:1600
	v_fma_f64 v[161:162], v[161:162], v[22:23], v[173:174]
	v_fma_f64 v[22:23], v[159:160], v[22:23], -v[24:25]
	v_add_f64_e32 v[24:25], v[171:172], v[175:176]
	v_add_f64_e32 v[159:160], v[167:168], v[169:170]
	s_wait_loadcnt_dscnt 0x700
	v_mul_f64_e32 v[167:168], v[163:164], v[32:33]
	v_mul_f64_e32 v[32:33], v[165:166], v[32:33]
	v_fma_f64 v[169:170], v[4:5], v[26:27], v[177:178]
	v_fma_f64 v[26:27], v[2:3], v[26:27], -v[28:29]
	v_add_f64_e32 v[28:29], v[24:25], v[22:23]
	v_add_f64_e32 v[159:160], v[159:160], v[161:162]
	ds_load_b128 v[2:5], v1 offset:1616
	ds_load_b128 v[22:25], v1 offset:1632
	v_fma_f64 v[165:166], v[165:166], v[30:31], v[167:168]
	v_fma_f64 v[30:31], v[163:164], v[30:31], -v[32:33]
	s_wait_loadcnt_dscnt 0x601
	v_mul_f64_e32 v[161:162], v[2:3], v[40:41]
	v_mul_f64_e32 v[40:41], v[4:5], v[40:41]
	s_wait_loadcnt_dscnt 0x500
	v_mul_f64_e32 v[32:33], v[22:23], v[157:158]
	v_mul_f64_e32 v[157:158], v[24:25], v[157:158]
	v_add_f64_e32 v[26:27], v[28:29], v[26:27]
	v_add_f64_e32 v[28:29], v[159:160], v[169:170]
	v_fma_f64 v[159:160], v[4:5], v[38:39], v[161:162]
	v_fma_f64 v[38:39], v[2:3], v[38:39], -v[40:41]
	v_fma_f64 v[24:25], v[24:25], v[155:156], v[32:33]
	v_fma_f64 v[22:23], v[22:23], v[155:156], -v[157:158]
	v_add_f64_e32 v[30:31], v[26:27], v[30:31]
	v_add_f64_e32 v[40:41], v[28:29], v[165:166]
	ds_load_b128 v[2:5], v1 offset:1648
	ds_load_b128 v[26:29], v1 offset:1664
	s_wait_loadcnt_dscnt 0x401
	v_mul_f64_e32 v[161:162], v[2:3], v[36:37]
	v_mul_f64_e32 v[36:37], v[4:5], v[36:37]
	v_add_f64_e32 v[30:31], v[30:31], v[38:39]
	v_add_f64_e32 v[32:33], v[40:41], v[159:160]
	s_wait_loadcnt_dscnt 0x300
	v_mul_f64_e32 v[38:39], v[26:27], v[8:9]
	v_mul_f64_e32 v[8:9], v[28:29], v[8:9]
	v_fma_f64 v[40:41], v[4:5], v[34:35], v[161:162]
	v_fma_f64 v[34:35], v[2:3], v[34:35], -v[36:37]
	v_add_f64_e32 v[30:31], v[30:31], v[22:23]
	v_add_f64_e32 v[32:33], v[32:33], v[24:25]
	ds_load_b128 v[2:5], v1 offset:1680
	ds_load_b128 v[22:25], v1 offset:1696
	v_fma_f64 v[28:29], v[28:29], v[6:7], v[38:39]
	v_fma_f64 v[6:7], v[26:27], v[6:7], -v[8:9]
	s_wait_loadcnt_dscnt 0x201
	v_mul_f64_e32 v[36:37], v[2:3], v[12:13]
	v_mul_f64_e32 v[12:13], v[4:5], v[12:13]
	v_add_f64_e32 v[8:9], v[30:31], v[34:35]
	v_add_f64_e32 v[26:27], v[32:33], v[40:41]
	s_wait_loadcnt_dscnt 0x100
	v_mul_f64_e32 v[30:31], v[22:23], v[16:17]
	v_mul_f64_e32 v[16:17], v[24:25], v[16:17]
	v_fma_f64 v[32:33], v[4:5], v[10:11], v[36:37]
	v_fma_f64 v[10:11], v[2:3], v[10:11], -v[12:13]
	ds_load_b128 v[2:5], v1 offset:1712
	v_add_f64_e32 v[6:7], v[8:9], v[6:7]
	v_add_f64_e32 v[8:9], v[26:27], v[28:29]
	v_fma_f64 v[24:25], v[24:25], v[14:15], v[30:31]
	v_fma_f64 v[14:15], v[22:23], v[14:15], -v[16:17]
	s_wait_loadcnt_dscnt 0x0
	v_mul_f64_e32 v[12:13], v[2:3], v[20:21]
	v_mul_f64_e32 v[20:21], v[4:5], v[20:21]
	v_add_f64_e32 v[6:7], v[6:7], v[10:11]
	v_add_f64_e32 v[8:9], v[8:9], v[32:33]
	s_delay_alu instid0(VALU_DEP_4) | instskip(NEXT) | instid1(VALU_DEP_4)
	v_fma_f64 v[4:5], v[4:5], v[18:19], v[12:13]
	v_fma_f64 v[2:3], v[2:3], v[18:19], -v[20:21]
	s_delay_alu instid0(VALU_DEP_4) | instskip(NEXT) | instid1(VALU_DEP_4)
	v_add_f64_e32 v[6:7], v[6:7], v[14:15]
	v_add_f64_e32 v[8:9], v[8:9], v[24:25]
	s_delay_alu instid0(VALU_DEP_2) | instskip(NEXT) | instid1(VALU_DEP_2)
	v_add_f64_e32 v[2:3], v[6:7], v[2:3]
	v_add_f64_e32 v[4:5], v[8:9], v[4:5]
	s_delay_alu instid0(VALU_DEP_2) | instskip(NEXT) | instid1(VALU_DEP_2)
	v_add_f64_e64 v[2:3], v[42:43], -v[2:3]
	v_add_f64_e64 v[4:5], v[44:45], -v[4:5]
	scratch_store_b128 off, v[2:5], off offset:464
	v_cmpx_lt_u32_e32 27, v0
	s_cbranch_execz .LBB53_283
; %bb.282:
	scratch_load_b128 v[5:8], off, s27
	v_dual_mov_b32 v2, v1 :: v_dual_mov_b32 v3, v1
	v_mov_b32_e32 v4, v1
	scratch_store_b128 off, v[1:4], off offset:448
	s_wait_loadcnt 0x0
	ds_store_b128 v154, v[5:8]
.LBB53_283:
	s_wait_alu 0xfffe
	s_or_b32 exec_lo, exec_lo, s0
	s_wait_storecnt_dscnt 0x0
	s_barrier_signal -1
	s_barrier_wait -1
	global_inv scope:SCOPE_SE
	s_clause 0x8
	scratch_load_b128 v[2:5], off, off offset:464
	scratch_load_b128 v[6:9], off, off offset:480
	;; [unrolled: 1-line block ×9, first 2 shown]
	ds_load_b128 v[38:41], v1 offset:1312
	ds_load_b128 v[42:45], v1 offset:1328
	s_clause 0x1
	scratch_load_b128 v[155:158], off, off offset:448
	scratch_load_b128 v[159:162], off, off offset:608
	s_mov_b32 s0, exec_lo
	s_wait_loadcnt_dscnt 0xa01
	v_mul_f64_e32 v[163:164], v[40:41], v[4:5]
	v_mul_f64_e32 v[4:5], v[38:39], v[4:5]
	s_wait_loadcnt_dscnt 0x900
	v_mul_f64_e32 v[167:168], v[42:43], v[8:9]
	v_mul_f64_e32 v[8:9], v[44:45], v[8:9]
	s_delay_alu instid0(VALU_DEP_4) | instskip(NEXT) | instid1(VALU_DEP_4)
	v_fma_f64 v[169:170], v[38:39], v[2:3], -v[163:164]
	v_fma_f64 v[171:172], v[40:41], v[2:3], v[4:5]
	ds_load_b128 v[2:5], v1 offset:1344
	ds_load_b128 v[163:166], v1 offset:1360
	scratch_load_b128 v[38:41], off, off offset:624
	v_fma_f64 v[44:45], v[44:45], v[6:7], v[167:168]
	v_fma_f64 v[42:43], v[42:43], v[6:7], -v[8:9]
	scratch_load_b128 v[6:9], off, off offset:640
	s_wait_loadcnt_dscnt 0xa01
	v_mul_f64_e32 v[173:174], v[2:3], v[12:13]
	v_mul_f64_e32 v[12:13], v[4:5], v[12:13]
	v_add_f64_e32 v[167:168], 0, v[169:170]
	v_add_f64_e32 v[169:170], 0, v[171:172]
	s_wait_loadcnt_dscnt 0x900
	v_mul_f64_e32 v[171:172], v[163:164], v[16:17]
	v_mul_f64_e32 v[16:17], v[165:166], v[16:17]
	v_fma_f64 v[173:174], v[4:5], v[10:11], v[173:174]
	v_fma_f64 v[175:176], v[2:3], v[10:11], -v[12:13]
	ds_load_b128 v[2:5], v1 offset:1376
	scratch_load_b128 v[10:13], off, off offset:656
	v_add_f64_e32 v[167:168], v[167:168], v[42:43]
	v_add_f64_e32 v[169:170], v[169:170], v[44:45]
	ds_load_b128 v[42:45], v1 offset:1392
	v_fma_f64 v[165:166], v[165:166], v[14:15], v[171:172]
	v_fma_f64 v[163:164], v[163:164], v[14:15], -v[16:17]
	scratch_load_b128 v[14:17], off, off offset:672
	s_wait_loadcnt_dscnt 0xa01
	v_mul_f64_e32 v[177:178], v[2:3], v[20:21]
	v_mul_f64_e32 v[20:21], v[4:5], v[20:21]
	s_wait_loadcnt_dscnt 0x900
	v_mul_f64_e32 v[171:172], v[42:43], v[24:25]
	v_mul_f64_e32 v[24:25], v[44:45], v[24:25]
	v_add_f64_e32 v[167:168], v[167:168], v[175:176]
	v_add_f64_e32 v[169:170], v[169:170], v[173:174]
	v_fma_f64 v[173:174], v[4:5], v[18:19], v[177:178]
	v_fma_f64 v[175:176], v[2:3], v[18:19], -v[20:21]
	ds_load_b128 v[2:5], v1 offset:1408
	scratch_load_b128 v[18:21], off, off offset:688
	v_fma_f64 v[44:45], v[44:45], v[22:23], v[171:172]
	v_fma_f64 v[42:43], v[42:43], v[22:23], -v[24:25]
	scratch_load_b128 v[22:25], off, off offset:704
	v_add_f64_e32 v[167:168], v[167:168], v[163:164]
	v_add_f64_e32 v[169:170], v[169:170], v[165:166]
	ds_load_b128 v[163:166], v1 offset:1424
	s_wait_loadcnt_dscnt 0xa01
	v_mul_f64_e32 v[177:178], v[2:3], v[28:29]
	v_mul_f64_e32 v[28:29], v[4:5], v[28:29]
	s_wait_loadcnt_dscnt 0x900
	v_mul_f64_e32 v[171:172], v[163:164], v[32:33]
	v_mul_f64_e32 v[32:33], v[165:166], v[32:33]
	v_add_f64_e32 v[167:168], v[167:168], v[175:176]
	v_add_f64_e32 v[169:170], v[169:170], v[173:174]
	v_fma_f64 v[173:174], v[4:5], v[26:27], v[177:178]
	v_fma_f64 v[175:176], v[2:3], v[26:27], -v[28:29]
	ds_load_b128 v[2:5], v1 offset:1440
	scratch_load_b128 v[26:29], off, off offset:720
	v_fma_f64 v[165:166], v[165:166], v[30:31], v[171:172]
	v_fma_f64 v[163:164], v[163:164], v[30:31], -v[32:33]
	scratch_load_b128 v[30:33], off, off offset:736
	v_add_f64_e32 v[167:168], v[167:168], v[42:43]
	v_add_f64_e32 v[169:170], v[169:170], v[44:45]
	ds_load_b128 v[42:45], v1 offset:1456
	s_wait_loadcnt_dscnt 0xa01
	v_mul_f64_e32 v[177:178], v[2:3], v[36:37]
	v_mul_f64_e32 v[36:37], v[4:5], v[36:37]
	s_wait_loadcnt_dscnt 0x800
	v_mul_f64_e32 v[171:172], v[42:43], v[161:162]
	v_add_f64_e32 v[167:168], v[167:168], v[175:176]
	v_add_f64_e32 v[169:170], v[169:170], v[173:174]
	v_mul_f64_e32 v[173:174], v[44:45], v[161:162]
	v_fma_f64 v[175:176], v[4:5], v[34:35], v[177:178]
	v_fma_f64 v[177:178], v[2:3], v[34:35], -v[36:37]
	ds_load_b128 v[2:5], v1 offset:1472
	scratch_load_b128 v[34:37], off, off offset:752
	v_fma_f64 v[44:45], v[44:45], v[159:160], v[171:172]
	v_add_f64_e32 v[167:168], v[167:168], v[163:164]
	v_add_f64_e32 v[165:166], v[169:170], v[165:166]
	ds_load_b128 v[161:164], v1 offset:1488
	v_fma_f64 v[159:160], v[42:43], v[159:160], -v[173:174]
	s_wait_loadcnt_dscnt 0x801
	v_mul_f64_e32 v[169:170], v[2:3], v[40:41]
	v_mul_f64_e32 v[179:180], v[4:5], v[40:41]
	scratch_load_b128 v[40:43], off, off offset:768
	s_wait_loadcnt_dscnt 0x800
	v_mul_f64_e32 v[173:174], v[161:162], v[8:9]
	v_mul_f64_e32 v[8:9], v[163:164], v[8:9]
	v_add_f64_e32 v[167:168], v[167:168], v[177:178]
	v_add_f64_e32 v[165:166], v[165:166], v[175:176]
	v_fma_f64 v[175:176], v[4:5], v[38:39], v[169:170]
	v_fma_f64 v[38:39], v[2:3], v[38:39], -v[179:180]
	ds_load_b128 v[2:5], v1 offset:1504
	ds_load_b128 v[169:172], v1 offset:1520
	v_fma_f64 v[163:164], v[163:164], v[6:7], v[173:174]
	v_fma_f64 v[161:162], v[161:162], v[6:7], -v[8:9]
	scratch_load_b128 v[6:9], off, off offset:800
	v_add_f64_e32 v[159:160], v[167:168], v[159:160]
	v_add_f64_e32 v[44:45], v[165:166], v[44:45]
	scratch_load_b128 v[165:168], off, off offset:784
	s_wait_loadcnt_dscnt 0x901
	v_mul_f64_e32 v[177:178], v[2:3], v[12:13]
	v_mul_f64_e32 v[12:13], v[4:5], v[12:13]
	s_wait_loadcnt_dscnt 0x800
	v_mul_f64_e32 v[173:174], v[169:170], v[16:17]
	v_mul_f64_e32 v[16:17], v[171:172], v[16:17]
	v_add_f64_e32 v[38:39], v[159:160], v[38:39]
	v_add_f64_e32 v[44:45], v[44:45], v[175:176]
	v_fma_f64 v[175:176], v[4:5], v[10:11], v[177:178]
	v_fma_f64 v[177:178], v[2:3], v[10:11], -v[12:13]
	ds_load_b128 v[2:5], v1 offset:1536
	scratch_load_b128 v[10:13], off, off offset:816
	v_fma_f64 v[171:172], v[171:172], v[14:15], v[173:174]
	v_fma_f64 v[169:170], v[169:170], v[14:15], -v[16:17]
	scratch_load_b128 v[14:17], off, off offset:832
	v_add_f64_e32 v[38:39], v[38:39], v[161:162]
	v_add_f64_e32 v[44:45], v[44:45], v[163:164]
	ds_load_b128 v[159:162], v1 offset:1552
	s_wait_loadcnt_dscnt 0x901
	v_mul_f64_e32 v[163:164], v[2:3], v[20:21]
	v_mul_f64_e32 v[20:21], v[4:5], v[20:21]
	s_wait_loadcnt_dscnt 0x800
	v_mul_f64_e32 v[173:174], v[159:160], v[24:25]
	v_mul_f64_e32 v[24:25], v[161:162], v[24:25]
	v_add_f64_e32 v[38:39], v[38:39], v[177:178]
	v_add_f64_e32 v[44:45], v[44:45], v[175:176]
	v_fma_f64 v[163:164], v[4:5], v[18:19], v[163:164]
	v_fma_f64 v[175:176], v[2:3], v[18:19], -v[20:21]
	ds_load_b128 v[2:5], v1 offset:1568
	scratch_load_b128 v[18:21], off, off offset:848
	v_fma_f64 v[161:162], v[161:162], v[22:23], v[173:174]
	v_fma_f64 v[159:160], v[159:160], v[22:23], -v[24:25]
	scratch_load_b128 v[22:25], off, off offset:864
	v_add_f64_e32 v[38:39], v[38:39], v[169:170]
	v_add_f64_e32 v[44:45], v[44:45], v[171:172]
	ds_load_b128 v[169:172], v1 offset:1584
	s_wait_loadcnt_dscnt 0x901
	v_mul_f64_e32 v[177:178], v[2:3], v[28:29]
	v_mul_f64_e32 v[28:29], v[4:5], v[28:29]
	v_add_f64_e32 v[38:39], v[38:39], v[175:176]
	v_add_f64_e32 v[44:45], v[44:45], v[163:164]
	s_wait_loadcnt_dscnt 0x800
	v_mul_f64_e32 v[163:164], v[169:170], v[32:33]
	v_mul_f64_e32 v[32:33], v[171:172], v[32:33]
	v_fma_f64 v[173:174], v[4:5], v[26:27], v[177:178]
	v_fma_f64 v[175:176], v[2:3], v[26:27], -v[28:29]
	ds_load_b128 v[2:5], v1 offset:1600
	ds_load_b128 v[26:29], v1 offset:1616
	v_add_f64_e32 v[38:39], v[38:39], v[159:160]
	v_add_f64_e32 v[44:45], v[44:45], v[161:162]
	s_wait_loadcnt_dscnt 0x701
	v_mul_f64_e32 v[159:160], v[2:3], v[36:37]
	v_mul_f64_e32 v[36:37], v[4:5], v[36:37]
	v_fma_f64 v[161:162], v[171:172], v[30:31], v[163:164]
	v_fma_f64 v[30:31], v[169:170], v[30:31], -v[32:33]
	v_add_f64_e32 v[32:33], v[38:39], v[175:176]
	v_add_f64_e32 v[38:39], v[44:45], v[173:174]
	s_wait_loadcnt_dscnt 0x600
	v_mul_f64_e32 v[44:45], v[26:27], v[42:43]
	v_mul_f64_e32 v[42:43], v[28:29], v[42:43]
	v_fma_f64 v[159:160], v[4:5], v[34:35], v[159:160]
	v_fma_f64 v[34:35], v[2:3], v[34:35], -v[36:37]
	v_add_f64_e32 v[36:37], v[32:33], v[30:31]
	v_add_f64_e32 v[38:39], v[38:39], v[161:162]
	ds_load_b128 v[2:5], v1 offset:1632
	ds_load_b128 v[30:33], v1 offset:1648
	v_fma_f64 v[28:29], v[28:29], v[40:41], v[44:45]
	v_fma_f64 v[26:27], v[26:27], v[40:41], -v[42:43]
	s_wait_loadcnt_dscnt 0x401
	v_mul_f64_e32 v[161:162], v[2:3], v[167:168]
	v_mul_f64_e32 v[163:164], v[4:5], v[167:168]
	v_add_f64_e32 v[34:35], v[36:37], v[34:35]
	v_add_f64_e32 v[36:37], v[38:39], v[159:160]
	s_wait_dscnt 0x0
	v_mul_f64_e32 v[38:39], v[30:31], v[8:9]
	v_mul_f64_e32 v[8:9], v[32:33], v[8:9]
	v_fma_f64 v[40:41], v[4:5], v[165:166], v[161:162]
	v_fma_f64 v[42:43], v[2:3], v[165:166], -v[163:164]
	v_add_f64_e32 v[34:35], v[34:35], v[26:27]
	v_add_f64_e32 v[36:37], v[36:37], v[28:29]
	ds_load_b128 v[2:5], v1 offset:1664
	ds_load_b128 v[26:29], v1 offset:1680
	v_fma_f64 v[32:33], v[32:33], v[6:7], v[38:39]
	v_fma_f64 v[6:7], v[30:31], v[6:7], -v[8:9]
	s_wait_loadcnt_dscnt 0x301
	v_mul_f64_e32 v[44:45], v[2:3], v[12:13]
	v_mul_f64_e32 v[12:13], v[4:5], v[12:13]
	v_add_f64_e32 v[8:9], v[34:35], v[42:43]
	v_add_f64_e32 v[30:31], v[36:37], v[40:41]
	s_wait_loadcnt_dscnt 0x200
	v_mul_f64_e32 v[34:35], v[26:27], v[16:17]
	v_mul_f64_e32 v[16:17], v[28:29], v[16:17]
	v_fma_f64 v[36:37], v[4:5], v[10:11], v[44:45]
	v_fma_f64 v[10:11], v[2:3], v[10:11], -v[12:13]
	v_add_f64_e32 v[12:13], v[8:9], v[6:7]
	v_add_f64_e32 v[30:31], v[30:31], v[32:33]
	ds_load_b128 v[2:5], v1 offset:1696
	ds_load_b128 v[6:9], v1 offset:1712
	v_fma_f64 v[28:29], v[28:29], v[14:15], v[34:35]
	v_fma_f64 v[14:15], v[26:27], v[14:15], -v[16:17]
	s_wait_loadcnt_dscnt 0x101
	v_mul_f64_e32 v[32:33], v[2:3], v[20:21]
	v_mul_f64_e32 v[20:21], v[4:5], v[20:21]
	s_wait_loadcnt_dscnt 0x0
	v_mul_f64_e32 v[16:17], v[6:7], v[24:25]
	v_mul_f64_e32 v[24:25], v[8:9], v[24:25]
	v_add_f64_e32 v[10:11], v[12:13], v[10:11]
	v_add_f64_e32 v[12:13], v[30:31], v[36:37]
	v_fma_f64 v[4:5], v[4:5], v[18:19], v[32:33]
	v_fma_f64 v[1:2], v[2:3], v[18:19], -v[20:21]
	v_fma_f64 v[8:9], v[8:9], v[22:23], v[16:17]
	v_fma_f64 v[6:7], v[6:7], v[22:23], -v[24:25]
	v_add_f64_e32 v[10:11], v[10:11], v[14:15]
	v_add_f64_e32 v[12:13], v[12:13], v[28:29]
	s_delay_alu instid0(VALU_DEP_2) | instskip(NEXT) | instid1(VALU_DEP_2)
	v_add_f64_e32 v[1:2], v[10:11], v[1:2]
	v_add_f64_e32 v[3:4], v[12:13], v[4:5]
	s_delay_alu instid0(VALU_DEP_2) | instskip(NEXT) | instid1(VALU_DEP_2)
	;; [unrolled: 3-line block ×3, first 2 shown]
	v_add_f64_e64 v[1:2], v[155:156], -v[1:2]
	v_add_f64_e64 v[3:4], v[157:158], -v[3:4]
	scratch_store_b128 off, v[1:4], off offset:448
	v_cmpx_lt_u32_e32 26, v0
	s_cbranch_execz .LBB53_285
; %bb.284:
	scratch_load_b128 v[1:4], off, s30
	v_mov_b32_e32 v5, 0
	s_delay_alu instid0(VALU_DEP_1)
	v_dual_mov_b32 v6, v5 :: v_dual_mov_b32 v7, v5
	v_mov_b32_e32 v8, v5
	scratch_store_b128 off, v[5:8], off offset:432
	s_wait_loadcnt 0x0
	ds_store_b128 v154, v[1:4]
.LBB53_285:
	s_wait_alu 0xfffe
	s_or_b32 exec_lo, exec_lo, s0
	s_wait_storecnt_dscnt 0x0
	s_barrier_signal -1
	s_barrier_wait -1
	global_inv scope:SCOPE_SE
	s_clause 0x7
	scratch_load_b128 v[2:5], off, off offset:448
	scratch_load_b128 v[6:9], off, off offset:464
	;; [unrolled: 1-line block ×8, first 2 shown]
	v_mov_b32_e32 v1, 0
	s_mov_b32 s0, exec_lo
	ds_load_b128 v[34:37], v1 offset:1296
	s_clause 0x1
	scratch_load_b128 v[38:41], off, off offset:576
	scratch_load_b128 v[42:45], off, off offset:432
	ds_load_b128 v[155:158], v1 offset:1312
	scratch_load_b128 v[159:162], off, off offset:592
	s_wait_loadcnt_dscnt 0xa01
	v_mul_f64_e32 v[163:164], v[36:37], v[4:5]
	v_mul_f64_e32 v[4:5], v[34:35], v[4:5]
	s_delay_alu instid0(VALU_DEP_2) | instskip(NEXT) | instid1(VALU_DEP_2)
	v_fma_f64 v[169:170], v[34:35], v[2:3], -v[163:164]
	v_fma_f64 v[171:172], v[36:37], v[2:3], v[4:5]
	ds_load_b128 v[2:5], v1 offset:1328
	s_wait_loadcnt_dscnt 0x901
	v_mul_f64_e32 v[167:168], v[155:156], v[8:9]
	v_mul_f64_e32 v[8:9], v[157:158], v[8:9]
	scratch_load_b128 v[34:37], off, off offset:608
	ds_load_b128 v[163:166], v1 offset:1344
	s_wait_loadcnt_dscnt 0x901
	v_mul_f64_e32 v[173:174], v[2:3], v[12:13]
	v_mul_f64_e32 v[12:13], v[4:5], v[12:13]
	v_fma_f64 v[157:158], v[157:158], v[6:7], v[167:168]
	v_fma_f64 v[155:156], v[155:156], v[6:7], -v[8:9]
	v_add_f64_e32 v[167:168], 0, v[169:170]
	v_add_f64_e32 v[169:170], 0, v[171:172]
	scratch_load_b128 v[6:9], off, off offset:624
	v_fma_f64 v[173:174], v[4:5], v[10:11], v[173:174]
	v_fma_f64 v[175:176], v[2:3], v[10:11], -v[12:13]
	ds_load_b128 v[2:5], v1 offset:1360
	s_wait_loadcnt_dscnt 0x901
	v_mul_f64_e32 v[171:172], v[163:164], v[16:17]
	v_mul_f64_e32 v[16:17], v[165:166], v[16:17]
	scratch_load_b128 v[10:13], off, off offset:640
	v_add_f64_e32 v[167:168], v[167:168], v[155:156]
	v_add_f64_e32 v[169:170], v[169:170], v[157:158]
	s_wait_loadcnt_dscnt 0x900
	v_mul_f64_e32 v[177:178], v[2:3], v[20:21]
	v_mul_f64_e32 v[20:21], v[4:5], v[20:21]
	ds_load_b128 v[155:158], v1 offset:1376
	v_fma_f64 v[165:166], v[165:166], v[14:15], v[171:172]
	v_fma_f64 v[163:164], v[163:164], v[14:15], -v[16:17]
	scratch_load_b128 v[14:17], off, off offset:656
	v_add_f64_e32 v[167:168], v[167:168], v[175:176]
	v_add_f64_e32 v[169:170], v[169:170], v[173:174]
	v_fma_f64 v[173:174], v[4:5], v[18:19], v[177:178]
	v_fma_f64 v[175:176], v[2:3], v[18:19], -v[20:21]
	ds_load_b128 v[2:5], v1 offset:1392
	s_wait_loadcnt_dscnt 0x901
	v_mul_f64_e32 v[171:172], v[155:156], v[24:25]
	v_mul_f64_e32 v[24:25], v[157:158], v[24:25]
	scratch_load_b128 v[18:21], off, off offset:672
	s_wait_loadcnt_dscnt 0x900
	v_mul_f64_e32 v[177:178], v[2:3], v[28:29]
	v_mul_f64_e32 v[28:29], v[4:5], v[28:29]
	v_add_f64_e32 v[167:168], v[167:168], v[163:164]
	v_add_f64_e32 v[169:170], v[169:170], v[165:166]
	ds_load_b128 v[163:166], v1 offset:1408
	v_fma_f64 v[157:158], v[157:158], v[22:23], v[171:172]
	v_fma_f64 v[155:156], v[155:156], v[22:23], -v[24:25]
	scratch_load_b128 v[22:25], off, off offset:688
	v_add_f64_e32 v[167:168], v[167:168], v[175:176]
	v_add_f64_e32 v[169:170], v[169:170], v[173:174]
	v_fma_f64 v[173:174], v[4:5], v[26:27], v[177:178]
	v_fma_f64 v[175:176], v[2:3], v[26:27], -v[28:29]
	ds_load_b128 v[2:5], v1 offset:1424
	s_wait_loadcnt_dscnt 0x901
	v_mul_f64_e32 v[171:172], v[163:164], v[32:33]
	v_mul_f64_e32 v[32:33], v[165:166], v[32:33]
	scratch_load_b128 v[26:29], off, off offset:704
	s_wait_loadcnt_dscnt 0x900
	v_mul_f64_e32 v[177:178], v[2:3], v[40:41]
	v_mul_f64_e32 v[40:41], v[4:5], v[40:41]
	v_add_f64_e32 v[167:168], v[167:168], v[155:156]
	v_add_f64_e32 v[169:170], v[169:170], v[157:158]
	ds_load_b128 v[155:158], v1 offset:1440
	v_fma_f64 v[165:166], v[165:166], v[30:31], v[171:172]
	v_fma_f64 v[163:164], v[163:164], v[30:31], -v[32:33]
	scratch_load_b128 v[30:33], off, off offset:720
	v_add_f64_e32 v[167:168], v[167:168], v[175:176]
	v_add_f64_e32 v[169:170], v[169:170], v[173:174]
	v_fma_f64 v[175:176], v[4:5], v[38:39], v[177:178]
	v_fma_f64 v[177:178], v[2:3], v[38:39], -v[40:41]
	ds_load_b128 v[2:5], v1 offset:1456
	s_wait_loadcnt_dscnt 0x801
	v_mul_f64_e32 v[171:172], v[155:156], v[161:162]
	v_mul_f64_e32 v[173:174], v[157:158], v[161:162]
	scratch_load_b128 v[38:41], off, off offset:736
	v_add_f64_e32 v[167:168], v[167:168], v[163:164]
	v_add_f64_e32 v[165:166], v[169:170], v[165:166]
	ds_load_b128 v[161:164], v1 offset:1472
	v_fma_f64 v[171:172], v[157:158], v[159:160], v[171:172]
	v_fma_f64 v[159:160], v[155:156], v[159:160], -v[173:174]
	scratch_load_b128 v[155:158], off, off offset:752
	s_wait_loadcnt_dscnt 0x901
	v_mul_f64_e32 v[169:170], v[2:3], v[36:37]
	v_mul_f64_e32 v[36:37], v[4:5], v[36:37]
	v_add_f64_e32 v[167:168], v[167:168], v[177:178]
	v_add_f64_e32 v[165:166], v[165:166], v[175:176]
	s_delay_alu instid0(VALU_DEP_4) | instskip(NEXT) | instid1(VALU_DEP_4)
	v_fma_f64 v[169:170], v[4:5], v[34:35], v[169:170]
	v_fma_f64 v[175:176], v[2:3], v[34:35], -v[36:37]
	ds_load_b128 v[2:5], v1 offset:1488
	s_wait_loadcnt_dscnt 0x801
	v_mul_f64_e32 v[173:174], v[161:162], v[8:9]
	v_mul_f64_e32 v[8:9], v[163:164], v[8:9]
	scratch_load_b128 v[34:37], off, off offset:768
	s_wait_loadcnt_dscnt 0x800
	v_mul_f64_e32 v[177:178], v[2:3], v[12:13]
	v_add_f64_e32 v[159:160], v[167:168], v[159:160]
	v_add_f64_e32 v[171:172], v[165:166], v[171:172]
	v_mul_f64_e32 v[12:13], v[4:5], v[12:13]
	ds_load_b128 v[165:168], v1 offset:1504
	v_fma_f64 v[163:164], v[163:164], v[6:7], v[173:174]
	v_fma_f64 v[161:162], v[161:162], v[6:7], -v[8:9]
	scratch_load_b128 v[6:9], off, off offset:784
	v_fma_f64 v[173:174], v[4:5], v[10:11], v[177:178]
	v_add_f64_e32 v[159:160], v[159:160], v[175:176]
	v_add_f64_e32 v[169:170], v[171:172], v[169:170]
	v_fma_f64 v[175:176], v[2:3], v[10:11], -v[12:13]
	ds_load_b128 v[2:5], v1 offset:1520
	s_wait_loadcnt_dscnt 0x801
	v_mul_f64_e32 v[171:172], v[165:166], v[16:17]
	v_mul_f64_e32 v[16:17], v[167:168], v[16:17]
	scratch_load_b128 v[10:13], off, off offset:800
	v_add_f64_e32 v[177:178], v[159:160], v[161:162]
	v_add_f64_e32 v[163:164], v[169:170], v[163:164]
	s_wait_loadcnt_dscnt 0x800
	v_mul_f64_e32 v[169:170], v[2:3], v[20:21]
	v_mul_f64_e32 v[20:21], v[4:5], v[20:21]
	v_fma_f64 v[167:168], v[167:168], v[14:15], v[171:172]
	v_fma_f64 v[165:166], v[165:166], v[14:15], -v[16:17]
	ds_load_b128 v[159:162], v1 offset:1536
	scratch_load_b128 v[14:17], off, off offset:816
	v_add_f64_e32 v[171:172], v[177:178], v[175:176]
	v_add_f64_e32 v[163:164], v[163:164], v[173:174]
	v_fma_f64 v[169:170], v[4:5], v[18:19], v[169:170]
	v_fma_f64 v[175:176], v[2:3], v[18:19], -v[20:21]
	ds_load_b128 v[2:5], v1 offset:1552
	s_wait_loadcnt_dscnt 0x801
	v_mul_f64_e32 v[173:174], v[159:160], v[24:25]
	v_mul_f64_e32 v[24:25], v[161:162], v[24:25]
	scratch_load_b128 v[18:21], off, off offset:832
	s_wait_loadcnt_dscnt 0x800
	v_mul_f64_e32 v[177:178], v[2:3], v[28:29]
	v_mul_f64_e32 v[28:29], v[4:5], v[28:29]
	v_add_f64_e32 v[171:172], v[171:172], v[165:166]
	v_add_f64_e32 v[167:168], v[163:164], v[167:168]
	ds_load_b128 v[163:166], v1 offset:1568
	v_fma_f64 v[161:162], v[161:162], v[22:23], v[173:174]
	v_fma_f64 v[159:160], v[159:160], v[22:23], -v[24:25]
	scratch_load_b128 v[22:25], off, off offset:848
	v_fma_f64 v[173:174], v[4:5], v[26:27], v[177:178]
	v_add_f64_e32 v[171:172], v[171:172], v[175:176]
	v_add_f64_e32 v[167:168], v[167:168], v[169:170]
	v_fma_f64 v[175:176], v[2:3], v[26:27], -v[28:29]
	ds_load_b128 v[2:5], v1 offset:1584
	s_wait_loadcnt_dscnt 0x801
	v_mul_f64_e32 v[169:170], v[163:164], v[32:33]
	v_mul_f64_e32 v[32:33], v[165:166], v[32:33]
	scratch_load_b128 v[26:29], off, off offset:864
	s_wait_loadcnt_dscnt 0x800
	v_mul_f64_e32 v[177:178], v[2:3], v[40:41]
	v_mul_f64_e32 v[40:41], v[4:5], v[40:41]
	v_add_f64_e32 v[171:172], v[171:172], v[159:160]
	v_add_f64_e32 v[167:168], v[167:168], v[161:162]
	ds_load_b128 v[159:162], v1 offset:1600
	v_fma_f64 v[165:166], v[165:166], v[30:31], v[169:170]
	v_fma_f64 v[30:31], v[163:164], v[30:31], -v[32:33]
	v_fma_f64 v[169:170], v[4:5], v[38:39], v[177:178]
	v_fma_f64 v[38:39], v[2:3], v[38:39], -v[40:41]
	v_add_f64_e32 v[32:33], v[171:172], v[175:176]
	v_add_f64_e32 v[163:164], v[167:168], v[173:174]
	s_wait_loadcnt_dscnt 0x700
	v_mul_f64_e32 v[167:168], v[159:160], v[157:158]
	v_mul_f64_e32 v[157:158], v[161:162], v[157:158]
	s_delay_alu instid0(VALU_DEP_4) | instskip(NEXT) | instid1(VALU_DEP_4)
	v_add_f64_e32 v[40:41], v[32:33], v[30:31]
	v_add_f64_e32 v[163:164], v[163:164], v[165:166]
	ds_load_b128 v[2:5], v1 offset:1616
	ds_load_b128 v[30:33], v1 offset:1632
	v_fma_f64 v[161:162], v[161:162], v[155:156], v[167:168]
	v_fma_f64 v[155:156], v[159:160], v[155:156], -v[157:158]
	s_wait_loadcnt_dscnt 0x601
	v_mul_f64_e32 v[165:166], v[2:3], v[36:37]
	v_mul_f64_e32 v[36:37], v[4:5], v[36:37]
	s_wait_loadcnt_dscnt 0x500
	v_mul_f64_e32 v[157:158], v[30:31], v[8:9]
	v_mul_f64_e32 v[8:9], v[32:33], v[8:9]
	v_add_f64_e32 v[38:39], v[40:41], v[38:39]
	v_add_f64_e32 v[40:41], v[163:164], v[169:170]
	v_fma_f64 v[159:160], v[4:5], v[34:35], v[165:166]
	v_fma_f64 v[163:164], v[2:3], v[34:35], -v[36:37]
	ds_load_b128 v[2:5], v1 offset:1648
	ds_load_b128 v[34:37], v1 offset:1664
	v_fma_f64 v[32:33], v[32:33], v[6:7], v[157:158]
	v_fma_f64 v[6:7], v[30:31], v[6:7], -v[8:9]
	v_add_f64_e32 v[38:39], v[38:39], v[155:156]
	v_add_f64_e32 v[40:41], v[40:41], v[161:162]
	s_wait_loadcnt_dscnt 0x401
	v_mul_f64_e32 v[155:156], v[2:3], v[12:13]
	v_mul_f64_e32 v[12:13], v[4:5], v[12:13]
	s_delay_alu instid0(VALU_DEP_4) | instskip(NEXT) | instid1(VALU_DEP_4)
	v_add_f64_e32 v[8:9], v[38:39], v[163:164]
	v_add_f64_e32 v[30:31], v[40:41], v[159:160]
	s_wait_loadcnt_dscnt 0x300
	v_mul_f64_e32 v[38:39], v[34:35], v[16:17]
	v_mul_f64_e32 v[16:17], v[36:37], v[16:17]
	v_fma_f64 v[40:41], v[4:5], v[10:11], v[155:156]
	v_fma_f64 v[10:11], v[2:3], v[10:11], -v[12:13]
	v_add_f64_e32 v[12:13], v[8:9], v[6:7]
	v_add_f64_e32 v[30:31], v[30:31], v[32:33]
	ds_load_b128 v[2:5], v1 offset:1680
	ds_load_b128 v[6:9], v1 offset:1696
	v_fma_f64 v[36:37], v[36:37], v[14:15], v[38:39]
	v_fma_f64 v[14:15], v[34:35], v[14:15], -v[16:17]
	s_wait_loadcnt_dscnt 0x201
	v_mul_f64_e32 v[32:33], v[2:3], v[20:21]
	v_mul_f64_e32 v[20:21], v[4:5], v[20:21]
	s_wait_loadcnt_dscnt 0x100
	v_mul_f64_e32 v[16:17], v[6:7], v[24:25]
	v_mul_f64_e32 v[24:25], v[8:9], v[24:25]
	v_add_f64_e32 v[10:11], v[12:13], v[10:11]
	v_add_f64_e32 v[12:13], v[30:31], v[40:41]
	v_fma_f64 v[30:31], v[4:5], v[18:19], v[32:33]
	v_fma_f64 v[18:19], v[2:3], v[18:19], -v[20:21]
	ds_load_b128 v[2:5], v1 offset:1712
	v_fma_f64 v[8:9], v[8:9], v[22:23], v[16:17]
	v_fma_f64 v[6:7], v[6:7], v[22:23], -v[24:25]
	v_add_f64_e32 v[10:11], v[10:11], v[14:15]
	v_add_f64_e32 v[12:13], v[12:13], v[36:37]
	s_wait_loadcnt_dscnt 0x0
	v_mul_f64_e32 v[14:15], v[2:3], v[28:29]
	v_mul_f64_e32 v[20:21], v[4:5], v[28:29]
	s_delay_alu instid0(VALU_DEP_4) | instskip(NEXT) | instid1(VALU_DEP_4)
	v_add_f64_e32 v[10:11], v[10:11], v[18:19]
	v_add_f64_e32 v[12:13], v[12:13], v[30:31]
	s_delay_alu instid0(VALU_DEP_4) | instskip(NEXT) | instid1(VALU_DEP_4)
	v_fma_f64 v[4:5], v[4:5], v[26:27], v[14:15]
	v_fma_f64 v[2:3], v[2:3], v[26:27], -v[20:21]
	s_delay_alu instid0(VALU_DEP_4) | instskip(NEXT) | instid1(VALU_DEP_4)
	v_add_f64_e32 v[6:7], v[10:11], v[6:7]
	v_add_f64_e32 v[8:9], v[12:13], v[8:9]
	s_delay_alu instid0(VALU_DEP_2) | instskip(NEXT) | instid1(VALU_DEP_2)
	v_add_f64_e32 v[2:3], v[6:7], v[2:3]
	v_add_f64_e32 v[4:5], v[8:9], v[4:5]
	s_delay_alu instid0(VALU_DEP_2) | instskip(NEXT) | instid1(VALU_DEP_2)
	v_add_f64_e64 v[2:3], v[42:43], -v[2:3]
	v_add_f64_e64 v[4:5], v[44:45], -v[4:5]
	scratch_store_b128 off, v[2:5], off offset:432
	v_cmpx_lt_u32_e32 25, v0
	s_cbranch_execz .LBB53_287
; %bb.286:
	scratch_load_b128 v[5:8], off, s29
	v_dual_mov_b32 v2, v1 :: v_dual_mov_b32 v3, v1
	v_mov_b32_e32 v4, v1
	scratch_store_b128 off, v[1:4], off offset:416
	s_wait_loadcnt 0x0
	ds_store_b128 v154, v[5:8]
.LBB53_287:
	s_wait_alu 0xfffe
	s_or_b32 exec_lo, exec_lo, s0
	s_wait_storecnt_dscnt 0x0
	s_barrier_signal -1
	s_barrier_wait -1
	global_inv scope:SCOPE_SE
	s_clause 0x8
	scratch_load_b128 v[2:5], off, off offset:432
	scratch_load_b128 v[6:9], off, off offset:448
	;; [unrolled: 1-line block ×9, first 2 shown]
	ds_load_b128 v[38:41], v1 offset:1280
	ds_load_b128 v[42:45], v1 offset:1296
	s_clause 0x1
	scratch_load_b128 v[155:158], off, off offset:416
	scratch_load_b128 v[159:162], off, off offset:576
	s_mov_b32 s0, exec_lo
	s_wait_loadcnt_dscnt 0xa01
	v_mul_f64_e32 v[163:164], v[40:41], v[4:5]
	v_mul_f64_e32 v[4:5], v[38:39], v[4:5]
	s_wait_loadcnt_dscnt 0x900
	v_mul_f64_e32 v[167:168], v[42:43], v[8:9]
	v_mul_f64_e32 v[8:9], v[44:45], v[8:9]
	s_delay_alu instid0(VALU_DEP_4) | instskip(NEXT) | instid1(VALU_DEP_4)
	v_fma_f64 v[169:170], v[38:39], v[2:3], -v[163:164]
	v_fma_f64 v[171:172], v[40:41], v[2:3], v[4:5]
	ds_load_b128 v[2:5], v1 offset:1312
	ds_load_b128 v[163:166], v1 offset:1328
	scratch_load_b128 v[38:41], off, off offset:592
	v_fma_f64 v[44:45], v[44:45], v[6:7], v[167:168]
	v_fma_f64 v[42:43], v[42:43], v[6:7], -v[8:9]
	scratch_load_b128 v[6:9], off, off offset:608
	s_wait_loadcnt_dscnt 0xa01
	v_mul_f64_e32 v[173:174], v[2:3], v[12:13]
	v_mul_f64_e32 v[12:13], v[4:5], v[12:13]
	v_add_f64_e32 v[167:168], 0, v[169:170]
	v_add_f64_e32 v[169:170], 0, v[171:172]
	s_wait_loadcnt_dscnt 0x900
	v_mul_f64_e32 v[171:172], v[163:164], v[16:17]
	v_mul_f64_e32 v[16:17], v[165:166], v[16:17]
	v_fma_f64 v[173:174], v[4:5], v[10:11], v[173:174]
	v_fma_f64 v[175:176], v[2:3], v[10:11], -v[12:13]
	ds_load_b128 v[2:5], v1 offset:1344
	scratch_load_b128 v[10:13], off, off offset:624
	v_add_f64_e32 v[167:168], v[167:168], v[42:43]
	v_add_f64_e32 v[169:170], v[169:170], v[44:45]
	ds_load_b128 v[42:45], v1 offset:1360
	v_fma_f64 v[165:166], v[165:166], v[14:15], v[171:172]
	v_fma_f64 v[163:164], v[163:164], v[14:15], -v[16:17]
	scratch_load_b128 v[14:17], off, off offset:640
	s_wait_loadcnt_dscnt 0xa01
	v_mul_f64_e32 v[177:178], v[2:3], v[20:21]
	v_mul_f64_e32 v[20:21], v[4:5], v[20:21]
	s_wait_loadcnt_dscnt 0x900
	v_mul_f64_e32 v[171:172], v[42:43], v[24:25]
	v_mul_f64_e32 v[24:25], v[44:45], v[24:25]
	v_add_f64_e32 v[167:168], v[167:168], v[175:176]
	v_add_f64_e32 v[169:170], v[169:170], v[173:174]
	v_fma_f64 v[173:174], v[4:5], v[18:19], v[177:178]
	v_fma_f64 v[175:176], v[2:3], v[18:19], -v[20:21]
	ds_load_b128 v[2:5], v1 offset:1376
	scratch_load_b128 v[18:21], off, off offset:656
	v_fma_f64 v[44:45], v[44:45], v[22:23], v[171:172]
	v_fma_f64 v[42:43], v[42:43], v[22:23], -v[24:25]
	scratch_load_b128 v[22:25], off, off offset:672
	v_add_f64_e32 v[167:168], v[167:168], v[163:164]
	v_add_f64_e32 v[169:170], v[169:170], v[165:166]
	ds_load_b128 v[163:166], v1 offset:1392
	s_wait_loadcnt_dscnt 0xa01
	v_mul_f64_e32 v[177:178], v[2:3], v[28:29]
	v_mul_f64_e32 v[28:29], v[4:5], v[28:29]
	s_wait_loadcnt_dscnt 0x900
	v_mul_f64_e32 v[171:172], v[163:164], v[32:33]
	v_mul_f64_e32 v[32:33], v[165:166], v[32:33]
	v_add_f64_e32 v[167:168], v[167:168], v[175:176]
	v_add_f64_e32 v[169:170], v[169:170], v[173:174]
	v_fma_f64 v[173:174], v[4:5], v[26:27], v[177:178]
	v_fma_f64 v[175:176], v[2:3], v[26:27], -v[28:29]
	ds_load_b128 v[2:5], v1 offset:1408
	scratch_load_b128 v[26:29], off, off offset:688
	v_fma_f64 v[165:166], v[165:166], v[30:31], v[171:172]
	v_fma_f64 v[163:164], v[163:164], v[30:31], -v[32:33]
	scratch_load_b128 v[30:33], off, off offset:704
	v_add_f64_e32 v[167:168], v[167:168], v[42:43]
	v_add_f64_e32 v[169:170], v[169:170], v[44:45]
	ds_load_b128 v[42:45], v1 offset:1424
	s_wait_loadcnt_dscnt 0xa01
	v_mul_f64_e32 v[177:178], v[2:3], v[36:37]
	v_mul_f64_e32 v[36:37], v[4:5], v[36:37]
	s_wait_loadcnt_dscnt 0x800
	v_mul_f64_e32 v[171:172], v[42:43], v[161:162]
	v_add_f64_e32 v[167:168], v[167:168], v[175:176]
	v_add_f64_e32 v[169:170], v[169:170], v[173:174]
	v_mul_f64_e32 v[173:174], v[44:45], v[161:162]
	v_fma_f64 v[175:176], v[4:5], v[34:35], v[177:178]
	v_fma_f64 v[177:178], v[2:3], v[34:35], -v[36:37]
	ds_load_b128 v[2:5], v1 offset:1440
	scratch_load_b128 v[34:37], off, off offset:720
	v_fma_f64 v[44:45], v[44:45], v[159:160], v[171:172]
	v_add_f64_e32 v[167:168], v[167:168], v[163:164]
	v_add_f64_e32 v[165:166], v[169:170], v[165:166]
	ds_load_b128 v[161:164], v1 offset:1456
	v_fma_f64 v[159:160], v[42:43], v[159:160], -v[173:174]
	s_wait_loadcnt_dscnt 0x801
	v_mul_f64_e32 v[169:170], v[2:3], v[40:41]
	v_mul_f64_e32 v[179:180], v[4:5], v[40:41]
	scratch_load_b128 v[40:43], off, off offset:736
	s_wait_loadcnt_dscnt 0x800
	v_mul_f64_e32 v[173:174], v[161:162], v[8:9]
	v_mul_f64_e32 v[8:9], v[163:164], v[8:9]
	v_add_f64_e32 v[167:168], v[167:168], v[177:178]
	v_add_f64_e32 v[165:166], v[165:166], v[175:176]
	v_fma_f64 v[175:176], v[4:5], v[38:39], v[169:170]
	v_fma_f64 v[38:39], v[2:3], v[38:39], -v[179:180]
	ds_load_b128 v[2:5], v1 offset:1472
	ds_load_b128 v[169:172], v1 offset:1488
	v_fma_f64 v[163:164], v[163:164], v[6:7], v[173:174]
	v_fma_f64 v[161:162], v[161:162], v[6:7], -v[8:9]
	scratch_load_b128 v[6:9], off, off offset:768
	v_add_f64_e32 v[159:160], v[167:168], v[159:160]
	v_add_f64_e32 v[44:45], v[165:166], v[44:45]
	scratch_load_b128 v[165:168], off, off offset:752
	s_wait_loadcnt_dscnt 0x901
	v_mul_f64_e32 v[177:178], v[2:3], v[12:13]
	v_mul_f64_e32 v[12:13], v[4:5], v[12:13]
	s_wait_loadcnt_dscnt 0x800
	v_mul_f64_e32 v[173:174], v[169:170], v[16:17]
	v_mul_f64_e32 v[16:17], v[171:172], v[16:17]
	v_add_f64_e32 v[38:39], v[159:160], v[38:39]
	v_add_f64_e32 v[44:45], v[44:45], v[175:176]
	v_fma_f64 v[175:176], v[4:5], v[10:11], v[177:178]
	v_fma_f64 v[177:178], v[2:3], v[10:11], -v[12:13]
	ds_load_b128 v[2:5], v1 offset:1504
	scratch_load_b128 v[10:13], off, off offset:784
	v_fma_f64 v[171:172], v[171:172], v[14:15], v[173:174]
	v_fma_f64 v[169:170], v[169:170], v[14:15], -v[16:17]
	scratch_load_b128 v[14:17], off, off offset:800
	v_add_f64_e32 v[38:39], v[38:39], v[161:162]
	v_add_f64_e32 v[44:45], v[44:45], v[163:164]
	ds_load_b128 v[159:162], v1 offset:1520
	s_wait_loadcnt_dscnt 0x901
	v_mul_f64_e32 v[163:164], v[2:3], v[20:21]
	v_mul_f64_e32 v[20:21], v[4:5], v[20:21]
	s_wait_loadcnt_dscnt 0x800
	v_mul_f64_e32 v[173:174], v[159:160], v[24:25]
	v_mul_f64_e32 v[24:25], v[161:162], v[24:25]
	v_add_f64_e32 v[38:39], v[38:39], v[177:178]
	v_add_f64_e32 v[44:45], v[44:45], v[175:176]
	v_fma_f64 v[163:164], v[4:5], v[18:19], v[163:164]
	v_fma_f64 v[175:176], v[2:3], v[18:19], -v[20:21]
	ds_load_b128 v[2:5], v1 offset:1536
	scratch_load_b128 v[18:21], off, off offset:816
	v_fma_f64 v[161:162], v[161:162], v[22:23], v[173:174]
	v_fma_f64 v[159:160], v[159:160], v[22:23], -v[24:25]
	scratch_load_b128 v[22:25], off, off offset:832
	v_add_f64_e32 v[38:39], v[38:39], v[169:170]
	v_add_f64_e32 v[44:45], v[44:45], v[171:172]
	ds_load_b128 v[169:172], v1 offset:1552
	s_wait_loadcnt_dscnt 0x901
	v_mul_f64_e32 v[177:178], v[2:3], v[28:29]
	v_mul_f64_e32 v[28:29], v[4:5], v[28:29]
	v_add_f64_e32 v[38:39], v[38:39], v[175:176]
	v_add_f64_e32 v[44:45], v[44:45], v[163:164]
	s_wait_loadcnt_dscnt 0x800
	v_mul_f64_e32 v[163:164], v[169:170], v[32:33]
	v_mul_f64_e32 v[32:33], v[171:172], v[32:33]
	v_fma_f64 v[173:174], v[4:5], v[26:27], v[177:178]
	v_fma_f64 v[175:176], v[2:3], v[26:27], -v[28:29]
	ds_load_b128 v[2:5], v1 offset:1568
	scratch_load_b128 v[26:29], off, off offset:848
	v_add_f64_e32 v[38:39], v[38:39], v[159:160]
	v_add_f64_e32 v[44:45], v[44:45], v[161:162]
	ds_load_b128 v[159:162], v1 offset:1584
	s_wait_loadcnt_dscnt 0x801
	v_mul_f64_e32 v[177:178], v[2:3], v[36:37]
	v_mul_f64_e32 v[36:37], v[4:5], v[36:37]
	v_fma_f64 v[163:164], v[171:172], v[30:31], v[163:164]
	v_fma_f64 v[169:170], v[169:170], v[30:31], -v[32:33]
	scratch_load_b128 v[30:33], off, off offset:864
	s_wait_loadcnt_dscnt 0x800
	v_mul_f64_e32 v[171:172], v[159:160], v[42:43]
	v_add_f64_e32 v[38:39], v[38:39], v[175:176]
	v_add_f64_e32 v[44:45], v[44:45], v[173:174]
	v_mul_f64_e32 v[42:43], v[161:162], v[42:43]
	v_fma_f64 v[173:174], v[4:5], v[34:35], v[177:178]
	v_fma_f64 v[175:176], v[2:3], v[34:35], -v[36:37]
	ds_load_b128 v[2:5], v1 offset:1600
	ds_load_b128 v[34:37], v1 offset:1616
	v_fma_f64 v[161:162], v[161:162], v[40:41], v[171:172]
	v_add_f64_e32 v[38:39], v[38:39], v[169:170]
	v_add_f64_e32 v[44:45], v[44:45], v[163:164]
	v_fma_f64 v[40:41], v[159:160], v[40:41], -v[42:43]
	s_wait_loadcnt_dscnt 0x601
	v_mul_f64_e32 v[163:164], v[2:3], v[167:168]
	v_mul_f64_e32 v[167:168], v[4:5], v[167:168]
	v_add_f64_e32 v[38:39], v[38:39], v[175:176]
	v_add_f64_e32 v[42:43], v[44:45], v[173:174]
	s_wait_dscnt 0x0
	v_mul_f64_e32 v[44:45], v[34:35], v[8:9]
	v_mul_f64_e32 v[8:9], v[36:37], v[8:9]
	v_fma_f64 v[159:160], v[4:5], v[165:166], v[163:164]
	v_fma_f64 v[163:164], v[2:3], v[165:166], -v[167:168]
	v_add_f64_e32 v[165:166], v[38:39], v[40:41]
	v_add_f64_e32 v[42:43], v[42:43], v[161:162]
	ds_load_b128 v[2:5], v1 offset:1632
	ds_load_b128 v[38:41], v1 offset:1648
	v_fma_f64 v[36:37], v[36:37], v[6:7], v[44:45]
	v_fma_f64 v[6:7], v[34:35], v[6:7], -v[8:9]
	s_wait_loadcnt_dscnt 0x501
	v_mul_f64_e32 v[161:162], v[2:3], v[12:13]
	v_mul_f64_e32 v[12:13], v[4:5], v[12:13]
	v_add_f64_e32 v[8:9], v[165:166], v[163:164]
	v_add_f64_e32 v[34:35], v[42:43], v[159:160]
	s_wait_loadcnt_dscnt 0x400
	v_mul_f64_e32 v[42:43], v[38:39], v[16:17]
	v_mul_f64_e32 v[16:17], v[40:41], v[16:17]
	v_fma_f64 v[44:45], v[4:5], v[10:11], v[161:162]
	v_fma_f64 v[10:11], v[2:3], v[10:11], -v[12:13]
	v_add_f64_e32 v[12:13], v[8:9], v[6:7]
	v_add_f64_e32 v[34:35], v[34:35], v[36:37]
	ds_load_b128 v[2:5], v1 offset:1664
	ds_load_b128 v[6:9], v1 offset:1680
	v_fma_f64 v[40:41], v[40:41], v[14:15], v[42:43]
	v_fma_f64 v[14:15], v[38:39], v[14:15], -v[16:17]
	s_wait_loadcnt_dscnt 0x301
	v_mul_f64_e32 v[36:37], v[2:3], v[20:21]
	v_mul_f64_e32 v[20:21], v[4:5], v[20:21]
	s_wait_loadcnt_dscnt 0x200
	v_mul_f64_e32 v[16:17], v[6:7], v[24:25]
	v_mul_f64_e32 v[24:25], v[8:9], v[24:25]
	v_add_f64_e32 v[10:11], v[12:13], v[10:11]
	v_add_f64_e32 v[12:13], v[34:35], v[44:45]
	v_fma_f64 v[34:35], v[4:5], v[18:19], v[36:37]
	v_fma_f64 v[18:19], v[2:3], v[18:19], -v[20:21]
	v_fma_f64 v[8:9], v[8:9], v[22:23], v[16:17]
	v_fma_f64 v[6:7], v[6:7], v[22:23], -v[24:25]
	v_add_f64_e32 v[14:15], v[10:11], v[14:15]
	v_add_f64_e32 v[20:21], v[12:13], v[40:41]
	ds_load_b128 v[2:5], v1 offset:1696
	ds_load_b128 v[10:13], v1 offset:1712
	s_wait_loadcnt_dscnt 0x101
	v_mul_f64_e32 v[36:37], v[2:3], v[28:29]
	v_mul_f64_e32 v[28:29], v[4:5], v[28:29]
	v_add_f64_e32 v[14:15], v[14:15], v[18:19]
	v_add_f64_e32 v[16:17], v[20:21], v[34:35]
	s_wait_loadcnt_dscnt 0x0
	v_mul_f64_e32 v[18:19], v[10:11], v[32:33]
	v_mul_f64_e32 v[20:21], v[12:13], v[32:33]
	v_fma_f64 v[4:5], v[4:5], v[26:27], v[36:37]
	v_fma_f64 v[1:2], v[2:3], v[26:27], -v[28:29]
	v_add_f64_e32 v[6:7], v[14:15], v[6:7]
	v_add_f64_e32 v[8:9], v[16:17], v[8:9]
	v_fma_f64 v[12:13], v[12:13], v[30:31], v[18:19]
	v_fma_f64 v[10:11], v[10:11], v[30:31], -v[20:21]
	s_delay_alu instid0(VALU_DEP_4) | instskip(NEXT) | instid1(VALU_DEP_4)
	v_add_f64_e32 v[1:2], v[6:7], v[1:2]
	v_add_f64_e32 v[3:4], v[8:9], v[4:5]
	s_delay_alu instid0(VALU_DEP_2) | instskip(NEXT) | instid1(VALU_DEP_2)
	v_add_f64_e32 v[1:2], v[1:2], v[10:11]
	v_add_f64_e32 v[3:4], v[3:4], v[12:13]
	s_delay_alu instid0(VALU_DEP_2) | instskip(NEXT) | instid1(VALU_DEP_2)
	v_add_f64_e64 v[1:2], v[155:156], -v[1:2]
	v_add_f64_e64 v[3:4], v[157:158], -v[3:4]
	scratch_store_b128 off, v[1:4], off offset:416
	v_cmpx_lt_u32_e32 24, v0
	s_cbranch_execz .LBB53_289
; %bb.288:
	scratch_load_b128 v[1:4], off, s37
	v_mov_b32_e32 v5, 0
	s_delay_alu instid0(VALU_DEP_1)
	v_dual_mov_b32 v6, v5 :: v_dual_mov_b32 v7, v5
	v_mov_b32_e32 v8, v5
	scratch_store_b128 off, v[5:8], off offset:400
	s_wait_loadcnt 0x0
	ds_store_b128 v154, v[1:4]
.LBB53_289:
	s_wait_alu 0xfffe
	s_or_b32 exec_lo, exec_lo, s0
	s_wait_storecnt_dscnt 0x0
	s_barrier_signal -1
	s_barrier_wait -1
	global_inv scope:SCOPE_SE
	s_clause 0x7
	scratch_load_b128 v[2:5], off, off offset:416
	scratch_load_b128 v[6:9], off, off offset:432
	;; [unrolled: 1-line block ×8, first 2 shown]
	v_mov_b32_e32 v1, 0
	s_mov_b32 s0, exec_lo
	ds_load_b128 v[34:37], v1 offset:1264
	s_clause 0x1
	scratch_load_b128 v[38:41], off, off offset:544
	scratch_load_b128 v[42:45], off, off offset:400
	ds_load_b128 v[155:158], v1 offset:1280
	scratch_load_b128 v[159:162], off, off offset:560
	s_wait_loadcnt_dscnt 0xa01
	v_mul_f64_e32 v[163:164], v[36:37], v[4:5]
	v_mul_f64_e32 v[4:5], v[34:35], v[4:5]
	s_delay_alu instid0(VALU_DEP_2) | instskip(NEXT) | instid1(VALU_DEP_2)
	v_fma_f64 v[169:170], v[34:35], v[2:3], -v[163:164]
	v_fma_f64 v[171:172], v[36:37], v[2:3], v[4:5]
	ds_load_b128 v[2:5], v1 offset:1296
	s_wait_loadcnt_dscnt 0x901
	v_mul_f64_e32 v[167:168], v[155:156], v[8:9]
	v_mul_f64_e32 v[8:9], v[157:158], v[8:9]
	scratch_load_b128 v[34:37], off, off offset:576
	ds_load_b128 v[163:166], v1 offset:1312
	s_wait_loadcnt_dscnt 0x901
	v_mul_f64_e32 v[173:174], v[2:3], v[12:13]
	v_mul_f64_e32 v[12:13], v[4:5], v[12:13]
	v_fma_f64 v[157:158], v[157:158], v[6:7], v[167:168]
	v_fma_f64 v[155:156], v[155:156], v[6:7], -v[8:9]
	v_add_f64_e32 v[167:168], 0, v[169:170]
	v_add_f64_e32 v[169:170], 0, v[171:172]
	scratch_load_b128 v[6:9], off, off offset:592
	v_fma_f64 v[173:174], v[4:5], v[10:11], v[173:174]
	v_fma_f64 v[175:176], v[2:3], v[10:11], -v[12:13]
	ds_load_b128 v[2:5], v1 offset:1328
	s_wait_loadcnt_dscnt 0x901
	v_mul_f64_e32 v[171:172], v[163:164], v[16:17]
	v_mul_f64_e32 v[16:17], v[165:166], v[16:17]
	scratch_load_b128 v[10:13], off, off offset:608
	v_add_f64_e32 v[167:168], v[167:168], v[155:156]
	v_add_f64_e32 v[169:170], v[169:170], v[157:158]
	s_wait_loadcnt_dscnt 0x900
	v_mul_f64_e32 v[177:178], v[2:3], v[20:21]
	v_mul_f64_e32 v[20:21], v[4:5], v[20:21]
	ds_load_b128 v[155:158], v1 offset:1344
	v_fma_f64 v[165:166], v[165:166], v[14:15], v[171:172]
	v_fma_f64 v[163:164], v[163:164], v[14:15], -v[16:17]
	scratch_load_b128 v[14:17], off, off offset:624
	v_add_f64_e32 v[167:168], v[167:168], v[175:176]
	v_add_f64_e32 v[169:170], v[169:170], v[173:174]
	v_fma_f64 v[173:174], v[4:5], v[18:19], v[177:178]
	v_fma_f64 v[175:176], v[2:3], v[18:19], -v[20:21]
	ds_load_b128 v[2:5], v1 offset:1360
	s_wait_loadcnt_dscnt 0x901
	v_mul_f64_e32 v[171:172], v[155:156], v[24:25]
	v_mul_f64_e32 v[24:25], v[157:158], v[24:25]
	scratch_load_b128 v[18:21], off, off offset:640
	s_wait_loadcnt_dscnt 0x900
	v_mul_f64_e32 v[177:178], v[2:3], v[28:29]
	v_mul_f64_e32 v[28:29], v[4:5], v[28:29]
	v_add_f64_e32 v[167:168], v[167:168], v[163:164]
	v_add_f64_e32 v[169:170], v[169:170], v[165:166]
	ds_load_b128 v[163:166], v1 offset:1376
	v_fma_f64 v[157:158], v[157:158], v[22:23], v[171:172]
	v_fma_f64 v[155:156], v[155:156], v[22:23], -v[24:25]
	scratch_load_b128 v[22:25], off, off offset:656
	v_add_f64_e32 v[167:168], v[167:168], v[175:176]
	v_add_f64_e32 v[169:170], v[169:170], v[173:174]
	v_fma_f64 v[173:174], v[4:5], v[26:27], v[177:178]
	v_fma_f64 v[175:176], v[2:3], v[26:27], -v[28:29]
	ds_load_b128 v[2:5], v1 offset:1392
	s_wait_loadcnt_dscnt 0x901
	v_mul_f64_e32 v[171:172], v[163:164], v[32:33]
	v_mul_f64_e32 v[32:33], v[165:166], v[32:33]
	scratch_load_b128 v[26:29], off, off offset:672
	s_wait_loadcnt_dscnt 0x900
	v_mul_f64_e32 v[177:178], v[2:3], v[40:41]
	v_mul_f64_e32 v[40:41], v[4:5], v[40:41]
	v_add_f64_e32 v[167:168], v[167:168], v[155:156]
	v_add_f64_e32 v[169:170], v[169:170], v[157:158]
	ds_load_b128 v[155:158], v1 offset:1408
	v_fma_f64 v[165:166], v[165:166], v[30:31], v[171:172]
	v_fma_f64 v[163:164], v[163:164], v[30:31], -v[32:33]
	scratch_load_b128 v[30:33], off, off offset:688
	v_add_f64_e32 v[167:168], v[167:168], v[175:176]
	v_add_f64_e32 v[169:170], v[169:170], v[173:174]
	v_fma_f64 v[175:176], v[4:5], v[38:39], v[177:178]
	v_fma_f64 v[177:178], v[2:3], v[38:39], -v[40:41]
	ds_load_b128 v[2:5], v1 offset:1424
	s_wait_loadcnt_dscnt 0x801
	v_mul_f64_e32 v[171:172], v[155:156], v[161:162]
	v_mul_f64_e32 v[173:174], v[157:158], v[161:162]
	scratch_load_b128 v[38:41], off, off offset:704
	v_add_f64_e32 v[167:168], v[167:168], v[163:164]
	v_add_f64_e32 v[165:166], v[169:170], v[165:166]
	ds_load_b128 v[161:164], v1 offset:1440
	v_fma_f64 v[171:172], v[157:158], v[159:160], v[171:172]
	v_fma_f64 v[159:160], v[155:156], v[159:160], -v[173:174]
	scratch_load_b128 v[155:158], off, off offset:720
	s_wait_loadcnt_dscnt 0x901
	v_mul_f64_e32 v[169:170], v[2:3], v[36:37]
	v_mul_f64_e32 v[36:37], v[4:5], v[36:37]
	v_add_f64_e32 v[167:168], v[167:168], v[177:178]
	v_add_f64_e32 v[165:166], v[165:166], v[175:176]
	s_delay_alu instid0(VALU_DEP_4) | instskip(NEXT) | instid1(VALU_DEP_4)
	v_fma_f64 v[169:170], v[4:5], v[34:35], v[169:170]
	v_fma_f64 v[175:176], v[2:3], v[34:35], -v[36:37]
	ds_load_b128 v[2:5], v1 offset:1456
	s_wait_loadcnt_dscnt 0x801
	v_mul_f64_e32 v[173:174], v[161:162], v[8:9]
	v_mul_f64_e32 v[8:9], v[163:164], v[8:9]
	scratch_load_b128 v[34:37], off, off offset:736
	s_wait_loadcnt_dscnt 0x800
	v_mul_f64_e32 v[177:178], v[2:3], v[12:13]
	v_add_f64_e32 v[159:160], v[167:168], v[159:160]
	v_add_f64_e32 v[171:172], v[165:166], v[171:172]
	v_mul_f64_e32 v[12:13], v[4:5], v[12:13]
	ds_load_b128 v[165:168], v1 offset:1472
	v_fma_f64 v[163:164], v[163:164], v[6:7], v[173:174]
	v_fma_f64 v[161:162], v[161:162], v[6:7], -v[8:9]
	scratch_load_b128 v[6:9], off, off offset:752
	v_fma_f64 v[173:174], v[4:5], v[10:11], v[177:178]
	v_add_f64_e32 v[159:160], v[159:160], v[175:176]
	v_add_f64_e32 v[169:170], v[171:172], v[169:170]
	v_fma_f64 v[175:176], v[2:3], v[10:11], -v[12:13]
	ds_load_b128 v[2:5], v1 offset:1488
	s_wait_loadcnt_dscnt 0x801
	v_mul_f64_e32 v[171:172], v[165:166], v[16:17]
	v_mul_f64_e32 v[16:17], v[167:168], v[16:17]
	scratch_load_b128 v[10:13], off, off offset:768
	v_add_f64_e32 v[177:178], v[159:160], v[161:162]
	v_add_f64_e32 v[163:164], v[169:170], v[163:164]
	s_wait_loadcnt_dscnt 0x800
	v_mul_f64_e32 v[169:170], v[2:3], v[20:21]
	v_mul_f64_e32 v[20:21], v[4:5], v[20:21]
	v_fma_f64 v[167:168], v[167:168], v[14:15], v[171:172]
	v_fma_f64 v[165:166], v[165:166], v[14:15], -v[16:17]
	ds_load_b128 v[159:162], v1 offset:1504
	scratch_load_b128 v[14:17], off, off offset:784
	v_add_f64_e32 v[171:172], v[177:178], v[175:176]
	v_add_f64_e32 v[163:164], v[163:164], v[173:174]
	v_fma_f64 v[169:170], v[4:5], v[18:19], v[169:170]
	v_fma_f64 v[175:176], v[2:3], v[18:19], -v[20:21]
	ds_load_b128 v[2:5], v1 offset:1520
	s_wait_loadcnt_dscnt 0x801
	v_mul_f64_e32 v[173:174], v[159:160], v[24:25]
	v_mul_f64_e32 v[24:25], v[161:162], v[24:25]
	scratch_load_b128 v[18:21], off, off offset:800
	s_wait_loadcnt_dscnt 0x800
	v_mul_f64_e32 v[177:178], v[2:3], v[28:29]
	v_mul_f64_e32 v[28:29], v[4:5], v[28:29]
	v_add_f64_e32 v[171:172], v[171:172], v[165:166]
	v_add_f64_e32 v[167:168], v[163:164], v[167:168]
	ds_load_b128 v[163:166], v1 offset:1536
	v_fma_f64 v[161:162], v[161:162], v[22:23], v[173:174]
	v_fma_f64 v[159:160], v[159:160], v[22:23], -v[24:25]
	scratch_load_b128 v[22:25], off, off offset:816
	v_fma_f64 v[173:174], v[4:5], v[26:27], v[177:178]
	v_add_f64_e32 v[171:172], v[171:172], v[175:176]
	v_add_f64_e32 v[167:168], v[167:168], v[169:170]
	v_fma_f64 v[175:176], v[2:3], v[26:27], -v[28:29]
	ds_load_b128 v[2:5], v1 offset:1552
	s_wait_loadcnt_dscnt 0x801
	v_mul_f64_e32 v[169:170], v[163:164], v[32:33]
	v_mul_f64_e32 v[32:33], v[165:166], v[32:33]
	scratch_load_b128 v[26:29], off, off offset:832
	s_wait_loadcnt_dscnt 0x800
	v_mul_f64_e32 v[177:178], v[2:3], v[40:41]
	v_mul_f64_e32 v[40:41], v[4:5], v[40:41]
	v_add_f64_e32 v[171:172], v[171:172], v[159:160]
	v_add_f64_e32 v[167:168], v[167:168], v[161:162]
	ds_load_b128 v[159:162], v1 offset:1568
	v_fma_f64 v[165:166], v[165:166], v[30:31], v[169:170]
	v_fma_f64 v[163:164], v[163:164], v[30:31], -v[32:33]
	scratch_load_b128 v[30:33], off, off offset:848
	v_add_f64_e32 v[169:170], v[171:172], v[175:176]
	v_add_f64_e32 v[167:168], v[167:168], v[173:174]
	v_fma_f64 v[173:174], v[4:5], v[38:39], v[177:178]
	v_fma_f64 v[175:176], v[2:3], v[38:39], -v[40:41]
	ds_load_b128 v[2:5], v1 offset:1584
	s_wait_loadcnt_dscnt 0x801
	v_mul_f64_e32 v[171:172], v[159:160], v[157:158]
	v_mul_f64_e32 v[157:158], v[161:162], v[157:158]
	scratch_load_b128 v[38:41], off, off offset:864
	s_wait_loadcnt_dscnt 0x800
	v_mul_f64_e32 v[177:178], v[2:3], v[36:37]
	v_mul_f64_e32 v[36:37], v[4:5], v[36:37]
	v_add_f64_e32 v[169:170], v[169:170], v[163:164]
	v_add_f64_e32 v[167:168], v[167:168], v[165:166]
	ds_load_b128 v[163:166], v1 offset:1600
	v_fma_f64 v[161:162], v[161:162], v[155:156], v[171:172]
	v_fma_f64 v[155:156], v[159:160], v[155:156], -v[157:158]
	v_fma_f64 v[171:172], v[2:3], v[34:35], -v[36:37]
	v_add_f64_e32 v[157:158], v[169:170], v[175:176]
	v_add_f64_e32 v[159:160], v[167:168], v[173:174]
	s_wait_loadcnt_dscnt 0x700
	v_mul_f64_e32 v[167:168], v[163:164], v[8:9]
	v_mul_f64_e32 v[8:9], v[165:166], v[8:9]
	v_fma_f64 v[169:170], v[4:5], v[34:35], v[177:178]
	ds_load_b128 v[2:5], v1 offset:1616
	ds_load_b128 v[34:37], v1 offset:1632
	v_add_f64_e32 v[155:156], v[157:158], v[155:156]
	v_add_f64_e32 v[157:158], v[159:160], v[161:162]
	s_wait_loadcnt_dscnt 0x601
	v_mul_f64_e32 v[159:160], v[2:3], v[12:13]
	v_mul_f64_e32 v[12:13], v[4:5], v[12:13]
	v_fma_f64 v[161:162], v[165:166], v[6:7], v[167:168]
	v_fma_f64 v[6:7], v[163:164], v[6:7], -v[8:9]
	v_add_f64_e32 v[8:9], v[155:156], v[171:172]
	v_add_f64_e32 v[155:156], v[157:158], v[169:170]
	s_wait_loadcnt_dscnt 0x500
	v_mul_f64_e32 v[157:158], v[34:35], v[16:17]
	v_mul_f64_e32 v[16:17], v[36:37], v[16:17]
	v_fma_f64 v[159:160], v[4:5], v[10:11], v[159:160]
	v_fma_f64 v[10:11], v[2:3], v[10:11], -v[12:13]
	v_add_f64_e32 v[12:13], v[8:9], v[6:7]
	v_add_f64_e32 v[155:156], v[155:156], v[161:162]
	ds_load_b128 v[2:5], v1 offset:1648
	ds_load_b128 v[6:9], v1 offset:1664
	v_fma_f64 v[36:37], v[36:37], v[14:15], v[157:158]
	v_fma_f64 v[14:15], v[34:35], v[14:15], -v[16:17]
	s_wait_loadcnt_dscnt 0x401
	v_mul_f64_e32 v[161:162], v[2:3], v[20:21]
	v_mul_f64_e32 v[20:21], v[4:5], v[20:21]
	s_wait_loadcnt_dscnt 0x300
	v_mul_f64_e32 v[16:17], v[6:7], v[24:25]
	v_mul_f64_e32 v[24:25], v[8:9], v[24:25]
	v_add_f64_e32 v[10:11], v[12:13], v[10:11]
	v_add_f64_e32 v[12:13], v[155:156], v[159:160]
	v_fma_f64 v[34:35], v[4:5], v[18:19], v[161:162]
	v_fma_f64 v[18:19], v[2:3], v[18:19], -v[20:21]
	v_fma_f64 v[8:9], v[8:9], v[22:23], v[16:17]
	v_fma_f64 v[6:7], v[6:7], v[22:23], -v[24:25]
	v_add_f64_e32 v[14:15], v[10:11], v[14:15]
	v_add_f64_e32 v[20:21], v[12:13], v[36:37]
	ds_load_b128 v[2:5], v1 offset:1680
	ds_load_b128 v[10:13], v1 offset:1696
	s_wait_loadcnt_dscnt 0x201
	v_mul_f64_e32 v[36:37], v[2:3], v[28:29]
	v_mul_f64_e32 v[28:29], v[4:5], v[28:29]
	v_add_f64_e32 v[14:15], v[14:15], v[18:19]
	v_add_f64_e32 v[16:17], v[20:21], v[34:35]
	s_wait_loadcnt_dscnt 0x100
	v_mul_f64_e32 v[18:19], v[10:11], v[32:33]
	v_mul_f64_e32 v[20:21], v[12:13], v[32:33]
	v_fma_f64 v[22:23], v[4:5], v[26:27], v[36:37]
	v_fma_f64 v[24:25], v[2:3], v[26:27], -v[28:29]
	ds_load_b128 v[2:5], v1 offset:1712
	v_add_f64_e32 v[6:7], v[14:15], v[6:7]
	v_add_f64_e32 v[8:9], v[16:17], v[8:9]
	v_fma_f64 v[12:13], v[12:13], v[30:31], v[18:19]
	v_fma_f64 v[10:11], v[10:11], v[30:31], -v[20:21]
	s_wait_loadcnt_dscnt 0x0
	v_mul_f64_e32 v[14:15], v[2:3], v[40:41]
	v_mul_f64_e32 v[16:17], v[4:5], v[40:41]
	v_add_f64_e32 v[6:7], v[6:7], v[24:25]
	v_add_f64_e32 v[8:9], v[8:9], v[22:23]
	s_delay_alu instid0(VALU_DEP_4) | instskip(NEXT) | instid1(VALU_DEP_4)
	v_fma_f64 v[4:5], v[4:5], v[38:39], v[14:15]
	v_fma_f64 v[2:3], v[2:3], v[38:39], -v[16:17]
	s_delay_alu instid0(VALU_DEP_4) | instskip(NEXT) | instid1(VALU_DEP_4)
	v_add_f64_e32 v[6:7], v[6:7], v[10:11]
	v_add_f64_e32 v[8:9], v[8:9], v[12:13]
	s_delay_alu instid0(VALU_DEP_2) | instskip(NEXT) | instid1(VALU_DEP_2)
	v_add_f64_e32 v[2:3], v[6:7], v[2:3]
	v_add_f64_e32 v[4:5], v[8:9], v[4:5]
	s_delay_alu instid0(VALU_DEP_2) | instskip(NEXT) | instid1(VALU_DEP_2)
	v_add_f64_e64 v[2:3], v[42:43], -v[2:3]
	v_add_f64_e64 v[4:5], v[44:45], -v[4:5]
	scratch_store_b128 off, v[2:5], off offset:400
	v_cmpx_lt_u32_e32 23, v0
	s_cbranch_execz .LBB53_291
; %bb.290:
	scratch_load_b128 v[5:8], off, s36
	v_dual_mov_b32 v2, v1 :: v_dual_mov_b32 v3, v1
	v_mov_b32_e32 v4, v1
	scratch_store_b128 off, v[1:4], off offset:384
	s_wait_loadcnt 0x0
	ds_store_b128 v154, v[5:8]
.LBB53_291:
	s_wait_alu 0xfffe
	s_or_b32 exec_lo, exec_lo, s0
	s_wait_storecnt_dscnt 0x0
	s_barrier_signal -1
	s_barrier_wait -1
	global_inv scope:SCOPE_SE
	s_clause 0x8
	scratch_load_b128 v[2:5], off, off offset:400
	scratch_load_b128 v[6:9], off, off offset:416
	;; [unrolled: 1-line block ×9, first 2 shown]
	ds_load_b128 v[38:41], v1 offset:1248
	ds_load_b128 v[42:45], v1 offset:1264
	s_clause 0x1
	scratch_load_b128 v[155:158], off, off offset:384
	scratch_load_b128 v[159:162], off, off offset:544
	s_mov_b32 s0, exec_lo
	s_wait_loadcnt_dscnt 0xa01
	v_mul_f64_e32 v[163:164], v[40:41], v[4:5]
	v_mul_f64_e32 v[4:5], v[38:39], v[4:5]
	s_wait_loadcnt_dscnt 0x900
	v_mul_f64_e32 v[167:168], v[42:43], v[8:9]
	v_mul_f64_e32 v[8:9], v[44:45], v[8:9]
	s_delay_alu instid0(VALU_DEP_4) | instskip(NEXT) | instid1(VALU_DEP_4)
	v_fma_f64 v[169:170], v[38:39], v[2:3], -v[163:164]
	v_fma_f64 v[171:172], v[40:41], v[2:3], v[4:5]
	ds_load_b128 v[2:5], v1 offset:1280
	ds_load_b128 v[163:166], v1 offset:1296
	scratch_load_b128 v[38:41], off, off offset:560
	v_fma_f64 v[44:45], v[44:45], v[6:7], v[167:168]
	v_fma_f64 v[42:43], v[42:43], v[6:7], -v[8:9]
	scratch_load_b128 v[6:9], off, off offset:576
	s_wait_loadcnt_dscnt 0xa01
	v_mul_f64_e32 v[173:174], v[2:3], v[12:13]
	v_mul_f64_e32 v[12:13], v[4:5], v[12:13]
	v_add_f64_e32 v[167:168], 0, v[169:170]
	v_add_f64_e32 v[169:170], 0, v[171:172]
	s_wait_loadcnt_dscnt 0x900
	v_mul_f64_e32 v[171:172], v[163:164], v[16:17]
	v_mul_f64_e32 v[16:17], v[165:166], v[16:17]
	v_fma_f64 v[173:174], v[4:5], v[10:11], v[173:174]
	v_fma_f64 v[175:176], v[2:3], v[10:11], -v[12:13]
	ds_load_b128 v[2:5], v1 offset:1312
	scratch_load_b128 v[10:13], off, off offset:592
	v_add_f64_e32 v[167:168], v[167:168], v[42:43]
	v_add_f64_e32 v[169:170], v[169:170], v[44:45]
	ds_load_b128 v[42:45], v1 offset:1328
	v_fma_f64 v[165:166], v[165:166], v[14:15], v[171:172]
	v_fma_f64 v[163:164], v[163:164], v[14:15], -v[16:17]
	scratch_load_b128 v[14:17], off, off offset:608
	s_wait_loadcnt_dscnt 0xa01
	v_mul_f64_e32 v[177:178], v[2:3], v[20:21]
	v_mul_f64_e32 v[20:21], v[4:5], v[20:21]
	s_wait_loadcnt_dscnt 0x900
	v_mul_f64_e32 v[171:172], v[42:43], v[24:25]
	v_mul_f64_e32 v[24:25], v[44:45], v[24:25]
	v_add_f64_e32 v[167:168], v[167:168], v[175:176]
	v_add_f64_e32 v[169:170], v[169:170], v[173:174]
	v_fma_f64 v[173:174], v[4:5], v[18:19], v[177:178]
	v_fma_f64 v[175:176], v[2:3], v[18:19], -v[20:21]
	ds_load_b128 v[2:5], v1 offset:1344
	scratch_load_b128 v[18:21], off, off offset:624
	v_fma_f64 v[44:45], v[44:45], v[22:23], v[171:172]
	v_fma_f64 v[42:43], v[42:43], v[22:23], -v[24:25]
	scratch_load_b128 v[22:25], off, off offset:640
	v_add_f64_e32 v[167:168], v[167:168], v[163:164]
	v_add_f64_e32 v[169:170], v[169:170], v[165:166]
	ds_load_b128 v[163:166], v1 offset:1360
	s_wait_loadcnt_dscnt 0xa01
	v_mul_f64_e32 v[177:178], v[2:3], v[28:29]
	v_mul_f64_e32 v[28:29], v[4:5], v[28:29]
	s_wait_loadcnt_dscnt 0x900
	v_mul_f64_e32 v[171:172], v[163:164], v[32:33]
	v_mul_f64_e32 v[32:33], v[165:166], v[32:33]
	v_add_f64_e32 v[167:168], v[167:168], v[175:176]
	v_add_f64_e32 v[169:170], v[169:170], v[173:174]
	v_fma_f64 v[173:174], v[4:5], v[26:27], v[177:178]
	v_fma_f64 v[175:176], v[2:3], v[26:27], -v[28:29]
	ds_load_b128 v[2:5], v1 offset:1376
	scratch_load_b128 v[26:29], off, off offset:656
	v_fma_f64 v[165:166], v[165:166], v[30:31], v[171:172]
	v_fma_f64 v[163:164], v[163:164], v[30:31], -v[32:33]
	scratch_load_b128 v[30:33], off, off offset:672
	v_add_f64_e32 v[167:168], v[167:168], v[42:43]
	v_add_f64_e32 v[169:170], v[169:170], v[44:45]
	ds_load_b128 v[42:45], v1 offset:1392
	s_wait_loadcnt_dscnt 0xa01
	v_mul_f64_e32 v[177:178], v[2:3], v[36:37]
	v_mul_f64_e32 v[36:37], v[4:5], v[36:37]
	s_wait_loadcnt_dscnt 0x800
	v_mul_f64_e32 v[171:172], v[42:43], v[161:162]
	v_add_f64_e32 v[167:168], v[167:168], v[175:176]
	v_add_f64_e32 v[169:170], v[169:170], v[173:174]
	v_mul_f64_e32 v[173:174], v[44:45], v[161:162]
	v_fma_f64 v[175:176], v[4:5], v[34:35], v[177:178]
	v_fma_f64 v[177:178], v[2:3], v[34:35], -v[36:37]
	ds_load_b128 v[2:5], v1 offset:1408
	scratch_load_b128 v[34:37], off, off offset:688
	v_fma_f64 v[44:45], v[44:45], v[159:160], v[171:172]
	v_add_f64_e32 v[167:168], v[167:168], v[163:164]
	v_add_f64_e32 v[165:166], v[169:170], v[165:166]
	ds_load_b128 v[161:164], v1 offset:1424
	v_fma_f64 v[159:160], v[42:43], v[159:160], -v[173:174]
	s_wait_loadcnt_dscnt 0x801
	v_mul_f64_e32 v[169:170], v[2:3], v[40:41]
	v_mul_f64_e32 v[179:180], v[4:5], v[40:41]
	scratch_load_b128 v[40:43], off, off offset:704
	s_wait_loadcnt_dscnt 0x800
	v_mul_f64_e32 v[173:174], v[161:162], v[8:9]
	v_mul_f64_e32 v[8:9], v[163:164], v[8:9]
	v_add_f64_e32 v[167:168], v[167:168], v[177:178]
	v_add_f64_e32 v[165:166], v[165:166], v[175:176]
	v_fma_f64 v[175:176], v[4:5], v[38:39], v[169:170]
	v_fma_f64 v[38:39], v[2:3], v[38:39], -v[179:180]
	ds_load_b128 v[2:5], v1 offset:1440
	ds_load_b128 v[169:172], v1 offset:1456
	v_fma_f64 v[163:164], v[163:164], v[6:7], v[173:174]
	v_fma_f64 v[161:162], v[161:162], v[6:7], -v[8:9]
	scratch_load_b128 v[6:9], off, off offset:736
	v_add_f64_e32 v[159:160], v[167:168], v[159:160]
	v_add_f64_e32 v[44:45], v[165:166], v[44:45]
	scratch_load_b128 v[165:168], off, off offset:720
	s_wait_loadcnt_dscnt 0x901
	v_mul_f64_e32 v[177:178], v[2:3], v[12:13]
	v_mul_f64_e32 v[12:13], v[4:5], v[12:13]
	s_wait_loadcnt_dscnt 0x800
	v_mul_f64_e32 v[173:174], v[169:170], v[16:17]
	v_mul_f64_e32 v[16:17], v[171:172], v[16:17]
	v_add_f64_e32 v[38:39], v[159:160], v[38:39]
	v_add_f64_e32 v[44:45], v[44:45], v[175:176]
	v_fma_f64 v[175:176], v[4:5], v[10:11], v[177:178]
	v_fma_f64 v[177:178], v[2:3], v[10:11], -v[12:13]
	ds_load_b128 v[2:5], v1 offset:1472
	scratch_load_b128 v[10:13], off, off offset:752
	v_fma_f64 v[171:172], v[171:172], v[14:15], v[173:174]
	v_fma_f64 v[169:170], v[169:170], v[14:15], -v[16:17]
	scratch_load_b128 v[14:17], off, off offset:768
	v_add_f64_e32 v[38:39], v[38:39], v[161:162]
	v_add_f64_e32 v[44:45], v[44:45], v[163:164]
	ds_load_b128 v[159:162], v1 offset:1488
	s_wait_loadcnt_dscnt 0x901
	v_mul_f64_e32 v[163:164], v[2:3], v[20:21]
	v_mul_f64_e32 v[20:21], v[4:5], v[20:21]
	s_wait_loadcnt_dscnt 0x800
	v_mul_f64_e32 v[173:174], v[159:160], v[24:25]
	v_mul_f64_e32 v[24:25], v[161:162], v[24:25]
	v_add_f64_e32 v[38:39], v[38:39], v[177:178]
	v_add_f64_e32 v[44:45], v[44:45], v[175:176]
	v_fma_f64 v[163:164], v[4:5], v[18:19], v[163:164]
	v_fma_f64 v[175:176], v[2:3], v[18:19], -v[20:21]
	ds_load_b128 v[2:5], v1 offset:1504
	scratch_load_b128 v[18:21], off, off offset:784
	v_fma_f64 v[161:162], v[161:162], v[22:23], v[173:174]
	v_fma_f64 v[159:160], v[159:160], v[22:23], -v[24:25]
	scratch_load_b128 v[22:25], off, off offset:800
	v_add_f64_e32 v[38:39], v[38:39], v[169:170]
	v_add_f64_e32 v[44:45], v[44:45], v[171:172]
	ds_load_b128 v[169:172], v1 offset:1520
	s_wait_loadcnt_dscnt 0x901
	v_mul_f64_e32 v[177:178], v[2:3], v[28:29]
	v_mul_f64_e32 v[28:29], v[4:5], v[28:29]
	v_add_f64_e32 v[38:39], v[38:39], v[175:176]
	v_add_f64_e32 v[44:45], v[44:45], v[163:164]
	s_wait_loadcnt_dscnt 0x800
	v_mul_f64_e32 v[163:164], v[169:170], v[32:33]
	v_mul_f64_e32 v[32:33], v[171:172], v[32:33]
	v_fma_f64 v[173:174], v[4:5], v[26:27], v[177:178]
	v_fma_f64 v[175:176], v[2:3], v[26:27], -v[28:29]
	ds_load_b128 v[2:5], v1 offset:1536
	scratch_load_b128 v[26:29], off, off offset:816
	v_add_f64_e32 v[38:39], v[38:39], v[159:160]
	v_add_f64_e32 v[44:45], v[44:45], v[161:162]
	ds_load_b128 v[159:162], v1 offset:1552
	s_wait_loadcnt_dscnt 0x801
	v_mul_f64_e32 v[177:178], v[2:3], v[36:37]
	v_mul_f64_e32 v[36:37], v[4:5], v[36:37]
	v_fma_f64 v[163:164], v[171:172], v[30:31], v[163:164]
	v_fma_f64 v[169:170], v[169:170], v[30:31], -v[32:33]
	scratch_load_b128 v[30:33], off, off offset:832
	s_wait_loadcnt_dscnt 0x800
	v_mul_f64_e32 v[171:172], v[159:160], v[42:43]
	v_add_f64_e32 v[38:39], v[38:39], v[175:176]
	v_add_f64_e32 v[44:45], v[44:45], v[173:174]
	v_mul_f64_e32 v[173:174], v[161:162], v[42:43]
	v_fma_f64 v[175:176], v[4:5], v[34:35], v[177:178]
	v_fma_f64 v[177:178], v[2:3], v[34:35], -v[36:37]
	ds_load_b128 v[2:5], v1 offset:1568
	scratch_load_b128 v[34:37], off, off offset:848
	v_fma_f64 v[161:162], v[161:162], v[40:41], v[171:172]
	v_add_f64_e32 v[38:39], v[38:39], v[169:170]
	v_add_f64_e32 v[163:164], v[44:45], v[163:164]
	ds_load_b128 v[42:45], v1 offset:1584
	v_fma_f64 v[159:160], v[159:160], v[40:41], -v[173:174]
	s_wait_loadcnt_dscnt 0x701
	v_mul_f64_e32 v[169:170], v[2:3], v[167:168]
	v_mul_f64_e32 v[167:168], v[4:5], v[167:168]
	s_wait_dscnt 0x0
	v_mul_f64_e32 v[173:174], v[42:43], v[8:9]
	v_mul_f64_e32 v[8:9], v[44:45], v[8:9]
	v_add_f64_e32 v[171:172], v[38:39], v[177:178]
	v_add_f64_e32 v[163:164], v[163:164], v[175:176]
	scratch_load_b128 v[38:41], off, off offset:864
	v_fma_f64 v[169:170], v[4:5], v[165:166], v[169:170]
	v_fma_f64 v[165:166], v[2:3], v[165:166], -v[167:168]
	v_fma_f64 v[44:45], v[44:45], v[6:7], v[173:174]
	v_fma_f64 v[6:7], v[42:43], v[6:7], -v[8:9]
	v_add_f64_e32 v[167:168], v[171:172], v[159:160]
	v_add_f64_e32 v[163:164], v[163:164], v[161:162]
	ds_load_b128 v[2:5], v1 offset:1600
	ds_load_b128 v[159:162], v1 offset:1616
	s_wait_loadcnt_dscnt 0x701
	v_mul_f64_e32 v[171:172], v[2:3], v[12:13]
	v_mul_f64_e32 v[12:13], v[4:5], v[12:13]
	v_add_f64_e32 v[8:9], v[167:168], v[165:166]
	v_add_f64_e32 v[42:43], v[163:164], v[169:170]
	s_wait_loadcnt_dscnt 0x600
	v_mul_f64_e32 v[163:164], v[159:160], v[16:17]
	v_mul_f64_e32 v[16:17], v[161:162], v[16:17]
	v_fma_f64 v[165:166], v[4:5], v[10:11], v[171:172]
	v_fma_f64 v[10:11], v[2:3], v[10:11], -v[12:13]
	v_add_f64_e32 v[12:13], v[8:9], v[6:7]
	v_add_f64_e32 v[42:43], v[42:43], v[44:45]
	ds_load_b128 v[2:5], v1 offset:1632
	ds_load_b128 v[6:9], v1 offset:1648
	v_fma_f64 v[161:162], v[161:162], v[14:15], v[163:164]
	v_fma_f64 v[14:15], v[159:160], v[14:15], -v[16:17]
	s_wait_loadcnt_dscnt 0x501
	v_mul_f64_e32 v[44:45], v[2:3], v[20:21]
	v_mul_f64_e32 v[20:21], v[4:5], v[20:21]
	s_wait_loadcnt_dscnt 0x400
	v_mul_f64_e32 v[16:17], v[6:7], v[24:25]
	v_mul_f64_e32 v[24:25], v[8:9], v[24:25]
	v_add_f64_e32 v[10:11], v[12:13], v[10:11]
	v_add_f64_e32 v[12:13], v[42:43], v[165:166]
	v_fma_f64 v[42:43], v[4:5], v[18:19], v[44:45]
	v_fma_f64 v[18:19], v[2:3], v[18:19], -v[20:21]
	v_fma_f64 v[8:9], v[8:9], v[22:23], v[16:17]
	v_fma_f64 v[6:7], v[6:7], v[22:23], -v[24:25]
	v_add_f64_e32 v[14:15], v[10:11], v[14:15]
	v_add_f64_e32 v[20:21], v[12:13], v[161:162]
	ds_load_b128 v[2:5], v1 offset:1664
	ds_load_b128 v[10:13], v1 offset:1680
	s_wait_loadcnt_dscnt 0x301
	v_mul_f64_e32 v[44:45], v[2:3], v[28:29]
	v_mul_f64_e32 v[28:29], v[4:5], v[28:29]
	v_add_f64_e32 v[14:15], v[14:15], v[18:19]
	v_add_f64_e32 v[16:17], v[20:21], v[42:43]
	s_wait_loadcnt_dscnt 0x200
	v_mul_f64_e32 v[18:19], v[10:11], v[32:33]
	v_mul_f64_e32 v[20:21], v[12:13], v[32:33]
	v_fma_f64 v[22:23], v[4:5], v[26:27], v[44:45]
	v_fma_f64 v[24:25], v[2:3], v[26:27], -v[28:29]
	v_add_f64_e32 v[14:15], v[14:15], v[6:7]
	v_add_f64_e32 v[16:17], v[16:17], v[8:9]
	ds_load_b128 v[2:5], v1 offset:1696
	ds_load_b128 v[6:9], v1 offset:1712
	v_fma_f64 v[12:13], v[12:13], v[30:31], v[18:19]
	v_fma_f64 v[10:11], v[10:11], v[30:31], -v[20:21]
	s_wait_loadcnt_dscnt 0x101
	v_mul_f64_e32 v[26:27], v[2:3], v[36:37]
	v_mul_f64_e32 v[28:29], v[4:5], v[36:37]
	v_add_f64_e32 v[14:15], v[14:15], v[24:25]
	v_add_f64_e32 v[16:17], v[16:17], v[22:23]
	s_wait_loadcnt_dscnt 0x0
	v_mul_f64_e32 v[18:19], v[6:7], v[40:41]
	v_mul_f64_e32 v[20:21], v[8:9], v[40:41]
	v_fma_f64 v[4:5], v[4:5], v[34:35], v[26:27]
	v_fma_f64 v[1:2], v[2:3], v[34:35], -v[28:29]
	v_add_f64_e32 v[10:11], v[14:15], v[10:11]
	v_add_f64_e32 v[12:13], v[16:17], v[12:13]
	v_fma_f64 v[8:9], v[8:9], v[38:39], v[18:19]
	v_fma_f64 v[6:7], v[6:7], v[38:39], -v[20:21]
	s_delay_alu instid0(VALU_DEP_4) | instskip(NEXT) | instid1(VALU_DEP_4)
	v_add_f64_e32 v[1:2], v[10:11], v[1:2]
	v_add_f64_e32 v[3:4], v[12:13], v[4:5]
	s_delay_alu instid0(VALU_DEP_2) | instskip(NEXT) | instid1(VALU_DEP_2)
	v_add_f64_e32 v[1:2], v[1:2], v[6:7]
	v_add_f64_e32 v[3:4], v[3:4], v[8:9]
	s_delay_alu instid0(VALU_DEP_2) | instskip(NEXT) | instid1(VALU_DEP_2)
	v_add_f64_e64 v[1:2], v[155:156], -v[1:2]
	v_add_f64_e64 v[3:4], v[157:158], -v[3:4]
	scratch_store_b128 off, v[1:4], off offset:384
	v_cmpx_lt_u32_e32 22, v0
	s_cbranch_execz .LBB53_293
; %bb.292:
	scratch_load_b128 v[1:4], off, s38
	v_mov_b32_e32 v5, 0
	s_delay_alu instid0(VALU_DEP_1)
	v_dual_mov_b32 v6, v5 :: v_dual_mov_b32 v7, v5
	v_mov_b32_e32 v8, v5
	scratch_store_b128 off, v[5:8], off offset:368
	s_wait_loadcnt 0x0
	ds_store_b128 v154, v[1:4]
.LBB53_293:
	s_wait_alu 0xfffe
	s_or_b32 exec_lo, exec_lo, s0
	s_wait_storecnt_dscnt 0x0
	s_barrier_signal -1
	s_barrier_wait -1
	global_inv scope:SCOPE_SE
	s_clause 0x7
	scratch_load_b128 v[2:5], off, off offset:384
	scratch_load_b128 v[6:9], off, off offset:400
	;; [unrolled: 1-line block ×8, first 2 shown]
	v_mov_b32_e32 v1, 0
	s_mov_b32 s0, exec_lo
	ds_load_b128 v[34:37], v1 offset:1232
	s_clause 0x1
	scratch_load_b128 v[38:41], off, off offset:512
	scratch_load_b128 v[42:45], off, off offset:368
	ds_load_b128 v[155:158], v1 offset:1248
	scratch_load_b128 v[159:162], off, off offset:528
	s_wait_loadcnt_dscnt 0xa01
	v_mul_f64_e32 v[163:164], v[36:37], v[4:5]
	v_mul_f64_e32 v[4:5], v[34:35], v[4:5]
	s_delay_alu instid0(VALU_DEP_2) | instskip(NEXT) | instid1(VALU_DEP_2)
	v_fma_f64 v[169:170], v[34:35], v[2:3], -v[163:164]
	v_fma_f64 v[171:172], v[36:37], v[2:3], v[4:5]
	ds_load_b128 v[2:5], v1 offset:1264
	s_wait_loadcnt_dscnt 0x901
	v_mul_f64_e32 v[167:168], v[155:156], v[8:9]
	v_mul_f64_e32 v[8:9], v[157:158], v[8:9]
	scratch_load_b128 v[34:37], off, off offset:544
	ds_load_b128 v[163:166], v1 offset:1280
	s_wait_loadcnt_dscnt 0x901
	v_mul_f64_e32 v[173:174], v[2:3], v[12:13]
	v_mul_f64_e32 v[12:13], v[4:5], v[12:13]
	v_fma_f64 v[157:158], v[157:158], v[6:7], v[167:168]
	v_fma_f64 v[155:156], v[155:156], v[6:7], -v[8:9]
	v_add_f64_e32 v[167:168], 0, v[169:170]
	v_add_f64_e32 v[169:170], 0, v[171:172]
	scratch_load_b128 v[6:9], off, off offset:560
	v_fma_f64 v[173:174], v[4:5], v[10:11], v[173:174]
	v_fma_f64 v[175:176], v[2:3], v[10:11], -v[12:13]
	ds_load_b128 v[2:5], v1 offset:1296
	s_wait_loadcnt_dscnt 0x901
	v_mul_f64_e32 v[171:172], v[163:164], v[16:17]
	v_mul_f64_e32 v[16:17], v[165:166], v[16:17]
	scratch_load_b128 v[10:13], off, off offset:576
	v_add_f64_e32 v[167:168], v[167:168], v[155:156]
	v_add_f64_e32 v[169:170], v[169:170], v[157:158]
	s_wait_loadcnt_dscnt 0x900
	v_mul_f64_e32 v[177:178], v[2:3], v[20:21]
	v_mul_f64_e32 v[20:21], v[4:5], v[20:21]
	ds_load_b128 v[155:158], v1 offset:1312
	v_fma_f64 v[165:166], v[165:166], v[14:15], v[171:172]
	v_fma_f64 v[163:164], v[163:164], v[14:15], -v[16:17]
	scratch_load_b128 v[14:17], off, off offset:592
	v_add_f64_e32 v[167:168], v[167:168], v[175:176]
	v_add_f64_e32 v[169:170], v[169:170], v[173:174]
	v_fma_f64 v[173:174], v[4:5], v[18:19], v[177:178]
	v_fma_f64 v[175:176], v[2:3], v[18:19], -v[20:21]
	ds_load_b128 v[2:5], v1 offset:1328
	s_wait_loadcnt_dscnt 0x901
	v_mul_f64_e32 v[171:172], v[155:156], v[24:25]
	v_mul_f64_e32 v[24:25], v[157:158], v[24:25]
	scratch_load_b128 v[18:21], off, off offset:608
	s_wait_loadcnt_dscnt 0x900
	v_mul_f64_e32 v[177:178], v[2:3], v[28:29]
	v_mul_f64_e32 v[28:29], v[4:5], v[28:29]
	v_add_f64_e32 v[167:168], v[167:168], v[163:164]
	v_add_f64_e32 v[169:170], v[169:170], v[165:166]
	ds_load_b128 v[163:166], v1 offset:1344
	v_fma_f64 v[157:158], v[157:158], v[22:23], v[171:172]
	v_fma_f64 v[155:156], v[155:156], v[22:23], -v[24:25]
	scratch_load_b128 v[22:25], off, off offset:624
	v_add_f64_e32 v[167:168], v[167:168], v[175:176]
	v_add_f64_e32 v[169:170], v[169:170], v[173:174]
	v_fma_f64 v[173:174], v[4:5], v[26:27], v[177:178]
	v_fma_f64 v[175:176], v[2:3], v[26:27], -v[28:29]
	ds_load_b128 v[2:5], v1 offset:1360
	s_wait_loadcnt_dscnt 0x901
	v_mul_f64_e32 v[171:172], v[163:164], v[32:33]
	v_mul_f64_e32 v[32:33], v[165:166], v[32:33]
	scratch_load_b128 v[26:29], off, off offset:640
	s_wait_loadcnt_dscnt 0x900
	v_mul_f64_e32 v[177:178], v[2:3], v[40:41]
	v_mul_f64_e32 v[40:41], v[4:5], v[40:41]
	v_add_f64_e32 v[167:168], v[167:168], v[155:156]
	v_add_f64_e32 v[169:170], v[169:170], v[157:158]
	ds_load_b128 v[155:158], v1 offset:1376
	v_fma_f64 v[165:166], v[165:166], v[30:31], v[171:172]
	v_fma_f64 v[163:164], v[163:164], v[30:31], -v[32:33]
	scratch_load_b128 v[30:33], off, off offset:656
	v_add_f64_e32 v[167:168], v[167:168], v[175:176]
	v_add_f64_e32 v[169:170], v[169:170], v[173:174]
	v_fma_f64 v[175:176], v[4:5], v[38:39], v[177:178]
	v_fma_f64 v[177:178], v[2:3], v[38:39], -v[40:41]
	ds_load_b128 v[2:5], v1 offset:1392
	s_wait_loadcnt_dscnt 0x801
	v_mul_f64_e32 v[171:172], v[155:156], v[161:162]
	v_mul_f64_e32 v[173:174], v[157:158], v[161:162]
	scratch_load_b128 v[38:41], off, off offset:672
	v_add_f64_e32 v[167:168], v[167:168], v[163:164]
	v_add_f64_e32 v[165:166], v[169:170], v[165:166]
	ds_load_b128 v[161:164], v1 offset:1408
	v_fma_f64 v[171:172], v[157:158], v[159:160], v[171:172]
	v_fma_f64 v[159:160], v[155:156], v[159:160], -v[173:174]
	scratch_load_b128 v[155:158], off, off offset:688
	s_wait_loadcnt_dscnt 0x901
	v_mul_f64_e32 v[169:170], v[2:3], v[36:37]
	v_mul_f64_e32 v[36:37], v[4:5], v[36:37]
	v_add_f64_e32 v[167:168], v[167:168], v[177:178]
	v_add_f64_e32 v[165:166], v[165:166], v[175:176]
	s_delay_alu instid0(VALU_DEP_4) | instskip(NEXT) | instid1(VALU_DEP_4)
	v_fma_f64 v[169:170], v[4:5], v[34:35], v[169:170]
	v_fma_f64 v[175:176], v[2:3], v[34:35], -v[36:37]
	ds_load_b128 v[2:5], v1 offset:1424
	s_wait_loadcnt_dscnt 0x801
	v_mul_f64_e32 v[173:174], v[161:162], v[8:9]
	v_mul_f64_e32 v[8:9], v[163:164], v[8:9]
	scratch_load_b128 v[34:37], off, off offset:704
	s_wait_loadcnt_dscnt 0x800
	v_mul_f64_e32 v[177:178], v[2:3], v[12:13]
	v_add_f64_e32 v[159:160], v[167:168], v[159:160]
	v_add_f64_e32 v[171:172], v[165:166], v[171:172]
	v_mul_f64_e32 v[12:13], v[4:5], v[12:13]
	ds_load_b128 v[165:168], v1 offset:1440
	v_fma_f64 v[163:164], v[163:164], v[6:7], v[173:174]
	v_fma_f64 v[161:162], v[161:162], v[6:7], -v[8:9]
	scratch_load_b128 v[6:9], off, off offset:720
	v_fma_f64 v[173:174], v[4:5], v[10:11], v[177:178]
	v_add_f64_e32 v[159:160], v[159:160], v[175:176]
	v_add_f64_e32 v[169:170], v[171:172], v[169:170]
	v_fma_f64 v[175:176], v[2:3], v[10:11], -v[12:13]
	ds_load_b128 v[2:5], v1 offset:1456
	s_wait_loadcnt_dscnt 0x801
	v_mul_f64_e32 v[171:172], v[165:166], v[16:17]
	v_mul_f64_e32 v[16:17], v[167:168], v[16:17]
	scratch_load_b128 v[10:13], off, off offset:736
	v_add_f64_e32 v[177:178], v[159:160], v[161:162]
	v_add_f64_e32 v[163:164], v[169:170], v[163:164]
	s_wait_loadcnt_dscnt 0x800
	v_mul_f64_e32 v[169:170], v[2:3], v[20:21]
	v_mul_f64_e32 v[20:21], v[4:5], v[20:21]
	v_fma_f64 v[167:168], v[167:168], v[14:15], v[171:172]
	v_fma_f64 v[165:166], v[165:166], v[14:15], -v[16:17]
	ds_load_b128 v[159:162], v1 offset:1472
	scratch_load_b128 v[14:17], off, off offset:752
	v_add_f64_e32 v[171:172], v[177:178], v[175:176]
	v_add_f64_e32 v[163:164], v[163:164], v[173:174]
	v_fma_f64 v[169:170], v[4:5], v[18:19], v[169:170]
	v_fma_f64 v[175:176], v[2:3], v[18:19], -v[20:21]
	ds_load_b128 v[2:5], v1 offset:1488
	s_wait_loadcnt_dscnt 0x801
	v_mul_f64_e32 v[173:174], v[159:160], v[24:25]
	v_mul_f64_e32 v[24:25], v[161:162], v[24:25]
	scratch_load_b128 v[18:21], off, off offset:768
	s_wait_loadcnt_dscnt 0x800
	v_mul_f64_e32 v[177:178], v[2:3], v[28:29]
	v_mul_f64_e32 v[28:29], v[4:5], v[28:29]
	v_add_f64_e32 v[171:172], v[171:172], v[165:166]
	v_add_f64_e32 v[167:168], v[163:164], v[167:168]
	ds_load_b128 v[163:166], v1 offset:1504
	v_fma_f64 v[161:162], v[161:162], v[22:23], v[173:174]
	v_fma_f64 v[159:160], v[159:160], v[22:23], -v[24:25]
	scratch_load_b128 v[22:25], off, off offset:784
	v_fma_f64 v[173:174], v[4:5], v[26:27], v[177:178]
	v_add_f64_e32 v[171:172], v[171:172], v[175:176]
	v_add_f64_e32 v[167:168], v[167:168], v[169:170]
	v_fma_f64 v[175:176], v[2:3], v[26:27], -v[28:29]
	ds_load_b128 v[2:5], v1 offset:1520
	s_wait_loadcnt_dscnt 0x801
	v_mul_f64_e32 v[169:170], v[163:164], v[32:33]
	v_mul_f64_e32 v[32:33], v[165:166], v[32:33]
	scratch_load_b128 v[26:29], off, off offset:800
	s_wait_loadcnt_dscnt 0x800
	v_mul_f64_e32 v[177:178], v[2:3], v[40:41]
	v_mul_f64_e32 v[40:41], v[4:5], v[40:41]
	v_add_f64_e32 v[171:172], v[171:172], v[159:160]
	v_add_f64_e32 v[167:168], v[167:168], v[161:162]
	ds_load_b128 v[159:162], v1 offset:1536
	v_fma_f64 v[165:166], v[165:166], v[30:31], v[169:170]
	v_fma_f64 v[163:164], v[163:164], v[30:31], -v[32:33]
	scratch_load_b128 v[30:33], off, off offset:816
	v_add_f64_e32 v[169:170], v[171:172], v[175:176]
	v_add_f64_e32 v[167:168], v[167:168], v[173:174]
	v_fma_f64 v[173:174], v[4:5], v[38:39], v[177:178]
	v_fma_f64 v[175:176], v[2:3], v[38:39], -v[40:41]
	ds_load_b128 v[2:5], v1 offset:1552
	s_wait_loadcnt_dscnt 0x801
	v_mul_f64_e32 v[171:172], v[159:160], v[157:158]
	v_mul_f64_e32 v[157:158], v[161:162], v[157:158]
	scratch_load_b128 v[38:41], off, off offset:832
	s_wait_loadcnt_dscnt 0x800
	v_mul_f64_e32 v[177:178], v[2:3], v[36:37]
	v_mul_f64_e32 v[36:37], v[4:5], v[36:37]
	v_add_f64_e32 v[169:170], v[169:170], v[163:164]
	v_add_f64_e32 v[167:168], v[167:168], v[165:166]
	ds_load_b128 v[163:166], v1 offset:1568
	v_fma_f64 v[161:162], v[161:162], v[155:156], v[171:172]
	v_fma_f64 v[159:160], v[159:160], v[155:156], -v[157:158]
	scratch_load_b128 v[155:158], off, off offset:848
	v_add_f64_e32 v[169:170], v[169:170], v[175:176]
	v_add_f64_e32 v[167:168], v[167:168], v[173:174]
	v_fma_f64 v[173:174], v[4:5], v[34:35], v[177:178]
	v_fma_f64 v[175:176], v[2:3], v[34:35], -v[36:37]
	ds_load_b128 v[2:5], v1 offset:1584
	s_wait_loadcnt_dscnt 0x801
	v_mul_f64_e32 v[171:172], v[163:164], v[8:9]
	v_mul_f64_e32 v[8:9], v[165:166], v[8:9]
	scratch_load_b128 v[34:37], off, off offset:864
	s_wait_loadcnt_dscnt 0x800
	v_mul_f64_e32 v[177:178], v[2:3], v[12:13]
	v_mul_f64_e32 v[12:13], v[4:5], v[12:13]
	v_add_f64_e32 v[169:170], v[169:170], v[159:160]
	v_add_f64_e32 v[167:168], v[167:168], v[161:162]
	ds_load_b128 v[159:162], v1 offset:1600
	v_fma_f64 v[165:166], v[165:166], v[6:7], v[171:172]
	v_fma_f64 v[6:7], v[163:164], v[6:7], -v[8:9]
	v_add_f64_e32 v[8:9], v[169:170], v[175:176]
	v_add_f64_e32 v[163:164], v[167:168], v[173:174]
	s_wait_loadcnt_dscnt 0x700
	v_mul_f64_e32 v[167:168], v[159:160], v[16:17]
	v_mul_f64_e32 v[16:17], v[161:162], v[16:17]
	v_fma_f64 v[169:170], v[4:5], v[10:11], v[177:178]
	v_fma_f64 v[10:11], v[2:3], v[10:11], -v[12:13]
	v_add_f64_e32 v[12:13], v[8:9], v[6:7]
	v_add_f64_e32 v[163:164], v[163:164], v[165:166]
	ds_load_b128 v[2:5], v1 offset:1616
	ds_load_b128 v[6:9], v1 offset:1632
	v_fma_f64 v[161:162], v[161:162], v[14:15], v[167:168]
	v_fma_f64 v[14:15], v[159:160], v[14:15], -v[16:17]
	s_wait_loadcnt_dscnt 0x601
	v_mul_f64_e32 v[165:166], v[2:3], v[20:21]
	v_mul_f64_e32 v[20:21], v[4:5], v[20:21]
	s_wait_loadcnt_dscnt 0x500
	v_mul_f64_e32 v[16:17], v[6:7], v[24:25]
	v_mul_f64_e32 v[24:25], v[8:9], v[24:25]
	v_add_f64_e32 v[10:11], v[12:13], v[10:11]
	v_add_f64_e32 v[12:13], v[163:164], v[169:170]
	v_fma_f64 v[159:160], v[4:5], v[18:19], v[165:166]
	v_fma_f64 v[18:19], v[2:3], v[18:19], -v[20:21]
	v_fma_f64 v[8:9], v[8:9], v[22:23], v[16:17]
	v_fma_f64 v[6:7], v[6:7], v[22:23], -v[24:25]
	v_add_f64_e32 v[14:15], v[10:11], v[14:15]
	v_add_f64_e32 v[20:21], v[12:13], v[161:162]
	ds_load_b128 v[2:5], v1 offset:1648
	ds_load_b128 v[10:13], v1 offset:1664
	s_wait_loadcnt_dscnt 0x401
	v_mul_f64_e32 v[161:162], v[2:3], v[28:29]
	v_mul_f64_e32 v[28:29], v[4:5], v[28:29]
	v_add_f64_e32 v[14:15], v[14:15], v[18:19]
	v_add_f64_e32 v[16:17], v[20:21], v[159:160]
	s_wait_loadcnt_dscnt 0x300
	v_mul_f64_e32 v[18:19], v[10:11], v[32:33]
	v_mul_f64_e32 v[20:21], v[12:13], v[32:33]
	v_fma_f64 v[22:23], v[4:5], v[26:27], v[161:162]
	v_fma_f64 v[24:25], v[2:3], v[26:27], -v[28:29]
	v_add_f64_e32 v[14:15], v[14:15], v[6:7]
	v_add_f64_e32 v[16:17], v[16:17], v[8:9]
	ds_load_b128 v[2:5], v1 offset:1680
	ds_load_b128 v[6:9], v1 offset:1696
	v_fma_f64 v[12:13], v[12:13], v[30:31], v[18:19]
	v_fma_f64 v[10:11], v[10:11], v[30:31], -v[20:21]
	s_wait_loadcnt_dscnt 0x201
	v_mul_f64_e32 v[26:27], v[2:3], v[40:41]
	v_mul_f64_e32 v[28:29], v[4:5], v[40:41]
	s_wait_loadcnt_dscnt 0x100
	v_mul_f64_e32 v[18:19], v[6:7], v[157:158]
	v_mul_f64_e32 v[20:21], v[8:9], v[157:158]
	v_add_f64_e32 v[14:15], v[14:15], v[24:25]
	v_add_f64_e32 v[16:17], v[16:17], v[22:23]
	v_fma_f64 v[22:23], v[4:5], v[38:39], v[26:27]
	v_fma_f64 v[24:25], v[2:3], v[38:39], -v[28:29]
	ds_load_b128 v[2:5], v1 offset:1712
	v_fma_f64 v[8:9], v[8:9], v[155:156], v[18:19]
	v_fma_f64 v[6:7], v[6:7], v[155:156], -v[20:21]
	v_add_f64_e32 v[10:11], v[14:15], v[10:11]
	v_add_f64_e32 v[12:13], v[16:17], v[12:13]
	s_wait_loadcnt_dscnt 0x0
	v_mul_f64_e32 v[14:15], v[2:3], v[36:37]
	v_mul_f64_e32 v[16:17], v[4:5], v[36:37]
	s_delay_alu instid0(VALU_DEP_4) | instskip(NEXT) | instid1(VALU_DEP_4)
	v_add_f64_e32 v[10:11], v[10:11], v[24:25]
	v_add_f64_e32 v[12:13], v[12:13], v[22:23]
	s_delay_alu instid0(VALU_DEP_4) | instskip(NEXT) | instid1(VALU_DEP_4)
	v_fma_f64 v[4:5], v[4:5], v[34:35], v[14:15]
	v_fma_f64 v[2:3], v[2:3], v[34:35], -v[16:17]
	s_delay_alu instid0(VALU_DEP_4) | instskip(NEXT) | instid1(VALU_DEP_4)
	v_add_f64_e32 v[6:7], v[10:11], v[6:7]
	v_add_f64_e32 v[8:9], v[12:13], v[8:9]
	s_delay_alu instid0(VALU_DEP_2) | instskip(NEXT) | instid1(VALU_DEP_2)
	v_add_f64_e32 v[2:3], v[6:7], v[2:3]
	v_add_f64_e32 v[4:5], v[8:9], v[4:5]
	s_delay_alu instid0(VALU_DEP_2) | instskip(NEXT) | instid1(VALU_DEP_2)
	v_add_f64_e64 v[2:3], v[42:43], -v[2:3]
	v_add_f64_e64 v[4:5], v[44:45], -v[4:5]
	scratch_store_b128 off, v[2:5], off offset:368
	v_cmpx_lt_u32_e32 21, v0
	s_cbranch_execz .LBB53_295
; %bb.294:
	scratch_load_b128 v[5:8], off, s42
	v_dual_mov_b32 v2, v1 :: v_dual_mov_b32 v3, v1
	v_mov_b32_e32 v4, v1
	scratch_store_b128 off, v[1:4], off offset:352
	s_wait_loadcnt 0x0
	ds_store_b128 v154, v[5:8]
.LBB53_295:
	s_wait_alu 0xfffe
	s_or_b32 exec_lo, exec_lo, s0
	s_wait_storecnt_dscnt 0x0
	s_barrier_signal -1
	s_barrier_wait -1
	global_inv scope:SCOPE_SE
	s_clause 0x8
	scratch_load_b128 v[2:5], off, off offset:368
	scratch_load_b128 v[6:9], off, off offset:384
	;; [unrolled: 1-line block ×9, first 2 shown]
	ds_load_b128 v[38:41], v1 offset:1216
	ds_load_b128 v[42:45], v1 offset:1232
	s_clause 0x1
	scratch_load_b128 v[155:158], off, off offset:352
	scratch_load_b128 v[159:162], off, off offset:512
	s_mov_b32 s0, exec_lo
	s_wait_loadcnt_dscnt 0xa01
	v_mul_f64_e32 v[163:164], v[40:41], v[4:5]
	v_mul_f64_e32 v[4:5], v[38:39], v[4:5]
	s_wait_loadcnt_dscnt 0x900
	v_mul_f64_e32 v[167:168], v[42:43], v[8:9]
	v_mul_f64_e32 v[8:9], v[44:45], v[8:9]
	s_delay_alu instid0(VALU_DEP_4) | instskip(NEXT) | instid1(VALU_DEP_4)
	v_fma_f64 v[169:170], v[38:39], v[2:3], -v[163:164]
	v_fma_f64 v[171:172], v[40:41], v[2:3], v[4:5]
	ds_load_b128 v[2:5], v1 offset:1248
	ds_load_b128 v[163:166], v1 offset:1264
	scratch_load_b128 v[38:41], off, off offset:528
	v_fma_f64 v[44:45], v[44:45], v[6:7], v[167:168]
	v_fma_f64 v[42:43], v[42:43], v[6:7], -v[8:9]
	scratch_load_b128 v[6:9], off, off offset:544
	s_wait_loadcnt_dscnt 0xa01
	v_mul_f64_e32 v[173:174], v[2:3], v[12:13]
	v_mul_f64_e32 v[12:13], v[4:5], v[12:13]
	v_add_f64_e32 v[167:168], 0, v[169:170]
	v_add_f64_e32 v[169:170], 0, v[171:172]
	s_wait_loadcnt_dscnt 0x900
	v_mul_f64_e32 v[171:172], v[163:164], v[16:17]
	v_mul_f64_e32 v[16:17], v[165:166], v[16:17]
	v_fma_f64 v[173:174], v[4:5], v[10:11], v[173:174]
	v_fma_f64 v[175:176], v[2:3], v[10:11], -v[12:13]
	ds_load_b128 v[2:5], v1 offset:1280
	scratch_load_b128 v[10:13], off, off offset:560
	v_add_f64_e32 v[167:168], v[167:168], v[42:43]
	v_add_f64_e32 v[169:170], v[169:170], v[44:45]
	ds_load_b128 v[42:45], v1 offset:1296
	v_fma_f64 v[165:166], v[165:166], v[14:15], v[171:172]
	v_fma_f64 v[163:164], v[163:164], v[14:15], -v[16:17]
	scratch_load_b128 v[14:17], off, off offset:576
	s_wait_loadcnt_dscnt 0xa01
	v_mul_f64_e32 v[177:178], v[2:3], v[20:21]
	v_mul_f64_e32 v[20:21], v[4:5], v[20:21]
	s_wait_loadcnt_dscnt 0x900
	v_mul_f64_e32 v[171:172], v[42:43], v[24:25]
	v_mul_f64_e32 v[24:25], v[44:45], v[24:25]
	v_add_f64_e32 v[167:168], v[167:168], v[175:176]
	v_add_f64_e32 v[169:170], v[169:170], v[173:174]
	v_fma_f64 v[173:174], v[4:5], v[18:19], v[177:178]
	v_fma_f64 v[175:176], v[2:3], v[18:19], -v[20:21]
	ds_load_b128 v[2:5], v1 offset:1312
	scratch_load_b128 v[18:21], off, off offset:592
	v_fma_f64 v[44:45], v[44:45], v[22:23], v[171:172]
	v_fma_f64 v[42:43], v[42:43], v[22:23], -v[24:25]
	scratch_load_b128 v[22:25], off, off offset:608
	v_add_f64_e32 v[167:168], v[167:168], v[163:164]
	v_add_f64_e32 v[169:170], v[169:170], v[165:166]
	ds_load_b128 v[163:166], v1 offset:1328
	s_wait_loadcnt_dscnt 0xa01
	v_mul_f64_e32 v[177:178], v[2:3], v[28:29]
	v_mul_f64_e32 v[28:29], v[4:5], v[28:29]
	s_wait_loadcnt_dscnt 0x900
	v_mul_f64_e32 v[171:172], v[163:164], v[32:33]
	v_mul_f64_e32 v[32:33], v[165:166], v[32:33]
	v_add_f64_e32 v[167:168], v[167:168], v[175:176]
	v_add_f64_e32 v[169:170], v[169:170], v[173:174]
	v_fma_f64 v[173:174], v[4:5], v[26:27], v[177:178]
	v_fma_f64 v[175:176], v[2:3], v[26:27], -v[28:29]
	ds_load_b128 v[2:5], v1 offset:1344
	scratch_load_b128 v[26:29], off, off offset:624
	v_fma_f64 v[165:166], v[165:166], v[30:31], v[171:172]
	v_fma_f64 v[163:164], v[163:164], v[30:31], -v[32:33]
	scratch_load_b128 v[30:33], off, off offset:640
	v_add_f64_e32 v[167:168], v[167:168], v[42:43]
	v_add_f64_e32 v[169:170], v[169:170], v[44:45]
	ds_load_b128 v[42:45], v1 offset:1360
	s_wait_loadcnt_dscnt 0xa01
	v_mul_f64_e32 v[177:178], v[2:3], v[36:37]
	v_mul_f64_e32 v[36:37], v[4:5], v[36:37]
	s_wait_loadcnt_dscnt 0x800
	v_mul_f64_e32 v[171:172], v[42:43], v[161:162]
	v_add_f64_e32 v[167:168], v[167:168], v[175:176]
	v_add_f64_e32 v[169:170], v[169:170], v[173:174]
	v_mul_f64_e32 v[173:174], v[44:45], v[161:162]
	v_fma_f64 v[175:176], v[4:5], v[34:35], v[177:178]
	v_fma_f64 v[177:178], v[2:3], v[34:35], -v[36:37]
	ds_load_b128 v[2:5], v1 offset:1376
	scratch_load_b128 v[34:37], off, off offset:656
	v_fma_f64 v[44:45], v[44:45], v[159:160], v[171:172]
	v_add_f64_e32 v[167:168], v[167:168], v[163:164]
	v_add_f64_e32 v[165:166], v[169:170], v[165:166]
	ds_load_b128 v[161:164], v1 offset:1392
	v_fma_f64 v[159:160], v[42:43], v[159:160], -v[173:174]
	s_wait_loadcnt_dscnt 0x801
	v_mul_f64_e32 v[169:170], v[2:3], v[40:41]
	v_mul_f64_e32 v[179:180], v[4:5], v[40:41]
	scratch_load_b128 v[40:43], off, off offset:672
	s_wait_loadcnt_dscnt 0x800
	v_mul_f64_e32 v[173:174], v[161:162], v[8:9]
	v_mul_f64_e32 v[8:9], v[163:164], v[8:9]
	v_add_f64_e32 v[167:168], v[167:168], v[177:178]
	v_add_f64_e32 v[165:166], v[165:166], v[175:176]
	v_fma_f64 v[175:176], v[4:5], v[38:39], v[169:170]
	v_fma_f64 v[38:39], v[2:3], v[38:39], -v[179:180]
	ds_load_b128 v[2:5], v1 offset:1408
	ds_load_b128 v[169:172], v1 offset:1424
	v_fma_f64 v[163:164], v[163:164], v[6:7], v[173:174]
	v_fma_f64 v[161:162], v[161:162], v[6:7], -v[8:9]
	scratch_load_b128 v[6:9], off, off offset:704
	v_add_f64_e32 v[159:160], v[167:168], v[159:160]
	v_add_f64_e32 v[44:45], v[165:166], v[44:45]
	scratch_load_b128 v[165:168], off, off offset:688
	s_wait_loadcnt_dscnt 0x901
	v_mul_f64_e32 v[177:178], v[2:3], v[12:13]
	v_mul_f64_e32 v[12:13], v[4:5], v[12:13]
	s_wait_loadcnt_dscnt 0x800
	v_mul_f64_e32 v[173:174], v[169:170], v[16:17]
	v_mul_f64_e32 v[16:17], v[171:172], v[16:17]
	v_add_f64_e32 v[38:39], v[159:160], v[38:39]
	v_add_f64_e32 v[44:45], v[44:45], v[175:176]
	v_fma_f64 v[175:176], v[4:5], v[10:11], v[177:178]
	v_fma_f64 v[177:178], v[2:3], v[10:11], -v[12:13]
	ds_load_b128 v[2:5], v1 offset:1440
	scratch_load_b128 v[10:13], off, off offset:720
	v_fma_f64 v[171:172], v[171:172], v[14:15], v[173:174]
	v_fma_f64 v[169:170], v[169:170], v[14:15], -v[16:17]
	scratch_load_b128 v[14:17], off, off offset:736
	v_add_f64_e32 v[38:39], v[38:39], v[161:162]
	v_add_f64_e32 v[44:45], v[44:45], v[163:164]
	ds_load_b128 v[159:162], v1 offset:1456
	s_wait_loadcnt_dscnt 0x901
	v_mul_f64_e32 v[163:164], v[2:3], v[20:21]
	v_mul_f64_e32 v[20:21], v[4:5], v[20:21]
	s_wait_loadcnt_dscnt 0x800
	v_mul_f64_e32 v[173:174], v[159:160], v[24:25]
	v_mul_f64_e32 v[24:25], v[161:162], v[24:25]
	v_add_f64_e32 v[38:39], v[38:39], v[177:178]
	v_add_f64_e32 v[44:45], v[44:45], v[175:176]
	v_fma_f64 v[163:164], v[4:5], v[18:19], v[163:164]
	v_fma_f64 v[175:176], v[2:3], v[18:19], -v[20:21]
	ds_load_b128 v[2:5], v1 offset:1472
	scratch_load_b128 v[18:21], off, off offset:752
	v_fma_f64 v[161:162], v[161:162], v[22:23], v[173:174]
	v_fma_f64 v[159:160], v[159:160], v[22:23], -v[24:25]
	scratch_load_b128 v[22:25], off, off offset:768
	v_add_f64_e32 v[38:39], v[38:39], v[169:170]
	v_add_f64_e32 v[44:45], v[44:45], v[171:172]
	ds_load_b128 v[169:172], v1 offset:1488
	s_wait_loadcnt_dscnt 0x901
	v_mul_f64_e32 v[177:178], v[2:3], v[28:29]
	v_mul_f64_e32 v[28:29], v[4:5], v[28:29]
	v_add_f64_e32 v[38:39], v[38:39], v[175:176]
	v_add_f64_e32 v[44:45], v[44:45], v[163:164]
	s_wait_loadcnt_dscnt 0x800
	v_mul_f64_e32 v[163:164], v[169:170], v[32:33]
	v_mul_f64_e32 v[32:33], v[171:172], v[32:33]
	v_fma_f64 v[173:174], v[4:5], v[26:27], v[177:178]
	v_fma_f64 v[175:176], v[2:3], v[26:27], -v[28:29]
	ds_load_b128 v[2:5], v1 offset:1504
	scratch_load_b128 v[26:29], off, off offset:784
	v_add_f64_e32 v[38:39], v[38:39], v[159:160]
	v_add_f64_e32 v[44:45], v[44:45], v[161:162]
	ds_load_b128 v[159:162], v1 offset:1520
	s_wait_loadcnt_dscnt 0x801
	v_mul_f64_e32 v[177:178], v[2:3], v[36:37]
	v_mul_f64_e32 v[36:37], v[4:5], v[36:37]
	v_fma_f64 v[163:164], v[171:172], v[30:31], v[163:164]
	v_fma_f64 v[169:170], v[169:170], v[30:31], -v[32:33]
	scratch_load_b128 v[30:33], off, off offset:800
	s_wait_loadcnt_dscnt 0x800
	v_mul_f64_e32 v[171:172], v[159:160], v[42:43]
	v_add_f64_e32 v[38:39], v[38:39], v[175:176]
	v_add_f64_e32 v[44:45], v[44:45], v[173:174]
	v_mul_f64_e32 v[173:174], v[161:162], v[42:43]
	v_fma_f64 v[175:176], v[4:5], v[34:35], v[177:178]
	v_fma_f64 v[177:178], v[2:3], v[34:35], -v[36:37]
	ds_load_b128 v[2:5], v1 offset:1536
	scratch_load_b128 v[34:37], off, off offset:816
	v_fma_f64 v[161:162], v[161:162], v[40:41], v[171:172]
	v_add_f64_e32 v[38:39], v[38:39], v[169:170]
	v_add_f64_e32 v[163:164], v[44:45], v[163:164]
	ds_load_b128 v[42:45], v1 offset:1552
	v_fma_f64 v[159:160], v[159:160], v[40:41], -v[173:174]
	s_wait_loadcnt_dscnt 0x701
	v_mul_f64_e32 v[169:170], v[2:3], v[167:168]
	v_mul_f64_e32 v[167:168], v[4:5], v[167:168]
	s_wait_dscnt 0x0
	v_mul_f64_e32 v[173:174], v[42:43], v[8:9]
	v_mul_f64_e32 v[8:9], v[44:45], v[8:9]
	v_add_f64_e32 v[171:172], v[38:39], v[177:178]
	v_add_f64_e32 v[163:164], v[163:164], v[175:176]
	scratch_load_b128 v[38:41], off, off offset:832
	v_fma_f64 v[169:170], v[4:5], v[165:166], v[169:170]
	v_fma_f64 v[167:168], v[2:3], v[165:166], -v[167:168]
	ds_load_b128 v[2:5], v1 offset:1568
	v_fma_f64 v[44:45], v[44:45], v[6:7], v[173:174]
	v_fma_f64 v[42:43], v[42:43], v[6:7], -v[8:9]
	scratch_load_b128 v[6:9], off, off offset:864
	v_add_f64_e32 v[171:172], v[171:172], v[159:160]
	v_add_f64_e32 v[175:176], v[163:164], v[161:162]
	scratch_load_b128 v[159:162], off, off offset:848
	ds_load_b128 v[163:166], v1 offset:1584
	s_wait_loadcnt_dscnt 0x901
	v_mul_f64_e32 v[177:178], v[2:3], v[12:13]
	v_mul_f64_e32 v[12:13], v[4:5], v[12:13]
	v_add_f64_e32 v[167:168], v[171:172], v[167:168]
	v_add_f64_e32 v[169:170], v[175:176], v[169:170]
	s_wait_loadcnt_dscnt 0x800
	v_mul_f64_e32 v[171:172], v[163:164], v[16:17]
	v_mul_f64_e32 v[16:17], v[165:166], v[16:17]
	v_fma_f64 v[173:174], v[4:5], v[10:11], v[177:178]
	v_fma_f64 v[175:176], v[2:3], v[10:11], -v[12:13]
	ds_load_b128 v[2:5], v1 offset:1600
	ds_load_b128 v[10:13], v1 offset:1616
	v_add_f64_e32 v[42:43], v[167:168], v[42:43]
	v_add_f64_e32 v[44:45], v[169:170], v[44:45]
	s_wait_loadcnt_dscnt 0x701
	v_mul_f64_e32 v[167:168], v[2:3], v[20:21]
	v_mul_f64_e32 v[20:21], v[4:5], v[20:21]
	v_fma_f64 v[165:166], v[165:166], v[14:15], v[171:172]
	v_fma_f64 v[14:15], v[163:164], v[14:15], -v[16:17]
	v_add_f64_e32 v[16:17], v[42:43], v[175:176]
	v_add_f64_e32 v[42:43], v[44:45], v[173:174]
	s_wait_loadcnt_dscnt 0x600
	v_mul_f64_e32 v[44:45], v[10:11], v[24:25]
	v_mul_f64_e32 v[24:25], v[12:13], v[24:25]
	v_fma_f64 v[163:164], v[4:5], v[18:19], v[167:168]
	v_fma_f64 v[18:19], v[2:3], v[18:19], -v[20:21]
	v_add_f64_e32 v[20:21], v[16:17], v[14:15]
	v_add_f64_e32 v[42:43], v[42:43], v[165:166]
	ds_load_b128 v[2:5], v1 offset:1632
	ds_load_b128 v[14:17], v1 offset:1648
	v_fma_f64 v[12:13], v[12:13], v[22:23], v[44:45]
	v_fma_f64 v[10:11], v[10:11], v[22:23], -v[24:25]
	s_wait_loadcnt_dscnt 0x501
	v_mul_f64_e32 v[165:166], v[2:3], v[28:29]
	v_mul_f64_e32 v[28:29], v[4:5], v[28:29]
	s_wait_loadcnt_dscnt 0x400
	v_mul_f64_e32 v[22:23], v[14:15], v[32:33]
	v_mul_f64_e32 v[24:25], v[16:17], v[32:33]
	v_add_f64_e32 v[18:19], v[20:21], v[18:19]
	v_add_f64_e32 v[20:21], v[42:43], v[163:164]
	v_fma_f64 v[32:33], v[4:5], v[26:27], v[165:166]
	v_fma_f64 v[26:27], v[2:3], v[26:27], -v[28:29]
	v_fma_f64 v[16:17], v[16:17], v[30:31], v[22:23]
	v_fma_f64 v[14:15], v[14:15], v[30:31], -v[24:25]
	v_add_f64_e32 v[18:19], v[18:19], v[10:11]
	v_add_f64_e32 v[20:21], v[20:21], v[12:13]
	ds_load_b128 v[2:5], v1 offset:1664
	ds_load_b128 v[10:13], v1 offset:1680
	s_wait_loadcnt_dscnt 0x301
	v_mul_f64_e32 v[28:29], v[2:3], v[36:37]
	v_mul_f64_e32 v[36:37], v[4:5], v[36:37]
	v_add_f64_e32 v[18:19], v[18:19], v[26:27]
	v_add_f64_e32 v[20:21], v[20:21], v[32:33]
	s_wait_loadcnt_dscnt 0x200
	v_mul_f64_e32 v[22:23], v[10:11], v[40:41]
	v_mul_f64_e32 v[24:25], v[12:13], v[40:41]
	v_fma_f64 v[26:27], v[4:5], v[34:35], v[28:29]
	v_fma_f64 v[28:29], v[2:3], v[34:35], -v[36:37]
	v_add_f64_e32 v[18:19], v[18:19], v[14:15]
	v_add_f64_e32 v[20:21], v[20:21], v[16:17]
	ds_load_b128 v[2:5], v1 offset:1696
	ds_load_b128 v[14:17], v1 offset:1712
	v_fma_f64 v[12:13], v[12:13], v[38:39], v[22:23]
	v_fma_f64 v[10:11], v[10:11], v[38:39], -v[24:25]
	s_wait_loadcnt_dscnt 0x1
	v_mul_f64_e32 v[30:31], v[2:3], v[161:162]
	v_mul_f64_e32 v[32:33], v[4:5], v[161:162]
	s_wait_dscnt 0x0
	v_mul_f64_e32 v[22:23], v[14:15], v[8:9]
	v_mul_f64_e32 v[8:9], v[16:17], v[8:9]
	v_add_f64_e32 v[18:19], v[18:19], v[28:29]
	v_add_f64_e32 v[20:21], v[20:21], v[26:27]
	v_fma_f64 v[4:5], v[4:5], v[159:160], v[30:31]
	v_fma_f64 v[1:2], v[2:3], v[159:160], -v[32:33]
	v_fma_f64 v[16:17], v[16:17], v[6:7], v[22:23]
	v_fma_f64 v[6:7], v[14:15], v[6:7], -v[8:9]
	v_add_f64_e32 v[10:11], v[18:19], v[10:11]
	v_add_f64_e32 v[12:13], v[20:21], v[12:13]
	s_delay_alu instid0(VALU_DEP_2) | instskip(NEXT) | instid1(VALU_DEP_2)
	v_add_f64_e32 v[1:2], v[10:11], v[1:2]
	v_add_f64_e32 v[3:4], v[12:13], v[4:5]
	s_delay_alu instid0(VALU_DEP_2) | instskip(NEXT) | instid1(VALU_DEP_2)
	;; [unrolled: 3-line block ×3, first 2 shown]
	v_add_f64_e64 v[1:2], v[155:156], -v[1:2]
	v_add_f64_e64 v[3:4], v[157:158], -v[3:4]
	scratch_store_b128 off, v[1:4], off offset:352
	v_cmpx_lt_u32_e32 20, v0
	s_cbranch_execz .LBB53_297
; %bb.296:
	scratch_load_b128 v[1:4], off, s41
	v_mov_b32_e32 v5, 0
	s_delay_alu instid0(VALU_DEP_1)
	v_dual_mov_b32 v6, v5 :: v_dual_mov_b32 v7, v5
	v_mov_b32_e32 v8, v5
	scratch_store_b128 off, v[5:8], off offset:336
	s_wait_loadcnt 0x0
	ds_store_b128 v154, v[1:4]
.LBB53_297:
	s_wait_alu 0xfffe
	s_or_b32 exec_lo, exec_lo, s0
	s_wait_storecnt_dscnt 0x0
	s_barrier_signal -1
	s_barrier_wait -1
	global_inv scope:SCOPE_SE
	s_clause 0x7
	scratch_load_b128 v[2:5], off, off offset:352
	scratch_load_b128 v[6:9], off, off offset:368
	;; [unrolled: 1-line block ×8, first 2 shown]
	v_mov_b32_e32 v1, 0
	s_mov_b32 s0, exec_lo
	ds_load_b128 v[34:37], v1 offset:1200
	s_clause 0x1
	scratch_load_b128 v[38:41], off, off offset:480
	scratch_load_b128 v[42:45], off, off offset:336
	ds_load_b128 v[155:158], v1 offset:1216
	scratch_load_b128 v[159:162], off, off offset:496
	s_wait_loadcnt_dscnt 0xa01
	v_mul_f64_e32 v[163:164], v[36:37], v[4:5]
	v_mul_f64_e32 v[4:5], v[34:35], v[4:5]
	s_delay_alu instid0(VALU_DEP_2) | instskip(NEXT) | instid1(VALU_DEP_2)
	v_fma_f64 v[169:170], v[34:35], v[2:3], -v[163:164]
	v_fma_f64 v[171:172], v[36:37], v[2:3], v[4:5]
	ds_load_b128 v[2:5], v1 offset:1232
	s_wait_loadcnt_dscnt 0x901
	v_mul_f64_e32 v[167:168], v[155:156], v[8:9]
	v_mul_f64_e32 v[8:9], v[157:158], v[8:9]
	scratch_load_b128 v[34:37], off, off offset:512
	ds_load_b128 v[163:166], v1 offset:1248
	s_wait_loadcnt_dscnt 0x901
	v_mul_f64_e32 v[173:174], v[2:3], v[12:13]
	v_mul_f64_e32 v[12:13], v[4:5], v[12:13]
	v_fma_f64 v[157:158], v[157:158], v[6:7], v[167:168]
	v_fma_f64 v[155:156], v[155:156], v[6:7], -v[8:9]
	v_add_f64_e32 v[167:168], 0, v[169:170]
	v_add_f64_e32 v[169:170], 0, v[171:172]
	scratch_load_b128 v[6:9], off, off offset:528
	v_fma_f64 v[173:174], v[4:5], v[10:11], v[173:174]
	v_fma_f64 v[175:176], v[2:3], v[10:11], -v[12:13]
	ds_load_b128 v[2:5], v1 offset:1264
	s_wait_loadcnt_dscnt 0x901
	v_mul_f64_e32 v[171:172], v[163:164], v[16:17]
	v_mul_f64_e32 v[16:17], v[165:166], v[16:17]
	scratch_load_b128 v[10:13], off, off offset:544
	v_add_f64_e32 v[167:168], v[167:168], v[155:156]
	v_add_f64_e32 v[169:170], v[169:170], v[157:158]
	s_wait_loadcnt_dscnt 0x900
	v_mul_f64_e32 v[177:178], v[2:3], v[20:21]
	v_mul_f64_e32 v[20:21], v[4:5], v[20:21]
	ds_load_b128 v[155:158], v1 offset:1280
	v_fma_f64 v[165:166], v[165:166], v[14:15], v[171:172]
	v_fma_f64 v[163:164], v[163:164], v[14:15], -v[16:17]
	scratch_load_b128 v[14:17], off, off offset:560
	v_add_f64_e32 v[167:168], v[167:168], v[175:176]
	v_add_f64_e32 v[169:170], v[169:170], v[173:174]
	v_fma_f64 v[173:174], v[4:5], v[18:19], v[177:178]
	v_fma_f64 v[175:176], v[2:3], v[18:19], -v[20:21]
	ds_load_b128 v[2:5], v1 offset:1296
	s_wait_loadcnt_dscnt 0x901
	v_mul_f64_e32 v[171:172], v[155:156], v[24:25]
	v_mul_f64_e32 v[24:25], v[157:158], v[24:25]
	scratch_load_b128 v[18:21], off, off offset:576
	s_wait_loadcnt_dscnt 0x900
	v_mul_f64_e32 v[177:178], v[2:3], v[28:29]
	v_mul_f64_e32 v[28:29], v[4:5], v[28:29]
	v_add_f64_e32 v[167:168], v[167:168], v[163:164]
	v_add_f64_e32 v[169:170], v[169:170], v[165:166]
	ds_load_b128 v[163:166], v1 offset:1312
	v_fma_f64 v[157:158], v[157:158], v[22:23], v[171:172]
	v_fma_f64 v[155:156], v[155:156], v[22:23], -v[24:25]
	scratch_load_b128 v[22:25], off, off offset:592
	v_add_f64_e32 v[167:168], v[167:168], v[175:176]
	v_add_f64_e32 v[169:170], v[169:170], v[173:174]
	v_fma_f64 v[173:174], v[4:5], v[26:27], v[177:178]
	v_fma_f64 v[175:176], v[2:3], v[26:27], -v[28:29]
	ds_load_b128 v[2:5], v1 offset:1328
	s_wait_loadcnt_dscnt 0x901
	v_mul_f64_e32 v[171:172], v[163:164], v[32:33]
	v_mul_f64_e32 v[32:33], v[165:166], v[32:33]
	scratch_load_b128 v[26:29], off, off offset:608
	s_wait_loadcnt_dscnt 0x900
	v_mul_f64_e32 v[177:178], v[2:3], v[40:41]
	v_mul_f64_e32 v[40:41], v[4:5], v[40:41]
	v_add_f64_e32 v[167:168], v[167:168], v[155:156]
	v_add_f64_e32 v[169:170], v[169:170], v[157:158]
	ds_load_b128 v[155:158], v1 offset:1344
	v_fma_f64 v[165:166], v[165:166], v[30:31], v[171:172]
	v_fma_f64 v[163:164], v[163:164], v[30:31], -v[32:33]
	scratch_load_b128 v[30:33], off, off offset:624
	v_add_f64_e32 v[167:168], v[167:168], v[175:176]
	v_add_f64_e32 v[169:170], v[169:170], v[173:174]
	v_fma_f64 v[175:176], v[4:5], v[38:39], v[177:178]
	v_fma_f64 v[177:178], v[2:3], v[38:39], -v[40:41]
	ds_load_b128 v[2:5], v1 offset:1360
	s_wait_loadcnt_dscnt 0x801
	v_mul_f64_e32 v[171:172], v[155:156], v[161:162]
	v_mul_f64_e32 v[173:174], v[157:158], v[161:162]
	scratch_load_b128 v[38:41], off, off offset:640
	v_add_f64_e32 v[167:168], v[167:168], v[163:164]
	v_add_f64_e32 v[165:166], v[169:170], v[165:166]
	ds_load_b128 v[161:164], v1 offset:1376
	v_fma_f64 v[171:172], v[157:158], v[159:160], v[171:172]
	v_fma_f64 v[159:160], v[155:156], v[159:160], -v[173:174]
	scratch_load_b128 v[155:158], off, off offset:656
	s_wait_loadcnt_dscnt 0x901
	v_mul_f64_e32 v[169:170], v[2:3], v[36:37]
	v_mul_f64_e32 v[36:37], v[4:5], v[36:37]
	v_add_f64_e32 v[167:168], v[167:168], v[177:178]
	v_add_f64_e32 v[165:166], v[165:166], v[175:176]
	s_delay_alu instid0(VALU_DEP_4) | instskip(NEXT) | instid1(VALU_DEP_4)
	v_fma_f64 v[169:170], v[4:5], v[34:35], v[169:170]
	v_fma_f64 v[175:176], v[2:3], v[34:35], -v[36:37]
	ds_load_b128 v[2:5], v1 offset:1392
	s_wait_loadcnt_dscnt 0x801
	v_mul_f64_e32 v[173:174], v[161:162], v[8:9]
	v_mul_f64_e32 v[8:9], v[163:164], v[8:9]
	scratch_load_b128 v[34:37], off, off offset:672
	s_wait_loadcnt_dscnt 0x800
	v_mul_f64_e32 v[177:178], v[2:3], v[12:13]
	v_add_f64_e32 v[159:160], v[167:168], v[159:160]
	v_add_f64_e32 v[171:172], v[165:166], v[171:172]
	v_mul_f64_e32 v[12:13], v[4:5], v[12:13]
	ds_load_b128 v[165:168], v1 offset:1408
	v_fma_f64 v[163:164], v[163:164], v[6:7], v[173:174]
	v_fma_f64 v[161:162], v[161:162], v[6:7], -v[8:9]
	scratch_load_b128 v[6:9], off, off offset:688
	v_fma_f64 v[173:174], v[4:5], v[10:11], v[177:178]
	v_add_f64_e32 v[159:160], v[159:160], v[175:176]
	v_add_f64_e32 v[169:170], v[171:172], v[169:170]
	v_fma_f64 v[175:176], v[2:3], v[10:11], -v[12:13]
	ds_load_b128 v[2:5], v1 offset:1424
	s_wait_loadcnt_dscnt 0x801
	v_mul_f64_e32 v[171:172], v[165:166], v[16:17]
	v_mul_f64_e32 v[16:17], v[167:168], v[16:17]
	scratch_load_b128 v[10:13], off, off offset:704
	v_add_f64_e32 v[177:178], v[159:160], v[161:162]
	v_add_f64_e32 v[163:164], v[169:170], v[163:164]
	s_wait_loadcnt_dscnt 0x800
	v_mul_f64_e32 v[169:170], v[2:3], v[20:21]
	v_mul_f64_e32 v[20:21], v[4:5], v[20:21]
	v_fma_f64 v[167:168], v[167:168], v[14:15], v[171:172]
	v_fma_f64 v[165:166], v[165:166], v[14:15], -v[16:17]
	ds_load_b128 v[159:162], v1 offset:1440
	scratch_load_b128 v[14:17], off, off offset:720
	v_add_f64_e32 v[171:172], v[177:178], v[175:176]
	v_add_f64_e32 v[163:164], v[163:164], v[173:174]
	v_fma_f64 v[169:170], v[4:5], v[18:19], v[169:170]
	v_fma_f64 v[175:176], v[2:3], v[18:19], -v[20:21]
	ds_load_b128 v[2:5], v1 offset:1456
	s_wait_loadcnt_dscnt 0x801
	v_mul_f64_e32 v[173:174], v[159:160], v[24:25]
	v_mul_f64_e32 v[24:25], v[161:162], v[24:25]
	scratch_load_b128 v[18:21], off, off offset:736
	s_wait_loadcnt_dscnt 0x800
	v_mul_f64_e32 v[177:178], v[2:3], v[28:29]
	v_mul_f64_e32 v[28:29], v[4:5], v[28:29]
	v_add_f64_e32 v[171:172], v[171:172], v[165:166]
	v_add_f64_e32 v[167:168], v[163:164], v[167:168]
	ds_load_b128 v[163:166], v1 offset:1472
	v_fma_f64 v[161:162], v[161:162], v[22:23], v[173:174]
	v_fma_f64 v[159:160], v[159:160], v[22:23], -v[24:25]
	scratch_load_b128 v[22:25], off, off offset:752
	v_fma_f64 v[173:174], v[4:5], v[26:27], v[177:178]
	v_add_f64_e32 v[171:172], v[171:172], v[175:176]
	v_add_f64_e32 v[167:168], v[167:168], v[169:170]
	v_fma_f64 v[175:176], v[2:3], v[26:27], -v[28:29]
	ds_load_b128 v[2:5], v1 offset:1488
	s_wait_loadcnt_dscnt 0x801
	v_mul_f64_e32 v[169:170], v[163:164], v[32:33]
	v_mul_f64_e32 v[32:33], v[165:166], v[32:33]
	scratch_load_b128 v[26:29], off, off offset:768
	s_wait_loadcnt_dscnt 0x800
	v_mul_f64_e32 v[177:178], v[2:3], v[40:41]
	v_mul_f64_e32 v[40:41], v[4:5], v[40:41]
	v_add_f64_e32 v[171:172], v[171:172], v[159:160]
	v_add_f64_e32 v[167:168], v[167:168], v[161:162]
	ds_load_b128 v[159:162], v1 offset:1504
	v_fma_f64 v[165:166], v[165:166], v[30:31], v[169:170]
	v_fma_f64 v[163:164], v[163:164], v[30:31], -v[32:33]
	scratch_load_b128 v[30:33], off, off offset:784
	v_add_f64_e32 v[169:170], v[171:172], v[175:176]
	v_add_f64_e32 v[167:168], v[167:168], v[173:174]
	v_fma_f64 v[173:174], v[4:5], v[38:39], v[177:178]
	v_fma_f64 v[175:176], v[2:3], v[38:39], -v[40:41]
	ds_load_b128 v[2:5], v1 offset:1520
	s_wait_loadcnt_dscnt 0x801
	v_mul_f64_e32 v[171:172], v[159:160], v[157:158]
	v_mul_f64_e32 v[157:158], v[161:162], v[157:158]
	scratch_load_b128 v[38:41], off, off offset:800
	s_wait_loadcnt_dscnt 0x800
	v_mul_f64_e32 v[177:178], v[2:3], v[36:37]
	v_mul_f64_e32 v[36:37], v[4:5], v[36:37]
	v_add_f64_e32 v[169:170], v[169:170], v[163:164]
	v_add_f64_e32 v[167:168], v[167:168], v[165:166]
	ds_load_b128 v[163:166], v1 offset:1536
	v_fma_f64 v[161:162], v[161:162], v[155:156], v[171:172]
	v_fma_f64 v[159:160], v[159:160], v[155:156], -v[157:158]
	scratch_load_b128 v[155:158], off, off offset:816
	v_add_f64_e32 v[169:170], v[169:170], v[175:176]
	v_add_f64_e32 v[167:168], v[167:168], v[173:174]
	v_fma_f64 v[173:174], v[4:5], v[34:35], v[177:178]
	;; [unrolled: 18-line block ×3, first 2 shown]
	v_fma_f64 v[175:176], v[2:3], v[10:11], -v[12:13]
	ds_load_b128 v[2:5], v1 offset:1584
	s_wait_loadcnt_dscnt 0x801
	v_mul_f64_e32 v[171:172], v[159:160], v[16:17]
	v_mul_f64_e32 v[16:17], v[161:162], v[16:17]
	scratch_load_b128 v[10:13], off, off offset:864
	s_wait_loadcnt_dscnt 0x800
	v_mul_f64_e32 v[177:178], v[2:3], v[20:21]
	v_mul_f64_e32 v[20:21], v[4:5], v[20:21]
	v_add_f64_e32 v[169:170], v[169:170], v[163:164]
	v_add_f64_e32 v[167:168], v[167:168], v[165:166]
	ds_load_b128 v[163:166], v1 offset:1600
	v_fma_f64 v[161:162], v[161:162], v[14:15], v[171:172]
	v_fma_f64 v[14:15], v[159:160], v[14:15], -v[16:17]
	v_add_f64_e32 v[16:17], v[169:170], v[175:176]
	v_add_f64_e32 v[159:160], v[167:168], v[173:174]
	s_wait_loadcnt_dscnt 0x700
	v_mul_f64_e32 v[167:168], v[163:164], v[24:25]
	v_mul_f64_e32 v[24:25], v[165:166], v[24:25]
	v_fma_f64 v[169:170], v[4:5], v[18:19], v[177:178]
	v_fma_f64 v[18:19], v[2:3], v[18:19], -v[20:21]
	v_add_f64_e32 v[20:21], v[16:17], v[14:15]
	v_add_f64_e32 v[159:160], v[159:160], v[161:162]
	ds_load_b128 v[2:5], v1 offset:1616
	ds_load_b128 v[14:17], v1 offset:1632
	v_fma_f64 v[165:166], v[165:166], v[22:23], v[167:168]
	v_fma_f64 v[22:23], v[163:164], v[22:23], -v[24:25]
	s_wait_loadcnt_dscnt 0x601
	v_mul_f64_e32 v[161:162], v[2:3], v[28:29]
	v_mul_f64_e32 v[28:29], v[4:5], v[28:29]
	s_wait_loadcnt_dscnt 0x500
	v_mul_f64_e32 v[24:25], v[14:15], v[32:33]
	v_mul_f64_e32 v[32:33], v[16:17], v[32:33]
	v_add_f64_e32 v[18:19], v[20:21], v[18:19]
	v_add_f64_e32 v[20:21], v[159:160], v[169:170]
	v_fma_f64 v[159:160], v[4:5], v[26:27], v[161:162]
	v_fma_f64 v[26:27], v[2:3], v[26:27], -v[28:29]
	v_fma_f64 v[16:17], v[16:17], v[30:31], v[24:25]
	v_fma_f64 v[14:15], v[14:15], v[30:31], -v[32:33]
	v_add_f64_e32 v[22:23], v[18:19], v[22:23]
	v_add_f64_e32 v[28:29], v[20:21], v[165:166]
	ds_load_b128 v[2:5], v1 offset:1648
	ds_load_b128 v[18:21], v1 offset:1664
	s_wait_loadcnt_dscnt 0x401
	v_mul_f64_e32 v[161:162], v[2:3], v[40:41]
	v_mul_f64_e32 v[40:41], v[4:5], v[40:41]
	v_add_f64_e32 v[22:23], v[22:23], v[26:27]
	v_add_f64_e32 v[24:25], v[28:29], v[159:160]
	s_wait_loadcnt_dscnt 0x300
	v_mul_f64_e32 v[26:27], v[18:19], v[157:158]
	v_mul_f64_e32 v[28:29], v[20:21], v[157:158]
	v_fma_f64 v[30:31], v[4:5], v[38:39], v[161:162]
	v_fma_f64 v[32:33], v[2:3], v[38:39], -v[40:41]
	v_add_f64_e32 v[22:23], v[22:23], v[14:15]
	v_add_f64_e32 v[24:25], v[24:25], v[16:17]
	ds_load_b128 v[2:5], v1 offset:1680
	ds_load_b128 v[14:17], v1 offset:1696
	v_fma_f64 v[20:21], v[20:21], v[155:156], v[26:27]
	v_fma_f64 v[18:19], v[18:19], v[155:156], -v[28:29]
	s_wait_loadcnt_dscnt 0x201
	v_mul_f64_e32 v[38:39], v[2:3], v[36:37]
	v_mul_f64_e32 v[36:37], v[4:5], v[36:37]
	s_wait_loadcnt_dscnt 0x100
	v_mul_f64_e32 v[26:27], v[14:15], v[8:9]
	v_mul_f64_e32 v[8:9], v[16:17], v[8:9]
	v_add_f64_e32 v[22:23], v[22:23], v[32:33]
	v_add_f64_e32 v[24:25], v[24:25], v[30:31]
	v_fma_f64 v[28:29], v[4:5], v[34:35], v[38:39]
	v_fma_f64 v[30:31], v[2:3], v[34:35], -v[36:37]
	ds_load_b128 v[2:5], v1 offset:1712
	v_fma_f64 v[16:17], v[16:17], v[6:7], v[26:27]
	v_fma_f64 v[6:7], v[14:15], v[6:7], -v[8:9]
	v_add_f64_e32 v[18:19], v[22:23], v[18:19]
	v_add_f64_e32 v[20:21], v[24:25], v[20:21]
	s_wait_loadcnt_dscnt 0x0
	v_mul_f64_e32 v[22:23], v[2:3], v[12:13]
	v_mul_f64_e32 v[12:13], v[4:5], v[12:13]
	s_delay_alu instid0(VALU_DEP_4) | instskip(NEXT) | instid1(VALU_DEP_4)
	v_add_f64_e32 v[8:9], v[18:19], v[30:31]
	v_add_f64_e32 v[14:15], v[20:21], v[28:29]
	s_delay_alu instid0(VALU_DEP_4) | instskip(NEXT) | instid1(VALU_DEP_4)
	v_fma_f64 v[4:5], v[4:5], v[10:11], v[22:23]
	v_fma_f64 v[2:3], v[2:3], v[10:11], -v[12:13]
	s_delay_alu instid0(VALU_DEP_4) | instskip(NEXT) | instid1(VALU_DEP_4)
	v_add_f64_e32 v[6:7], v[8:9], v[6:7]
	v_add_f64_e32 v[8:9], v[14:15], v[16:17]
	s_delay_alu instid0(VALU_DEP_2) | instskip(NEXT) | instid1(VALU_DEP_2)
	v_add_f64_e32 v[2:3], v[6:7], v[2:3]
	v_add_f64_e32 v[4:5], v[8:9], v[4:5]
	s_delay_alu instid0(VALU_DEP_2) | instskip(NEXT) | instid1(VALU_DEP_2)
	v_add_f64_e64 v[2:3], v[42:43], -v[2:3]
	v_add_f64_e64 v[4:5], v[44:45], -v[4:5]
	scratch_store_b128 off, v[2:5], off offset:336
	v_cmpx_lt_u32_e32 19, v0
	s_cbranch_execz .LBB53_299
; %bb.298:
	scratch_load_b128 v[5:8], off, s43
	v_dual_mov_b32 v2, v1 :: v_dual_mov_b32 v3, v1
	v_mov_b32_e32 v4, v1
	scratch_store_b128 off, v[1:4], off offset:320
	s_wait_loadcnt 0x0
	ds_store_b128 v154, v[5:8]
.LBB53_299:
	s_wait_alu 0xfffe
	s_or_b32 exec_lo, exec_lo, s0
	s_wait_storecnt_dscnt 0x0
	s_barrier_signal -1
	s_barrier_wait -1
	global_inv scope:SCOPE_SE
	s_clause 0x8
	scratch_load_b128 v[2:5], off, off offset:336
	scratch_load_b128 v[6:9], off, off offset:352
	scratch_load_b128 v[10:13], off, off offset:368
	scratch_load_b128 v[14:17], off, off offset:384
	scratch_load_b128 v[18:21], off, off offset:400
	scratch_load_b128 v[22:25], off, off offset:416
	scratch_load_b128 v[26:29], off, off offset:432
	scratch_load_b128 v[30:33], off, off offset:448
	scratch_load_b128 v[34:37], off, off offset:464
	ds_load_b128 v[38:41], v1 offset:1184
	ds_load_b128 v[42:45], v1 offset:1200
	s_clause 0x1
	scratch_load_b128 v[155:158], off, off offset:320
	scratch_load_b128 v[159:162], off, off offset:480
	s_mov_b32 s0, exec_lo
	s_wait_loadcnt_dscnt 0xa01
	v_mul_f64_e32 v[163:164], v[40:41], v[4:5]
	v_mul_f64_e32 v[4:5], v[38:39], v[4:5]
	s_wait_loadcnt_dscnt 0x900
	v_mul_f64_e32 v[167:168], v[42:43], v[8:9]
	v_mul_f64_e32 v[8:9], v[44:45], v[8:9]
	s_delay_alu instid0(VALU_DEP_4) | instskip(NEXT) | instid1(VALU_DEP_4)
	v_fma_f64 v[169:170], v[38:39], v[2:3], -v[163:164]
	v_fma_f64 v[171:172], v[40:41], v[2:3], v[4:5]
	ds_load_b128 v[2:5], v1 offset:1216
	ds_load_b128 v[163:166], v1 offset:1232
	scratch_load_b128 v[38:41], off, off offset:496
	v_fma_f64 v[44:45], v[44:45], v[6:7], v[167:168]
	v_fma_f64 v[42:43], v[42:43], v[6:7], -v[8:9]
	scratch_load_b128 v[6:9], off, off offset:512
	s_wait_loadcnt_dscnt 0xa01
	v_mul_f64_e32 v[173:174], v[2:3], v[12:13]
	v_mul_f64_e32 v[12:13], v[4:5], v[12:13]
	v_add_f64_e32 v[167:168], 0, v[169:170]
	v_add_f64_e32 v[169:170], 0, v[171:172]
	s_wait_loadcnt_dscnt 0x900
	v_mul_f64_e32 v[171:172], v[163:164], v[16:17]
	v_mul_f64_e32 v[16:17], v[165:166], v[16:17]
	v_fma_f64 v[173:174], v[4:5], v[10:11], v[173:174]
	v_fma_f64 v[175:176], v[2:3], v[10:11], -v[12:13]
	ds_load_b128 v[2:5], v1 offset:1248
	scratch_load_b128 v[10:13], off, off offset:528
	v_add_f64_e32 v[167:168], v[167:168], v[42:43]
	v_add_f64_e32 v[169:170], v[169:170], v[44:45]
	ds_load_b128 v[42:45], v1 offset:1264
	v_fma_f64 v[165:166], v[165:166], v[14:15], v[171:172]
	v_fma_f64 v[163:164], v[163:164], v[14:15], -v[16:17]
	scratch_load_b128 v[14:17], off, off offset:544
	s_wait_loadcnt_dscnt 0xa01
	v_mul_f64_e32 v[177:178], v[2:3], v[20:21]
	v_mul_f64_e32 v[20:21], v[4:5], v[20:21]
	s_wait_loadcnt_dscnt 0x900
	v_mul_f64_e32 v[171:172], v[42:43], v[24:25]
	v_mul_f64_e32 v[24:25], v[44:45], v[24:25]
	v_add_f64_e32 v[167:168], v[167:168], v[175:176]
	v_add_f64_e32 v[169:170], v[169:170], v[173:174]
	v_fma_f64 v[173:174], v[4:5], v[18:19], v[177:178]
	v_fma_f64 v[175:176], v[2:3], v[18:19], -v[20:21]
	ds_load_b128 v[2:5], v1 offset:1280
	scratch_load_b128 v[18:21], off, off offset:560
	v_fma_f64 v[44:45], v[44:45], v[22:23], v[171:172]
	v_fma_f64 v[42:43], v[42:43], v[22:23], -v[24:25]
	scratch_load_b128 v[22:25], off, off offset:576
	v_add_f64_e32 v[167:168], v[167:168], v[163:164]
	v_add_f64_e32 v[169:170], v[169:170], v[165:166]
	ds_load_b128 v[163:166], v1 offset:1296
	s_wait_loadcnt_dscnt 0xa01
	v_mul_f64_e32 v[177:178], v[2:3], v[28:29]
	v_mul_f64_e32 v[28:29], v[4:5], v[28:29]
	s_wait_loadcnt_dscnt 0x900
	v_mul_f64_e32 v[171:172], v[163:164], v[32:33]
	v_mul_f64_e32 v[32:33], v[165:166], v[32:33]
	v_add_f64_e32 v[167:168], v[167:168], v[175:176]
	v_add_f64_e32 v[169:170], v[169:170], v[173:174]
	v_fma_f64 v[173:174], v[4:5], v[26:27], v[177:178]
	v_fma_f64 v[175:176], v[2:3], v[26:27], -v[28:29]
	ds_load_b128 v[2:5], v1 offset:1312
	scratch_load_b128 v[26:29], off, off offset:592
	v_fma_f64 v[165:166], v[165:166], v[30:31], v[171:172]
	v_fma_f64 v[163:164], v[163:164], v[30:31], -v[32:33]
	scratch_load_b128 v[30:33], off, off offset:608
	v_add_f64_e32 v[167:168], v[167:168], v[42:43]
	v_add_f64_e32 v[169:170], v[169:170], v[44:45]
	ds_load_b128 v[42:45], v1 offset:1328
	s_wait_loadcnt_dscnt 0xa01
	v_mul_f64_e32 v[177:178], v[2:3], v[36:37]
	v_mul_f64_e32 v[36:37], v[4:5], v[36:37]
	s_wait_loadcnt_dscnt 0x800
	v_mul_f64_e32 v[171:172], v[42:43], v[161:162]
	v_add_f64_e32 v[167:168], v[167:168], v[175:176]
	v_add_f64_e32 v[169:170], v[169:170], v[173:174]
	v_mul_f64_e32 v[173:174], v[44:45], v[161:162]
	v_fma_f64 v[175:176], v[4:5], v[34:35], v[177:178]
	v_fma_f64 v[177:178], v[2:3], v[34:35], -v[36:37]
	ds_load_b128 v[2:5], v1 offset:1344
	scratch_load_b128 v[34:37], off, off offset:624
	v_fma_f64 v[44:45], v[44:45], v[159:160], v[171:172]
	v_add_f64_e32 v[167:168], v[167:168], v[163:164]
	v_add_f64_e32 v[165:166], v[169:170], v[165:166]
	ds_load_b128 v[161:164], v1 offset:1360
	v_fma_f64 v[159:160], v[42:43], v[159:160], -v[173:174]
	s_wait_loadcnt_dscnt 0x801
	v_mul_f64_e32 v[169:170], v[2:3], v[40:41]
	v_mul_f64_e32 v[179:180], v[4:5], v[40:41]
	scratch_load_b128 v[40:43], off, off offset:640
	s_wait_loadcnt_dscnt 0x800
	v_mul_f64_e32 v[173:174], v[161:162], v[8:9]
	v_mul_f64_e32 v[8:9], v[163:164], v[8:9]
	v_add_f64_e32 v[167:168], v[167:168], v[177:178]
	v_add_f64_e32 v[165:166], v[165:166], v[175:176]
	v_fma_f64 v[175:176], v[4:5], v[38:39], v[169:170]
	v_fma_f64 v[38:39], v[2:3], v[38:39], -v[179:180]
	ds_load_b128 v[2:5], v1 offset:1376
	ds_load_b128 v[169:172], v1 offset:1392
	v_fma_f64 v[163:164], v[163:164], v[6:7], v[173:174]
	v_fma_f64 v[161:162], v[161:162], v[6:7], -v[8:9]
	scratch_load_b128 v[6:9], off, off offset:672
	v_add_f64_e32 v[159:160], v[167:168], v[159:160]
	v_add_f64_e32 v[44:45], v[165:166], v[44:45]
	scratch_load_b128 v[165:168], off, off offset:656
	s_wait_loadcnt_dscnt 0x901
	v_mul_f64_e32 v[177:178], v[2:3], v[12:13]
	v_mul_f64_e32 v[12:13], v[4:5], v[12:13]
	s_wait_loadcnt_dscnt 0x800
	v_mul_f64_e32 v[173:174], v[169:170], v[16:17]
	v_mul_f64_e32 v[16:17], v[171:172], v[16:17]
	v_add_f64_e32 v[38:39], v[159:160], v[38:39]
	v_add_f64_e32 v[44:45], v[44:45], v[175:176]
	v_fma_f64 v[175:176], v[4:5], v[10:11], v[177:178]
	v_fma_f64 v[177:178], v[2:3], v[10:11], -v[12:13]
	ds_load_b128 v[2:5], v1 offset:1408
	scratch_load_b128 v[10:13], off, off offset:688
	v_fma_f64 v[171:172], v[171:172], v[14:15], v[173:174]
	v_fma_f64 v[169:170], v[169:170], v[14:15], -v[16:17]
	scratch_load_b128 v[14:17], off, off offset:704
	v_add_f64_e32 v[38:39], v[38:39], v[161:162]
	v_add_f64_e32 v[44:45], v[44:45], v[163:164]
	ds_load_b128 v[159:162], v1 offset:1424
	s_wait_loadcnt_dscnt 0x901
	v_mul_f64_e32 v[163:164], v[2:3], v[20:21]
	v_mul_f64_e32 v[20:21], v[4:5], v[20:21]
	s_wait_loadcnt_dscnt 0x800
	v_mul_f64_e32 v[173:174], v[159:160], v[24:25]
	v_mul_f64_e32 v[24:25], v[161:162], v[24:25]
	v_add_f64_e32 v[38:39], v[38:39], v[177:178]
	v_add_f64_e32 v[44:45], v[44:45], v[175:176]
	v_fma_f64 v[163:164], v[4:5], v[18:19], v[163:164]
	v_fma_f64 v[175:176], v[2:3], v[18:19], -v[20:21]
	ds_load_b128 v[2:5], v1 offset:1440
	scratch_load_b128 v[18:21], off, off offset:720
	v_fma_f64 v[161:162], v[161:162], v[22:23], v[173:174]
	v_fma_f64 v[159:160], v[159:160], v[22:23], -v[24:25]
	scratch_load_b128 v[22:25], off, off offset:736
	v_add_f64_e32 v[38:39], v[38:39], v[169:170]
	v_add_f64_e32 v[44:45], v[44:45], v[171:172]
	ds_load_b128 v[169:172], v1 offset:1456
	s_wait_loadcnt_dscnt 0x901
	v_mul_f64_e32 v[177:178], v[2:3], v[28:29]
	v_mul_f64_e32 v[28:29], v[4:5], v[28:29]
	v_add_f64_e32 v[38:39], v[38:39], v[175:176]
	v_add_f64_e32 v[44:45], v[44:45], v[163:164]
	s_wait_loadcnt_dscnt 0x800
	v_mul_f64_e32 v[163:164], v[169:170], v[32:33]
	v_mul_f64_e32 v[32:33], v[171:172], v[32:33]
	v_fma_f64 v[173:174], v[4:5], v[26:27], v[177:178]
	v_fma_f64 v[175:176], v[2:3], v[26:27], -v[28:29]
	ds_load_b128 v[2:5], v1 offset:1472
	scratch_load_b128 v[26:29], off, off offset:752
	v_add_f64_e32 v[38:39], v[38:39], v[159:160]
	v_add_f64_e32 v[44:45], v[44:45], v[161:162]
	ds_load_b128 v[159:162], v1 offset:1488
	s_wait_loadcnt_dscnt 0x801
	v_mul_f64_e32 v[177:178], v[2:3], v[36:37]
	v_mul_f64_e32 v[36:37], v[4:5], v[36:37]
	v_fma_f64 v[163:164], v[171:172], v[30:31], v[163:164]
	v_fma_f64 v[169:170], v[169:170], v[30:31], -v[32:33]
	scratch_load_b128 v[30:33], off, off offset:768
	s_wait_loadcnt_dscnt 0x800
	v_mul_f64_e32 v[171:172], v[159:160], v[42:43]
	v_add_f64_e32 v[38:39], v[38:39], v[175:176]
	v_add_f64_e32 v[44:45], v[44:45], v[173:174]
	v_mul_f64_e32 v[173:174], v[161:162], v[42:43]
	v_fma_f64 v[175:176], v[4:5], v[34:35], v[177:178]
	v_fma_f64 v[177:178], v[2:3], v[34:35], -v[36:37]
	ds_load_b128 v[2:5], v1 offset:1504
	scratch_load_b128 v[34:37], off, off offset:784
	v_fma_f64 v[161:162], v[161:162], v[40:41], v[171:172]
	v_add_f64_e32 v[38:39], v[38:39], v[169:170]
	v_add_f64_e32 v[163:164], v[44:45], v[163:164]
	ds_load_b128 v[42:45], v1 offset:1520
	v_fma_f64 v[159:160], v[159:160], v[40:41], -v[173:174]
	s_wait_loadcnt_dscnt 0x701
	v_mul_f64_e32 v[169:170], v[2:3], v[167:168]
	v_mul_f64_e32 v[167:168], v[4:5], v[167:168]
	s_wait_dscnt 0x0
	v_mul_f64_e32 v[173:174], v[42:43], v[8:9]
	v_mul_f64_e32 v[8:9], v[44:45], v[8:9]
	v_add_f64_e32 v[171:172], v[38:39], v[177:178]
	v_add_f64_e32 v[163:164], v[163:164], v[175:176]
	scratch_load_b128 v[38:41], off, off offset:800
	v_fma_f64 v[169:170], v[4:5], v[165:166], v[169:170]
	v_fma_f64 v[167:168], v[2:3], v[165:166], -v[167:168]
	ds_load_b128 v[2:5], v1 offset:1536
	v_fma_f64 v[44:45], v[44:45], v[6:7], v[173:174]
	v_fma_f64 v[42:43], v[42:43], v[6:7], -v[8:9]
	scratch_load_b128 v[6:9], off, off offset:832
	v_add_f64_e32 v[171:172], v[171:172], v[159:160]
	v_add_f64_e32 v[175:176], v[163:164], v[161:162]
	scratch_load_b128 v[159:162], off, off offset:816
	ds_load_b128 v[163:166], v1 offset:1552
	s_wait_loadcnt_dscnt 0x901
	v_mul_f64_e32 v[177:178], v[2:3], v[12:13]
	v_mul_f64_e32 v[12:13], v[4:5], v[12:13]
	v_add_f64_e32 v[167:168], v[171:172], v[167:168]
	v_add_f64_e32 v[169:170], v[175:176], v[169:170]
	s_wait_loadcnt_dscnt 0x800
	v_mul_f64_e32 v[171:172], v[163:164], v[16:17]
	v_mul_f64_e32 v[16:17], v[165:166], v[16:17]
	v_fma_f64 v[173:174], v[4:5], v[10:11], v[177:178]
	v_fma_f64 v[175:176], v[2:3], v[10:11], -v[12:13]
	ds_load_b128 v[2:5], v1 offset:1568
	scratch_load_b128 v[10:13], off, off offset:848
	v_add_f64_e32 v[167:168], v[167:168], v[42:43]
	v_add_f64_e32 v[169:170], v[169:170], v[44:45]
	ds_load_b128 v[42:45], v1 offset:1584
	s_wait_loadcnt_dscnt 0x801
	v_mul_f64_e32 v[177:178], v[2:3], v[20:21]
	v_mul_f64_e32 v[20:21], v[4:5], v[20:21]
	v_fma_f64 v[165:166], v[165:166], v[14:15], v[171:172]
	v_fma_f64 v[163:164], v[163:164], v[14:15], -v[16:17]
	scratch_load_b128 v[14:17], off, off offset:864
	s_wait_loadcnt_dscnt 0x800
	v_mul_f64_e32 v[171:172], v[42:43], v[24:25]
	v_mul_f64_e32 v[24:25], v[44:45], v[24:25]
	v_add_f64_e32 v[167:168], v[167:168], v[175:176]
	v_add_f64_e32 v[169:170], v[169:170], v[173:174]
	v_fma_f64 v[173:174], v[4:5], v[18:19], v[177:178]
	v_fma_f64 v[175:176], v[2:3], v[18:19], -v[20:21]
	ds_load_b128 v[2:5], v1 offset:1600
	ds_load_b128 v[18:21], v1 offset:1616
	v_fma_f64 v[44:45], v[44:45], v[22:23], v[171:172]
	v_fma_f64 v[22:23], v[42:43], v[22:23], -v[24:25]
	v_add_f64_e32 v[163:164], v[167:168], v[163:164]
	v_add_f64_e32 v[165:166], v[169:170], v[165:166]
	s_wait_loadcnt_dscnt 0x701
	v_mul_f64_e32 v[167:168], v[2:3], v[28:29]
	v_mul_f64_e32 v[28:29], v[4:5], v[28:29]
	s_delay_alu instid0(VALU_DEP_4) | instskip(NEXT) | instid1(VALU_DEP_4)
	v_add_f64_e32 v[24:25], v[163:164], v[175:176]
	v_add_f64_e32 v[42:43], v[165:166], v[173:174]
	s_wait_loadcnt_dscnt 0x600
	v_mul_f64_e32 v[163:164], v[18:19], v[32:33]
	v_mul_f64_e32 v[32:33], v[20:21], v[32:33]
	v_fma_f64 v[165:166], v[4:5], v[26:27], v[167:168]
	v_fma_f64 v[26:27], v[2:3], v[26:27], -v[28:29]
	v_add_f64_e32 v[28:29], v[24:25], v[22:23]
	v_add_f64_e32 v[42:43], v[42:43], v[44:45]
	ds_load_b128 v[2:5], v1 offset:1632
	ds_load_b128 v[22:25], v1 offset:1648
	v_fma_f64 v[20:21], v[20:21], v[30:31], v[163:164]
	v_fma_f64 v[18:19], v[18:19], v[30:31], -v[32:33]
	s_wait_loadcnt_dscnt 0x501
	v_mul_f64_e32 v[44:45], v[2:3], v[36:37]
	v_mul_f64_e32 v[36:37], v[4:5], v[36:37]
	v_add_f64_e32 v[26:27], v[28:29], v[26:27]
	v_add_f64_e32 v[28:29], v[42:43], v[165:166]
	s_wait_loadcnt_dscnt 0x400
	v_mul_f64_e32 v[30:31], v[22:23], v[40:41]
	v_mul_f64_e32 v[32:33], v[24:25], v[40:41]
	v_fma_f64 v[40:41], v[4:5], v[34:35], v[44:45]
	v_fma_f64 v[34:35], v[2:3], v[34:35], -v[36:37]
	v_add_f64_e32 v[26:27], v[26:27], v[18:19]
	v_add_f64_e32 v[28:29], v[28:29], v[20:21]
	ds_load_b128 v[2:5], v1 offset:1664
	ds_load_b128 v[18:21], v1 offset:1680
	v_fma_f64 v[24:25], v[24:25], v[38:39], v[30:31]
	v_fma_f64 v[22:23], v[22:23], v[38:39], -v[32:33]
	s_wait_loadcnt_dscnt 0x201
	v_mul_f64_e32 v[36:37], v[2:3], v[161:162]
	v_mul_f64_e32 v[42:43], v[4:5], v[161:162]
	s_wait_dscnt 0x0
	v_mul_f64_e32 v[30:31], v[18:19], v[8:9]
	v_mul_f64_e32 v[8:9], v[20:21], v[8:9]
	v_add_f64_e32 v[26:27], v[26:27], v[34:35]
	v_add_f64_e32 v[28:29], v[28:29], v[40:41]
	v_fma_f64 v[32:33], v[4:5], v[159:160], v[36:37]
	v_fma_f64 v[34:35], v[2:3], v[159:160], -v[42:43]
	v_fma_f64 v[20:21], v[20:21], v[6:7], v[30:31]
	v_fma_f64 v[6:7], v[18:19], v[6:7], -v[8:9]
	v_add_f64_e32 v[26:27], v[26:27], v[22:23]
	v_add_f64_e32 v[28:29], v[28:29], v[24:25]
	ds_load_b128 v[2:5], v1 offset:1696
	ds_load_b128 v[22:25], v1 offset:1712
	s_wait_loadcnt_dscnt 0x101
	v_mul_f64_e32 v[36:37], v[2:3], v[12:13]
	v_mul_f64_e32 v[12:13], v[4:5], v[12:13]
	v_add_f64_e32 v[8:9], v[26:27], v[34:35]
	v_add_f64_e32 v[18:19], v[28:29], v[32:33]
	s_wait_loadcnt_dscnt 0x0
	v_mul_f64_e32 v[26:27], v[22:23], v[16:17]
	v_mul_f64_e32 v[16:17], v[24:25], v[16:17]
	v_fma_f64 v[4:5], v[4:5], v[10:11], v[36:37]
	v_fma_f64 v[1:2], v[2:3], v[10:11], -v[12:13]
	v_add_f64_e32 v[6:7], v[8:9], v[6:7]
	v_add_f64_e32 v[8:9], v[18:19], v[20:21]
	v_fma_f64 v[10:11], v[24:25], v[14:15], v[26:27]
	v_fma_f64 v[12:13], v[22:23], v[14:15], -v[16:17]
	s_delay_alu instid0(VALU_DEP_4) | instskip(NEXT) | instid1(VALU_DEP_4)
	v_add_f64_e32 v[1:2], v[6:7], v[1:2]
	v_add_f64_e32 v[3:4], v[8:9], v[4:5]
	s_delay_alu instid0(VALU_DEP_2) | instskip(NEXT) | instid1(VALU_DEP_2)
	v_add_f64_e32 v[1:2], v[1:2], v[12:13]
	v_add_f64_e32 v[3:4], v[3:4], v[10:11]
	s_delay_alu instid0(VALU_DEP_2) | instskip(NEXT) | instid1(VALU_DEP_2)
	v_add_f64_e64 v[1:2], v[155:156], -v[1:2]
	v_add_f64_e64 v[3:4], v[157:158], -v[3:4]
	scratch_store_b128 off, v[1:4], off offset:320
	v_cmpx_lt_u32_e32 18, v0
	s_cbranch_execz .LBB53_301
; %bb.300:
	scratch_load_b128 v[1:4], off, s49
	v_mov_b32_e32 v5, 0
	s_delay_alu instid0(VALU_DEP_1)
	v_dual_mov_b32 v6, v5 :: v_dual_mov_b32 v7, v5
	v_mov_b32_e32 v8, v5
	scratch_store_b128 off, v[5:8], off offset:304
	s_wait_loadcnt 0x0
	ds_store_b128 v154, v[1:4]
.LBB53_301:
	s_wait_alu 0xfffe
	s_or_b32 exec_lo, exec_lo, s0
	s_wait_storecnt_dscnt 0x0
	s_barrier_signal -1
	s_barrier_wait -1
	global_inv scope:SCOPE_SE
	s_clause 0x7
	scratch_load_b128 v[2:5], off, off offset:320
	scratch_load_b128 v[6:9], off, off offset:336
	;; [unrolled: 1-line block ×8, first 2 shown]
	v_mov_b32_e32 v1, 0
	s_mov_b32 s0, exec_lo
	ds_load_b128 v[38:41], v1 offset:1168
	s_clause 0x1
	scratch_load_b128 v[34:37], off, off offset:448
	scratch_load_b128 v[42:45], off, off offset:304
	ds_load_b128 v[155:158], v1 offset:1184
	scratch_load_b128 v[159:162], off, off offset:464
	s_wait_loadcnt_dscnt 0xa01
	v_mul_f64_e32 v[163:164], v[40:41], v[4:5]
	v_mul_f64_e32 v[4:5], v[38:39], v[4:5]
	s_delay_alu instid0(VALU_DEP_2) | instskip(NEXT) | instid1(VALU_DEP_2)
	v_fma_f64 v[169:170], v[38:39], v[2:3], -v[163:164]
	v_fma_f64 v[171:172], v[40:41], v[2:3], v[4:5]
	ds_load_b128 v[2:5], v1 offset:1200
	s_wait_loadcnt_dscnt 0x901
	v_mul_f64_e32 v[167:168], v[155:156], v[8:9]
	v_mul_f64_e32 v[8:9], v[157:158], v[8:9]
	scratch_load_b128 v[38:41], off, off offset:480
	ds_load_b128 v[163:166], v1 offset:1216
	s_wait_loadcnt_dscnt 0x901
	v_mul_f64_e32 v[173:174], v[2:3], v[12:13]
	v_mul_f64_e32 v[12:13], v[4:5], v[12:13]
	v_fma_f64 v[157:158], v[157:158], v[6:7], v[167:168]
	v_fma_f64 v[155:156], v[155:156], v[6:7], -v[8:9]
	v_add_f64_e32 v[167:168], 0, v[169:170]
	v_add_f64_e32 v[169:170], 0, v[171:172]
	scratch_load_b128 v[6:9], off, off offset:496
	v_fma_f64 v[173:174], v[4:5], v[10:11], v[173:174]
	v_fma_f64 v[175:176], v[2:3], v[10:11], -v[12:13]
	ds_load_b128 v[2:5], v1 offset:1232
	s_wait_loadcnt_dscnt 0x901
	v_mul_f64_e32 v[171:172], v[163:164], v[16:17]
	v_mul_f64_e32 v[16:17], v[165:166], v[16:17]
	scratch_load_b128 v[10:13], off, off offset:512
	v_add_f64_e32 v[167:168], v[167:168], v[155:156]
	v_add_f64_e32 v[169:170], v[169:170], v[157:158]
	s_wait_loadcnt_dscnt 0x900
	v_mul_f64_e32 v[177:178], v[2:3], v[20:21]
	v_mul_f64_e32 v[20:21], v[4:5], v[20:21]
	ds_load_b128 v[155:158], v1 offset:1248
	v_fma_f64 v[165:166], v[165:166], v[14:15], v[171:172]
	v_fma_f64 v[163:164], v[163:164], v[14:15], -v[16:17]
	scratch_load_b128 v[14:17], off, off offset:528
	v_add_f64_e32 v[167:168], v[167:168], v[175:176]
	v_add_f64_e32 v[169:170], v[169:170], v[173:174]
	v_fma_f64 v[173:174], v[4:5], v[18:19], v[177:178]
	v_fma_f64 v[175:176], v[2:3], v[18:19], -v[20:21]
	ds_load_b128 v[2:5], v1 offset:1264
	s_wait_loadcnt_dscnt 0x901
	v_mul_f64_e32 v[171:172], v[155:156], v[24:25]
	v_mul_f64_e32 v[24:25], v[157:158], v[24:25]
	scratch_load_b128 v[18:21], off, off offset:544
	s_wait_loadcnt_dscnt 0x900
	v_mul_f64_e32 v[177:178], v[2:3], v[28:29]
	v_mul_f64_e32 v[28:29], v[4:5], v[28:29]
	v_add_f64_e32 v[167:168], v[167:168], v[163:164]
	v_add_f64_e32 v[169:170], v[169:170], v[165:166]
	ds_load_b128 v[163:166], v1 offset:1280
	v_fma_f64 v[157:158], v[157:158], v[22:23], v[171:172]
	v_fma_f64 v[155:156], v[155:156], v[22:23], -v[24:25]
	scratch_load_b128 v[22:25], off, off offset:560
	v_add_f64_e32 v[167:168], v[167:168], v[175:176]
	v_add_f64_e32 v[169:170], v[169:170], v[173:174]
	v_fma_f64 v[173:174], v[4:5], v[26:27], v[177:178]
	v_fma_f64 v[175:176], v[2:3], v[26:27], -v[28:29]
	ds_load_b128 v[2:5], v1 offset:1296
	s_wait_loadcnt_dscnt 0x901
	v_mul_f64_e32 v[171:172], v[163:164], v[32:33]
	v_mul_f64_e32 v[32:33], v[165:166], v[32:33]
	scratch_load_b128 v[26:29], off, off offset:576
	s_wait_loadcnt_dscnt 0x900
	v_mul_f64_e32 v[177:178], v[2:3], v[36:37]
	v_mul_f64_e32 v[36:37], v[4:5], v[36:37]
	v_add_f64_e32 v[167:168], v[167:168], v[155:156]
	v_add_f64_e32 v[169:170], v[169:170], v[157:158]
	ds_load_b128 v[155:158], v1 offset:1312
	v_fma_f64 v[165:166], v[165:166], v[30:31], v[171:172]
	v_fma_f64 v[163:164], v[163:164], v[30:31], -v[32:33]
	scratch_load_b128 v[30:33], off, off offset:592
	v_add_f64_e32 v[167:168], v[167:168], v[175:176]
	v_add_f64_e32 v[169:170], v[169:170], v[173:174]
	v_fma_f64 v[175:176], v[4:5], v[34:35], v[177:178]
	v_fma_f64 v[177:178], v[2:3], v[34:35], -v[36:37]
	ds_load_b128 v[2:5], v1 offset:1328
	s_wait_loadcnt_dscnt 0x801
	v_mul_f64_e32 v[171:172], v[155:156], v[161:162]
	v_mul_f64_e32 v[173:174], v[157:158], v[161:162]
	scratch_load_b128 v[34:37], off, off offset:608
	v_add_f64_e32 v[167:168], v[167:168], v[163:164]
	v_add_f64_e32 v[165:166], v[169:170], v[165:166]
	ds_load_b128 v[161:164], v1 offset:1344
	v_fma_f64 v[171:172], v[157:158], v[159:160], v[171:172]
	v_fma_f64 v[159:160], v[155:156], v[159:160], -v[173:174]
	scratch_load_b128 v[155:158], off, off offset:624
	s_wait_loadcnt_dscnt 0x901
	v_mul_f64_e32 v[169:170], v[2:3], v[40:41]
	v_mul_f64_e32 v[40:41], v[4:5], v[40:41]
	v_add_f64_e32 v[167:168], v[167:168], v[177:178]
	v_add_f64_e32 v[165:166], v[165:166], v[175:176]
	s_delay_alu instid0(VALU_DEP_4) | instskip(NEXT) | instid1(VALU_DEP_4)
	v_fma_f64 v[169:170], v[4:5], v[38:39], v[169:170]
	v_fma_f64 v[175:176], v[2:3], v[38:39], -v[40:41]
	ds_load_b128 v[2:5], v1 offset:1360
	s_wait_loadcnt_dscnt 0x801
	v_mul_f64_e32 v[173:174], v[161:162], v[8:9]
	v_mul_f64_e32 v[8:9], v[163:164], v[8:9]
	scratch_load_b128 v[38:41], off, off offset:640
	s_wait_loadcnt_dscnt 0x800
	v_mul_f64_e32 v[177:178], v[2:3], v[12:13]
	v_add_f64_e32 v[159:160], v[167:168], v[159:160]
	v_add_f64_e32 v[171:172], v[165:166], v[171:172]
	v_mul_f64_e32 v[12:13], v[4:5], v[12:13]
	ds_load_b128 v[165:168], v1 offset:1376
	v_fma_f64 v[163:164], v[163:164], v[6:7], v[173:174]
	v_fma_f64 v[161:162], v[161:162], v[6:7], -v[8:9]
	scratch_load_b128 v[6:9], off, off offset:656
	v_fma_f64 v[173:174], v[4:5], v[10:11], v[177:178]
	v_add_f64_e32 v[159:160], v[159:160], v[175:176]
	v_add_f64_e32 v[169:170], v[171:172], v[169:170]
	v_fma_f64 v[175:176], v[2:3], v[10:11], -v[12:13]
	ds_load_b128 v[2:5], v1 offset:1392
	s_wait_loadcnt_dscnt 0x801
	v_mul_f64_e32 v[171:172], v[165:166], v[16:17]
	v_mul_f64_e32 v[16:17], v[167:168], v[16:17]
	scratch_load_b128 v[10:13], off, off offset:672
	v_add_f64_e32 v[177:178], v[159:160], v[161:162]
	v_add_f64_e32 v[163:164], v[169:170], v[163:164]
	s_wait_loadcnt_dscnt 0x800
	v_mul_f64_e32 v[169:170], v[2:3], v[20:21]
	v_mul_f64_e32 v[20:21], v[4:5], v[20:21]
	v_fma_f64 v[167:168], v[167:168], v[14:15], v[171:172]
	v_fma_f64 v[165:166], v[165:166], v[14:15], -v[16:17]
	ds_load_b128 v[159:162], v1 offset:1408
	scratch_load_b128 v[14:17], off, off offset:688
	v_add_f64_e32 v[171:172], v[177:178], v[175:176]
	v_add_f64_e32 v[163:164], v[163:164], v[173:174]
	v_fma_f64 v[169:170], v[4:5], v[18:19], v[169:170]
	v_fma_f64 v[175:176], v[2:3], v[18:19], -v[20:21]
	ds_load_b128 v[2:5], v1 offset:1424
	s_wait_loadcnt_dscnt 0x801
	v_mul_f64_e32 v[173:174], v[159:160], v[24:25]
	v_mul_f64_e32 v[24:25], v[161:162], v[24:25]
	scratch_load_b128 v[18:21], off, off offset:704
	s_wait_loadcnt_dscnt 0x800
	v_mul_f64_e32 v[177:178], v[2:3], v[28:29]
	v_mul_f64_e32 v[28:29], v[4:5], v[28:29]
	v_add_f64_e32 v[171:172], v[171:172], v[165:166]
	v_add_f64_e32 v[167:168], v[163:164], v[167:168]
	ds_load_b128 v[163:166], v1 offset:1440
	v_fma_f64 v[161:162], v[161:162], v[22:23], v[173:174]
	v_fma_f64 v[159:160], v[159:160], v[22:23], -v[24:25]
	scratch_load_b128 v[22:25], off, off offset:720
	v_fma_f64 v[173:174], v[4:5], v[26:27], v[177:178]
	v_add_f64_e32 v[171:172], v[171:172], v[175:176]
	v_add_f64_e32 v[167:168], v[167:168], v[169:170]
	v_fma_f64 v[175:176], v[2:3], v[26:27], -v[28:29]
	ds_load_b128 v[2:5], v1 offset:1456
	s_wait_loadcnt_dscnt 0x801
	v_mul_f64_e32 v[169:170], v[163:164], v[32:33]
	v_mul_f64_e32 v[32:33], v[165:166], v[32:33]
	scratch_load_b128 v[26:29], off, off offset:736
	s_wait_loadcnt_dscnt 0x800
	v_mul_f64_e32 v[177:178], v[2:3], v[36:37]
	v_mul_f64_e32 v[36:37], v[4:5], v[36:37]
	v_add_f64_e32 v[171:172], v[171:172], v[159:160]
	v_add_f64_e32 v[167:168], v[167:168], v[161:162]
	ds_load_b128 v[159:162], v1 offset:1472
	v_fma_f64 v[165:166], v[165:166], v[30:31], v[169:170]
	v_fma_f64 v[163:164], v[163:164], v[30:31], -v[32:33]
	scratch_load_b128 v[30:33], off, off offset:752
	v_add_f64_e32 v[169:170], v[171:172], v[175:176]
	v_add_f64_e32 v[167:168], v[167:168], v[173:174]
	v_fma_f64 v[173:174], v[4:5], v[34:35], v[177:178]
	v_fma_f64 v[175:176], v[2:3], v[34:35], -v[36:37]
	ds_load_b128 v[2:5], v1 offset:1488
	s_wait_loadcnt_dscnt 0x801
	v_mul_f64_e32 v[171:172], v[159:160], v[157:158]
	v_mul_f64_e32 v[157:158], v[161:162], v[157:158]
	scratch_load_b128 v[34:37], off, off offset:768
	s_wait_loadcnt_dscnt 0x800
	v_mul_f64_e32 v[177:178], v[2:3], v[40:41]
	v_mul_f64_e32 v[40:41], v[4:5], v[40:41]
	v_add_f64_e32 v[169:170], v[169:170], v[163:164]
	v_add_f64_e32 v[167:168], v[167:168], v[165:166]
	ds_load_b128 v[163:166], v1 offset:1504
	v_fma_f64 v[161:162], v[161:162], v[155:156], v[171:172]
	v_fma_f64 v[159:160], v[159:160], v[155:156], -v[157:158]
	scratch_load_b128 v[155:158], off, off offset:784
	v_add_f64_e32 v[169:170], v[169:170], v[175:176]
	v_add_f64_e32 v[167:168], v[167:168], v[173:174]
	v_fma_f64 v[173:174], v[4:5], v[38:39], v[177:178]
	;; [unrolled: 18-line block ×4, first 2 shown]
	v_fma_f64 v[175:176], v[2:3], v[18:19], -v[20:21]
	ds_load_b128 v[2:5], v1 offset:1584
	s_wait_loadcnt_dscnt 0x801
	v_mul_f64_e32 v[171:172], v[163:164], v[24:25]
	v_mul_f64_e32 v[24:25], v[165:166], v[24:25]
	scratch_load_b128 v[18:21], off, off offset:864
	s_wait_loadcnt_dscnt 0x800
	v_mul_f64_e32 v[177:178], v[2:3], v[28:29]
	v_mul_f64_e32 v[28:29], v[4:5], v[28:29]
	v_add_f64_e32 v[169:170], v[169:170], v[159:160]
	v_add_f64_e32 v[167:168], v[167:168], v[161:162]
	ds_load_b128 v[159:162], v1 offset:1600
	v_fma_f64 v[165:166], v[165:166], v[22:23], v[171:172]
	v_fma_f64 v[22:23], v[163:164], v[22:23], -v[24:25]
	v_add_f64_e32 v[24:25], v[169:170], v[175:176]
	v_add_f64_e32 v[163:164], v[167:168], v[173:174]
	s_wait_loadcnt_dscnt 0x700
	v_mul_f64_e32 v[167:168], v[159:160], v[32:33]
	v_mul_f64_e32 v[32:33], v[161:162], v[32:33]
	v_fma_f64 v[169:170], v[4:5], v[26:27], v[177:178]
	v_fma_f64 v[26:27], v[2:3], v[26:27], -v[28:29]
	v_add_f64_e32 v[28:29], v[24:25], v[22:23]
	v_add_f64_e32 v[163:164], v[163:164], v[165:166]
	ds_load_b128 v[2:5], v1 offset:1616
	ds_load_b128 v[22:25], v1 offset:1632
	v_fma_f64 v[161:162], v[161:162], v[30:31], v[167:168]
	v_fma_f64 v[30:31], v[159:160], v[30:31], -v[32:33]
	s_wait_loadcnt_dscnt 0x601
	v_mul_f64_e32 v[165:166], v[2:3], v[36:37]
	v_mul_f64_e32 v[36:37], v[4:5], v[36:37]
	s_wait_loadcnt_dscnt 0x500
	v_mul_f64_e32 v[32:33], v[22:23], v[157:158]
	v_mul_f64_e32 v[157:158], v[24:25], v[157:158]
	v_add_f64_e32 v[26:27], v[28:29], v[26:27]
	v_add_f64_e32 v[28:29], v[163:164], v[169:170]
	v_fma_f64 v[159:160], v[4:5], v[34:35], v[165:166]
	v_fma_f64 v[34:35], v[2:3], v[34:35], -v[36:37]
	v_fma_f64 v[24:25], v[24:25], v[155:156], v[32:33]
	v_fma_f64 v[22:23], v[22:23], v[155:156], -v[157:158]
	v_add_f64_e32 v[30:31], v[26:27], v[30:31]
	v_add_f64_e32 v[36:37], v[28:29], v[161:162]
	ds_load_b128 v[2:5], v1 offset:1648
	ds_load_b128 v[26:29], v1 offset:1664
	s_wait_loadcnt_dscnt 0x401
	v_mul_f64_e32 v[161:162], v[2:3], v[40:41]
	v_mul_f64_e32 v[40:41], v[4:5], v[40:41]
	v_add_f64_e32 v[30:31], v[30:31], v[34:35]
	v_add_f64_e32 v[32:33], v[36:37], v[159:160]
	s_wait_loadcnt_dscnt 0x300
	v_mul_f64_e32 v[34:35], v[26:27], v[8:9]
	v_mul_f64_e32 v[8:9], v[28:29], v[8:9]
	v_fma_f64 v[36:37], v[4:5], v[38:39], v[161:162]
	v_fma_f64 v[38:39], v[2:3], v[38:39], -v[40:41]
	v_add_f64_e32 v[30:31], v[30:31], v[22:23]
	v_add_f64_e32 v[32:33], v[32:33], v[24:25]
	ds_load_b128 v[2:5], v1 offset:1680
	ds_load_b128 v[22:25], v1 offset:1696
	v_fma_f64 v[28:29], v[28:29], v[6:7], v[34:35]
	v_fma_f64 v[6:7], v[26:27], v[6:7], -v[8:9]
	s_wait_loadcnt_dscnt 0x201
	v_mul_f64_e32 v[40:41], v[2:3], v[12:13]
	v_mul_f64_e32 v[12:13], v[4:5], v[12:13]
	v_add_f64_e32 v[8:9], v[30:31], v[38:39]
	v_add_f64_e32 v[26:27], v[32:33], v[36:37]
	s_wait_loadcnt_dscnt 0x100
	v_mul_f64_e32 v[30:31], v[22:23], v[16:17]
	v_mul_f64_e32 v[16:17], v[24:25], v[16:17]
	v_fma_f64 v[32:33], v[4:5], v[10:11], v[40:41]
	v_fma_f64 v[10:11], v[2:3], v[10:11], -v[12:13]
	ds_load_b128 v[2:5], v1 offset:1712
	v_add_f64_e32 v[6:7], v[8:9], v[6:7]
	v_add_f64_e32 v[8:9], v[26:27], v[28:29]
	v_fma_f64 v[24:25], v[24:25], v[14:15], v[30:31]
	v_fma_f64 v[14:15], v[22:23], v[14:15], -v[16:17]
	s_wait_loadcnt_dscnt 0x0
	v_mul_f64_e32 v[12:13], v[2:3], v[20:21]
	v_mul_f64_e32 v[20:21], v[4:5], v[20:21]
	v_add_f64_e32 v[6:7], v[6:7], v[10:11]
	v_add_f64_e32 v[8:9], v[8:9], v[32:33]
	s_delay_alu instid0(VALU_DEP_4) | instskip(NEXT) | instid1(VALU_DEP_4)
	v_fma_f64 v[4:5], v[4:5], v[18:19], v[12:13]
	v_fma_f64 v[2:3], v[2:3], v[18:19], -v[20:21]
	s_delay_alu instid0(VALU_DEP_4) | instskip(NEXT) | instid1(VALU_DEP_4)
	v_add_f64_e32 v[6:7], v[6:7], v[14:15]
	v_add_f64_e32 v[8:9], v[8:9], v[24:25]
	s_delay_alu instid0(VALU_DEP_2) | instskip(NEXT) | instid1(VALU_DEP_2)
	v_add_f64_e32 v[2:3], v[6:7], v[2:3]
	v_add_f64_e32 v[4:5], v[8:9], v[4:5]
	s_delay_alu instid0(VALU_DEP_2) | instskip(NEXT) | instid1(VALU_DEP_2)
	v_add_f64_e64 v[2:3], v[42:43], -v[2:3]
	v_add_f64_e64 v[4:5], v[44:45], -v[4:5]
	scratch_store_b128 off, v[2:5], off offset:304
	v_cmpx_lt_u32_e32 17, v0
	s_cbranch_execz .LBB53_303
; %bb.302:
	scratch_load_b128 v[5:8], off, s50
	v_dual_mov_b32 v2, v1 :: v_dual_mov_b32 v3, v1
	v_mov_b32_e32 v4, v1
	scratch_store_b128 off, v[1:4], off offset:288
	s_wait_loadcnt 0x0
	ds_store_b128 v154, v[5:8]
.LBB53_303:
	s_wait_alu 0xfffe
	s_or_b32 exec_lo, exec_lo, s0
	s_wait_storecnt_dscnt 0x0
	s_barrier_signal -1
	s_barrier_wait -1
	global_inv scope:SCOPE_SE
	s_clause 0x8
	scratch_load_b128 v[2:5], off, off offset:304
	scratch_load_b128 v[6:9], off, off offset:320
	;; [unrolled: 1-line block ×9, first 2 shown]
	ds_load_b128 v[38:41], v1 offset:1152
	ds_load_b128 v[42:45], v1 offset:1168
	s_clause 0x1
	scratch_load_b128 v[155:158], off, off offset:288
	scratch_load_b128 v[159:162], off, off offset:448
	s_mov_b32 s0, exec_lo
	s_wait_loadcnt_dscnt 0xa01
	v_mul_f64_e32 v[163:164], v[40:41], v[4:5]
	v_mul_f64_e32 v[4:5], v[38:39], v[4:5]
	s_wait_loadcnt_dscnt 0x900
	v_mul_f64_e32 v[167:168], v[42:43], v[8:9]
	v_mul_f64_e32 v[8:9], v[44:45], v[8:9]
	s_delay_alu instid0(VALU_DEP_4) | instskip(NEXT) | instid1(VALU_DEP_4)
	v_fma_f64 v[169:170], v[38:39], v[2:3], -v[163:164]
	v_fma_f64 v[171:172], v[40:41], v[2:3], v[4:5]
	ds_load_b128 v[2:5], v1 offset:1184
	ds_load_b128 v[163:166], v1 offset:1200
	scratch_load_b128 v[38:41], off, off offset:464
	v_fma_f64 v[44:45], v[44:45], v[6:7], v[167:168]
	v_fma_f64 v[42:43], v[42:43], v[6:7], -v[8:9]
	scratch_load_b128 v[6:9], off, off offset:480
	s_wait_loadcnt_dscnt 0xa01
	v_mul_f64_e32 v[173:174], v[2:3], v[12:13]
	v_mul_f64_e32 v[12:13], v[4:5], v[12:13]
	v_add_f64_e32 v[167:168], 0, v[169:170]
	v_add_f64_e32 v[169:170], 0, v[171:172]
	s_wait_loadcnt_dscnt 0x900
	v_mul_f64_e32 v[171:172], v[163:164], v[16:17]
	v_mul_f64_e32 v[16:17], v[165:166], v[16:17]
	v_fma_f64 v[173:174], v[4:5], v[10:11], v[173:174]
	v_fma_f64 v[175:176], v[2:3], v[10:11], -v[12:13]
	ds_load_b128 v[2:5], v1 offset:1216
	scratch_load_b128 v[10:13], off, off offset:496
	v_add_f64_e32 v[167:168], v[167:168], v[42:43]
	v_add_f64_e32 v[169:170], v[169:170], v[44:45]
	ds_load_b128 v[42:45], v1 offset:1232
	v_fma_f64 v[165:166], v[165:166], v[14:15], v[171:172]
	v_fma_f64 v[163:164], v[163:164], v[14:15], -v[16:17]
	scratch_load_b128 v[14:17], off, off offset:512
	s_wait_loadcnt_dscnt 0xa01
	v_mul_f64_e32 v[177:178], v[2:3], v[20:21]
	v_mul_f64_e32 v[20:21], v[4:5], v[20:21]
	s_wait_loadcnt_dscnt 0x900
	v_mul_f64_e32 v[171:172], v[42:43], v[24:25]
	v_mul_f64_e32 v[24:25], v[44:45], v[24:25]
	v_add_f64_e32 v[167:168], v[167:168], v[175:176]
	v_add_f64_e32 v[169:170], v[169:170], v[173:174]
	v_fma_f64 v[173:174], v[4:5], v[18:19], v[177:178]
	v_fma_f64 v[175:176], v[2:3], v[18:19], -v[20:21]
	ds_load_b128 v[2:5], v1 offset:1248
	scratch_load_b128 v[18:21], off, off offset:528
	v_fma_f64 v[44:45], v[44:45], v[22:23], v[171:172]
	v_fma_f64 v[42:43], v[42:43], v[22:23], -v[24:25]
	scratch_load_b128 v[22:25], off, off offset:544
	v_add_f64_e32 v[167:168], v[167:168], v[163:164]
	v_add_f64_e32 v[169:170], v[169:170], v[165:166]
	ds_load_b128 v[163:166], v1 offset:1264
	s_wait_loadcnt_dscnt 0xa01
	v_mul_f64_e32 v[177:178], v[2:3], v[28:29]
	v_mul_f64_e32 v[28:29], v[4:5], v[28:29]
	s_wait_loadcnt_dscnt 0x900
	v_mul_f64_e32 v[171:172], v[163:164], v[32:33]
	v_mul_f64_e32 v[32:33], v[165:166], v[32:33]
	v_add_f64_e32 v[167:168], v[167:168], v[175:176]
	v_add_f64_e32 v[169:170], v[169:170], v[173:174]
	v_fma_f64 v[173:174], v[4:5], v[26:27], v[177:178]
	v_fma_f64 v[175:176], v[2:3], v[26:27], -v[28:29]
	ds_load_b128 v[2:5], v1 offset:1280
	scratch_load_b128 v[26:29], off, off offset:560
	v_fma_f64 v[165:166], v[165:166], v[30:31], v[171:172]
	v_fma_f64 v[163:164], v[163:164], v[30:31], -v[32:33]
	scratch_load_b128 v[30:33], off, off offset:576
	v_add_f64_e32 v[167:168], v[167:168], v[42:43]
	v_add_f64_e32 v[169:170], v[169:170], v[44:45]
	ds_load_b128 v[42:45], v1 offset:1296
	s_wait_loadcnt_dscnt 0xa01
	v_mul_f64_e32 v[177:178], v[2:3], v[36:37]
	v_mul_f64_e32 v[36:37], v[4:5], v[36:37]
	s_wait_loadcnt_dscnt 0x800
	v_mul_f64_e32 v[171:172], v[42:43], v[161:162]
	v_add_f64_e32 v[167:168], v[167:168], v[175:176]
	v_add_f64_e32 v[169:170], v[169:170], v[173:174]
	v_mul_f64_e32 v[173:174], v[44:45], v[161:162]
	v_fma_f64 v[175:176], v[4:5], v[34:35], v[177:178]
	v_fma_f64 v[177:178], v[2:3], v[34:35], -v[36:37]
	ds_load_b128 v[2:5], v1 offset:1312
	scratch_load_b128 v[34:37], off, off offset:592
	v_fma_f64 v[44:45], v[44:45], v[159:160], v[171:172]
	v_add_f64_e32 v[167:168], v[167:168], v[163:164]
	v_add_f64_e32 v[165:166], v[169:170], v[165:166]
	ds_load_b128 v[161:164], v1 offset:1328
	v_fma_f64 v[159:160], v[42:43], v[159:160], -v[173:174]
	s_wait_loadcnt_dscnt 0x801
	v_mul_f64_e32 v[169:170], v[2:3], v[40:41]
	v_mul_f64_e32 v[179:180], v[4:5], v[40:41]
	scratch_load_b128 v[40:43], off, off offset:608
	s_wait_loadcnt_dscnt 0x800
	v_mul_f64_e32 v[173:174], v[161:162], v[8:9]
	v_mul_f64_e32 v[8:9], v[163:164], v[8:9]
	v_add_f64_e32 v[167:168], v[167:168], v[177:178]
	v_add_f64_e32 v[165:166], v[165:166], v[175:176]
	v_fma_f64 v[175:176], v[4:5], v[38:39], v[169:170]
	v_fma_f64 v[38:39], v[2:3], v[38:39], -v[179:180]
	ds_load_b128 v[2:5], v1 offset:1344
	ds_load_b128 v[169:172], v1 offset:1360
	v_fma_f64 v[163:164], v[163:164], v[6:7], v[173:174]
	v_fma_f64 v[161:162], v[161:162], v[6:7], -v[8:9]
	scratch_load_b128 v[6:9], off, off offset:640
	v_add_f64_e32 v[159:160], v[167:168], v[159:160]
	v_add_f64_e32 v[44:45], v[165:166], v[44:45]
	scratch_load_b128 v[165:168], off, off offset:624
	s_wait_loadcnt_dscnt 0x901
	v_mul_f64_e32 v[177:178], v[2:3], v[12:13]
	v_mul_f64_e32 v[12:13], v[4:5], v[12:13]
	s_wait_loadcnt_dscnt 0x800
	v_mul_f64_e32 v[173:174], v[169:170], v[16:17]
	v_mul_f64_e32 v[16:17], v[171:172], v[16:17]
	v_add_f64_e32 v[38:39], v[159:160], v[38:39]
	v_add_f64_e32 v[44:45], v[44:45], v[175:176]
	v_fma_f64 v[175:176], v[4:5], v[10:11], v[177:178]
	v_fma_f64 v[177:178], v[2:3], v[10:11], -v[12:13]
	ds_load_b128 v[2:5], v1 offset:1376
	scratch_load_b128 v[10:13], off, off offset:656
	v_fma_f64 v[171:172], v[171:172], v[14:15], v[173:174]
	v_fma_f64 v[169:170], v[169:170], v[14:15], -v[16:17]
	scratch_load_b128 v[14:17], off, off offset:672
	v_add_f64_e32 v[38:39], v[38:39], v[161:162]
	v_add_f64_e32 v[44:45], v[44:45], v[163:164]
	ds_load_b128 v[159:162], v1 offset:1392
	s_wait_loadcnt_dscnt 0x901
	v_mul_f64_e32 v[163:164], v[2:3], v[20:21]
	v_mul_f64_e32 v[20:21], v[4:5], v[20:21]
	s_wait_loadcnt_dscnt 0x800
	v_mul_f64_e32 v[173:174], v[159:160], v[24:25]
	v_mul_f64_e32 v[24:25], v[161:162], v[24:25]
	v_add_f64_e32 v[38:39], v[38:39], v[177:178]
	v_add_f64_e32 v[44:45], v[44:45], v[175:176]
	v_fma_f64 v[163:164], v[4:5], v[18:19], v[163:164]
	v_fma_f64 v[175:176], v[2:3], v[18:19], -v[20:21]
	ds_load_b128 v[2:5], v1 offset:1408
	scratch_load_b128 v[18:21], off, off offset:688
	v_fma_f64 v[161:162], v[161:162], v[22:23], v[173:174]
	v_fma_f64 v[159:160], v[159:160], v[22:23], -v[24:25]
	scratch_load_b128 v[22:25], off, off offset:704
	v_add_f64_e32 v[38:39], v[38:39], v[169:170]
	v_add_f64_e32 v[44:45], v[44:45], v[171:172]
	ds_load_b128 v[169:172], v1 offset:1424
	s_wait_loadcnt_dscnt 0x901
	v_mul_f64_e32 v[177:178], v[2:3], v[28:29]
	v_mul_f64_e32 v[28:29], v[4:5], v[28:29]
	v_add_f64_e32 v[38:39], v[38:39], v[175:176]
	v_add_f64_e32 v[44:45], v[44:45], v[163:164]
	s_wait_loadcnt_dscnt 0x800
	v_mul_f64_e32 v[163:164], v[169:170], v[32:33]
	v_mul_f64_e32 v[32:33], v[171:172], v[32:33]
	v_fma_f64 v[173:174], v[4:5], v[26:27], v[177:178]
	v_fma_f64 v[175:176], v[2:3], v[26:27], -v[28:29]
	ds_load_b128 v[2:5], v1 offset:1440
	scratch_load_b128 v[26:29], off, off offset:720
	v_add_f64_e32 v[38:39], v[38:39], v[159:160]
	v_add_f64_e32 v[44:45], v[44:45], v[161:162]
	ds_load_b128 v[159:162], v1 offset:1456
	s_wait_loadcnt_dscnt 0x801
	v_mul_f64_e32 v[177:178], v[2:3], v[36:37]
	v_mul_f64_e32 v[36:37], v[4:5], v[36:37]
	v_fma_f64 v[163:164], v[171:172], v[30:31], v[163:164]
	v_fma_f64 v[169:170], v[169:170], v[30:31], -v[32:33]
	scratch_load_b128 v[30:33], off, off offset:736
	s_wait_loadcnt_dscnt 0x800
	v_mul_f64_e32 v[171:172], v[159:160], v[42:43]
	v_add_f64_e32 v[38:39], v[38:39], v[175:176]
	v_add_f64_e32 v[44:45], v[44:45], v[173:174]
	v_mul_f64_e32 v[173:174], v[161:162], v[42:43]
	v_fma_f64 v[175:176], v[4:5], v[34:35], v[177:178]
	v_fma_f64 v[177:178], v[2:3], v[34:35], -v[36:37]
	ds_load_b128 v[2:5], v1 offset:1472
	scratch_load_b128 v[34:37], off, off offset:752
	v_fma_f64 v[161:162], v[161:162], v[40:41], v[171:172]
	v_add_f64_e32 v[38:39], v[38:39], v[169:170]
	v_add_f64_e32 v[163:164], v[44:45], v[163:164]
	ds_load_b128 v[42:45], v1 offset:1488
	v_fma_f64 v[159:160], v[159:160], v[40:41], -v[173:174]
	s_wait_loadcnt_dscnt 0x701
	v_mul_f64_e32 v[169:170], v[2:3], v[167:168]
	v_mul_f64_e32 v[167:168], v[4:5], v[167:168]
	s_wait_dscnt 0x0
	v_mul_f64_e32 v[173:174], v[42:43], v[8:9]
	v_mul_f64_e32 v[8:9], v[44:45], v[8:9]
	v_add_f64_e32 v[171:172], v[38:39], v[177:178]
	v_add_f64_e32 v[163:164], v[163:164], v[175:176]
	scratch_load_b128 v[38:41], off, off offset:768
	v_fma_f64 v[169:170], v[4:5], v[165:166], v[169:170]
	v_fma_f64 v[167:168], v[2:3], v[165:166], -v[167:168]
	ds_load_b128 v[2:5], v1 offset:1504
	v_fma_f64 v[44:45], v[44:45], v[6:7], v[173:174]
	v_fma_f64 v[42:43], v[42:43], v[6:7], -v[8:9]
	scratch_load_b128 v[6:9], off, off offset:800
	v_add_f64_e32 v[171:172], v[171:172], v[159:160]
	v_add_f64_e32 v[175:176], v[163:164], v[161:162]
	scratch_load_b128 v[159:162], off, off offset:784
	ds_load_b128 v[163:166], v1 offset:1520
	s_wait_loadcnt_dscnt 0x901
	v_mul_f64_e32 v[177:178], v[2:3], v[12:13]
	v_mul_f64_e32 v[12:13], v[4:5], v[12:13]
	v_add_f64_e32 v[167:168], v[171:172], v[167:168]
	v_add_f64_e32 v[169:170], v[175:176], v[169:170]
	s_wait_loadcnt_dscnt 0x800
	v_mul_f64_e32 v[171:172], v[163:164], v[16:17]
	v_mul_f64_e32 v[16:17], v[165:166], v[16:17]
	v_fma_f64 v[173:174], v[4:5], v[10:11], v[177:178]
	v_fma_f64 v[175:176], v[2:3], v[10:11], -v[12:13]
	ds_load_b128 v[2:5], v1 offset:1536
	scratch_load_b128 v[10:13], off, off offset:816
	v_add_f64_e32 v[167:168], v[167:168], v[42:43]
	v_add_f64_e32 v[169:170], v[169:170], v[44:45]
	ds_load_b128 v[42:45], v1 offset:1552
	s_wait_loadcnt_dscnt 0x801
	v_mul_f64_e32 v[177:178], v[2:3], v[20:21]
	v_mul_f64_e32 v[20:21], v[4:5], v[20:21]
	v_fma_f64 v[165:166], v[165:166], v[14:15], v[171:172]
	v_fma_f64 v[163:164], v[163:164], v[14:15], -v[16:17]
	scratch_load_b128 v[14:17], off, off offset:832
	s_wait_loadcnt_dscnt 0x800
	v_mul_f64_e32 v[171:172], v[42:43], v[24:25]
	v_mul_f64_e32 v[24:25], v[44:45], v[24:25]
	v_add_f64_e32 v[167:168], v[167:168], v[175:176]
	v_add_f64_e32 v[169:170], v[169:170], v[173:174]
	v_fma_f64 v[173:174], v[4:5], v[18:19], v[177:178]
	v_fma_f64 v[175:176], v[2:3], v[18:19], -v[20:21]
	ds_load_b128 v[2:5], v1 offset:1568
	scratch_load_b128 v[18:21], off, off offset:848
	v_fma_f64 v[44:45], v[44:45], v[22:23], v[171:172]
	v_fma_f64 v[42:43], v[42:43], v[22:23], -v[24:25]
	scratch_load_b128 v[22:25], off, off offset:864
	v_add_f64_e32 v[167:168], v[167:168], v[163:164]
	v_add_f64_e32 v[169:170], v[169:170], v[165:166]
	ds_load_b128 v[163:166], v1 offset:1584
	s_wait_loadcnt_dscnt 0x901
	v_mul_f64_e32 v[177:178], v[2:3], v[28:29]
	v_mul_f64_e32 v[28:29], v[4:5], v[28:29]
	s_wait_loadcnt_dscnt 0x800
	v_mul_f64_e32 v[171:172], v[163:164], v[32:33]
	v_mul_f64_e32 v[32:33], v[165:166], v[32:33]
	v_add_f64_e32 v[167:168], v[167:168], v[175:176]
	v_add_f64_e32 v[169:170], v[169:170], v[173:174]
	v_fma_f64 v[173:174], v[4:5], v[26:27], v[177:178]
	v_fma_f64 v[175:176], v[2:3], v[26:27], -v[28:29]
	ds_load_b128 v[2:5], v1 offset:1600
	ds_load_b128 v[26:29], v1 offset:1616
	v_fma_f64 v[165:166], v[165:166], v[30:31], v[171:172]
	v_fma_f64 v[30:31], v[163:164], v[30:31], -v[32:33]
	v_add_f64_e32 v[42:43], v[167:168], v[42:43]
	v_add_f64_e32 v[44:45], v[169:170], v[44:45]
	s_wait_loadcnt_dscnt 0x701
	v_mul_f64_e32 v[167:168], v[2:3], v[36:37]
	v_mul_f64_e32 v[36:37], v[4:5], v[36:37]
	s_delay_alu instid0(VALU_DEP_4) | instskip(NEXT) | instid1(VALU_DEP_4)
	v_add_f64_e32 v[32:33], v[42:43], v[175:176]
	v_add_f64_e32 v[42:43], v[44:45], v[173:174]
	s_delay_alu instid0(VALU_DEP_4) | instskip(NEXT) | instid1(VALU_DEP_4)
	v_fma_f64 v[163:164], v[4:5], v[34:35], v[167:168]
	v_fma_f64 v[34:35], v[2:3], v[34:35], -v[36:37]
	s_wait_loadcnt_dscnt 0x600
	v_mul_f64_e32 v[44:45], v[26:27], v[40:41]
	v_mul_f64_e32 v[40:41], v[28:29], v[40:41]
	v_add_f64_e32 v[36:37], v[32:33], v[30:31]
	v_add_f64_e32 v[42:43], v[42:43], v[165:166]
	ds_load_b128 v[2:5], v1 offset:1632
	ds_load_b128 v[30:33], v1 offset:1648
	v_fma_f64 v[28:29], v[28:29], v[38:39], v[44:45]
	v_fma_f64 v[26:27], v[26:27], v[38:39], -v[40:41]
	s_wait_loadcnt_dscnt 0x401
	v_mul_f64_e32 v[165:166], v[2:3], v[161:162]
	v_mul_f64_e32 v[161:162], v[4:5], v[161:162]
	s_wait_dscnt 0x0
	v_mul_f64_e32 v[38:39], v[30:31], v[8:9]
	v_mul_f64_e32 v[8:9], v[32:33], v[8:9]
	v_add_f64_e32 v[34:35], v[36:37], v[34:35]
	v_add_f64_e32 v[36:37], v[42:43], v[163:164]
	v_fma_f64 v[40:41], v[4:5], v[159:160], v[165:166]
	v_fma_f64 v[42:43], v[2:3], v[159:160], -v[161:162]
	v_fma_f64 v[32:33], v[32:33], v[6:7], v[38:39]
	v_fma_f64 v[6:7], v[30:31], v[6:7], -v[8:9]
	v_add_f64_e32 v[34:35], v[34:35], v[26:27]
	v_add_f64_e32 v[36:37], v[36:37], v[28:29]
	ds_load_b128 v[2:5], v1 offset:1664
	ds_load_b128 v[26:29], v1 offset:1680
	s_wait_loadcnt_dscnt 0x301
	v_mul_f64_e32 v[44:45], v[2:3], v[12:13]
	v_mul_f64_e32 v[12:13], v[4:5], v[12:13]
	v_add_f64_e32 v[8:9], v[34:35], v[42:43]
	v_add_f64_e32 v[30:31], v[36:37], v[40:41]
	s_wait_loadcnt_dscnt 0x200
	v_mul_f64_e32 v[34:35], v[26:27], v[16:17]
	v_mul_f64_e32 v[16:17], v[28:29], v[16:17]
	v_fma_f64 v[36:37], v[4:5], v[10:11], v[44:45]
	v_fma_f64 v[10:11], v[2:3], v[10:11], -v[12:13]
	v_add_f64_e32 v[12:13], v[8:9], v[6:7]
	v_add_f64_e32 v[30:31], v[30:31], v[32:33]
	ds_load_b128 v[2:5], v1 offset:1696
	ds_load_b128 v[6:9], v1 offset:1712
	v_fma_f64 v[28:29], v[28:29], v[14:15], v[34:35]
	v_fma_f64 v[14:15], v[26:27], v[14:15], -v[16:17]
	s_wait_loadcnt_dscnt 0x101
	v_mul_f64_e32 v[32:33], v[2:3], v[20:21]
	v_mul_f64_e32 v[20:21], v[4:5], v[20:21]
	s_wait_loadcnt_dscnt 0x0
	v_mul_f64_e32 v[16:17], v[6:7], v[24:25]
	v_mul_f64_e32 v[24:25], v[8:9], v[24:25]
	v_add_f64_e32 v[10:11], v[12:13], v[10:11]
	v_add_f64_e32 v[12:13], v[30:31], v[36:37]
	v_fma_f64 v[4:5], v[4:5], v[18:19], v[32:33]
	v_fma_f64 v[1:2], v[2:3], v[18:19], -v[20:21]
	v_fma_f64 v[8:9], v[8:9], v[22:23], v[16:17]
	v_fma_f64 v[6:7], v[6:7], v[22:23], -v[24:25]
	v_add_f64_e32 v[10:11], v[10:11], v[14:15]
	v_add_f64_e32 v[12:13], v[12:13], v[28:29]
	s_delay_alu instid0(VALU_DEP_2) | instskip(NEXT) | instid1(VALU_DEP_2)
	v_add_f64_e32 v[1:2], v[10:11], v[1:2]
	v_add_f64_e32 v[3:4], v[12:13], v[4:5]
	s_delay_alu instid0(VALU_DEP_2) | instskip(NEXT) | instid1(VALU_DEP_2)
	;; [unrolled: 3-line block ×3, first 2 shown]
	v_add_f64_e64 v[1:2], v[155:156], -v[1:2]
	v_add_f64_e64 v[3:4], v[157:158], -v[3:4]
	scratch_store_b128 off, v[1:4], off offset:288
	v_cmpx_lt_u32_e32 16, v0
	s_cbranch_execz .LBB53_305
; %bb.304:
	scratch_load_b128 v[1:4], off, s51
	v_mov_b32_e32 v5, 0
	s_delay_alu instid0(VALU_DEP_1)
	v_dual_mov_b32 v6, v5 :: v_dual_mov_b32 v7, v5
	v_mov_b32_e32 v8, v5
	scratch_store_b128 off, v[5:8], off offset:272
	s_wait_loadcnt 0x0
	ds_store_b128 v154, v[1:4]
.LBB53_305:
	s_wait_alu 0xfffe
	s_or_b32 exec_lo, exec_lo, s0
	s_wait_storecnt_dscnt 0x0
	s_barrier_signal -1
	s_barrier_wait -1
	global_inv scope:SCOPE_SE
	s_clause 0x7
	scratch_load_b128 v[2:5], off, off offset:288
	scratch_load_b128 v[6:9], off, off offset:304
	;; [unrolled: 1-line block ×8, first 2 shown]
	v_mov_b32_e32 v1, 0
	s_mov_b32 s0, exec_lo
	ds_load_b128 v[38:41], v1 offset:1136
	s_clause 0x1
	scratch_load_b128 v[34:37], off, off offset:416
	scratch_load_b128 v[42:45], off, off offset:272
	ds_load_b128 v[155:158], v1 offset:1152
	scratch_load_b128 v[159:162], off, off offset:432
	s_wait_loadcnt_dscnt 0xa01
	v_mul_f64_e32 v[163:164], v[40:41], v[4:5]
	v_mul_f64_e32 v[4:5], v[38:39], v[4:5]
	s_delay_alu instid0(VALU_DEP_2) | instskip(NEXT) | instid1(VALU_DEP_2)
	v_fma_f64 v[169:170], v[38:39], v[2:3], -v[163:164]
	v_fma_f64 v[171:172], v[40:41], v[2:3], v[4:5]
	ds_load_b128 v[2:5], v1 offset:1168
	s_wait_loadcnt_dscnt 0x901
	v_mul_f64_e32 v[167:168], v[155:156], v[8:9]
	v_mul_f64_e32 v[8:9], v[157:158], v[8:9]
	scratch_load_b128 v[38:41], off, off offset:448
	ds_load_b128 v[163:166], v1 offset:1184
	s_wait_loadcnt_dscnt 0x901
	v_mul_f64_e32 v[173:174], v[2:3], v[12:13]
	v_mul_f64_e32 v[12:13], v[4:5], v[12:13]
	v_fma_f64 v[157:158], v[157:158], v[6:7], v[167:168]
	v_fma_f64 v[155:156], v[155:156], v[6:7], -v[8:9]
	v_add_f64_e32 v[167:168], 0, v[169:170]
	v_add_f64_e32 v[169:170], 0, v[171:172]
	scratch_load_b128 v[6:9], off, off offset:464
	v_fma_f64 v[173:174], v[4:5], v[10:11], v[173:174]
	v_fma_f64 v[175:176], v[2:3], v[10:11], -v[12:13]
	ds_load_b128 v[2:5], v1 offset:1200
	s_wait_loadcnt_dscnt 0x901
	v_mul_f64_e32 v[171:172], v[163:164], v[16:17]
	v_mul_f64_e32 v[16:17], v[165:166], v[16:17]
	scratch_load_b128 v[10:13], off, off offset:480
	v_add_f64_e32 v[167:168], v[167:168], v[155:156]
	v_add_f64_e32 v[169:170], v[169:170], v[157:158]
	s_wait_loadcnt_dscnt 0x900
	v_mul_f64_e32 v[177:178], v[2:3], v[20:21]
	v_mul_f64_e32 v[20:21], v[4:5], v[20:21]
	ds_load_b128 v[155:158], v1 offset:1216
	v_fma_f64 v[165:166], v[165:166], v[14:15], v[171:172]
	v_fma_f64 v[163:164], v[163:164], v[14:15], -v[16:17]
	scratch_load_b128 v[14:17], off, off offset:496
	v_add_f64_e32 v[167:168], v[167:168], v[175:176]
	v_add_f64_e32 v[169:170], v[169:170], v[173:174]
	v_fma_f64 v[173:174], v[4:5], v[18:19], v[177:178]
	v_fma_f64 v[175:176], v[2:3], v[18:19], -v[20:21]
	ds_load_b128 v[2:5], v1 offset:1232
	s_wait_loadcnt_dscnt 0x901
	v_mul_f64_e32 v[171:172], v[155:156], v[24:25]
	v_mul_f64_e32 v[24:25], v[157:158], v[24:25]
	scratch_load_b128 v[18:21], off, off offset:512
	s_wait_loadcnt_dscnt 0x900
	v_mul_f64_e32 v[177:178], v[2:3], v[28:29]
	v_mul_f64_e32 v[28:29], v[4:5], v[28:29]
	v_add_f64_e32 v[167:168], v[167:168], v[163:164]
	v_add_f64_e32 v[169:170], v[169:170], v[165:166]
	ds_load_b128 v[163:166], v1 offset:1248
	v_fma_f64 v[157:158], v[157:158], v[22:23], v[171:172]
	v_fma_f64 v[155:156], v[155:156], v[22:23], -v[24:25]
	scratch_load_b128 v[22:25], off, off offset:528
	v_add_f64_e32 v[167:168], v[167:168], v[175:176]
	v_add_f64_e32 v[169:170], v[169:170], v[173:174]
	v_fma_f64 v[173:174], v[4:5], v[26:27], v[177:178]
	v_fma_f64 v[175:176], v[2:3], v[26:27], -v[28:29]
	ds_load_b128 v[2:5], v1 offset:1264
	s_wait_loadcnt_dscnt 0x901
	v_mul_f64_e32 v[171:172], v[163:164], v[32:33]
	v_mul_f64_e32 v[32:33], v[165:166], v[32:33]
	scratch_load_b128 v[26:29], off, off offset:544
	s_wait_loadcnt_dscnt 0x900
	v_mul_f64_e32 v[177:178], v[2:3], v[36:37]
	v_mul_f64_e32 v[36:37], v[4:5], v[36:37]
	v_add_f64_e32 v[167:168], v[167:168], v[155:156]
	v_add_f64_e32 v[169:170], v[169:170], v[157:158]
	ds_load_b128 v[155:158], v1 offset:1280
	v_fma_f64 v[165:166], v[165:166], v[30:31], v[171:172]
	v_fma_f64 v[163:164], v[163:164], v[30:31], -v[32:33]
	scratch_load_b128 v[30:33], off, off offset:560
	v_add_f64_e32 v[167:168], v[167:168], v[175:176]
	v_add_f64_e32 v[169:170], v[169:170], v[173:174]
	v_fma_f64 v[175:176], v[4:5], v[34:35], v[177:178]
	v_fma_f64 v[177:178], v[2:3], v[34:35], -v[36:37]
	ds_load_b128 v[2:5], v1 offset:1296
	s_wait_loadcnt_dscnt 0x801
	v_mul_f64_e32 v[171:172], v[155:156], v[161:162]
	v_mul_f64_e32 v[173:174], v[157:158], v[161:162]
	scratch_load_b128 v[34:37], off, off offset:576
	v_add_f64_e32 v[167:168], v[167:168], v[163:164]
	v_add_f64_e32 v[165:166], v[169:170], v[165:166]
	ds_load_b128 v[161:164], v1 offset:1312
	v_fma_f64 v[171:172], v[157:158], v[159:160], v[171:172]
	v_fma_f64 v[159:160], v[155:156], v[159:160], -v[173:174]
	scratch_load_b128 v[155:158], off, off offset:592
	s_wait_loadcnt_dscnt 0x901
	v_mul_f64_e32 v[169:170], v[2:3], v[40:41]
	v_mul_f64_e32 v[40:41], v[4:5], v[40:41]
	v_add_f64_e32 v[167:168], v[167:168], v[177:178]
	v_add_f64_e32 v[165:166], v[165:166], v[175:176]
	s_delay_alu instid0(VALU_DEP_4) | instskip(NEXT) | instid1(VALU_DEP_4)
	v_fma_f64 v[169:170], v[4:5], v[38:39], v[169:170]
	v_fma_f64 v[175:176], v[2:3], v[38:39], -v[40:41]
	ds_load_b128 v[2:5], v1 offset:1328
	s_wait_loadcnt_dscnt 0x801
	v_mul_f64_e32 v[173:174], v[161:162], v[8:9]
	v_mul_f64_e32 v[8:9], v[163:164], v[8:9]
	scratch_load_b128 v[38:41], off, off offset:608
	s_wait_loadcnt_dscnt 0x800
	v_mul_f64_e32 v[177:178], v[2:3], v[12:13]
	v_add_f64_e32 v[159:160], v[167:168], v[159:160]
	v_add_f64_e32 v[171:172], v[165:166], v[171:172]
	v_mul_f64_e32 v[12:13], v[4:5], v[12:13]
	ds_load_b128 v[165:168], v1 offset:1344
	v_fma_f64 v[163:164], v[163:164], v[6:7], v[173:174]
	v_fma_f64 v[161:162], v[161:162], v[6:7], -v[8:9]
	scratch_load_b128 v[6:9], off, off offset:624
	v_fma_f64 v[173:174], v[4:5], v[10:11], v[177:178]
	v_add_f64_e32 v[159:160], v[159:160], v[175:176]
	v_add_f64_e32 v[169:170], v[171:172], v[169:170]
	v_fma_f64 v[175:176], v[2:3], v[10:11], -v[12:13]
	ds_load_b128 v[2:5], v1 offset:1360
	s_wait_loadcnt_dscnt 0x801
	v_mul_f64_e32 v[171:172], v[165:166], v[16:17]
	v_mul_f64_e32 v[16:17], v[167:168], v[16:17]
	scratch_load_b128 v[10:13], off, off offset:640
	v_add_f64_e32 v[177:178], v[159:160], v[161:162]
	v_add_f64_e32 v[163:164], v[169:170], v[163:164]
	s_wait_loadcnt_dscnt 0x800
	v_mul_f64_e32 v[169:170], v[2:3], v[20:21]
	v_mul_f64_e32 v[20:21], v[4:5], v[20:21]
	v_fma_f64 v[167:168], v[167:168], v[14:15], v[171:172]
	v_fma_f64 v[165:166], v[165:166], v[14:15], -v[16:17]
	ds_load_b128 v[159:162], v1 offset:1376
	scratch_load_b128 v[14:17], off, off offset:656
	v_add_f64_e32 v[171:172], v[177:178], v[175:176]
	v_add_f64_e32 v[163:164], v[163:164], v[173:174]
	v_fma_f64 v[169:170], v[4:5], v[18:19], v[169:170]
	v_fma_f64 v[175:176], v[2:3], v[18:19], -v[20:21]
	ds_load_b128 v[2:5], v1 offset:1392
	s_wait_loadcnt_dscnt 0x801
	v_mul_f64_e32 v[173:174], v[159:160], v[24:25]
	v_mul_f64_e32 v[24:25], v[161:162], v[24:25]
	scratch_load_b128 v[18:21], off, off offset:672
	s_wait_loadcnt_dscnt 0x800
	v_mul_f64_e32 v[177:178], v[2:3], v[28:29]
	v_mul_f64_e32 v[28:29], v[4:5], v[28:29]
	v_add_f64_e32 v[171:172], v[171:172], v[165:166]
	v_add_f64_e32 v[167:168], v[163:164], v[167:168]
	ds_load_b128 v[163:166], v1 offset:1408
	v_fma_f64 v[161:162], v[161:162], v[22:23], v[173:174]
	v_fma_f64 v[159:160], v[159:160], v[22:23], -v[24:25]
	scratch_load_b128 v[22:25], off, off offset:688
	v_fma_f64 v[173:174], v[4:5], v[26:27], v[177:178]
	v_add_f64_e32 v[171:172], v[171:172], v[175:176]
	v_add_f64_e32 v[167:168], v[167:168], v[169:170]
	v_fma_f64 v[175:176], v[2:3], v[26:27], -v[28:29]
	ds_load_b128 v[2:5], v1 offset:1424
	s_wait_loadcnt_dscnt 0x801
	v_mul_f64_e32 v[169:170], v[163:164], v[32:33]
	v_mul_f64_e32 v[32:33], v[165:166], v[32:33]
	scratch_load_b128 v[26:29], off, off offset:704
	s_wait_loadcnt_dscnt 0x800
	v_mul_f64_e32 v[177:178], v[2:3], v[36:37]
	v_mul_f64_e32 v[36:37], v[4:5], v[36:37]
	v_add_f64_e32 v[171:172], v[171:172], v[159:160]
	v_add_f64_e32 v[167:168], v[167:168], v[161:162]
	ds_load_b128 v[159:162], v1 offset:1440
	v_fma_f64 v[165:166], v[165:166], v[30:31], v[169:170]
	v_fma_f64 v[163:164], v[163:164], v[30:31], -v[32:33]
	scratch_load_b128 v[30:33], off, off offset:720
	v_add_f64_e32 v[169:170], v[171:172], v[175:176]
	v_add_f64_e32 v[167:168], v[167:168], v[173:174]
	v_fma_f64 v[173:174], v[4:5], v[34:35], v[177:178]
	v_fma_f64 v[175:176], v[2:3], v[34:35], -v[36:37]
	ds_load_b128 v[2:5], v1 offset:1456
	s_wait_loadcnt_dscnt 0x801
	v_mul_f64_e32 v[171:172], v[159:160], v[157:158]
	v_mul_f64_e32 v[157:158], v[161:162], v[157:158]
	scratch_load_b128 v[34:37], off, off offset:736
	s_wait_loadcnt_dscnt 0x800
	v_mul_f64_e32 v[177:178], v[2:3], v[40:41]
	v_mul_f64_e32 v[40:41], v[4:5], v[40:41]
	v_add_f64_e32 v[169:170], v[169:170], v[163:164]
	v_add_f64_e32 v[167:168], v[167:168], v[165:166]
	ds_load_b128 v[163:166], v1 offset:1472
	v_fma_f64 v[161:162], v[161:162], v[155:156], v[171:172]
	v_fma_f64 v[159:160], v[159:160], v[155:156], -v[157:158]
	scratch_load_b128 v[155:158], off, off offset:752
	v_add_f64_e32 v[169:170], v[169:170], v[175:176]
	v_add_f64_e32 v[167:168], v[167:168], v[173:174]
	v_fma_f64 v[173:174], v[4:5], v[38:39], v[177:178]
	;; [unrolled: 18-line block ×5, first 2 shown]
	v_fma_f64 v[175:176], v[2:3], v[26:27], -v[28:29]
	ds_load_b128 v[2:5], v1 offset:1584
	s_wait_loadcnt_dscnt 0x801
	v_mul_f64_e32 v[171:172], v[159:160], v[32:33]
	v_mul_f64_e32 v[32:33], v[161:162], v[32:33]
	scratch_load_b128 v[26:29], off, off offset:864
	s_wait_loadcnt_dscnt 0x800
	v_mul_f64_e32 v[177:178], v[2:3], v[36:37]
	v_mul_f64_e32 v[36:37], v[4:5], v[36:37]
	v_add_f64_e32 v[169:170], v[169:170], v[163:164]
	v_add_f64_e32 v[167:168], v[167:168], v[165:166]
	ds_load_b128 v[163:166], v1 offset:1600
	v_fma_f64 v[161:162], v[161:162], v[30:31], v[171:172]
	v_fma_f64 v[30:31], v[159:160], v[30:31], -v[32:33]
	v_add_f64_e32 v[32:33], v[169:170], v[175:176]
	v_add_f64_e32 v[159:160], v[167:168], v[173:174]
	s_wait_loadcnt_dscnt 0x700
	v_mul_f64_e32 v[167:168], v[163:164], v[157:158]
	v_mul_f64_e32 v[157:158], v[165:166], v[157:158]
	v_fma_f64 v[169:170], v[4:5], v[34:35], v[177:178]
	v_fma_f64 v[34:35], v[2:3], v[34:35], -v[36:37]
	v_add_f64_e32 v[36:37], v[32:33], v[30:31]
	v_add_f64_e32 v[159:160], v[159:160], v[161:162]
	ds_load_b128 v[2:5], v1 offset:1616
	ds_load_b128 v[30:33], v1 offset:1632
	v_fma_f64 v[165:166], v[165:166], v[155:156], v[167:168]
	v_fma_f64 v[155:156], v[163:164], v[155:156], -v[157:158]
	s_wait_loadcnt_dscnt 0x601
	v_mul_f64_e32 v[161:162], v[2:3], v[40:41]
	v_mul_f64_e32 v[40:41], v[4:5], v[40:41]
	s_wait_loadcnt_dscnt 0x500
	v_mul_f64_e32 v[157:158], v[30:31], v[8:9]
	v_mul_f64_e32 v[8:9], v[32:33], v[8:9]
	v_add_f64_e32 v[34:35], v[36:37], v[34:35]
	v_add_f64_e32 v[36:37], v[159:160], v[169:170]
	v_fma_f64 v[159:160], v[4:5], v[38:39], v[161:162]
	v_fma_f64 v[38:39], v[2:3], v[38:39], -v[40:41]
	v_fma_f64 v[32:33], v[32:33], v[6:7], v[157:158]
	v_fma_f64 v[6:7], v[30:31], v[6:7], -v[8:9]
	v_add_f64_e32 v[40:41], v[34:35], v[155:156]
	v_add_f64_e32 v[155:156], v[36:37], v[165:166]
	ds_load_b128 v[2:5], v1 offset:1648
	ds_load_b128 v[34:37], v1 offset:1664
	s_wait_loadcnt_dscnt 0x401
	v_mul_f64_e32 v[161:162], v[2:3], v[12:13]
	v_mul_f64_e32 v[12:13], v[4:5], v[12:13]
	v_add_f64_e32 v[8:9], v[40:41], v[38:39]
	v_add_f64_e32 v[30:31], v[155:156], v[159:160]
	s_wait_loadcnt_dscnt 0x300
	v_mul_f64_e32 v[38:39], v[34:35], v[16:17]
	v_mul_f64_e32 v[16:17], v[36:37], v[16:17]
	v_fma_f64 v[40:41], v[4:5], v[10:11], v[161:162]
	v_fma_f64 v[10:11], v[2:3], v[10:11], -v[12:13]
	v_add_f64_e32 v[12:13], v[8:9], v[6:7]
	v_add_f64_e32 v[30:31], v[30:31], v[32:33]
	ds_load_b128 v[2:5], v1 offset:1680
	ds_load_b128 v[6:9], v1 offset:1696
	v_fma_f64 v[36:37], v[36:37], v[14:15], v[38:39]
	v_fma_f64 v[14:15], v[34:35], v[14:15], -v[16:17]
	s_wait_loadcnt_dscnt 0x201
	v_mul_f64_e32 v[32:33], v[2:3], v[20:21]
	v_mul_f64_e32 v[20:21], v[4:5], v[20:21]
	s_wait_loadcnt_dscnt 0x100
	v_mul_f64_e32 v[16:17], v[6:7], v[24:25]
	v_mul_f64_e32 v[24:25], v[8:9], v[24:25]
	v_add_f64_e32 v[10:11], v[12:13], v[10:11]
	v_add_f64_e32 v[12:13], v[30:31], v[40:41]
	v_fma_f64 v[30:31], v[4:5], v[18:19], v[32:33]
	v_fma_f64 v[18:19], v[2:3], v[18:19], -v[20:21]
	ds_load_b128 v[2:5], v1 offset:1712
	v_fma_f64 v[8:9], v[8:9], v[22:23], v[16:17]
	v_fma_f64 v[6:7], v[6:7], v[22:23], -v[24:25]
	v_add_f64_e32 v[10:11], v[10:11], v[14:15]
	v_add_f64_e32 v[12:13], v[12:13], v[36:37]
	s_wait_loadcnt_dscnt 0x0
	v_mul_f64_e32 v[14:15], v[2:3], v[28:29]
	v_mul_f64_e32 v[20:21], v[4:5], v[28:29]
	s_delay_alu instid0(VALU_DEP_4) | instskip(NEXT) | instid1(VALU_DEP_4)
	v_add_f64_e32 v[10:11], v[10:11], v[18:19]
	v_add_f64_e32 v[12:13], v[12:13], v[30:31]
	s_delay_alu instid0(VALU_DEP_4) | instskip(NEXT) | instid1(VALU_DEP_4)
	v_fma_f64 v[4:5], v[4:5], v[26:27], v[14:15]
	v_fma_f64 v[2:3], v[2:3], v[26:27], -v[20:21]
	s_delay_alu instid0(VALU_DEP_4) | instskip(NEXT) | instid1(VALU_DEP_4)
	v_add_f64_e32 v[6:7], v[10:11], v[6:7]
	v_add_f64_e32 v[8:9], v[12:13], v[8:9]
	s_delay_alu instid0(VALU_DEP_2) | instskip(NEXT) | instid1(VALU_DEP_2)
	v_add_f64_e32 v[2:3], v[6:7], v[2:3]
	v_add_f64_e32 v[4:5], v[8:9], v[4:5]
	s_delay_alu instid0(VALU_DEP_2) | instskip(NEXT) | instid1(VALU_DEP_2)
	v_add_f64_e64 v[2:3], v[42:43], -v[2:3]
	v_add_f64_e64 v[4:5], v[44:45], -v[4:5]
	scratch_store_b128 off, v[2:5], off offset:272
	v_cmpx_lt_u32_e32 15, v0
	s_cbranch_execz .LBB53_307
; %bb.306:
	scratch_load_b128 v[5:8], off, s52
	v_dual_mov_b32 v2, v1 :: v_dual_mov_b32 v3, v1
	v_mov_b32_e32 v4, v1
	scratch_store_b128 off, v[1:4], off offset:256
	s_wait_loadcnt 0x0
	ds_store_b128 v154, v[5:8]
.LBB53_307:
	s_wait_alu 0xfffe
	s_or_b32 exec_lo, exec_lo, s0
	s_wait_storecnt_dscnt 0x0
	s_barrier_signal -1
	s_barrier_wait -1
	global_inv scope:SCOPE_SE
	s_clause 0x8
	scratch_load_b128 v[2:5], off, off offset:272
	scratch_load_b128 v[6:9], off, off offset:288
	;; [unrolled: 1-line block ×9, first 2 shown]
	ds_load_b128 v[42:45], v1 offset:1120
	ds_load_b128 v[38:41], v1 offset:1136
	s_clause 0x1
	scratch_load_b128 v[155:158], off, off offset:256
	scratch_load_b128 v[159:162], off, off offset:416
	s_mov_b32 s0, exec_lo
	s_wait_loadcnt_dscnt 0xa01
	v_mul_f64_e32 v[163:164], v[44:45], v[4:5]
	v_mul_f64_e32 v[4:5], v[42:43], v[4:5]
	s_wait_loadcnt_dscnt 0x900
	v_mul_f64_e32 v[167:168], v[38:39], v[8:9]
	v_mul_f64_e32 v[8:9], v[40:41], v[8:9]
	s_delay_alu instid0(VALU_DEP_4) | instskip(NEXT) | instid1(VALU_DEP_4)
	v_fma_f64 v[169:170], v[42:43], v[2:3], -v[163:164]
	v_fma_f64 v[171:172], v[44:45], v[2:3], v[4:5]
	ds_load_b128 v[2:5], v1 offset:1152
	ds_load_b128 v[163:166], v1 offset:1168
	scratch_load_b128 v[42:45], off, off offset:432
	v_fma_f64 v[40:41], v[40:41], v[6:7], v[167:168]
	v_fma_f64 v[38:39], v[38:39], v[6:7], -v[8:9]
	scratch_load_b128 v[6:9], off, off offset:448
	s_wait_loadcnt_dscnt 0xa01
	v_mul_f64_e32 v[173:174], v[2:3], v[12:13]
	v_mul_f64_e32 v[12:13], v[4:5], v[12:13]
	v_add_f64_e32 v[167:168], 0, v[169:170]
	v_add_f64_e32 v[169:170], 0, v[171:172]
	s_wait_loadcnt_dscnt 0x900
	v_mul_f64_e32 v[171:172], v[163:164], v[16:17]
	v_mul_f64_e32 v[16:17], v[165:166], v[16:17]
	v_fma_f64 v[173:174], v[4:5], v[10:11], v[173:174]
	v_fma_f64 v[175:176], v[2:3], v[10:11], -v[12:13]
	ds_load_b128 v[2:5], v1 offset:1184
	scratch_load_b128 v[10:13], off, off offset:464
	v_add_f64_e32 v[167:168], v[167:168], v[38:39]
	v_add_f64_e32 v[169:170], v[169:170], v[40:41]
	ds_load_b128 v[38:41], v1 offset:1200
	v_fma_f64 v[165:166], v[165:166], v[14:15], v[171:172]
	v_fma_f64 v[163:164], v[163:164], v[14:15], -v[16:17]
	scratch_load_b128 v[14:17], off, off offset:480
	s_wait_loadcnt_dscnt 0xa01
	v_mul_f64_e32 v[177:178], v[2:3], v[20:21]
	v_mul_f64_e32 v[20:21], v[4:5], v[20:21]
	s_wait_loadcnt_dscnt 0x900
	v_mul_f64_e32 v[171:172], v[38:39], v[24:25]
	v_mul_f64_e32 v[24:25], v[40:41], v[24:25]
	v_add_f64_e32 v[167:168], v[167:168], v[175:176]
	v_add_f64_e32 v[169:170], v[169:170], v[173:174]
	v_fma_f64 v[173:174], v[4:5], v[18:19], v[177:178]
	v_fma_f64 v[175:176], v[2:3], v[18:19], -v[20:21]
	ds_load_b128 v[2:5], v1 offset:1216
	scratch_load_b128 v[18:21], off, off offset:496
	v_fma_f64 v[40:41], v[40:41], v[22:23], v[171:172]
	v_fma_f64 v[38:39], v[38:39], v[22:23], -v[24:25]
	scratch_load_b128 v[22:25], off, off offset:512
	v_add_f64_e32 v[167:168], v[167:168], v[163:164]
	v_add_f64_e32 v[169:170], v[169:170], v[165:166]
	ds_load_b128 v[163:166], v1 offset:1232
	s_wait_loadcnt_dscnt 0xa01
	v_mul_f64_e32 v[177:178], v[2:3], v[28:29]
	v_mul_f64_e32 v[28:29], v[4:5], v[28:29]
	s_wait_loadcnt_dscnt 0x900
	v_mul_f64_e32 v[171:172], v[163:164], v[32:33]
	v_mul_f64_e32 v[32:33], v[165:166], v[32:33]
	v_add_f64_e32 v[167:168], v[167:168], v[175:176]
	v_add_f64_e32 v[169:170], v[169:170], v[173:174]
	v_fma_f64 v[173:174], v[4:5], v[26:27], v[177:178]
	v_fma_f64 v[175:176], v[2:3], v[26:27], -v[28:29]
	ds_load_b128 v[2:5], v1 offset:1248
	scratch_load_b128 v[26:29], off, off offset:528
	v_fma_f64 v[165:166], v[165:166], v[30:31], v[171:172]
	v_fma_f64 v[163:164], v[163:164], v[30:31], -v[32:33]
	scratch_load_b128 v[30:33], off, off offset:544
	v_add_f64_e32 v[167:168], v[167:168], v[38:39]
	v_add_f64_e32 v[169:170], v[169:170], v[40:41]
	ds_load_b128 v[38:41], v1 offset:1264
	s_wait_loadcnt_dscnt 0xa01
	v_mul_f64_e32 v[177:178], v[2:3], v[36:37]
	v_mul_f64_e32 v[36:37], v[4:5], v[36:37]
	s_wait_loadcnt_dscnt 0x800
	v_mul_f64_e32 v[171:172], v[38:39], v[161:162]
	v_add_f64_e32 v[167:168], v[167:168], v[175:176]
	v_add_f64_e32 v[169:170], v[169:170], v[173:174]
	v_mul_f64_e32 v[173:174], v[40:41], v[161:162]
	v_fma_f64 v[175:176], v[4:5], v[34:35], v[177:178]
	v_fma_f64 v[177:178], v[2:3], v[34:35], -v[36:37]
	ds_load_b128 v[2:5], v1 offset:1280
	scratch_load_b128 v[34:37], off, off offset:560
	v_fma_f64 v[171:172], v[40:41], v[159:160], v[171:172]
	v_add_f64_e32 v[167:168], v[167:168], v[163:164]
	v_add_f64_e32 v[165:166], v[169:170], v[165:166]
	ds_load_b128 v[161:164], v1 offset:1296
	v_fma_f64 v[159:160], v[38:39], v[159:160], -v[173:174]
	scratch_load_b128 v[38:41], off, off offset:576
	s_wait_loadcnt_dscnt 0x901
	v_mul_f64_e32 v[169:170], v[2:3], v[44:45]
	v_mul_f64_e32 v[44:45], v[4:5], v[44:45]
	s_wait_loadcnt_dscnt 0x800
	v_mul_f64_e32 v[173:174], v[161:162], v[8:9]
	v_mul_f64_e32 v[8:9], v[163:164], v[8:9]
	v_add_f64_e32 v[167:168], v[167:168], v[177:178]
	v_add_f64_e32 v[165:166], v[165:166], v[175:176]
	v_fma_f64 v[169:170], v[4:5], v[42:43], v[169:170]
	v_fma_f64 v[175:176], v[2:3], v[42:43], -v[44:45]
	ds_load_b128 v[2:5], v1 offset:1312
	scratch_load_b128 v[42:45], off, off offset:592
	v_fma_f64 v[163:164], v[163:164], v[6:7], v[173:174]
	v_fma_f64 v[161:162], v[161:162], v[6:7], -v[8:9]
	scratch_load_b128 v[6:9], off, off offset:608
	v_add_f64_e32 v[159:160], v[167:168], v[159:160]
	v_add_f64_e32 v[171:172], v[165:166], v[171:172]
	ds_load_b128 v[165:168], v1 offset:1328
	s_wait_loadcnt_dscnt 0x901
	v_mul_f64_e32 v[177:178], v[2:3], v[12:13]
	v_mul_f64_e32 v[12:13], v[4:5], v[12:13]
	v_add_f64_e32 v[159:160], v[159:160], v[175:176]
	v_add_f64_e32 v[169:170], v[171:172], v[169:170]
	s_wait_loadcnt_dscnt 0x800
	v_mul_f64_e32 v[171:172], v[165:166], v[16:17]
	v_mul_f64_e32 v[16:17], v[167:168], v[16:17]
	v_fma_f64 v[173:174], v[4:5], v[10:11], v[177:178]
	v_fma_f64 v[175:176], v[2:3], v[10:11], -v[12:13]
	ds_load_b128 v[2:5], v1 offset:1344
	scratch_load_b128 v[10:13], off, off offset:624
	v_add_f64_e32 v[177:178], v[159:160], v[161:162]
	v_add_f64_e32 v[163:164], v[169:170], v[163:164]
	ds_load_b128 v[159:162], v1 offset:1360
	s_wait_loadcnt_dscnt 0x801
	v_mul_f64_e32 v[169:170], v[2:3], v[20:21]
	v_mul_f64_e32 v[20:21], v[4:5], v[20:21]
	v_fma_f64 v[167:168], v[167:168], v[14:15], v[171:172]
	v_fma_f64 v[165:166], v[165:166], v[14:15], -v[16:17]
	scratch_load_b128 v[14:17], off, off offset:640
	v_add_f64_e32 v[171:172], v[177:178], v[175:176]
	v_add_f64_e32 v[163:164], v[163:164], v[173:174]
	s_wait_loadcnt_dscnt 0x800
	v_mul_f64_e32 v[173:174], v[159:160], v[24:25]
	v_mul_f64_e32 v[24:25], v[161:162], v[24:25]
	v_fma_f64 v[169:170], v[4:5], v[18:19], v[169:170]
	v_fma_f64 v[175:176], v[2:3], v[18:19], -v[20:21]
	ds_load_b128 v[2:5], v1 offset:1376
	scratch_load_b128 v[18:21], off, off offset:656
	v_add_f64_e32 v[171:172], v[171:172], v[165:166]
	v_add_f64_e32 v[167:168], v[163:164], v[167:168]
	ds_load_b128 v[163:166], v1 offset:1392
	s_wait_loadcnt_dscnt 0x801
	v_mul_f64_e32 v[177:178], v[2:3], v[28:29]
	v_mul_f64_e32 v[28:29], v[4:5], v[28:29]
	v_fma_f64 v[161:162], v[161:162], v[22:23], v[173:174]
	v_fma_f64 v[159:160], v[159:160], v[22:23], -v[24:25]
	scratch_load_b128 v[22:25], off, off offset:672
	;; [unrolled: 18-line block ×4, first 2 shown]
	s_wait_loadcnt_dscnt 0x800
	v_mul_f64_e32 v[171:172], v[163:164], v[8:9]
	v_mul_f64_e32 v[8:9], v[165:166], v[8:9]
	v_add_f64_e32 v[169:170], v[169:170], v[175:176]
	v_add_f64_e32 v[167:168], v[167:168], v[173:174]
	v_fma_f64 v[173:174], v[4:5], v[42:43], v[177:178]
	v_fma_f64 v[175:176], v[2:3], v[42:43], -v[44:45]
	ds_load_b128 v[2:5], v1 offset:1472
	scratch_load_b128 v[42:45], off, off offset:752
	v_fma_f64 v[165:166], v[165:166], v[6:7], v[171:172]
	v_fma_f64 v[163:164], v[163:164], v[6:7], -v[8:9]
	scratch_load_b128 v[6:9], off, off offset:768
	v_add_f64_e32 v[169:170], v[169:170], v[159:160]
	v_add_f64_e32 v[167:168], v[167:168], v[161:162]
	ds_load_b128 v[159:162], v1 offset:1488
	s_wait_loadcnt_dscnt 0x901
	v_mul_f64_e32 v[177:178], v[2:3], v[12:13]
	v_mul_f64_e32 v[12:13], v[4:5], v[12:13]
	s_wait_loadcnt_dscnt 0x800
	v_mul_f64_e32 v[171:172], v[159:160], v[16:17]
	v_mul_f64_e32 v[16:17], v[161:162], v[16:17]
	v_add_f64_e32 v[169:170], v[169:170], v[175:176]
	v_add_f64_e32 v[167:168], v[167:168], v[173:174]
	v_fma_f64 v[173:174], v[4:5], v[10:11], v[177:178]
	v_fma_f64 v[175:176], v[2:3], v[10:11], -v[12:13]
	ds_load_b128 v[2:5], v1 offset:1504
	scratch_load_b128 v[10:13], off, off offset:784
	v_fma_f64 v[161:162], v[161:162], v[14:15], v[171:172]
	v_fma_f64 v[159:160], v[159:160], v[14:15], -v[16:17]
	scratch_load_b128 v[14:17], off, off offset:800
	v_add_f64_e32 v[169:170], v[169:170], v[163:164]
	v_add_f64_e32 v[167:168], v[167:168], v[165:166]
	ds_load_b128 v[163:166], v1 offset:1520
	s_wait_loadcnt_dscnt 0x901
	v_mul_f64_e32 v[177:178], v[2:3], v[20:21]
	v_mul_f64_e32 v[20:21], v[4:5], v[20:21]
	;; [unrolled: 18-line block ×4, first 2 shown]
	s_wait_loadcnt_dscnt 0x800
	v_mul_f64_e32 v[171:172], v[163:164], v[40:41]
	v_mul_f64_e32 v[40:41], v[165:166], v[40:41]
	v_add_f64_e32 v[169:170], v[169:170], v[175:176]
	v_add_f64_e32 v[167:168], v[167:168], v[173:174]
	v_fma_f64 v[173:174], v[4:5], v[34:35], v[177:178]
	v_fma_f64 v[175:176], v[2:3], v[34:35], -v[36:37]
	ds_load_b128 v[2:5], v1 offset:1600
	ds_load_b128 v[34:37], v1 offset:1616
	v_fma_f64 v[165:166], v[165:166], v[38:39], v[171:172]
	v_fma_f64 v[38:39], v[163:164], v[38:39], -v[40:41]
	v_add_f64_e32 v[159:160], v[169:170], v[159:160]
	v_add_f64_e32 v[161:162], v[167:168], v[161:162]
	s_wait_loadcnt_dscnt 0x701
	v_mul_f64_e32 v[167:168], v[2:3], v[44:45]
	v_mul_f64_e32 v[44:45], v[4:5], v[44:45]
	s_delay_alu instid0(VALU_DEP_4) | instskip(NEXT) | instid1(VALU_DEP_4)
	v_add_f64_e32 v[40:41], v[159:160], v[175:176]
	v_add_f64_e32 v[159:160], v[161:162], v[173:174]
	s_wait_loadcnt_dscnt 0x600
	v_mul_f64_e32 v[161:162], v[34:35], v[8:9]
	v_mul_f64_e32 v[8:9], v[36:37], v[8:9]
	v_fma_f64 v[163:164], v[4:5], v[42:43], v[167:168]
	v_fma_f64 v[42:43], v[2:3], v[42:43], -v[44:45]
	v_add_f64_e32 v[44:45], v[40:41], v[38:39]
	v_add_f64_e32 v[159:160], v[159:160], v[165:166]
	ds_load_b128 v[2:5], v1 offset:1632
	ds_load_b128 v[38:41], v1 offset:1648
	v_fma_f64 v[36:37], v[36:37], v[6:7], v[161:162]
	v_fma_f64 v[6:7], v[34:35], v[6:7], -v[8:9]
	s_wait_loadcnt_dscnt 0x501
	v_mul_f64_e32 v[165:166], v[2:3], v[12:13]
	v_mul_f64_e32 v[12:13], v[4:5], v[12:13]
	v_add_f64_e32 v[8:9], v[44:45], v[42:43]
	v_add_f64_e32 v[34:35], v[159:160], v[163:164]
	s_wait_loadcnt_dscnt 0x400
	v_mul_f64_e32 v[42:43], v[38:39], v[16:17]
	v_mul_f64_e32 v[16:17], v[40:41], v[16:17]
	v_fma_f64 v[44:45], v[4:5], v[10:11], v[165:166]
	v_fma_f64 v[10:11], v[2:3], v[10:11], -v[12:13]
	v_add_f64_e32 v[12:13], v[8:9], v[6:7]
	v_add_f64_e32 v[34:35], v[34:35], v[36:37]
	ds_load_b128 v[2:5], v1 offset:1664
	ds_load_b128 v[6:9], v1 offset:1680
	v_fma_f64 v[40:41], v[40:41], v[14:15], v[42:43]
	v_fma_f64 v[14:15], v[38:39], v[14:15], -v[16:17]
	s_wait_loadcnt_dscnt 0x301
	v_mul_f64_e32 v[36:37], v[2:3], v[20:21]
	v_mul_f64_e32 v[20:21], v[4:5], v[20:21]
	s_wait_loadcnt_dscnt 0x200
	v_mul_f64_e32 v[16:17], v[6:7], v[24:25]
	v_mul_f64_e32 v[24:25], v[8:9], v[24:25]
	v_add_f64_e32 v[10:11], v[12:13], v[10:11]
	v_add_f64_e32 v[12:13], v[34:35], v[44:45]
	v_fma_f64 v[34:35], v[4:5], v[18:19], v[36:37]
	v_fma_f64 v[18:19], v[2:3], v[18:19], -v[20:21]
	v_fma_f64 v[8:9], v[8:9], v[22:23], v[16:17]
	v_fma_f64 v[6:7], v[6:7], v[22:23], -v[24:25]
	v_add_f64_e32 v[14:15], v[10:11], v[14:15]
	v_add_f64_e32 v[20:21], v[12:13], v[40:41]
	ds_load_b128 v[2:5], v1 offset:1696
	ds_load_b128 v[10:13], v1 offset:1712
	s_wait_loadcnt_dscnt 0x101
	v_mul_f64_e32 v[36:37], v[2:3], v[28:29]
	v_mul_f64_e32 v[28:29], v[4:5], v[28:29]
	v_add_f64_e32 v[14:15], v[14:15], v[18:19]
	v_add_f64_e32 v[16:17], v[20:21], v[34:35]
	s_wait_loadcnt_dscnt 0x0
	v_mul_f64_e32 v[18:19], v[10:11], v[32:33]
	v_mul_f64_e32 v[20:21], v[12:13], v[32:33]
	v_fma_f64 v[4:5], v[4:5], v[26:27], v[36:37]
	v_fma_f64 v[1:2], v[2:3], v[26:27], -v[28:29]
	v_add_f64_e32 v[6:7], v[14:15], v[6:7]
	v_add_f64_e32 v[8:9], v[16:17], v[8:9]
	v_fma_f64 v[12:13], v[12:13], v[30:31], v[18:19]
	v_fma_f64 v[10:11], v[10:11], v[30:31], -v[20:21]
	s_delay_alu instid0(VALU_DEP_4) | instskip(NEXT) | instid1(VALU_DEP_4)
	v_add_f64_e32 v[1:2], v[6:7], v[1:2]
	v_add_f64_e32 v[3:4], v[8:9], v[4:5]
	s_delay_alu instid0(VALU_DEP_2) | instskip(NEXT) | instid1(VALU_DEP_2)
	v_add_f64_e32 v[1:2], v[1:2], v[10:11]
	v_add_f64_e32 v[3:4], v[3:4], v[12:13]
	s_delay_alu instid0(VALU_DEP_2) | instskip(NEXT) | instid1(VALU_DEP_2)
	v_add_f64_e64 v[1:2], v[155:156], -v[1:2]
	v_add_f64_e64 v[3:4], v[157:158], -v[3:4]
	scratch_store_b128 off, v[1:4], off offset:256
	v_cmpx_lt_u32_e32 14, v0
	s_cbranch_execz .LBB53_309
; %bb.308:
	scratch_load_b128 v[1:4], off, s53
	v_mov_b32_e32 v5, 0
	s_delay_alu instid0(VALU_DEP_1)
	v_dual_mov_b32 v6, v5 :: v_dual_mov_b32 v7, v5
	v_mov_b32_e32 v8, v5
	scratch_store_b128 off, v[5:8], off offset:240
	s_wait_loadcnt 0x0
	ds_store_b128 v154, v[1:4]
.LBB53_309:
	s_wait_alu 0xfffe
	s_or_b32 exec_lo, exec_lo, s0
	s_wait_storecnt_dscnt 0x0
	s_barrier_signal -1
	s_barrier_wait -1
	global_inv scope:SCOPE_SE
	s_clause 0x7
	scratch_load_b128 v[2:5], off, off offset:256
	scratch_load_b128 v[6:9], off, off offset:272
	;; [unrolled: 1-line block ×8, first 2 shown]
	v_mov_b32_e32 v1, 0
	s_mov_b32 s0, exec_lo
	ds_load_b128 v[38:41], v1 offset:1104
	s_clause 0x1
	scratch_load_b128 v[34:37], off, off offset:384
	scratch_load_b128 v[42:45], off, off offset:240
	ds_load_b128 v[155:158], v1 offset:1120
	scratch_load_b128 v[159:162], off, off offset:400
	s_wait_loadcnt_dscnt 0xa01
	v_mul_f64_e32 v[163:164], v[40:41], v[4:5]
	v_mul_f64_e32 v[4:5], v[38:39], v[4:5]
	s_delay_alu instid0(VALU_DEP_2) | instskip(NEXT) | instid1(VALU_DEP_2)
	v_fma_f64 v[169:170], v[38:39], v[2:3], -v[163:164]
	v_fma_f64 v[171:172], v[40:41], v[2:3], v[4:5]
	ds_load_b128 v[2:5], v1 offset:1136
	s_wait_loadcnt_dscnt 0x901
	v_mul_f64_e32 v[167:168], v[155:156], v[8:9]
	v_mul_f64_e32 v[8:9], v[157:158], v[8:9]
	scratch_load_b128 v[38:41], off, off offset:416
	ds_load_b128 v[163:166], v1 offset:1152
	s_wait_loadcnt_dscnt 0x901
	v_mul_f64_e32 v[173:174], v[2:3], v[12:13]
	v_mul_f64_e32 v[12:13], v[4:5], v[12:13]
	v_fma_f64 v[157:158], v[157:158], v[6:7], v[167:168]
	v_fma_f64 v[155:156], v[155:156], v[6:7], -v[8:9]
	v_add_f64_e32 v[167:168], 0, v[169:170]
	v_add_f64_e32 v[169:170], 0, v[171:172]
	scratch_load_b128 v[6:9], off, off offset:432
	v_fma_f64 v[173:174], v[4:5], v[10:11], v[173:174]
	v_fma_f64 v[175:176], v[2:3], v[10:11], -v[12:13]
	ds_load_b128 v[2:5], v1 offset:1168
	s_wait_loadcnt_dscnt 0x901
	v_mul_f64_e32 v[171:172], v[163:164], v[16:17]
	v_mul_f64_e32 v[16:17], v[165:166], v[16:17]
	scratch_load_b128 v[10:13], off, off offset:448
	v_add_f64_e32 v[167:168], v[167:168], v[155:156]
	v_add_f64_e32 v[169:170], v[169:170], v[157:158]
	s_wait_loadcnt_dscnt 0x900
	v_mul_f64_e32 v[177:178], v[2:3], v[20:21]
	v_mul_f64_e32 v[20:21], v[4:5], v[20:21]
	ds_load_b128 v[155:158], v1 offset:1184
	v_fma_f64 v[165:166], v[165:166], v[14:15], v[171:172]
	v_fma_f64 v[163:164], v[163:164], v[14:15], -v[16:17]
	scratch_load_b128 v[14:17], off, off offset:464
	v_add_f64_e32 v[167:168], v[167:168], v[175:176]
	v_add_f64_e32 v[169:170], v[169:170], v[173:174]
	v_fma_f64 v[173:174], v[4:5], v[18:19], v[177:178]
	v_fma_f64 v[175:176], v[2:3], v[18:19], -v[20:21]
	ds_load_b128 v[2:5], v1 offset:1200
	s_wait_loadcnt_dscnt 0x901
	v_mul_f64_e32 v[171:172], v[155:156], v[24:25]
	v_mul_f64_e32 v[24:25], v[157:158], v[24:25]
	scratch_load_b128 v[18:21], off, off offset:480
	s_wait_loadcnt_dscnt 0x900
	v_mul_f64_e32 v[177:178], v[2:3], v[28:29]
	v_mul_f64_e32 v[28:29], v[4:5], v[28:29]
	v_add_f64_e32 v[167:168], v[167:168], v[163:164]
	v_add_f64_e32 v[169:170], v[169:170], v[165:166]
	ds_load_b128 v[163:166], v1 offset:1216
	v_fma_f64 v[157:158], v[157:158], v[22:23], v[171:172]
	v_fma_f64 v[155:156], v[155:156], v[22:23], -v[24:25]
	scratch_load_b128 v[22:25], off, off offset:496
	v_add_f64_e32 v[167:168], v[167:168], v[175:176]
	v_add_f64_e32 v[169:170], v[169:170], v[173:174]
	v_fma_f64 v[173:174], v[4:5], v[26:27], v[177:178]
	v_fma_f64 v[175:176], v[2:3], v[26:27], -v[28:29]
	ds_load_b128 v[2:5], v1 offset:1232
	s_wait_loadcnt_dscnt 0x901
	v_mul_f64_e32 v[171:172], v[163:164], v[32:33]
	v_mul_f64_e32 v[32:33], v[165:166], v[32:33]
	scratch_load_b128 v[26:29], off, off offset:512
	s_wait_loadcnt_dscnt 0x900
	v_mul_f64_e32 v[177:178], v[2:3], v[36:37]
	v_mul_f64_e32 v[36:37], v[4:5], v[36:37]
	v_add_f64_e32 v[167:168], v[167:168], v[155:156]
	v_add_f64_e32 v[169:170], v[169:170], v[157:158]
	ds_load_b128 v[155:158], v1 offset:1248
	v_fma_f64 v[165:166], v[165:166], v[30:31], v[171:172]
	v_fma_f64 v[163:164], v[163:164], v[30:31], -v[32:33]
	scratch_load_b128 v[30:33], off, off offset:528
	v_add_f64_e32 v[167:168], v[167:168], v[175:176]
	v_add_f64_e32 v[169:170], v[169:170], v[173:174]
	v_fma_f64 v[175:176], v[4:5], v[34:35], v[177:178]
	v_fma_f64 v[177:178], v[2:3], v[34:35], -v[36:37]
	ds_load_b128 v[2:5], v1 offset:1264
	s_wait_loadcnt_dscnt 0x801
	v_mul_f64_e32 v[171:172], v[155:156], v[161:162]
	v_mul_f64_e32 v[173:174], v[157:158], v[161:162]
	scratch_load_b128 v[34:37], off, off offset:544
	v_add_f64_e32 v[167:168], v[167:168], v[163:164]
	v_add_f64_e32 v[165:166], v[169:170], v[165:166]
	ds_load_b128 v[161:164], v1 offset:1280
	v_fma_f64 v[171:172], v[157:158], v[159:160], v[171:172]
	v_fma_f64 v[159:160], v[155:156], v[159:160], -v[173:174]
	scratch_load_b128 v[155:158], off, off offset:560
	s_wait_loadcnt_dscnt 0x901
	v_mul_f64_e32 v[169:170], v[2:3], v[40:41]
	v_mul_f64_e32 v[40:41], v[4:5], v[40:41]
	v_add_f64_e32 v[167:168], v[167:168], v[177:178]
	v_add_f64_e32 v[165:166], v[165:166], v[175:176]
	s_delay_alu instid0(VALU_DEP_4) | instskip(NEXT) | instid1(VALU_DEP_4)
	v_fma_f64 v[169:170], v[4:5], v[38:39], v[169:170]
	v_fma_f64 v[175:176], v[2:3], v[38:39], -v[40:41]
	ds_load_b128 v[2:5], v1 offset:1296
	s_wait_loadcnt_dscnt 0x801
	v_mul_f64_e32 v[173:174], v[161:162], v[8:9]
	v_mul_f64_e32 v[8:9], v[163:164], v[8:9]
	scratch_load_b128 v[38:41], off, off offset:576
	s_wait_loadcnt_dscnt 0x800
	v_mul_f64_e32 v[177:178], v[2:3], v[12:13]
	v_add_f64_e32 v[159:160], v[167:168], v[159:160]
	v_add_f64_e32 v[171:172], v[165:166], v[171:172]
	v_mul_f64_e32 v[12:13], v[4:5], v[12:13]
	ds_load_b128 v[165:168], v1 offset:1312
	v_fma_f64 v[163:164], v[163:164], v[6:7], v[173:174]
	v_fma_f64 v[161:162], v[161:162], v[6:7], -v[8:9]
	scratch_load_b128 v[6:9], off, off offset:592
	v_fma_f64 v[173:174], v[4:5], v[10:11], v[177:178]
	v_add_f64_e32 v[159:160], v[159:160], v[175:176]
	v_add_f64_e32 v[169:170], v[171:172], v[169:170]
	v_fma_f64 v[175:176], v[2:3], v[10:11], -v[12:13]
	ds_load_b128 v[2:5], v1 offset:1328
	s_wait_loadcnt_dscnt 0x801
	v_mul_f64_e32 v[171:172], v[165:166], v[16:17]
	v_mul_f64_e32 v[16:17], v[167:168], v[16:17]
	scratch_load_b128 v[10:13], off, off offset:608
	v_add_f64_e32 v[177:178], v[159:160], v[161:162]
	v_add_f64_e32 v[163:164], v[169:170], v[163:164]
	s_wait_loadcnt_dscnt 0x800
	v_mul_f64_e32 v[169:170], v[2:3], v[20:21]
	v_mul_f64_e32 v[20:21], v[4:5], v[20:21]
	v_fma_f64 v[167:168], v[167:168], v[14:15], v[171:172]
	v_fma_f64 v[165:166], v[165:166], v[14:15], -v[16:17]
	ds_load_b128 v[159:162], v1 offset:1344
	scratch_load_b128 v[14:17], off, off offset:624
	v_add_f64_e32 v[171:172], v[177:178], v[175:176]
	v_add_f64_e32 v[163:164], v[163:164], v[173:174]
	v_fma_f64 v[169:170], v[4:5], v[18:19], v[169:170]
	v_fma_f64 v[175:176], v[2:3], v[18:19], -v[20:21]
	ds_load_b128 v[2:5], v1 offset:1360
	s_wait_loadcnt_dscnt 0x801
	v_mul_f64_e32 v[173:174], v[159:160], v[24:25]
	v_mul_f64_e32 v[24:25], v[161:162], v[24:25]
	scratch_load_b128 v[18:21], off, off offset:640
	s_wait_loadcnt_dscnt 0x800
	v_mul_f64_e32 v[177:178], v[2:3], v[28:29]
	v_mul_f64_e32 v[28:29], v[4:5], v[28:29]
	v_add_f64_e32 v[171:172], v[171:172], v[165:166]
	v_add_f64_e32 v[167:168], v[163:164], v[167:168]
	ds_load_b128 v[163:166], v1 offset:1376
	v_fma_f64 v[161:162], v[161:162], v[22:23], v[173:174]
	v_fma_f64 v[159:160], v[159:160], v[22:23], -v[24:25]
	scratch_load_b128 v[22:25], off, off offset:656
	v_fma_f64 v[173:174], v[4:5], v[26:27], v[177:178]
	v_add_f64_e32 v[171:172], v[171:172], v[175:176]
	v_add_f64_e32 v[167:168], v[167:168], v[169:170]
	v_fma_f64 v[175:176], v[2:3], v[26:27], -v[28:29]
	ds_load_b128 v[2:5], v1 offset:1392
	s_wait_loadcnt_dscnt 0x801
	v_mul_f64_e32 v[169:170], v[163:164], v[32:33]
	v_mul_f64_e32 v[32:33], v[165:166], v[32:33]
	scratch_load_b128 v[26:29], off, off offset:672
	s_wait_loadcnt_dscnt 0x800
	v_mul_f64_e32 v[177:178], v[2:3], v[36:37]
	v_mul_f64_e32 v[36:37], v[4:5], v[36:37]
	v_add_f64_e32 v[171:172], v[171:172], v[159:160]
	v_add_f64_e32 v[167:168], v[167:168], v[161:162]
	ds_load_b128 v[159:162], v1 offset:1408
	v_fma_f64 v[165:166], v[165:166], v[30:31], v[169:170]
	v_fma_f64 v[163:164], v[163:164], v[30:31], -v[32:33]
	scratch_load_b128 v[30:33], off, off offset:688
	v_add_f64_e32 v[169:170], v[171:172], v[175:176]
	v_add_f64_e32 v[167:168], v[167:168], v[173:174]
	v_fma_f64 v[173:174], v[4:5], v[34:35], v[177:178]
	v_fma_f64 v[175:176], v[2:3], v[34:35], -v[36:37]
	ds_load_b128 v[2:5], v1 offset:1424
	s_wait_loadcnt_dscnt 0x801
	v_mul_f64_e32 v[171:172], v[159:160], v[157:158]
	v_mul_f64_e32 v[157:158], v[161:162], v[157:158]
	scratch_load_b128 v[34:37], off, off offset:704
	s_wait_loadcnt_dscnt 0x800
	v_mul_f64_e32 v[177:178], v[2:3], v[40:41]
	v_mul_f64_e32 v[40:41], v[4:5], v[40:41]
	v_add_f64_e32 v[169:170], v[169:170], v[163:164]
	v_add_f64_e32 v[167:168], v[167:168], v[165:166]
	ds_load_b128 v[163:166], v1 offset:1440
	v_fma_f64 v[161:162], v[161:162], v[155:156], v[171:172]
	v_fma_f64 v[159:160], v[159:160], v[155:156], -v[157:158]
	scratch_load_b128 v[155:158], off, off offset:720
	v_add_f64_e32 v[169:170], v[169:170], v[175:176]
	v_add_f64_e32 v[167:168], v[167:168], v[173:174]
	v_fma_f64 v[173:174], v[4:5], v[38:39], v[177:178]
	;; [unrolled: 18-line block ×6, first 2 shown]
	v_fma_f64 v[177:178], v[2:3], v[34:35], -v[36:37]
	ds_load_b128 v[2:5], v1 offset:1584
	s_wait_loadcnt_dscnt 0x801
	v_mul_f64_e32 v[171:172], v[163:164], v[157:158]
	v_mul_f64_e32 v[173:174], v[165:166], v[157:158]
	scratch_load_b128 v[34:37], off, off offset:864
	v_add_f64_e32 v[169:170], v[169:170], v[159:160]
	v_add_f64_e32 v[161:162], v[167:168], v[161:162]
	s_wait_loadcnt_dscnt 0x800
	v_mul_f64_e32 v[167:168], v[2:3], v[40:41]
	v_mul_f64_e32 v[40:41], v[4:5], v[40:41]
	ds_load_b128 v[157:160], v1 offset:1600
	v_fma_f64 v[165:166], v[165:166], v[155:156], v[171:172]
	v_fma_f64 v[155:156], v[163:164], v[155:156], -v[173:174]
	v_add_f64_e32 v[163:164], v[169:170], v[177:178]
	v_add_f64_e32 v[161:162], v[161:162], v[175:176]
	s_wait_loadcnt_dscnt 0x700
	v_mul_f64_e32 v[169:170], v[157:158], v[8:9]
	v_mul_f64_e32 v[8:9], v[159:160], v[8:9]
	v_fma_f64 v[167:168], v[4:5], v[38:39], v[167:168]
	v_fma_f64 v[171:172], v[2:3], v[38:39], -v[40:41]
	ds_load_b128 v[2:5], v1 offset:1616
	ds_load_b128 v[38:41], v1 offset:1632
	v_add_f64_e32 v[155:156], v[163:164], v[155:156]
	v_add_f64_e32 v[161:162], v[161:162], v[165:166]
	s_wait_loadcnt_dscnt 0x601
	v_mul_f64_e32 v[163:164], v[2:3], v[12:13]
	v_mul_f64_e32 v[12:13], v[4:5], v[12:13]
	v_fma_f64 v[159:160], v[159:160], v[6:7], v[169:170]
	v_fma_f64 v[6:7], v[157:158], v[6:7], -v[8:9]
	s_wait_loadcnt_dscnt 0x500
	v_mul_f64_e32 v[157:158], v[38:39], v[16:17]
	v_mul_f64_e32 v[16:17], v[40:41], v[16:17]
	v_add_f64_e32 v[8:9], v[155:156], v[171:172]
	v_add_f64_e32 v[155:156], v[161:162], v[167:168]
	v_fma_f64 v[161:162], v[4:5], v[10:11], v[163:164]
	v_fma_f64 v[10:11], v[2:3], v[10:11], -v[12:13]
	v_fma_f64 v[40:41], v[40:41], v[14:15], v[157:158]
	v_fma_f64 v[14:15], v[38:39], v[14:15], -v[16:17]
	v_add_f64_e32 v[12:13], v[8:9], v[6:7]
	v_add_f64_e32 v[155:156], v[155:156], v[159:160]
	ds_load_b128 v[2:5], v1 offset:1648
	ds_load_b128 v[6:9], v1 offset:1664
	s_wait_loadcnt_dscnt 0x401
	v_mul_f64_e32 v[159:160], v[2:3], v[20:21]
	v_mul_f64_e32 v[20:21], v[4:5], v[20:21]
	s_wait_loadcnt_dscnt 0x300
	v_mul_f64_e32 v[16:17], v[6:7], v[24:25]
	v_mul_f64_e32 v[24:25], v[8:9], v[24:25]
	v_add_f64_e32 v[10:11], v[12:13], v[10:11]
	v_add_f64_e32 v[12:13], v[155:156], v[161:162]
	v_fma_f64 v[38:39], v[4:5], v[18:19], v[159:160]
	v_fma_f64 v[18:19], v[2:3], v[18:19], -v[20:21]
	v_fma_f64 v[8:9], v[8:9], v[22:23], v[16:17]
	v_fma_f64 v[6:7], v[6:7], v[22:23], -v[24:25]
	v_add_f64_e32 v[14:15], v[10:11], v[14:15]
	v_add_f64_e32 v[20:21], v[12:13], v[40:41]
	ds_load_b128 v[2:5], v1 offset:1680
	ds_load_b128 v[10:13], v1 offset:1696
	s_wait_loadcnt_dscnt 0x201
	v_mul_f64_e32 v[40:41], v[2:3], v[28:29]
	v_mul_f64_e32 v[28:29], v[4:5], v[28:29]
	v_add_f64_e32 v[14:15], v[14:15], v[18:19]
	v_add_f64_e32 v[16:17], v[20:21], v[38:39]
	s_wait_loadcnt_dscnt 0x100
	v_mul_f64_e32 v[18:19], v[10:11], v[32:33]
	v_mul_f64_e32 v[20:21], v[12:13], v[32:33]
	v_fma_f64 v[22:23], v[4:5], v[26:27], v[40:41]
	v_fma_f64 v[24:25], v[2:3], v[26:27], -v[28:29]
	ds_load_b128 v[2:5], v1 offset:1712
	v_add_f64_e32 v[6:7], v[14:15], v[6:7]
	v_add_f64_e32 v[8:9], v[16:17], v[8:9]
	v_fma_f64 v[12:13], v[12:13], v[30:31], v[18:19]
	v_fma_f64 v[10:11], v[10:11], v[30:31], -v[20:21]
	s_wait_loadcnt_dscnt 0x0
	v_mul_f64_e32 v[14:15], v[2:3], v[36:37]
	v_mul_f64_e32 v[16:17], v[4:5], v[36:37]
	v_add_f64_e32 v[6:7], v[6:7], v[24:25]
	v_add_f64_e32 v[8:9], v[8:9], v[22:23]
	s_delay_alu instid0(VALU_DEP_4) | instskip(NEXT) | instid1(VALU_DEP_4)
	v_fma_f64 v[4:5], v[4:5], v[34:35], v[14:15]
	v_fma_f64 v[2:3], v[2:3], v[34:35], -v[16:17]
	s_delay_alu instid0(VALU_DEP_4) | instskip(NEXT) | instid1(VALU_DEP_4)
	v_add_f64_e32 v[6:7], v[6:7], v[10:11]
	v_add_f64_e32 v[8:9], v[8:9], v[12:13]
	s_delay_alu instid0(VALU_DEP_2) | instskip(NEXT) | instid1(VALU_DEP_2)
	v_add_f64_e32 v[2:3], v[6:7], v[2:3]
	v_add_f64_e32 v[4:5], v[8:9], v[4:5]
	s_delay_alu instid0(VALU_DEP_2) | instskip(NEXT) | instid1(VALU_DEP_2)
	v_add_f64_e64 v[2:3], v[42:43], -v[2:3]
	v_add_f64_e64 v[4:5], v[44:45], -v[4:5]
	scratch_store_b128 off, v[2:5], off offset:240
	v_cmpx_lt_u32_e32 13, v0
	s_cbranch_execz .LBB53_311
; %bb.310:
	scratch_load_b128 v[5:8], off, s54
	v_dual_mov_b32 v2, v1 :: v_dual_mov_b32 v3, v1
	v_mov_b32_e32 v4, v1
	scratch_store_b128 off, v[1:4], off offset:224
	s_wait_loadcnt 0x0
	ds_store_b128 v154, v[5:8]
.LBB53_311:
	s_wait_alu 0xfffe
	s_or_b32 exec_lo, exec_lo, s0
	s_wait_storecnt_dscnt 0x0
	s_barrier_signal -1
	s_barrier_wait -1
	global_inv scope:SCOPE_SE
	s_clause 0x8
	scratch_load_b128 v[2:5], off, off offset:240
	scratch_load_b128 v[6:9], off, off offset:256
	;; [unrolled: 1-line block ×9, first 2 shown]
	ds_load_b128 v[42:45], v1 offset:1088
	ds_load_b128 v[38:41], v1 offset:1104
	s_clause 0x1
	scratch_load_b128 v[155:158], off, off offset:224
	scratch_load_b128 v[159:162], off, off offset:384
	s_mov_b32 s0, exec_lo
	s_wait_loadcnt_dscnt 0xa01
	v_mul_f64_e32 v[163:164], v[44:45], v[4:5]
	v_mul_f64_e32 v[4:5], v[42:43], v[4:5]
	s_wait_loadcnt_dscnt 0x900
	v_mul_f64_e32 v[167:168], v[38:39], v[8:9]
	v_mul_f64_e32 v[8:9], v[40:41], v[8:9]
	s_delay_alu instid0(VALU_DEP_4) | instskip(NEXT) | instid1(VALU_DEP_4)
	v_fma_f64 v[169:170], v[42:43], v[2:3], -v[163:164]
	v_fma_f64 v[171:172], v[44:45], v[2:3], v[4:5]
	ds_load_b128 v[2:5], v1 offset:1120
	ds_load_b128 v[163:166], v1 offset:1136
	scratch_load_b128 v[42:45], off, off offset:400
	v_fma_f64 v[40:41], v[40:41], v[6:7], v[167:168]
	v_fma_f64 v[38:39], v[38:39], v[6:7], -v[8:9]
	scratch_load_b128 v[6:9], off, off offset:416
	s_wait_loadcnt_dscnt 0xa01
	v_mul_f64_e32 v[173:174], v[2:3], v[12:13]
	v_mul_f64_e32 v[12:13], v[4:5], v[12:13]
	v_add_f64_e32 v[167:168], 0, v[169:170]
	v_add_f64_e32 v[169:170], 0, v[171:172]
	s_wait_loadcnt_dscnt 0x900
	v_mul_f64_e32 v[171:172], v[163:164], v[16:17]
	v_mul_f64_e32 v[16:17], v[165:166], v[16:17]
	v_fma_f64 v[173:174], v[4:5], v[10:11], v[173:174]
	v_fma_f64 v[175:176], v[2:3], v[10:11], -v[12:13]
	ds_load_b128 v[2:5], v1 offset:1152
	scratch_load_b128 v[10:13], off, off offset:432
	v_add_f64_e32 v[167:168], v[167:168], v[38:39]
	v_add_f64_e32 v[169:170], v[169:170], v[40:41]
	ds_load_b128 v[38:41], v1 offset:1168
	v_fma_f64 v[165:166], v[165:166], v[14:15], v[171:172]
	v_fma_f64 v[163:164], v[163:164], v[14:15], -v[16:17]
	scratch_load_b128 v[14:17], off, off offset:448
	s_wait_loadcnt_dscnt 0xa01
	v_mul_f64_e32 v[177:178], v[2:3], v[20:21]
	v_mul_f64_e32 v[20:21], v[4:5], v[20:21]
	s_wait_loadcnt_dscnt 0x900
	v_mul_f64_e32 v[171:172], v[38:39], v[24:25]
	v_mul_f64_e32 v[24:25], v[40:41], v[24:25]
	v_add_f64_e32 v[167:168], v[167:168], v[175:176]
	v_add_f64_e32 v[169:170], v[169:170], v[173:174]
	v_fma_f64 v[173:174], v[4:5], v[18:19], v[177:178]
	v_fma_f64 v[175:176], v[2:3], v[18:19], -v[20:21]
	ds_load_b128 v[2:5], v1 offset:1184
	scratch_load_b128 v[18:21], off, off offset:464
	v_fma_f64 v[40:41], v[40:41], v[22:23], v[171:172]
	v_fma_f64 v[38:39], v[38:39], v[22:23], -v[24:25]
	scratch_load_b128 v[22:25], off, off offset:480
	v_add_f64_e32 v[167:168], v[167:168], v[163:164]
	v_add_f64_e32 v[169:170], v[169:170], v[165:166]
	ds_load_b128 v[163:166], v1 offset:1200
	s_wait_loadcnt_dscnt 0xa01
	v_mul_f64_e32 v[177:178], v[2:3], v[28:29]
	v_mul_f64_e32 v[28:29], v[4:5], v[28:29]
	s_wait_loadcnt_dscnt 0x900
	v_mul_f64_e32 v[171:172], v[163:164], v[32:33]
	v_mul_f64_e32 v[32:33], v[165:166], v[32:33]
	v_add_f64_e32 v[167:168], v[167:168], v[175:176]
	v_add_f64_e32 v[169:170], v[169:170], v[173:174]
	v_fma_f64 v[173:174], v[4:5], v[26:27], v[177:178]
	v_fma_f64 v[175:176], v[2:3], v[26:27], -v[28:29]
	ds_load_b128 v[2:5], v1 offset:1216
	scratch_load_b128 v[26:29], off, off offset:496
	v_fma_f64 v[165:166], v[165:166], v[30:31], v[171:172]
	v_fma_f64 v[163:164], v[163:164], v[30:31], -v[32:33]
	scratch_load_b128 v[30:33], off, off offset:512
	v_add_f64_e32 v[167:168], v[167:168], v[38:39]
	v_add_f64_e32 v[169:170], v[169:170], v[40:41]
	ds_load_b128 v[38:41], v1 offset:1232
	s_wait_loadcnt_dscnt 0xa01
	v_mul_f64_e32 v[177:178], v[2:3], v[36:37]
	v_mul_f64_e32 v[36:37], v[4:5], v[36:37]
	s_wait_loadcnt_dscnt 0x800
	v_mul_f64_e32 v[171:172], v[38:39], v[161:162]
	v_add_f64_e32 v[167:168], v[167:168], v[175:176]
	v_add_f64_e32 v[169:170], v[169:170], v[173:174]
	v_mul_f64_e32 v[173:174], v[40:41], v[161:162]
	v_fma_f64 v[175:176], v[4:5], v[34:35], v[177:178]
	v_fma_f64 v[177:178], v[2:3], v[34:35], -v[36:37]
	ds_load_b128 v[2:5], v1 offset:1248
	scratch_load_b128 v[34:37], off, off offset:528
	v_fma_f64 v[171:172], v[40:41], v[159:160], v[171:172]
	v_add_f64_e32 v[167:168], v[167:168], v[163:164]
	v_add_f64_e32 v[165:166], v[169:170], v[165:166]
	ds_load_b128 v[161:164], v1 offset:1264
	v_fma_f64 v[159:160], v[38:39], v[159:160], -v[173:174]
	scratch_load_b128 v[38:41], off, off offset:544
	s_wait_loadcnt_dscnt 0x901
	v_mul_f64_e32 v[169:170], v[2:3], v[44:45]
	v_mul_f64_e32 v[44:45], v[4:5], v[44:45]
	s_wait_loadcnt_dscnt 0x800
	v_mul_f64_e32 v[173:174], v[161:162], v[8:9]
	v_mul_f64_e32 v[8:9], v[163:164], v[8:9]
	v_add_f64_e32 v[167:168], v[167:168], v[177:178]
	v_add_f64_e32 v[165:166], v[165:166], v[175:176]
	v_fma_f64 v[169:170], v[4:5], v[42:43], v[169:170]
	v_fma_f64 v[175:176], v[2:3], v[42:43], -v[44:45]
	ds_load_b128 v[2:5], v1 offset:1280
	scratch_load_b128 v[42:45], off, off offset:560
	v_fma_f64 v[163:164], v[163:164], v[6:7], v[173:174]
	v_fma_f64 v[161:162], v[161:162], v[6:7], -v[8:9]
	scratch_load_b128 v[6:9], off, off offset:576
	v_add_f64_e32 v[159:160], v[167:168], v[159:160]
	v_add_f64_e32 v[171:172], v[165:166], v[171:172]
	ds_load_b128 v[165:168], v1 offset:1296
	s_wait_loadcnt_dscnt 0x901
	v_mul_f64_e32 v[177:178], v[2:3], v[12:13]
	v_mul_f64_e32 v[12:13], v[4:5], v[12:13]
	v_add_f64_e32 v[159:160], v[159:160], v[175:176]
	v_add_f64_e32 v[169:170], v[171:172], v[169:170]
	s_wait_loadcnt_dscnt 0x800
	v_mul_f64_e32 v[171:172], v[165:166], v[16:17]
	v_mul_f64_e32 v[16:17], v[167:168], v[16:17]
	v_fma_f64 v[173:174], v[4:5], v[10:11], v[177:178]
	v_fma_f64 v[175:176], v[2:3], v[10:11], -v[12:13]
	ds_load_b128 v[2:5], v1 offset:1312
	scratch_load_b128 v[10:13], off, off offset:592
	v_add_f64_e32 v[177:178], v[159:160], v[161:162]
	v_add_f64_e32 v[163:164], v[169:170], v[163:164]
	ds_load_b128 v[159:162], v1 offset:1328
	s_wait_loadcnt_dscnt 0x801
	v_mul_f64_e32 v[169:170], v[2:3], v[20:21]
	v_mul_f64_e32 v[20:21], v[4:5], v[20:21]
	v_fma_f64 v[167:168], v[167:168], v[14:15], v[171:172]
	v_fma_f64 v[165:166], v[165:166], v[14:15], -v[16:17]
	scratch_load_b128 v[14:17], off, off offset:608
	v_add_f64_e32 v[171:172], v[177:178], v[175:176]
	v_add_f64_e32 v[163:164], v[163:164], v[173:174]
	s_wait_loadcnt_dscnt 0x800
	v_mul_f64_e32 v[173:174], v[159:160], v[24:25]
	v_mul_f64_e32 v[24:25], v[161:162], v[24:25]
	v_fma_f64 v[169:170], v[4:5], v[18:19], v[169:170]
	v_fma_f64 v[175:176], v[2:3], v[18:19], -v[20:21]
	ds_load_b128 v[2:5], v1 offset:1344
	scratch_load_b128 v[18:21], off, off offset:624
	v_add_f64_e32 v[171:172], v[171:172], v[165:166]
	v_add_f64_e32 v[167:168], v[163:164], v[167:168]
	ds_load_b128 v[163:166], v1 offset:1360
	s_wait_loadcnt_dscnt 0x801
	v_mul_f64_e32 v[177:178], v[2:3], v[28:29]
	v_mul_f64_e32 v[28:29], v[4:5], v[28:29]
	v_fma_f64 v[161:162], v[161:162], v[22:23], v[173:174]
	v_fma_f64 v[159:160], v[159:160], v[22:23], -v[24:25]
	scratch_load_b128 v[22:25], off, off offset:640
	;; [unrolled: 18-line block ×4, first 2 shown]
	s_wait_loadcnt_dscnt 0x800
	v_mul_f64_e32 v[171:172], v[163:164], v[8:9]
	v_mul_f64_e32 v[8:9], v[165:166], v[8:9]
	v_add_f64_e32 v[169:170], v[169:170], v[175:176]
	v_add_f64_e32 v[167:168], v[167:168], v[173:174]
	v_fma_f64 v[173:174], v[4:5], v[42:43], v[177:178]
	v_fma_f64 v[175:176], v[2:3], v[42:43], -v[44:45]
	ds_load_b128 v[2:5], v1 offset:1440
	scratch_load_b128 v[42:45], off, off offset:720
	v_fma_f64 v[165:166], v[165:166], v[6:7], v[171:172]
	v_fma_f64 v[163:164], v[163:164], v[6:7], -v[8:9]
	scratch_load_b128 v[6:9], off, off offset:736
	v_add_f64_e32 v[169:170], v[169:170], v[159:160]
	v_add_f64_e32 v[167:168], v[167:168], v[161:162]
	ds_load_b128 v[159:162], v1 offset:1456
	s_wait_loadcnt_dscnt 0x901
	v_mul_f64_e32 v[177:178], v[2:3], v[12:13]
	v_mul_f64_e32 v[12:13], v[4:5], v[12:13]
	s_wait_loadcnt_dscnt 0x800
	v_mul_f64_e32 v[171:172], v[159:160], v[16:17]
	v_mul_f64_e32 v[16:17], v[161:162], v[16:17]
	v_add_f64_e32 v[169:170], v[169:170], v[175:176]
	v_add_f64_e32 v[167:168], v[167:168], v[173:174]
	v_fma_f64 v[173:174], v[4:5], v[10:11], v[177:178]
	v_fma_f64 v[175:176], v[2:3], v[10:11], -v[12:13]
	ds_load_b128 v[2:5], v1 offset:1472
	scratch_load_b128 v[10:13], off, off offset:752
	v_fma_f64 v[161:162], v[161:162], v[14:15], v[171:172]
	v_fma_f64 v[159:160], v[159:160], v[14:15], -v[16:17]
	scratch_load_b128 v[14:17], off, off offset:768
	v_add_f64_e32 v[169:170], v[169:170], v[163:164]
	v_add_f64_e32 v[167:168], v[167:168], v[165:166]
	ds_load_b128 v[163:166], v1 offset:1488
	s_wait_loadcnt_dscnt 0x901
	v_mul_f64_e32 v[177:178], v[2:3], v[20:21]
	v_mul_f64_e32 v[20:21], v[4:5], v[20:21]
	;; [unrolled: 18-line block ×5, first 2 shown]
	s_wait_loadcnt_dscnt 0x800
	v_mul_f64_e32 v[171:172], v[159:160], v[8:9]
	v_mul_f64_e32 v[8:9], v[161:162], v[8:9]
	v_add_f64_e32 v[169:170], v[169:170], v[175:176]
	v_add_f64_e32 v[167:168], v[167:168], v[173:174]
	v_fma_f64 v[173:174], v[4:5], v[42:43], v[177:178]
	v_fma_f64 v[175:176], v[2:3], v[42:43], -v[44:45]
	ds_load_b128 v[2:5], v1 offset:1600
	ds_load_b128 v[42:45], v1 offset:1616
	v_fma_f64 v[161:162], v[161:162], v[6:7], v[171:172]
	v_fma_f64 v[6:7], v[159:160], v[6:7], -v[8:9]
	v_add_f64_e32 v[163:164], v[169:170], v[163:164]
	v_add_f64_e32 v[165:166], v[167:168], v[165:166]
	s_wait_loadcnt_dscnt 0x701
	v_mul_f64_e32 v[167:168], v[2:3], v[12:13]
	v_mul_f64_e32 v[12:13], v[4:5], v[12:13]
	s_delay_alu instid0(VALU_DEP_4) | instskip(NEXT) | instid1(VALU_DEP_4)
	v_add_f64_e32 v[8:9], v[163:164], v[175:176]
	v_add_f64_e32 v[159:160], v[165:166], v[173:174]
	s_wait_loadcnt_dscnt 0x600
	v_mul_f64_e32 v[163:164], v[42:43], v[16:17]
	v_mul_f64_e32 v[16:17], v[44:45], v[16:17]
	v_fma_f64 v[165:166], v[4:5], v[10:11], v[167:168]
	v_fma_f64 v[10:11], v[2:3], v[10:11], -v[12:13]
	v_add_f64_e32 v[12:13], v[8:9], v[6:7]
	v_add_f64_e32 v[159:160], v[159:160], v[161:162]
	ds_load_b128 v[2:5], v1 offset:1632
	ds_load_b128 v[6:9], v1 offset:1648
	v_fma_f64 v[44:45], v[44:45], v[14:15], v[163:164]
	v_fma_f64 v[14:15], v[42:43], v[14:15], -v[16:17]
	s_wait_loadcnt_dscnt 0x501
	v_mul_f64_e32 v[161:162], v[2:3], v[20:21]
	v_mul_f64_e32 v[20:21], v[4:5], v[20:21]
	s_wait_loadcnt_dscnt 0x400
	v_mul_f64_e32 v[16:17], v[6:7], v[24:25]
	v_mul_f64_e32 v[24:25], v[8:9], v[24:25]
	v_add_f64_e32 v[10:11], v[12:13], v[10:11]
	v_add_f64_e32 v[12:13], v[159:160], v[165:166]
	v_fma_f64 v[42:43], v[4:5], v[18:19], v[161:162]
	v_fma_f64 v[18:19], v[2:3], v[18:19], -v[20:21]
	v_fma_f64 v[8:9], v[8:9], v[22:23], v[16:17]
	v_fma_f64 v[6:7], v[6:7], v[22:23], -v[24:25]
	v_add_f64_e32 v[14:15], v[10:11], v[14:15]
	v_add_f64_e32 v[20:21], v[12:13], v[44:45]
	ds_load_b128 v[2:5], v1 offset:1664
	ds_load_b128 v[10:13], v1 offset:1680
	s_wait_loadcnt_dscnt 0x301
	v_mul_f64_e32 v[44:45], v[2:3], v[28:29]
	v_mul_f64_e32 v[28:29], v[4:5], v[28:29]
	v_add_f64_e32 v[14:15], v[14:15], v[18:19]
	v_add_f64_e32 v[16:17], v[20:21], v[42:43]
	s_wait_loadcnt_dscnt 0x200
	v_mul_f64_e32 v[18:19], v[10:11], v[32:33]
	v_mul_f64_e32 v[20:21], v[12:13], v[32:33]
	v_fma_f64 v[22:23], v[4:5], v[26:27], v[44:45]
	v_fma_f64 v[24:25], v[2:3], v[26:27], -v[28:29]
	v_add_f64_e32 v[14:15], v[14:15], v[6:7]
	v_add_f64_e32 v[16:17], v[16:17], v[8:9]
	ds_load_b128 v[2:5], v1 offset:1696
	ds_load_b128 v[6:9], v1 offset:1712
	v_fma_f64 v[12:13], v[12:13], v[30:31], v[18:19]
	v_fma_f64 v[10:11], v[10:11], v[30:31], -v[20:21]
	s_wait_loadcnt_dscnt 0x101
	v_mul_f64_e32 v[26:27], v[2:3], v[36:37]
	v_mul_f64_e32 v[28:29], v[4:5], v[36:37]
	s_wait_loadcnt_dscnt 0x0
	v_mul_f64_e32 v[18:19], v[6:7], v[40:41]
	v_mul_f64_e32 v[20:21], v[8:9], v[40:41]
	v_add_f64_e32 v[14:15], v[14:15], v[24:25]
	v_add_f64_e32 v[16:17], v[16:17], v[22:23]
	v_fma_f64 v[4:5], v[4:5], v[34:35], v[26:27]
	v_fma_f64 v[1:2], v[2:3], v[34:35], -v[28:29]
	v_fma_f64 v[8:9], v[8:9], v[38:39], v[18:19]
	v_fma_f64 v[6:7], v[6:7], v[38:39], -v[20:21]
	v_add_f64_e32 v[10:11], v[14:15], v[10:11]
	v_add_f64_e32 v[12:13], v[16:17], v[12:13]
	s_delay_alu instid0(VALU_DEP_2) | instskip(NEXT) | instid1(VALU_DEP_2)
	v_add_f64_e32 v[1:2], v[10:11], v[1:2]
	v_add_f64_e32 v[3:4], v[12:13], v[4:5]
	s_delay_alu instid0(VALU_DEP_2) | instskip(NEXT) | instid1(VALU_DEP_2)
	;; [unrolled: 3-line block ×3, first 2 shown]
	v_add_f64_e64 v[1:2], v[155:156], -v[1:2]
	v_add_f64_e64 v[3:4], v[157:158], -v[3:4]
	scratch_store_b128 off, v[1:4], off offset:224
	v_cmpx_lt_u32_e32 12, v0
	s_cbranch_execz .LBB53_313
; %bb.312:
	scratch_load_b128 v[1:4], off, s55
	v_mov_b32_e32 v5, 0
	s_delay_alu instid0(VALU_DEP_1)
	v_dual_mov_b32 v6, v5 :: v_dual_mov_b32 v7, v5
	v_mov_b32_e32 v8, v5
	scratch_store_b128 off, v[5:8], off offset:208
	s_wait_loadcnt 0x0
	ds_store_b128 v154, v[1:4]
.LBB53_313:
	s_wait_alu 0xfffe
	s_or_b32 exec_lo, exec_lo, s0
	s_wait_storecnt_dscnt 0x0
	s_barrier_signal -1
	s_barrier_wait -1
	global_inv scope:SCOPE_SE
	s_clause 0x7
	scratch_load_b128 v[2:5], off, off offset:224
	scratch_load_b128 v[6:9], off, off offset:240
	;; [unrolled: 1-line block ×8, first 2 shown]
	v_mov_b32_e32 v1, 0
	s_mov_b32 s0, exec_lo
	ds_load_b128 v[38:41], v1 offset:1072
	s_clause 0x1
	scratch_load_b128 v[34:37], off, off offset:352
	scratch_load_b128 v[42:45], off, off offset:208
	ds_load_b128 v[155:158], v1 offset:1088
	scratch_load_b128 v[159:162], off, off offset:368
	s_wait_loadcnt_dscnt 0xa01
	v_mul_f64_e32 v[163:164], v[40:41], v[4:5]
	v_mul_f64_e32 v[4:5], v[38:39], v[4:5]
	s_delay_alu instid0(VALU_DEP_2) | instskip(NEXT) | instid1(VALU_DEP_2)
	v_fma_f64 v[169:170], v[38:39], v[2:3], -v[163:164]
	v_fma_f64 v[171:172], v[40:41], v[2:3], v[4:5]
	ds_load_b128 v[2:5], v1 offset:1104
	s_wait_loadcnt_dscnt 0x901
	v_mul_f64_e32 v[167:168], v[155:156], v[8:9]
	v_mul_f64_e32 v[8:9], v[157:158], v[8:9]
	scratch_load_b128 v[38:41], off, off offset:384
	ds_load_b128 v[163:166], v1 offset:1120
	s_wait_loadcnt_dscnt 0x901
	v_mul_f64_e32 v[173:174], v[2:3], v[12:13]
	v_mul_f64_e32 v[12:13], v[4:5], v[12:13]
	v_fma_f64 v[157:158], v[157:158], v[6:7], v[167:168]
	v_fma_f64 v[155:156], v[155:156], v[6:7], -v[8:9]
	v_add_f64_e32 v[167:168], 0, v[169:170]
	v_add_f64_e32 v[169:170], 0, v[171:172]
	scratch_load_b128 v[6:9], off, off offset:400
	v_fma_f64 v[173:174], v[4:5], v[10:11], v[173:174]
	v_fma_f64 v[175:176], v[2:3], v[10:11], -v[12:13]
	ds_load_b128 v[2:5], v1 offset:1136
	s_wait_loadcnt_dscnt 0x901
	v_mul_f64_e32 v[171:172], v[163:164], v[16:17]
	v_mul_f64_e32 v[16:17], v[165:166], v[16:17]
	scratch_load_b128 v[10:13], off, off offset:416
	v_add_f64_e32 v[167:168], v[167:168], v[155:156]
	v_add_f64_e32 v[169:170], v[169:170], v[157:158]
	s_wait_loadcnt_dscnt 0x900
	v_mul_f64_e32 v[177:178], v[2:3], v[20:21]
	v_mul_f64_e32 v[20:21], v[4:5], v[20:21]
	ds_load_b128 v[155:158], v1 offset:1152
	v_fma_f64 v[165:166], v[165:166], v[14:15], v[171:172]
	v_fma_f64 v[163:164], v[163:164], v[14:15], -v[16:17]
	scratch_load_b128 v[14:17], off, off offset:432
	v_add_f64_e32 v[167:168], v[167:168], v[175:176]
	v_add_f64_e32 v[169:170], v[169:170], v[173:174]
	v_fma_f64 v[173:174], v[4:5], v[18:19], v[177:178]
	v_fma_f64 v[175:176], v[2:3], v[18:19], -v[20:21]
	ds_load_b128 v[2:5], v1 offset:1168
	s_wait_loadcnt_dscnt 0x901
	v_mul_f64_e32 v[171:172], v[155:156], v[24:25]
	v_mul_f64_e32 v[24:25], v[157:158], v[24:25]
	scratch_load_b128 v[18:21], off, off offset:448
	s_wait_loadcnt_dscnt 0x900
	v_mul_f64_e32 v[177:178], v[2:3], v[28:29]
	v_mul_f64_e32 v[28:29], v[4:5], v[28:29]
	v_add_f64_e32 v[167:168], v[167:168], v[163:164]
	v_add_f64_e32 v[169:170], v[169:170], v[165:166]
	ds_load_b128 v[163:166], v1 offset:1184
	v_fma_f64 v[157:158], v[157:158], v[22:23], v[171:172]
	v_fma_f64 v[155:156], v[155:156], v[22:23], -v[24:25]
	scratch_load_b128 v[22:25], off, off offset:464
	v_add_f64_e32 v[167:168], v[167:168], v[175:176]
	v_add_f64_e32 v[169:170], v[169:170], v[173:174]
	v_fma_f64 v[173:174], v[4:5], v[26:27], v[177:178]
	v_fma_f64 v[175:176], v[2:3], v[26:27], -v[28:29]
	ds_load_b128 v[2:5], v1 offset:1200
	s_wait_loadcnt_dscnt 0x901
	v_mul_f64_e32 v[171:172], v[163:164], v[32:33]
	v_mul_f64_e32 v[32:33], v[165:166], v[32:33]
	scratch_load_b128 v[26:29], off, off offset:480
	s_wait_loadcnt_dscnt 0x900
	v_mul_f64_e32 v[177:178], v[2:3], v[36:37]
	v_mul_f64_e32 v[36:37], v[4:5], v[36:37]
	v_add_f64_e32 v[167:168], v[167:168], v[155:156]
	v_add_f64_e32 v[169:170], v[169:170], v[157:158]
	ds_load_b128 v[155:158], v1 offset:1216
	v_fma_f64 v[165:166], v[165:166], v[30:31], v[171:172]
	v_fma_f64 v[163:164], v[163:164], v[30:31], -v[32:33]
	scratch_load_b128 v[30:33], off, off offset:496
	v_add_f64_e32 v[167:168], v[167:168], v[175:176]
	v_add_f64_e32 v[169:170], v[169:170], v[173:174]
	v_fma_f64 v[175:176], v[4:5], v[34:35], v[177:178]
	v_fma_f64 v[177:178], v[2:3], v[34:35], -v[36:37]
	ds_load_b128 v[2:5], v1 offset:1232
	s_wait_loadcnt_dscnt 0x801
	v_mul_f64_e32 v[171:172], v[155:156], v[161:162]
	v_mul_f64_e32 v[173:174], v[157:158], v[161:162]
	scratch_load_b128 v[34:37], off, off offset:512
	v_add_f64_e32 v[167:168], v[167:168], v[163:164]
	v_add_f64_e32 v[165:166], v[169:170], v[165:166]
	ds_load_b128 v[161:164], v1 offset:1248
	v_fma_f64 v[171:172], v[157:158], v[159:160], v[171:172]
	v_fma_f64 v[159:160], v[155:156], v[159:160], -v[173:174]
	scratch_load_b128 v[155:158], off, off offset:528
	s_wait_loadcnt_dscnt 0x901
	v_mul_f64_e32 v[169:170], v[2:3], v[40:41]
	v_mul_f64_e32 v[40:41], v[4:5], v[40:41]
	v_add_f64_e32 v[167:168], v[167:168], v[177:178]
	v_add_f64_e32 v[165:166], v[165:166], v[175:176]
	s_delay_alu instid0(VALU_DEP_4) | instskip(NEXT) | instid1(VALU_DEP_4)
	v_fma_f64 v[169:170], v[4:5], v[38:39], v[169:170]
	v_fma_f64 v[175:176], v[2:3], v[38:39], -v[40:41]
	ds_load_b128 v[2:5], v1 offset:1264
	s_wait_loadcnt_dscnt 0x801
	v_mul_f64_e32 v[173:174], v[161:162], v[8:9]
	v_mul_f64_e32 v[8:9], v[163:164], v[8:9]
	scratch_load_b128 v[38:41], off, off offset:544
	s_wait_loadcnt_dscnt 0x800
	v_mul_f64_e32 v[177:178], v[2:3], v[12:13]
	v_add_f64_e32 v[159:160], v[167:168], v[159:160]
	v_add_f64_e32 v[171:172], v[165:166], v[171:172]
	v_mul_f64_e32 v[12:13], v[4:5], v[12:13]
	ds_load_b128 v[165:168], v1 offset:1280
	v_fma_f64 v[163:164], v[163:164], v[6:7], v[173:174]
	v_fma_f64 v[161:162], v[161:162], v[6:7], -v[8:9]
	scratch_load_b128 v[6:9], off, off offset:560
	v_fma_f64 v[173:174], v[4:5], v[10:11], v[177:178]
	v_add_f64_e32 v[159:160], v[159:160], v[175:176]
	v_add_f64_e32 v[169:170], v[171:172], v[169:170]
	v_fma_f64 v[175:176], v[2:3], v[10:11], -v[12:13]
	ds_load_b128 v[2:5], v1 offset:1296
	s_wait_loadcnt_dscnt 0x801
	v_mul_f64_e32 v[171:172], v[165:166], v[16:17]
	v_mul_f64_e32 v[16:17], v[167:168], v[16:17]
	scratch_load_b128 v[10:13], off, off offset:576
	v_add_f64_e32 v[177:178], v[159:160], v[161:162]
	v_add_f64_e32 v[163:164], v[169:170], v[163:164]
	s_wait_loadcnt_dscnt 0x800
	v_mul_f64_e32 v[169:170], v[2:3], v[20:21]
	v_mul_f64_e32 v[20:21], v[4:5], v[20:21]
	v_fma_f64 v[167:168], v[167:168], v[14:15], v[171:172]
	v_fma_f64 v[165:166], v[165:166], v[14:15], -v[16:17]
	ds_load_b128 v[159:162], v1 offset:1312
	scratch_load_b128 v[14:17], off, off offset:592
	v_add_f64_e32 v[171:172], v[177:178], v[175:176]
	v_add_f64_e32 v[163:164], v[163:164], v[173:174]
	v_fma_f64 v[169:170], v[4:5], v[18:19], v[169:170]
	v_fma_f64 v[175:176], v[2:3], v[18:19], -v[20:21]
	ds_load_b128 v[2:5], v1 offset:1328
	s_wait_loadcnt_dscnt 0x801
	v_mul_f64_e32 v[173:174], v[159:160], v[24:25]
	v_mul_f64_e32 v[24:25], v[161:162], v[24:25]
	scratch_load_b128 v[18:21], off, off offset:608
	s_wait_loadcnt_dscnt 0x800
	v_mul_f64_e32 v[177:178], v[2:3], v[28:29]
	v_mul_f64_e32 v[28:29], v[4:5], v[28:29]
	v_add_f64_e32 v[171:172], v[171:172], v[165:166]
	v_add_f64_e32 v[167:168], v[163:164], v[167:168]
	ds_load_b128 v[163:166], v1 offset:1344
	v_fma_f64 v[161:162], v[161:162], v[22:23], v[173:174]
	v_fma_f64 v[159:160], v[159:160], v[22:23], -v[24:25]
	scratch_load_b128 v[22:25], off, off offset:624
	v_fma_f64 v[173:174], v[4:5], v[26:27], v[177:178]
	v_add_f64_e32 v[171:172], v[171:172], v[175:176]
	v_add_f64_e32 v[167:168], v[167:168], v[169:170]
	v_fma_f64 v[175:176], v[2:3], v[26:27], -v[28:29]
	ds_load_b128 v[2:5], v1 offset:1360
	s_wait_loadcnt_dscnt 0x801
	v_mul_f64_e32 v[169:170], v[163:164], v[32:33]
	v_mul_f64_e32 v[32:33], v[165:166], v[32:33]
	scratch_load_b128 v[26:29], off, off offset:640
	s_wait_loadcnt_dscnt 0x800
	v_mul_f64_e32 v[177:178], v[2:3], v[36:37]
	v_mul_f64_e32 v[36:37], v[4:5], v[36:37]
	v_add_f64_e32 v[171:172], v[171:172], v[159:160]
	v_add_f64_e32 v[167:168], v[167:168], v[161:162]
	ds_load_b128 v[159:162], v1 offset:1376
	v_fma_f64 v[165:166], v[165:166], v[30:31], v[169:170]
	v_fma_f64 v[163:164], v[163:164], v[30:31], -v[32:33]
	scratch_load_b128 v[30:33], off, off offset:656
	v_add_f64_e32 v[169:170], v[171:172], v[175:176]
	v_add_f64_e32 v[167:168], v[167:168], v[173:174]
	v_fma_f64 v[173:174], v[4:5], v[34:35], v[177:178]
	v_fma_f64 v[175:176], v[2:3], v[34:35], -v[36:37]
	ds_load_b128 v[2:5], v1 offset:1392
	s_wait_loadcnt_dscnt 0x801
	v_mul_f64_e32 v[171:172], v[159:160], v[157:158]
	v_mul_f64_e32 v[157:158], v[161:162], v[157:158]
	scratch_load_b128 v[34:37], off, off offset:672
	s_wait_loadcnt_dscnt 0x800
	v_mul_f64_e32 v[177:178], v[2:3], v[40:41]
	v_mul_f64_e32 v[40:41], v[4:5], v[40:41]
	v_add_f64_e32 v[169:170], v[169:170], v[163:164]
	v_add_f64_e32 v[167:168], v[167:168], v[165:166]
	ds_load_b128 v[163:166], v1 offset:1408
	v_fma_f64 v[161:162], v[161:162], v[155:156], v[171:172]
	v_fma_f64 v[159:160], v[159:160], v[155:156], -v[157:158]
	scratch_load_b128 v[155:158], off, off offset:688
	v_add_f64_e32 v[169:170], v[169:170], v[175:176]
	v_add_f64_e32 v[167:168], v[167:168], v[173:174]
	v_fma_f64 v[173:174], v[4:5], v[38:39], v[177:178]
	;; [unrolled: 18-line block ×6, first 2 shown]
	v_fma_f64 v[177:178], v[2:3], v[34:35], -v[36:37]
	ds_load_b128 v[2:5], v1 offset:1552
	s_wait_loadcnt_dscnt 0x801
	v_mul_f64_e32 v[171:172], v[163:164], v[157:158]
	v_mul_f64_e32 v[173:174], v[165:166], v[157:158]
	scratch_load_b128 v[34:37], off, off offset:832
	v_add_f64_e32 v[169:170], v[169:170], v[159:160]
	v_add_f64_e32 v[161:162], v[167:168], v[161:162]
	s_wait_loadcnt_dscnt 0x800
	v_mul_f64_e32 v[167:168], v[2:3], v[40:41]
	v_mul_f64_e32 v[40:41], v[4:5], v[40:41]
	ds_load_b128 v[157:160], v1 offset:1568
	v_fma_f64 v[165:166], v[165:166], v[155:156], v[171:172]
	v_fma_f64 v[155:156], v[163:164], v[155:156], -v[173:174]
	v_add_f64_e32 v[169:170], v[169:170], v[177:178]
	v_add_f64_e32 v[171:172], v[161:162], v[175:176]
	scratch_load_b128 v[161:164], off, off offset:848
	v_fma_f64 v[175:176], v[4:5], v[38:39], v[167:168]
	v_fma_f64 v[177:178], v[2:3], v[38:39], -v[40:41]
	ds_load_b128 v[2:5], v1 offset:1584
	s_wait_loadcnt_dscnt 0x801
	v_mul_f64_e32 v[173:174], v[157:158], v[8:9]
	v_mul_f64_e32 v[8:9], v[159:160], v[8:9]
	scratch_load_b128 v[38:41], off, off offset:864
	v_add_f64_e32 v[155:156], v[169:170], v[155:156]
	v_add_f64_e32 v[169:170], v[171:172], v[165:166]
	s_wait_loadcnt_dscnt 0x800
	v_mul_f64_e32 v[171:172], v[2:3], v[12:13]
	v_mul_f64_e32 v[12:13], v[4:5], v[12:13]
	ds_load_b128 v[165:168], v1 offset:1600
	v_fma_f64 v[159:160], v[159:160], v[6:7], v[173:174]
	v_fma_f64 v[6:7], v[157:158], v[6:7], -v[8:9]
	s_wait_loadcnt_dscnt 0x700
	v_mul_f64_e32 v[157:158], v[165:166], v[16:17]
	v_mul_f64_e32 v[16:17], v[167:168], v[16:17]
	v_add_f64_e32 v[8:9], v[155:156], v[177:178]
	v_add_f64_e32 v[155:156], v[169:170], v[175:176]
	v_fma_f64 v[169:170], v[4:5], v[10:11], v[171:172]
	v_fma_f64 v[10:11], v[2:3], v[10:11], -v[12:13]
	v_fma_f64 v[157:158], v[167:168], v[14:15], v[157:158]
	v_fma_f64 v[14:15], v[165:166], v[14:15], -v[16:17]
	v_add_f64_e32 v[12:13], v[8:9], v[6:7]
	v_add_f64_e32 v[155:156], v[155:156], v[159:160]
	ds_load_b128 v[2:5], v1 offset:1616
	ds_load_b128 v[6:9], v1 offset:1632
	s_wait_loadcnt_dscnt 0x601
	v_mul_f64_e32 v[159:160], v[2:3], v[20:21]
	v_mul_f64_e32 v[20:21], v[4:5], v[20:21]
	s_wait_loadcnt_dscnt 0x500
	v_mul_f64_e32 v[16:17], v[6:7], v[24:25]
	v_mul_f64_e32 v[24:25], v[8:9], v[24:25]
	v_add_f64_e32 v[10:11], v[12:13], v[10:11]
	v_add_f64_e32 v[12:13], v[155:156], v[169:170]
	v_fma_f64 v[155:156], v[4:5], v[18:19], v[159:160]
	v_fma_f64 v[18:19], v[2:3], v[18:19], -v[20:21]
	v_fma_f64 v[8:9], v[8:9], v[22:23], v[16:17]
	v_fma_f64 v[6:7], v[6:7], v[22:23], -v[24:25]
	v_add_f64_e32 v[14:15], v[10:11], v[14:15]
	v_add_f64_e32 v[20:21], v[12:13], v[157:158]
	ds_load_b128 v[2:5], v1 offset:1648
	ds_load_b128 v[10:13], v1 offset:1664
	s_wait_loadcnt_dscnt 0x401
	v_mul_f64_e32 v[157:158], v[2:3], v[28:29]
	v_mul_f64_e32 v[28:29], v[4:5], v[28:29]
	v_add_f64_e32 v[14:15], v[14:15], v[18:19]
	v_add_f64_e32 v[16:17], v[20:21], v[155:156]
	s_wait_loadcnt_dscnt 0x300
	v_mul_f64_e32 v[18:19], v[10:11], v[32:33]
	v_mul_f64_e32 v[20:21], v[12:13], v[32:33]
	v_fma_f64 v[22:23], v[4:5], v[26:27], v[157:158]
	v_fma_f64 v[24:25], v[2:3], v[26:27], -v[28:29]
	v_add_f64_e32 v[14:15], v[14:15], v[6:7]
	v_add_f64_e32 v[16:17], v[16:17], v[8:9]
	ds_load_b128 v[2:5], v1 offset:1680
	ds_load_b128 v[6:9], v1 offset:1696
	v_fma_f64 v[12:13], v[12:13], v[30:31], v[18:19]
	v_fma_f64 v[10:11], v[10:11], v[30:31], -v[20:21]
	s_wait_loadcnt_dscnt 0x201
	v_mul_f64_e32 v[26:27], v[2:3], v[36:37]
	v_mul_f64_e32 v[28:29], v[4:5], v[36:37]
	v_add_f64_e32 v[14:15], v[14:15], v[24:25]
	v_add_f64_e32 v[16:17], v[16:17], v[22:23]
	s_wait_loadcnt_dscnt 0x100
	v_mul_f64_e32 v[18:19], v[6:7], v[163:164]
	v_mul_f64_e32 v[20:21], v[8:9], v[163:164]
	v_fma_f64 v[22:23], v[4:5], v[34:35], v[26:27]
	v_fma_f64 v[24:25], v[2:3], v[34:35], -v[28:29]
	ds_load_b128 v[2:5], v1 offset:1712
	v_add_f64_e32 v[10:11], v[14:15], v[10:11]
	v_add_f64_e32 v[12:13], v[16:17], v[12:13]
	s_wait_loadcnt_dscnt 0x0
	v_mul_f64_e32 v[14:15], v[2:3], v[40:41]
	v_mul_f64_e32 v[16:17], v[4:5], v[40:41]
	v_fma_f64 v[8:9], v[8:9], v[161:162], v[18:19]
	v_fma_f64 v[6:7], v[6:7], v[161:162], -v[20:21]
	v_add_f64_e32 v[10:11], v[10:11], v[24:25]
	v_add_f64_e32 v[12:13], v[12:13], v[22:23]
	v_fma_f64 v[4:5], v[4:5], v[38:39], v[14:15]
	v_fma_f64 v[2:3], v[2:3], v[38:39], -v[16:17]
	s_delay_alu instid0(VALU_DEP_4) | instskip(NEXT) | instid1(VALU_DEP_4)
	v_add_f64_e32 v[6:7], v[10:11], v[6:7]
	v_add_f64_e32 v[8:9], v[12:13], v[8:9]
	s_delay_alu instid0(VALU_DEP_2) | instskip(NEXT) | instid1(VALU_DEP_2)
	v_add_f64_e32 v[2:3], v[6:7], v[2:3]
	v_add_f64_e32 v[4:5], v[8:9], v[4:5]
	s_delay_alu instid0(VALU_DEP_2) | instskip(NEXT) | instid1(VALU_DEP_2)
	v_add_f64_e64 v[2:3], v[42:43], -v[2:3]
	v_add_f64_e64 v[4:5], v[44:45], -v[4:5]
	scratch_store_b128 off, v[2:5], off offset:208
	v_cmpx_lt_u32_e32 11, v0
	s_cbranch_execz .LBB53_315
; %bb.314:
	scratch_load_b128 v[5:8], off, s56
	v_dual_mov_b32 v2, v1 :: v_dual_mov_b32 v3, v1
	v_mov_b32_e32 v4, v1
	scratch_store_b128 off, v[1:4], off offset:192
	s_wait_loadcnt 0x0
	ds_store_b128 v154, v[5:8]
.LBB53_315:
	s_wait_alu 0xfffe
	s_or_b32 exec_lo, exec_lo, s0
	s_wait_storecnt_dscnt 0x0
	s_barrier_signal -1
	s_barrier_wait -1
	global_inv scope:SCOPE_SE
	s_clause 0x8
	scratch_load_b128 v[2:5], off, off offset:208
	scratch_load_b128 v[6:9], off, off offset:224
	;; [unrolled: 1-line block ×9, first 2 shown]
	ds_load_b128 v[42:45], v1 offset:1056
	ds_load_b128 v[38:41], v1 offset:1072
	s_clause 0x1
	scratch_load_b128 v[155:158], off, off offset:192
	scratch_load_b128 v[159:162], off, off offset:352
	s_mov_b32 s0, exec_lo
	s_wait_loadcnt_dscnt 0xa01
	v_mul_f64_e32 v[163:164], v[44:45], v[4:5]
	v_mul_f64_e32 v[4:5], v[42:43], v[4:5]
	s_wait_loadcnt_dscnt 0x900
	v_mul_f64_e32 v[167:168], v[38:39], v[8:9]
	v_mul_f64_e32 v[8:9], v[40:41], v[8:9]
	s_delay_alu instid0(VALU_DEP_4) | instskip(NEXT) | instid1(VALU_DEP_4)
	v_fma_f64 v[169:170], v[42:43], v[2:3], -v[163:164]
	v_fma_f64 v[171:172], v[44:45], v[2:3], v[4:5]
	ds_load_b128 v[2:5], v1 offset:1088
	ds_load_b128 v[163:166], v1 offset:1104
	scratch_load_b128 v[42:45], off, off offset:368
	v_fma_f64 v[40:41], v[40:41], v[6:7], v[167:168]
	v_fma_f64 v[38:39], v[38:39], v[6:7], -v[8:9]
	scratch_load_b128 v[6:9], off, off offset:384
	s_wait_loadcnt_dscnt 0xa01
	v_mul_f64_e32 v[173:174], v[2:3], v[12:13]
	v_mul_f64_e32 v[12:13], v[4:5], v[12:13]
	v_add_f64_e32 v[167:168], 0, v[169:170]
	v_add_f64_e32 v[169:170], 0, v[171:172]
	s_wait_loadcnt_dscnt 0x900
	v_mul_f64_e32 v[171:172], v[163:164], v[16:17]
	v_mul_f64_e32 v[16:17], v[165:166], v[16:17]
	v_fma_f64 v[173:174], v[4:5], v[10:11], v[173:174]
	v_fma_f64 v[175:176], v[2:3], v[10:11], -v[12:13]
	ds_load_b128 v[2:5], v1 offset:1120
	scratch_load_b128 v[10:13], off, off offset:400
	v_add_f64_e32 v[167:168], v[167:168], v[38:39]
	v_add_f64_e32 v[169:170], v[169:170], v[40:41]
	ds_load_b128 v[38:41], v1 offset:1136
	v_fma_f64 v[165:166], v[165:166], v[14:15], v[171:172]
	v_fma_f64 v[163:164], v[163:164], v[14:15], -v[16:17]
	scratch_load_b128 v[14:17], off, off offset:416
	s_wait_loadcnt_dscnt 0xa01
	v_mul_f64_e32 v[177:178], v[2:3], v[20:21]
	v_mul_f64_e32 v[20:21], v[4:5], v[20:21]
	s_wait_loadcnt_dscnt 0x900
	v_mul_f64_e32 v[171:172], v[38:39], v[24:25]
	v_mul_f64_e32 v[24:25], v[40:41], v[24:25]
	v_add_f64_e32 v[167:168], v[167:168], v[175:176]
	v_add_f64_e32 v[169:170], v[169:170], v[173:174]
	v_fma_f64 v[173:174], v[4:5], v[18:19], v[177:178]
	v_fma_f64 v[175:176], v[2:3], v[18:19], -v[20:21]
	ds_load_b128 v[2:5], v1 offset:1152
	scratch_load_b128 v[18:21], off, off offset:432
	v_fma_f64 v[40:41], v[40:41], v[22:23], v[171:172]
	v_fma_f64 v[38:39], v[38:39], v[22:23], -v[24:25]
	scratch_load_b128 v[22:25], off, off offset:448
	v_add_f64_e32 v[167:168], v[167:168], v[163:164]
	v_add_f64_e32 v[169:170], v[169:170], v[165:166]
	ds_load_b128 v[163:166], v1 offset:1168
	s_wait_loadcnt_dscnt 0xa01
	v_mul_f64_e32 v[177:178], v[2:3], v[28:29]
	v_mul_f64_e32 v[28:29], v[4:5], v[28:29]
	s_wait_loadcnt_dscnt 0x900
	v_mul_f64_e32 v[171:172], v[163:164], v[32:33]
	v_mul_f64_e32 v[32:33], v[165:166], v[32:33]
	v_add_f64_e32 v[167:168], v[167:168], v[175:176]
	v_add_f64_e32 v[169:170], v[169:170], v[173:174]
	v_fma_f64 v[173:174], v[4:5], v[26:27], v[177:178]
	v_fma_f64 v[175:176], v[2:3], v[26:27], -v[28:29]
	ds_load_b128 v[2:5], v1 offset:1184
	scratch_load_b128 v[26:29], off, off offset:464
	v_fma_f64 v[165:166], v[165:166], v[30:31], v[171:172]
	v_fma_f64 v[163:164], v[163:164], v[30:31], -v[32:33]
	scratch_load_b128 v[30:33], off, off offset:480
	v_add_f64_e32 v[167:168], v[167:168], v[38:39]
	v_add_f64_e32 v[169:170], v[169:170], v[40:41]
	ds_load_b128 v[38:41], v1 offset:1200
	s_wait_loadcnt_dscnt 0xa01
	v_mul_f64_e32 v[177:178], v[2:3], v[36:37]
	v_mul_f64_e32 v[36:37], v[4:5], v[36:37]
	s_wait_loadcnt_dscnt 0x800
	v_mul_f64_e32 v[171:172], v[38:39], v[161:162]
	v_add_f64_e32 v[167:168], v[167:168], v[175:176]
	v_add_f64_e32 v[169:170], v[169:170], v[173:174]
	v_mul_f64_e32 v[173:174], v[40:41], v[161:162]
	v_fma_f64 v[175:176], v[4:5], v[34:35], v[177:178]
	v_fma_f64 v[177:178], v[2:3], v[34:35], -v[36:37]
	ds_load_b128 v[2:5], v1 offset:1216
	scratch_load_b128 v[34:37], off, off offset:496
	v_fma_f64 v[171:172], v[40:41], v[159:160], v[171:172]
	v_add_f64_e32 v[167:168], v[167:168], v[163:164]
	v_add_f64_e32 v[165:166], v[169:170], v[165:166]
	ds_load_b128 v[161:164], v1 offset:1232
	v_fma_f64 v[159:160], v[38:39], v[159:160], -v[173:174]
	scratch_load_b128 v[38:41], off, off offset:512
	s_wait_loadcnt_dscnt 0x901
	v_mul_f64_e32 v[169:170], v[2:3], v[44:45]
	v_mul_f64_e32 v[44:45], v[4:5], v[44:45]
	s_wait_loadcnt_dscnt 0x800
	v_mul_f64_e32 v[173:174], v[161:162], v[8:9]
	v_mul_f64_e32 v[8:9], v[163:164], v[8:9]
	v_add_f64_e32 v[167:168], v[167:168], v[177:178]
	v_add_f64_e32 v[165:166], v[165:166], v[175:176]
	v_fma_f64 v[169:170], v[4:5], v[42:43], v[169:170]
	v_fma_f64 v[175:176], v[2:3], v[42:43], -v[44:45]
	ds_load_b128 v[2:5], v1 offset:1248
	scratch_load_b128 v[42:45], off, off offset:528
	v_fma_f64 v[163:164], v[163:164], v[6:7], v[173:174]
	v_fma_f64 v[161:162], v[161:162], v[6:7], -v[8:9]
	scratch_load_b128 v[6:9], off, off offset:544
	v_add_f64_e32 v[159:160], v[167:168], v[159:160]
	v_add_f64_e32 v[171:172], v[165:166], v[171:172]
	ds_load_b128 v[165:168], v1 offset:1264
	s_wait_loadcnt_dscnt 0x901
	v_mul_f64_e32 v[177:178], v[2:3], v[12:13]
	v_mul_f64_e32 v[12:13], v[4:5], v[12:13]
	v_add_f64_e32 v[159:160], v[159:160], v[175:176]
	v_add_f64_e32 v[169:170], v[171:172], v[169:170]
	s_wait_loadcnt_dscnt 0x800
	v_mul_f64_e32 v[171:172], v[165:166], v[16:17]
	v_mul_f64_e32 v[16:17], v[167:168], v[16:17]
	v_fma_f64 v[173:174], v[4:5], v[10:11], v[177:178]
	v_fma_f64 v[175:176], v[2:3], v[10:11], -v[12:13]
	ds_load_b128 v[2:5], v1 offset:1280
	scratch_load_b128 v[10:13], off, off offset:560
	v_add_f64_e32 v[177:178], v[159:160], v[161:162]
	v_add_f64_e32 v[163:164], v[169:170], v[163:164]
	ds_load_b128 v[159:162], v1 offset:1296
	s_wait_loadcnt_dscnt 0x801
	v_mul_f64_e32 v[169:170], v[2:3], v[20:21]
	v_mul_f64_e32 v[20:21], v[4:5], v[20:21]
	v_fma_f64 v[167:168], v[167:168], v[14:15], v[171:172]
	v_fma_f64 v[165:166], v[165:166], v[14:15], -v[16:17]
	scratch_load_b128 v[14:17], off, off offset:576
	v_add_f64_e32 v[171:172], v[177:178], v[175:176]
	v_add_f64_e32 v[163:164], v[163:164], v[173:174]
	s_wait_loadcnt_dscnt 0x800
	v_mul_f64_e32 v[173:174], v[159:160], v[24:25]
	v_mul_f64_e32 v[24:25], v[161:162], v[24:25]
	v_fma_f64 v[169:170], v[4:5], v[18:19], v[169:170]
	v_fma_f64 v[175:176], v[2:3], v[18:19], -v[20:21]
	ds_load_b128 v[2:5], v1 offset:1312
	scratch_load_b128 v[18:21], off, off offset:592
	v_add_f64_e32 v[171:172], v[171:172], v[165:166]
	v_add_f64_e32 v[167:168], v[163:164], v[167:168]
	ds_load_b128 v[163:166], v1 offset:1328
	s_wait_loadcnt_dscnt 0x801
	v_mul_f64_e32 v[177:178], v[2:3], v[28:29]
	v_mul_f64_e32 v[28:29], v[4:5], v[28:29]
	v_fma_f64 v[161:162], v[161:162], v[22:23], v[173:174]
	v_fma_f64 v[159:160], v[159:160], v[22:23], -v[24:25]
	scratch_load_b128 v[22:25], off, off offset:608
	;; [unrolled: 18-line block ×4, first 2 shown]
	s_wait_loadcnt_dscnt 0x800
	v_mul_f64_e32 v[171:172], v[163:164], v[8:9]
	v_mul_f64_e32 v[8:9], v[165:166], v[8:9]
	v_add_f64_e32 v[169:170], v[169:170], v[175:176]
	v_add_f64_e32 v[167:168], v[167:168], v[173:174]
	v_fma_f64 v[173:174], v[4:5], v[42:43], v[177:178]
	v_fma_f64 v[175:176], v[2:3], v[42:43], -v[44:45]
	ds_load_b128 v[2:5], v1 offset:1408
	scratch_load_b128 v[42:45], off, off offset:688
	v_fma_f64 v[165:166], v[165:166], v[6:7], v[171:172]
	v_fma_f64 v[163:164], v[163:164], v[6:7], -v[8:9]
	scratch_load_b128 v[6:9], off, off offset:704
	v_add_f64_e32 v[169:170], v[169:170], v[159:160]
	v_add_f64_e32 v[167:168], v[167:168], v[161:162]
	ds_load_b128 v[159:162], v1 offset:1424
	s_wait_loadcnt_dscnt 0x901
	v_mul_f64_e32 v[177:178], v[2:3], v[12:13]
	v_mul_f64_e32 v[12:13], v[4:5], v[12:13]
	s_wait_loadcnt_dscnt 0x800
	v_mul_f64_e32 v[171:172], v[159:160], v[16:17]
	v_mul_f64_e32 v[16:17], v[161:162], v[16:17]
	v_add_f64_e32 v[169:170], v[169:170], v[175:176]
	v_add_f64_e32 v[167:168], v[167:168], v[173:174]
	v_fma_f64 v[173:174], v[4:5], v[10:11], v[177:178]
	v_fma_f64 v[175:176], v[2:3], v[10:11], -v[12:13]
	ds_load_b128 v[2:5], v1 offset:1440
	scratch_load_b128 v[10:13], off, off offset:720
	v_fma_f64 v[161:162], v[161:162], v[14:15], v[171:172]
	v_fma_f64 v[159:160], v[159:160], v[14:15], -v[16:17]
	scratch_load_b128 v[14:17], off, off offset:736
	v_add_f64_e32 v[169:170], v[169:170], v[163:164]
	v_add_f64_e32 v[167:168], v[167:168], v[165:166]
	ds_load_b128 v[163:166], v1 offset:1456
	s_wait_loadcnt_dscnt 0x901
	v_mul_f64_e32 v[177:178], v[2:3], v[20:21]
	v_mul_f64_e32 v[20:21], v[4:5], v[20:21]
	;; [unrolled: 18-line block ×6, first 2 shown]
	s_wait_loadcnt_dscnt 0x800
	v_mul_f64_e32 v[171:172], v[163:164], v[16:17]
	v_mul_f64_e32 v[16:17], v[165:166], v[16:17]
	v_add_f64_e32 v[169:170], v[169:170], v[175:176]
	v_add_f64_e32 v[167:168], v[167:168], v[173:174]
	v_fma_f64 v[173:174], v[4:5], v[10:11], v[177:178]
	v_fma_f64 v[175:176], v[2:3], v[10:11], -v[12:13]
	ds_load_b128 v[2:5], v1 offset:1600
	ds_load_b128 v[10:13], v1 offset:1616
	v_fma_f64 v[165:166], v[165:166], v[14:15], v[171:172]
	v_fma_f64 v[14:15], v[163:164], v[14:15], -v[16:17]
	v_add_f64_e32 v[159:160], v[169:170], v[159:160]
	v_add_f64_e32 v[161:162], v[167:168], v[161:162]
	s_wait_loadcnt_dscnt 0x701
	v_mul_f64_e32 v[167:168], v[2:3], v[20:21]
	v_mul_f64_e32 v[20:21], v[4:5], v[20:21]
	s_delay_alu instid0(VALU_DEP_4) | instskip(NEXT) | instid1(VALU_DEP_4)
	v_add_f64_e32 v[16:17], v[159:160], v[175:176]
	v_add_f64_e32 v[159:160], v[161:162], v[173:174]
	s_wait_loadcnt_dscnt 0x600
	v_mul_f64_e32 v[161:162], v[10:11], v[24:25]
	v_mul_f64_e32 v[24:25], v[12:13], v[24:25]
	v_fma_f64 v[163:164], v[4:5], v[18:19], v[167:168]
	v_fma_f64 v[18:19], v[2:3], v[18:19], -v[20:21]
	v_add_f64_e32 v[20:21], v[16:17], v[14:15]
	v_add_f64_e32 v[159:160], v[159:160], v[165:166]
	ds_load_b128 v[2:5], v1 offset:1632
	ds_load_b128 v[14:17], v1 offset:1648
	v_fma_f64 v[12:13], v[12:13], v[22:23], v[161:162]
	v_fma_f64 v[10:11], v[10:11], v[22:23], -v[24:25]
	s_wait_loadcnt_dscnt 0x501
	v_mul_f64_e32 v[165:166], v[2:3], v[28:29]
	v_mul_f64_e32 v[28:29], v[4:5], v[28:29]
	s_wait_loadcnt_dscnt 0x400
	v_mul_f64_e32 v[22:23], v[14:15], v[32:33]
	v_mul_f64_e32 v[24:25], v[16:17], v[32:33]
	v_add_f64_e32 v[18:19], v[20:21], v[18:19]
	v_add_f64_e32 v[20:21], v[159:160], v[163:164]
	v_fma_f64 v[32:33], v[4:5], v[26:27], v[165:166]
	v_fma_f64 v[26:27], v[2:3], v[26:27], -v[28:29]
	v_fma_f64 v[16:17], v[16:17], v[30:31], v[22:23]
	v_fma_f64 v[14:15], v[14:15], v[30:31], -v[24:25]
	v_add_f64_e32 v[18:19], v[18:19], v[10:11]
	v_add_f64_e32 v[20:21], v[20:21], v[12:13]
	ds_load_b128 v[2:5], v1 offset:1664
	ds_load_b128 v[10:13], v1 offset:1680
	s_wait_loadcnt_dscnt 0x301
	v_mul_f64_e32 v[28:29], v[2:3], v[36:37]
	v_mul_f64_e32 v[36:37], v[4:5], v[36:37]
	s_wait_loadcnt_dscnt 0x200
	v_mul_f64_e32 v[22:23], v[10:11], v[40:41]
	v_mul_f64_e32 v[24:25], v[12:13], v[40:41]
	v_add_f64_e32 v[18:19], v[18:19], v[26:27]
	v_add_f64_e32 v[20:21], v[20:21], v[32:33]
	v_fma_f64 v[26:27], v[4:5], v[34:35], v[28:29]
	v_fma_f64 v[28:29], v[2:3], v[34:35], -v[36:37]
	v_fma_f64 v[12:13], v[12:13], v[38:39], v[22:23]
	v_fma_f64 v[10:11], v[10:11], v[38:39], -v[24:25]
	v_add_f64_e32 v[18:19], v[18:19], v[14:15]
	v_add_f64_e32 v[20:21], v[20:21], v[16:17]
	ds_load_b128 v[2:5], v1 offset:1696
	ds_load_b128 v[14:17], v1 offset:1712
	s_wait_loadcnt_dscnt 0x101
	v_mul_f64_e32 v[30:31], v[2:3], v[44:45]
	v_mul_f64_e32 v[32:33], v[4:5], v[44:45]
	s_wait_loadcnt_dscnt 0x0
	v_mul_f64_e32 v[22:23], v[14:15], v[8:9]
	v_mul_f64_e32 v[8:9], v[16:17], v[8:9]
	v_add_f64_e32 v[18:19], v[18:19], v[28:29]
	v_add_f64_e32 v[20:21], v[20:21], v[26:27]
	v_fma_f64 v[4:5], v[4:5], v[42:43], v[30:31]
	v_fma_f64 v[1:2], v[2:3], v[42:43], -v[32:33]
	v_fma_f64 v[16:17], v[16:17], v[6:7], v[22:23]
	v_fma_f64 v[6:7], v[14:15], v[6:7], -v[8:9]
	v_add_f64_e32 v[10:11], v[18:19], v[10:11]
	v_add_f64_e32 v[12:13], v[20:21], v[12:13]
	s_delay_alu instid0(VALU_DEP_2) | instskip(NEXT) | instid1(VALU_DEP_2)
	v_add_f64_e32 v[1:2], v[10:11], v[1:2]
	v_add_f64_e32 v[3:4], v[12:13], v[4:5]
	s_delay_alu instid0(VALU_DEP_2) | instskip(NEXT) | instid1(VALU_DEP_2)
	;; [unrolled: 3-line block ×3, first 2 shown]
	v_add_f64_e64 v[1:2], v[155:156], -v[1:2]
	v_add_f64_e64 v[3:4], v[157:158], -v[3:4]
	scratch_store_b128 off, v[1:4], off offset:192
	v_cmpx_lt_u32_e32 10, v0
	s_cbranch_execz .LBB53_317
; %bb.316:
	scratch_load_b128 v[1:4], off, s57
	v_mov_b32_e32 v5, 0
	s_delay_alu instid0(VALU_DEP_1)
	v_dual_mov_b32 v6, v5 :: v_dual_mov_b32 v7, v5
	v_mov_b32_e32 v8, v5
	scratch_store_b128 off, v[5:8], off offset:176
	s_wait_loadcnt 0x0
	ds_store_b128 v154, v[1:4]
.LBB53_317:
	s_wait_alu 0xfffe
	s_or_b32 exec_lo, exec_lo, s0
	s_wait_storecnt_dscnt 0x0
	s_barrier_signal -1
	s_barrier_wait -1
	global_inv scope:SCOPE_SE
	s_clause 0x7
	scratch_load_b128 v[2:5], off, off offset:192
	scratch_load_b128 v[6:9], off, off offset:208
	;; [unrolled: 1-line block ×8, first 2 shown]
	v_mov_b32_e32 v1, 0
	s_mov_b32 s0, exec_lo
	ds_load_b128 v[38:41], v1 offset:1040
	s_clause 0x1
	scratch_load_b128 v[34:37], off, off offset:320
	scratch_load_b128 v[42:45], off, off offset:176
	ds_load_b128 v[155:158], v1 offset:1056
	scratch_load_b128 v[159:162], off, off offset:336
	s_wait_loadcnt_dscnt 0xa01
	v_mul_f64_e32 v[163:164], v[40:41], v[4:5]
	v_mul_f64_e32 v[4:5], v[38:39], v[4:5]
	s_delay_alu instid0(VALU_DEP_2) | instskip(NEXT) | instid1(VALU_DEP_2)
	v_fma_f64 v[169:170], v[38:39], v[2:3], -v[163:164]
	v_fma_f64 v[171:172], v[40:41], v[2:3], v[4:5]
	ds_load_b128 v[2:5], v1 offset:1072
	s_wait_loadcnt_dscnt 0x901
	v_mul_f64_e32 v[167:168], v[155:156], v[8:9]
	v_mul_f64_e32 v[8:9], v[157:158], v[8:9]
	scratch_load_b128 v[38:41], off, off offset:352
	ds_load_b128 v[163:166], v1 offset:1088
	s_wait_loadcnt_dscnt 0x901
	v_mul_f64_e32 v[173:174], v[2:3], v[12:13]
	v_mul_f64_e32 v[12:13], v[4:5], v[12:13]
	v_fma_f64 v[157:158], v[157:158], v[6:7], v[167:168]
	v_fma_f64 v[155:156], v[155:156], v[6:7], -v[8:9]
	v_add_f64_e32 v[167:168], 0, v[169:170]
	v_add_f64_e32 v[169:170], 0, v[171:172]
	scratch_load_b128 v[6:9], off, off offset:368
	v_fma_f64 v[173:174], v[4:5], v[10:11], v[173:174]
	v_fma_f64 v[175:176], v[2:3], v[10:11], -v[12:13]
	ds_load_b128 v[2:5], v1 offset:1104
	s_wait_loadcnt_dscnt 0x901
	v_mul_f64_e32 v[171:172], v[163:164], v[16:17]
	v_mul_f64_e32 v[16:17], v[165:166], v[16:17]
	scratch_load_b128 v[10:13], off, off offset:384
	v_add_f64_e32 v[167:168], v[167:168], v[155:156]
	v_add_f64_e32 v[169:170], v[169:170], v[157:158]
	s_wait_loadcnt_dscnt 0x900
	v_mul_f64_e32 v[177:178], v[2:3], v[20:21]
	v_mul_f64_e32 v[20:21], v[4:5], v[20:21]
	ds_load_b128 v[155:158], v1 offset:1120
	v_fma_f64 v[165:166], v[165:166], v[14:15], v[171:172]
	v_fma_f64 v[163:164], v[163:164], v[14:15], -v[16:17]
	scratch_load_b128 v[14:17], off, off offset:400
	v_add_f64_e32 v[167:168], v[167:168], v[175:176]
	v_add_f64_e32 v[169:170], v[169:170], v[173:174]
	v_fma_f64 v[173:174], v[4:5], v[18:19], v[177:178]
	v_fma_f64 v[175:176], v[2:3], v[18:19], -v[20:21]
	ds_load_b128 v[2:5], v1 offset:1136
	s_wait_loadcnt_dscnt 0x901
	v_mul_f64_e32 v[171:172], v[155:156], v[24:25]
	v_mul_f64_e32 v[24:25], v[157:158], v[24:25]
	scratch_load_b128 v[18:21], off, off offset:416
	s_wait_loadcnt_dscnt 0x900
	v_mul_f64_e32 v[177:178], v[2:3], v[28:29]
	v_mul_f64_e32 v[28:29], v[4:5], v[28:29]
	v_add_f64_e32 v[167:168], v[167:168], v[163:164]
	v_add_f64_e32 v[169:170], v[169:170], v[165:166]
	ds_load_b128 v[163:166], v1 offset:1152
	v_fma_f64 v[157:158], v[157:158], v[22:23], v[171:172]
	v_fma_f64 v[155:156], v[155:156], v[22:23], -v[24:25]
	scratch_load_b128 v[22:25], off, off offset:432
	v_add_f64_e32 v[167:168], v[167:168], v[175:176]
	v_add_f64_e32 v[169:170], v[169:170], v[173:174]
	v_fma_f64 v[173:174], v[4:5], v[26:27], v[177:178]
	v_fma_f64 v[175:176], v[2:3], v[26:27], -v[28:29]
	ds_load_b128 v[2:5], v1 offset:1168
	s_wait_loadcnt_dscnt 0x901
	v_mul_f64_e32 v[171:172], v[163:164], v[32:33]
	v_mul_f64_e32 v[32:33], v[165:166], v[32:33]
	scratch_load_b128 v[26:29], off, off offset:448
	s_wait_loadcnt_dscnt 0x900
	v_mul_f64_e32 v[177:178], v[2:3], v[36:37]
	v_mul_f64_e32 v[36:37], v[4:5], v[36:37]
	v_add_f64_e32 v[167:168], v[167:168], v[155:156]
	v_add_f64_e32 v[169:170], v[169:170], v[157:158]
	ds_load_b128 v[155:158], v1 offset:1184
	v_fma_f64 v[165:166], v[165:166], v[30:31], v[171:172]
	v_fma_f64 v[163:164], v[163:164], v[30:31], -v[32:33]
	scratch_load_b128 v[30:33], off, off offset:464
	v_add_f64_e32 v[167:168], v[167:168], v[175:176]
	v_add_f64_e32 v[169:170], v[169:170], v[173:174]
	v_fma_f64 v[175:176], v[4:5], v[34:35], v[177:178]
	v_fma_f64 v[177:178], v[2:3], v[34:35], -v[36:37]
	ds_load_b128 v[2:5], v1 offset:1200
	s_wait_loadcnt_dscnt 0x801
	v_mul_f64_e32 v[171:172], v[155:156], v[161:162]
	v_mul_f64_e32 v[173:174], v[157:158], v[161:162]
	scratch_load_b128 v[34:37], off, off offset:480
	v_add_f64_e32 v[167:168], v[167:168], v[163:164]
	v_add_f64_e32 v[165:166], v[169:170], v[165:166]
	ds_load_b128 v[161:164], v1 offset:1216
	v_fma_f64 v[171:172], v[157:158], v[159:160], v[171:172]
	v_fma_f64 v[159:160], v[155:156], v[159:160], -v[173:174]
	scratch_load_b128 v[155:158], off, off offset:496
	s_wait_loadcnt_dscnt 0x901
	v_mul_f64_e32 v[169:170], v[2:3], v[40:41]
	v_mul_f64_e32 v[40:41], v[4:5], v[40:41]
	v_add_f64_e32 v[167:168], v[167:168], v[177:178]
	v_add_f64_e32 v[165:166], v[165:166], v[175:176]
	s_delay_alu instid0(VALU_DEP_4) | instskip(NEXT) | instid1(VALU_DEP_4)
	v_fma_f64 v[169:170], v[4:5], v[38:39], v[169:170]
	v_fma_f64 v[175:176], v[2:3], v[38:39], -v[40:41]
	ds_load_b128 v[2:5], v1 offset:1232
	s_wait_loadcnt_dscnt 0x801
	v_mul_f64_e32 v[173:174], v[161:162], v[8:9]
	v_mul_f64_e32 v[8:9], v[163:164], v[8:9]
	scratch_load_b128 v[38:41], off, off offset:512
	s_wait_loadcnt_dscnt 0x800
	v_mul_f64_e32 v[177:178], v[2:3], v[12:13]
	v_add_f64_e32 v[159:160], v[167:168], v[159:160]
	v_add_f64_e32 v[171:172], v[165:166], v[171:172]
	v_mul_f64_e32 v[12:13], v[4:5], v[12:13]
	ds_load_b128 v[165:168], v1 offset:1248
	v_fma_f64 v[163:164], v[163:164], v[6:7], v[173:174]
	v_fma_f64 v[161:162], v[161:162], v[6:7], -v[8:9]
	scratch_load_b128 v[6:9], off, off offset:528
	v_fma_f64 v[173:174], v[4:5], v[10:11], v[177:178]
	v_add_f64_e32 v[159:160], v[159:160], v[175:176]
	v_add_f64_e32 v[169:170], v[171:172], v[169:170]
	v_fma_f64 v[175:176], v[2:3], v[10:11], -v[12:13]
	ds_load_b128 v[2:5], v1 offset:1264
	s_wait_loadcnt_dscnt 0x801
	v_mul_f64_e32 v[171:172], v[165:166], v[16:17]
	v_mul_f64_e32 v[16:17], v[167:168], v[16:17]
	scratch_load_b128 v[10:13], off, off offset:544
	v_add_f64_e32 v[177:178], v[159:160], v[161:162]
	v_add_f64_e32 v[163:164], v[169:170], v[163:164]
	s_wait_loadcnt_dscnt 0x800
	v_mul_f64_e32 v[169:170], v[2:3], v[20:21]
	v_mul_f64_e32 v[20:21], v[4:5], v[20:21]
	v_fma_f64 v[167:168], v[167:168], v[14:15], v[171:172]
	v_fma_f64 v[165:166], v[165:166], v[14:15], -v[16:17]
	ds_load_b128 v[159:162], v1 offset:1280
	scratch_load_b128 v[14:17], off, off offset:560
	v_add_f64_e32 v[171:172], v[177:178], v[175:176]
	v_add_f64_e32 v[163:164], v[163:164], v[173:174]
	v_fma_f64 v[169:170], v[4:5], v[18:19], v[169:170]
	v_fma_f64 v[175:176], v[2:3], v[18:19], -v[20:21]
	ds_load_b128 v[2:5], v1 offset:1296
	s_wait_loadcnt_dscnt 0x801
	v_mul_f64_e32 v[173:174], v[159:160], v[24:25]
	v_mul_f64_e32 v[24:25], v[161:162], v[24:25]
	scratch_load_b128 v[18:21], off, off offset:576
	s_wait_loadcnt_dscnt 0x800
	v_mul_f64_e32 v[177:178], v[2:3], v[28:29]
	v_mul_f64_e32 v[28:29], v[4:5], v[28:29]
	v_add_f64_e32 v[171:172], v[171:172], v[165:166]
	v_add_f64_e32 v[167:168], v[163:164], v[167:168]
	ds_load_b128 v[163:166], v1 offset:1312
	v_fma_f64 v[161:162], v[161:162], v[22:23], v[173:174]
	v_fma_f64 v[159:160], v[159:160], v[22:23], -v[24:25]
	scratch_load_b128 v[22:25], off, off offset:592
	v_fma_f64 v[173:174], v[4:5], v[26:27], v[177:178]
	v_add_f64_e32 v[171:172], v[171:172], v[175:176]
	v_add_f64_e32 v[167:168], v[167:168], v[169:170]
	v_fma_f64 v[175:176], v[2:3], v[26:27], -v[28:29]
	ds_load_b128 v[2:5], v1 offset:1328
	s_wait_loadcnt_dscnt 0x801
	v_mul_f64_e32 v[169:170], v[163:164], v[32:33]
	v_mul_f64_e32 v[32:33], v[165:166], v[32:33]
	scratch_load_b128 v[26:29], off, off offset:608
	s_wait_loadcnt_dscnt 0x800
	v_mul_f64_e32 v[177:178], v[2:3], v[36:37]
	v_mul_f64_e32 v[36:37], v[4:5], v[36:37]
	v_add_f64_e32 v[171:172], v[171:172], v[159:160]
	v_add_f64_e32 v[167:168], v[167:168], v[161:162]
	ds_load_b128 v[159:162], v1 offset:1344
	v_fma_f64 v[165:166], v[165:166], v[30:31], v[169:170]
	v_fma_f64 v[163:164], v[163:164], v[30:31], -v[32:33]
	scratch_load_b128 v[30:33], off, off offset:624
	v_add_f64_e32 v[169:170], v[171:172], v[175:176]
	v_add_f64_e32 v[167:168], v[167:168], v[173:174]
	v_fma_f64 v[173:174], v[4:5], v[34:35], v[177:178]
	v_fma_f64 v[175:176], v[2:3], v[34:35], -v[36:37]
	ds_load_b128 v[2:5], v1 offset:1360
	s_wait_loadcnt_dscnt 0x801
	v_mul_f64_e32 v[171:172], v[159:160], v[157:158]
	v_mul_f64_e32 v[157:158], v[161:162], v[157:158]
	scratch_load_b128 v[34:37], off, off offset:640
	s_wait_loadcnt_dscnt 0x800
	v_mul_f64_e32 v[177:178], v[2:3], v[40:41]
	v_mul_f64_e32 v[40:41], v[4:5], v[40:41]
	v_add_f64_e32 v[169:170], v[169:170], v[163:164]
	v_add_f64_e32 v[167:168], v[167:168], v[165:166]
	ds_load_b128 v[163:166], v1 offset:1376
	v_fma_f64 v[161:162], v[161:162], v[155:156], v[171:172]
	v_fma_f64 v[159:160], v[159:160], v[155:156], -v[157:158]
	scratch_load_b128 v[155:158], off, off offset:656
	v_add_f64_e32 v[169:170], v[169:170], v[175:176]
	v_add_f64_e32 v[167:168], v[167:168], v[173:174]
	v_fma_f64 v[173:174], v[4:5], v[38:39], v[177:178]
	;; [unrolled: 18-line block ×6, first 2 shown]
	v_fma_f64 v[177:178], v[2:3], v[34:35], -v[36:37]
	ds_load_b128 v[2:5], v1 offset:1520
	s_wait_loadcnt_dscnt 0x801
	v_mul_f64_e32 v[171:172], v[163:164], v[157:158]
	v_mul_f64_e32 v[173:174], v[165:166], v[157:158]
	scratch_load_b128 v[34:37], off, off offset:800
	v_add_f64_e32 v[169:170], v[169:170], v[159:160]
	v_add_f64_e32 v[161:162], v[167:168], v[161:162]
	s_wait_loadcnt_dscnt 0x800
	v_mul_f64_e32 v[167:168], v[2:3], v[40:41]
	v_mul_f64_e32 v[40:41], v[4:5], v[40:41]
	ds_load_b128 v[157:160], v1 offset:1536
	v_fma_f64 v[165:166], v[165:166], v[155:156], v[171:172]
	v_fma_f64 v[155:156], v[163:164], v[155:156], -v[173:174]
	v_add_f64_e32 v[169:170], v[169:170], v[177:178]
	v_add_f64_e32 v[171:172], v[161:162], v[175:176]
	scratch_load_b128 v[161:164], off, off offset:816
	v_fma_f64 v[175:176], v[4:5], v[38:39], v[167:168]
	v_fma_f64 v[177:178], v[2:3], v[38:39], -v[40:41]
	ds_load_b128 v[2:5], v1 offset:1552
	s_wait_loadcnt_dscnt 0x801
	v_mul_f64_e32 v[173:174], v[157:158], v[8:9]
	v_mul_f64_e32 v[8:9], v[159:160], v[8:9]
	scratch_load_b128 v[38:41], off, off offset:832
	v_add_f64_e32 v[155:156], v[169:170], v[155:156]
	v_add_f64_e32 v[169:170], v[171:172], v[165:166]
	s_wait_loadcnt_dscnt 0x800
	v_mul_f64_e32 v[171:172], v[2:3], v[12:13]
	v_mul_f64_e32 v[12:13], v[4:5], v[12:13]
	ds_load_b128 v[165:168], v1 offset:1568
	v_fma_f64 v[159:160], v[159:160], v[6:7], v[173:174]
	v_fma_f64 v[157:158], v[157:158], v[6:7], -v[8:9]
	scratch_load_b128 v[6:9], off, off offset:848
	v_add_f64_e32 v[155:156], v[155:156], v[177:178]
	v_add_f64_e32 v[169:170], v[169:170], v[175:176]
	v_fma_f64 v[171:172], v[4:5], v[10:11], v[171:172]
	v_fma_f64 v[175:176], v[2:3], v[10:11], -v[12:13]
	ds_load_b128 v[2:5], v1 offset:1584
	s_wait_loadcnt_dscnt 0x801
	v_mul_f64_e32 v[173:174], v[165:166], v[16:17]
	v_mul_f64_e32 v[16:17], v[167:168], v[16:17]
	scratch_load_b128 v[10:13], off, off offset:864
	v_add_f64_e32 v[177:178], v[155:156], v[157:158]
	v_add_f64_e32 v[159:160], v[169:170], v[159:160]
	s_wait_loadcnt_dscnt 0x800
	v_mul_f64_e32 v[169:170], v[2:3], v[20:21]
	v_mul_f64_e32 v[20:21], v[4:5], v[20:21]
	ds_load_b128 v[155:158], v1 offset:1600
	v_fma_f64 v[167:168], v[167:168], v[14:15], v[173:174]
	v_fma_f64 v[14:15], v[165:166], v[14:15], -v[16:17]
	s_wait_loadcnt_dscnt 0x700
	v_mul_f64_e32 v[165:166], v[155:156], v[24:25]
	v_mul_f64_e32 v[24:25], v[157:158], v[24:25]
	v_add_f64_e32 v[16:17], v[177:178], v[175:176]
	v_add_f64_e32 v[159:160], v[159:160], v[171:172]
	v_fma_f64 v[169:170], v[4:5], v[18:19], v[169:170]
	v_fma_f64 v[18:19], v[2:3], v[18:19], -v[20:21]
	v_fma_f64 v[157:158], v[157:158], v[22:23], v[165:166]
	v_fma_f64 v[22:23], v[155:156], v[22:23], -v[24:25]
	v_add_f64_e32 v[20:21], v[16:17], v[14:15]
	v_add_f64_e32 v[159:160], v[159:160], v[167:168]
	ds_load_b128 v[2:5], v1 offset:1616
	ds_load_b128 v[14:17], v1 offset:1632
	s_wait_loadcnt_dscnt 0x601
	v_mul_f64_e32 v[167:168], v[2:3], v[28:29]
	v_mul_f64_e32 v[28:29], v[4:5], v[28:29]
	s_wait_loadcnt_dscnt 0x500
	v_mul_f64_e32 v[24:25], v[14:15], v[32:33]
	v_mul_f64_e32 v[32:33], v[16:17], v[32:33]
	v_add_f64_e32 v[18:19], v[20:21], v[18:19]
	v_add_f64_e32 v[20:21], v[159:160], v[169:170]
	v_fma_f64 v[155:156], v[4:5], v[26:27], v[167:168]
	v_fma_f64 v[26:27], v[2:3], v[26:27], -v[28:29]
	v_fma_f64 v[16:17], v[16:17], v[30:31], v[24:25]
	v_fma_f64 v[14:15], v[14:15], v[30:31], -v[32:33]
	v_add_f64_e32 v[22:23], v[18:19], v[22:23]
	v_add_f64_e32 v[28:29], v[20:21], v[157:158]
	ds_load_b128 v[2:5], v1 offset:1648
	ds_load_b128 v[18:21], v1 offset:1664
	s_wait_loadcnt_dscnt 0x401
	v_mul_f64_e32 v[157:158], v[2:3], v[36:37]
	v_mul_f64_e32 v[36:37], v[4:5], v[36:37]
	v_add_f64_e32 v[22:23], v[22:23], v[26:27]
	v_add_f64_e32 v[24:25], v[28:29], v[155:156]
	s_wait_loadcnt_dscnt 0x300
	v_mul_f64_e32 v[26:27], v[18:19], v[163:164]
	v_mul_f64_e32 v[28:29], v[20:21], v[163:164]
	v_fma_f64 v[30:31], v[4:5], v[34:35], v[157:158]
	v_fma_f64 v[32:33], v[2:3], v[34:35], -v[36:37]
	v_add_f64_e32 v[22:23], v[22:23], v[14:15]
	v_add_f64_e32 v[24:25], v[24:25], v[16:17]
	ds_load_b128 v[2:5], v1 offset:1680
	ds_load_b128 v[14:17], v1 offset:1696
	v_fma_f64 v[20:21], v[20:21], v[161:162], v[26:27]
	v_fma_f64 v[18:19], v[18:19], v[161:162], -v[28:29]
	s_wait_loadcnt_dscnt 0x201
	v_mul_f64_e32 v[34:35], v[2:3], v[40:41]
	v_mul_f64_e32 v[36:37], v[4:5], v[40:41]
	s_wait_loadcnt_dscnt 0x100
	v_mul_f64_e32 v[26:27], v[14:15], v[8:9]
	v_mul_f64_e32 v[8:9], v[16:17], v[8:9]
	v_add_f64_e32 v[22:23], v[22:23], v[32:33]
	v_add_f64_e32 v[24:25], v[24:25], v[30:31]
	v_fma_f64 v[28:29], v[4:5], v[38:39], v[34:35]
	v_fma_f64 v[30:31], v[2:3], v[38:39], -v[36:37]
	ds_load_b128 v[2:5], v1 offset:1712
	v_fma_f64 v[16:17], v[16:17], v[6:7], v[26:27]
	v_fma_f64 v[6:7], v[14:15], v[6:7], -v[8:9]
	v_add_f64_e32 v[18:19], v[22:23], v[18:19]
	v_add_f64_e32 v[20:21], v[24:25], v[20:21]
	s_wait_loadcnt_dscnt 0x0
	v_mul_f64_e32 v[22:23], v[2:3], v[12:13]
	v_mul_f64_e32 v[12:13], v[4:5], v[12:13]
	s_delay_alu instid0(VALU_DEP_4) | instskip(NEXT) | instid1(VALU_DEP_4)
	v_add_f64_e32 v[8:9], v[18:19], v[30:31]
	v_add_f64_e32 v[14:15], v[20:21], v[28:29]
	s_delay_alu instid0(VALU_DEP_4) | instskip(NEXT) | instid1(VALU_DEP_4)
	v_fma_f64 v[4:5], v[4:5], v[10:11], v[22:23]
	v_fma_f64 v[2:3], v[2:3], v[10:11], -v[12:13]
	s_delay_alu instid0(VALU_DEP_4) | instskip(NEXT) | instid1(VALU_DEP_4)
	v_add_f64_e32 v[6:7], v[8:9], v[6:7]
	v_add_f64_e32 v[8:9], v[14:15], v[16:17]
	s_delay_alu instid0(VALU_DEP_2) | instskip(NEXT) | instid1(VALU_DEP_2)
	v_add_f64_e32 v[2:3], v[6:7], v[2:3]
	v_add_f64_e32 v[4:5], v[8:9], v[4:5]
	s_delay_alu instid0(VALU_DEP_2) | instskip(NEXT) | instid1(VALU_DEP_2)
	v_add_f64_e64 v[2:3], v[42:43], -v[2:3]
	v_add_f64_e64 v[4:5], v[44:45], -v[4:5]
	scratch_store_b128 off, v[2:5], off offset:176
	v_cmpx_lt_u32_e32 9, v0
	s_cbranch_execz .LBB53_319
; %bb.318:
	scratch_load_b128 v[5:8], off, s58
	v_dual_mov_b32 v2, v1 :: v_dual_mov_b32 v3, v1
	v_mov_b32_e32 v4, v1
	scratch_store_b128 off, v[1:4], off offset:160
	s_wait_loadcnt 0x0
	ds_store_b128 v154, v[5:8]
.LBB53_319:
	s_wait_alu 0xfffe
	s_or_b32 exec_lo, exec_lo, s0
	s_wait_storecnt_dscnt 0x0
	s_barrier_signal -1
	s_barrier_wait -1
	global_inv scope:SCOPE_SE
	s_clause 0x8
	scratch_load_b128 v[2:5], off, off offset:176
	scratch_load_b128 v[6:9], off, off offset:192
	;; [unrolled: 1-line block ×9, first 2 shown]
	ds_load_b128 v[42:45], v1 offset:1024
	ds_load_b128 v[38:41], v1 offset:1040
	s_clause 0x1
	scratch_load_b128 v[155:158], off, off offset:160
	scratch_load_b128 v[159:162], off, off offset:320
	s_mov_b32 s0, exec_lo
	s_wait_loadcnt_dscnt 0xa01
	v_mul_f64_e32 v[163:164], v[44:45], v[4:5]
	v_mul_f64_e32 v[4:5], v[42:43], v[4:5]
	s_wait_loadcnt_dscnt 0x900
	v_mul_f64_e32 v[167:168], v[38:39], v[8:9]
	v_mul_f64_e32 v[8:9], v[40:41], v[8:9]
	s_delay_alu instid0(VALU_DEP_4) | instskip(NEXT) | instid1(VALU_DEP_4)
	v_fma_f64 v[169:170], v[42:43], v[2:3], -v[163:164]
	v_fma_f64 v[171:172], v[44:45], v[2:3], v[4:5]
	ds_load_b128 v[2:5], v1 offset:1056
	ds_load_b128 v[163:166], v1 offset:1072
	scratch_load_b128 v[42:45], off, off offset:336
	v_fma_f64 v[40:41], v[40:41], v[6:7], v[167:168]
	v_fma_f64 v[38:39], v[38:39], v[6:7], -v[8:9]
	scratch_load_b128 v[6:9], off, off offset:352
	s_wait_loadcnt_dscnt 0xa01
	v_mul_f64_e32 v[173:174], v[2:3], v[12:13]
	v_mul_f64_e32 v[12:13], v[4:5], v[12:13]
	v_add_f64_e32 v[167:168], 0, v[169:170]
	v_add_f64_e32 v[169:170], 0, v[171:172]
	s_wait_loadcnt_dscnt 0x900
	v_mul_f64_e32 v[171:172], v[163:164], v[16:17]
	v_mul_f64_e32 v[16:17], v[165:166], v[16:17]
	v_fma_f64 v[173:174], v[4:5], v[10:11], v[173:174]
	v_fma_f64 v[175:176], v[2:3], v[10:11], -v[12:13]
	ds_load_b128 v[2:5], v1 offset:1088
	scratch_load_b128 v[10:13], off, off offset:368
	v_add_f64_e32 v[167:168], v[167:168], v[38:39]
	v_add_f64_e32 v[169:170], v[169:170], v[40:41]
	ds_load_b128 v[38:41], v1 offset:1104
	v_fma_f64 v[165:166], v[165:166], v[14:15], v[171:172]
	v_fma_f64 v[163:164], v[163:164], v[14:15], -v[16:17]
	scratch_load_b128 v[14:17], off, off offset:384
	s_wait_loadcnt_dscnt 0xa01
	v_mul_f64_e32 v[177:178], v[2:3], v[20:21]
	v_mul_f64_e32 v[20:21], v[4:5], v[20:21]
	s_wait_loadcnt_dscnt 0x900
	v_mul_f64_e32 v[171:172], v[38:39], v[24:25]
	v_mul_f64_e32 v[24:25], v[40:41], v[24:25]
	v_add_f64_e32 v[167:168], v[167:168], v[175:176]
	v_add_f64_e32 v[169:170], v[169:170], v[173:174]
	v_fma_f64 v[173:174], v[4:5], v[18:19], v[177:178]
	v_fma_f64 v[175:176], v[2:3], v[18:19], -v[20:21]
	ds_load_b128 v[2:5], v1 offset:1120
	scratch_load_b128 v[18:21], off, off offset:400
	v_fma_f64 v[40:41], v[40:41], v[22:23], v[171:172]
	v_fma_f64 v[38:39], v[38:39], v[22:23], -v[24:25]
	scratch_load_b128 v[22:25], off, off offset:416
	v_add_f64_e32 v[167:168], v[167:168], v[163:164]
	v_add_f64_e32 v[169:170], v[169:170], v[165:166]
	ds_load_b128 v[163:166], v1 offset:1136
	s_wait_loadcnt_dscnt 0xa01
	v_mul_f64_e32 v[177:178], v[2:3], v[28:29]
	v_mul_f64_e32 v[28:29], v[4:5], v[28:29]
	s_wait_loadcnt_dscnt 0x900
	v_mul_f64_e32 v[171:172], v[163:164], v[32:33]
	v_mul_f64_e32 v[32:33], v[165:166], v[32:33]
	v_add_f64_e32 v[167:168], v[167:168], v[175:176]
	v_add_f64_e32 v[169:170], v[169:170], v[173:174]
	v_fma_f64 v[173:174], v[4:5], v[26:27], v[177:178]
	v_fma_f64 v[175:176], v[2:3], v[26:27], -v[28:29]
	ds_load_b128 v[2:5], v1 offset:1152
	scratch_load_b128 v[26:29], off, off offset:432
	v_fma_f64 v[165:166], v[165:166], v[30:31], v[171:172]
	v_fma_f64 v[163:164], v[163:164], v[30:31], -v[32:33]
	scratch_load_b128 v[30:33], off, off offset:448
	v_add_f64_e32 v[167:168], v[167:168], v[38:39]
	v_add_f64_e32 v[169:170], v[169:170], v[40:41]
	ds_load_b128 v[38:41], v1 offset:1168
	s_wait_loadcnt_dscnt 0xa01
	v_mul_f64_e32 v[177:178], v[2:3], v[36:37]
	v_mul_f64_e32 v[36:37], v[4:5], v[36:37]
	s_wait_loadcnt_dscnt 0x800
	v_mul_f64_e32 v[171:172], v[38:39], v[161:162]
	v_add_f64_e32 v[167:168], v[167:168], v[175:176]
	v_add_f64_e32 v[169:170], v[169:170], v[173:174]
	v_mul_f64_e32 v[173:174], v[40:41], v[161:162]
	v_fma_f64 v[175:176], v[4:5], v[34:35], v[177:178]
	v_fma_f64 v[177:178], v[2:3], v[34:35], -v[36:37]
	ds_load_b128 v[2:5], v1 offset:1184
	scratch_load_b128 v[34:37], off, off offset:464
	v_fma_f64 v[171:172], v[40:41], v[159:160], v[171:172]
	v_add_f64_e32 v[167:168], v[167:168], v[163:164]
	v_add_f64_e32 v[165:166], v[169:170], v[165:166]
	ds_load_b128 v[161:164], v1 offset:1200
	v_fma_f64 v[159:160], v[38:39], v[159:160], -v[173:174]
	scratch_load_b128 v[38:41], off, off offset:480
	s_wait_loadcnt_dscnt 0x901
	v_mul_f64_e32 v[169:170], v[2:3], v[44:45]
	v_mul_f64_e32 v[44:45], v[4:5], v[44:45]
	s_wait_loadcnt_dscnt 0x800
	v_mul_f64_e32 v[173:174], v[161:162], v[8:9]
	v_mul_f64_e32 v[8:9], v[163:164], v[8:9]
	v_add_f64_e32 v[167:168], v[167:168], v[177:178]
	v_add_f64_e32 v[165:166], v[165:166], v[175:176]
	v_fma_f64 v[169:170], v[4:5], v[42:43], v[169:170]
	v_fma_f64 v[175:176], v[2:3], v[42:43], -v[44:45]
	ds_load_b128 v[2:5], v1 offset:1216
	scratch_load_b128 v[42:45], off, off offset:496
	v_fma_f64 v[163:164], v[163:164], v[6:7], v[173:174]
	v_fma_f64 v[161:162], v[161:162], v[6:7], -v[8:9]
	scratch_load_b128 v[6:9], off, off offset:512
	v_add_f64_e32 v[159:160], v[167:168], v[159:160]
	v_add_f64_e32 v[171:172], v[165:166], v[171:172]
	ds_load_b128 v[165:168], v1 offset:1232
	s_wait_loadcnt_dscnt 0x901
	v_mul_f64_e32 v[177:178], v[2:3], v[12:13]
	v_mul_f64_e32 v[12:13], v[4:5], v[12:13]
	v_add_f64_e32 v[159:160], v[159:160], v[175:176]
	v_add_f64_e32 v[169:170], v[171:172], v[169:170]
	s_wait_loadcnt_dscnt 0x800
	v_mul_f64_e32 v[171:172], v[165:166], v[16:17]
	v_mul_f64_e32 v[16:17], v[167:168], v[16:17]
	v_fma_f64 v[173:174], v[4:5], v[10:11], v[177:178]
	v_fma_f64 v[175:176], v[2:3], v[10:11], -v[12:13]
	ds_load_b128 v[2:5], v1 offset:1248
	scratch_load_b128 v[10:13], off, off offset:528
	v_add_f64_e32 v[177:178], v[159:160], v[161:162]
	v_add_f64_e32 v[163:164], v[169:170], v[163:164]
	ds_load_b128 v[159:162], v1 offset:1264
	s_wait_loadcnt_dscnt 0x801
	v_mul_f64_e32 v[169:170], v[2:3], v[20:21]
	v_mul_f64_e32 v[20:21], v[4:5], v[20:21]
	v_fma_f64 v[167:168], v[167:168], v[14:15], v[171:172]
	v_fma_f64 v[165:166], v[165:166], v[14:15], -v[16:17]
	scratch_load_b128 v[14:17], off, off offset:544
	v_add_f64_e32 v[171:172], v[177:178], v[175:176]
	v_add_f64_e32 v[163:164], v[163:164], v[173:174]
	s_wait_loadcnt_dscnt 0x800
	v_mul_f64_e32 v[173:174], v[159:160], v[24:25]
	v_mul_f64_e32 v[24:25], v[161:162], v[24:25]
	v_fma_f64 v[169:170], v[4:5], v[18:19], v[169:170]
	v_fma_f64 v[175:176], v[2:3], v[18:19], -v[20:21]
	ds_load_b128 v[2:5], v1 offset:1280
	scratch_load_b128 v[18:21], off, off offset:560
	v_add_f64_e32 v[171:172], v[171:172], v[165:166]
	v_add_f64_e32 v[167:168], v[163:164], v[167:168]
	ds_load_b128 v[163:166], v1 offset:1296
	s_wait_loadcnt_dscnt 0x801
	v_mul_f64_e32 v[177:178], v[2:3], v[28:29]
	v_mul_f64_e32 v[28:29], v[4:5], v[28:29]
	v_fma_f64 v[161:162], v[161:162], v[22:23], v[173:174]
	v_fma_f64 v[159:160], v[159:160], v[22:23], -v[24:25]
	scratch_load_b128 v[22:25], off, off offset:576
	;; [unrolled: 18-line block ×4, first 2 shown]
	s_wait_loadcnt_dscnt 0x800
	v_mul_f64_e32 v[171:172], v[163:164], v[8:9]
	v_mul_f64_e32 v[8:9], v[165:166], v[8:9]
	v_add_f64_e32 v[169:170], v[169:170], v[175:176]
	v_add_f64_e32 v[167:168], v[167:168], v[173:174]
	v_fma_f64 v[173:174], v[4:5], v[42:43], v[177:178]
	v_fma_f64 v[175:176], v[2:3], v[42:43], -v[44:45]
	ds_load_b128 v[2:5], v1 offset:1376
	scratch_load_b128 v[42:45], off, off offset:656
	v_fma_f64 v[165:166], v[165:166], v[6:7], v[171:172]
	v_fma_f64 v[163:164], v[163:164], v[6:7], -v[8:9]
	scratch_load_b128 v[6:9], off, off offset:672
	v_add_f64_e32 v[169:170], v[169:170], v[159:160]
	v_add_f64_e32 v[167:168], v[167:168], v[161:162]
	ds_load_b128 v[159:162], v1 offset:1392
	s_wait_loadcnt_dscnt 0x901
	v_mul_f64_e32 v[177:178], v[2:3], v[12:13]
	v_mul_f64_e32 v[12:13], v[4:5], v[12:13]
	s_wait_loadcnt_dscnt 0x800
	v_mul_f64_e32 v[171:172], v[159:160], v[16:17]
	v_mul_f64_e32 v[16:17], v[161:162], v[16:17]
	v_add_f64_e32 v[169:170], v[169:170], v[175:176]
	v_add_f64_e32 v[167:168], v[167:168], v[173:174]
	v_fma_f64 v[173:174], v[4:5], v[10:11], v[177:178]
	v_fma_f64 v[175:176], v[2:3], v[10:11], -v[12:13]
	ds_load_b128 v[2:5], v1 offset:1408
	scratch_load_b128 v[10:13], off, off offset:688
	v_fma_f64 v[161:162], v[161:162], v[14:15], v[171:172]
	v_fma_f64 v[159:160], v[159:160], v[14:15], -v[16:17]
	scratch_load_b128 v[14:17], off, off offset:704
	v_add_f64_e32 v[169:170], v[169:170], v[163:164]
	v_add_f64_e32 v[167:168], v[167:168], v[165:166]
	ds_load_b128 v[163:166], v1 offset:1424
	s_wait_loadcnt_dscnt 0x901
	v_mul_f64_e32 v[177:178], v[2:3], v[20:21]
	v_mul_f64_e32 v[20:21], v[4:5], v[20:21]
	;; [unrolled: 18-line block ×7, first 2 shown]
	s_wait_loadcnt_dscnt 0x800
	v_mul_f64_e32 v[171:172], v[159:160], v[24:25]
	v_mul_f64_e32 v[24:25], v[161:162], v[24:25]
	v_add_f64_e32 v[169:170], v[169:170], v[175:176]
	v_add_f64_e32 v[167:168], v[167:168], v[173:174]
	v_fma_f64 v[173:174], v[4:5], v[18:19], v[177:178]
	v_fma_f64 v[175:176], v[2:3], v[18:19], -v[20:21]
	ds_load_b128 v[2:5], v1 offset:1600
	ds_load_b128 v[18:21], v1 offset:1616
	v_fma_f64 v[161:162], v[161:162], v[22:23], v[171:172]
	v_fma_f64 v[22:23], v[159:160], v[22:23], -v[24:25]
	v_add_f64_e32 v[163:164], v[169:170], v[163:164]
	v_add_f64_e32 v[165:166], v[167:168], v[165:166]
	s_wait_loadcnt_dscnt 0x701
	v_mul_f64_e32 v[167:168], v[2:3], v[28:29]
	v_mul_f64_e32 v[28:29], v[4:5], v[28:29]
	s_delay_alu instid0(VALU_DEP_4) | instskip(NEXT) | instid1(VALU_DEP_4)
	v_add_f64_e32 v[24:25], v[163:164], v[175:176]
	v_add_f64_e32 v[159:160], v[165:166], v[173:174]
	s_wait_loadcnt_dscnt 0x600
	v_mul_f64_e32 v[163:164], v[18:19], v[32:33]
	v_mul_f64_e32 v[32:33], v[20:21], v[32:33]
	v_fma_f64 v[165:166], v[4:5], v[26:27], v[167:168]
	v_fma_f64 v[26:27], v[2:3], v[26:27], -v[28:29]
	v_add_f64_e32 v[28:29], v[24:25], v[22:23]
	v_add_f64_e32 v[159:160], v[159:160], v[161:162]
	ds_load_b128 v[2:5], v1 offset:1632
	ds_load_b128 v[22:25], v1 offset:1648
	v_fma_f64 v[20:21], v[20:21], v[30:31], v[163:164]
	v_fma_f64 v[18:19], v[18:19], v[30:31], -v[32:33]
	s_wait_loadcnt_dscnt 0x501
	v_mul_f64_e32 v[161:162], v[2:3], v[36:37]
	v_mul_f64_e32 v[36:37], v[4:5], v[36:37]
	s_wait_loadcnt_dscnt 0x400
	v_mul_f64_e32 v[30:31], v[22:23], v[40:41]
	v_mul_f64_e32 v[32:33], v[24:25], v[40:41]
	v_add_f64_e32 v[26:27], v[28:29], v[26:27]
	v_add_f64_e32 v[28:29], v[159:160], v[165:166]
	v_fma_f64 v[40:41], v[4:5], v[34:35], v[161:162]
	v_fma_f64 v[34:35], v[2:3], v[34:35], -v[36:37]
	v_fma_f64 v[24:25], v[24:25], v[38:39], v[30:31]
	v_fma_f64 v[22:23], v[22:23], v[38:39], -v[32:33]
	v_add_f64_e32 v[26:27], v[26:27], v[18:19]
	v_add_f64_e32 v[28:29], v[28:29], v[20:21]
	ds_load_b128 v[2:5], v1 offset:1664
	ds_load_b128 v[18:21], v1 offset:1680
	s_wait_loadcnt_dscnt 0x301
	v_mul_f64_e32 v[36:37], v[2:3], v[44:45]
	v_mul_f64_e32 v[44:45], v[4:5], v[44:45]
	s_wait_loadcnt_dscnt 0x200
	v_mul_f64_e32 v[30:31], v[18:19], v[8:9]
	v_mul_f64_e32 v[8:9], v[20:21], v[8:9]
	v_add_f64_e32 v[26:27], v[26:27], v[34:35]
	v_add_f64_e32 v[28:29], v[28:29], v[40:41]
	v_fma_f64 v[32:33], v[4:5], v[42:43], v[36:37]
	v_fma_f64 v[34:35], v[2:3], v[42:43], -v[44:45]
	v_fma_f64 v[20:21], v[20:21], v[6:7], v[30:31]
	v_fma_f64 v[6:7], v[18:19], v[6:7], -v[8:9]
	v_add_f64_e32 v[26:27], v[26:27], v[22:23]
	v_add_f64_e32 v[28:29], v[28:29], v[24:25]
	ds_load_b128 v[2:5], v1 offset:1696
	ds_load_b128 v[22:25], v1 offset:1712
	s_wait_loadcnt_dscnt 0x101
	v_mul_f64_e32 v[36:37], v[2:3], v[12:13]
	v_mul_f64_e32 v[12:13], v[4:5], v[12:13]
	v_add_f64_e32 v[8:9], v[26:27], v[34:35]
	v_add_f64_e32 v[18:19], v[28:29], v[32:33]
	s_wait_loadcnt_dscnt 0x0
	v_mul_f64_e32 v[26:27], v[22:23], v[16:17]
	v_mul_f64_e32 v[16:17], v[24:25], v[16:17]
	v_fma_f64 v[4:5], v[4:5], v[10:11], v[36:37]
	v_fma_f64 v[1:2], v[2:3], v[10:11], -v[12:13]
	v_add_f64_e32 v[6:7], v[8:9], v[6:7]
	v_add_f64_e32 v[8:9], v[18:19], v[20:21]
	v_fma_f64 v[10:11], v[24:25], v[14:15], v[26:27]
	v_fma_f64 v[12:13], v[22:23], v[14:15], -v[16:17]
	s_delay_alu instid0(VALU_DEP_4) | instskip(NEXT) | instid1(VALU_DEP_4)
	v_add_f64_e32 v[1:2], v[6:7], v[1:2]
	v_add_f64_e32 v[3:4], v[8:9], v[4:5]
	s_delay_alu instid0(VALU_DEP_2) | instskip(NEXT) | instid1(VALU_DEP_2)
	v_add_f64_e32 v[1:2], v[1:2], v[12:13]
	v_add_f64_e32 v[3:4], v[3:4], v[10:11]
	s_delay_alu instid0(VALU_DEP_2) | instskip(NEXT) | instid1(VALU_DEP_2)
	v_add_f64_e64 v[1:2], v[155:156], -v[1:2]
	v_add_f64_e64 v[3:4], v[157:158], -v[3:4]
	scratch_store_b128 off, v[1:4], off offset:160
	v_cmpx_lt_u32_e32 8, v0
	s_cbranch_execz .LBB53_321
; %bb.320:
	scratch_load_b128 v[1:4], off, s59
	v_mov_b32_e32 v5, 0
	s_delay_alu instid0(VALU_DEP_1)
	v_dual_mov_b32 v6, v5 :: v_dual_mov_b32 v7, v5
	v_mov_b32_e32 v8, v5
	scratch_store_b128 off, v[5:8], off offset:144
	s_wait_loadcnt 0x0
	ds_store_b128 v154, v[1:4]
.LBB53_321:
	s_wait_alu 0xfffe
	s_or_b32 exec_lo, exec_lo, s0
	s_wait_storecnt_dscnt 0x0
	s_barrier_signal -1
	s_barrier_wait -1
	global_inv scope:SCOPE_SE
	s_clause 0x7
	scratch_load_b128 v[2:5], off, off offset:160
	scratch_load_b128 v[6:9], off, off offset:176
	;; [unrolled: 1-line block ×8, first 2 shown]
	v_mov_b32_e32 v1, 0
	s_mov_b32 s0, exec_lo
	ds_load_b128 v[38:41], v1 offset:1008
	s_clause 0x1
	scratch_load_b128 v[34:37], off, off offset:288
	scratch_load_b128 v[42:45], off, off offset:144
	ds_load_b128 v[155:158], v1 offset:1024
	scratch_load_b128 v[159:162], off, off offset:304
	s_wait_loadcnt_dscnt 0xa01
	v_mul_f64_e32 v[163:164], v[40:41], v[4:5]
	v_mul_f64_e32 v[4:5], v[38:39], v[4:5]
	s_delay_alu instid0(VALU_DEP_2) | instskip(NEXT) | instid1(VALU_DEP_2)
	v_fma_f64 v[169:170], v[38:39], v[2:3], -v[163:164]
	v_fma_f64 v[171:172], v[40:41], v[2:3], v[4:5]
	ds_load_b128 v[2:5], v1 offset:1040
	s_wait_loadcnt_dscnt 0x901
	v_mul_f64_e32 v[167:168], v[155:156], v[8:9]
	v_mul_f64_e32 v[8:9], v[157:158], v[8:9]
	scratch_load_b128 v[38:41], off, off offset:320
	ds_load_b128 v[163:166], v1 offset:1056
	s_wait_loadcnt_dscnt 0x901
	v_mul_f64_e32 v[173:174], v[2:3], v[12:13]
	v_mul_f64_e32 v[12:13], v[4:5], v[12:13]
	v_fma_f64 v[157:158], v[157:158], v[6:7], v[167:168]
	v_fma_f64 v[155:156], v[155:156], v[6:7], -v[8:9]
	v_add_f64_e32 v[167:168], 0, v[169:170]
	v_add_f64_e32 v[169:170], 0, v[171:172]
	scratch_load_b128 v[6:9], off, off offset:336
	v_fma_f64 v[173:174], v[4:5], v[10:11], v[173:174]
	v_fma_f64 v[175:176], v[2:3], v[10:11], -v[12:13]
	ds_load_b128 v[2:5], v1 offset:1072
	s_wait_loadcnt_dscnt 0x901
	v_mul_f64_e32 v[171:172], v[163:164], v[16:17]
	v_mul_f64_e32 v[16:17], v[165:166], v[16:17]
	scratch_load_b128 v[10:13], off, off offset:352
	v_add_f64_e32 v[167:168], v[167:168], v[155:156]
	v_add_f64_e32 v[169:170], v[169:170], v[157:158]
	s_wait_loadcnt_dscnt 0x900
	v_mul_f64_e32 v[177:178], v[2:3], v[20:21]
	v_mul_f64_e32 v[20:21], v[4:5], v[20:21]
	ds_load_b128 v[155:158], v1 offset:1088
	v_fma_f64 v[165:166], v[165:166], v[14:15], v[171:172]
	v_fma_f64 v[163:164], v[163:164], v[14:15], -v[16:17]
	scratch_load_b128 v[14:17], off, off offset:368
	v_add_f64_e32 v[167:168], v[167:168], v[175:176]
	v_add_f64_e32 v[169:170], v[169:170], v[173:174]
	v_fma_f64 v[173:174], v[4:5], v[18:19], v[177:178]
	v_fma_f64 v[175:176], v[2:3], v[18:19], -v[20:21]
	ds_load_b128 v[2:5], v1 offset:1104
	s_wait_loadcnt_dscnt 0x901
	v_mul_f64_e32 v[171:172], v[155:156], v[24:25]
	v_mul_f64_e32 v[24:25], v[157:158], v[24:25]
	scratch_load_b128 v[18:21], off, off offset:384
	s_wait_loadcnt_dscnt 0x900
	v_mul_f64_e32 v[177:178], v[2:3], v[28:29]
	v_mul_f64_e32 v[28:29], v[4:5], v[28:29]
	v_add_f64_e32 v[167:168], v[167:168], v[163:164]
	v_add_f64_e32 v[169:170], v[169:170], v[165:166]
	ds_load_b128 v[163:166], v1 offset:1120
	v_fma_f64 v[157:158], v[157:158], v[22:23], v[171:172]
	v_fma_f64 v[155:156], v[155:156], v[22:23], -v[24:25]
	scratch_load_b128 v[22:25], off, off offset:400
	v_add_f64_e32 v[167:168], v[167:168], v[175:176]
	v_add_f64_e32 v[169:170], v[169:170], v[173:174]
	v_fma_f64 v[173:174], v[4:5], v[26:27], v[177:178]
	v_fma_f64 v[175:176], v[2:3], v[26:27], -v[28:29]
	ds_load_b128 v[2:5], v1 offset:1136
	s_wait_loadcnt_dscnt 0x901
	v_mul_f64_e32 v[171:172], v[163:164], v[32:33]
	v_mul_f64_e32 v[32:33], v[165:166], v[32:33]
	scratch_load_b128 v[26:29], off, off offset:416
	s_wait_loadcnt_dscnt 0x900
	v_mul_f64_e32 v[177:178], v[2:3], v[36:37]
	v_mul_f64_e32 v[36:37], v[4:5], v[36:37]
	v_add_f64_e32 v[167:168], v[167:168], v[155:156]
	v_add_f64_e32 v[169:170], v[169:170], v[157:158]
	ds_load_b128 v[155:158], v1 offset:1152
	v_fma_f64 v[165:166], v[165:166], v[30:31], v[171:172]
	v_fma_f64 v[163:164], v[163:164], v[30:31], -v[32:33]
	scratch_load_b128 v[30:33], off, off offset:432
	v_add_f64_e32 v[167:168], v[167:168], v[175:176]
	v_add_f64_e32 v[169:170], v[169:170], v[173:174]
	v_fma_f64 v[175:176], v[4:5], v[34:35], v[177:178]
	v_fma_f64 v[177:178], v[2:3], v[34:35], -v[36:37]
	ds_load_b128 v[2:5], v1 offset:1168
	s_wait_loadcnt_dscnt 0x801
	v_mul_f64_e32 v[171:172], v[155:156], v[161:162]
	v_mul_f64_e32 v[173:174], v[157:158], v[161:162]
	scratch_load_b128 v[34:37], off, off offset:448
	v_add_f64_e32 v[167:168], v[167:168], v[163:164]
	v_add_f64_e32 v[165:166], v[169:170], v[165:166]
	ds_load_b128 v[161:164], v1 offset:1184
	v_fma_f64 v[171:172], v[157:158], v[159:160], v[171:172]
	v_fma_f64 v[159:160], v[155:156], v[159:160], -v[173:174]
	scratch_load_b128 v[155:158], off, off offset:464
	s_wait_loadcnt_dscnt 0x901
	v_mul_f64_e32 v[169:170], v[2:3], v[40:41]
	v_mul_f64_e32 v[40:41], v[4:5], v[40:41]
	v_add_f64_e32 v[167:168], v[167:168], v[177:178]
	v_add_f64_e32 v[165:166], v[165:166], v[175:176]
	s_delay_alu instid0(VALU_DEP_4) | instskip(NEXT) | instid1(VALU_DEP_4)
	v_fma_f64 v[169:170], v[4:5], v[38:39], v[169:170]
	v_fma_f64 v[175:176], v[2:3], v[38:39], -v[40:41]
	ds_load_b128 v[2:5], v1 offset:1200
	s_wait_loadcnt_dscnt 0x801
	v_mul_f64_e32 v[173:174], v[161:162], v[8:9]
	v_mul_f64_e32 v[8:9], v[163:164], v[8:9]
	scratch_load_b128 v[38:41], off, off offset:480
	s_wait_loadcnt_dscnt 0x800
	v_mul_f64_e32 v[177:178], v[2:3], v[12:13]
	v_add_f64_e32 v[159:160], v[167:168], v[159:160]
	v_add_f64_e32 v[171:172], v[165:166], v[171:172]
	v_mul_f64_e32 v[12:13], v[4:5], v[12:13]
	ds_load_b128 v[165:168], v1 offset:1216
	v_fma_f64 v[163:164], v[163:164], v[6:7], v[173:174]
	v_fma_f64 v[161:162], v[161:162], v[6:7], -v[8:9]
	scratch_load_b128 v[6:9], off, off offset:496
	v_fma_f64 v[173:174], v[4:5], v[10:11], v[177:178]
	v_add_f64_e32 v[159:160], v[159:160], v[175:176]
	v_add_f64_e32 v[169:170], v[171:172], v[169:170]
	v_fma_f64 v[175:176], v[2:3], v[10:11], -v[12:13]
	ds_load_b128 v[2:5], v1 offset:1232
	s_wait_loadcnt_dscnt 0x801
	v_mul_f64_e32 v[171:172], v[165:166], v[16:17]
	v_mul_f64_e32 v[16:17], v[167:168], v[16:17]
	scratch_load_b128 v[10:13], off, off offset:512
	v_add_f64_e32 v[177:178], v[159:160], v[161:162]
	v_add_f64_e32 v[163:164], v[169:170], v[163:164]
	s_wait_loadcnt_dscnt 0x800
	v_mul_f64_e32 v[169:170], v[2:3], v[20:21]
	v_mul_f64_e32 v[20:21], v[4:5], v[20:21]
	v_fma_f64 v[167:168], v[167:168], v[14:15], v[171:172]
	v_fma_f64 v[165:166], v[165:166], v[14:15], -v[16:17]
	ds_load_b128 v[159:162], v1 offset:1248
	scratch_load_b128 v[14:17], off, off offset:528
	v_add_f64_e32 v[171:172], v[177:178], v[175:176]
	v_add_f64_e32 v[163:164], v[163:164], v[173:174]
	v_fma_f64 v[169:170], v[4:5], v[18:19], v[169:170]
	v_fma_f64 v[175:176], v[2:3], v[18:19], -v[20:21]
	ds_load_b128 v[2:5], v1 offset:1264
	s_wait_loadcnt_dscnt 0x801
	v_mul_f64_e32 v[173:174], v[159:160], v[24:25]
	v_mul_f64_e32 v[24:25], v[161:162], v[24:25]
	scratch_load_b128 v[18:21], off, off offset:544
	s_wait_loadcnt_dscnt 0x800
	v_mul_f64_e32 v[177:178], v[2:3], v[28:29]
	v_mul_f64_e32 v[28:29], v[4:5], v[28:29]
	v_add_f64_e32 v[171:172], v[171:172], v[165:166]
	v_add_f64_e32 v[167:168], v[163:164], v[167:168]
	ds_load_b128 v[163:166], v1 offset:1280
	v_fma_f64 v[161:162], v[161:162], v[22:23], v[173:174]
	v_fma_f64 v[159:160], v[159:160], v[22:23], -v[24:25]
	scratch_load_b128 v[22:25], off, off offset:560
	v_fma_f64 v[173:174], v[4:5], v[26:27], v[177:178]
	v_add_f64_e32 v[171:172], v[171:172], v[175:176]
	v_add_f64_e32 v[167:168], v[167:168], v[169:170]
	v_fma_f64 v[175:176], v[2:3], v[26:27], -v[28:29]
	ds_load_b128 v[2:5], v1 offset:1296
	s_wait_loadcnt_dscnt 0x801
	v_mul_f64_e32 v[169:170], v[163:164], v[32:33]
	v_mul_f64_e32 v[32:33], v[165:166], v[32:33]
	scratch_load_b128 v[26:29], off, off offset:576
	s_wait_loadcnt_dscnt 0x800
	v_mul_f64_e32 v[177:178], v[2:3], v[36:37]
	v_mul_f64_e32 v[36:37], v[4:5], v[36:37]
	v_add_f64_e32 v[171:172], v[171:172], v[159:160]
	v_add_f64_e32 v[167:168], v[167:168], v[161:162]
	ds_load_b128 v[159:162], v1 offset:1312
	v_fma_f64 v[165:166], v[165:166], v[30:31], v[169:170]
	v_fma_f64 v[163:164], v[163:164], v[30:31], -v[32:33]
	scratch_load_b128 v[30:33], off, off offset:592
	v_add_f64_e32 v[169:170], v[171:172], v[175:176]
	v_add_f64_e32 v[167:168], v[167:168], v[173:174]
	v_fma_f64 v[173:174], v[4:5], v[34:35], v[177:178]
	v_fma_f64 v[175:176], v[2:3], v[34:35], -v[36:37]
	ds_load_b128 v[2:5], v1 offset:1328
	s_wait_loadcnt_dscnt 0x801
	v_mul_f64_e32 v[171:172], v[159:160], v[157:158]
	v_mul_f64_e32 v[157:158], v[161:162], v[157:158]
	scratch_load_b128 v[34:37], off, off offset:608
	s_wait_loadcnt_dscnt 0x800
	v_mul_f64_e32 v[177:178], v[2:3], v[40:41]
	v_mul_f64_e32 v[40:41], v[4:5], v[40:41]
	v_add_f64_e32 v[169:170], v[169:170], v[163:164]
	v_add_f64_e32 v[167:168], v[167:168], v[165:166]
	ds_load_b128 v[163:166], v1 offset:1344
	v_fma_f64 v[161:162], v[161:162], v[155:156], v[171:172]
	v_fma_f64 v[159:160], v[159:160], v[155:156], -v[157:158]
	scratch_load_b128 v[155:158], off, off offset:624
	v_add_f64_e32 v[169:170], v[169:170], v[175:176]
	v_add_f64_e32 v[167:168], v[167:168], v[173:174]
	v_fma_f64 v[173:174], v[4:5], v[38:39], v[177:178]
	;; [unrolled: 18-line block ×6, first 2 shown]
	v_fma_f64 v[177:178], v[2:3], v[34:35], -v[36:37]
	ds_load_b128 v[2:5], v1 offset:1488
	s_wait_loadcnt_dscnt 0x801
	v_mul_f64_e32 v[171:172], v[163:164], v[157:158]
	v_mul_f64_e32 v[173:174], v[165:166], v[157:158]
	scratch_load_b128 v[34:37], off, off offset:768
	v_add_f64_e32 v[169:170], v[169:170], v[159:160]
	v_add_f64_e32 v[161:162], v[167:168], v[161:162]
	s_wait_loadcnt_dscnt 0x800
	v_mul_f64_e32 v[167:168], v[2:3], v[40:41]
	v_mul_f64_e32 v[40:41], v[4:5], v[40:41]
	ds_load_b128 v[157:160], v1 offset:1504
	v_fma_f64 v[165:166], v[165:166], v[155:156], v[171:172]
	v_fma_f64 v[155:156], v[163:164], v[155:156], -v[173:174]
	v_add_f64_e32 v[169:170], v[169:170], v[177:178]
	v_add_f64_e32 v[171:172], v[161:162], v[175:176]
	scratch_load_b128 v[161:164], off, off offset:784
	v_fma_f64 v[175:176], v[4:5], v[38:39], v[167:168]
	v_fma_f64 v[177:178], v[2:3], v[38:39], -v[40:41]
	ds_load_b128 v[2:5], v1 offset:1520
	s_wait_loadcnt_dscnt 0x801
	v_mul_f64_e32 v[173:174], v[157:158], v[8:9]
	v_mul_f64_e32 v[8:9], v[159:160], v[8:9]
	scratch_load_b128 v[38:41], off, off offset:800
	v_add_f64_e32 v[155:156], v[169:170], v[155:156]
	v_add_f64_e32 v[169:170], v[171:172], v[165:166]
	s_wait_loadcnt_dscnt 0x800
	v_mul_f64_e32 v[171:172], v[2:3], v[12:13]
	v_mul_f64_e32 v[12:13], v[4:5], v[12:13]
	ds_load_b128 v[165:168], v1 offset:1536
	v_fma_f64 v[159:160], v[159:160], v[6:7], v[173:174]
	v_fma_f64 v[157:158], v[157:158], v[6:7], -v[8:9]
	scratch_load_b128 v[6:9], off, off offset:816
	v_add_f64_e32 v[155:156], v[155:156], v[177:178]
	v_add_f64_e32 v[169:170], v[169:170], v[175:176]
	v_fma_f64 v[171:172], v[4:5], v[10:11], v[171:172]
	v_fma_f64 v[175:176], v[2:3], v[10:11], -v[12:13]
	ds_load_b128 v[2:5], v1 offset:1552
	s_wait_loadcnt_dscnt 0x801
	v_mul_f64_e32 v[173:174], v[165:166], v[16:17]
	v_mul_f64_e32 v[16:17], v[167:168], v[16:17]
	scratch_load_b128 v[10:13], off, off offset:832
	v_add_f64_e32 v[177:178], v[155:156], v[157:158]
	v_add_f64_e32 v[159:160], v[169:170], v[159:160]
	s_wait_loadcnt_dscnt 0x800
	v_mul_f64_e32 v[169:170], v[2:3], v[20:21]
	v_mul_f64_e32 v[20:21], v[4:5], v[20:21]
	ds_load_b128 v[155:158], v1 offset:1568
	v_fma_f64 v[167:168], v[167:168], v[14:15], v[173:174]
	v_fma_f64 v[165:166], v[165:166], v[14:15], -v[16:17]
	scratch_load_b128 v[14:17], off, off offset:848
	v_add_f64_e32 v[173:174], v[177:178], v[175:176]
	v_add_f64_e32 v[159:160], v[159:160], v[171:172]
	v_fma_f64 v[169:170], v[4:5], v[18:19], v[169:170]
	v_fma_f64 v[175:176], v[2:3], v[18:19], -v[20:21]
	ds_load_b128 v[2:5], v1 offset:1584
	s_wait_loadcnt_dscnt 0x801
	v_mul_f64_e32 v[171:172], v[155:156], v[24:25]
	v_mul_f64_e32 v[24:25], v[157:158], v[24:25]
	scratch_load_b128 v[18:21], off, off offset:864
	s_wait_loadcnt_dscnt 0x800
	v_mul_f64_e32 v[177:178], v[2:3], v[28:29]
	v_mul_f64_e32 v[28:29], v[4:5], v[28:29]
	v_add_f64_e32 v[173:174], v[173:174], v[165:166]
	v_add_f64_e32 v[159:160], v[159:160], v[167:168]
	ds_load_b128 v[165:168], v1 offset:1600
	v_fma_f64 v[157:158], v[157:158], v[22:23], v[171:172]
	v_fma_f64 v[22:23], v[155:156], v[22:23], -v[24:25]
	v_add_f64_e32 v[24:25], v[173:174], v[175:176]
	v_add_f64_e32 v[155:156], v[159:160], v[169:170]
	s_wait_loadcnt_dscnt 0x700
	v_mul_f64_e32 v[159:160], v[165:166], v[32:33]
	v_mul_f64_e32 v[32:33], v[167:168], v[32:33]
	v_fma_f64 v[169:170], v[4:5], v[26:27], v[177:178]
	v_fma_f64 v[26:27], v[2:3], v[26:27], -v[28:29]
	v_add_f64_e32 v[28:29], v[24:25], v[22:23]
	v_add_f64_e32 v[155:156], v[155:156], v[157:158]
	ds_load_b128 v[2:5], v1 offset:1616
	ds_load_b128 v[22:25], v1 offset:1632
	v_fma_f64 v[159:160], v[167:168], v[30:31], v[159:160]
	v_fma_f64 v[30:31], v[165:166], v[30:31], -v[32:33]
	s_wait_loadcnt_dscnt 0x601
	v_mul_f64_e32 v[157:158], v[2:3], v[36:37]
	v_mul_f64_e32 v[36:37], v[4:5], v[36:37]
	v_add_f64_e32 v[26:27], v[28:29], v[26:27]
	v_add_f64_e32 v[28:29], v[155:156], v[169:170]
	s_wait_loadcnt_dscnt 0x500
	v_mul_f64_e32 v[32:33], v[22:23], v[163:164]
	v_mul_f64_e32 v[155:156], v[24:25], v[163:164]
	v_fma_f64 v[157:158], v[4:5], v[34:35], v[157:158]
	v_fma_f64 v[34:35], v[2:3], v[34:35], -v[36:37]
	v_add_f64_e32 v[30:31], v[26:27], v[30:31]
	v_add_f64_e32 v[36:37], v[28:29], v[159:160]
	ds_load_b128 v[2:5], v1 offset:1648
	ds_load_b128 v[26:29], v1 offset:1664
	v_fma_f64 v[24:25], v[24:25], v[161:162], v[32:33]
	v_fma_f64 v[22:23], v[22:23], v[161:162], -v[155:156]
	s_wait_loadcnt_dscnt 0x401
	v_mul_f64_e32 v[159:160], v[2:3], v[40:41]
	v_mul_f64_e32 v[40:41], v[4:5], v[40:41]
	v_add_f64_e32 v[30:31], v[30:31], v[34:35]
	v_add_f64_e32 v[32:33], v[36:37], v[157:158]
	s_wait_loadcnt_dscnt 0x300
	v_mul_f64_e32 v[34:35], v[26:27], v[8:9]
	v_mul_f64_e32 v[8:9], v[28:29], v[8:9]
	v_fma_f64 v[36:37], v[4:5], v[38:39], v[159:160]
	v_fma_f64 v[38:39], v[2:3], v[38:39], -v[40:41]
	v_add_f64_e32 v[30:31], v[30:31], v[22:23]
	v_add_f64_e32 v[32:33], v[32:33], v[24:25]
	ds_load_b128 v[2:5], v1 offset:1680
	ds_load_b128 v[22:25], v1 offset:1696
	v_fma_f64 v[28:29], v[28:29], v[6:7], v[34:35]
	v_fma_f64 v[6:7], v[26:27], v[6:7], -v[8:9]
	s_wait_loadcnt_dscnt 0x201
	v_mul_f64_e32 v[40:41], v[2:3], v[12:13]
	v_mul_f64_e32 v[12:13], v[4:5], v[12:13]
	v_add_f64_e32 v[8:9], v[30:31], v[38:39]
	v_add_f64_e32 v[26:27], v[32:33], v[36:37]
	s_wait_loadcnt_dscnt 0x100
	v_mul_f64_e32 v[30:31], v[22:23], v[16:17]
	v_mul_f64_e32 v[16:17], v[24:25], v[16:17]
	v_fma_f64 v[32:33], v[4:5], v[10:11], v[40:41]
	v_fma_f64 v[10:11], v[2:3], v[10:11], -v[12:13]
	ds_load_b128 v[2:5], v1 offset:1712
	v_add_f64_e32 v[6:7], v[8:9], v[6:7]
	v_add_f64_e32 v[8:9], v[26:27], v[28:29]
	v_fma_f64 v[24:25], v[24:25], v[14:15], v[30:31]
	v_fma_f64 v[14:15], v[22:23], v[14:15], -v[16:17]
	s_wait_loadcnt_dscnt 0x0
	v_mul_f64_e32 v[12:13], v[2:3], v[20:21]
	v_mul_f64_e32 v[20:21], v[4:5], v[20:21]
	v_add_f64_e32 v[6:7], v[6:7], v[10:11]
	v_add_f64_e32 v[8:9], v[8:9], v[32:33]
	s_delay_alu instid0(VALU_DEP_4) | instskip(NEXT) | instid1(VALU_DEP_4)
	v_fma_f64 v[4:5], v[4:5], v[18:19], v[12:13]
	v_fma_f64 v[2:3], v[2:3], v[18:19], -v[20:21]
	s_delay_alu instid0(VALU_DEP_4) | instskip(NEXT) | instid1(VALU_DEP_4)
	v_add_f64_e32 v[6:7], v[6:7], v[14:15]
	v_add_f64_e32 v[8:9], v[8:9], v[24:25]
	s_delay_alu instid0(VALU_DEP_2) | instskip(NEXT) | instid1(VALU_DEP_2)
	v_add_f64_e32 v[2:3], v[6:7], v[2:3]
	v_add_f64_e32 v[4:5], v[8:9], v[4:5]
	s_delay_alu instid0(VALU_DEP_2) | instskip(NEXT) | instid1(VALU_DEP_2)
	v_add_f64_e64 v[2:3], v[42:43], -v[2:3]
	v_add_f64_e64 v[4:5], v[44:45], -v[4:5]
	scratch_store_b128 off, v[2:5], off offset:144
	v_cmpx_lt_u32_e32 7, v0
	s_cbranch_execz .LBB53_323
; %bb.322:
	scratch_load_b128 v[5:8], off, s60
	v_dual_mov_b32 v2, v1 :: v_dual_mov_b32 v3, v1
	v_mov_b32_e32 v4, v1
	scratch_store_b128 off, v[1:4], off offset:128
	s_wait_loadcnt 0x0
	ds_store_b128 v154, v[5:8]
.LBB53_323:
	s_wait_alu 0xfffe
	s_or_b32 exec_lo, exec_lo, s0
	s_wait_storecnt_dscnt 0x0
	s_barrier_signal -1
	s_barrier_wait -1
	global_inv scope:SCOPE_SE
	s_clause 0x8
	scratch_load_b128 v[2:5], off, off offset:144
	scratch_load_b128 v[6:9], off, off offset:160
	;; [unrolled: 1-line block ×9, first 2 shown]
	ds_load_b128 v[42:45], v1 offset:992
	ds_load_b128 v[38:41], v1 offset:1008
	s_clause 0x1
	scratch_load_b128 v[155:158], off, off offset:128
	scratch_load_b128 v[159:162], off, off offset:288
	s_mov_b32 s0, exec_lo
	s_wait_loadcnt_dscnt 0xa01
	v_mul_f64_e32 v[163:164], v[44:45], v[4:5]
	v_mul_f64_e32 v[4:5], v[42:43], v[4:5]
	s_wait_loadcnt_dscnt 0x900
	v_mul_f64_e32 v[167:168], v[38:39], v[8:9]
	v_mul_f64_e32 v[8:9], v[40:41], v[8:9]
	s_delay_alu instid0(VALU_DEP_4) | instskip(NEXT) | instid1(VALU_DEP_4)
	v_fma_f64 v[169:170], v[42:43], v[2:3], -v[163:164]
	v_fma_f64 v[171:172], v[44:45], v[2:3], v[4:5]
	ds_load_b128 v[2:5], v1 offset:1024
	ds_load_b128 v[163:166], v1 offset:1040
	scratch_load_b128 v[42:45], off, off offset:304
	v_fma_f64 v[40:41], v[40:41], v[6:7], v[167:168]
	v_fma_f64 v[38:39], v[38:39], v[6:7], -v[8:9]
	scratch_load_b128 v[6:9], off, off offset:320
	s_wait_loadcnt_dscnt 0xa01
	v_mul_f64_e32 v[173:174], v[2:3], v[12:13]
	v_mul_f64_e32 v[12:13], v[4:5], v[12:13]
	v_add_f64_e32 v[167:168], 0, v[169:170]
	v_add_f64_e32 v[169:170], 0, v[171:172]
	s_wait_loadcnt_dscnt 0x900
	v_mul_f64_e32 v[171:172], v[163:164], v[16:17]
	v_mul_f64_e32 v[16:17], v[165:166], v[16:17]
	v_fma_f64 v[173:174], v[4:5], v[10:11], v[173:174]
	v_fma_f64 v[175:176], v[2:3], v[10:11], -v[12:13]
	ds_load_b128 v[2:5], v1 offset:1056
	scratch_load_b128 v[10:13], off, off offset:336
	v_add_f64_e32 v[167:168], v[167:168], v[38:39]
	v_add_f64_e32 v[169:170], v[169:170], v[40:41]
	ds_load_b128 v[38:41], v1 offset:1072
	v_fma_f64 v[165:166], v[165:166], v[14:15], v[171:172]
	v_fma_f64 v[163:164], v[163:164], v[14:15], -v[16:17]
	scratch_load_b128 v[14:17], off, off offset:352
	s_wait_loadcnt_dscnt 0xa01
	v_mul_f64_e32 v[177:178], v[2:3], v[20:21]
	v_mul_f64_e32 v[20:21], v[4:5], v[20:21]
	s_wait_loadcnt_dscnt 0x900
	v_mul_f64_e32 v[171:172], v[38:39], v[24:25]
	v_mul_f64_e32 v[24:25], v[40:41], v[24:25]
	v_add_f64_e32 v[167:168], v[167:168], v[175:176]
	v_add_f64_e32 v[169:170], v[169:170], v[173:174]
	v_fma_f64 v[173:174], v[4:5], v[18:19], v[177:178]
	v_fma_f64 v[175:176], v[2:3], v[18:19], -v[20:21]
	ds_load_b128 v[2:5], v1 offset:1088
	scratch_load_b128 v[18:21], off, off offset:368
	v_fma_f64 v[40:41], v[40:41], v[22:23], v[171:172]
	v_fma_f64 v[38:39], v[38:39], v[22:23], -v[24:25]
	scratch_load_b128 v[22:25], off, off offset:384
	v_add_f64_e32 v[167:168], v[167:168], v[163:164]
	v_add_f64_e32 v[169:170], v[169:170], v[165:166]
	ds_load_b128 v[163:166], v1 offset:1104
	s_wait_loadcnt_dscnt 0xa01
	v_mul_f64_e32 v[177:178], v[2:3], v[28:29]
	v_mul_f64_e32 v[28:29], v[4:5], v[28:29]
	s_wait_loadcnt_dscnt 0x900
	v_mul_f64_e32 v[171:172], v[163:164], v[32:33]
	v_mul_f64_e32 v[32:33], v[165:166], v[32:33]
	v_add_f64_e32 v[167:168], v[167:168], v[175:176]
	v_add_f64_e32 v[169:170], v[169:170], v[173:174]
	v_fma_f64 v[173:174], v[4:5], v[26:27], v[177:178]
	v_fma_f64 v[175:176], v[2:3], v[26:27], -v[28:29]
	ds_load_b128 v[2:5], v1 offset:1120
	scratch_load_b128 v[26:29], off, off offset:400
	v_fma_f64 v[165:166], v[165:166], v[30:31], v[171:172]
	v_fma_f64 v[163:164], v[163:164], v[30:31], -v[32:33]
	scratch_load_b128 v[30:33], off, off offset:416
	v_add_f64_e32 v[167:168], v[167:168], v[38:39]
	v_add_f64_e32 v[169:170], v[169:170], v[40:41]
	ds_load_b128 v[38:41], v1 offset:1136
	s_wait_loadcnt_dscnt 0xa01
	v_mul_f64_e32 v[177:178], v[2:3], v[36:37]
	v_mul_f64_e32 v[36:37], v[4:5], v[36:37]
	s_wait_loadcnt_dscnt 0x800
	v_mul_f64_e32 v[171:172], v[38:39], v[161:162]
	v_add_f64_e32 v[167:168], v[167:168], v[175:176]
	v_add_f64_e32 v[169:170], v[169:170], v[173:174]
	v_mul_f64_e32 v[173:174], v[40:41], v[161:162]
	v_fma_f64 v[175:176], v[4:5], v[34:35], v[177:178]
	v_fma_f64 v[177:178], v[2:3], v[34:35], -v[36:37]
	ds_load_b128 v[2:5], v1 offset:1152
	scratch_load_b128 v[34:37], off, off offset:432
	v_fma_f64 v[171:172], v[40:41], v[159:160], v[171:172]
	v_add_f64_e32 v[167:168], v[167:168], v[163:164]
	v_add_f64_e32 v[165:166], v[169:170], v[165:166]
	ds_load_b128 v[161:164], v1 offset:1168
	v_fma_f64 v[159:160], v[38:39], v[159:160], -v[173:174]
	scratch_load_b128 v[38:41], off, off offset:448
	s_wait_loadcnt_dscnt 0x901
	v_mul_f64_e32 v[169:170], v[2:3], v[44:45]
	v_mul_f64_e32 v[44:45], v[4:5], v[44:45]
	s_wait_loadcnt_dscnt 0x800
	v_mul_f64_e32 v[173:174], v[161:162], v[8:9]
	v_mul_f64_e32 v[8:9], v[163:164], v[8:9]
	v_add_f64_e32 v[167:168], v[167:168], v[177:178]
	v_add_f64_e32 v[165:166], v[165:166], v[175:176]
	v_fma_f64 v[169:170], v[4:5], v[42:43], v[169:170]
	v_fma_f64 v[175:176], v[2:3], v[42:43], -v[44:45]
	ds_load_b128 v[2:5], v1 offset:1184
	scratch_load_b128 v[42:45], off, off offset:464
	v_fma_f64 v[163:164], v[163:164], v[6:7], v[173:174]
	v_fma_f64 v[161:162], v[161:162], v[6:7], -v[8:9]
	scratch_load_b128 v[6:9], off, off offset:480
	v_add_f64_e32 v[159:160], v[167:168], v[159:160]
	v_add_f64_e32 v[171:172], v[165:166], v[171:172]
	ds_load_b128 v[165:168], v1 offset:1200
	s_wait_loadcnt_dscnt 0x901
	v_mul_f64_e32 v[177:178], v[2:3], v[12:13]
	v_mul_f64_e32 v[12:13], v[4:5], v[12:13]
	v_add_f64_e32 v[159:160], v[159:160], v[175:176]
	v_add_f64_e32 v[169:170], v[171:172], v[169:170]
	s_wait_loadcnt_dscnt 0x800
	v_mul_f64_e32 v[171:172], v[165:166], v[16:17]
	v_mul_f64_e32 v[16:17], v[167:168], v[16:17]
	v_fma_f64 v[173:174], v[4:5], v[10:11], v[177:178]
	v_fma_f64 v[175:176], v[2:3], v[10:11], -v[12:13]
	ds_load_b128 v[2:5], v1 offset:1216
	scratch_load_b128 v[10:13], off, off offset:496
	v_add_f64_e32 v[177:178], v[159:160], v[161:162]
	v_add_f64_e32 v[163:164], v[169:170], v[163:164]
	ds_load_b128 v[159:162], v1 offset:1232
	s_wait_loadcnt_dscnt 0x801
	v_mul_f64_e32 v[169:170], v[2:3], v[20:21]
	v_mul_f64_e32 v[20:21], v[4:5], v[20:21]
	v_fma_f64 v[167:168], v[167:168], v[14:15], v[171:172]
	v_fma_f64 v[165:166], v[165:166], v[14:15], -v[16:17]
	scratch_load_b128 v[14:17], off, off offset:512
	v_add_f64_e32 v[171:172], v[177:178], v[175:176]
	v_add_f64_e32 v[163:164], v[163:164], v[173:174]
	s_wait_loadcnt_dscnt 0x800
	v_mul_f64_e32 v[173:174], v[159:160], v[24:25]
	v_mul_f64_e32 v[24:25], v[161:162], v[24:25]
	v_fma_f64 v[169:170], v[4:5], v[18:19], v[169:170]
	v_fma_f64 v[175:176], v[2:3], v[18:19], -v[20:21]
	ds_load_b128 v[2:5], v1 offset:1248
	scratch_load_b128 v[18:21], off, off offset:528
	v_add_f64_e32 v[171:172], v[171:172], v[165:166]
	v_add_f64_e32 v[167:168], v[163:164], v[167:168]
	ds_load_b128 v[163:166], v1 offset:1264
	s_wait_loadcnt_dscnt 0x801
	v_mul_f64_e32 v[177:178], v[2:3], v[28:29]
	v_mul_f64_e32 v[28:29], v[4:5], v[28:29]
	v_fma_f64 v[161:162], v[161:162], v[22:23], v[173:174]
	v_fma_f64 v[159:160], v[159:160], v[22:23], -v[24:25]
	scratch_load_b128 v[22:25], off, off offset:544
	;; [unrolled: 18-line block ×4, first 2 shown]
	s_wait_loadcnt_dscnt 0x800
	v_mul_f64_e32 v[171:172], v[163:164], v[8:9]
	v_mul_f64_e32 v[8:9], v[165:166], v[8:9]
	v_add_f64_e32 v[169:170], v[169:170], v[175:176]
	v_add_f64_e32 v[167:168], v[167:168], v[173:174]
	v_fma_f64 v[173:174], v[4:5], v[42:43], v[177:178]
	v_fma_f64 v[175:176], v[2:3], v[42:43], -v[44:45]
	ds_load_b128 v[2:5], v1 offset:1344
	scratch_load_b128 v[42:45], off, off offset:624
	v_fma_f64 v[165:166], v[165:166], v[6:7], v[171:172]
	v_fma_f64 v[163:164], v[163:164], v[6:7], -v[8:9]
	scratch_load_b128 v[6:9], off, off offset:640
	v_add_f64_e32 v[169:170], v[169:170], v[159:160]
	v_add_f64_e32 v[167:168], v[167:168], v[161:162]
	ds_load_b128 v[159:162], v1 offset:1360
	s_wait_loadcnt_dscnt 0x901
	v_mul_f64_e32 v[177:178], v[2:3], v[12:13]
	v_mul_f64_e32 v[12:13], v[4:5], v[12:13]
	s_wait_loadcnt_dscnt 0x800
	v_mul_f64_e32 v[171:172], v[159:160], v[16:17]
	v_mul_f64_e32 v[16:17], v[161:162], v[16:17]
	v_add_f64_e32 v[169:170], v[169:170], v[175:176]
	v_add_f64_e32 v[167:168], v[167:168], v[173:174]
	v_fma_f64 v[173:174], v[4:5], v[10:11], v[177:178]
	v_fma_f64 v[175:176], v[2:3], v[10:11], -v[12:13]
	ds_load_b128 v[2:5], v1 offset:1376
	scratch_load_b128 v[10:13], off, off offset:656
	v_fma_f64 v[161:162], v[161:162], v[14:15], v[171:172]
	v_fma_f64 v[159:160], v[159:160], v[14:15], -v[16:17]
	scratch_load_b128 v[14:17], off, off offset:672
	v_add_f64_e32 v[169:170], v[169:170], v[163:164]
	v_add_f64_e32 v[167:168], v[167:168], v[165:166]
	ds_load_b128 v[163:166], v1 offset:1392
	s_wait_loadcnt_dscnt 0x901
	v_mul_f64_e32 v[177:178], v[2:3], v[20:21]
	v_mul_f64_e32 v[20:21], v[4:5], v[20:21]
	;; [unrolled: 18-line block ×8, first 2 shown]
	s_wait_loadcnt_dscnt 0x800
	v_mul_f64_e32 v[171:172], v[163:164], v[32:33]
	v_mul_f64_e32 v[32:33], v[165:166], v[32:33]
	v_add_f64_e32 v[169:170], v[169:170], v[175:176]
	v_add_f64_e32 v[167:168], v[167:168], v[173:174]
	v_fma_f64 v[173:174], v[4:5], v[26:27], v[177:178]
	v_fma_f64 v[175:176], v[2:3], v[26:27], -v[28:29]
	ds_load_b128 v[2:5], v1 offset:1600
	ds_load_b128 v[26:29], v1 offset:1616
	v_fma_f64 v[165:166], v[165:166], v[30:31], v[171:172]
	v_fma_f64 v[30:31], v[163:164], v[30:31], -v[32:33]
	v_add_f64_e32 v[159:160], v[169:170], v[159:160]
	v_add_f64_e32 v[161:162], v[167:168], v[161:162]
	s_wait_loadcnt_dscnt 0x701
	v_mul_f64_e32 v[167:168], v[2:3], v[36:37]
	v_mul_f64_e32 v[36:37], v[4:5], v[36:37]
	s_delay_alu instid0(VALU_DEP_4) | instskip(NEXT) | instid1(VALU_DEP_4)
	v_add_f64_e32 v[32:33], v[159:160], v[175:176]
	v_add_f64_e32 v[159:160], v[161:162], v[173:174]
	s_wait_loadcnt_dscnt 0x600
	v_mul_f64_e32 v[161:162], v[26:27], v[40:41]
	v_mul_f64_e32 v[40:41], v[28:29], v[40:41]
	v_fma_f64 v[163:164], v[4:5], v[34:35], v[167:168]
	v_fma_f64 v[34:35], v[2:3], v[34:35], -v[36:37]
	v_add_f64_e32 v[36:37], v[32:33], v[30:31]
	v_add_f64_e32 v[159:160], v[159:160], v[165:166]
	ds_load_b128 v[2:5], v1 offset:1632
	ds_load_b128 v[30:33], v1 offset:1648
	v_fma_f64 v[28:29], v[28:29], v[38:39], v[161:162]
	v_fma_f64 v[26:27], v[26:27], v[38:39], -v[40:41]
	s_wait_loadcnt_dscnt 0x501
	v_mul_f64_e32 v[165:166], v[2:3], v[44:45]
	v_mul_f64_e32 v[44:45], v[4:5], v[44:45]
	s_wait_loadcnt_dscnt 0x400
	v_mul_f64_e32 v[38:39], v[30:31], v[8:9]
	v_mul_f64_e32 v[8:9], v[32:33], v[8:9]
	v_add_f64_e32 v[34:35], v[36:37], v[34:35]
	v_add_f64_e32 v[36:37], v[159:160], v[163:164]
	v_fma_f64 v[40:41], v[4:5], v[42:43], v[165:166]
	v_fma_f64 v[42:43], v[2:3], v[42:43], -v[44:45]
	v_fma_f64 v[32:33], v[32:33], v[6:7], v[38:39]
	v_fma_f64 v[6:7], v[30:31], v[6:7], -v[8:9]
	v_add_f64_e32 v[34:35], v[34:35], v[26:27]
	v_add_f64_e32 v[36:37], v[36:37], v[28:29]
	ds_load_b128 v[2:5], v1 offset:1664
	ds_load_b128 v[26:29], v1 offset:1680
	s_wait_loadcnt_dscnt 0x301
	v_mul_f64_e32 v[44:45], v[2:3], v[12:13]
	v_mul_f64_e32 v[12:13], v[4:5], v[12:13]
	v_add_f64_e32 v[8:9], v[34:35], v[42:43]
	v_add_f64_e32 v[30:31], v[36:37], v[40:41]
	s_wait_loadcnt_dscnt 0x200
	v_mul_f64_e32 v[34:35], v[26:27], v[16:17]
	v_mul_f64_e32 v[16:17], v[28:29], v[16:17]
	v_fma_f64 v[36:37], v[4:5], v[10:11], v[44:45]
	v_fma_f64 v[10:11], v[2:3], v[10:11], -v[12:13]
	v_add_f64_e32 v[12:13], v[8:9], v[6:7]
	v_add_f64_e32 v[30:31], v[30:31], v[32:33]
	ds_load_b128 v[2:5], v1 offset:1696
	ds_load_b128 v[6:9], v1 offset:1712
	v_fma_f64 v[28:29], v[28:29], v[14:15], v[34:35]
	v_fma_f64 v[14:15], v[26:27], v[14:15], -v[16:17]
	s_wait_loadcnt_dscnt 0x101
	v_mul_f64_e32 v[32:33], v[2:3], v[20:21]
	v_mul_f64_e32 v[20:21], v[4:5], v[20:21]
	s_wait_loadcnt_dscnt 0x0
	v_mul_f64_e32 v[16:17], v[6:7], v[24:25]
	v_mul_f64_e32 v[24:25], v[8:9], v[24:25]
	v_add_f64_e32 v[10:11], v[12:13], v[10:11]
	v_add_f64_e32 v[12:13], v[30:31], v[36:37]
	v_fma_f64 v[4:5], v[4:5], v[18:19], v[32:33]
	v_fma_f64 v[1:2], v[2:3], v[18:19], -v[20:21]
	v_fma_f64 v[8:9], v[8:9], v[22:23], v[16:17]
	v_fma_f64 v[6:7], v[6:7], v[22:23], -v[24:25]
	v_add_f64_e32 v[10:11], v[10:11], v[14:15]
	v_add_f64_e32 v[12:13], v[12:13], v[28:29]
	s_delay_alu instid0(VALU_DEP_2) | instskip(NEXT) | instid1(VALU_DEP_2)
	v_add_f64_e32 v[1:2], v[10:11], v[1:2]
	v_add_f64_e32 v[3:4], v[12:13], v[4:5]
	s_delay_alu instid0(VALU_DEP_2) | instskip(NEXT) | instid1(VALU_DEP_2)
	;; [unrolled: 3-line block ×3, first 2 shown]
	v_add_f64_e64 v[1:2], v[155:156], -v[1:2]
	v_add_f64_e64 v[3:4], v[157:158], -v[3:4]
	scratch_store_b128 off, v[1:4], off offset:128
	v_cmpx_lt_u32_e32 6, v0
	s_cbranch_execz .LBB53_325
; %bb.324:
	scratch_load_b128 v[1:4], off, s61
	v_mov_b32_e32 v5, 0
	s_delay_alu instid0(VALU_DEP_1)
	v_dual_mov_b32 v6, v5 :: v_dual_mov_b32 v7, v5
	v_mov_b32_e32 v8, v5
	scratch_store_b128 off, v[5:8], off offset:112
	s_wait_loadcnt 0x0
	ds_store_b128 v154, v[1:4]
.LBB53_325:
	s_wait_alu 0xfffe
	s_or_b32 exec_lo, exec_lo, s0
	s_wait_storecnt_dscnt 0x0
	s_barrier_signal -1
	s_barrier_wait -1
	global_inv scope:SCOPE_SE
	s_clause 0x7
	scratch_load_b128 v[2:5], off, off offset:128
	scratch_load_b128 v[6:9], off, off offset:144
	;; [unrolled: 1-line block ×8, first 2 shown]
	v_mov_b32_e32 v1, 0
	s_mov_b32 s0, exec_lo
	ds_load_b128 v[38:41], v1 offset:976
	s_clause 0x1
	scratch_load_b128 v[34:37], off, off offset:256
	scratch_load_b128 v[42:45], off, off offset:112
	ds_load_b128 v[155:158], v1 offset:992
	scratch_load_b128 v[159:162], off, off offset:272
	s_wait_loadcnt_dscnt 0xa01
	v_mul_f64_e32 v[163:164], v[40:41], v[4:5]
	v_mul_f64_e32 v[4:5], v[38:39], v[4:5]
	s_delay_alu instid0(VALU_DEP_2) | instskip(NEXT) | instid1(VALU_DEP_2)
	v_fma_f64 v[169:170], v[38:39], v[2:3], -v[163:164]
	v_fma_f64 v[171:172], v[40:41], v[2:3], v[4:5]
	ds_load_b128 v[2:5], v1 offset:1008
	s_wait_loadcnt_dscnt 0x901
	v_mul_f64_e32 v[167:168], v[155:156], v[8:9]
	v_mul_f64_e32 v[8:9], v[157:158], v[8:9]
	scratch_load_b128 v[38:41], off, off offset:288
	ds_load_b128 v[163:166], v1 offset:1024
	s_wait_loadcnt_dscnt 0x901
	v_mul_f64_e32 v[173:174], v[2:3], v[12:13]
	v_mul_f64_e32 v[12:13], v[4:5], v[12:13]
	v_fma_f64 v[157:158], v[157:158], v[6:7], v[167:168]
	v_fma_f64 v[155:156], v[155:156], v[6:7], -v[8:9]
	v_add_f64_e32 v[167:168], 0, v[169:170]
	v_add_f64_e32 v[169:170], 0, v[171:172]
	scratch_load_b128 v[6:9], off, off offset:304
	v_fma_f64 v[173:174], v[4:5], v[10:11], v[173:174]
	v_fma_f64 v[175:176], v[2:3], v[10:11], -v[12:13]
	ds_load_b128 v[2:5], v1 offset:1040
	s_wait_loadcnt_dscnt 0x901
	v_mul_f64_e32 v[171:172], v[163:164], v[16:17]
	v_mul_f64_e32 v[16:17], v[165:166], v[16:17]
	scratch_load_b128 v[10:13], off, off offset:320
	v_add_f64_e32 v[167:168], v[167:168], v[155:156]
	v_add_f64_e32 v[169:170], v[169:170], v[157:158]
	s_wait_loadcnt_dscnt 0x900
	v_mul_f64_e32 v[177:178], v[2:3], v[20:21]
	v_mul_f64_e32 v[20:21], v[4:5], v[20:21]
	ds_load_b128 v[155:158], v1 offset:1056
	v_fma_f64 v[165:166], v[165:166], v[14:15], v[171:172]
	v_fma_f64 v[163:164], v[163:164], v[14:15], -v[16:17]
	scratch_load_b128 v[14:17], off, off offset:336
	v_add_f64_e32 v[167:168], v[167:168], v[175:176]
	v_add_f64_e32 v[169:170], v[169:170], v[173:174]
	v_fma_f64 v[173:174], v[4:5], v[18:19], v[177:178]
	v_fma_f64 v[175:176], v[2:3], v[18:19], -v[20:21]
	ds_load_b128 v[2:5], v1 offset:1072
	s_wait_loadcnt_dscnt 0x901
	v_mul_f64_e32 v[171:172], v[155:156], v[24:25]
	v_mul_f64_e32 v[24:25], v[157:158], v[24:25]
	scratch_load_b128 v[18:21], off, off offset:352
	s_wait_loadcnt_dscnt 0x900
	v_mul_f64_e32 v[177:178], v[2:3], v[28:29]
	v_mul_f64_e32 v[28:29], v[4:5], v[28:29]
	v_add_f64_e32 v[167:168], v[167:168], v[163:164]
	v_add_f64_e32 v[169:170], v[169:170], v[165:166]
	ds_load_b128 v[163:166], v1 offset:1088
	v_fma_f64 v[157:158], v[157:158], v[22:23], v[171:172]
	v_fma_f64 v[155:156], v[155:156], v[22:23], -v[24:25]
	scratch_load_b128 v[22:25], off, off offset:368
	v_add_f64_e32 v[167:168], v[167:168], v[175:176]
	v_add_f64_e32 v[169:170], v[169:170], v[173:174]
	v_fma_f64 v[173:174], v[4:5], v[26:27], v[177:178]
	v_fma_f64 v[175:176], v[2:3], v[26:27], -v[28:29]
	ds_load_b128 v[2:5], v1 offset:1104
	s_wait_loadcnt_dscnt 0x901
	v_mul_f64_e32 v[171:172], v[163:164], v[32:33]
	v_mul_f64_e32 v[32:33], v[165:166], v[32:33]
	scratch_load_b128 v[26:29], off, off offset:384
	s_wait_loadcnt_dscnt 0x900
	v_mul_f64_e32 v[177:178], v[2:3], v[36:37]
	v_mul_f64_e32 v[36:37], v[4:5], v[36:37]
	v_add_f64_e32 v[167:168], v[167:168], v[155:156]
	v_add_f64_e32 v[169:170], v[169:170], v[157:158]
	ds_load_b128 v[155:158], v1 offset:1120
	v_fma_f64 v[165:166], v[165:166], v[30:31], v[171:172]
	v_fma_f64 v[163:164], v[163:164], v[30:31], -v[32:33]
	scratch_load_b128 v[30:33], off, off offset:400
	v_add_f64_e32 v[167:168], v[167:168], v[175:176]
	v_add_f64_e32 v[169:170], v[169:170], v[173:174]
	v_fma_f64 v[175:176], v[4:5], v[34:35], v[177:178]
	v_fma_f64 v[177:178], v[2:3], v[34:35], -v[36:37]
	ds_load_b128 v[2:5], v1 offset:1136
	s_wait_loadcnt_dscnt 0x801
	v_mul_f64_e32 v[171:172], v[155:156], v[161:162]
	v_mul_f64_e32 v[173:174], v[157:158], v[161:162]
	scratch_load_b128 v[34:37], off, off offset:416
	v_add_f64_e32 v[167:168], v[167:168], v[163:164]
	v_add_f64_e32 v[165:166], v[169:170], v[165:166]
	ds_load_b128 v[161:164], v1 offset:1152
	v_fma_f64 v[171:172], v[157:158], v[159:160], v[171:172]
	v_fma_f64 v[159:160], v[155:156], v[159:160], -v[173:174]
	scratch_load_b128 v[155:158], off, off offset:432
	s_wait_loadcnt_dscnt 0x901
	v_mul_f64_e32 v[169:170], v[2:3], v[40:41]
	v_mul_f64_e32 v[40:41], v[4:5], v[40:41]
	v_add_f64_e32 v[167:168], v[167:168], v[177:178]
	v_add_f64_e32 v[165:166], v[165:166], v[175:176]
	s_delay_alu instid0(VALU_DEP_4) | instskip(NEXT) | instid1(VALU_DEP_4)
	v_fma_f64 v[169:170], v[4:5], v[38:39], v[169:170]
	v_fma_f64 v[175:176], v[2:3], v[38:39], -v[40:41]
	ds_load_b128 v[2:5], v1 offset:1168
	s_wait_loadcnt_dscnt 0x801
	v_mul_f64_e32 v[173:174], v[161:162], v[8:9]
	v_mul_f64_e32 v[8:9], v[163:164], v[8:9]
	scratch_load_b128 v[38:41], off, off offset:448
	s_wait_loadcnt_dscnt 0x800
	v_mul_f64_e32 v[177:178], v[2:3], v[12:13]
	v_add_f64_e32 v[159:160], v[167:168], v[159:160]
	v_add_f64_e32 v[171:172], v[165:166], v[171:172]
	v_mul_f64_e32 v[12:13], v[4:5], v[12:13]
	ds_load_b128 v[165:168], v1 offset:1184
	v_fma_f64 v[163:164], v[163:164], v[6:7], v[173:174]
	v_fma_f64 v[161:162], v[161:162], v[6:7], -v[8:9]
	scratch_load_b128 v[6:9], off, off offset:464
	v_fma_f64 v[173:174], v[4:5], v[10:11], v[177:178]
	v_add_f64_e32 v[159:160], v[159:160], v[175:176]
	v_add_f64_e32 v[169:170], v[171:172], v[169:170]
	v_fma_f64 v[175:176], v[2:3], v[10:11], -v[12:13]
	ds_load_b128 v[2:5], v1 offset:1200
	s_wait_loadcnt_dscnt 0x801
	v_mul_f64_e32 v[171:172], v[165:166], v[16:17]
	v_mul_f64_e32 v[16:17], v[167:168], v[16:17]
	scratch_load_b128 v[10:13], off, off offset:480
	v_add_f64_e32 v[177:178], v[159:160], v[161:162]
	v_add_f64_e32 v[163:164], v[169:170], v[163:164]
	s_wait_loadcnt_dscnt 0x800
	v_mul_f64_e32 v[169:170], v[2:3], v[20:21]
	v_mul_f64_e32 v[20:21], v[4:5], v[20:21]
	v_fma_f64 v[167:168], v[167:168], v[14:15], v[171:172]
	v_fma_f64 v[165:166], v[165:166], v[14:15], -v[16:17]
	ds_load_b128 v[159:162], v1 offset:1216
	scratch_load_b128 v[14:17], off, off offset:496
	v_add_f64_e32 v[171:172], v[177:178], v[175:176]
	v_add_f64_e32 v[163:164], v[163:164], v[173:174]
	v_fma_f64 v[169:170], v[4:5], v[18:19], v[169:170]
	v_fma_f64 v[175:176], v[2:3], v[18:19], -v[20:21]
	ds_load_b128 v[2:5], v1 offset:1232
	s_wait_loadcnt_dscnt 0x801
	v_mul_f64_e32 v[173:174], v[159:160], v[24:25]
	v_mul_f64_e32 v[24:25], v[161:162], v[24:25]
	scratch_load_b128 v[18:21], off, off offset:512
	s_wait_loadcnt_dscnt 0x800
	v_mul_f64_e32 v[177:178], v[2:3], v[28:29]
	v_mul_f64_e32 v[28:29], v[4:5], v[28:29]
	v_add_f64_e32 v[171:172], v[171:172], v[165:166]
	v_add_f64_e32 v[167:168], v[163:164], v[167:168]
	ds_load_b128 v[163:166], v1 offset:1248
	v_fma_f64 v[161:162], v[161:162], v[22:23], v[173:174]
	v_fma_f64 v[159:160], v[159:160], v[22:23], -v[24:25]
	scratch_load_b128 v[22:25], off, off offset:528
	v_fma_f64 v[173:174], v[4:5], v[26:27], v[177:178]
	v_add_f64_e32 v[171:172], v[171:172], v[175:176]
	v_add_f64_e32 v[167:168], v[167:168], v[169:170]
	v_fma_f64 v[175:176], v[2:3], v[26:27], -v[28:29]
	ds_load_b128 v[2:5], v1 offset:1264
	s_wait_loadcnt_dscnt 0x801
	v_mul_f64_e32 v[169:170], v[163:164], v[32:33]
	v_mul_f64_e32 v[32:33], v[165:166], v[32:33]
	scratch_load_b128 v[26:29], off, off offset:544
	s_wait_loadcnt_dscnt 0x800
	v_mul_f64_e32 v[177:178], v[2:3], v[36:37]
	v_mul_f64_e32 v[36:37], v[4:5], v[36:37]
	v_add_f64_e32 v[171:172], v[171:172], v[159:160]
	v_add_f64_e32 v[167:168], v[167:168], v[161:162]
	ds_load_b128 v[159:162], v1 offset:1280
	v_fma_f64 v[165:166], v[165:166], v[30:31], v[169:170]
	v_fma_f64 v[163:164], v[163:164], v[30:31], -v[32:33]
	scratch_load_b128 v[30:33], off, off offset:560
	v_add_f64_e32 v[169:170], v[171:172], v[175:176]
	v_add_f64_e32 v[167:168], v[167:168], v[173:174]
	v_fma_f64 v[173:174], v[4:5], v[34:35], v[177:178]
	v_fma_f64 v[175:176], v[2:3], v[34:35], -v[36:37]
	ds_load_b128 v[2:5], v1 offset:1296
	s_wait_loadcnt_dscnt 0x801
	v_mul_f64_e32 v[171:172], v[159:160], v[157:158]
	v_mul_f64_e32 v[157:158], v[161:162], v[157:158]
	scratch_load_b128 v[34:37], off, off offset:576
	s_wait_loadcnt_dscnt 0x800
	v_mul_f64_e32 v[177:178], v[2:3], v[40:41]
	v_mul_f64_e32 v[40:41], v[4:5], v[40:41]
	v_add_f64_e32 v[169:170], v[169:170], v[163:164]
	v_add_f64_e32 v[167:168], v[167:168], v[165:166]
	ds_load_b128 v[163:166], v1 offset:1312
	v_fma_f64 v[161:162], v[161:162], v[155:156], v[171:172]
	v_fma_f64 v[159:160], v[159:160], v[155:156], -v[157:158]
	scratch_load_b128 v[155:158], off, off offset:592
	v_add_f64_e32 v[169:170], v[169:170], v[175:176]
	v_add_f64_e32 v[167:168], v[167:168], v[173:174]
	v_fma_f64 v[173:174], v[4:5], v[38:39], v[177:178]
	v_fma_f64 v[175:176], v[2:3], v[38:39], -v[40:41]
	ds_load_b128 v[2:5], v1 offset:1328
	s_wait_loadcnt_dscnt 0x801
	v_mul_f64_e32 v[171:172], v[163:164], v[8:9]
	v_mul_f64_e32 v[8:9], v[165:166], v[8:9]
	scratch_load_b128 v[38:41], off, off offset:608
	s_wait_loadcnt_dscnt 0x800
	v_mul_f64_e32 v[177:178], v[2:3], v[12:13]
	v_mul_f64_e32 v[12:13], v[4:5], v[12:13]
	v_add_f64_e32 v[169:170], v[169:170], v[159:160]
	v_add_f64_e32 v[167:168], v[167:168], v[161:162]
	ds_load_b128 v[159:162], v1 offset:1344
	v_fma_f64 v[165:166], v[165:166], v[6:7], v[171:172]
	v_fma_f64 v[163:164], v[163:164], v[6:7], -v[8:9]
	scratch_load_b128 v[6:9], off, off offset:624
	v_add_f64_e32 v[169:170], v[169:170], v[175:176]
	v_add_f64_e32 v[167:168], v[167:168], v[173:174]
	v_fma_f64 v[173:174], v[4:5], v[10:11], v[177:178]
	v_fma_f64 v[175:176], v[2:3], v[10:11], -v[12:13]
	ds_load_b128 v[2:5], v1 offset:1360
	s_wait_loadcnt_dscnt 0x801
	v_mul_f64_e32 v[171:172], v[159:160], v[16:17]
	v_mul_f64_e32 v[16:17], v[161:162], v[16:17]
	scratch_load_b128 v[10:13], off, off offset:640
	s_wait_loadcnt_dscnt 0x800
	v_mul_f64_e32 v[177:178], v[2:3], v[20:21]
	v_mul_f64_e32 v[20:21], v[4:5], v[20:21]
	v_add_f64_e32 v[169:170], v[169:170], v[163:164]
	v_add_f64_e32 v[167:168], v[167:168], v[165:166]
	ds_load_b128 v[163:166], v1 offset:1376
	v_fma_f64 v[161:162], v[161:162], v[14:15], v[171:172]
	v_fma_f64 v[159:160], v[159:160], v[14:15], -v[16:17]
	scratch_load_b128 v[14:17], off, off offset:656
	v_add_f64_e32 v[169:170], v[169:170], v[175:176]
	v_add_f64_e32 v[167:168], v[167:168], v[173:174]
	v_fma_f64 v[173:174], v[4:5], v[18:19], v[177:178]
	v_fma_f64 v[175:176], v[2:3], v[18:19], -v[20:21]
	ds_load_b128 v[2:5], v1 offset:1392
	s_wait_loadcnt_dscnt 0x801
	v_mul_f64_e32 v[171:172], v[163:164], v[24:25]
	v_mul_f64_e32 v[24:25], v[165:166], v[24:25]
	scratch_load_b128 v[18:21], off, off offset:672
	s_wait_loadcnt_dscnt 0x800
	v_mul_f64_e32 v[177:178], v[2:3], v[28:29]
	v_mul_f64_e32 v[28:29], v[4:5], v[28:29]
	v_add_f64_e32 v[169:170], v[169:170], v[159:160]
	v_add_f64_e32 v[167:168], v[167:168], v[161:162]
	ds_load_b128 v[159:162], v1 offset:1408
	v_fma_f64 v[165:166], v[165:166], v[22:23], v[171:172]
	v_fma_f64 v[163:164], v[163:164], v[22:23], -v[24:25]
	scratch_load_b128 v[22:25], off, off offset:688
	v_add_f64_e32 v[169:170], v[169:170], v[175:176]
	v_add_f64_e32 v[167:168], v[167:168], v[173:174]
	v_fma_f64 v[173:174], v[4:5], v[26:27], v[177:178]
	v_fma_f64 v[175:176], v[2:3], v[26:27], -v[28:29]
	ds_load_b128 v[2:5], v1 offset:1424
	s_wait_loadcnt_dscnt 0x801
	v_mul_f64_e32 v[171:172], v[159:160], v[32:33]
	v_mul_f64_e32 v[32:33], v[161:162], v[32:33]
	scratch_load_b128 v[26:29], off, off offset:704
	s_wait_loadcnt_dscnt 0x800
	v_mul_f64_e32 v[177:178], v[2:3], v[36:37]
	v_mul_f64_e32 v[36:37], v[4:5], v[36:37]
	v_add_f64_e32 v[169:170], v[169:170], v[163:164]
	v_add_f64_e32 v[167:168], v[167:168], v[165:166]
	ds_load_b128 v[163:166], v1 offset:1440
	v_fma_f64 v[161:162], v[161:162], v[30:31], v[171:172]
	v_fma_f64 v[159:160], v[159:160], v[30:31], -v[32:33]
	scratch_load_b128 v[30:33], off, off offset:720
	v_add_f64_e32 v[169:170], v[169:170], v[175:176]
	v_add_f64_e32 v[167:168], v[167:168], v[173:174]
	v_fma_f64 v[175:176], v[4:5], v[34:35], v[177:178]
	v_fma_f64 v[177:178], v[2:3], v[34:35], -v[36:37]
	ds_load_b128 v[2:5], v1 offset:1456
	s_wait_loadcnt_dscnt 0x801
	v_mul_f64_e32 v[171:172], v[163:164], v[157:158]
	v_mul_f64_e32 v[173:174], v[165:166], v[157:158]
	scratch_load_b128 v[34:37], off, off offset:736
	v_add_f64_e32 v[169:170], v[169:170], v[159:160]
	v_add_f64_e32 v[161:162], v[167:168], v[161:162]
	s_wait_loadcnt_dscnt 0x800
	v_mul_f64_e32 v[167:168], v[2:3], v[40:41]
	v_mul_f64_e32 v[40:41], v[4:5], v[40:41]
	ds_load_b128 v[157:160], v1 offset:1472
	v_fma_f64 v[165:166], v[165:166], v[155:156], v[171:172]
	v_fma_f64 v[155:156], v[163:164], v[155:156], -v[173:174]
	v_add_f64_e32 v[169:170], v[169:170], v[177:178]
	v_add_f64_e32 v[171:172], v[161:162], v[175:176]
	scratch_load_b128 v[161:164], off, off offset:752
	v_fma_f64 v[175:176], v[4:5], v[38:39], v[167:168]
	v_fma_f64 v[177:178], v[2:3], v[38:39], -v[40:41]
	ds_load_b128 v[2:5], v1 offset:1488
	s_wait_loadcnt_dscnt 0x801
	v_mul_f64_e32 v[173:174], v[157:158], v[8:9]
	v_mul_f64_e32 v[8:9], v[159:160], v[8:9]
	scratch_load_b128 v[38:41], off, off offset:768
	v_add_f64_e32 v[155:156], v[169:170], v[155:156]
	v_add_f64_e32 v[169:170], v[171:172], v[165:166]
	s_wait_loadcnt_dscnt 0x800
	v_mul_f64_e32 v[171:172], v[2:3], v[12:13]
	v_mul_f64_e32 v[12:13], v[4:5], v[12:13]
	ds_load_b128 v[165:168], v1 offset:1504
	v_fma_f64 v[159:160], v[159:160], v[6:7], v[173:174]
	v_fma_f64 v[157:158], v[157:158], v[6:7], -v[8:9]
	scratch_load_b128 v[6:9], off, off offset:784
	v_add_f64_e32 v[155:156], v[155:156], v[177:178]
	v_add_f64_e32 v[169:170], v[169:170], v[175:176]
	v_fma_f64 v[171:172], v[4:5], v[10:11], v[171:172]
	v_fma_f64 v[175:176], v[2:3], v[10:11], -v[12:13]
	ds_load_b128 v[2:5], v1 offset:1520
	s_wait_loadcnt_dscnt 0x801
	v_mul_f64_e32 v[173:174], v[165:166], v[16:17]
	v_mul_f64_e32 v[16:17], v[167:168], v[16:17]
	scratch_load_b128 v[10:13], off, off offset:800
	v_add_f64_e32 v[177:178], v[155:156], v[157:158]
	v_add_f64_e32 v[159:160], v[169:170], v[159:160]
	s_wait_loadcnt_dscnt 0x800
	v_mul_f64_e32 v[169:170], v[2:3], v[20:21]
	v_mul_f64_e32 v[20:21], v[4:5], v[20:21]
	ds_load_b128 v[155:158], v1 offset:1536
	v_fma_f64 v[167:168], v[167:168], v[14:15], v[173:174]
	v_fma_f64 v[165:166], v[165:166], v[14:15], -v[16:17]
	scratch_load_b128 v[14:17], off, off offset:816
	v_add_f64_e32 v[173:174], v[177:178], v[175:176]
	v_add_f64_e32 v[159:160], v[159:160], v[171:172]
	v_fma_f64 v[169:170], v[4:5], v[18:19], v[169:170]
	v_fma_f64 v[175:176], v[2:3], v[18:19], -v[20:21]
	ds_load_b128 v[2:5], v1 offset:1552
	s_wait_loadcnt_dscnt 0x801
	v_mul_f64_e32 v[171:172], v[155:156], v[24:25]
	v_mul_f64_e32 v[24:25], v[157:158], v[24:25]
	scratch_load_b128 v[18:21], off, off offset:832
	s_wait_loadcnt_dscnt 0x800
	v_mul_f64_e32 v[177:178], v[2:3], v[28:29]
	v_mul_f64_e32 v[28:29], v[4:5], v[28:29]
	v_add_f64_e32 v[173:174], v[173:174], v[165:166]
	v_add_f64_e32 v[159:160], v[159:160], v[167:168]
	ds_load_b128 v[165:168], v1 offset:1568
	v_fma_f64 v[157:158], v[157:158], v[22:23], v[171:172]
	v_fma_f64 v[155:156], v[155:156], v[22:23], -v[24:25]
	scratch_load_b128 v[22:25], off, off offset:848
	v_add_f64_e32 v[171:172], v[173:174], v[175:176]
	v_add_f64_e32 v[159:160], v[159:160], v[169:170]
	v_fma_f64 v[173:174], v[4:5], v[26:27], v[177:178]
	v_fma_f64 v[175:176], v[2:3], v[26:27], -v[28:29]
	ds_load_b128 v[2:5], v1 offset:1584
	s_wait_loadcnt_dscnt 0x801
	v_mul_f64_e32 v[169:170], v[165:166], v[32:33]
	v_mul_f64_e32 v[32:33], v[167:168], v[32:33]
	scratch_load_b128 v[26:29], off, off offset:864
	s_wait_loadcnt_dscnt 0x800
	v_mul_f64_e32 v[177:178], v[2:3], v[36:37]
	v_mul_f64_e32 v[36:37], v[4:5], v[36:37]
	v_add_f64_e32 v[171:172], v[171:172], v[155:156]
	v_add_f64_e32 v[159:160], v[159:160], v[157:158]
	ds_load_b128 v[155:158], v1 offset:1600
	v_fma_f64 v[167:168], v[167:168], v[30:31], v[169:170]
	v_fma_f64 v[30:31], v[165:166], v[30:31], -v[32:33]
	v_fma_f64 v[169:170], v[4:5], v[34:35], v[177:178]
	v_fma_f64 v[34:35], v[2:3], v[34:35], -v[36:37]
	v_add_f64_e32 v[32:33], v[171:172], v[175:176]
	v_add_f64_e32 v[159:160], v[159:160], v[173:174]
	s_wait_loadcnt_dscnt 0x700
	v_mul_f64_e32 v[165:166], v[155:156], v[163:164]
	v_mul_f64_e32 v[163:164], v[157:158], v[163:164]
	s_delay_alu instid0(VALU_DEP_4) | instskip(NEXT) | instid1(VALU_DEP_4)
	v_add_f64_e32 v[36:37], v[32:33], v[30:31]
	v_add_f64_e32 v[159:160], v[159:160], v[167:168]
	ds_load_b128 v[2:5], v1 offset:1616
	ds_load_b128 v[30:33], v1 offset:1632
	v_fma_f64 v[157:158], v[157:158], v[161:162], v[165:166]
	v_fma_f64 v[155:156], v[155:156], v[161:162], -v[163:164]
	s_wait_loadcnt_dscnt 0x601
	v_mul_f64_e32 v[167:168], v[2:3], v[40:41]
	v_mul_f64_e32 v[40:41], v[4:5], v[40:41]
	v_add_f64_e32 v[34:35], v[36:37], v[34:35]
	v_add_f64_e32 v[36:37], v[159:160], v[169:170]
	s_wait_loadcnt_dscnt 0x500
	v_mul_f64_e32 v[159:160], v[30:31], v[8:9]
	v_mul_f64_e32 v[8:9], v[32:33], v[8:9]
	v_fma_f64 v[161:162], v[4:5], v[38:39], v[167:168]
	v_fma_f64 v[38:39], v[2:3], v[38:39], -v[40:41]
	v_add_f64_e32 v[40:41], v[34:35], v[155:156]
	v_add_f64_e32 v[155:156], v[36:37], v[157:158]
	ds_load_b128 v[2:5], v1 offset:1648
	ds_load_b128 v[34:37], v1 offset:1664
	v_fma_f64 v[32:33], v[32:33], v[6:7], v[159:160]
	v_fma_f64 v[6:7], v[30:31], v[6:7], -v[8:9]
	s_wait_loadcnt_dscnt 0x401
	v_mul_f64_e32 v[157:158], v[2:3], v[12:13]
	v_mul_f64_e32 v[12:13], v[4:5], v[12:13]
	v_add_f64_e32 v[8:9], v[40:41], v[38:39]
	v_add_f64_e32 v[30:31], v[155:156], v[161:162]
	s_wait_loadcnt_dscnt 0x300
	v_mul_f64_e32 v[38:39], v[34:35], v[16:17]
	v_mul_f64_e32 v[16:17], v[36:37], v[16:17]
	v_fma_f64 v[40:41], v[4:5], v[10:11], v[157:158]
	v_fma_f64 v[10:11], v[2:3], v[10:11], -v[12:13]
	v_add_f64_e32 v[12:13], v[8:9], v[6:7]
	v_add_f64_e32 v[30:31], v[30:31], v[32:33]
	ds_load_b128 v[2:5], v1 offset:1680
	ds_load_b128 v[6:9], v1 offset:1696
	v_fma_f64 v[36:37], v[36:37], v[14:15], v[38:39]
	v_fma_f64 v[14:15], v[34:35], v[14:15], -v[16:17]
	s_wait_loadcnt_dscnt 0x201
	v_mul_f64_e32 v[32:33], v[2:3], v[20:21]
	v_mul_f64_e32 v[20:21], v[4:5], v[20:21]
	s_wait_loadcnt_dscnt 0x100
	v_mul_f64_e32 v[16:17], v[6:7], v[24:25]
	v_mul_f64_e32 v[24:25], v[8:9], v[24:25]
	v_add_f64_e32 v[10:11], v[12:13], v[10:11]
	v_add_f64_e32 v[12:13], v[30:31], v[40:41]
	v_fma_f64 v[30:31], v[4:5], v[18:19], v[32:33]
	v_fma_f64 v[18:19], v[2:3], v[18:19], -v[20:21]
	ds_load_b128 v[2:5], v1 offset:1712
	v_fma_f64 v[8:9], v[8:9], v[22:23], v[16:17]
	v_fma_f64 v[6:7], v[6:7], v[22:23], -v[24:25]
	v_add_f64_e32 v[10:11], v[10:11], v[14:15]
	v_add_f64_e32 v[12:13], v[12:13], v[36:37]
	s_wait_loadcnt_dscnt 0x0
	v_mul_f64_e32 v[14:15], v[2:3], v[28:29]
	v_mul_f64_e32 v[20:21], v[4:5], v[28:29]
	s_delay_alu instid0(VALU_DEP_4) | instskip(NEXT) | instid1(VALU_DEP_4)
	v_add_f64_e32 v[10:11], v[10:11], v[18:19]
	v_add_f64_e32 v[12:13], v[12:13], v[30:31]
	s_delay_alu instid0(VALU_DEP_4) | instskip(NEXT) | instid1(VALU_DEP_4)
	v_fma_f64 v[4:5], v[4:5], v[26:27], v[14:15]
	v_fma_f64 v[2:3], v[2:3], v[26:27], -v[20:21]
	s_delay_alu instid0(VALU_DEP_4) | instskip(NEXT) | instid1(VALU_DEP_4)
	v_add_f64_e32 v[6:7], v[10:11], v[6:7]
	v_add_f64_e32 v[8:9], v[12:13], v[8:9]
	s_delay_alu instid0(VALU_DEP_2) | instskip(NEXT) | instid1(VALU_DEP_2)
	v_add_f64_e32 v[2:3], v[6:7], v[2:3]
	v_add_f64_e32 v[4:5], v[8:9], v[4:5]
	s_delay_alu instid0(VALU_DEP_2) | instskip(NEXT) | instid1(VALU_DEP_2)
	v_add_f64_e64 v[2:3], v[42:43], -v[2:3]
	v_add_f64_e64 v[4:5], v[44:45], -v[4:5]
	scratch_store_b128 off, v[2:5], off offset:112
	v_cmpx_lt_u32_e32 5, v0
	s_cbranch_execz .LBB53_327
; %bb.326:
	scratch_load_b128 v[5:8], off, s62
	v_dual_mov_b32 v2, v1 :: v_dual_mov_b32 v3, v1
	v_mov_b32_e32 v4, v1
	scratch_store_b128 off, v[1:4], off offset:96
	s_wait_loadcnt 0x0
	ds_store_b128 v154, v[5:8]
.LBB53_327:
	s_wait_alu 0xfffe
	s_or_b32 exec_lo, exec_lo, s0
	s_wait_storecnt_dscnt 0x0
	s_barrier_signal -1
	s_barrier_wait -1
	global_inv scope:SCOPE_SE
	s_clause 0x8
	scratch_load_b128 v[2:5], off, off offset:112
	scratch_load_b128 v[6:9], off, off offset:128
	;; [unrolled: 1-line block ×9, first 2 shown]
	ds_load_b128 v[42:45], v1 offset:960
	ds_load_b128 v[38:41], v1 offset:976
	s_clause 0x1
	scratch_load_b128 v[155:158], off, off offset:96
	scratch_load_b128 v[159:162], off, off offset:256
	s_mov_b32 s0, exec_lo
	s_wait_loadcnt_dscnt 0xa01
	v_mul_f64_e32 v[163:164], v[44:45], v[4:5]
	v_mul_f64_e32 v[4:5], v[42:43], v[4:5]
	s_wait_loadcnt_dscnt 0x900
	v_mul_f64_e32 v[167:168], v[38:39], v[8:9]
	v_mul_f64_e32 v[8:9], v[40:41], v[8:9]
	s_delay_alu instid0(VALU_DEP_4) | instskip(NEXT) | instid1(VALU_DEP_4)
	v_fma_f64 v[169:170], v[42:43], v[2:3], -v[163:164]
	v_fma_f64 v[171:172], v[44:45], v[2:3], v[4:5]
	ds_load_b128 v[2:5], v1 offset:992
	ds_load_b128 v[163:166], v1 offset:1008
	scratch_load_b128 v[42:45], off, off offset:272
	v_fma_f64 v[40:41], v[40:41], v[6:7], v[167:168]
	v_fma_f64 v[38:39], v[38:39], v[6:7], -v[8:9]
	scratch_load_b128 v[6:9], off, off offset:288
	s_wait_loadcnt_dscnt 0xa01
	v_mul_f64_e32 v[173:174], v[2:3], v[12:13]
	v_mul_f64_e32 v[12:13], v[4:5], v[12:13]
	v_add_f64_e32 v[167:168], 0, v[169:170]
	v_add_f64_e32 v[169:170], 0, v[171:172]
	s_wait_loadcnt_dscnt 0x900
	v_mul_f64_e32 v[171:172], v[163:164], v[16:17]
	v_mul_f64_e32 v[16:17], v[165:166], v[16:17]
	v_fma_f64 v[173:174], v[4:5], v[10:11], v[173:174]
	v_fma_f64 v[175:176], v[2:3], v[10:11], -v[12:13]
	ds_load_b128 v[2:5], v1 offset:1024
	scratch_load_b128 v[10:13], off, off offset:304
	v_add_f64_e32 v[167:168], v[167:168], v[38:39]
	v_add_f64_e32 v[169:170], v[169:170], v[40:41]
	ds_load_b128 v[38:41], v1 offset:1040
	v_fma_f64 v[165:166], v[165:166], v[14:15], v[171:172]
	v_fma_f64 v[163:164], v[163:164], v[14:15], -v[16:17]
	scratch_load_b128 v[14:17], off, off offset:320
	s_wait_loadcnt_dscnt 0xa01
	v_mul_f64_e32 v[177:178], v[2:3], v[20:21]
	v_mul_f64_e32 v[20:21], v[4:5], v[20:21]
	s_wait_loadcnt_dscnt 0x900
	v_mul_f64_e32 v[171:172], v[38:39], v[24:25]
	v_mul_f64_e32 v[24:25], v[40:41], v[24:25]
	v_add_f64_e32 v[167:168], v[167:168], v[175:176]
	v_add_f64_e32 v[169:170], v[169:170], v[173:174]
	v_fma_f64 v[173:174], v[4:5], v[18:19], v[177:178]
	v_fma_f64 v[175:176], v[2:3], v[18:19], -v[20:21]
	ds_load_b128 v[2:5], v1 offset:1056
	scratch_load_b128 v[18:21], off, off offset:336
	v_fma_f64 v[40:41], v[40:41], v[22:23], v[171:172]
	v_fma_f64 v[38:39], v[38:39], v[22:23], -v[24:25]
	scratch_load_b128 v[22:25], off, off offset:352
	v_add_f64_e32 v[167:168], v[167:168], v[163:164]
	v_add_f64_e32 v[169:170], v[169:170], v[165:166]
	ds_load_b128 v[163:166], v1 offset:1072
	s_wait_loadcnt_dscnt 0xa01
	v_mul_f64_e32 v[177:178], v[2:3], v[28:29]
	v_mul_f64_e32 v[28:29], v[4:5], v[28:29]
	s_wait_loadcnt_dscnt 0x900
	v_mul_f64_e32 v[171:172], v[163:164], v[32:33]
	v_mul_f64_e32 v[32:33], v[165:166], v[32:33]
	v_add_f64_e32 v[167:168], v[167:168], v[175:176]
	v_add_f64_e32 v[169:170], v[169:170], v[173:174]
	v_fma_f64 v[173:174], v[4:5], v[26:27], v[177:178]
	v_fma_f64 v[175:176], v[2:3], v[26:27], -v[28:29]
	ds_load_b128 v[2:5], v1 offset:1088
	scratch_load_b128 v[26:29], off, off offset:368
	v_fma_f64 v[165:166], v[165:166], v[30:31], v[171:172]
	v_fma_f64 v[163:164], v[163:164], v[30:31], -v[32:33]
	scratch_load_b128 v[30:33], off, off offset:384
	v_add_f64_e32 v[167:168], v[167:168], v[38:39]
	v_add_f64_e32 v[169:170], v[169:170], v[40:41]
	ds_load_b128 v[38:41], v1 offset:1104
	s_wait_loadcnt_dscnt 0xa01
	v_mul_f64_e32 v[177:178], v[2:3], v[36:37]
	v_mul_f64_e32 v[36:37], v[4:5], v[36:37]
	s_wait_loadcnt_dscnt 0x800
	v_mul_f64_e32 v[171:172], v[38:39], v[161:162]
	v_add_f64_e32 v[167:168], v[167:168], v[175:176]
	v_add_f64_e32 v[169:170], v[169:170], v[173:174]
	v_mul_f64_e32 v[173:174], v[40:41], v[161:162]
	v_fma_f64 v[175:176], v[4:5], v[34:35], v[177:178]
	v_fma_f64 v[177:178], v[2:3], v[34:35], -v[36:37]
	ds_load_b128 v[2:5], v1 offset:1120
	scratch_load_b128 v[34:37], off, off offset:400
	v_fma_f64 v[171:172], v[40:41], v[159:160], v[171:172]
	v_add_f64_e32 v[167:168], v[167:168], v[163:164]
	v_add_f64_e32 v[165:166], v[169:170], v[165:166]
	ds_load_b128 v[161:164], v1 offset:1136
	v_fma_f64 v[159:160], v[38:39], v[159:160], -v[173:174]
	scratch_load_b128 v[38:41], off, off offset:416
	s_wait_loadcnt_dscnt 0x901
	v_mul_f64_e32 v[169:170], v[2:3], v[44:45]
	v_mul_f64_e32 v[44:45], v[4:5], v[44:45]
	s_wait_loadcnt_dscnt 0x800
	v_mul_f64_e32 v[173:174], v[161:162], v[8:9]
	v_mul_f64_e32 v[8:9], v[163:164], v[8:9]
	v_add_f64_e32 v[167:168], v[167:168], v[177:178]
	v_add_f64_e32 v[165:166], v[165:166], v[175:176]
	v_fma_f64 v[169:170], v[4:5], v[42:43], v[169:170]
	v_fma_f64 v[175:176], v[2:3], v[42:43], -v[44:45]
	ds_load_b128 v[2:5], v1 offset:1152
	scratch_load_b128 v[42:45], off, off offset:432
	v_fma_f64 v[163:164], v[163:164], v[6:7], v[173:174]
	v_fma_f64 v[161:162], v[161:162], v[6:7], -v[8:9]
	scratch_load_b128 v[6:9], off, off offset:448
	v_add_f64_e32 v[159:160], v[167:168], v[159:160]
	v_add_f64_e32 v[171:172], v[165:166], v[171:172]
	ds_load_b128 v[165:168], v1 offset:1168
	s_wait_loadcnt_dscnt 0x901
	v_mul_f64_e32 v[177:178], v[2:3], v[12:13]
	v_mul_f64_e32 v[12:13], v[4:5], v[12:13]
	v_add_f64_e32 v[159:160], v[159:160], v[175:176]
	v_add_f64_e32 v[169:170], v[171:172], v[169:170]
	s_wait_loadcnt_dscnt 0x800
	v_mul_f64_e32 v[171:172], v[165:166], v[16:17]
	v_mul_f64_e32 v[16:17], v[167:168], v[16:17]
	v_fma_f64 v[173:174], v[4:5], v[10:11], v[177:178]
	v_fma_f64 v[175:176], v[2:3], v[10:11], -v[12:13]
	ds_load_b128 v[2:5], v1 offset:1184
	scratch_load_b128 v[10:13], off, off offset:464
	v_add_f64_e32 v[177:178], v[159:160], v[161:162]
	v_add_f64_e32 v[163:164], v[169:170], v[163:164]
	ds_load_b128 v[159:162], v1 offset:1200
	s_wait_loadcnt_dscnt 0x801
	v_mul_f64_e32 v[169:170], v[2:3], v[20:21]
	v_mul_f64_e32 v[20:21], v[4:5], v[20:21]
	v_fma_f64 v[167:168], v[167:168], v[14:15], v[171:172]
	v_fma_f64 v[165:166], v[165:166], v[14:15], -v[16:17]
	scratch_load_b128 v[14:17], off, off offset:480
	v_add_f64_e32 v[171:172], v[177:178], v[175:176]
	v_add_f64_e32 v[163:164], v[163:164], v[173:174]
	s_wait_loadcnt_dscnt 0x800
	v_mul_f64_e32 v[173:174], v[159:160], v[24:25]
	v_mul_f64_e32 v[24:25], v[161:162], v[24:25]
	v_fma_f64 v[169:170], v[4:5], v[18:19], v[169:170]
	v_fma_f64 v[175:176], v[2:3], v[18:19], -v[20:21]
	ds_load_b128 v[2:5], v1 offset:1216
	scratch_load_b128 v[18:21], off, off offset:496
	v_add_f64_e32 v[171:172], v[171:172], v[165:166]
	v_add_f64_e32 v[167:168], v[163:164], v[167:168]
	ds_load_b128 v[163:166], v1 offset:1232
	s_wait_loadcnt_dscnt 0x801
	v_mul_f64_e32 v[177:178], v[2:3], v[28:29]
	v_mul_f64_e32 v[28:29], v[4:5], v[28:29]
	v_fma_f64 v[161:162], v[161:162], v[22:23], v[173:174]
	v_fma_f64 v[159:160], v[159:160], v[22:23], -v[24:25]
	scratch_load_b128 v[22:25], off, off offset:512
	;; [unrolled: 18-line block ×4, first 2 shown]
	s_wait_loadcnt_dscnt 0x800
	v_mul_f64_e32 v[171:172], v[163:164], v[8:9]
	v_mul_f64_e32 v[8:9], v[165:166], v[8:9]
	v_add_f64_e32 v[169:170], v[169:170], v[175:176]
	v_add_f64_e32 v[167:168], v[167:168], v[173:174]
	v_fma_f64 v[173:174], v[4:5], v[42:43], v[177:178]
	v_fma_f64 v[175:176], v[2:3], v[42:43], -v[44:45]
	ds_load_b128 v[2:5], v1 offset:1312
	scratch_load_b128 v[42:45], off, off offset:592
	v_fma_f64 v[165:166], v[165:166], v[6:7], v[171:172]
	v_fma_f64 v[163:164], v[163:164], v[6:7], -v[8:9]
	scratch_load_b128 v[6:9], off, off offset:608
	v_add_f64_e32 v[169:170], v[169:170], v[159:160]
	v_add_f64_e32 v[167:168], v[167:168], v[161:162]
	ds_load_b128 v[159:162], v1 offset:1328
	s_wait_loadcnt_dscnt 0x901
	v_mul_f64_e32 v[177:178], v[2:3], v[12:13]
	v_mul_f64_e32 v[12:13], v[4:5], v[12:13]
	s_wait_loadcnt_dscnt 0x800
	v_mul_f64_e32 v[171:172], v[159:160], v[16:17]
	v_mul_f64_e32 v[16:17], v[161:162], v[16:17]
	v_add_f64_e32 v[169:170], v[169:170], v[175:176]
	v_add_f64_e32 v[167:168], v[167:168], v[173:174]
	v_fma_f64 v[173:174], v[4:5], v[10:11], v[177:178]
	v_fma_f64 v[175:176], v[2:3], v[10:11], -v[12:13]
	ds_load_b128 v[2:5], v1 offset:1344
	scratch_load_b128 v[10:13], off, off offset:624
	v_fma_f64 v[161:162], v[161:162], v[14:15], v[171:172]
	v_fma_f64 v[159:160], v[159:160], v[14:15], -v[16:17]
	scratch_load_b128 v[14:17], off, off offset:640
	v_add_f64_e32 v[169:170], v[169:170], v[163:164]
	v_add_f64_e32 v[167:168], v[167:168], v[165:166]
	ds_load_b128 v[163:166], v1 offset:1360
	s_wait_loadcnt_dscnt 0x901
	v_mul_f64_e32 v[177:178], v[2:3], v[20:21]
	v_mul_f64_e32 v[20:21], v[4:5], v[20:21]
	;; [unrolled: 18-line block ×9, first 2 shown]
	s_wait_loadcnt_dscnt 0x800
	v_mul_f64_e32 v[171:172], v[159:160], v[40:41]
	v_mul_f64_e32 v[40:41], v[161:162], v[40:41]
	v_add_f64_e32 v[169:170], v[169:170], v[175:176]
	v_add_f64_e32 v[167:168], v[167:168], v[173:174]
	v_fma_f64 v[173:174], v[4:5], v[34:35], v[177:178]
	v_fma_f64 v[175:176], v[2:3], v[34:35], -v[36:37]
	ds_load_b128 v[2:5], v1 offset:1600
	ds_load_b128 v[34:37], v1 offset:1616
	v_fma_f64 v[161:162], v[161:162], v[38:39], v[171:172]
	v_fma_f64 v[38:39], v[159:160], v[38:39], -v[40:41]
	v_add_f64_e32 v[163:164], v[169:170], v[163:164]
	v_add_f64_e32 v[165:166], v[167:168], v[165:166]
	s_wait_loadcnt_dscnt 0x701
	v_mul_f64_e32 v[167:168], v[2:3], v[44:45]
	v_mul_f64_e32 v[44:45], v[4:5], v[44:45]
	s_delay_alu instid0(VALU_DEP_4) | instskip(NEXT) | instid1(VALU_DEP_4)
	v_add_f64_e32 v[40:41], v[163:164], v[175:176]
	v_add_f64_e32 v[159:160], v[165:166], v[173:174]
	s_wait_loadcnt_dscnt 0x600
	v_mul_f64_e32 v[163:164], v[34:35], v[8:9]
	v_mul_f64_e32 v[8:9], v[36:37], v[8:9]
	v_fma_f64 v[165:166], v[4:5], v[42:43], v[167:168]
	v_fma_f64 v[42:43], v[2:3], v[42:43], -v[44:45]
	v_add_f64_e32 v[44:45], v[40:41], v[38:39]
	v_add_f64_e32 v[159:160], v[159:160], v[161:162]
	ds_load_b128 v[2:5], v1 offset:1632
	ds_load_b128 v[38:41], v1 offset:1648
	v_fma_f64 v[36:37], v[36:37], v[6:7], v[163:164]
	v_fma_f64 v[6:7], v[34:35], v[6:7], -v[8:9]
	s_wait_loadcnt_dscnt 0x501
	v_mul_f64_e32 v[161:162], v[2:3], v[12:13]
	v_mul_f64_e32 v[12:13], v[4:5], v[12:13]
	v_add_f64_e32 v[8:9], v[44:45], v[42:43]
	v_add_f64_e32 v[34:35], v[159:160], v[165:166]
	s_wait_loadcnt_dscnt 0x400
	v_mul_f64_e32 v[42:43], v[38:39], v[16:17]
	v_mul_f64_e32 v[16:17], v[40:41], v[16:17]
	v_fma_f64 v[44:45], v[4:5], v[10:11], v[161:162]
	v_fma_f64 v[10:11], v[2:3], v[10:11], -v[12:13]
	v_add_f64_e32 v[12:13], v[8:9], v[6:7]
	v_add_f64_e32 v[34:35], v[34:35], v[36:37]
	ds_load_b128 v[2:5], v1 offset:1664
	ds_load_b128 v[6:9], v1 offset:1680
	v_fma_f64 v[40:41], v[40:41], v[14:15], v[42:43]
	v_fma_f64 v[14:15], v[38:39], v[14:15], -v[16:17]
	s_wait_loadcnt_dscnt 0x301
	v_mul_f64_e32 v[36:37], v[2:3], v[20:21]
	v_mul_f64_e32 v[20:21], v[4:5], v[20:21]
	s_wait_loadcnt_dscnt 0x200
	v_mul_f64_e32 v[16:17], v[6:7], v[24:25]
	v_mul_f64_e32 v[24:25], v[8:9], v[24:25]
	v_add_f64_e32 v[10:11], v[12:13], v[10:11]
	v_add_f64_e32 v[12:13], v[34:35], v[44:45]
	v_fma_f64 v[34:35], v[4:5], v[18:19], v[36:37]
	v_fma_f64 v[18:19], v[2:3], v[18:19], -v[20:21]
	v_fma_f64 v[8:9], v[8:9], v[22:23], v[16:17]
	v_fma_f64 v[6:7], v[6:7], v[22:23], -v[24:25]
	v_add_f64_e32 v[14:15], v[10:11], v[14:15]
	v_add_f64_e32 v[20:21], v[12:13], v[40:41]
	ds_load_b128 v[2:5], v1 offset:1696
	ds_load_b128 v[10:13], v1 offset:1712
	s_wait_loadcnt_dscnt 0x101
	v_mul_f64_e32 v[36:37], v[2:3], v[28:29]
	v_mul_f64_e32 v[28:29], v[4:5], v[28:29]
	v_add_f64_e32 v[14:15], v[14:15], v[18:19]
	v_add_f64_e32 v[16:17], v[20:21], v[34:35]
	s_wait_loadcnt_dscnt 0x0
	v_mul_f64_e32 v[18:19], v[10:11], v[32:33]
	v_mul_f64_e32 v[20:21], v[12:13], v[32:33]
	v_fma_f64 v[4:5], v[4:5], v[26:27], v[36:37]
	v_fma_f64 v[1:2], v[2:3], v[26:27], -v[28:29]
	v_add_f64_e32 v[6:7], v[14:15], v[6:7]
	v_add_f64_e32 v[8:9], v[16:17], v[8:9]
	v_fma_f64 v[12:13], v[12:13], v[30:31], v[18:19]
	v_fma_f64 v[10:11], v[10:11], v[30:31], -v[20:21]
	s_delay_alu instid0(VALU_DEP_4) | instskip(NEXT) | instid1(VALU_DEP_4)
	v_add_f64_e32 v[1:2], v[6:7], v[1:2]
	v_add_f64_e32 v[3:4], v[8:9], v[4:5]
	s_delay_alu instid0(VALU_DEP_2) | instskip(NEXT) | instid1(VALU_DEP_2)
	v_add_f64_e32 v[1:2], v[1:2], v[10:11]
	v_add_f64_e32 v[3:4], v[3:4], v[12:13]
	s_delay_alu instid0(VALU_DEP_2) | instskip(NEXT) | instid1(VALU_DEP_2)
	v_add_f64_e64 v[1:2], v[155:156], -v[1:2]
	v_add_f64_e64 v[3:4], v[157:158], -v[3:4]
	scratch_store_b128 off, v[1:4], off offset:96
	v_cmpx_lt_u32_e32 4, v0
	s_cbranch_execz .LBB53_329
; %bb.328:
	scratch_load_b128 v[1:4], off, s44
	v_mov_b32_e32 v5, 0
	s_delay_alu instid0(VALU_DEP_1)
	v_dual_mov_b32 v6, v5 :: v_dual_mov_b32 v7, v5
	v_mov_b32_e32 v8, v5
	scratch_store_b128 off, v[5:8], off offset:80
	s_wait_loadcnt 0x0
	ds_store_b128 v154, v[1:4]
.LBB53_329:
	s_wait_alu 0xfffe
	s_or_b32 exec_lo, exec_lo, s0
	s_wait_storecnt_dscnt 0x0
	s_barrier_signal -1
	s_barrier_wait -1
	global_inv scope:SCOPE_SE
	s_clause 0x7
	scratch_load_b128 v[2:5], off, off offset:96
	scratch_load_b128 v[6:9], off, off offset:112
	;; [unrolled: 1-line block ×8, first 2 shown]
	v_mov_b32_e32 v1, 0
	s_mov_b32 s0, exec_lo
	ds_load_b128 v[38:41], v1 offset:944
	s_clause 0x1
	scratch_load_b128 v[34:37], off, off offset:224
	scratch_load_b128 v[42:45], off, off offset:80
	ds_load_b128 v[155:158], v1 offset:960
	scratch_load_b128 v[159:162], off, off offset:240
	s_wait_loadcnt_dscnt 0xa01
	v_mul_f64_e32 v[163:164], v[40:41], v[4:5]
	v_mul_f64_e32 v[4:5], v[38:39], v[4:5]
	s_delay_alu instid0(VALU_DEP_2) | instskip(NEXT) | instid1(VALU_DEP_2)
	v_fma_f64 v[169:170], v[38:39], v[2:3], -v[163:164]
	v_fma_f64 v[171:172], v[40:41], v[2:3], v[4:5]
	ds_load_b128 v[2:5], v1 offset:976
	s_wait_loadcnt_dscnt 0x901
	v_mul_f64_e32 v[167:168], v[155:156], v[8:9]
	v_mul_f64_e32 v[8:9], v[157:158], v[8:9]
	scratch_load_b128 v[38:41], off, off offset:256
	ds_load_b128 v[163:166], v1 offset:992
	s_wait_loadcnt_dscnt 0x901
	v_mul_f64_e32 v[173:174], v[2:3], v[12:13]
	v_mul_f64_e32 v[12:13], v[4:5], v[12:13]
	v_fma_f64 v[157:158], v[157:158], v[6:7], v[167:168]
	v_fma_f64 v[155:156], v[155:156], v[6:7], -v[8:9]
	v_add_f64_e32 v[167:168], 0, v[169:170]
	v_add_f64_e32 v[169:170], 0, v[171:172]
	scratch_load_b128 v[6:9], off, off offset:272
	v_fma_f64 v[173:174], v[4:5], v[10:11], v[173:174]
	v_fma_f64 v[175:176], v[2:3], v[10:11], -v[12:13]
	ds_load_b128 v[2:5], v1 offset:1008
	s_wait_loadcnt_dscnt 0x901
	v_mul_f64_e32 v[171:172], v[163:164], v[16:17]
	v_mul_f64_e32 v[16:17], v[165:166], v[16:17]
	scratch_load_b128 v[10:13], off, off offset:288
	v_add_f64_e32 v[167:168], v[167:168], v[155:156]
	v_add_f64_e32 v[169:170], v[169:170], v[157:158]
	s_wait_loadcnt_dscnt 0x900
	v_mul_f64_e32 v[177:178], v[2:3], v[20:21]
	v_mul_f64_e32 v[20:21], v[4:5], v[20:21]
	ds_load_b128 v[155:158], v1 offset:1024
	v_fma_f64 v[165:166], v[165:166], v[14:15], v[171:172]
	v_fma_f64 v[163:164], v[163:164], v[14:15], -v[16:17]
	scratch_load_b128 v[14:17], off, off offset:304
	v_add_f64_e32 v[167:168], v[167:168], v[175:176]
	v_add_f64_e32 v[169:170], v[169:170], v[173:174]
	v_fma_f64 v[173:174], v[4:5], v[18:19], v[177:178]
	v_fma_f64 v[175:176], v[2:3], v[18:19], -v[20:21]
	ds_load_b128 v[2:5], v1 offset:1040
	s_wait_loadcnt_dscnt 0x901
	v_mul_f64_e32 v[171:172], v[155:156], v[24:25]
	v_mul_f64_e32 v[24:25], v[157:158], v[24:25]
	scratch_load_b128 v[18:21], off, off offset:320
	s_wait_loadcnt_dscnt 0x900
	v_mul_f64_e32 v[177:178], v[2:3], v[28:29]
	v_mul_f64_e32 v[28:29], v[4:5], v[28:29]
	v_add_f64_e32 v[167:168], v[167:168], v[163:164]
	v_add_f64_e32 v[169:170], v[169:170], v[165:166]
	ds_load_b128 v[163:166], v1 offset:1056
	v_fma_f64 v[157:158], v[157:158], v[22:23], v[171:172]
	v_fma_f64 v[155:156], v[155:156], v[22:23], -v[24:25]
	scratch_load_b128 v[22:25], off, off offset:336
	v_add_f64_e32 v[167:168], v[167:168], v[175:176]
	v_add_f64_e32 v[169:170], v[169:170], v[173:174]
	v_fma_f64 v[173:174], v[4:5], v[26:27], v[177:178]
	v_fma_f64 v[175:176], v[2:3], v[26:27], -v[28:29]
	ds_load_b128 v[2:5], v1 offset:1072
	s_wait_loadcnt_dscnt 0x901
	v_mul_f64_e32 v[171:172], v[163:164], v[32:33]
	v_mul_f64_e32 v[32:33], v[165:166], v[32:33]
	scratch_load_b128 v[26:29], off, off offset:352
	s_wait_loadcnt_dscnt 0x900
	v_mul_f64_e32 v[177:178], v[2:3], v[36:37]
	v_mul_f64_e32 v[36:37], v[4:5], v[36:37]
	v_add_f64_e32 v[167:168], v[167:168], v[155:156]
	v_add_f64_e32 v[169:170], v[169:170], v[157:158]
	ds_load_b128 v[155:158], v1 offset:1088
	v_fma_f64 v[165:166], v[165:166], v[30:31], v[171:172]
	v_fma_f64 v[163:164], v[163:164], v[30:31], -v[32:33]
	scratch_load_b128 v[30:33], off, off offset:368
	v_add_f64_e32 v[167:168], v[167:168], v[175:176]
	v_add_f64_e32 v[169:170], v[169:170], v[173:174]
	v_fma_f64 v[175:176], v[4:5], v[34:35], v[177:178]
	v_fma_f64 v[177:178], v[2:3], v[34:35], -v[36:37]
	ds_load_b128 v[2:5], v1 offset:1104
	s_wait_loadcnt_dscnt 0x801
	v_mul_f64_e32 v[171:172], v[155:156], v[161:162]
	v_mul_f64_e32 v[173:174], v[157:158], v[161:162]
	scratch_load_b128 v[34:37], off, off offset:384
	v_add_f64_e32 v[167:168], v[167:168], v[163:164]
	v_add_f64_e32 v[165:166], v[169:170], v[165:166]
	ds_load_b128 v[161:164], v1 offset:1120
	v_fma_f64 v[171:172], v[157:158], v[159:160], v[171:172]
	v_fma_f64 v[159:160], v[155:156], v[159:160], -v[173:174]
	scratch_load_b128 v[155:158], off, off offset:400
	s_wait_loadcnt_dscnt 0x901
	v_mul_f64_e32 v[169:170], v[2:3], v[40:41]
	v_mul_f64_e32 v[40:41], v[4:5], v[40:41]
	v_add_f64_e32 v[167:168], v[167:168], v[177:178]
	v_add_f64_e32 v[165:166], v[165:166], v[175:176]
	s_delay_alu instid0(VALU_DEP_4) | instskip(NEXT) | instid1(VALU_DEP_4)
	v_fma_f64 v[169:170], v[4:5], v[38:39], v[169:170]
	v_fma_f64 v[175:176], v[2:3], v[38:39], -v[40:41]
	ds_load_b128 v[2:5], v1 offset:1136
	s_wait_loadcnt_dscnt 0x801
	v_mul_f64_e32 v[173:174], v[161:162], v[8:9]
	v_mul_f64_e32 v[8:9], v[163:164], v[8:9]
	scratch_load_b128 v[38:41], off, off offset:416
	s_wait_loadcnt_dscnt 0x800
	v_mul_f64_e32 v[177:178], v[2:3], v[12:13]
	v_add_f64_e32 v[159:160], v[167:168], v[159:160]
	v_add_f64_e32 v[171:172], v[165:166], v[171:172]
	v_mul_f64_e32 v[12:13], v[4:5], v[12:13]
	ds_load_b128 v[165:168], v1 offset:1152
	v_fma_f64 v[163:164], v[163:164], v[6:7], v[173:174]
	v_fma_f64 v[161:162], v[161:162], v[6:7], -v[8:9]
	scratch_load_b128 v[6:9], off, off offset:432
	v_fma_f64 v[173:174], v[4:5], v[10:11], v[177:178]
	v_add_f64_e32 v[159:160], v[159:160], v[175:176]
	v_add_f64_e32 v[169:170], v[171:172], v[169:170]
	v_fma_f64 v[175:176], v[2:3], v[10:11], -v[12:13]
	ds_load_b128 v[2:5], v1 offset:1168
	s_wait_loadcnt_dscnt 0x801
	v_mul_f64_e32 v[171:172], v[165:166], v[16:17]
	v_mul_f64_e32 v[16:17], v[167:168], v[16:17]
	scratch_load_b128 v[10:13], off, off offset:448
	v_add_f64_e32 v[177:178], v[159:160], v[161:162]
	v_add_f64_e32 v[163:164], v[169:170], v[163:164]
	s_wait_loadcnt_dscnt 0x800
	v_mul_f64_e32 v[169:170], v[2:3], v[20:21]
	v_mul_f64_e32 v[20:21], v[4:5], v[20:21]
	v_fma_f64 v[167:168], v[167:168], v[14:15], v[171:172]
	v_fma_f64 v[165:166], v[165:166], v[14:15], -v[16:17]
	ds_load_b128 v[159:162], v1 offset:1184
	scratch_load_b128 v[14:17], off, off offset:464
	v_add_f64_e32 v[171:172], v[177:178], v[175:176]
	v_add_f64_e32 v[163:164], v[163:164], v[173:174]
	v_fma_f64 v[169:170], v[4:5], v[18:19], v[169:170]
	v_fma_f64 v[175:176], v[2:3], v[18:19], -v[20:21]
	ds_load_b128 v[2:5], v1 offset:1200
	s_wait_loadcnt_dscnt 0x801
	v_mul_f64_e32 v[173:174], v[159:160], v[24:25]
	v_mul_f64_e32 v[24:25], v[161:162], v[24:25]
	scratch_load_b128 v[18:21], off, off offset:480
	s_wait_loadcnt_dscnt 0x800
	v_mul_f64_e32 v[177:178], v[2:3], v[28:29]
	v_mul_f64_e32 v[28:29], v[4:5], v[28:29]
	v_add_f64_e32 v[171:172], v[171:172], v[165:166]
	v_add_f64_e32 v[167:168], v[163:164], v[167:168]
	ds_load_b128 v[163:166], v1 offset:1216
	v_fma_f64 v[161:162], v[161:162], v[22:23], v[173:174]
	v_fma_f64 v[159:160], v[159:160], v[22:23], -v[24:25]
	scratch_load_b128 v[22:25], off, off offset:496
	v_fma_f64 v[173:174], v[4:5], v[26:27], v[177:178]
	v_add_f64_e32 v[171:172], v[171:172], v[175:176]
	v_add_f64_e32 v[167:168], v[167:168], v[169:170]
	v_fma_f64 v[175:176], v[2:3], v[26:27], -v[28:29]
	ds_load_b128 v[2:5], v1 offset:1232
	s_wait_loadcnt_dscnt 0x801
	v_mul_f64_e32 v[169:170], v[163:164], v[32:33]
	v_mul_f64_e32 v[32:33], v[165:166], v[32:33]
	scratch_load_b128 v[26:29], off, off offset:512
	s_wait_loadcnt_dscnt 0x800
	v_mul_f64_e32 v[177:178], v[2:3], v[36:37]
	v_mul_f64_e32 v[36:37], v[4:5], v[36:37]
	v_add_f64_e32 v[171:172], v[171:172], v[159:160]
	v_add_f64_e32 v[167:168], v[167:168], v[161:162]
	ds_load_b128 v[159:162], v1 offset:1248
	v_fma_f64 v[165:166], v[165:166], v[30:31], v[169:170]
	v_fma_f64 v[163:164], v[163:164], v[30:31], -v[32:33]
	scratch_load_b128 v[30:33], off, off offset:528
	v_add_f64_e32 v[169:170], v[171:172], v[175:176]
	v_add_f64_e32 v[167:168], v[167:168], v[173:174]
	v_fma_f64 v[173:174], v[4:5], v[34:35], v[177:178]
	v_fma_f64 v[175:176], v[2:3], v[34:35], -v[36:37]
	ds_load_b128 v[2:5], v1 offset:1264
	s_wait_loadcnt_dscnt 0x801
	v_mul_f64_e32 v[171:172], v[159:160], v[157:158]
	v_mul_f64_e32 v[157:158], v[161:162], v[157:158]
	scratch_load_b128 v[34:37], off, off offset:544
	s_wait_loadcnt_dscnt 0x800
	v_mul_f64_e32 v[177:178], v[2:3], v[40:41]
	v_mul_f64_e32 v[40:41], v[4:5], v[40:41]
	v_add_f64_e32 v[169:170], v[169:170], v[163:164]
	v_add_f64_e32 v[167:168], v[167:168], v[165:166]
	ds_load_b128 v[163:166], v1 offset:1280
	v_fma_f64 v[161:162], v[161:162], v[155:156], v[171:172]
	v_fma_f64 v[159:160], v[159:160], v[155:156], -v[157:158]
	scratch_load_b128 v[155:158], off, off offset:560
	v_add_f64_e32 v[169:170], v[169:170], v[175:176]
	v_add_f64_e32 v[167:168], v[167:168], v[173:174]
	v_fma_f64 v[173:174], v[4:5], v[38:39], v[177:178]
	;; [unrolled: 18-line block ×6, first 2 shown]
	v_fma_f64 v[177:178], v[2:3], v[34:35], -v[36:37]
	ds_load_b128 v[2:5], v1 offset:1424
	s_wait_loadcnt_dscnt 0x801
	v_mul_f64_e32 v[171:172], v[163:164], v[157:158]
	v_mul_f64_e32 v[173:174], v[165:166], v[157:158]
	scratch_load_b128 v[34:37], off, off offset:704
	v_add_f64_e32 v[169:170], v[169:170], v[159:160]
	v_add_f64_e32 v[161:162], v[167:168], v[161:162]
	s_wait_loadcnt_dscnt 0x800
	v_mul_f64_e32 v[167:168], v[2:3], v[40:41]
	v_mul_f64_e32 v[40:41], v[4:5], v[40:41]
	ds_load_b128 v[157:160], v1 offset:1440
	v_fma_f64 v[165:166], v[165:166], v[155:156], v[171:172]
	v_fma_f64 v[155:156], v[163:164], v[155:156], -v[173:174]
	v_add_f64_e32 v[169:170], v[169:170], v[177:178]
	v_add_f64_e32 v[171:172], v[161:162], v[175:176]
	scratch_load_b128 v[161:164], off, off offset:720
	v_fma_f64 v[175:176], v[4:5], v[38:39], v[167:168]
	v_fma_f64 v[177:178], v[2:3], v[38:39], -v[40:41]
	ds_load_b128 v[2:5], v1 offset:1456
	s_wait_loadcnt_dscnt 0x801
	v_mul_f64_e32 v[173:174], v[157:158], v[8:9]
	v_mul_f64_e32 v[8:9], v[159:160], v[8:9]
	scratch_load_b128 v[38:41], off, off offset:736
	v_add_f64_e32 v[155:156], v[169:170], v[155:156]
	v_add_f64_e32 v[169:170], v[171:172], v[165:166]
	s_wait_loadcnt_dscnt 0x800
	v_mul_f64_e32 v[171:172], v[2:3], v[12:13]
	v_mul_f64_e32 v[12:13], v[4:5], v[12:13]
	ds_load_b128 v[165:168], v1 offset:1472
	v_fma_f64 v[159:160], v[159:160], v[6:7], v[173:174]
	v_fma_f64 v[157:158], v[157:158], v[6:7], -v[8:9]
	scratch_load_b128 v[6:9], off, off offset:752
	v_add_f64_e32 v[155:156], v[155:156], v[177:178]
	v_add_f64_e32 v[169:170], v[169:170], v[175:176]
	v_fma_f64 v[171:172], v[4:5], v[10:11], v[171:172]
	v_fma_f64 v[175:176], v[2:3], v[10:11], -v[12:13]
	ds_load_b128 v[2:5], v1 offset:1488
	s_wait_loadcnt_dscnt 0x801
	v_mul_f64_e32 v[173:174], v[165:166], v[16:17]
	v_mul_f64_e32 v[16:17], v[167:168], v[16:17]
	scratch_load_b128 v[10:13], off, off offset:768
	v_add_f64_e32 v[177:178], v[155:156], v[157:158]
	v_add_f64_e32 v[159:160], v[169:170], v[159:160]
	s_wait_loadcnt_dscnt 0x800
	v_mul_f64_e32 v[169:170], v[2:3], v[20:21]
	v_mul_f64_e32 v[20:21], v[4:5], v[20:21]
	ds_load_b128 v[155:158], v1 offset:1504
	v_fma_f64 v[167:168], v[167:168], v[14:15], v[173:174]
	v_fma_f64 v[165:166], v[165:166], v[14:15], -v[16:17]
	scratch_load_b128 v[14:17], off, off offset:784
	v_add_f64_e32 v[173:174], v[177:178], v[175:176]
	v_add_f64_e32 v[159:160], v[159:160], v[171:172]
	v_fma_f64 v[169:170], v[4:5], v[18:19], v[169:170]
	v_fma_f64 v[175:176], v[2:3], v[18:19], -v[20:21]
	ds_load_b128 v[2:5], v1 offset:1520
	s_wait_loadcnt_dscnt 0x801
	v_mul_f64_e32 v[171:172], v[155:156], v[24:25]
	v_mul_f64_e32 v[24:25], v[157:158], v[24:25]
	scratch_load_b128 v[18:21], off, off offset:800
	s_wait_loadcnt_dscnt 0x800
	v_mul_f64_e32 v[177:178], v[2:3], v[28:29]
	v_mul_f64_e32 v[28:29], v[4:5], v[28:29]
	v_add_f64_e32 v[173:174], v[173:174], v[165:166]
	v_add_f64_e32 v[159:160], v[159:160], v[167:168]
	ds_load_b128 v[165:168], v1 offset:1536
	v_fma_f64 v[157:158], v[157:158], v[22:23], v[171:172]
	v_fma_f64 v[155:156], v[155:156], v[22:23], -v[24:25]
	scratch_load_b128 v[22:25], off, off offset:816
	v_add_f64_e32 v[171:172], v[173:174], v[175:176]
	v_add_f64_e32 v[159:160], v[159:160], v[169:170]
	v_fma_f64 v[173:174], v[4:5], v[26:27], v[177:178]
	v_fma_f64 v[175:176], v[2:3], v[26:27], -v[28:29]
	ds_load_b128 v[2:5], v1 offset:1552
	s_wait_loadcnt_dscnt 0x801
	v_mul_f64_e32 v[169:170], v[165:166], v[32:33]
	v_mul_f64_e32 v[32:33], v[167:168], v[32:33]
	scratch_load_b128 v[26:29], off, off offset:832
	s_wait_loadcnt_dscnt 0x800
	v_mul_f64_e32 v[177:178], v[2:3], v[36:37]
	v_mul_f64_e32 v[36:37], v[4:5], v[36:37]
	v_add_f64_e32 v[171:172], v[171:172], v[155:156]
	v_add_f64_e32 v[159:160], v[159:160], v[157:158]
	ds_load_b128 v[155:158], v1 offset:1568
	v_fma_f64 v[167:168], v[167:168], v[30:31], v[169:170]
	v_fma_f64 v[165:166], v[165:166], v[30:31], -v[32:33]
	scratch_load_b128 v[30:33], off, off offset:848
	v_add_f64_e32 v[169:170], v[171:172], v[175:176]
	v_add_f64_e32 v[159:160], v[159:160], v[173:174]
	v_fma_f64 v[175:176], v[4:5], v[34:35], v[177:178]
	v_fma_f64 v[177:178], v[2:3], v[34:35], -v[36:37]
	ds_load_b128 v[2:5], v1 offset:1584
	scratch_load_b128 v[34:37], off, off offset:864
	s_wait_loadcnt_dscnt 0x901
	v_mul_f64_e32 v[171:172], v[155:156], v[163:164]
	v_mul_f64_e32 v[173:174], v[157:158], v[163:164]
	v_add_f64_e32 v[169:170], v[169:170], v[165:166]
	v_add_f64_e32 v[159:160], v[159:160], v[167:168]
	s_wait_loadcnt_dscnt 0x800
	v_mul_f64_e32 v[167:168], v[2:3], v[40:41]
	v_mul_f64_e32 v[40:41], v[4:5], v[40:41]
	ds_load_b128 v[163:166], v1 offset:1600
	v_fma_f64 v[157:158], v[157:158], v[161:162], v[171:172]
	v_fma_f64 v[155:156], v[155:156], v[161:162], -v[173:174]
	v_add_f64_e32 v[161:162], v[169:170], v[177:178]
	v_add_f64_e32 v[159:160], v[159:160], v[175:176]
	s_wait_loadcnt_dscnt 0x700
	v_mul_f64_e32 v[169:170], v[163:164], v[8:9]
	v_mul_f64_e32 v[8:9], v[165:166], v[8:9]
	v_fma_f64 v[167:168], v[4:5], v[38:39], v[167:168]
	v_fma_f64 v[171:172], v[2:3], v[38:39], -v[40:41]
	ds_load_b128 v[2:5], v1 offset:1616
	ds_load_b128 v[38:41], v1 offset:1632
	v_add_f64_e32 v[155:156], v[161:162], v[155:156]
	v_add_f64_e32 v[157:158], v[159:160], v[157:158]
	s_wait_loadcnt_dscnt 0x601
	v_mul_f64_e32 v[159:160], v[2:3], v[12:13]
	v_mul_f64_e32 v[12:13], v[4:5], v[12:13]
	v_fma_f64 v[161:162], v[165:166], v[6:7], v[169:170]
	v_fma_f64 v[6:7], v[163:164], v[6:7], -v[8:9]
	v_add_f64_e32 v[8:9], v[155:156], v[171:172]
	v_add_f64_e32 v[155:156], v[157:158], v[167:168]
	s_wait_loadcnt_dscnt 0x500
	v_mul_f64_e32 v[157:158], v[38:39], v[16:17]
	v_mul_f64_e32 v[16:17], v[40:41], v[16:17]
	v_fma_f64 v[159:160], v[4:5], v[10:11], v[159:160]
	v_fma_f64 v[10:11], v[2:3], v[10:11], -v[12:13]
	v_add_f64_e32 v[12:13], v[8:9], v[6:7]
	v_add_f64_e32 v[155:156], v[155:156], v[161:162]
	ds_load_b128 v[2:5], v1 offset:1648
	ds_load_b128 v[6:9], v1 offset:1664
	v_fma_f64 v[40:41], v[40:41], v[14:15], v[157:158]
	v_fma_f64 v[14:15], v[38:39], v[14:15], -v[16:17]
	s_wait_loadcnt_dscnt 0x401
	v_mul_f64_e32 v[161:162], v[2:3], v[20:21]
	v_mul_f64_e32 v[20:21], v[4:5], v[20:21]
	s_wait_loadcnt_dscnt 0x300
	v_mul_f64_e32 v[16:17], v[6:7], v[24:25]
	v_mul_f64_e32 v[24:25], v[8:9], v[24:25]
	v_add_f64_e32 v[10:11], v[12:13], v[10:11]
	v_add_f64_e32 v[12:13], v[155:156], v[159:160]
	v_fma_f64 v[38:39], v[4:5], v[18:19], v[161:162]
	v_fma_f64 v[18:19], v[2:3], v[18:19], -v[20:21]
	v_fma_f64 v[8:9], v[8:9], v[22:23], v[16:17]
	v_fma_f64 v[6:7], v[6:7], v[22:23], -v[24:25]
	v_add_f64_e32 v[14:15], v[10:11], v[14:15]
	v_add_f64_e32 v[20:21], v[12:13], v[40:41]
	ds_load_b128 v[2:5], v1 offset:1680
	ds_load_b128 v[10:13], v1 offset:1696
	s_wait_loadcnt_dscnt 0x201
	v_mul_f64_e32 v[40:41], v[2:3], v[28:29]
	v_mul_f64_e32 v[28:29], v[4:5], v[28:29]
	v_add_f64_e32 v[14:15], v[14:15], v[18:19]
	v_add_f64_e32 v[16:17], v[20:21], v[38:39]
	s_wait_loadcnt_dscnt 0x100
	v_mul_f64_e32 v[18:19], v[10:11], v[32:33]
	v_mul_f64_e32 v[20:21], v[12:13], v[32:33]
	v_fma_f64 v[22:23], v[4:5], v[26:27], v[40:41]
	v_fma_f64 v[24:25], v[2:3], v[26:27], -v[28:29]
	ds_load_b128 v[2:5], v1 offset:1712
	v_add_f64_e32 v[6:7], v[14:15], v[6:7]
	v_add_f64_e32 v[8:9], v[16:17], v[8:9]
	v_fma_f64 v[12:13], v[12:13], v[30:31], v[18:19]
	v_fma_f64 v[10:11], v[10:11], v[30:31], -v[20:21]
	s_wait_loadcnt_dscnt 0x0
	v_mul_f64_e32 v[14:15], v[2:3], v[36:37]
	v_mul_f64_e32 v[16:17], v[4:5], v[36:37]
	v_add_f64_e32 v[6:7], v[6:7], v[24:25]
	v_add_f64_e32 v[8:9], v[8:9], v[22:23]
	s_delay_alu instid0(VALU_DEP_4) | instskip(NEXT) | instid1(VALU_DEP_4)
	v_fma_f64 v[4:5], v[4:5], v[34:35], v[14:15]
	v_fma_f64 v[2:3], v[2:3], v[34:35], -v[16:17]
	s_delay_alu instid0(VALU_DEP_4) | instskip(NEXT) | instid1(VALU_DEP_4)
	v_add_f64_e32 v[6:7], v[6:7], v[10:11]
	v_add_f64_e32 v[8:9], v[8:9], v[12:13]
	s_delay_alu instid0(VALU_DEP_2) | instskip(NEXT) | instid1(VALU_DEP_2)
	v_add_f64_e32 v[2:3], v[6:7], v[2:3]
	v_add_f64_e32 v[4:5], v[8:9], v[4:5]
	s_delay_alu instid0(VALU_DEP_2) | instskip(NEXT) | instid1(VALU_DEP_2)
	v_add_f64_e64 v[2:3], v[42:43], -v[2:3]
	v_add_f64_e64 v[4:5], v[44:45], -v[4:5]
	scratch_store_b128 off, v[2:5], off offset:80
	v_cmpx_lt_u32_e32 3, v0
	s_cbranch_execz .LBB53_331
; %bb.330:
	scratch_load_b128 v[5:8], off, s45
	v_dual_mov_b32 v2, v1 :: v_dual_mov_b32 v3, v1
	v_mov_b32_e32 v4, v1
	scratch_store_b128 off, v[1:4], off offset:64
	s_wait_loadcnt 0x0
	ds_store_b128 v154, v[5:8]
.LBB53_331:
	s_wait_alu 0xfffe
	s_or_b32 exec_lo, exec_lo, s0
	s_wait_storecnt_dscnt 0x0
	s_barrier_signal -1
	s_barrier_wait -1
	global_inv scope:SCOPE_SE
	s_clause 0x8
	scratch_load_b128 v[2:5], off, off offset:80
	scratch_load_b128 v[6:9], off, off offset:96
	;; [unrolled: 1-line block ×9, first 2 shown]
	ds_load_b128 v[42:45], v1 offset:928
	ds_load_b128 v[38:41], v1 offset:944
	s_clause 0x1
	scratch_load_b128 v[155:158], off, off offset:64
	scratch_load_b128 v[159:162], off, off offset:224
	s_mov_b32 s0, exec_lo
	s_wait_loadcnt_dscnt 0xa01
	v_mul_f64_e32 v[163:164], v[44:45], v[4:5]
	v_mul_f64_e32 v[4:5], v[42:43], v[4:5]
	s_wait_loadcnt_dscnt 0x900
	v_mul_f64_e32 v[167:168], v[38:39], v[8:9]
	v_mul_f64_e32 v[8:9], v[40:41], v[8:9]
	s_delay_alu instid0(VALU_DEP_4) | instskip(NEXT) | instid1(VALU_DEP_4)
	v_fma_f64 v[169:170], v[42:43], v[2:3], -v[163:164]
	v_fma_f64 v[171:172], v[44:45], v[2:3], v[4:5]
	ds_load_b128 v[2:5], v1 offset:960
	ds_load_b128 v[163:166], v1 offset:976
	scratch_load_b128 v[42:45], off, off offset:240
	v_fma_f64 v[40:41], v[40:41], v[6:7], v[167:168]
	v_fma_f64 v[38:39], v[38:39], v[6:7], -v[8:9]
	scratch_load_b128 v[6:9], off, off offset:256
	s_wait_loadcnt_dscnt 0xa01
	v_mul_f64_e32 v[173:174], v[2:3], v[12:13]
	v_mul_f64_e32 v[12:13], v[4:5], v[12:13]
	v_add_f64_e32 v[167:168], 0, v[169:170]
	v_add_f64_e32 v[169:170], 0, v[171:172]
	s_wait_loadcnt_dscnt 0x900
	v_mul_f64_e32 v[171:172], v[163:164], v[16:17]
	v_mul_f64_e32 v[16:17], v[165:166], v[16:17]
	v_fma_f64 v[173:174], v[4:5], v[10:11], v[173:174]
	v_fma_f64 v[175:176], v[2:3], v[10:11], -v[12:13]
	ds_load_b128 v[2:5], v1 offset:992
	scratch_load_b128 v[10:13], off, off offset:272
	v_add_f64_e32 v[167:168], v[167:168], v[38:39]
	v_add_f64_e32 v[169:170], v[169:170], v[40:41]
	ds_load_b128 v[38:41], v1 offset:1008
	v_fma_f64 v[165:166], v[165:166], v[14:15], v[171:172]
	v_fma_f64 v[163:164], v[163:164], v[14:15], -v[16:17]
	scratch_load_b128 v[14:17], off, off offset:288
	s_wait_loadcnt_dscnt 0xa01
	v_mul_f64_e32 v[177:178], v[2:3], v[20:21]
	v_mul_f64_e32 v[20:21], v[4:5], v[20:21]
	s_wait_loadcnt_dscnt 0x900
	v_mul_f64_e32 v[171:172], v[38:39], v[24:25]
	v_mul_f64_e32 v[24:25], v[40:41], v[24:25]
	v_add_f64_e32 v[167:168], v[167:168], v[175:176]
	v_add_f64_e32 v[169:170], v[169:170], v[173:174]
	v_fma_f64 v[173:174], v[4:5], v[18:19], v[177:178]
	v_fma_f64 v[175:176], v[2:3], v[18:19], -v[20:21]
	ds_load_b128 v[2:5], v1 offset:1024
	scratch_load_b128 v[18:21], off, off offset:304
	v_fma_f64 v[40:41], v[40:41], v[22:23], v[171:172]
	v_fma_f64 v[38:39], v[38:39], v[22:23], -v[24:25]
	scratch_load_b128 v[22:25], off, off offset:320
	v_add_f64_e32 v[167:168], v[167:168], v[163:164]
	v_add_f64_e32 v[169:170], v[169:170], v[165:166]
	ds_load_b128 v[163:166], v1 offset:1040
	s_wait_loadcnt_dscnt 0xa01
	v_mul_f64_e32 v[177:178], v[2:3], v[28:29]
	v_mul_f64_e32 v[28:29], v[4:5], v[28:29]
	s_wait_loadcnt_dscnt 0x900
	v_mul_f64_e32 v[171:172], v[163:164], v[32:33]
	v_mul_f64_e32 v[32:33], v[165:166], v[32:33]
	v_add_f64_e32 v[167:168], v[167:168], v[175:176]
	v_add_f64_e32 v[169:170], v[169:170], v[173:174]
	v_fma_f64 v[173:174], v[4:5], v[26:27], v[177:178]
	v_fma_f64 v[175:176], v[2:3], v[26:27], -v[28:29]
	ds_load_b128 v[2:5], v1 offset:1056
	scratch_load_b128 v[26:29], off, off offset:336
	v_fma_f64 v[165:166], v[165:166], v[30:31], v[171:172]
	v_fma_f64 v[163:164], v[163:164], v[30:31], -v[32:33]
	scratch_load_b128 v[30:33], off, off offset:352
	v_add_f64_e32 v[167:168], v[167:168], v[38:39]
	v_add_f64_e32 v[169:170], v[169:170], v[40:41]
	ds_load_b128 v[38:41], v1 offset:1072
	s_wait_loadcnt_dscnt 0xa01
	v_mul_f64_e32 v[177:178], v[2:3], v[36:37]
	v_mul_f64_e32 v[36:37], v[4:5], v[36:37]
	s_wait_loadcnt_dscnt 0x800
	v_mul_f64_e32 v[171:172], v[38:39], v[161:162]
	v_add_f64_e32 v[167:168], v[167:168], v[175:176]
	v_add_f64_e32 v[169:170], v[169:170], v[173:174]
	v_mul_f64_e32 v[173:174], v[40:41], v[161:162]
	v_fma_f64 v[175:176], v[4:5], v[34:35], v[177:178]
	v_fma_f64 v[177:178], v[2:3], v[34:35], -v[36:37]
	ds_load_b128 v[2:5], v1 offset:1088
	scratch_load_b128 v[34:37], off, off offset:368
	v_fma_f64 v[171:172], v[40:41], v[159:160], v[171:172]
	v_add_f64_e32 v[167:168], v[167:168], v[163:164]
	v_add_f64_e32 v[165:166], v[169:170], v[165:166]
	ds_load_b128 v[161:164], v1 offset:1104
	v_fma_f64 v[159:160], v[38:39], v[159:160], -v[173:174]
	scratch_load_b128 v[38:41], off, off offset:384
	s_wait_loadcnt_dscnt 0x901
	v_mul_f64_e32 v[169:170], v[2:3], v[44:45]
	v_mul_f64_e32 v[44:45], v[4:5], v[44:45]
	s_wait_loadcnt_dscnt 0x800
	v_mul_f64_e32 v[173:174], v[161:162], v[8:9]
	v_mul_f64_e32 v[8:9], v[163:164], v[8:9]
	v_add_f64_e32 v[167:168], v[167:168], v[177:178]
	v_add_f64_e32 v[165:166], v[165:166], v[175:176]
	v_fma_f64 v[169:170], v[4:5], v[42:43], v[169:170]
	v_fma_f64 v[175:176], v[2:3], v[42:43], -v[44:45]
	ds_load_b128 v[2:5], v1 offset:1120
	scratch_load_b128 v[42:45], off, off offset:400
	v_fma_f64 v[163:164], v[163:164], v[6:7], v[173:174]
	v_fma_f64 v[161:162], v[161:162], v[6:7], -v[8:9]
	scratch_load_b128 v[6:9], off, off offset:416
	v_add_f64_e32 v[159:160], v[167:168], v[159:160]
	v_add_f64_e32 v[171:172], v[165:166], v[171:172]
	ds_load_b128 v[165:168], v1 offset:1136
	s_wait_loadcnt_dscnt 0x901
	v_mul_f64_e32 v[177:178], v[2:3], v[12:13]
	v_mul_f64_e32 v[12:13], v[4:5], v[12:13]
	v_add_f64_e32 v[159:160], v[159:160], v[175:176]
	v_add_f64_e32 v[169:170], v[171:172], v[169:170]
	s_wait_loadcnt_dscnt 0x800
	v_mul_f64_e32 v[171:172], v[165:166], v[16:17]
	v_mul_f64_e32 v[16:17], v[167:168], v[16:17]
	v_fma_f64 v[173:174], v[4:5], v[10:11], v[177:178]
	v_fma_f64 v[175:176], v[2:3], v[10:11], -v[12:13]
	ds_load_b128 v[2:5], v1 offset:1152
	scratch_load_b128 v[10:13], off, off offset:432
	v_add_f64_e32 v[177:178], v[159:160], v[161:162]
	v_add_f64_e32 v[163:164], v[169:170], v[163:164]
	ds_load_b128 v[159:162], v1 offset:1168
	s_wait_loadcnt_dscnt 0x801
	v_mul_f64_e32 v[169:170], v[2:3], v[20:21]
	v_mul_f64_e32 v[20:21], v[4:5], v[20:21]
	v_fma_f64 v[167:168], v[167:168], v[14:15], v[171:172]
	v_fma_f64 v[165:166], v[165:166], v[14:15], -v[16:17]
	scratch_load_b128 v[14:17], off, off offset:448
	v_add_f64_e32 v[171:172], v[177:178], v[175:176]
	v_add_f64_e32 v[163:164], v[163:164], v[173:174]
	s_wait_loadcnt_dscnt 0x800
	v_mul_f64_e32 v[173:174], v[159:160], v[24:25]
	v_mul_f64_e32 v[24:25], v[161:162], v[24:25]
	v_fma_f64 v[169:170], v[4:5], v[18:19], v[169:170]
	v_fma_f64 v[175:176], v[2:3], v[18:19], -v[20:21]
	ds_load_b128 v[2:5], v1 offset:1184
	scratch_load_b128 v[18:21], off, off offset:464
	v_add_f64_e32 v[171:172], v[171:172], v[165:166]
	v_add_f64_e32 v[167:168], v[163:164], v[167:168]
	ds_load_b128 v[163:166], v1 offset:1200
	s_wait_loadcnt_dscnt 0x801
	v_mul_f64_e32 v[177:178], v[2:3], v[28:29]
	v_mul_f64_e32 v[28:29], v[4:5], v[28:29]
	v_fma_f64 v[161:162], v[161:162], v[22:23], v[173:174]
	v_fma_f64 v[159:160], v[159:160], v[22:23], -v[24:25]
	scratch_load_b128 v[22:25], off, off offset:480
	;; [unrolled: 18-line block ×4, first 2 shown]
	s_wait_loadcnt_dscnt 0x800
	v_mul_f64_e32 v[171:172], v[163:164], v[8:9]
	v_mul_f64_e32 v[8:9], v[165:166], v[8:9]
	v_add_f64_e32 v[169:170], v[169:170], v[175:176]
	v_add_f64_e32 v[167:168], v[167:168], v[173:174]
	v_fma_f64 v[173:174], v[4:5], v[42:43], v[177:178]
	v_fma_f64 v[175:176], v[2:3], v[42:43], -v[44:45]
	ds_load_b128 v[2:5], v1 offset:1280
	scratch_load_b128 v[42:45], off, off offset:560
	v_fma_f64 v[165:166], v[165:166], v[6:7], v[171:172]
	v_fma_f64 v[163:164], v[163:164], v[6:7], -v[8:9]
	scratch_load_b128 v[6:9], off, off offset:576
	v_add_f64_e32 v[169:170], v[169:170], v[159:160]
	v_add_f64_e32 v[167:168], v[167:168], v[161:162]
	ds_load_b128 v[159:162], v1 offset:1296
	s_wait_loadcnt_dscnt 0x901
	v_mul_f64_e32 v[177:178], v[2:3], v[12:13]
	v_mul_f64_e32 v[12:13], v[4:5], v[12:13]
	s_wait_loadcnt_dscnt 0x800
	v_mul_f64_e32 v[171:172], v[159:160], v[16:17]
	v_mul_f64_e32 v[16:17], v[161:162], v[16:17]
	v_add_f64_e32 v[169:170], v[169:170], v[175:176]
	v_add_f64_e32 v[167:168], v[167:168], v[173:174]
	v_fma_f64 v[173:174], v[4:5], v[10:11], v[177:178]
	v_fma_f64 v[175:176], v[2:3], v[10:11], -v[12:13]
	ds_load_b128 v[2:5], v1 offset:1312
	scratch_load_b128 v[10:13], off, off offset:592
	v_fma_f64 v[161:162], v[161:162], v[14:15], v[171:172]
	v_fma_f64 v[159:160], v[159:160], v[14:15], -v[16:17]
	scratch_load_b128 v[14:17], off, off offset:608
	v_add_f64_e32 v[169:170], v[169:170], v[163:164]
	v_add_f64_e32 v[167:168], v[167:168], v[165:166]
	ds_load_b128 v[163:166], v1 offset:1328
	s_wait_loadcnt_dscnt 0x901
	v_mul_f64_e32 v[177:178], v[2:3], v[20:21]
	v_mul_f64_e32 v[20:21], v[4:5], v[20:21]
	;; [unrolled: 18-line block ×10, first 2 shown]
	s_wait_loadcnt_dscnt 0x800
	v_mul_f64_e32 v[171:172], v[163:164], v[8:9]
	v_mul_f64_e32 v[8:9], v[165:166], v[8:9]
	v_add_f64_e32 v[169:170], v[169:170], v[175:176]
	v_add_f64_e32 v[167:168], v[167:168], v[173:174]
	v_fma_f64 v[173:174], v[4:5], v[42:43], v[177:178]
	v_fma_f64 v[175:176], v[2:3], v[42:43], -v[44:45]
	ds_load_b128 v[2:5], v1 offset:1600
	ds_load_b128 v[42:45], v1 offset:1616
	v_fma_f64 v[165:166], v[165:166], v[6:7], v[171:172]
	v_fma_f64 v[6:7], v[163:164], v[6:7], -v[8:9]
	v_add_f64_e32 v[159:160], v[169:170], v[159:160]
	v_add_f64_e32 v[161:162], v[167:168], v[161:162]
	s_wait_loadcnt_dscnt 0x701
	v_mul_f64_e32 v[167:168], v[2:3], v[12:13]
	v_mul_f64_e32 v[12:13], v[4:5], v[12:13]
	s_delay_alu instid0(VALU_DEP_4) | instskip(NEXT) | instid1(VALU_DEP_4)
	v_add_f64_e32 v[8:9], v[159:160], v[175:176]
	v_add_f64_e32 v[159:160], v[161:162], v[173:174]
	s_wait_loadcnt_dscnt 0x600
	v_mul_f64_e32 v[161:162], v[42:43], v[16:17]
	v_mul_f64_e32 v[16:17], v[44:45], v[16:17]
	v_fma_f64 v[163:164], v[4:5], v[10:11], v[167:168]
	v_fma_f64 v[10:11], v[2:3], v[10:11], -v[12:13]
	v_add_f64_e32 v[12:13], v[8:9], v[6:7]
	v_add_f64_e32 v[159:160], v[159:160], v[165:166]
	ds_load_b128 v[2:5], v1 offset:1632
	ds_load_b128 v[6:9], v1 offset:1648
	v_fma_f64 v[44:45], v[44:45], v[14:15], v[161:162]
	v_fma_f64 v[14:15], v[42:43], v[14:15], -v[16:17]
	s_wait_loadcnt_dscnt 0x501
	v_mul_f64_e32 v[165:166], v[2:3], v[20:21]
	v_mul_f64_e32 v[20:21], v[4:5], v[20:21]
	s_wait_loadcnt_dscnt 0x400
	v_mul_f64_e32 v[16:17], v[6:7], v[24:25]
	v_mul_f64_e32 v[24:25], v[8:9], v[24:25]
	v_add_f64_e32 v[10:11], v[12:13], v[10:11]
	v_add_f64_e32 v[12:13], v[159:160], v[163:164]
	v_fma_f64 v[42:43], v[4:5], v[18:19], v[165:166]
	v_fma_f64 v[18:19], v[2:3], v[18:19], -v[20:21]
	v_fma_f64 v[8:9], v[8:9], v[22:23], v[16:17]
	v_fma_f64 v[6:7], v[6:7], v[22:23], -v[24:25]
	v_add_f64_e32 v[14:15], v[10:11], v[14:15]
	v_add_f64_e32 v[20:21], v[12:13], v[44:45]
	ds_load_b128 v[2:5], v1 offset:1664
	ds_load_b128 v[10:13], v1 offset:1680
	s_wait_loadcnt_dscnt 0x301
	v_mul_f64_e32 v[44:45], v[2:3], v[28:29]
	v_mul_f64_e32 v[28:29], v[4:5], v[28:29]
	v_add_f64_e32 v[14:15], v[14:15], v[18:19]
	v_add_f64_e32 v[16:17], v[20:21], v[42:43]
	s_wait_loadcnt_dscnt 0x200
	v_mul_f64_e32 v[18:19], v[10:11], v[32:33]
	v_mul_f64_e32 v[20:21], v[12:13], v[32:33]
	v_fma_f64 v[22:23], v[4:5], v[26:27], v[44:45]
	v_fma_f64 v[24:25], v[2:3], v[26:27], -v[28:29]
	v_add_f64_e32 v[14:15], v[14:15], v[6:7]
	v_add_f64_e32 v[16:17], v[16:17], v[8:9]
	ds_load_b128 v[2:5], v1 offset:1696
	ds_load_b128 v[6:9], v1 offset:1712
	v_fma_f64 v[12:13], v[12:13], v[30:31], v[18:19]
	v_fma_f64 v[10:11], v[10:11], v[30:31], -v[20:21]
	s_wait_loadcnt_dscnt 0x101
	v_mul_f64_e32 v[26:27], v[2:3], v[36:37]
	v_mul_f64_e32 v[28:29], v[4:5], v[36:37]
	s_wait_loadcnt_dscnt 0x0
	v_mul_f64_e32 v[18:19], v[6:7], v[40:41]
	v_mul_f64_e32 v[20:21], v[8:9], v[40:41]
	v_add_f64_e32 v[14:15], v[14:15], v[24:25]
	v_add_f64_e32 v[16:17], v[16:17], v[22:23]
	v_fma_f64 v[4:5], v[4:5], v[34:35], v[26:27]
	v_fma_f64 v[1:2], v[2:3], v[34:35], -v[28:29]
	v_fma_f64 v[8:9], v[8:9], v[38:39], v[18:19]
	v_fma_f64 v[6:7], v[6:7], v[38:39], -v[20:21]
	v_add_f64_e32 v[10:11], v[14:15], v[10:11]
	v_add_f64_e32 v[12:13], v[16:17], v[12:13]
	s_delay_alu instid0(VALU_DEP_2) | instskip(NEXT) | instid1(VALU_DEP_2)
	v_add_f64_e32 v[1:2], v[10:11], v[1:2]
	v_add_f64_e32 v[3:4], v[12:13], v[4:5]
	s_delay_alu instid0(VALU_DEP_2) | instskip(NEXT) | instid1(VALU_DEP_2)
	;; [unrolled: 3-line block ×3, first 2 shown]
	v_add_f64_e64 v[1:2], v[155:156], -v[1:2]
	v_add_f64_e64 v[3:4], v[157:158], -v[3:4]
	scratch_store_b128 off, v[1:4], off offset:64
	v_cmpx_lt_u32_e32 2, v0
	s_cbranch_execz .LBB53_333
; %bb.332:
	scratch_load_b128 v[1:4], off, s46
	v_mov_b32_e32 v5, 0
	s_delay_alu instid0(VALU_DEP_1)
	v_dual_mov_b32 v6, v5 :: v_dual_mov_b32 v7, v5
	v_mov_b32_e32 v8, v5
	scratch_store_b128 off, v[5:8], off offset:48
	s_wait_loadcnt 0x0
	ds_store_b128 v154, v[1:4]
.LBB53_333:
	s_wait_alu 0xfffe
	s_or_b32 exec_lo, exec_lo, s0
	s_wait_storecnt_dscnt 0x0
	s_barrier_signal -1
	s_barrier_wait -1
	global_inv scope:SCOPE_SE
	s_clause 0x7
	scratch_load_b128 v[2:5], off, off offset:64
	scratch_load_b128 v[6:9], off, off offset:80
	;; [unrolled: 1-line block ×8, first 2 shown]
	v_mov_b32_e32 v1, 0
	s_mov_b32 s0, exec_lo
	ds_load_b128 v[38:41], v1 offset:912
	s_clause 0x1
	scratch_load_b128 v[34:37], off, off offset:192
	scratch_load_b128 v[42:45], off, off offset:48
	ds_load_b128 v[155:158], v1 offset:928
	scratch_load_b128 v[159:162], off, off offset:208
	s_wait_loadcnt_dscnt 0xa01
	v_mul_f64_e32 v[163:164], v[40:41], v[4:5]
	v_mul_f64_e32 v[4:5], v[38:39], v[4:5]
	s_delay_alu instid0(VALU_DEP_2) | instskip(NEXT) | instid1(VALU_DEP_2)
	v_fma_f64 v[169:170], v[38:39], v[2:3], -v[163:164]
	v_fma_f64 v[171:172], v[40:41], v[2:3], v[4:5]
	ds_load_b128 v[2:5], v1 offset:944
	s_wait_loadcnt_dscnt 0x901
	v_mul_f64_e32 v[167:168], v[155:156], v[8:9]
	v_mul_f64_e32 v[8:9], v[157:158], v[8:9]
	scratch_load_b128 v[38:41], off, off offset:224
	ds_load_b128 v[163:166], v1 offset:960
	s_wait_loadcnt_dscnt 0x901
	v_mul_f64_e32 v[173:174], v[2:3], v[12:13]
	v_mul_f64_e32 v[12:13], v[4:5], v[12:13]
	v_fma_f64 v[157:158], v[157:158], v[6:7], v[167:168]
	v_fma_f64 v[155:156], v[155:156], v[6:7], -v[8:9]
	v_add_f64_e32 v[167:168], 0, v[169:170]
	v_add_f64_e32 v[169:170], 0, v[171:172]
	scratch_load_b128 v[6:9], off, off offset:240
	v_fma_f64 v[173:174], v[4:5], v[10:11], v[173:174]
	v_fma_f64 v[175:176], v[2:3], v[10:11], -v[12:13]
	ds_load_b128 v[2:5], v1 offset:976
	s_wait_loadcnt_dscnt 0x901
	v_mul_f64_e32 v[171:172], v[163:164], v[16:17]
	v_mul_f64_e32 v[16:17], v[165:166], v[16:17]
	scratch_load_b128 v[10:13], off, off offset:256
	v_add_f64_e32 v[167:168], v[167:168], v[155:156]
	v_add_f64_e32 v[169:170], v[169:170], v[157:158]
	s_wait_loadcnt_dscnt 0x900
	v_mul_f64_e32 v[177:178], v[2:3], v[20:21]
	v_mul_f64_e32 v[20:21], v[4:5], v[20:21]
	ds_load_b128 v[155:158], v1 offset:992
	v_fma_f64 v[165:166], v[165:166], v[14:15], v[171:172]
	v_fma_f64 v[163:164], v[163:164], v[14:15], -v[16:17]
	scratch_load_b128 v[14:17], off, off offset:272
	v_add_f64_e32 v[167:168], v[167:168], v[175:176]
	v_add_f64_e32 v[169:170], v[169:170], v[173:174]
	v_fma_f64 v[173:174], v[4:5], v[18:19], v[177:178]
	v_fma_f64 v[175:176], v[2:3], v[18:19], -v[20:21]
	ds_load_b128 v[2:5], v1 offset:1008
	s_wait_loadcnt_dscnt 0x901
	v_mul_f64_e32 v[171:172], v[155:156], v[24:25]
	v_mul_f64_e32 v[24:25], v[157:158], v[24:25]
	scratch_load_b128 v[18:21], off, off offset:288
	s_wait_loadcnt_dscnt 0x900
	v_mul_f64_e32 v[177:178], v[2:3], v[28:29]
	v_mul_f64_e32 v[28:29], v[4:5], v[28:29]
	v_add_f64_e32 v[167:168], v[167:168], v[163:164]
	v_add_f64_e32 v[169:170], v[169:170], v[165:166]
	ds_load_b128 v[163:166], v1 offset:1024
	v_fma_f64 v[157:158], v[157:158], v[22:23], v[171:172]
	v_fma_f64 v[155:156], v[155:156], v[22:23], -v[24:25]
	scratch_load_b128 v[22:25], off, off offset:304
	v_add_f64_e32 v[167:168], v[167:168], v[175:176]
	v_add_f64_e32 v[169:170], v[169:170], v[173:174]
	v_fma_f64 v[173:174], v[4:5], v[26:27], v[177:178]
	v_fma_f64 v[175:176], v[2:3], v[26:27], -v[28:29]
	ds_load_b128 v[2:5], v1 offset:1040
	s_wait_loadcnt_dscnt 0x901
	v_mul_f64_e32 v[171:172], v[163:164], v[32:33]
	v_mul_f64_e32 v[32:33], v[165:166], v[32:33]
	scratch_load_b128 v[26:29], off, off offset:320
	s_wait_loadcnt_dscnt 0x900
	v_mul_f64_e32 v[177:178], v[2:3], v[36:37]
	v_mul_f64_e32 v[36:37], v[4:5], v[36:37]
	v_add_f64_e32 v[167:168], v[167:168], v[155:156]
	v_add_f64_e32 v[169:170], v[169:170], v[157:158]
	ds_load_b128 v[155:158], v1 offset:1056
	v_fma_f64 v[165:166], v[165:166], v[30:31], v[171:172]
	v_fma_f64 v[163:164], v[163:164], v[30:31], -v[32:33]
	scratch_load_b128 v[30:33], off, off offset:336
	v_add_f64_e32 v[167:168], v[167:168], v[175:176]
	v_add_f64_e32 v[169:170], v[169:170], v[173:174]
	v_fma_f64 v[175:176], v[4:5], v[34:35], v[177:178]
	v_fma_f64 v[177:178], v[2:3], v[34:35], -v[36:37]
	ds_load_b128 v[2:5], v1 offset:1072
	s_wait_loadcnt_dscnt 0x801
	v_mul_f64_e32 v[171:172], v[155:156], v[161:162]
	v_mul_f64_e32 v[173:174], v[157:158], v[161:162]
	scratch_load_b128 v[34:37], off, off offset:352
	v_add_f64_e32 v[167:168], v[167:168], v[163:164]
	v_add_f64_e32 v[165:166], v[169:170], v[165:166]
	ds_load_b128 v[161:164], v1 offset:1088
	v_fma_f64 v[171:172], v[157:158], v[159:160], v[171:172]
	v_fma_f64 v[159:160], v[155:156], v[159:160], -v[173:174]
	scratch_load_b128 v[155:158], off, off offset:368
	s_wait_loadcnt_dscnt 0x901
	v_mul_f64_e32 v[169:170], v[2:3], v[40:41]
	v_mul_f64_e32 v[40:41], v[4:5], v[40:41]
	v_add_f64_e32 v[167:168], v[167:168], v[177:178]
	v_add_f64_e32 v[165:166], v[165:166], v[175:176]
	s_delay_alu instid0(VALU_DEP_4) | instskip(NEXT) | instid1(VALU_DEP_4)
	v_fma_f64 v[169:170], v[4:5], v[38:39], v[169:170]
	v_fma_f64 v[175:176], v[2:3], v[38:39], -v[40:41]
	ds_load_b128 v[2:5], v1 offset:1104
	s_wait_loadcnt_dscnt 0x801
	v_mul_f64_e32 v[173:174], v[161:162], v[8:9]
	v_mul_f64_e32 v[8:9], v[163:164], v[8:9]
	scratch_load_b128 v[38:41], off, off offset:384
	s_wait_loadcnt_dscnt 0x800
	v_mul_f64_e32 v[177:178], v[2:3], v[12:13]
	v_add_f64_e32 v[159:160], v[167:168], v[159:160]
	v_add_f64_e32 v[171:172], v[165:166], v[171:172]
	v_mul_f64_e32 v[12:13], v[4:5], v[12:13]
	ds_load_b128 v[165:168], v1 offset:1120
	v_fma_f64 v[163:164], v[163:164], v[6:7], v[173:174]
	v_fma_f64 v[161:162], v[161:162], v[6:7], -v[8:9]
	scratch_load_b128 v[6:9], off, off offset:400
	v_fma_f64 v[173:174], v[4:5], v[10:11], v[177:178]
	v_add_f64_e32 v[159:160], v[159:160], v[175:176]
	v_add_f64_e32 v[169:170], v[171:172], v[169:170]
	v_fma_f64 v[175:176], v[2:3], v[10:11], -v[12:13]
	ds_load_b128 v[2:5], v1 offset:1136
	s_wait_loadcnt_dscnt 0x801
	v_mul_f64_e32 v[171:172], v[165:166], v[16:17]
	v_mul_f64_e32 v[16:17], v[167:168], v[16:17]
	scratch_load_b128 v[10:13], off, off offset:416
	v_add_f64_e32 v[177:178], v[159:160], v[161:162]
	v_add_f64_e32 v[163:164], v[169:170], v[163:164]
	s_wait_loadcnt_dscnt 0x800
	v_mul_f64_e32 v[169:170], v[2:3], v[20:21]
	v_mul_f64_e32 v[20:21], v[4:5], v[20:21]
	v_fma_f64 v[167:168], v[167:168], v[14:15], v[171:172]
	v_fma_f64 v[165:166], v[165:166], v[14:15], -v[16:17]
	ds_load_b128 v[159:162], v1 offset:1152
	scratch_load_b128 v[14:17], off, off offset:432
	v_add_f64_e32 v[171:172], v[177:178], v[175:176]
	v_add_f64_e32 v[163:164], v[163:164], v[173:174]
	v_fma_f64 v[169:170], v[4:5], v[18:19], v[169:170]
	v_fma_f64 v[175:176], v[2:3], v[18:19], -v[20:21]
	ds_load_b128 v[2:5], v1 offset:1168
	s_wait_loadcnt_dscnt 0x801
	v_mul_f64_e32 v[173:174], v[159:160], v[24:25]
	v_mul_f64_e32 v[24:25], v[161:162], v[24:25]
	scratch_load_b128 v[18:21], off, off offset:448
	s_wait_loadcnt_dscnt 0x800
	v_mul_f64_e32 v[177:178], v[2:3], v[28:29]
	v_mul_f64_e32 v[28:29], v[4:5], v[28:29]
	v_add_f64_e32 v[171:172], v[171:172], v[165:166]
	v_add_f64_e32 v[167:168], v[163:164], v[167:168]
	ds_load_b128 v[163:166], v1 offset:1184
	v_fma_f64 v[161:162], v[161:162], v[22:23], v[173:174]
	v_fma_f64 v[159:160], v[159:160], v[22:23], -v[24:25]
	scratch_load_b128 v[22:25], off, off offset:464
	v_fma_f64 v[173:174], v[4:5], v[26:27], v[177:178]
	v_add_f64_e32 v[171:172], v[171:172], v[175:176]
	v_add_f64_e32 v[167:168], v[167:168], v[169:170]
	v_fma_f64 v[175:176], v[2:3], v[26:27], -v[28:29]
	ds_load_b128 v[2:5], v1 offset:1200
	s_wait_loadcnt_dscnt 0x801
	v_mul_f64_e32 v[169:170], v[163:164], v[32:33]
	v_mul_f64_e32 v[32:33], v[165:166], v[32:33]
	scratch_load_b128 v[26:29], off, off offset:480
	s_wait_loadcnt_dscnt 0x800
	v_mul_f64_e32 v[177:178], v[2:3], v[36:37]
	v_mul_f64_e32 v[36:37], v[4:5], v[36:37]
	v_add_f64_e32 v[171:172], v[171:172], v[159:160]
	v_add_f64_e32 v[167:168], v[167:168], v[161:162]
	ds_load_b128 v[159:162], v1 offset:1216
	v_fma_f64 v[165:166], v[165:166], v[30:31], v[169:170]
	v_fma_f64 v[163:164], v[163:164], v[30:31], -v[32:33]
	scratch_load_b128 v[30:33], off, off offset:496
	v_add_f64_e32 v[169:170], v[171:172], v[175:176]
	v_add_f64_e32 v[167:168], v[167:168], v[173:174]
	v_fma_f64 v[173:174], v[4:5], v[34:35], v[177:178]
	v_fma_f64 v[175:176], v[2:3], v[34:35], -v[36:37]
	ds_load_b128 v[2:5], v1 offset:1232
	s_wait_loadcnt_dscnt 0x801
	v_mul_f64_e32 v[171:172], v[159:160], v[157:158]
	v_mul_f64_e32 v[157:158], v[161:162], v[157:158]
	scratch_load_b128 v[34:37], off, off offset:512
	s_wait_loadcnt_dscnt 0x800
	v_mul_f64_e32 v[177:178], v[2:3], v[40:41]
	v_mul_f64_e32 v[40:41], v[4:5], v[40:41]
	v_add_f64_e32 v[169:170], v[169:170], v[163:164]
	v_add_f64_e32 v[167:168], v[167:168], v[165:166]
	ds_load_b128 v[163:166], v1 offset:1248
	v_fma_f64 v[161:162], v[161:162], v[155:156], v[171:172]
	v_fma_f64 v[159:160], v[159:160], v[155:156], -v[157:158]
	scratch_load_b128 v[155:158], off, off offset:528
	v_add_f64_e32 v[169:170], v[169:170], v[175:176]
	v_add_f64_e32 v[167:168], v[167:168], v[173:174]
	v_fma_f64 v[173:174], v[4:5], v[38:39], v[177:178]
	;; [unrolled: 18-line block ×6, first 2 shown]
	v_fma_f64 v[177:178], v[2:3], v[34:35], -v[36:37]
	ds_load_b128 v[2:5], v1 offset:1392
	s_wait_loadcnt_dscnt 0x801
	v_mul_f64_e32 v[171:172], v[163:164], v[157:158]
	v_mul_f64_e32 v[173:174], v[165:166], v[157:158]
	scratch_load_b128 v[34:37], off, off offset:672
	v_add_f64_e32 v[169:170], v[169:170], v[159:160]
	v_add_f64_e32 v[161:162], v[167:168], v[161:162]
	s_wait_loadcnt_dscnt 0x800
	v_mul_f64_e32 v[167:168], v[2:3], v[40:41]
	v_mul_f64_e32 v[40:41], v[4:5], v[40:41]
	ds_load_b128 v[157:160], v1 offset:1408
	v_fma_f64 v[165:166], v[165:166], v[155:156], v[171:172]
	v_fma_f64 v[155:156], v[163:164], v[155:156], -v[173:174]
	v_add_f64_e32 v[169:170], v[169:170], v[177:178]
	v_add_f64_e32 v[171:172], v[161:162], v[175:176]
	scratch_load_b128 v[161:164], off, off offset:688
	v_fma_f64 v[175:176], v[4:5], v[38:39], v[167:168]
	v_fma_f64 v[177:178], v[2:3], v[38:39], -v[40:41]
	ds_load_b128 v[2:5], v1 offset:1424
	s_wait_loadcnt_dscnt 0x801
	v_mul_f64_e32 v[173:174], v[157:158], v[8:9]
	v_mul_f64_e32 v[8:9], v[159:160], v[8:9]
	scratch_load_b128 v[38:41], off, off offset:704
	v_add_f64_e32 v[155:156], v[169:170], v[155:156]
	v_add_f64_e32 v[169:170], v[171:172], v[165:166]
	s_wait_loadcnt_dscnt 0x800
	v_mul_f64_e32 v[171:172], v[2:3], v[12:13]
	v_mul_f64_e32 v[12:13], v[4:5], v[12:13]
	ds_load_b128 v[165:168], v1 offset:1440
	v_fma_f64 v[159:160], v[159:160], v[6:7], v[173:174]
	v_fma_f64 v[157:158], v[157:158], v[6:7], -v[8:9]
	scratch_load_b128 v[6:9], off, off offset:720
	v_add_f64_e32 v[155:156], v[155:156], v[177:178]
	v_add_f64_e32 v[169:170], v[169:170], v[175:176]
	v_fma_f64 v[171:172], v[4:5], v[10:11], v[171:172]
	v_fma_f64 v[175:176], v[2:3], v[10:11], -v[12:13]
	ds_load_b128 v[2:5], v1 offset:1456
	s_wait_loadcnt_dscnt 0x801
	v_mul_f64_e32 v[173:174], v[165:166], v[16:17]
	v_mul_f64_e32 v[16:17], v[167:168], v[16:17]
	scratch_load_b128 v[10:13], off, off offset:736
	v_add_f64_e32 v[177:178], v[155:156], v[157:158]
	v_add_f64_e32 v[159:160], v[169:170], v[159:160]
	s_wait_loadcnt_dscnt 0x800
	v_mul_f64_e32 v[169:170], v[2:3], v[20:21]
	v_mul_f64_e32 v[20:21], v[4:5], v[20:21]
	ds_load_b128 v[155:158], v1 offset:1472
	v_fma_f64 v[167:168], v[167:168], v[14:15], v[173:174]
	v_fma_f64 v[165:166], v[165:166], v[14:15], -v[16:17]
	scratch_load_b128 v[14:17], off, off offset:752
	v_add_f64_e32 v[173:174], v[177:178], v[175:176]
	v_add_f64_e32 v[159:160], v[159:160], v[171:172]
	v_fma_f64 v[169:170], v[4:5], v[18:19], v[169:170]
	v_fma_f64 v[175:176], v[2:3], v[18:19], -v[20:21]
	ds_load_b128 v[2:5], v1 offset:1488
	s_wait_loadcnt_dscnt 0x801
	v_mul_f64_e32 v[171:172], v[155:156], v[24:25]
	v_mul_f64_e32 v[24:25], v[157:158], v[24:25]
	scratch_load_b128 v[18:21], off, off offset:768
	s_wait_loadcnt_dscnt 0x800
	v_mul_f64_e32 v[177:178], v[2:3], v[28:29]
	v_mul_f64_e32 v[28:29], v[4:5], v[28:29]
	v_add_f64_e32 v[173:174], v[173:174], v[165:166]
	v_add_f64_e32 v[159:160], v[159:160], v[167:168]
	ds_load_b128 v[165:168], v1 offset:1504
	v_fma_f64 v[157:158], v[157:158], v[22:23], v[171:172]
	v_fma_f64 v[155:156], v[155:156], v[22:23], -v[24:25]
	scratch_load_b128 v[22:25], off, off offset:784
	v_add_f64_e32 v[171:172], v[173:174], v[175:176]
	v_add_f64_e32 v[159:160], v[159:160], v[169:170]
	v_fma_f64 v[173:174], v[4:5], v[26:27], v[177:178]
	v_fma_f64 v[175:176], v[2:3], v[26:27], -v[28:29]
	ds_load_b128 v[2:5], v1 offset:1520
	s_wait_loadcnt_dscnt 0x801
	v_mul_f64_e32 v[169:170], v[165:166], v[32:33]
	v_mul_f64_e32 v[32:33], v[167:168], v[32:33]
	scratch_load_b128 v[26:29], off, off offset:800
	s_wait_loadcnt_dscnt 0x800
	v_mul_f64_e32 v[177:178], v[2:3], v[36:37]
	v_mul_f64_e32 v[36:37], v[4:5], v[36:37]
	v_add_f64_e32 v[171:172], v[171:172], v[155:156]
	v_add_f64_e32 v[159:160], v[159:160], v[157:158]
	ds_load_b128 v[155:158], v1 offset:1536
	v_fma_f64 v[167:168], v[167:168], v[30:31], v[169:170]
	v_fma_f64 v[165:166], v[165:166], v[30:31], -v[32:33]
	scratch_load_b128 v[30:33], off, off offset:816
	v_add_f64_e32 v[169:170], v[171:172], v[175:176]
	v_add_f64_e32 v[159:160], v[159:160], v[173:174]
	v_fma_f64 v[175:176], v[4:5], v[34:35], v[177:178]
	v_fma_f64 v[177:178], v[2:3], v[34:35], -v[36:37]
	ds_load_b128 v[2:5], v1 offset:1552
	scratch_load_b128 v[34:37], off, off offset:832
	s_wait_loadcnt_dscnt 0x901
	v_mul_f64_e32 v[171:172], v[155:156], v[163:164]
	v_mul_f64_e32 v[173:174], v[157:158], v[163:164]
	v_add_f64_e32 v[169:170], v[169:170], v[165:166]
	v_add_f64_e32 v[159:160], v[159:160], v[167:168]
	s_wait_loadcnt_dscnt 0x800
	v_mul_f64_e32 v[167:168], v[2:3], v[40:41]
	v_mul_f64_e32 v[40:41], v[4:5], v[40:41]
	ds_load_b128 v[163:166], v1 offset:1568
	v_fma_f64 v[171:172], v[157:158], v[161:162], v[171:172]
	v_fma_f64 v[161:162], v[155:156], v[161:162], -v[173:174]
	scratch_load_b128 v[155:158], off, off offset:848
	v_add_f64_e32 v[169:170], v[169:170], v[177:178]
	v_add_f64_e32 v[159:160], v[159:160], v[175:176]
	v_fma_f64 v[167:168], v[4:5], v[38:39], v[167:168]
	v_fma_f64 v[175:176], v[2:3], v[38:39], -v[40:41]
	ds_load_b128 v[2:5], v1 offset:1584
	s_wait_loadcnt_dscnt 0x801
	v_mul_f64_e32 v[173:174], v[163:164], v[8:9]
	v_mul_f64_e32 v[8:9], v[165:166], v[8:9]
	scratch_load_b128 v[38:41], off, off offset:864
	s_wait_loadcnt_dscnt 0x800
	v_mul_f64_e32 v[177:178], v[2:3], v[12:13]
	v_mul_f64_e32 v[12:13], v[4:5], v[12:13]
	v_add_f64_e32 v[169:170], v[169:170], v[161:162]
	v_add_f64_e32 v[171:172], v[159:160], v[171:172]
	ds_load_b128 v[159:162], v1 offset:1600
	v_fma_f64 v[165:166], v[165:166], v[6:7], v[173:174]
	v_fma_f64 v[6:7], v[163:164], v[6:7], -v[8:9]
	v_add_f64_e32 v[8:9], v[169:170], v[175:176]
	v_add_f64_e32 v[163:164], v[171:172], v[167:168]
	s_wait_loadcnt_dscnt 0x700
	v_mul_f64_e32 v[167:168], v[159:160], v[16:17]
	v_mul_f64_e32 v[16:17], v[161:162], v[16:17]
	v_fma_f64 v[169:170], v[4:5], v[10:11], v[177:178]
	v_fma_f64 v[10:11], v[2:3], v[10:11], -v[12:13]
	v_add_f64_e32 v[12:13], v[8:9], v[6:7]
	v_add_f64_e32 v[163:164], v[163:164], v[165:166]
	ds_load_b128 v[2:5], v1 offset:1616
	ds_load_b128 v[6:9], v1 offset:1632
	v_fma_f64 v[161:162], v[161:162], v[14:15], v[167:168]
	v_fma_f64 v[14:15], v[159:160], v[14:15], -v[16:17]
	s_wait_loadcnt_dscnt 0x601
	v_mul_f64_e32 v[165:166], v[2:3], v[20:21]
	v_mul_f64_e32 v[20:21], v[4:5], v[20:21]
	s_wait_loadcnt_dscnt 0x500
	v_mul_f64_e32 v[16:17], v[6:7], v[24:25]
	v_mul_f64_e32 v[24:25], v[8:9], v[24:25]
	v_add_f64_e32 v[10:11], v[12:13], v[10:11]
	v_add_f64_e32 v[12:13], v[163:164], v[169:170]
	v_fma_f64 v[159:160], v[4:5], v[18:19], v[165:166]
	v_fma_f64 v[18:19], v[2:3], v[18:19], -v[20:21]
	v_fma_f64 v[8:9], v[8:9], v[22:23], v[16:17]
	v_fma_f64 v[6:7], v[6:7], v[22:23], -v[24:25]
	v_add_f64_e32 v[14:15], v[10:11], v[14:15]
	v_add_f64_e32 v[20:21], v[12:13], v[161:162]
	ds_load_b128 v[2:5], v1 offset:1648
	ds_load_b128 v[10:13], v1 offset:1664
	s_wait_loadcnt_dscnt 0x401
	v_mul_f64_e32 v[161:162], v[2:3], v[28:29]
	v_mul_f64_e32 v[28:29], v[4:5], v[28:29]
	v_add_f64_e32 v[14:15], v[14:15], v[18:19]
	v_add_f64_e32 v[16:17], v[20:21], v[159:160]
	s_wait_loadcnt_dscnt 0x300
	v_mul_f64_e32 v[18:19], v[10:11], v[32:33]
	v_mul_f64_e32 v[20:21], v[12:13], v[32:33]
	v_fma_f64 v[22:23], v[4:5], v[26:27], v[161:162]
	v_fma_f64 v[24:25], v[2:3], v[26:27], -v[28:29]
	v_add_f64_e32 v[14:15], v[14:15], v[6:7]
	v_add_f64_e32 v[16:17], v[16:17], v[8:9]
	ds_load_b128 v[2:5], v1 offset:1680
	ds_load_b128 v[6:9], v1 offset:1696
	v_fma_f64 v[12:13], v[12:13], v[30:31], v[18:19]
	v_fma_f64 v[10:11], v[10:11], v[30:31], -v[20:21]
	s_wait_loadcnt_dscnt 0x201
	v_mul_f64_e32 v[26:27], v[2:3], v[36:37]
	v_mul_f64_e32 v[28:29], v[4:5], v[36:37]
	s_wait_loadcnt_dscnt 0x100
	v_mul_f64_e32 v[18:19], v[6:7], v[157:158]
	v_mul_f64_e32 v[20:21], v[8:9], v[157:158]
	v_add_f64_e32 v[14:15], v[14:15], v[24:25]
	v_add_f64_e32 v[16:17], v[16:17], v[22:23]
	v_fma_f64 v[22:23], v[4:5], v[34:35], v[26:27]
	v_fma_f64 v[24:25], v[2:3], v[34:35], -v[28:29]
	ds_load_b128 v[2:5], v1 offset:1712
	v_fma_f64 v[8:9], v[8:9], v[155:156], v[18:19]
	v_fma_f64 v[6:7], v[6:7], v[155:156], -v[20:21]
	v_add_f64_e32 v[10:11], v[14:15], v[10:11]
	v_add_f64_e32 v[12:13], v[16:17], v[12:13]
	s_wait_loadcnt_dscnt 0x0
	v_mul_f64_e32 v[14:15], v[2:3], v[40:41]
	v_mul_f64_e32 v[16:17], v[4:5], v[40:41]
	s_delay_alu instid0(VALU_DEP_4) | instskip(NEXT) | instid1(VALU_DEP_4)
	v_add_f64_e32 v[10:11], v[10:11], v[24:25]
	v_add_f64_e32 v[12:13], v[12:13], v[22:23]
	s_delay_alu instid0(VALU_DEP_4) | instskip(NEXT) | instid1(VALU_DEP_4)
	v_fma_f64 v[4:5], v[4:5], v[38:39], v[14:15]
	v_fma_f64 v[2:3], v[2:3], v[38:39], -v[16:17]
	s_delay_alu instid0(VALU_DEP_4) | instskip(NEXT) | instid1(VALU_DEP_4)
	v_add_f64_e32 v[6:7], v[10:11], v[6:7]
	v_add_f64_e32 v[8:9], v[12:13], v[8:9]
	s_delay_alu instid0(VALU_DEP_2) | instskip(NEXT) | instid1(VALU_DEP_2)
	v_add_f64_e32 v[2:3], v[6:7], v[2:3]
	v_add_f64_e32 v[4:5], v[8:9], v[4:5]
	s_delay_alu instid0(VALU_DEP_2) | instskip(NEXT) | instid1(VALU_DEP_2)
	v_add_f64_e64 v[2:3], v[42:43], -v[2:3]
	v_add_f64_e64 v[4:5], v[44:45], -v[4:5]
	scratch_store_b128 off, v[2:5], off offset:48
	v_cmpx_lt_u32_e32 1, v0
	s_cbranch_execz .LBB53_335
; %bb.334:
	scratch_load_b128 v[5:8], off, s47
	v_dual_mov_b32 v2, v1 :: v_dual_mov_b32 v3, v1
	v_mov_b32_e32 v4, v1
	scratch_store_b128 off, v[1:4], off offset:32
	s_wait_loadcnt 0x0
	ds_store_b128 v154, v[5:8]
.LBB53_335:
	s_wait_alu 0xfffe
	s_or_b32 exec_lo, exec_lo, s0
	s_wait_storecnt_dscnt 0x0
	s_barrier_signal -1
	s_barrier_wait -1
	global_inv scope:SCOPE_SE
	s_clause 0x8
	scratch_load_b128 v[2:5], off, off offset:48
	scratch_load_b128 v[6:9], off, off offset:64
	;; [unrolled: 1-line block ×9, first 2 shown]
	ds_load_b128 v[42:45], v1 offset:896
	ds_load_b128 v[38:41], v1 offset:912
	s_clause 0x1
	scratch_load_b128 v[155:158], off, off offset:32
	scratch_load_b128 v[159:162], off, off offset:192
	s_mov_b32 s0, exec_lo
	s_wait_loadcnt_dscnt 0xa01
	v_mul_f64_e32 v[163:164], v[44:45], v[4:5]
	v_mul_f64_e32 v[4:5], v[42:43], v[4:5]
	s_wait_loadcnt_dscnt 0x900
	v_mul_f64_e32 v[167:168], v[38:39], v[8:9]
	v_mul_f64_e32 v[8:9], v[40:41], v[8:9]
	s_delay_alu instid0(VALU_DEP_4) | instskip(NEXT) | instid1(VALU_DEP_4)
	v_fma_f64 v[169:170], v[42:43], v[2:3], -v[163:164]
	v_fma_f64 v[171:172], v[44:45], v[2:3], v[4:5]
	ds_load_b128 v[2:5], v1 offset:928
	ds_load_b128 v[163:166], v1 offset:944
	scratch_load_b128 v[42:45], off, off offset:208
	v_fma_f64 v[40:41], v[40:41], v[6:7], v[167:168]
	v_fma_f64 v[38:39], v[38:39], v[6:7], -v[8:9]
	scratch_load_b128 v[6:9], off, off offset:224
	s_wait_loadcnt_dscnt 0xa01
	v_mul_f64_e32 v[173:174], v[2:3], v[12:13]
	v_mul_f64_e32 v[12:13], v[4:5], v[12:13]
	v_add_f64_e32 v[167:168], 0, v[169:170]
	v_add_f64_e32 v[169:170], 0, v[171:172]
	s_wait_loadcnt_dscnt 0x900
	v_mul_f64_e32 v[171:172], v[163:164], v[16:17]
	v_mul_f64_e32 v[16:17], v[165:166], v[16:17]
	v_fma_f64 v[173:174], v[4:5], v[10:11], v[173:174]
	v_fma_f64 v[175:176], v[2:3], v[10:11], -v[12:13]
	ds_load_b128 v[2:5], v1 offset:960
	scratch_load_b128 v[10:13], off, off offset:240
	v_add_f64_e32 v[167:168], v[167:168], v[38:39]
	v_add_f64_e32 v[169:170], v[169:170], v[40:41]
	ds_load_b128 v[38:41], v1 offset:976
	v_fma_f64 v[165:166], v[165:166], v[14:15], v[171:172]
	v_fma_f64 v[163:164], v[163:164], v[14:15], -v[16:17]
	scratch_load_b128 v[14:17], off, off offset:256
	s_wait_loadcnt_dscnt 0xa01
	v_mul_f64_e32 v[177:178], v[2:3], v[20:21]
	v_mul_f64_e32 v[20:21], v[4:5], v[20:21]
	s_wait_loadcnt_dscnt 0x900
	v_mul_f64_e32 v[171:172], v[38:39], v[24:25]
	v_mul_f64_e32 v[24:25], v[40:41], v[24:25]
	v_add_f64_e32 v[167:168], v[167:168], v[175:176]
	v_add_f64_e32 v[169:170], v[169:170], v[173:174]
	v_fma_f64 v[173:174], v[4:5], v[18:19], v[177:178]
	v_fma_f64 v[175:176], v[2:3], v[18:19], -v[20:21]
	ds_load_b128 v[2:5], v1 offset:992
	scratch_load_b128 v[18:21], off, off offset:272
	v_fma_f64 v[40:41], v[40:41], v[22:23], v[171:172]
	v_fma_f64 v[38:39], v[38:39], v[22:23], -v[24:25]
	scratch_load_b128 v[22:25], off, off offset:288
	v_add_f64_e32 v[167:168], v[167:168], v[163:164]
	v_add_f64_e32 v[169:170], v[169:170], v[165:166]
	ds_load_b128 v[163:166], v1 offset:1008
	s_wait_loadcnt_dscnt 0xa01
	v_mul_f64_e32 v[177:178], v[2:3], v[28:29]
	v_mul_f64_e32 v[28:29], v[4:5], v[28:29]
	s_wait_loadcnt_dscnt 0x900
	v_mul_f64_e32 v[171:172], v[163:164], v[32:33]
	v_mul_f64_e32 v[32:33], v[165:166], v[32:33]
	v_add_f64_e32 v[167:168], v[167:168], v[175:176]
	v_add_f64_e32 v[169:170], v[169:170], v[173:174]
	v_fma_f64 v[173:174], v[4:5], v[26:27], v[177:178]
	v_fma_f64 v[175:176], v[2:3], v[26:27], -v[28:29]
	ds_load_b128 v[2:5], v1 offset:1024
	scratch_load_b128 v[26:29], off, off offset:304
	v_fma_f64 v[165:166], v[165:166], v[30:31], v[171:172]
	v_fma_f64 v[163:164], v[163:164], v[30:31], -v[32:33]
	scratch_load_b128 v[30:33], off, off offset:320
	v_add_f64_e32 v[167:168], v[167:168], v[38:39]
	v_add_f64_e32 v[169:170], v[169:170], v[40:41]
	ds_load_b128 v[38:41], v1 offset:1040
	s_wait_loadcnt_dscnt 0xa01
	v_mul_f64_e32 v[177:178], v[2:3], v[36:37]
	v_mul_f64_e32 v[36:37], v[4:5], v[36:37]
	s_wait_loadcnt_dscnt 0x800
	v_mul_f64_e32 v[171:172], v[38:39], v[161:162]
	v_add_f64_e32 v[167:168], v[167:168], v[175:176]
	v_add_f64_e32 v[169:170], v[169:170], v[173:174]
	v_mul_f64_e32 v[173:174], v[40:41], v[161:162]
	v_fma_f64 v[175:176], v[4:5], v[34:35], v[177:178]
	v_fma_f64 v[177:178], v[2:3], v[34:35], -v[36:37]
	ds_load_b128 v[2:5], v1 offset:1056
	scratch_load_b128 v[34:37], off, off offset:336
	v_fma_f64 v[171:172], v[40:41], v[159:160], v[171:172]
	v_add_f64_e32 v[167:168], v[167:168], v[163:164]
	v_add_f64_e32 v[165:166], v[169:170], v[165:166]
	ds_load_b128 v[161:164], v1 offset:1072
	v_fma_f64 v[159:160], v[38:39], v[159:160], -v[173:174]
	scratch_load_b128 v[38:41], off, off offset:352
	s_wait_loadcnt_dscnt 0x901
	v_mul_f64_e32 v[169:170], v[2:3], v[44:45]
	v_mul_f64_e32 v[44:45], v[4:5], v[44:45]
	s_wait_loadcnt_dscnt 0x800
	v_mul_f64_e32 v[173:174], v[161:162], v[8:9]
	v_mul_f64_e32 v[8:9], v[163:164], v[8:9]
	v_add_f64_e32 v[167:168], v[167:168], v[177:178]
	v_add_f64_e32 v[165:166], v[165:166], v[175:176]
	v_fma_f64 v[169:170], v[4:5], v[42:43], v[169:170]
	v_fma_f64 v[175:176], v[2:3], v[42:43], -v[44:45]
	ds_load_b128 v[2:5], v1 offset:1088
	scratch_load_b128 v[42:45], off, off offset:368
	v_fma_f64 v[163:164], v[163:164], v[6:7], v[173:174]
	v_fma_f64 v[161:162], v[161:162], v[6:7], -v[8:9]
	scratch_load_b128 v[6:9], off, off offset:384
	v_add_f64_e32 v[159:160], v[167:168], v[159:160]
	v_add_f64_e32 v[171:172], v[165:166], v[171:172]
	ds_load_b128 v[165:168], v1 offset:1104
	s_wait_loadcnt_dscnt 0x901
	v_mul_f64_e32 v[177:178], v[2:3], v[12:13]
	v_mul_f64_e32 v[12:13], v[4:5], v[12:13]
	v_add_f64_e32 v[159:160], v[159:160], v[175:176]
	v_add_f64_e32 v[169:170], v[171:172], v[169:170]
	s_wait_loadcnt_dscnt 0x800
	v_mul_f64_e32 v[171:172], v[165:166], v[16:17]
	v_mul_f64_e32 v[16:17], v[167:168], v[16:17]
	v_fma_f64 v[173:174], v[4:5], v[10:11], v[177:178]
	v_fma_f64 v[175:176], v[2:3], v[10:11], -v[12:13]
	ds_load_b128 v[2:5], v1 offset:1120
	scratch_load_b128 v[10:13], off, off offset:400
	v_add_f64_e32 v[177:178], v[159:160], v[161:162]
	v_add_f64_e32 v[163:164], v[169:170], v[163:164]
	ds_load_b128 v[159:162], v1 offset:1136
	s_wait_loadcnt_dscnt 0x801
	v_mul_f64_e32 v[169:170], v[2:3], v[20:21]
	v_mul_f64_e32 v[20:21], v[4:5], v[20:21]
	v_fma_f64 v[167:168], v[167:168], v[14:15], v[171:172]
	v_fma_f64 v[165:166], v[165:166], v[14:15], -v[16:17]
	scratch_load_b128 v[14:17], off, off offset:416
	v_add_f64_e32 v[171:172], v[177:178], v[175:176]
	v_add_f64_e32 v[163:164], v[163:164], v[173:174]
	s_wait_loadcnt_dscnt 0x800
	v_mul_f64_e32 v[173:174], v[159:160], v[24:25]
	v_mul_f64_e32 v[24:25], v[161:162], v[24:25]
	v_fma_f64 v[169:170], v[4:5], v[18:19], v[169:170]
	v_fma_f64 v[175:176], v[2:3], v[18:19], -v[20:21]
	ds_load_b128 v[2:5], v1 offset:1152
	scratch_load_b128 v[18:21], off, off offset:432
	v_add_f64_e32 v[171:172], v[171:172], v[165:166]
	v_add_f64_e32 v[167:168], v[163:164], v[167:168]
	ds_load_b128 v[163:166], v1 offset:1168
	s_wait_loadcnt_dscnt 0x801
	v_mul_f64_e32 v[177:178], v[2:3], v[28:29]
	v_mul_f64_e32 v[28:29], v[4:5], v[28:29]
	v_fma_f64 v[161:162], v[161:162], v[22:23], v[173:174]
	v_fma_f64 v[159:160], v[159:160], v[22:23], -v[24:25]
	scratch_load_b128 v[22:25], off, off offset:448
	v_add_f64_e32 v[171:172], v[171:172], v[175:176]
	v_add_f64_e32 v[167:168], v[167:168], v[169:170]
	s_wait_loadcnt_dscnt 0x800
	v_mul_f64_e32 v[169:170], v[163:164], v[32:33]
	v_mul_f64_e32 v[32:33], v[165:166], v[32:33]
	v_fma_f64 v[173:174], v[4:5], v[26:27], v[177:178]
	v_fma_f64 v[175:176], v[2:3], v[26:27], -v[28:29]
	ds_load_b128 v[2:5], v1 offset:1184
	scratch_load_b128 v[26:29], off, off offset:464
	v_add_f64_e32 v[171:172], v[171:172], v[159:160]
	v_add_f64_e32 v[167:168], v[167:168], v[161:162]
	ds_load_b128 v[159:162], v1 offset:1200
	s_wait_loadcnt_dscnt 0x801
	v_mul_f64_e32 v[177:178], v[2:3], v[36:37]
	v_mul_f64_e32 v[36:37], v[4:5], v[36:37]
	v_fma_f64 v[165:166], v[165:166], v[30:31], v[169:170]
	v_fma_f64 v[163:164], v[163:164], v[30:31], -v[32:33]
	scratch_load_b128 v[30:33], off, off offset:480
	v_add_f64_e32 v[169:170], v[171:172], v[175:176]
	v_add_f64_e32 v[167:168], v[167:168], v[173:174]
	s_wait_loadcnt_dscnt 0x800
	v_mul_f64_e32 v[171:172], v[159:160], v[40:41]
	v_mul_f64_e32 v[40:41], v[161:162], v[40:41]
	v_fma_f64 v[173:174], v[4:5], v[34:35], v[177:178]
	v_fma_f64 v[175:176], v[2:3], v[34:35], -v[36:37]
	ds_load_b128 v[2:5], v1 offset:1216
	scratch_load_b128 v[34:37], off, off offset:496
	v_add_f64_e32 v[169:170], v[169:170], v[163:164]
	v_add_f64_e32 v[167:168], v[167:168], v[165:166]
	ds_load_b128 v[163:166], v1 offset:1232
	s_wait_loadcnt_dscnt 0x801
	v_mul_f64_e32 v[177:178], v[2:3], v[44:45]
	v_mul_f64_e32 v[44:45], v[4:5], v[44:45]
	v_fma_f64 v[161:162], v[161:162], v[38:39], v[171:172]
	v_fma_f64 v[159:160], v[159:160], v[38:39], -v[40:41]
	scratch_load_b128 v[38:41], off, off offset:512
	s_wait_loadcnt_dscnt 0x800
	v_mul_f64_e32 v[171:172], v[163:164], v[8:9]
	v_mul_f64_e32 v[8:9], v[165:166], v[8:9]
	v_add_f64_e32 v[169:170], v[169:170], v[175:176]
	v_add_f64_e32 v[167:168], v[167:168], v[173:174]
	v_fma_f64 v[173:174], v[4:5], v[42:43], v[177:178]
	v_fma_f64 v[175:176], v[2:3], v[42:43], -v[44:45]
	ds_load_b128 v[2:5], v1 offset:1248
	scratch_load_b128 v[42:45], off, off offset:528
	v_fma_f64 v[165:166], v[165:166], v[6:7], v[171:172]
	v_fma_f64 v[163:164], v[163:164], v[6:7], -v[8:9]
	scratch_load_b128 v[6:9], off, off offset:544
	v_add_f64_e32 v[169:170], v[169:170], v[159:160]
	v_add_f64_e32 v[167:168], v[167:168], v[161:162]
	ds_load_b128 v[159:162], v1 offset:1264
	s_wait_loadcnt_dscnt 0x901
	v_mul_f64_e32 v[177:178], v[2:3], v[12:13]
	v_mul_f64_e32 v[12:13], v[4:5], v[12:13]
	s_wait_loadcnt_dscnt 0x800
	v_mul_f64_e32 v[171:172], v[159:160], v[16:17]
	v_mul_f64_e32 v[16:17], v[161:162], v[16:17]
	v_add_f64_e32 v[169:170], v[169:170], v[175:176]
	v_add_f64_e32 v[167:168], v[167:168], v[173:174]
	v_fma_f64 v[173:174], v[4:5], v[10:11], v[177:178]
	v_fma_f64 v[175:176], v[2:3], v[10:11], -v[12:13]
	ds_load_b128 v[2:5], v1 offset:1280
	scratch_load_b128 v[10:13], off, off offset:560
	v_fma_f64 v[161:162], v[161:162], v[14:15], v[171:172]
	v_fma_f64 v[159:160], v[159:160], v[14:15], -v[16:17]
	scratch_load_b128 v[14:17], off, off offset:576
	v_add_f64_e32 v[169:170], v[169:170], v[163:164]
	v_add_f64_e32 v[167:168], v[167:168], v[165:166]
	ds_load_b128 v[163:166], v1 offset:1296
	s_wait_loadcnt_dscnt 0x901
	v_mul_f64_e32 v[177:178], v[2:3], v[20:21]
	v_mul_f64_e32 v[20:21], v[4:5], v[20:21]
	;; [unrolled: 18-line block ×11, first 2 shown]
	s_wait_loadcnt_dscnt 0x800
	v_mul_f64_e32 v[171:172], v[159:160], v[16:17]
	v_mul_f64_e32 v[16:17], v[161:162], v[16:17]
	v_add_f64_e32 v[169:170], v[169:170], v[175:176]
	v_add_f64_e32 v[167:168], v[167:168], v[173:174]
	v_fma_f64 v[173:174], v[4:5], v[10:11], v[177:178]
	v_fma_f64 v[175:176], v[2:3], v[10:11], -v[12:13]
	ds_load_b128 v[2:5], v1 offset:1600
	ds_load_b128 v[10:13], v1 offset:1616
	v_fma_f64 v[161:162], v[161:162], v[14:15], v[171:172]
	v_fma_f64 v[14:15], v[159:160], v[14:15], -v[16:17]
	v_add_f64_e32 v[163:164], v[169:170], v[163:164]
	v_add_f64_e32 v[165:166], v[167:168], v[165:166]
	s_wait_loadcnt_dscnt 0x701
	v_mul_f64_e32 v[167:168], v[2:3], v[20:21]
	v_mul_f64_e32 v[20:21], v[4:5], v[20:21]
	s_delay_alu instid0(VALU_DEP_4) | instskip(NEXT) | instid1(VALU_DEP_4)
	v_add_f64_e32 v[16:17], v[163:164], v[175:176]
	v_add_f64_e32 v[159:160], v[165:166], v[173:174]
	s_wait_loadcnt_dscnt 0x600
	v_mul_f64_e32 v[163:164], v[10:11], v[24:25]
	v_mul_f64_e32 v[24:25], v[12:13], v[24:25]
	v_fma_f64 v[165:166], v[4:5], v[18:19], v[167:168]
	v_fma_f64 v[18:19], v[2:3], v[18:19], -v[20:21]
	v_add_f64_e32 v[20:21], v[16:17], v[14:15]
	v_add_f64_e32 v[159:160], v[159:160], v[161:162]
	ds_load_b128 v[2:5], v1 offset:1632
	ds_load_b128 v[14:17], v1 offset:1648
	v_fma_f64 v[12:13], v[12:13], v[22:23], v[163:164]
	v_fma_f64 v[10:11], v[10:11], v[22:23], -v[24:25]
	s_wait_loadcnt_dscnt 0x501
	v_mul_f64_e32 v[161:162], v[2:3], v[28:29]
	v_mul_f64_e32 v[28:29], v[4:5], v[28:29]
	s_wait_loadcnt_dscnt 0x400
	v_mul_f64_e32 v[22:23], v[14:15], v[32:33]
	v_mul_f64_e32 v[24:25], v[16:17], v[32:33]
	v_add_f64_e32 v[18:19], v[20:21], v[18:19]
	v_add_f64_e32 v[20:21], v[159:160], v[165:166]
	v_fma_f64 v[32:33], v[4:5], v[26:27], v[161:162]
	v_fma_f64 v[26:27], v[2:3], v[26:27], -v[28:29]
	v_fma_f64 v[16:17], v[16:17], v[30:31], v[22:23]
	v_fma_f64 v[14:15], v[14:15], v[30:31], -v[24:25]
	v_add_f64_e32 v[18:19], v[18:19], v[10:11]
	v_add_f64_e32 v[20:21], v[20:21], v[12:13]
	ds_load_b128 v[2:5], v1 offset:1664
	ds_load_b128 v[10:13], v1 offset:1680
	s_wait_loadcnt_dscnt 0x301
	v_mul_f64_e32 v[28:29], v[2:3], v[36:37]
	v_mul_f64_e32 v[36:37], v[4:5], v[36:37]
	s_wait_loadcnt_dscnt 0x200
	v_mul_f64_e32 v[22:23], v[10:11], v[40:41]
	v_mul_f64_e32 v[24:25], v[12:13], v[40:41]
	v_add_f64_e32 v[18:19], v[18:19], v[26:27]
	v_add_f64_e32 v[20:21], v[20:21], v[32:33]
	v_fma_f64 v[26:27], v[4:5], v[34:35], v[28:29]
	v_fma_f64 v[28:29], v[2:3], v[34:35], -v[36:37]
	v_fma_f64 v[12:13], v[12:13], v[38:39], v[22:23]
	v_fma_f64 v[10:11], v[10:11], v[38:39], -v[24:25]
	v_add_f64_e32 v[18:19], v[18:19], v[14:15]
	v_add_f64_e32 v[20:21], v[20:21], v[16:17]
	ds_load_b128 v[2:5], v1 offset:1696
	ds_load_b128 v[14:17], v1 offset:1712
	s_wait_loadcnt_dscnt 0x101
	v_mul_f64_e32 v[30:31], v[2:3], v[44:45]
	v_mul_f64_e32 v[32:33], v[4:5], v[44:45]
	s_wait_loadcnt_dscnt 0x0
	v_mul_f64_e32 v[22:23], v[14:15], v[8:9]
	v_mul_f64_e32 v[8:9], v[16:17], v[8:9]
	v_add_f64_e32 v[18:19], v[18:19], v[28:29]
	v_add_f64_e32 v[20:21], v[20:21], v[26:27]
	v_fma_f64 v[4:5], v[4:5], v[42:43], v[30:31]
	v_fma_f64 v[1:2], v[2:3], v[42:43], -v[32:33]
	v_fma_f64 v[16:17], v[16:17], v[6:7], v[22:23]
	v_fma_f64 v[6:7], v[14:15], v[6:7], -v[8:9]
	v_add_f64_e32 v[10:11], v[18:19], v[10:11]
	v_add_f64_e32 v[12:13], v[20:21], v[12:13]
	s_delay_alu instid0(VALU_DEP_2) | instskip(NEXT) | instid1(VALU_DEP_2)
	v_add_f64_e32 v[1:2], v[10:11], v[1:2]
	v_add_f64_e32 v[3:4], v[12:13], v[4:5]
	s_delay_alu instid0(VALU_DEP_2) | instskip(NEXT) | instid1(VALU_DEP_2)
	;; [unrolled: 3-line block ×3, first 2 shown]
	v_add_f64_e64 v[1:2], v[155:156], -v[1:2]
	v_add_f64_e64 v[3:4], v[157:158], -v[3:4]
	scratch_store_b128 off, v[1:4], off offset:32
	v_cmpx_ne_u32_e32 0, v0
	s_cbranch_execz .LBB53_337
; %bb.336:
	scratch_load_b128 v[0:3], off, off offset:16
	v_mov_b32_e32 v4, 0
	s_delay_alu instid0(VALU_DEP_1)
	v_dual_mov_b32 v5, v4 :: v_dual_mov_b32 v6, v4
	v_mov_b32_e32 v7, v4
	scratch_store_b128 off, v[4:7], off offset:16
	s_wait_loadcnt 0x0
	ds_store_b128 v154, v[0:3]
.LBB53_337:
	s_wait_alu 0xfffe
	s_or_b32 exec_lo, exec_lo, s0
	s_wait_storecnt_dscnt 0x0
	s_barrier_signal -1
	s_barrier_wait -1
	global_inv scope:SCOPE_SE
	s_clause 0x7
	scratch_load_b128 v[0:3], off, off offset:32
	scratch_load_b128 v[4:7], off, off offset:48
	;; [unrolled: 1-line block ×8, first 2 shown]
	v_mov_b32_e32 v40, 0
	s_and_b32 vcc_lo, exec_lo, s18
	ds_load_b128 v[36:39], v40 offset:880
	s_clause 0x1
	scratch_load_b128 v[32:35], off, off offset:160
	scratch_load_b128 v[41:44], off, off offset:16
	ds_load_b128 v[154:157], v40 offset:896
	scratch_load_b128 v[158:161], off, off offset:176
	s_wait_loadcnt_dscnt 0xa01
	v_mul_f64_e32 v[162:163], v[38:39], v[2:3]
	v_mul_f64_e32 v[2:3], v[36:37], v[2:3]
	s_delay_alu instid0(VALU_DEP_2) | instskip(NEXT) | instid1(VALU_DEP_2)
	v_fma_f64 v[168:169], v[36:37], v[0:1], -v[162:163]
	v_fma_f64 v[170:171], v[38:39], v[0:1], v[2:3]
	ds_load_b128 v[0:3], v40 offset:912
	s_wait_loadcnt_dscnt 0x901
	v_mul_f64_e32 v[166:167], v[154:155], v[6:7]
	v_mul_f64_e32 v[6:7], v[156:157], v[6:7]
	scratch_load_b128 v[36:39], off, off offset:192
	ds_load_b128 v[162:165], v40 offset:928
	s_wait_loadcnt_dscnt 0x901
	v_mul_f64_e32 v[172:173], v[0:1], v[10:11]
	v_mul_f64_e32 v[10:11], v[2:3], v[10:11]
	v_fma_f64 v[156:157], v[156:157], v[4:5], v[166:167]
	v_fma_f64 v[154:155], v[154:155], v[4:5], -v[6:7]
	v_add_f64_e32 v[166:167], 0, v[168:169]
	v_add_f64_e32 v[168:169], 0, v[170:171]
	scratch_load_b128 v[4:7], off, off offset:208
	v_fma_f64 v[172:173], v[2:3], v[8:9], v[172:173]
	v_fma_f64 v[174:175], v[0:1], v[8:9], -v[10:11]
	ds_load_b128 v[0:3], v40 offset:944
	s_wait_loadcnt_dscnt 0x901
	v_mul_f64_e32 v[170:171], v[162:163], v[14:15]
	v_mul_f64_e32 v[14:15], v[164:165], v[14:15]
	scratch_load_b128 v[8:11], off, off offset:224
	v_add_f64_e32 v[166:167], v[166:167], v[154:155]
	v_add_f64_e32 v[168:169], v[168:169], v[156:157]
	s_wait_loadcnt_dscnt 0x900
	v_mul_f64_e32 v[176:177], v[0:1], v[18:19]
	v_mul_f64_e32 v[18:19], v[2:3], v[18:19]
	ds_load_b128 v[154:157], v40 offset:960
	v_fma_f64 v[164:165], v[164:165], v[12:13], v[170:171]
	v_fma_f64 v[162:163], v[162:163], v[12:13], -v[14:15]
	scratch_load_b128 v[12:15], off, off offset:240
	v_add_f64_e32 v[166:167], v[166:167], v[174:175]
	v_add_f64_e32 v[168:169], v[168:169], v[172:173]
	v_fma_f64 v[172:173], v[2:3], v[16:17], v[176:177]
	v_fma_f64 v[174:175], v[0:1], v[16:17], -v[18:19]
	ds_load_b128 v[0:3], v40 offset:976
	s_wait_loadcnt_dscnt 0x901
	v_mul_f64_e32 v[170:171], v[154:155], v[22:23]
	v_mul_f64_e32 v[22:23], v[156:157], v[22:23]
	scratch_load_b128 v[16:19], off, off offset:256
	s_wait_loadcnt_dscnt 0x900
	v_mul_f64_e32 v[176:177], v[0:1], v[26:27]
	v_mul_f64_e32 v[26:27], v[2:3], v[26:27]
	v_add_f64_e32 v[166:167], v[166:167], v[162:163]
	v_add_f64_e32 v[168:169], v[168:169], v[164:165]
	ds_load_b128 v[162:165], v40 offset:992
	v_fma_f64 v[156:157], v[156:157], v[20:21], v[170:171]
	v_fma_f64 v[154:155], v[154:155], v[20:21], -v[22:23]
	scratch_load_b128 v[20:23], off, off offset:272
	v_add_f64_e32 v[166:167], v[166:167], v[174:175]
	v_add_f64_e32 v[168:169], v[168:169], v[172:173]
	v_fma_f64 v[172:173], v[2:3], v[24:25], v[176:177]
	v_fma_f64 v[174:175], v[0:1], v[24:25], -v[26:27]
	ds_load_b128 v[0:3], v40 offset:1008
	s_wait_loadcnt_dscnt 0x901
	v_mul_f64_e32 v[170:171], v[162:163], v[30:31]
	v_mul_f64_e32 v[30:31], v[164:165], v[30:31]
	scratch_load_b128 v[24:27], off, off offset:288
	s_wait_loadcnt_dscnt 0x900
	v_mul_f64_e32 v[176:177], v[0:1], v[34:35]
	v_mul_f64_e32 v[34:35], v[2:3], v[34:35]
	v_add_f64_e32 v[166:167], v[166:167], v[154:155]
	v_add_f64_e32 v[168:169], v[168:169], v[156:157]
	ds_load_b128 v[154:157], v40 offset:1024
	v_fma_f64 v[164:165], v[164:165], v[28:29], v[170:171]
	v_fma_f64 v[162:163], v[162:163], v[28:29], -v[30:31]
	scratch_load_b128 v[28:31], off, off offset:304
	v_add_f64_e32 v[166:167], v[166:167], v[174:175]
	v_add_f64_e32 v[168:169], v[168:169], v[172:173]
	v_fma_f64 v[174:175], v[2:3], v[32:33], v[176:177]
	v_fma_f64 v[176:177], v[0:1], v[32:33], -v[34:35]
	ds_load_b128 v[0:3], v40 offset:1040
	s_wait_loadcnt_dscnt 0x801
	v_mul_f64_e32 v[170:171], v[154:155], v[160:161]
	v_mul_f64_e32 v[172:173], v[156:157], v[160:161]
	scratch_load_b128 v[32:35], off, off offset:320
	v_add_f64_e32 v[166:167], v[166:167], v[162:163]
	v_add_f64_e32 v[164:165], v[168:169], v[164:165]
	ds_load_b128 v[160:163], v40 offset:1056
	v_fma_f64 v[170:171], v[156:157], v[158:159], v[170:171]
	v_fma_f64 v[158:159], v[154:155], v[158:159], -v[172:173]
	scratch_load_b128 v[154:157], off, off offset:336
	s_wait_loadcnt_dscnt 0x901
	v_mul_f64_e32 v[168:169], v[0:1], v[38:39]
	v_mul_f64_e32 v[38:39], v[2:3], v[38:39]
	v_add_f64_e32 v[166:167], v[166:167], v[176:177]
	v_add_f64_e32 v[164:165], v[164:165], v[174:175]
	s_delay_alu instid0(VALU_DEP_4) | instskip(NEXT) | instid1(VALU_DEP_4)
	v_fma_f64 v[168:169], v[2:3], v[36:37], v[168:169]
	v_fma_f64 v[174:175], v[0:1], v[36:37], -v[38:39]
	ds_load_b128 v[0:3], v40 offset:1072
	s_wait_loadcnt_dscnt 0x801
	v_mul_f64_e32 v[172:173], v[160:161], v[6:7]
	v_mul_f64_e32 v[6:7], v[162:163], v[6:7]
	scratch_load_b128 v[36:39], off, off offset:352
	s_wait_loadcnt_dscnt 0x800
	v_mul_f64_e32 v[176:177], v[0:1], v[10:11]
	v_add_f64_e32 v[158:159], v[166:167], v[158:159]
	v_add_f64_e32 v[170:171], v[164:165], v[170:171]
	v_mul_f64_e32 v[10:11], v[2:3], v[10:11]
	ds_load_b128 v[164:167], v40 offset:1088
	v_fma_f64 v[162:163], v[162:163], v[4:5], v[172:173]
	v_fma_f64 v[160:161], v[160:161], v[4:5], -v[6:7]
	scratch_load_b128 v[4:7], off, off offset:368
	v_fma_f64 v[172:173], v[2:3], v[8:9], v[176:177]
	v_add_f64_e32 v[158:159], v[158:159], v[174:175]
	v_add_f64_e32 v[168:169], v[170:171], v[168:169]
	v_fma_f64 v[174:175], v[0:1], v[8:9], -v[10:11]
	ds_load_b128 v[0:3], v40 offset:1104
	s_wait_loadcnt_dscnt 0x801
	v_mul_f64_e32 v[170:171], v[164:165], v[14:15]
	v_mul_f64_e32 v[14:15], v[166:167], v[14:15]
	scratch_load_b128 v[8:11], off, off offset:384
	v_add_f64_e32 v[176:177], v[158:159], v[160:161]
	v_add_f64_e32 v[162:163], v[168:169], v[162:163]
	s_wait_loadcnt_dscnt 0x800
	v_mul_f64_e32 v[168:169], v[0:1], v[18:19]
	v_mul_f64_e32 v[18:19], v[2:3], v[18:19]
	v_fma_f64 v[166:167], v[166:167], v[12:13], v[170:171]
	v_fma_f64 v[164:165], v[164:165], v[12:13], -v[14:15]
	ds_load_b128 v[158:161], v40 offset:1120
	scratch_load_b128 v[12:15], off, off offset:400
	v_add_f64_e32 v[170:171], v[176:177], v[174:175]
	v_add_f64_e32 v[162:163], v[162:163], v[172:173]
	v_fma_f64 v[168:169], v[2:3], v[16:17], v[168:169]
	v_fma_f64 v[174:175], v[0:1], v[16:17], -v[18:19]
	ds_load_b128 v[0:3], v40 offset:1136
	s_wait_loadcnt_dscnt 0x801
	v_mul_f64_e32 v[172:173], v[158:159], v[22:23]
	v_mul_f64_e32 v[22:23], v[160:161], v[22:23]
	scratch_load_b128 v[16:19], off, off offset:416
	s_wait_loadcnt_dscnt 0x800
	v_mul_f64_e32 v[176:177], v[0:1], v[26:27]
	v_mul_f64_e32 v[26:27], v[2:3], v[26:27]
	v_add_f64_e32 v[170:171], v[170:171], v[164:165]
	v_add_f64_e32 v[166:167], v[162:163], v[166:167]
	ds_load_b128 v[162:165], v40 offset:1152
	v_fma_f64 v[160:161], v[160:161], v[20:21], v[172:173]
	v_fma_f64 v[158:159], v[158:159], v[20:21], -v[22:23]
	scratch_load_b128 v[20:23], off, off offset:432
	v_fma_f64 v[172:173], v[2:3], v[24:25], v[176:177]
	v_add_f64_e32 v[170:171], v[170:171], v[174:175]
	v_add_f64_e32 v[166:167], v[166:167], v[168:169]
	v_fma_f64 v[174:175], v[0:1], v[24:25], -v[26:27]
	ds_load_b128 v[0:3], v40 offset:1168
	s_wait_loadcnt_dscnt 0x801
	v_mul_f64_e32 v[168:169], v[162:163], v[30:31]
	v_mul_f64_e32 v[30:31], v[164:165], v[30:31]
	scratch_load_b128 v[24:27], off, off offset:448
	s_wait_loadcnt_dscnt 0x800
	v_mul_f64_e32 v[176:177], v[0:1], v[34:35]
	v_mul_f64_e32 v[34:35], v[2:3], v[34:35]
	v_add_f64_e32 v[170:171], v[170:171], v[158:159]
	v_add_f64_e32 v[166:167], v[166:167], v[160:161]
	ds_load_b128 v[158:161], v40 offset:1184
	v_fma_f64 v[164:165], v[164:165], v[28:29], v[168:169]
	v_fma_f64 v[162:163], v[162:163], v[28:29], -v[30:31]
	scratch_load_b128 v[28:31], off, off offset:464
	v_add_f64_e32 v[168:169], v[170:171], v[174:175]
	v_add_f64_e32 v[166:167], v[166:167], v[172:173]
	v_fma_f64 v[172:173], v[2:3], v[32:33], v[176:177]
	v_fma_f64 v[174:175], v[0:1], v[32:33], -v[34:35]
	ds_load_b128 v[0:3], v40 offset:1200
	s_wait_loadcnt_dscnt 0x801
	v_mul_f64_e32 v[170:171], v[158:159], v[156:157]
	v_mul_f64_e32 v[156:157], v[160:161], v[156:157]
	scratch_load_b128 v[32:35], off, off offset:480
	s_wait_loadcnt_dscnt 0x800
	v_mul_f64_e32 v[176:177], v[0:1], v[38:39]
	v_mul_f64_e32 v[38:39], v[2:3], v[38:39]
	v_add_f64_e32 v[168:169], v[168:169], v[162:163]
	v_add_f64_e32 v[166:167], v[166:167], v[164:165]
	ds_load_b128 v[162:165], v40 offset:1216
	v_fma_f64 v[160:161], v[160:161], v[154:155], v[170:171]
	v_fma_f64 v[158:159], v[158:159], v[154:155], -v[156:157]
	scratch_load_b128 v[154:157], off, off offset:496
	v_add_f64_e32 v[168:169], v[168:169], v[174:175]
	v_add_f64_e32 v[166:167], v[166:167], v[172:173]
	v_fma_f64 v[172:173], v[2:3], v[36:37], v[176:177]
	;; [unrolled: 18-line block ×6, first 2 shown]
	v_fma_f64 v[176:177], v[0:1], v[32:33], -v[34:35]
	ds_load_b128 v[0:3], v40 offset:1360
	s_wait_loadcnt_dscnt 0x801
	v_mul_f64_e32 v[170:171], v[162:163], v[156:157]
	v_mul_f64_e32 v[172:173], v[164:165], v[156:157]
	scratch_load_b128 v[32:35], off, off offset:640
	v_add_f64_e32 v[168:169], v[168:169], v[158:159]
	v_add_f64_e32 v[160:161], v[166:167], v[160:161]
	s_wait_loadcnt_dscnt 0x800
	v_mul_f64_e32 v[166:167], v[0:1], v[38:39]
	v_mul_f64_e32 v[38:39], v[2:3], v[38:39]
	ds_load_b128 v[156:159], v40 offset:1376
	v_fma_f64 v[164:165], v[164:165], v[154:155], v[170:171]
	v_fma_f64 v[154:155], v[162:163], v[154:155], -v[172:173]
	v_add_f64_e32 v[168:169], v[168:169], v[176:177]
	v_add_f64_e32 v[170:171], v[160:161], v[174:175]
	scratch_load_b128 v[160:163], off, off offset:656
	v_fma_f64 v[174:175], v[2:3], v[36:37], v[166:167]
	v_fma_f64 v[176:177], v[0:1], v[36:37], -v[38:39]
	ds_load_b128 v[0:3], v40 offset:1392
	s_wait_loadcnt_dscnt 0x801
	v_mul_f64_e32 v[172:173], v[156:157], v[6:7]
	v_mul_f64_e32 v[6:7], v[158:159], v[6:7]
	scratch_load_b128 v[36:39], off, off offset:672
	v_add_f64_e32 v[154:155], v[168:169], v[154:155]
	v_add_f64_e32 v[168:169], v[170:171], v[164:165]
	s_wait_loadcnt_dscnt 0x800
	v_mul_f64_e32 v[170:171], v[0:1], v[10:11]
	v_mul_f64_e32 v[10:11], v[2:3], v[10:11]
	ds_load_b128 v[164:167], v40 offset:1408
	v_fma_f64 v[158:159], v[158:159], v[4:5], v[172:173]
	v_fma_f64 v[156:157], v[156:157], v[4:5], -v[6:7]
	scratch_load_b128 v[4:7], off, off offset:688
	v_add_f64_e32 v[154:155], v[154:155], v[176:177]
	v_add_f64_e32 v[168:169], v[168:169], v[174:175]
	v_fma_f64 v[170:171], v[2:3], v[8:9], v[170:171]
	v_fma_f64 v[174:175], v[0:1], v[8:9], -v[10:11]
	ds_load_b128 v[0:3], v40 offset:1424
	s_wait_loadcnt_dscnt 0x801
	v_mul_f64_e32 v[172:173], v[164:165], v[14:15]
	v_mul_f64_e32 v[14:15], v[166:167], v[14:15]
	scratch_load_b128 v[8:11], off, off offset:704
	v_add_f64_e32 v[176:177], v[154:155], v[156:157]
	v_add_f64_e32 v[158:159], v[168:169], v[158:159]
	s_wait_loadcnt_dscnt 0x800
	v_mul_f64_e32 v[168:169], v[0:1], v[18:19]
	v_mul_f64_e32 v[18:19], v[2:3], v[18:19]
	ds_load_b128 v[154:157], v40 offset:1440
	v_fma_f64 v[166:167], v[166:167], v[12:13], v[172:173]
	v_fma_f64 v[164:165], v[164:165], v[12:13], -v[14:15]
	scratch_load_b128 v[12:15], off, off offset:720
	v_add_f64_e32 v[172:173], v[176:177], v[174:175]
	v_add_f64_e32 v[158:159], v[158:159], v[170:171]
	v_fma_f64 v[168:169], v[2:3], v[16:17], v[168:169]
	v_fma_f64 v[174:175], v[0:1], v[16:17], -v[18:19]
	ds_load_b128 v[0:3], v40 offset:1456
	s_wait_loadcnt_dscnt 0x801
	v_mul_f64_e32 v[170:171], v[154:155], v[22:23]
	v_mul_f64_e32 v[22:23], v[156:157], v[22:23]
	scratch_load_b128 v[16:19], off, off offset:736
	s_wait_loadcnt_dscnt 0x800
	v_mul_f64_e32 v[176:177], v[0:1], v[26:27]
	v_mul_f64_e32 v[26:27], v[2:3], v[26:27]
	v_add_f64_e32 v[172:173], v[172:173], v[164:165]
	v_add_f64_e32 v[158:159], v[158:159], v[166:167]
	ds_load_b128 v[164:167], v40 offset:1472
	v_fma_f64 v[156:157], v[156:157], v[20:21], v[170:171]
	v_fma_f64 v[154:155], v[154:155], v[20:21], -v[22:23]
	scratch_load_b128 v[20:23], off, off offset:752
	v_add_f64_e32 v[170:171], v[172:173], v[174:175]
	v_add_f64_e32 v[158:159], v[158:159], v[168:169]
	v_fma_f64 v[172:173], v[2:3], v[24:25], v[176:177]
	v_fma_f64 v[174:175], v[0:1], v[24:25], -v[26:27]
	ds_load_b128 v[0:3], v40 offset:1488
	s_wait_loadcnt_dscnt 0x801
	v_mul_f64_e32 v[168:169], v[164:165], v[30:31]
	v_mul_f64_e32 v[30:31], v[166:167], v[30:31]
	scratch_load_b128 v[24:27], off, off offset:768
	s_wait_loadcnt_dscnt 0x800
	v_mul_f64_e32 v[176:177], v[0:1], v[34:35]
	v_mul_f64_e32 v[34:35], v[2:3], v[34:35]
	v_add_f64_e32 v[170:171], v[170:171], v[154:155]
	v_add_f64_e32 v[158:159], v[158:159], v[156:157]
	ds_load_b128 v[154:157], v40 offset:1504
	v_fma_f64 v[166:167], v[166:167], v[28:29], v[168:169]
	v_fma_f64 v[164:165], v[164:165], v[28:29], -v[30:31]
	scratch_load_b128 v[28:31], off, off offset:784
	v_add_f64_e32 v[168:169], v[170:171], v[174:175]
	v_add_f64_e32 v[158:159], v[158:159], v[172:173]
	v_fma_f64 v[174:175], v[2:3], v[32:33], v[176:177]
	v_fma_f64 v[176:177], v[0:1], v[32:33], -v[34:35]
	ds_load_b128 v[0:3], v40 offset:1520
	scratch_load_b128 v[32:35], off, off offset:800
	s_wait_loadcnt_dscnt 0x901
	v_mul_f64_e32 v[170:171], v[154:155], v[162:163]
	v_mul_f64_e32 v[172:173], v[156:157], v[162:163]
	v_add_f64_e32 v[168:169], v[168:169], v[164:165]
	v_add_f64_e32 v[158:159], v[158:159], v[166:167]
	s_wait_loadcnt_dscnt 0x800
	v_mul_f64_e32 v[166:167], v[0:1], v[38:39]
	v_mul_f64_e32 v[38:39], v[2:3], v[38:39]
	ds_load_b128 v[162:165], v40 offset:1536
	v_fma_f64 v[170:171], v[156:157], v[160:161], v[170:171]
	v_fma_f64 v[160:161], v[154:155], v[160:161], -v[172:173]
	scratch_load_b128 v[154:157], off, off offset:816
	v_add_f64_e32 v[168:169], v[168:169], v[176:177]
	v_add_f64_e32 v[158:159], v[158:159], v[174:175]
	v_fma_f64 v[166:167], v[2:3], v[36:37], v[166:167]
	v_fma_f64 v[174:175], v[0:1], v[36:37], -v[38:39]
	ds_load_b128 v[0:3], v40 offset:1552
	s_wait_loadcnt_dscnt 0x801
	v_mul_f64_e32 v[172:173], v[162:163], v[6:7]
	v_mul_f64_e32 v[6:7], v[164:165], v[6:7]
	scratch_load_b128 v[36:39], off, off offset:832
	s_wait_loadcnt_dscnt 0x800
	v_mul_f64_e32 v[176:177], v[0:1], v[10:11]
	v_mul_f64_e32 v[10:11], v[2:3], v[10:11]
	v_add_f64_e32 v[168:169], v[168:169], v[160:161]
	v_add_f64_e32 v[170:171], v[158:159], v[170:171]
	ds_load_b128 v[158:161], v40 offset:1568
	v_fma_f64 v[164:165], v[164:165], v[4:5], v[172:173]
	v_fma_f64 v[162:163], v[162:163], v[4:5], -v[6:7]
	scratch_load_b128 v[4:7], off, off offset:848
	v_fma_f64 v[172:173], v[2:3], v[8:9], v[176:177]
	v_add_f64_e32 v[168:169], v[168:169], v[174:175]
	v_add_f64_e32 v[166:167], v[170:171], v[166:167]
	v_fma_f64 v[174:175], v[0:1], v[8:9], -v[10:11]
	ds_load_b128 v[0:3], v40 offset:1584
	s_wait_loadcnt_dscnt 0x801
	v_mul_f64_e32 v[170:171], v[158:159], v[14:15]
	v_mul_f64_e32 v[14:15], v[160:161], v[14:15]
	scratch_load_b128 v[8:11], off, off offset:864
	s_wait_loadcnt_dscnt 0x800
	v_mul_f64_e32 v[176:177], v[0:1], v[18:19]
	v_mul_f64_e32 v[18:19], v[2:3], v[18:19]
	v_add_f64_e32 v[168:169], v[168:169], v[162:163]
	v_add_f64_e32 v[166:167], v[166:167], v[164:165]
	ds_load_b128 v[162:165], v40 offset:1600
	v_fma_f64 v[160:161], v[160:161], v[12:13], v[170:171]
	v_fma_f64 v[12:13], v[158:159], v[12:13], -v[14:15]
	v_add_f64_e32 v[14:15], v[168:169], v[174:175]
	v_add_f64_e32 v[158:159], v[166:167], v[172:173]
	s_wait_loadcnt_dscnt 0x700
	v_mul_f64_e32 v[166:167], v[162:163], v[22:23]
	v_mul_f64_e32 v[22:23], v[164:165], v[22:23]
	v_fma_f64 v[168:169], v[2:3], v[16:17], v[176:177]
	v_fma_f64 v[16:17], v[0:1], v[16:17], -v[18:19]
	v_add_f64_e32 v[18:19], v[14:15], v[12:13]
	v_add_f64_e32 v[158:159], v[158:159], v[160:161]
	ds_load_b128 v[0:3], v40 offset:1616
	ds_load_b128 v[12:15], v40 offset:1632
	v_fma_f64 v[164:165], v[164:165], v[20:21], v[166:167]
	v_fma_f64 v[20:21], v[162:163], v[20:21], -v[22:23]
	s_wait_loadcnt_dscnt 0x601
	v_mul_f64_e32 v[160:161], v[0:1], v[26:27]
	v_mul_f64_e32 v[26:27], v[2:3], v[26:27]
	s_wait_loadcnt_dscnt 0x500
	v_mul_f64_e32 v[22:23], v[12:13], v[30:31]
	v_mul_f64_e32 v[30:31], v[14:15], v[30:31]
	v_add_f64_e32 v[16:17], v[18:19], v[16:17]
	v_add_f64_e32 v[18:19], v[158:159], v[168:169]
	v_fma_f64 v[158:159], v[2:3], v[24:25], v[160:161]
	v_fma_f64 v[24:25], v[0:1], v[24:25], -v[26:27]
	v_fma_f64 v[14:15], v[14:15], v[28:29], v[22:23]
	v_fma_f64 v[12:13], v[12:13], v[28:29], -v[30:31]
	v_add_f64_e32 v[20:21], v[16:17], v[20:21]
	v_add_f64_e32 v[26:27], v[18:19], v[164:165]
	ds_load_b128 v[0:3], v40 offset:1648
	ds_load_b128 v[16:19], v40 offset:1664
	s_wait_loadcnt_dscnt 0x401
	v_mul_f64_e32 v[160:161], v[0:1], v[34:35]
	v_mul_f64_e32 v[34:35], v[2:3], v[34:35]
	v_add_f64_e32 v[20:21], v[20:21], v[24:25]
	v_add_f64_e32 v[22:23], v[26:27], v[158:159]
	s_wait_loadcnt_dscnt 0x300
	v_mul_f64_e32 v[24:25], v[16:17], v[156:157]
	v_mul_f64_e32 v[26:27], v[18:19], v[156:157]
	v_fma_f64 v[28:29], v[2:3], v[32:33], v[160:161]
	v_fma_f64 v[30:31], v[0:1], v[32:33], -v[34:35]
	v_add_f64_e32 v[20:21], v[20:21], v[12:13]
	v_add_f64_e32 v[22:23], v[22:23], v[14:15]
	ds_load_b128 v[0:3], v40 offset:1680
	ds_load_b128 v[12:15], v40 offset:1696
	v_fma_f64 v[18:19], v[18:19], v[154:155], v[24:25]
	v_fma_f64 v[16:17], v[16:17], v[154:155], -v[26:27]
	s_wait_loadcnt_dscnt 0x201
	v_mul_f64_e32 v[32:33], v[0:1], v[38:39]
	v_mul_f64_e32 v[34:35], v[2:3], v[38:39]
	s_wait_loadcnt_dscnt 0x100
	v_mul_f64_e32 v[24:25], v[12:13], v[6:7]
	v_mul_f64_e32 v[6:7], v[14:15], v[6:7]
	v_add_f64_e32 v[20:21], v[20:21], v[30:31]
	v_add_f64_e32 v[22:23], v[22:23], v[28:29]
	v_fma_f64 v[26:27], v[2:3], v[36:37], v[32:33]
	v_fma_f64 v[28:29], v[0:1], v[36:37], -v[34:35]
	ds_load_b128 v[0:3], v40 offset:1712
	v_fma_f64 v[14:15], v[14:15], v[4:5], v[24:25]
	v_fma_f64 v[4:5], v[12:13], v[4:5], -v[6:7]
	v_add_f64_e32 v[16:17], v[20:21], v[16:17]
	v_add_f64_e32 v[18:19], v[22:23], v[18:19]
	s_wait_loadcnt_dscnt 0x0
	v_mul_f64_e32 v[20:21], v[0:1], v[10:11]
	v_mul_f64_e32 v[10:11], v[2:3], v[10:11]
	s_delay_alu instid0(VALU_DEP_4) | instskip(NEXT) | instid1(VALU_DEP_4)
	v_add_f64_e32 v[6:7], v[16:17], v[28:29]
	v_add_f64_e32 v[12:13], v[18:19], v[26:27]
	s_delay_alu instid0(VALU_DEP_4) | instskip(NEXT) | instid1(VALU_DEP_4)
	v_fma_f64 v[2:3], v[2:3], v[8:9], v[20:21]
	v_fma_f64 v[0:1], v[0:1], v[8:9], -v[10:11]
	s_delay_alu instid0(VALU_DEP_4) | instskip(NEXT) | instid1(VALU_DEP_4)
	v_add_f64_e32 v[4:5], v[6:7], v[4:5]
	v_add_f64_e32 v[6:7], v[12:13], v[14:15]
	s_delay_alu instid0(VALU_DEP_2) | instskip(NEXT) | instid1(VALU_DEP_2)
	v_add_f64_e32 v[0:1], v[4:5], v[0:1]
	v_add_f64_e32 v[2:3], v[6:7], v[2:3]
	s_delay_alu instid0(VALU_DEP_2) | instskip(NEXT) | instid1(VALU_DEP_2)
	v_add_f64_e64 v[0:1], v[41:42], -v[0:1]
	v_add_f64_e64 v[2:3], v[43:44], -v[2:3]
	scratch_store_b128 off, v[0:3], off offset:16
	s_wait_alu 0xfffe
	s_cbranch_vccz .LBB53_444
; %bb.338:
	global_load_b32 v0, v40, s[2:3] offset:208
	s_wait_loadcnt 0x0
	v_cmp_ne_u32_e32 vcc_lo, 53, v0
	s_cbranch_vccz .LBB53_340
; %bb.339:
	v_lshlrev_b32_e32 v0, 4, v0
	s_delay_alu instid0(VALU_DEP_1)
	v_add_nc_u32_e32 v8, 16, v0
	s_clause 0x1
	scratch_load_b128 v[0:3], v8, off offset:-16
	scratch_load_b128 v[4:7], off, s33
	s_wait_loadcnt 0x1
	scratch_store_b128 off, v[0:3], s33
	s_wait_loadcnt 0x0
	scratch_store_b128 v8, v[4:7], off offset:-16
.LBB53_340:
	v_mov_b32_e32 v0, 0
	global_load_b32 v1, v0, s[2:3] offset:204
	s_wait_loadcnt 0x0
	v_cmp_eq_u32_e32 vcc_lo, 52, v1
	s_cbranch_vccnz .LBB53_342
; %bb.341:
	v_lshlrev_b32_e32 v1, 4, v1
	s_delay_alu instid0(VALU_DEP_1)
	v_add_nc_u32_e32 v9, 16, v1
	s_clause 0x1
	scratch_load_b128 v[1:4], v9, off offset:-16
	scratch_load_b128 v[5:8], off, s31
	s_wait_loadcnt 0x1
	scratch_store_b128 off, v[1:4], s31
	s_wait_loadcnt 0x0
	scratch_store_b128 v9, v[5:8], off offset:-16
.LBB53_342:
	global_load_b32 v0, v0, s[2:3] offset:200
	s_wait_loadcnt 0x0
	v_cmp_eq_u32_e32 vcc_lo, 51, v0
	s_cbranch_vccnz .LBB53_344
; %bb.343:
	v_lshlrev_b32_e32 v0, 4, v0
	s_delay_alu instid0(VALU_DEP_1)
	v_add_nc_u32_e32 v8, 16, v0
	s_clause 0x1
	scratch_load_b128 v[0:3], v8, off offset:-16
	scratch_load_b128 v[4:7], off, s35
	s_wait_loadcnt 0x1
	scratch_store_b128 off, v[0:3], s35
	s_wait_loadcnt 0x0
	scratch_store_b128 v8, v[4:7], off offset:-16
.LBB53_344:
	v_mov_b32_e32 v0, 0
	global_load_b32 v1, v0, s[2:3] offset:196
	s_wait_loadcnt 0x0
	v_cmp_eq_u32_e32 vcc_lo, 50, v1
	s_cbranch_vccnz .LBB53_346
; %bb.345:
	v_lshlrev_b32_e32 v1, 4, v1
	s_delay_alu instid0(VALU_DEP_1)
	v_add_nc_u32_e32 v9, 16, v1
	s_clause 0x1
	scratch_load_b128 v[1:4], v9, off offset:-16
	scratch_load_b128 v[5:8], off, s34
	s_wait_loadcnt 0x1
	scratch_store_b128 off, v[1:4], s34
	s_wait_loadcnt 0x0
	scratch_store_b128 v9, v[5:8], off offset:-16
.LBB53_346:
	global_load_b32 v0, v0, s[2:3] offset:192
	s_wait_loadcnt 0x0
	v_cmp_eq_u32_e32 vcc_lo, 49, v0
	s_cbranch_vccnz .LBB53_348
; %bb.347:
	v_lshlrev_b32_e32 v0, 4, v0
	s_delay_alu instid0(VALU_DEP_1)
	v_add_nc_u32_e32 v8, 16, v0
	s_clause 0x1
	scratch_load_b128 v[0:3], v8, off offset:-16
	scratch_load_b128 v[4:7], off, s40
	s_wait_loadcnt 0x1
	scratch_store_b128 off, v[0:3], s40
	s_wait_loadcnt 0x0
	scratch_store_b128 v8, v[4:7], off offset:-16
.LBB53_348:
	;; [unrolled: 33-line block ×25, first 2 shown]
	v_mov_b32_e32 v0, 0
	global_load_b32 v1, v0, s[2:3] offset:4
	s_wait_loadcnt 0x0
	v_cmp_eq_u32_e32 vcc_lo, 2, v1
	s_cbranch_vccnz .LBB53_442
; %bb.441:
	v_lshlrev_b32_e32 v1, 4, v1
	s_delay_alu instid0(VALU_DEP_1)
	v_add_nc_u32_e32 v9, 16, v1
	s_clause 0x1
	scratch_load_b128 v[1:4], v9, off offset:-16
	scratch_load_b128 v[5:8], off, s47
	s_wait_loadcnt 0x1
	scratch_store_b128 off, v[1:4], s47
	s_wait_loadcnt 0x0
	scratch_store_b128 v9, v[5:8], off offset:-16
.LBB53_442:
	global_load_b32 v0, v0, s[2:3]
	s_wait_loadcnt 0x0
	v_cmp_eq_u32_e32 vcc_lo, 1, v0
	s_cbranch_vccnz .LBB53_444
; %bb.443:
	v_lshlrev_b32_e32 v0, 4, v0
	s_delay_alu instid0(VALU_DEP_1)
	v_add_nc_u32_e32 v8, 16, v0
	scratch_load_b128 v[0:3], v8, off offset:-16
	scratch_load_b128 v[4:7], off, off offset:16
	s_wait_loadcnt 0x1
	scratch_store_b128 off, v[0:3], off offset:16
	s_wait_loadcnt 0x0
	scratch_store_b128 v8, v[4:7], off offset:-16
.LBB53_444:
	scratch_load_b128 v[0:3], off, off offset:16
	s_clause 0x12
	scratch_load_b128 v[4:7], off, s47
	scratch_load_b128 v[8:11], off, s46
	;; [unrolled: 1-line block ×19, first 2 shown]
	s_wait_loadcnt 0x13
	global_store_b128 v[46:47], v[0:3], off
	scratch_load_b128 v[0:3], off, s43
	s_wait_loadcnt 0x13
	global_store_b128 v[48:49], v[4:7], off
	s_clause 0x1
	scratch_load_b128 v[4:7], off, s41
	scratch_load_b128 v[44:47], off, s42
	s_wait_loadcnt 0x14
	global_store_b128 v[50:51], v[8:11], off
	scratch_load_b128 v[8:11], off, s38
	s_wait_loadcnt 0x14
	global_store_b128 v[52:53], v[12:15], off
	s_clause 0x1
	scratch_load_b128 v[12:15], off, s36
	scratch_load_b128 v[48:51], off, s37
	s_wait_loadcnt 0x15
	global_store_b128 v[54:55], v[16:19], off
	s_wait_loadcnt 0x14
	global_store_b128 v[58:59], v[20:23], off
	s_clause 0x1
	scratch_load_b128 v[16:19], off, s29
	scratch_load_b128 v[20:23], off, s30
	s_wait_loadcnt 0x15
	global_store_b128 v[56:57], v[24:27], off
	s_clause 0x1
	scratch_load_b128 v[24:27], off, s27
	scratch_load_b128 v[52:55], off, s28
	s_wait_loadcnt 0x16
	global_store_b128 v[60:61], v[28:31], off
	s_clause 0x1
	scratch_load_b128 v[28:31], off, s25
	scratch_load_b128 v[56:59], off, s26
	s_wait_loadcnt 0x17
	global_store_b128 v[62:63], v[32:35], off
	s_wait_loadcnt 0x16
	global_store_b128 v[64:65], v[36:39], off
	s_clause 0x1
	scratch_load_b128 v[32:35], off, s23
	scratch_load_b128 v[36:39], off, s24
	s_wait_loadcnt 0x17
	global_store_b128 v[66:67], v[40:43], off
	s_clause 0x1
	scratch_load_b128 v[40:43], off, s21
	scratch_load_b128 v[60:63], off, s22
	s_wait_loadcnt 0x18
	global_store_b128 v[68:69], v[154:157], off
	s_clause 0x1
	scratch_load_b128 v[64:67], off, s19
	scratch_load_b128 v[154:157], off, s20
	s_wait_loadcnt 0x19
	global_store_b128 v[70:71], v[158:161], off
	s_wait_loadcnt 0x18
	global_store_b128 v[72:73], v[162:165], off
	s_clause 0x1
	scratch_load_b128 v[68:71], off, s14
	scratch_load_b128 v[158:161], off, s15
	s_wait_loadcnt 0x19
	global_store_b128 v[74:75], v[166:169], off
	s_clause 0x1
	scratch_load_b128 v[72:75], off, s12
	scratch_load_b128 v[162:165], off, s13
	s_wait_loadcnt 0x1a
	global_store_b128 v[76:77], v[170:173], off
	s_clause 0x1
	scratch_load_b128 v[166:169], off, s10
	scratch_load_b128 v[170:173], off, s11
	s_wait_loadcnt 0x1b
	global_store_b128 v[78:79], v[174:177], off
	s_wait_loadcnt 0x1a
	global_store_b128 v[80:81], v[178:181], off
	s_clause 0x1
	scratch_load_b128 v[76:79], off, s8
	scratch_load_b128 v[174:177], off, s9
	s_wait_loadcnt 0x1b
	global_store_b128 v[82:83], v[182:185], off
	s_clause 0x1
	scratch_load_b128 v[80:83], off, s4
	scratch_load_b128 v[178:181], off, s5
	s_wait_loadcnt 0x1b
	global_store_b128 v[84:85], v[0:3], off
	s_clause 0x1
	scratch_load_b128 v[0:3], off, s39
	scratch_load_b128 v[182:185], off, s40
	s_wait_loadcnt 0x1c
	global_store_b128 v[86:87], v[4:7], off
	s_wait_loadcnt 0x1b
	global_store_b128 v[88:89], v[44:47], off
	s_clause 0x1
	scratch_load_b128 v[4:7], off, s34
	scratch_load_b128 v[44:47], off, s35
	s_wait_loadcnt 0x1c
	global_store_b128 v[90:91], v[8:11], off
	s_clause 0x1
	scratch_load_b128 v[8:11], off, s31
	scratch_load_b128 v[84:87], off, s33
	s_wait_loadcnt 0x1d
	global_store_b128 v[92:93], v[12:15], off
	s_wait_loadcnt 0x1c
	global_store_b128 v[94:95], v[48:51], off
	;; [unrolled: 2-line block ×29, first 2 shown]
	s_wait_loadcnt 0x0
	s_clause 0x1
	global_store_b128 v[150:151], v[84:87], off
	global_store_b128 v[152:153], v[186:189], off
	s_nop 0
	s_sendmsg sendmsg(MSG_DEALLOC_VGPRS)
	s_endpgm
	.section	.rodata,"a",@progbits
	.p2align	6, 0x0
	.amdhsa_kernel _ZN9rocsolver6v33100L18getri_kernel_smallILi54E19rocblas_complex_numIdEPS3_EEvT1_iilPiilS6_bb
		.amdhsa_group_segment_fixed_size 1736
		.amdhsa_private_segment_fixed_size 896
		.amdhsa_kernarg_size 60
		.amdhsa_user_sgpr_count 2
		.amdhsa_user_sgpr_dispatch_ptr 0
		.amdhsa_user_sgpr_queue_ptr 0
		.amdhsa_user_sgpr_kernarg_segment_ptr 1
		.amdhsa_user_sgpr_dispatch_id 0
		.amdhsa_user_sgpr_private_segment_size 0
		.amdhsa_wavefront_size32 1
		.amdhsa_uses_dynamic_stack 0
		.amdhsa_enable_private_segment 1
		.amdhsa_system_sgpr_workgroup_id_x 1
		.amdhsa_system_sgpr_workgroup_id_y 0
		.amdhsa_system_sgpr_workgroup_id_z 0
		.amdhsa_system_sgpr_workgroup_info 0
		.amdhsa_system_vgpr_workitem_id 0
		.amdhsa_next_free_vgpr 202
		.amdhsa_next_free_sgpr 84
		.amdhsa_reserve_vcc 1
		.amdhsa_float_round_mode_32 0
		.amdhsa_float_round_mode_16_64 0
		.amdhsa_float_denorm_mode_32 3
		.amdhsa_float_denorm_mode_16_64 3
		.amdhsa_fp16_overflow 0
		.amdhsa_workgroup_processor_mode 1
		.amdhsa_memory_ordered 1
		.amdhsa_forward_progress 1
		.amdhsa_inst_pref_size 255
		.amdhsa_round_robin_scheduling 0
		.amdhsa_exception_fp_ieee_invalid_op 0
		.amdhsa_exception_fp_denorm_src 0
		.amdhsa_exception_fp_ieee_div_zero 0
		.amdhsa_exception_fp_ieee_overflow 0
		.amdhsa_exception_fp_ieee_underflow 0
		.amdhsa_exception_fp_ieee_inexact 0
		.amdhsa_exception_int_div_zero 0
	.end_amdhsa_kernel
	.section	.text._ZN9rocsolver6v33100L18getri_kernel_smallILi54E19rocblas_complex_numIdEPS3_EEvT1_iilPiilS6_bb,"axG",@progbits,_ZN9rocsolver6v33100L18getri_kernel_smallILi54E19rocblas_complex_numIdEPS3_EEvT1_iilPiilS6_bb,comdat
.Lfunc_end53:
	.size	_ZN9rocsolver6v33100L18getri_kernel_smallILi54E19rocblas_complex_numIdEPS3_EEvT1_iilPiilS6_bb, .Lfunc_end53-_ZN9rocsolver6v33100L18getri_kernel_smallILi54E19rocblas_complex_numIdEPS3_EEvT1_iilPiilS6_bb
                                        ; -- End function
	.set _ZN9rocsolver6v33100L18getri_kernel_smallILi54E19rocblas_complex_numIdEPS3_EEvT1_iilPiilS6_bb.num_vgpr, 202
	.set _ZN9rocsolver6v33100L18getri_kernel_smallILi54E19rocblas_complex_numIdEPS3_EEvT1_iilPiilS6_bb.num_agpr, 0
	.set _ZN9rocsolver6v33100L18getri_kernel_smallILi54E19rocblas_complex_numIdEPS3_EEvT1_iilPiilS6_bb.numbered_sgpr, 84
	.set _ZN9rocsolver6v33100L18getri_kernel_smallILi54E19rocblas_complex_numIdEPS3_EEvT1_iilPiilS6_bb.num_named_barrier, 0
	.set _ZN9rocsolver6v33100L18getri_kernel_smallILi54E19rocblas_complex_numIdEPS3_EEvT1_iilPiilS6_bb.private_seg_size, 896
	.set _ZN9rocsolver6v33100L18getri_kernel_smallILi54E19rocblas_complex_numIdEPS3_EEvT1_iilPiilS6_bb.uses_vcc, 1
	.set _ZN9rocsolver6v33100L18getri_kernel_smallILi54E19rocblas_complex_numIdEPS3_EEvT1_iilPiilS6_bb.uses_flat_scratch, 1
	.set _ZN9rocsolver6v33100L18getri_kernel_smallILi54E19rocblas_complex_numIdEPS3_EEvT1_iilPiilS6_bb.has_dyn_sized_stack, 0
	.set _ZN9rocsolver6v33100L18getri_kernel_smallILi54E19rocblas_complex_numIdEPS3_EEvT1_iilPiilS6_bb.has_recursion, 0
	.set _ZN9rocsolver6v33100L18getri_kernel_smallILi54E19rocblas_complex_numIdEPS3_EEvT1_iilPiilS6_bb.has_indirect_call, 0
	.section	.AMDGPU.csdata,"",@progbits
; Kernel info:
; codeLenInByte = 116352
; TotalNumSgprs: 86
; NumVgprs: 202
; ScratchSize: 896
; MemoryBound: 0
; FloatMode: 240
; IeeeMode: 1
; LDSByteSize: 1736 bytes/workgroup (compile time only)
; SGPRBlocks: 0
; VGPRBlocks: 25
; NumSGPRsForWavesPerEU: 86
; NumVGPRsForWavesPerEU: 202
; Occupancy: 7
; WaveLimiterHint : 1
; COMPUTE_PGM_RSRC2:SCRATCH_EN: 1
; COMPUTE_PGM_RSRC2:USER_SGPR: 2
; COMPUTE_PGM_RSRC2:TRAP_HANDLER: 0
; COMPUTE_PGM_RSRC2:TGID_X_EN: 1
; COMPUTE_PGM_RSRC2:TGID_Y_EN: 0
; COMPUTE_PGM_RSRC2:TGID_Z_EN: 0
; COMPUTE_PGM_RSRC2:TIDIG_COMP_CNT: 0
	.section	.text._ZN9rocsolver6v33100L18getri_kernel_smallILi55E19rocblas_complex_numIdEPS3_EEvT1_iilPiilS6_bb,"axG",@progbits,_ZN9rocsolver6v33100L18getri_kernel_smallILi55E19rocblas_complex_numIdEPS3_EEvT1_iilPiilS6_bb,comdat
	.globl	_ZN9rocsolver6v33100L18getri_kernel_smallILi55E19rocblas_complex_numIdEPS3_EEvT1_iilPiilS6_bb ; -- Begin function _ZN9rocsolver6v33100L18getri_kernel_smallILi55E19rocblas_complex_numIdEPS3_EEvT1_iilPiilS6_bb
	.p2align	8
	.type	_ZN9rocsolver6v33100L18getri_kernel_smallILi55E19rocblas_complex_numIdEPS3_EEvT1_iilPiilS6_bb,@function
_ZN9rocsolver6v33100L18getri_kernel_smallILi55E19rocblas_complex_numIdEPS3_EEvT1_iilPiilS6_bb: ; @_ZN9rocsolver6v33100L18getri_kernel_smallILi55E19rocblas_complex_numIdEPS3_EEvT1_iilPiilS6_bb
; %bb.0:
	s_mov_b32 s2, exec_lo
	v_cmpx_gt_u32_e32 55, v0
	s_cbranch_execz .LBB54_234
; %bb.1:
	s_clause 0x2
	s_load_b32 s2, s[0:1], 0x38
	s_load_b128 s[12:15], s[0:1], 0x10
	s_load_b128 s[4:7], s[0:1], 0x28
	s_mov_b32 s16, ttmp9
	s_wait_kmcnt 0x0
	s_bitcmp1_b32 s2, 8
	s_cselect_b32 s18, -1, 0
	s_bfe_u32 s2, s2, 0x10008
	s_ashr_i32 s17, ttmp9, 31
	s_cmp_eq_u32 s2, 0
                                        ; implicit-def: $sgpr2_sgpr3
	s_cbranch_scc1 .LBB54_3
; %bb.2:
	s_load_b32 s2, s[0:1], 0x20
	s_mul_u64 s[4:5], s[4:5], s[16:17]
	s_delay_alu instid0(SALU_CYCLE_1) | instskip(NEXT) | instid1(SALU_CYCLE_1)
	s_lshl_b64 s[4:5], s[4:5], 2
	s_add_nc_u64 s[4:5], s[14:15], s[4:5]
	s_wait_kmcnt 0x0
	s_ashr_i32 s3, s2, 31
	s_delay_alu instid0(SALU_CYCLE_1) | instskip(NEXT) | instid1(SALU_CYCLE_1)
	s_lshl_b64 s[2:3], s[2:3], 2
	s_add_nc_u64 s[2:3], s[4:5], s[2:3]
.LBB54_3:
	s_clause 0x1
	s_load_b128 s[8:11], s[0:1], 0x0
	s_load_b32 s64, s[0:1], 0x38
	s_mul_u64 s[0:1], s[12:13], s[16:17]
	v_lshlrev_b32_e32 v13, 4, v0
	s_lshl_b64 s[0:1], s[0:1], 4
	s_movk_i32 s12, 0xd0
	s_movk_i32 s13, 0xe0
	;; [unrolled: 1-line block ×15, first 2 shown]
	s_wait_kmcnt 0x0
	v_add3_u32 v5, s11, s11, v0
	s_ashr_i32 s5, s10, 31
	s_mov_b32 s4, s10
	s_add_nc_u64 s[0:1], s[8:9], s[0:1]
	s_lshl_b64 s[4:5], s[4:5], 4
	v_add_nc_u32_e32 v7, s11, v5
	v_ashrrev_i32_e32 v6, 31, v5
	s_add_nc_u64 s[0:1], s[0:1], s[4:5]
	s_ashr_i32 s9, s11, 31
	v_add_co_u32 v46, s4, s0, v13
	v_add_nc_u32_e32 v9, s11, v7
	v_ashrrev_i32_e32 v8, 31, v7
	s_mov_b32 s8, s11
	v_lshlrev_b64_e32 v[11:12], 4, v[5:6]
	v_add_co_ci_u32_e64 v47, null, s1, 0, s4
	v_add_nc_u32_e32 v16, s11, v9
	s_lshl_b64 s[8:9], s[8:9], 4
	v_lshlrev_b64_e32 v[14:15], 4, v[7:8]
	v_add_co_u32 v48, vcc_lo, v46, s8
	s_delay_alu instid0(VALU_DEP_1)
	v_add_co_ci_u32_e64 v49, null, s9, v47, vcc_lo
	v_add_co_u32 v50, vcc_lo, s0, v11
	v_ashrrev_i32_e32 v17, 31, v16
	v_add_nc_u32_e32 v11, s11, v16
	v_ashrrev_i32_e32 v10, 31, v9
	s_wait_alu 0xfffd
	v_add_co_ci_u32_e64 v51, null, s1, v12, vcc_lo
	v_add_co_u32 v52, vcc_lo, s0, v14
	s_wait_alu 0xfffd
	v_add_co_ci_u32_e64 v53, null, s1, v15, vcc_lo
	v_lshlrev_b64_e32 v[14:15], 4, v[16:17]
	v_add_nc_u32_e32 v16, s11, v11
	v_lshlrev_b64_e32 v[9:10], 4, v[9:10]
	v_ashrrev_i32_e32 v12, 31, v11
	s_clause 0x1
	global_load_b128 v[1:4], v13, s[0:1]
	global_load_b128 v[5:8], v[48:49], off
	v_add_nc_u32_e32 v18, s11, v16
	v_ashrrev_i32_e32 v17, 31, v16
	v_add_co_u32 v54, vcc_lo, s0, v9
	s_wait_alu 0xfffd
	v_add_co_ci_u32_e64 v55, null, s1, v10, vcc_lo
	v_lshlrev_b64_e32 v[9:10], 4, v[11:12]
	v_add_nc_u32_e32 v24, s11, v18
	v_ashrrev_i32_e32 v19, 31, v18
	v_add_co_u32 v56, vcc_lo, s0, v14
	v_lshlrev_b64_e32 v[22:23], 4, v[16:17]
	s_delay_alu instid0(VALU_DEP_4)
	v_ashrrev_i32_e32 v25, 31, v24
	v_add_nc_u32_e32 v28, s11, v24
	s_wait_alu 0xfffd
	v_add_co_ci_u32_e64 v57, null, s1, v15, vcc_lo
	v_add_co_u32 v58, vcc_lo, s0, v9
	s_wait_alu 0xfffd
	v_add_co_ci_u32_e64 v59, null, s1, v10, vcc_lo
	s_clause 0x1
	global_load_b128 v[9:12], v[50:51], off
	global_load_b128 v[14:17], v[52:53], off
	v_lshlrev_b64_e32 v[26:27], 4, v[18:19]
	v_lshlrev_b64_e32 v[30:31], 4, v[24:25]
	v_add_nc_u32_e32 v34, s11, v28
	v_add_co_u32 v60, vcc_lo, s0, v22
	v_ashrrev_i32_e32 v29, 31, v28
	s_wait_alu 0xfffd
	v_add_co_ci_u32_e64 v61, null, s1, v23, vcc_lo
	v_add_co_u32 v62, vcc_lo, s0, v26
	v_add_nc_u32_e32 v38, s11, v34
	s_wait_alu 0xfffd
	v_add_co_ci_u32_e64 v63, null, s1, v27, vcc_lo
	v_add_co_u32 v64, vcc_lo, s0, v30
	global_load_b128 v[18:21], v[54:55], off
	v_lshlrev_b64_e32 v[36:37], 4, v[28:29]
	s_clause 0x1
	global_load_b128 v[22:25], v[56:57], off
	global_load_b128 v[26:29], v[58:59], off
	s_wait_alu 0xfffd
	v_add_co_ci_u32_e64 v65, null, s1, v31, vcc_lo
	global_load_b128 v[30:33], v[60:61], off
	v_ashrrev_i32_e32 v35, 31, v34
	v_add_nc_u32_e32 v44, s11, v38
	v_ashrrev_i32_e32 v39, 31, v38
	v_add_co_u32 v66, vcc_lo, s0, v36
	s_delay_alu instid0(VALU_DEP_4) | instskip(NEXT) | instid1(VALU_DEP_4)
	v_lshlrev_b64_e32 v[42:43], 4, v[34:35]
	v_add_nc_u32_e32 v74, s11, v44
	s_delay_alu instid0(VALU_DEP_4)
	v_lshlrev_b64_e32 v[70:71], 4, v[38:39]
	s_wait_alu 0xfffd
	v_add_co_ci_u32_e64 v67, null, s1, v37, vcc_lo
	s_clause 0x1
	global_load_b128 v[34:37], v[62:63], off
	global_load_b128 v[38:41], v[64:65], off
	v_ashrrev_i32_e32 v45, 31, v44
	v_add_co_u32 v68, vcc_lo, s0, v42
	v_add_nc_u32_e32 v78, s11, v74
	s_wait_alu 0xfffd
	v_add_co_ci_u32_e64 v69, null, s1, v43, vcc_lo
	v_ashrrev_i32_e32 v75, 31, v74
	v_add_co_u32 v72, vcc_lo, s0, v70
	s_wait_alu 0xfffd
	v_add_co_ci_u32_e64 v73, null, s1, v71, vcc_lo
	v_lshlrev_b64_e32 v[76:77], 4, v[44:45]
	v_add_nc_u32_e32 v80, s11, v78
	v_lshlrev_b64_e32 v[74:75], 4, v[74:75]
	global_load_b128 v[42:45], v[66:67], off
	v_ashrrev_i32_e32 v79, 31, v78
	s_clause 0x1
	global_load_b128 v[146:149], v[68:69], off
	global_load_b128 v[150:153], v[72:73], off
	v_ashrrev_i32_e32 v81, 31, v80
	v_add_co_u32 v70, vcc_lo, s0, v76
	s_wait_alu 0xfffd
	v_add_co_ci_u32_e64 v71, null, s1, v77, vcc_lo
	v_lshlrev_b64_e32 v[76:77], 4, v[78:79]
	v_add_co_u32 v78, vcc_lo, s0, v74
	s_wait_alu 0xfffd
	v_add_co_ci_u32_e64 v79, null, s1, v75, vcc_lo
	v_lshlrev_b64_e32 v[74:75], 4, v[80:81]
	global_load_b128 v[154:157], v[70:71], off
	v_add_co_u32 v76, vcc_lo, s0, v76
	s_wait_alu 0xfffd
	v_add_co_ci_u32_e64 v77, null, s1, v77, vcc_lo
	v_add_co_u32 v74, vcc_lo, s0, v74
	s_wait_alu 0xfffd
	v_add_co_ci_u32_e64 v75, null, s1, v75, vcc_lo
	s_clause 0x2
	global_load_b128 v[158:161], v[78:79], off
	global_load_b128 v[162:165], v[76:77], off
	;; [unrolled: 1-line block ×3, first 2 shown]
	v_add_nc_u32_e32 v80, s11, v80
	s_movk_i32 s4, 0x70
	s_movk_i32 s5, 0x80
	;; [unrolled: 1-line block ×4, first 2 shown]
	v_add_nc_u32_e32 v82, s11, v80
	v_ashrrev_i32_e32 v81, 31, v80
	s_movk_i32 s10, 0xb0
	s_movk_i32 s35, 0x1c0
	;; [unrolled: 1-line block ×3, first 2 shown]
	v_add_nc_u32_e32 v84, s11, v82
	v_ashrrev_i32_e32 v83, 31, v82
	v_lshlrev_b64_e32 v[80:81], 4, v[80:81]
	s_movk_i32 s37, 0x1e0
	s_movk_i32 s65, 0x1f0
	v_add_nc_u32_e32 v86, s11, v84
	v_ashrrev_i32_e32 v85, 31, v84
	v_lshlrev_b64_e32 v[82:83], 4, v[82:83]
	v_add_co_u32 v80, vcc_lo, s0, v80
	s_delay_alu instid0(VALU_DEP_4)
	v_add_nc_u32_e32 v88, s11, v86
	v_ashrrev_i32_e32 v87, 31, v86
	v_lshlrev_b64_e32 v[84:85], 4, v[84:85]
	s_wait_alu 0xfffd
	v_add_co_ci_u32_e64 v81, null, s1, v81, vcc_lo
	v_add_nc_u32_e32 v90, s11, v88
	v_ashrrev_i32_e32 v89, 31, v88
	v_lshlrev_b64_e32 v[86:87], 4, v[86:87]
	v_add_co_u32 v82, vcc_lo, s0, v82
	s_delay_alu instid0(VALU_DEP_4)
	v_add_nc_u32_e32 v92, s11, v90
	v_ashrrev_i32_e32 v91, 31, v90
	v_lshlrev_b64_e32 v[88:89], 4, v[88:89]
	s_wait_alu 0xfffd
	v_add_co_ci_u32_e64 v83, null, s1, v83, vcc_lo
	v_add_nc_u32_e32 v94, s11, v92
	v_ashrrev_i32_e32 v93, 31, v92
	v_add_co_u32 v84, vcc_lo, s0, v84
	v_lshlrev_b64_e32 v[90:91], 4, v[90:91]
	s_delay_alu instid0(VALU_DEP_4)
	v_add_nc_u32_e32 v96, s11, v94
	v_ashrrev_i32_e32 v95, 31, v94
	s_wait_alu 0xfffd
	v_add_co_ci_u32_e64 v85, null, s1, v85, vcc_lo
	v_add_co_u32 v86, vcc_lo, s0, v86
	v_add_nc_u32_e32 v98, s11, v96
	v_ashrrev_i32_e32 v97, 31, v96
	v_lshlrev_b64_e32 v[92:93], 4, v[92:93]
	s_wait_alu 0xfffd
	v_add_co_ci_u32_e64 v87, null, s1, v87, vcc_lo
	v_add_nc_u32_e32 v100, s11, v98
	v_ashrrev_i32_e32 v99, 31, v98
	v_add_co_u32 v88, vcc_lo, s0, v88
	v_lshlrev_b64_e32 v[94:95], 4, v[94:95]
	s_delay_alu instid0(VALU_DEP_4)
	v_add_nc_u32_e32 v102, s11, v100
	v_ashrrev_i32_e32 v101, 31, v100
	s_wait_alu 0xfffd
	v_add_co_ci_u32_e64 v89, null, s1, v89, vcc_lo
	v_add_co_u32 v90, vcc_lo, s0, v90
	v_add_nc_u32_e32 v104, s11, v102
	v_lshlrev_b64_e32 v[96:97], 4, v[96:97]
	v_ashrrev_i32_e32 v103, 31, v102
	s_wait_alu 0xfffd
	v_add_co_ci_u32_e64 v91, null, s1, v91, vcc_lo
	v_add_nc_u32_e32 v106, s11, v104
	v_add_co_u32 v92, vcc_lo, s0, v92
	v_lshlrev_b64_e32 v[98:99], 4, v[98:99]
	v_ashrrev_i32_e32 v105, 31, v104
	s_delay_alu instid0(VALU_DEP_4) | instskip(SKIP_3) | instid1(VALU_DEP_3)
	v_add_nc_u32_e32 v108, s11, v106
	s_wait_alu 0xfffd
	v_add_co_ci_u32_e64 v93, null, s1, v93, vcc_lo
	v_add_co_u32 v94, vcc_lo, s0, v94
	v_add_nc_u32_e32 v110, s11, v108
	v_lshlrev_b64_e32 v[100:101], 4, v[100:101]
	v_ashrrev_i32_e32 v107, 31, v106
	s_wait_alu 0xfffd
	v_add_co_ci_u32_e64 v95, null, s1, v95, vcc_lo
	v_add_nc_u32_e32 v112, s11, v110
	v_add_co_u32 v96, vcc_lo, s0, v96
	v_lshlrev_b64_e32 v[102:103], 4, v[102:103]
	v_ashrrev_i32_e32 v109, 31, v108
	s_delay_alu instid0(VALU_DEP_4) | instskip(SKIP_3) | instid1(VALU_DEP_3)
	v_add_nc_u32_e32 v114, s11, v112
	;; [unrolled: 14-line block ×4, first 2 shown]
	s_wait_alu 0xfffd
	v_add_co_ci_u32_e64 v105, null, s1, v105, vcc_lo
	v_add_co_u32 v106, vcc_lo, s0, v106
	v_add_nc_u32_e32 v128, s11, v126
	v_lshlrev_b64_e32 v[112:113], 4, v[112:113]
	v_ashrrev_i32_e32 v119, 31, v118
	s_wait_alu 0xfffd
	v_add_co_ci_u32_e64 v107, null, s1, v107, vcc_lo
	v_add_nc_u32_e32 v130, s11, v128
	v_add_co_u32 v108, vcc_lo, s0, v108
	v_lshlrev_b64_e32 v[114:115], 4, v[114:115]
	v_ashrrev_i32_e32 v121, 31, v120
	s_delay_alu instid0(VALU_DEP_4)
	v_add_nc_u32_e32 v132, s11, v130
	s_wait_alu 0xfffd
	v_add_co_ci_u32_e64 v109, null, s1, v109, vcc_lo
	v_add_co_u32 v110, vcc_lo, s0, v110
	v_lshlrev_b64_e32 v[116:117], 4, v[116:117]
	v_ashrrev_i32_e32 v123, 31, v122
	s_wait_alu 0xfffd
	v_add_co_ci_u32_e64 v111, null, s1, v111, vcc_lo
	v_add_co_u32 v112, vcc_lo, s0, v112
	v_lshlrev_b64_e32 v[118:119], 4, v[118:119]
	v_ashrrev_i32_e32 v125, 31, v124
	v_add_nc_u32_e32 v134, s11, v132
	s_wait_alu 0xfffd
	v_add_co_ci_u32_e64 v113, null, s1, v113, vcc_lo
	v_add_co_u32 v114, vcc_lo, s0, v114
	v_lshlrev_b64_e32 v[120:121], 4, v[120:121]
	v_ashrrev_i32_e32 v127, 31, v126
	s_wait_alu 0xfffd
	v_add_co_ci_u32_e64 v115, null, s1, v115, vcc_lo
	v_add_co_u32 v116, vcc_lo, s0, v116
	v_lshlrev_b64_e32 v[122:123], 4, v[122:123]
	v_ashrrev_i32_e32 v129, 31, v128
	s_wait_alu 0xfffd
	v_add_co_ci_u32_e64 v117, null, s1, v117, vcc_lo
	v_add_co_u32 v118, vcc_lo, s0, v118
	v_lshlrev_b64_e32 v[124:125], 4, v[124:125]
	v_add_nc_u32_e32 v136, s11, v134
	v_ashrrev_i32_e32 v131, 31, v130
	s_wait_alu 0xfffd
	v_add_co_ci_u32_e64 v119, null, s1, v119, vcc_lo
	v_add_co_u32 v120, vcc_lo, s0, v120
	v_lshlrev_b64_e32 v[126:127], 4, v[126:127]
	v_ashrrev_i32_e32 v133, 31, v132
	s_wait_alu 0xfffd
	v_add_co_ci_u32_e64 v121, null, s1, v121, vcc_lo
	v_add_co_u32 v122, vcc_lo, s0, v122
	v_lshlrev_b64_e32 v[128:129], 4, v[128:129]
	v_ashrrev_i32_e32 v135, 31, v134
	v_add_nc_u32_e32 v138, s11, v136
	s_wait_alu 0xfffd
	v_add_co_ci_u32_e64 v123, null, s1, v123, vcc_lo
	v_add_co_u32 v124, vcc_lo, s0, v124
	v_lshlrev_b64_e32 v[130:131], 4, v[130:131]
	v_ashrrev_i32_e32 v137, 31, v136
	s_wait_alu 0xfffd
	v_add_co_ci_u32_e64 v125, null, s1, v125, vcc_lo
	v_add_co_u32 v126, vcc_lo, s0, v126
	v_lshlrev_b64_e32 v[132:133], 4, v[132:133]
	s_clause 0x5
	global_load_b128 v[170:173], v[80:81], off
	global_load_b128 v[174:177], v[82:83], off
	;; [unrolled: 1-line block ×6, first 2 shown]
	s_wait_alu 0xfffd
	v_add_co_ci_u32_e64 v127, null, s1, v127, vcc_lo
	v_add_co_u32 v128, vcc_lo, s0, v128
	v_add_nc_u32_e32 v140, s11, v138
	s_wait_alu 0xfffd
	v_add_co_ci_u32_e64 v129, null, s1, v129, vcc_lo
	v_add_co_u32 v130, vcc_lo, s0, v130
	s_wait_alu 0xfffd
	v_add_co_ci_u32_e64 v131, null, s1, v131, vcc_lo
	v_add_co_u32 v132, vcc_lo, s0, v132
	v_add_nc_u32_e32 v142, s11, v140
	s_wait_alu 0xfffd
	v_add_co_ci_u32_e64 v133, null, s1, v133, vcc_lo
	v_ashrrev_i32_e32 v139, 31, v138
	v_ashrrev_i32_e32 v141, 31, v140
	;; [unrolled: 1-line block ×3, first 2 shown]
	s_movk_i32 s66, 0x200
	s_movk_i32 s67, 0x210
	s_movk_i32 s68, 0x220
	s_movk_i32 s69, 0x230
	s_movk_i32 s70, 0x240
	s_movk_i32 s71, 0x250
	s_movk_i32 s72, 0x260
	s_movk_i32 s73, 0x270
	s_movk_i32 s74, 0x280
	s_movk_i32 s75, 0x290
	s_movk_i32 s76, 0x2a0
	s_movk_i32 s77, 0x2b0
	s_movk_i32 s78, 0x2c0
	s_movk_i32 s79, 0x2d0
	s_movk_i32 s80, 0x2e0
	s_wait_loadcnt 0x16
	scratch_store_b128 off, v[1:4], off offset:16
	s_clause 0x1
	global_load_b128 v[1:4], v[92:93], off
	global_load_b128 v[194:197], v[94:95], off
	s_wait_loadcnt 0x17
	scratch_store_b128 off, v[5:8], off offset:32
	s_wait_loadcnt 0x16
	scratch_store_b128 off, v[9:12], off offset:48
	;; [unrolled: 2-line block ×3, first 2 shown]
	v_lshlrev_b64_e32 v[14:15], 4, v[134:135]
	v_lshlrev_b64_e32 v[16:17], 4, v[136:137]
	s_clause 0x1
	global_load_b128 v[5:8], v[96:97], off
	global_load_b128 v[9:12], v[98:99], off
	s_movk_i32 s81, 0x2f0
	s_movk_i32 s82, 0x300
	;; [unrolled: 1-line block ×3, first 2 shown]
	v_add_co_u32 v134, vcc_lo, s0, v14
	s_wait_alu 0xfffd
	v_add_co_ci_u32_e64 v135, null, s1, v15, vcc_lo
	v_add_co_u32 v136, vcc_lo, s0, v16
	s_wait_alu 0xfffd
	v_add_co_ci_u32_e64 v137, null, s1, v17, vcc_lo
	s_movk_i32 s84, 0x320
	s_wait_loadcnt 0x16
	scratch_store_b128 off, v[18:21], off offset:80
	s_wait_loadcnt 0x15
	scratch_store_b128 off, v[22:25], off offset:96
	;; [unrolled: 2-line block ×3, first 2 shown]
	s_clause 0x1
	global_load_b128 v[14:17], v[100:101], off
	global_load_b128 v[18:21], v[102:103], off
	v_lshlrev_b64_e32 v[22:23], 4, v[138:139]
	s_wait_loadcnt 0x15
	scratch_store_b128 off, v[30:33], off offset:128
	v_add_nc_u32_e32 v30, s11, v142
	s_wait_loadcnt 0x14
	scratch_store_b128 off, v[34:37], off offset:144
	s_wait_loadcnt 0x13
	scratch_store_b128 off, v[38:41], off offset:160
	v_add_nc_u32_e32 v198, s11, v30
	v_lshlrev_b64_e32 v[24:25], 4, v[140:141]
	v_add_co_u32 v138, vcc_lo, s0, v22
	v_ashrrev_i32_e32 v31, 31, v30
	s_delay_alu instid0(VALU_DEP_4) | instskip(SKIP_3) | instid1(VALU_DEP_3)
	v_add_nc_u32_e32 v38, s11, v198
	s_wait_alu 0xfffd
	v_add_co_ci_u32_e64 v139, null, s1, v23, vcc_lo
	v_add_co_u32 v140, vcc_lo, s0, v24
	v_add_nc_u32_e32 v40, s11, v38
	v_ashrrev_i32_e32 v199, 31, v198
	s_wait_alu 0xfffd
	v_add_co_ci_u32_e64 v141, null, s1, v25, vcc_lo
	s_clause 0x1
	global_load_b128 v[22:25], v[104:105], off
	global_load_b128 v[26:29], v[106:107], off
	v_lshlrev_b64_e32 v[32:33], 4, v[142:143]
	s_wait_loadcnt 0x14
	scratch_store_b128 off, v[42:45], off offset:176
	s_wait_loadcnt 0x13
	scratch_store_b128 off, v[146:149], off offset:192
	;; [unrolled: 2-line block ×3, first 2 shown]
	v_add_nc_u32_e32 v150, s11, v40
	v_ashrrev_i32_e32 v39, 31, v38
	v_lshlrev_b64_e32 v[30:31], 4, v[30:31]
	v_ashrrev_i32_e32 v41, 31, v40
	v_lshlrev_b64_e32 v[42:43], 4, v[198:199]
	v_ashrrev_i32_e32 v151, 31, v150
	v_add_co_u32 v142, vcc_lo, s0, v32
	v_lshlrev_b64_e32 v[38:39], 4, v[38:39]
	s_wait_alu 0xfffd
	v_add_co_ci_u32_e64 v143, null, s1, v33, vcc_lo
	v_add_co_u32 v144, vcc_lo, s0, v30
	v_lshlrev_b64_e32 v[152:153], 4, v[40:41]
	s_wait_alu 0xfffd
	v_add_co_ci_u32_e64 v145, null, s1, v31, vcc_lo
	s_clause 0x1
	global_load_b128 v[30:33], v[108:109], off
	global_load_b128 v[34:37], v[110:111], off
	s_wait_loadcnt 0x13
	scratch_store_b128 off, v[154:157], off offset:224
	v_add_co_u32 v146, vcc_lo, s0, v42
	v_lshlrev_b64_e32 v[156:157], 4, v[150:151]
	s_wait_alu 0xfffd
	v_add_co_ci_u32_e64 v147, null, s1, v43, vcc_lo
	v_add_co_u32 v148, vcc_lo, s0, v38
	s_wait_alu 0xfffd
	v_add_co_ci_u32_e64 v149, null, s1, v39, vcc_lo
	v_add_nc_u32_e32 v154, s11, v150
	v_add_co_u32 v150, vcc_lo, s0, v152
	s_wait_alu 0xfffd
	v_add_co_ci_u32_e64 v151, null, s1, v153, vcc_lo
	v_add_co_u32 v152, vcc_lo, s0, v156
	s_wait_loadcnt 0x12
	scratch_store_b128 off, v[158:161], off offset:240
	s_wait_loadcnt 0x11
	scratch_store_b128 off, v[162:165], off offset:256
	s_clause 0x1
	global_load_b128 v[38:41], v[112:113], off
	global_load_b128 v[42:45], v[114:115], off
	s_wait_alu 0xfffd
	v_add_co_ci_u32_e64 v153, null, s1, v157, vcc_lo
	s_clause 0x1
	global_load_b128 v[156:159], v[116:117], off
	global_load_b128 v[160:163], v[118:119], off
	v_ashrrev_i32_e32 v155, 31, v154
	s_wait_loadcnt 0x14
	scratch_store_b128 off, v[166:169], off offset:272
	s_movk_i32 s11, 0xc0
	s_movk_i32 s85, 0x330
	;; [unrolled: 1-line block ×3, first 2 shown]
	v_lshlrev_b64_e32 v[154:155], 4, v[154:155]
	s_movk_i32 s87, 0x350
	s_movk_i32 s88, 0x360
	s_wait_alu 0xfffe
	s_add_co_i32 s61, s4, 16
	s_add_co_i32 s60, s5, 16
	;; [unrolled: 1-line block ×3, first 2 shown]
	v_add_co_u32 v154, vcc_lo, s0, v154
	s_wait_alu 0xfffd
	v_add_co_ci_u32_e64 v155, null, s1, v155, vcc_lo
	s_movk_i32 s0, 0x50
	s_movk_i32 s1, 0x60
	s_wait_alu 0xfffe
	s_add_co_i32 s63, s0, 16
	s_add_co_i32 s62, s1, 16
	;; [unrolled: 1-line block ×47, first 2 shown]
	s_mov_b32 s28, 32
	s_mov_b32 s27, 48
	s_mov_b32 s26, 64
	s_movk_i32 s24, 0x50
	s_bitcmp0_b32 s64, 0
	s_mov_b32 s1, -1
	s_wait_loadcnt 0x13
	scratch_store_b128 off, v[170:173], off offset:288
	s_wait_loadcnt 0x12
	scratch_store_b128 off, v[174:177], off offset:304
	;; [unrolled: 2-line block ×3, first 2 shown]
	s_clause 0x1
	global_load_b128 v[164:167], v[120:121], off
	global_load_b128 v[168:171], v[122:123], off
	s_wait_loadcnt 0x12
	scratch_store_b128 off, v[182:185], off offset:336
	s_wait_loadcnt 0x11
	scratch_store_b128 off, v[186:189], off offset:352
	s_clause 0x1
	global_load_b128 v[172:175], v[124:125], off
	global_load_b128 v[176:179], v[126:127], off
	s_wait_loadcnt 0x12
	scratch_store_b128 off, v[190:193], off offset:368
	s_wait_loadcnt 0x11
	scratch_store_b128 off, v[1:4], off offset:384
	;; [unrolled: 7-line block ×7, first 2 shown]
	s_clause 0x1
	global_load_b128 v[34:37], v[148:149], off
	global_load_b128 v[38:41], v[150:151], off
	s_wait_loadcnt 0x12
	scratch_store_b128 off, v[42:45], off offset:560
	global_load_b128 v[42:45], v[152:153], off
	s_wait_loadcnt 0x12
	scratch_store_b128 off, v[156:159], off offset:576
	;; [unrolled: 3-line block ×3, first 2 shown]
	s_wait_loadcnt 0x11
	scratch_store_b128 off, v[164:167], off offset:608
	s_wait_loadcnt 0x10
	scratch_store_b128 off, v[168:171], off offset:624
	;; [unrolled: 2-line block ×18, first 2 shown]
	s_cbranch_scc1 .LBB54_232
; %bb.4:
	v_cmp_eq_u32_e64 s0, 0, v0
	s_and_saveexec_b32 s1, s0
; %bb.5:
	v_mov_b32_e32 v1, 0
	ds_store_b32 v1, v1 offset:1760
; %bb.6:
	s_wait_alu 0xfffe
	s_or_b32 exec_lo, exec_lo, s1
	s_wait_storecnt_dscnt 0x0
	s_barrier_signal -1
	s_barrier_wait -1
	global_inv scope:SCOPE_SE
	scratch_load_b128 v[1:4], v13, off offset:16
	s_wait_loadcnt 0x0
	v_cmp_eq_f64_e32 vcc_lo, 0, v[1:2]
	v_cmp_eq_f64_e64 s1, 0, v[3:4]
	s_and_b32 s1, vcc_lo, s1
	s_wait_alu 0xfffe
	s_and_saveexec_b32 s64, s1
	s_cbranch_execz .LBB54_10
; %bb.7:
	v_mov_b32_e32 v1, 0
	s_mov_b32 s65, 0
	ds_load_b32 v2, v1 offset:1760
	s_wait_dscnt 0x0
	v_readfirstlane_b32 s1, v2
	v_add_nc_u32_e32 v2, 1, v0
	s_cmp_eq_u32 s1, 0
	s_delay_alu instid0(VALU_DEP_1) | instskip(SKIP_1) | instid1(SALU_CYCLE_1)
	v_cmp_gt_i32_e32 vcc_lo, s1, v2
	s_cselect_b32 s66, -1, 0
	s_or_b32 s66, s66, vcc_lo
	s_delay_alu instid0(SALU_CYCLE_1)
	s_and_b32 exec_lo, exec_lo, s66
	s_cbranch_execz .LBB54_10
; %bb.8:
	v_mov_b32_e32 v3, s1
.LBB54_9:                               ; =>This Inner Loop Header: Depth=1
	ds_cmpstore_rtn_b32 v3, v1, v2, v3 offset:1760
	s_wait_dscnt 0x0
	v_cmp_ne_u32_e32 vcc_lo, 0, v3
	v_cmp_le_i32_e64 s1, v3, v2
	s_and_b32 s1, vcc_lo, s1
	s_wait_alu 0xfffe
	s_and_b32 s1, exec_lo, s1
	s_wait_alu 0xfffe
	s_or_b32 s65, s1, s65
	s_delay_alu instid0(SALU_CYCLE_1)
	s_and_not1_b32 exec_lo, exec_lo, s65
	s_cbranch_execnz .LBB54_9
.LBB54_10:
	s_or_b32 exec_lo, exec_lo, s64
	v_mov_b32_e32 v1, 0
	s_barrier_signal -1
	s_barrier_wait -1
	global_inv scope:SCOPE_SE
	ds_load_b32 v2, v1 offset:1760
	s_and_saveexec_b32 s1, s0
	s_cbranch_execz .LBB54_12
; %bb.11:
	s_lshl_b64 s[64:65], s[16:17], 2
	s_delay_alu instid0(SALU_CYCLE_1)
	s_add_nc_u64 s[64:65], s[6:7], s[64:65]
	s_wait_dscnt 0x0
	global_store_b32 v1, v2, s[64:65]
.LBB54_12:
	s_wait_alu 0xfffe
	s_or_b32 exec_lo, exec_lo, s1
	s_wait_dscnt 0x0
	v_cmp_ne_u32_e32 vcc_lo, 0, v2
	s_mov_b32 s1, 0
	s_cbranch_vccnz .LBB54_232
; %bb.13:
	v_add_nc_u32_e32 v14, 16, v13
                                        ; implicit-def: $vgpr1_vgpr2
                                        ; implicit-def: $vgpr9_vgpr10
	scratch_load_b128 v[5:8], v14, off
	s_wait_loadcnt 0x0
	v_cmp_ngt_f64_e64 s1, |v[5:6]|, |v[7:8]|
	s_wait_alu 0xfffe
	s_and_saveexec_b32 s64, s1
	s_delay_alu instid0(SALU_CYCLE_1)
	s_xor_b32 s1, exec_lo, s64
	s_cbranch_execz .LBB54_15
; %bb.14:
	v_div_scale_f64 v[1:2], null, v[7:8], v[7:8], v[5:6]
	v_div_scale_f64 v[11:12], vcc_lo, v[5:6], v[7:8], v[5:6]
	s_delay_alu instid0(VALU_DEP_2) | instskip(NEXT) | instid1(TRANS32_DEP_1)
	v_rcp_f64_e32 v[3:4], v[1:2]
	v_fma_f64 v[9:10], -v[1:2], v[3:4], 1.0
	s_delay_alu instid0(VALU_DEP_1) | instskip(NEXT) | instid1(VALU_DEP_1)
	v_fma_f64 v[3:4], v[3:4], v[9:10], v[3:4]
	v_fma_f64 v[9:10], -v[1:2], v[3:4], 1.0
	s_delay_alu instid0(VALU_DEP_1) | instskip(NEXT) | instid1(VALU_DEP_1)
	v_fma_f64 v[3:4], v[3:4], v[9:10], v[3:4]
	v_mul_f64_e32 v[9:10], v[11:12], v[3:4]
	s_delay_alu instid0(VALU_DEP_1) | instskip(SKIP_1) | instid1(VALU_DEP_1)
	v_fma_f64 v[1:2], -v[1:2], v[9:10], v[11:12]
	s_wait_alu 0xfffd
	v_div_fmas_f64 v[1:2], v[1:2], v[3:4], v[9:10]
	s_delay_alu instid0(VALU_DEP_1) | instskip(NEXT) | instid1(VALU_DEP_1)
	v_div_fixup_f64 v[1:2], v[1:2], v[7:8], v[5:6]
	v_fma_f64 v[3:4], v[5:6], v[1:2], v[7:8]
	s_delay_alu instid0(VALU_DEP_1) | instskip(SKIP_1) | instid1(VALU_DEP_2)
	v_div_scale_f64 v[5:6], null, v[3:4], v[3:4], 1.0
	v_div_scale_f64 v[11:12], vcc_lo, 1.0, v[3:4], 1.0
	v_rcp_f64_e32 v[7:8], v[5:6]
	s_delay_alu instid0(TRANS32_DEP_1) | instskip(NEXT) | instid1(VALU_DEP_1)
	v_fma_f64 v[9:10], -v[5:6], v[7:8], 1.0
	v_fma_f64 v[7:8], v[7:8], v[9:10], v[7:8]
	s_delay_alu instid0(VALU_DEP_1) | instskip(NEXT) | instid1(VALU_DEP_1)
	v_fma_f64 v[9:10], -v[5:6], v[7:8], 1.0
	v_fma_f64 v[7:8], v[7:8], v[9:10], v[7:8]
	s_delay_alu instid0(VALU_DEP_1) | instskip(NEXT) | instid1(VALU_DEP_1)
	v_mul_f64_e32 v[9:10], v[11:12], v[7:8]
	v_fma_f64 v[5:6], -v[5:6], v[9:10], v[11:12]
	s_wait_alu 0xfffd
	s_delay_alu instid0(VALU_DEP_1) | instskip(NEXT) | instid1(VALU_DEP_1)
	v_div_fmas_f64 v[5:6], v[5:6], v[7:8], v[9:10]
	v_div_fixup_f64 v[3:4], v[5:6], v[3:4], 1.0
                                        ; implicit-def: $vgpr5_vgpr6
	s_delay_alu instid0(VALU_DEP_1) | instskip(SKIP_1) | instid1(VALU_DEP_2)
	v_mul_f64_e32 v[1:2], v[1:2], v[3:4]
	v_xor_b32_e32 v4, 0x80000000, v4
	v_xor_b32_e32 v10, 0x80000000, v2
	s_delay_alu instid0(VALU_DEP_3)
	v_mov_b32_e32 v9, v1
.LBB54_15:
	s_wait_alu 0xfffe
	s_and_not1_saveexec_b32 s1, s1
	s_cbranch_execz .LBB54_17
; %bb.16:
	v_div_scale_f64 v[1:2], null, v[5:6], v[5:6], v[7:8]
	v_div_scale_f64 v[11:12], vcc_lo, v[7:8], v[5:6], v[7:8]
	s_delay_alu instid0(VALU_DEP_2) | instskip(NEXT) | instid1(TRANS32_DEP_1)
	v_rcp_f64_e32 v[3:4], v[1:2]
	v_fma_f64 v[9:10], -v[1:2], v[3:4], 1.0
	s_delay_alu instid0(VALU_DEP_1) | instskip(NEXT) | instid1(VALU_DEP_1)
	v_fma_f64 v[3:4], v[3:4], v[9:10], v[3:4]
	v_fma_f64 v[9:10], -v[1:2], v[3:4], 1.0
	s_delay_alu instid0(VALU_DEP_1) | instskip(NEXT) | instid1(VALU_DEP_1)
	v_fma_f64 v[3:4], v[3:4], v[9:10], v[3:4]
	v_mul_f64_e32 v[9:10], v[11:12], v[3:4]
	s_delay_alu instid0(VALU_DEP_1) | instskip(SKIP_1) | instid1(VALU_DEP_1)
	v_fma_f64 v[1:2], -v[1:2], v[9:10], v[11:12]
	s_wait_alu 0xfffd
	v_div_fmas_f64 v[1:2], v[1:2], v[3:4], v[9:10]
	s_delay_alu instid0(VALU_DEP_1) | instskip(NEXT) | instid1(VALU_DEP_1)
	v_div_fixup_f64 v[3:4], v[1:2], v[5:6], v[7:8]
	v_fma_f64 v[1:2], v[7:8], v[3:4], v[5:6]
	s_delay_alu instid0(VALU_DEP_1) | instskip(NEXT) | instid1(VALU_DEP_1)
	v_div_scale_f64 v[5:6], null, v[1:2], v[1:2], 1.0
	v_rcp_f64_e32 v[7:8], v[5:6]
	s_delay_alu instid0(TRANS32_DEP_1) | instskip(NEXT) | instid1(VALU_DEP_1)
	v_fma_f64 v[9:10], -v[5:6], v[7:8], 1.0
	v_fma_f64 v[7:8], v[7:8], v[9:10], v[7:8]
	s_delay_alu instid0(VALU_DEP_1) | instskip(NEXT) | instid1(VALU_DEP_1)
	v_fma_f64 v[9:10], -v[5:6], v[7:8], 1.0
	v_fma_f64 v[7:8], v[7:8], v[9:10], v[7:8]
	v_div_scale_f64 v[9:10], vcc_lo, 1.0, v[1:2], 1.0
	s_delay_alu instid0(VALU_DEP_1) | instskip(NEXT) | instid1(VALU_DEP_1)
	v_mul_f64_e32 v[11:12], v[9:10], v[7:8]
	v_fma_f64 v[5:6], -v[5:6], v[11:12], v[9:10]
	s_wait_alu 0xfffd
	s_delay_alu instid0(VALU_DEP_1) | instskip(NEXT) | instid1(VALU_DEP_1)
	v_div_fmas_f64 v[5:6], v[5:6], v[7:8], v[11:12]
	v_div_fixup_f64 v[1:2], v[5:6], v[1:2], 1.0
	s_delay_alu instid0(VALU_DEP_1)
	v_mul_f64_e64 v[3:4], v[3:4], -v[1:2]
	v_xor_b32_e32 v10, 0x80000000, v2
	v_mov_b32_e32 v9, v1
.LBB54_17:
	s_wait_alu 0xfffe
	s_or_b32 exec_lo, exec_lo, s1
	scratch_store_b128 v14, v[1:4], off
	scratch_load_b128 v[15:18], off, s28
	v_xor_b32_e32 v12, 0x80000000, v4
	v_mov_b32_e32 v11, v3
	v_add_nc_u32_e32 v5, 0x370, v13
	ds_store_b128 v13, v[9:12]
	s_wait_loadcnt 0x0
	ds_store_b128 v13, v[15:18] offset:880
	s_wait_storecnt_dscnt 0x0
	s_barrier_signal -1
	s_barrier_wait -1
	global_inv scope:SCOPE_SE
	s_and_saveexec_b32 s1, s0
	s_cbranch_execz .LBB54_19
; %bb.18:
	scratch_load_b128 v[1:4], v14, off
	ds_load_b128 v[6:9], v5
	v_mov_b32_e32 v10, 0
	ds_load_b128 v[15:18], v10 offset:16
	s_wait_loadcnt_dscnt 0x1
	v_mul_f64_e32 v[10:11], v[6:7], v[3:4]
	v_mul_f64_e32 v[3:4], v[8:9], v[3:4]
	s_delay_alu instid0(VALU_DEP_2) | instskip(NEXT) | instid1(VALU_DEP_2)
	v_fma_f64 v[8:9], v[8:9], v[1:2], v[10:11]
	v_fma_f64 v[1:2], v[6:7], v[1:2], -v[3:4]
	s_delay_alu instid0(VALU_DEP_2) | instskip(NEXT) | instid1(VALU_DEP_2)
	v_add_f64_e32 v[3:4], 0, v[8:9]
	v_add_f64_e32 v[1:2], 0, v[1:2]
	s_wait_dscnt 0x0
	s_delay_alu instid0(VALU_DEP_2) | instskip(NEXT) | instid1(VALU_DEP_2)
	v_mul_f64_e32 v[6:7], v[3:4], v[17:18]
	v_mul_f64_e32 v[8:9], v[1:2], v[17:18]
	s_delay_alu instid0(VALU_DEP_2) | instskip(NEXT) | instid1(VALU_DEP_2)
	v_fma_f64 v[1:2], v[1:2], v[15:16], -v[6:7]
	v_fma_f64 v[3:4], v[3:4], v[15:16], v[8:9]
	scratch_store_b128 off, v[1:4], off offset:32
.LBB54_19:
	s_wait_alu 0xfffe
	s_or_b32 exec_lo, exec_lo, s1
	s_wait_loadcnt 0x0
	s_wait_storecnt 0x0
	s_barrier_signal -1
	s_barrier_wait -1
	global_inv scope:SCOPE_SE
	scratch_load_b128 v[1:4], off, s27
	s_mov_b32 s1, exec_lo
	s_wait_loadcnt 0x0
	ds_store_b128 v5, v[1:4]
	s_wait_dscnt 0x0
	s_barrier_signal -1
	s_barrier_wait -1
	global_inv scope:SCOPE_SE
	v_cmpx_gt_u32_e32 2, v0
	s_cbranch_execz .LBB54_23
; %bb.20:
	scratch_load_b128 v[1:4], v14, off
	ds_load_b128 v[6:9], v5
	s_wait_loadcnt_dscnt 0x0
	v_mul_f64_e32 v[10:11], v[8:9], v[3:4]
	v_mul_f64_e32 v[3:4], v[6:7], v[3:4]
	s_delay_alu instid0(VALU_DEP_2) | instskip(NEXT) | instid1(VALU_DEP_2)
	v_fma_f64 v[6:7], v[6:7], v[1:2], -v[10:11]
	v_fma_f64 v[3:4], v[8:9], v[1:2], v[3:4]
	s_delay_alu instid0(VALU_DEP_2) | instskip(NEXT) | instid1(VALU_DEP_2)
	v_add_f64_e32 v[1:2], 0, v[6:7]
	v_add_f64_e32 v[3:4], 0, v[3:4]
	s_and_saveexec_b32 s64, s0
	s_cbranch_execz .LBB54_22
; %bb.21:
	scratch_load_b128 v[6:9], off, off offset:32
	v_mov_b32_e32 v10, 0
	ds_load_b128 v[15:18], v10 offset:896
	s_wait_loadcnt_dscnt 0x0
	v_mul_f64_e32 v[10:11], v[15:16], v[8:9]
	v_mul_f64_e32 v[8:9], v[17:18], v[8:9]
	s_delay_alu instid0(VALU_DEP_2) | instskip(NEXT) | instid1(VALU_DEP_2)
	v_fma_f64 v[10:11], v[17:18], v[6:7], v[10:11]
	v_fma_f64 v[6:7], v[15:16], v[6:7], -v[8:9]
	s_delay_alu instid0(VALU_DEP_2) | instskip(NEXT) | instid1(VALU_DEP_2)
	v_add_f64_e32 v[3:4], v[3:4], v[10:11]
	v_add_f64_e32 v[1:2], v[1:2], v[6:7]
.LBB54_22:
	s_or_b32 exec_lo, exec_lo, s64
	v_mov_b32_e32 v6, 0
	ds_load_b128 v[6:9], v6 offset:32
	s_wait_dscnt 0x0
	v_mul_f64_e32 v[10:11], v[3:4], v[8:9]
	v_mul_f64_e32 v[8:9], v[1:2], v[8:9]
	s_delay_alu instid0(VALU_DEP_2) | instskip(NEXT) | instid1(VALU_DEP_2)
	v_fma_f64 v[1:2], v[1:2], v[6:7], -v[10:11]
	v_fma_f64 v[3:4], v[3:4], v[6:7], v[8:9]
	scratch_store_b128 off, v[1:4], off offset:48
.LBB54_23:
	s_wait_alu 0xfffe
	s_or_b32 exec_lo, exec_lo, s1
	s_wait_loadcnt 0x0
	s_wait_storecnt 0x0
	s_barrier_signal -1
	s_barrier_wait -1
	global_inv scope:SCOPE_SE
	scratch_load_b128 v[1:4], off, s26
	v_add_nc_u32_e32 v6, -1, v0
	s_mov_b32 s0, exec_lo
	s_wait_loadcnt 0x0
	ds_store_b128 v5, v[1:4]
	s_wait_dscnt 0x0
	s_barrier_signal -1
	s_barrier_wait -1
	global_inv scope:SCOPE_SE
	v_cmpx_gt_u32_e32 3, v0
	s_cbranch_execz .LBB54_27
; %bb.24:
	v_dual_mov_b32 v1, 0 :: v_dual_add_nc_u32 v8, 0x370, v13
	v_mov_b32_e32 v3, 0
	v_dual_mov_b32 v2, 0 :: v_dual_add_nc_u32 v7, -1, v0
	v_mov_b32_e32 v4, 0
	v_or_b32_e32 v9, 8, v14
	s_mov_b32 s1, 0
.LBB54_25:                              ; =>This Inner Loop Header: Depth=1
	scratch_load_b128 v[15:18], v9, off offset:-8
	ds_load_b128 v[19:22], v8
	v_add_nc_u32_e32 v7, 1, v7
	v_add_nc_u32_e32 v8, 16, v8
	v_add_nc_u32_e32 v9, 16, v9
	s_delay_alu instid0(VALU_DEP_3)
	v_cmp_lt_u32_e32 vcc_lo, 1, v7
	s_wait_alu 0xfffe
	s_or_b32 s1, vcc_lo, s1
	s_wait_loadcnt_dscnt 0x0
	v_mul_f64_e32 v[10:11], v[21:22], v[17:18]
	v_mul_f64_e32 v[17:18], v[19:20], v[17:18]
	s_delay_alu instid0(VALU_DEP_2) | instskip(NEXT) | instid1(VALU_DEP_2)
	v_fma_f64 v[10:11], v[19:20], v[15:16], -v[10:11]
	v_fma_f64 v[15:16], v[21:22], v[15:16], v[17:18]
	s_delay_alu instid0(VALU_DEP_2) | instskip(NEXT) | instid1(VALU_DEP_2)
	v_add_f64_e32 v[3:4], v[3:4], v[10:11]
	v_add_f64_e32 v[1:2], v[1:2], v[15:16]
	s_wait_alu 0xfffe
	s_and_not1_b32 exec_lo, exec_lo, s1
	s_cbranch_execnz .LBB54_25
; %bb.26:
	s_or_b32 exec_lo, exec_lo, s1
	v_mov_b32_e32 v7, 0
	ds_load_b128 v[7:10], v7 offset:48
	s_wait_dscnt 0x0
	v_mul_f64_e32 v[11:12], v[1:2], v[9:10]
	v_mul_f64_e32 v[15:16], v[3:4], v[9:10]
	s_delay_alu instid0(VALU_DEP_2) | instskip(NEXT) | instid1(VALU_DEP_2)
	v_fma_f64 v[9:10], v[3:4], v[7:8], -v[11:12]
	v_fma_f64 v[11:12], v[1:2], v[7:8], v[15:16]
	scratch_store_b128 off, v[9:12], off offset:64
.LBB54_27:
	s_wait_alu 0xfffe
	s_or_b32 exec_lo, exec_lo, s0
	s_wait_loadcnt 0x0
	s_wait_storecnt 0x0
	s_barrier_signal -1
	s_barrier_wait -1
	global_inv scope:SCOPE_SE
	scratch_load_b128 v[1:4], off, s24
	s_mov_b32 s0, exec_lo
	s_wait_loadcnt 0x0
	ds_store_b128 v5, v[1:4]
	s_wait_dscnt 0x0
	s_barrier_signal -1
	s_barrier_wait -1
	global_inv scope:SCOPE_SE
	v_cmpx_gt_u32_e32 4, v0
	s_cbranch_execz .LBB54_31
; %bb.28:
	v_dual_mov_b32 v1, 0 :: v_dual_add_nc_u32 v8, 0x370, v13
	v_mov_b32_e32 v3, 0
	v_dual_mov_b32 v2, 0 :: v_dual_add_nc_u32 v7, -1, v0
	v_mov_b32_e32 v4, 0
	v_or_b32_e32 v9, 8, v14
	s_mov_b32 s1, 0
.LBB54_29:                              ; =>This Inner Loop Header: Depth=1
	scratch_load_b128 v[15:18], v9, off offset:-8
	ds_load_b128 v[19:22], v8
	v_add_nc_u32_e32 v7, 1, v7
	v_add_nc_u32_e32 v8, 16, v8
	v_add_nc_u32_e32 v9, 16, v9
	s_delay_alu instid0(VALU_DEP_3)
	v_cmp_lt_u32_e32 vcc_lo, 2, v7
	s_wait_alu 0xfffe
	s_or_b32 s1, vcc_lo, s1
	s_wait_loadcnt_dscnt 0x0
	v_mul_f64_e32 v[10:11], v[21:22], v[17:18]
	v_mul_f64_e32 v[17:18], v[19:20], v[17:18]
	s_delay_alu instid0(VALU_DEP_2) | instskip(NEXT) | instid1(VALU_DEP_2)
	v_fma_f64 v[10:11], v[19:20], v[15:16], -v[10:11]
	v_fma_f64 v[15:16], v[21:22], v[15:16], v[17:18]
	s_delay_alu instid0(VALU_DEP_2) | instskip(NEXT) | instid1(VALU_DEP_2)
	v_add_f64_e32 v[3:4], v[3:4], v[10:11]
	v_add_f64_e32 v[1:2], v[1:2], v[15:16]
	s_wait_alu 0xfffe
	s_and_not1_b32 exec_lo, exec_lo, s1
	s_cbranch_execnz .LBB54_29
; %bb.30:
	s_or_b32 exec_lo, exec_lo, s1
	v_mov_b32_e32 v7, 0
	ds_load_b128 v[7:10], v7 offset:64
	s_wait_dscnt 0x0
	v_mul_f64_e32 v[11:12], v[1:2], v[9:10]
	v_mul_f64_e32 v[15:16], v[3:4], v[9:10]
	s_delay_alu instid0(VALU_DEP_2) | instskip(NEXT) | instid1(VALU_DEP_2)
	v_fma_f64 v[9:10], v[3:4], v[7:8], -v[11:12]
	v_fma_f64 v[11:12], v[1:2], v[7:8], v[15:16]
	scratch_store_b128 off, v[9:12], off offset:80
.LBB54_31:
	s_wait_alu 0xfffe
	s_or_b32 exec_lo, exec_lo, s0
	s_wait_loadcnt 0x0
	s_wait_storecnt 0x0
	s_barrier_signal -1
	s_barrier_wait -1
	global_inv scope:SCOPE_SE
	scratch_load_b128 v[1:4], off, s63
	;; [unrolled: 58-line block ×19, first 2 shown]
	s_mov_b32 s0, exec_lo
	s_wait_loadcnt 0x0
	ds_store_b128 v5, v[1:4]
	s_wait_dscnt 0x0
	s_barrier_signal -1
	s_barrier_wait -1
	global_inv scope:SCOPE_SE
	v_cmpx_gt_u32_e32 22, v0
	s_cbranch_execz .LBB54_103
; %bb.100:
	v_dual_mov_b32 v1, 0 :: v_dual_add_nc_u32 v8, 0x370, v13
	v_mov_b32_e32 v3, 0
	v_dual_mov_b32 v2, 0 :: v_dual_add_nc_u32 v7, -1, v0
	v_mov_b32_e32 v4, 0
	v_or_b32_e32 v9, 8, v14
	s_mov_b32 s1, 0
.LBB54_101:                             ; =>This Inner Loop Header: Depth=1
	scratch_load_b128 v[15:18], v9, off offset:-8
	ds_load_b128 v[19:22], v8
	v_add_nc_u32_e32 v7, 1, v7
	v_add_nc_u32_e32 v8, 16, v8
	v_add_nc_u32_e32 v9, 16, v9
	s_delay_alu instid0(VALU_DEP_3)
	v_cmp_lt_u32_e32 vcc_lo, 20, v7
	s_wait_alu 0xfffe
	s_or_b32 s1, vcc_lo, s1
	s_wait_loadcnt_dscnt 0x0
	v_mul_f64_e32 v[10:11], v[21:22], v[17:18]
	v_mul_f64_e32 v[17:18], v[19:20], v[17:18]
	s_delay_alu instid0(VALU_DEP_2) | instskip(NEXT) | instid1(VALU_DEP_2)
	v_fma_f64 v[10:11], v[19:20], v[15:16], -v[10:11]
	v_fma_f64 v[15:16], v[21:22], v[15:16], v[17:18]
	s_delay_alu instid0(VALU_DEP_2) | instskip(NEXT) | instid1(VALU_DEP_2)
	v_add_f64_e32 v[3:4], v[3:4], v[10:11]
	v_add_f64_e32 v[1:2], v[1:2], v[15:16]
	s_wait_alu 0xfffe
	s_and_not1_b32 exec_lo, exec_lo, s1
	s_cbranch_execnz .LBB54_101
; %bb.102:
	s_or_b32 exec_lo, exec_lo, s1
	v_mov_b32_e32 v7, 0
	ds_load_b128 v[7:10], v7 offset:352
	s_wait_dscnt 0x0
	v_mul_f64_e32 v[11:12], v[1:2], v[9:10]
	v_mul_f64_e32 v[15:16], v[3:4], v[9:10]
	s_delay_alu instid0(VALU_DEP_2) | instskip(NEXT) | instid1(VALU_DEP_2)
	v_fma_f64 v[9:10], v[3:4], v[7:8], -v[11:12]
	v_fma_f64 v[11:12], v[1:2], v[7:8], v[15:16]
	scratch_store_b128 off, v[9:12], off offset:368
.LBB54_103:
	s_wait_alu 0xfffe
	s_or_b32 exec_lo, exec_lo, s0
	s_wait_loadcnt 0x0
	s_wait_storecnt 0x0
	s_barrier_signal -1
	s_barrier_wait -1
	global_inv scope:SCOPE_SE
	scratch_load_b128 v[1:4], off, s45
	s_mov_b32 s0, exec_lo
	s_wait_loadcnt 0x0
	ds_store_b128 v5, v[1:4]
	s_wait_dscnt 0x0
	s_barrier_signal -1
	s_barrier_wait -1
	global_inv scope:SCOPE_SE
	v_cmpx_gt_u32_e32 23, v0
	s_cbranch_execz .LBB54_107
; %bb.104:
	v_dual_mov_b32 v1, 0 :: v_dual_add_nc_u32 v8, 0x370, v13
	v_mov_b32_e32 v3, 0
	v_dual_mov_b32 v2, 0 :: v_dual_add_nc_u32 v7, -1, v0
	v_mov_b32_e32 v4, 0
	v_or_b32_e32 v9, 8, v14
	s_mov_b32 s1, 0
.LBB54_105:                             ; =>This Inner Loop Header: Depth=1
	scratch_load_b128 v[15:18], v9, off offset:-8
	ds_load_b128 v[19:22], v8
	v_add_nc_u32_e32 v7, 1, v7
	v_add_nc_u32_e32 v8, 16, v8
	v_add_nc_u32_e32 v9, 16, v9
	s_delay_alu instid0(VALU_DEP_3)
	v_cmp_lt_u32_e32 vcc_lo, 21, v7
	s_wait_alu 0xfffe
	s_or_b32 s1, vcc_lo, s1
	s_wait_loadcnt_dscnt 0x0
	v_mul_f64_e32 v[10:11], v[21:22], v[17:18]
	v_mul_f64_e32 v[17:18], v[19:20], v[17:18]
	s_delay_alu instid0(VALU_DEP_2) | instskip(NEXT) | instid1(VALU_DEP_2)
	v_fma_f64 v[10:11], v[19:20], v[15:16], -v[10:11]
	v_fma_f64 v[15:16], v[21:22], v[15:16], v[17:18]
	s_delay_alu instid0(VALU_DEP_2) | instskip(NEXT) | instid1(VALU_DEP_2)
	v_add_f64_e32 v[3:4], v[3:4], v[10:11]
	v_add_f64_e32 v[1:2], v[1:2], v[15:16]
	s_wait_alu 0xfffe
	s_and_not1_b32 exec_lo, exec_lo, s1
	s_cbranch_execnz .LBB54_105
; %bb.106:
	s_or_b32 exec_lo, exec_lo, s1
	v_mov_b32_e32 v7, 0
	ds_load_b128 v[7:10], v7 offset:368
	s_wait_dscnt 0x0
	v_mul_f64_e32 v[11:12], v[1:2], v[9:10]
	v_mul_f64_e32 v[15:16], v[3:4], v[9:10]
	s_delay_alu instid0(VALU_DEP_2) | instskip(NEXT) | instid1(VALU_DEP_2)
	v_fma_f64 v[9:10], v[3:4], v[7:8], -v[11:12]
	v_fma_f64 v[11:12], v[1:2], v[7:8], v[15:16]
	scratch_store_b128 off, v[9:12], off offset:384
.LBB54_107:
	s_wait_alu 0xfffe
	s_or_b32 exec_lo, exec_lo, s0
	s_wait_loadcnt 0x0
	s_wait_storecnt 0x0
	s_barrier_signal -1
	s_barrier_wait -1
	global_inv scope:SCOPE_SE
	scratch_load_b128 v[1:4], off, s44
	;; [unrolled: 58-line block ×32, first 2 shown]
	s_mov_b32 s0, exec_lo
	s_wait_loadcnt 0x0
	ds_store_b128 v5, v[1:4]
	s_wait_dscnt 0x0
	s_barrier_signal -1
	s_barrier_wait -1
	global_inv scope:SCOPE_SE
	v_cmpx_ne_u32_e32 54, v0
	s_cbranch_execz .LBB54_231
; %bb.228:
	v_mov_b32_e32 v1, 0
	v_dual_mov_b32 v2, 0 :: v_dual_mov_b32 v3, 0
	v_mov_b32_e32 v4, 0
	v_or_b32_e32 v7, 8, v14
	s_mov_b32 s1, 0
.LBB54_229:                             ; =>This Inner Loop Header: Depth=1
	scratch_load_b128 v[8:11], v7, off offset:-8
	ds_load_b128 v[12:15], v5
	v_add_nc_u32_e32 v6, 1, v6
	v_add_nc_u32_e32 v5, 16, v5
	;; [unrolled: 1-line block ×3, first 2 shown]
	s_delay_alu instid0(VALU_DEP_3)
	v_cmp_lt_u32_e32 vcc_lo, 52, v6
	s_wait_alu 0xfffe
	s_or_b32 s1, vcc_lo, s1
	s_wait_loadcnt_dscnt 0x0
	v_mul_f64_e32 v[16:17], v[14:15], v[10:11]
	v_mul_f64_e32 v[10:11], v[12:13], v[10:11]
	s_delay_alu instid0(VALU_DEP_2) | instskip(NEXT) | instid1(VALU_DEP_2)
	v_fma_f64 v[12:13], v[12:13], v[8:9], -v[16:17]
	v_fma_f64 v[8:9], v[14:15], v[8:9], v[10:11]
	s_delay_alu instid0(VALU_DEP_2) | instskip(NEXT) | instid1(VALU_DEP_2)
	v_add_f64_e32 v[3:4], v[3:4], v[12:13]
	v_add_f64_e32 v[1:2], v[1:2], v[8:9]
	s_wait_alu 0xfffe
	s_and_not1_b32 exec_lo, exec_lo, s1
	s_cbranch_execnz .LBB54_229
; %bb.230:
	s_or_b32 exec_lo, exec_lo, s1
	v_mov_b32_e32 v5, 0
	ds_load_b128 v[5:8], v5 offset:864
	s_wait_dscnt 0x0
	v_mul_f64_e32 v[9:10], v[1:2], v[7:8]
	v_mul_f64_e32 v[7:8], v[3:4], v[7:8]
	s_delay_alu instid0(VALU_DEP_2) | instskip(NEXT) | instid1(VALU_DEP_2)
	v_fma_f64 v[3:4], v[3:4], v[5:6], -v[9:10]
	v_fma_f64 v[5:6], v[1:2], v[5:6], v[7:8]
	scratch_store_b128 off, v[3:6], off offset:880
.LBB54_231:
	s_wait_alu 0xfffe
	s_or_b32 exec_lo, exec_lo, s0
	s_mov_b32 s1, -1
	s_wait_loadcnt 0x0
	s_wait_storecnt 0x0
	s_barrier_signal -1
	s_barrier_wait -1
	global_inv scope:SCOPE_SE
.LBB54_232:
	s_wait_alu 0xfffe
	s_and_b32 vcc_lo, exec_lo, s1
	s_wait_alu 0xfffe
	s_cbranch_vccz .LBB54_234
; %bb.233:
	v_mov_b32_e32 v1, 0
	s_lshl_b64 s[0:1], s[16:17], 2
	s_wait_alu 0xfffe
	s_add_nc_u64 s[0:1], s[6:7], s[0:1]
	global_load_b32 v1, v1, s[0:1]
	s_wait_loadcnt 0x0
	v_cmp_ne_u32_e32 vcc_lo, 0, v1
	s_cbranch_vccz .LBB54_235
.LBB54_234:
	s_nop 0
	s_sendmsg sendmsg(MSG_DEALLOC_VGPRS)
	s_endpgm
.LBB54_235:
	v_lshl_add_u32 v156, v0, 4, 0x370
	s_mov_b32 s0, exec_lo
	v_cmpx_eq_u32_e32 54, v0
	s_cbranch_execz .LBB54_237
; %bb.236:
	scratch_load_b128 v[1:4], off, s19
	v_mov_b32_e32 v5, 0
	s_delay_alu instid0(VALU_DEP_1)
	v_dual_mov_b32 v6, v5 :: v_dual_mov_b32 v7, v5
	v_mov_b32_e32 v8, v5
	scratch_store_b128 off, v[5:8], off offset:864
	s_wait_loadcnt 0x0
	ds_store_b128 v156, v[1:4]
.LBB54_237:
	s_wait_alu 0xfffe
	s_or_b32 exec_lo, exec_lo, s0
	s_wait_storecnt_dscnt 0x0
	s_barrier_signal -1
	s_barrier_wait -1
	global_inv scope:SCOPE_SE
	s_clause 0x1
	scratch_load_b128 v[2:5], off, off offset:880
	scratch_load_b128 v[6:9], off, off offset:864
	v_mov_b32_e32 v1, 0
	s_mov_b32 s0, exec_lo
	ds_load_b128 v[10:13], v1 offset:1744
	s_wait_loadcnt_dscnt 0x100
	v_mul_f64_e32 v[14:15], v[12:13], v[4:5]
	v_mul_f64_e32 v[4:5], v[10:11], v[4:5]
	s_delay_alu instid0(VALU_DEP_2) | instskip(NEXT) | instid1(VALU_DEP_2)
	v_fma_f64 v[10:11], v[10:11], v[2:3], -v[14:15]
	v_fma_f64 v[2:3], v[12:13], v[2:3], v[4:5]
	s_delay_alu instid0(VALU_DEP_2) | instskip(NEXT) | instid1(VALU_DEP_2)
	v_add_f64_e32 v[4:5], 0, v[10:11]
	v_add_f64_e32 v[10:11], 0, v[2:3]
	s_wait_loadcnt 0x0
	s_delay_alu instid0(VALU_DEP_2) | instskip(NEXT) | instid1(VALU_DEP_2)
	v_add_f64_e64 v[2:3], v[6:7], -v[4:5]
	v_add_f64_e64 v[4:5], v[8:9], -v[10:11]
	scratch_store_b128 off, v[2:5], off offset:864
	v_cmpx_lt_u32_e32 52, v0
	s_cbranch_execz .LBB54_239
; %bb.238:
	scratch_load_b128 v[5:8], off, s22
	v_dual_mov_b32 v2, v1 :: v_dual_mov_b32 v3, v1
	v_mov_b32_e32 v4, v1
	scratch_store_b128 off, v[1:4], off offset:848
	s_wait_loadcnt 0x0
	ds_store_b128 v156, v[5:8]
.LBB54_239:
	s_wait_alu 0xfffe
	s_or_b32 exec_lo, exec_lo, s0
	s_wait_storecnt_dscnt 0x0
	s_barrier_signal -1
	s_barrier_wait -1
	global_inv scope:SCOPE_SE
	s_clause 0x2
	scratch_load_b128 v[2:5], off, off offset:864
	scratch_load_b128 v[6:9], off, off offset:880
	;; [unrolled: 1-line block ×3, first 2 shown]
	ds_load_b128 v[14:17], v1 offset:1728
	ds_load_b128 v[18:21], v1 offset:1744
	s_mov_b32 s0, exec_lo
	s_wait_loadcnt_dscnt 0x201
	v_mul_f64_e32 v[22:23], v[16:17], v[4:5]
	v_mul_f64_e32 v[4:5], v[14:15], v[4:5]
	s_wait_loadcnt_dscnt 0x100
	v_mul_f64_e32 v[24:25], v[18:19], v[8:9]
	v_mul_f64_e32 v[8:9], v[20:21], v[8:9]
	s_delay_alu instid0(VALU_DEP_4) | instskip(NEXT) | instid1(VALU_DEP_4)
	v_fma_f64 v[14:15], v[14:15], v[2:3], -v[22:23]
	v_fma_f64 v[1:2], v[16:17], v[2:3], v[4:5]
	s_delay_alu instid0(VALU_DEP_4) | instskip(NEXT) | instid1(VALU_DEP_4)
	v_fma_f64 v[3:4], v[20:21], v[6:7], v[24:25]
	v_fma_f64 v[5:6], v[18:19], v[6:7], -v[8:9]
	s_delay_alu instid0(VALU_DEP_4) | instskip(NEXT) | instid1(VALU_DEP_4)
	v_add_f64_e32 v[7:8], 0, v[14:15]
	v_add_f64_e32 v[1:2], 0, v[1:2]
	s_delay_alu instid0(VALU_DEP_2) | instskip(NEXT) | instid1(VALU_DEP_2)
	v_add_f64_e32 v[5:6], v[7:8], v[5:6]
	v_add_f64_e32 v[3:4], v[1:2], v[3:4]
	s_wait_loadcnt 0x0
	s_delay_alu instid0(VALU_DEP_2) | instskip(NEXT) | instid1(VALU_DEP_2)
	v_add_f64_e64 v[1:2], v[10:11], -v[5:6]
	v_add_f64_e64 v[3:4], v[12:13], -v[3:4]
	scratch_store_b128 off, v[1:4], off offset:848
	v_cmpx_lt_u32_e32 51, v0
	s_cbranch_execz .LBB54_241
; %bb.240:
	scratch_load_b128 v[1:4], off, s4
	v_mov_b32_e32 v5, 0
	s_delay_alu instid0(VALU_DEP_1)
	v_dual_mov_b32 v6, v5 :: v_dual_mov_b32 v7, v5
	v_mov_b32_e32 v8, v5
	scratch_store_b128 off, v[5:8], off offset:832
	s_wait_loadcnt 0x0
	ds_store_b128 v156, v[1:4]
.LBB54_241:
	s_wait_alu 0xfffe
	s_or_b32 exec_lo, exec_lo, s0
	s_wait_storecnt_dscnt 0x0
	s_barrier_signal -1
	s_barrier_wait -1
	global_inv scope:SCOPE_SE
	s_clause 0x3
	scratch_load_b128 v[2:5], off, off offset:848
	scratch_load_b128 v[6:9], off, off offset:864
	;; [unrolled: 1-line block ×4, first 2 shown]
	v_mov_b32_e32 v1, 0
	ds_load_b128 v[18:21], v1 offset:1712
	ds_load_b128 v[22:25], v1 offset:1728
	s_mov_b32 s0, exec_lo
	s_wait_loadcnt_dscnt 0x301
	v_mul_f64_e32 v[26:27], v[20:21], v[4:5]
	v_mul_f64_e32 v[4:5], v[18:19], v[4:5]
	s_wait_loadcnt_dscnt 0x200
	v_mul_f64_e32 v[28:29], v[22:23], v[8:9]
	v_mul_f64_e32 v[8:9], v[24:25], v[8:9]
	s_delay_alu instid0(VALU_DEP_4) | instskip(NEXT) | instid1(VALU_DEP_4)
	v_fma_f64 v[18:19], v[18:19], v[2:3], -v[26:27]
	v_fma_f64 v[20:21], v[20:21], v[2:3], v[4:5]
	ds_load_b128 v[2:5], v1 offset:1744
	v_fma_f64 v[24:25], v[24:25], v[6:7], v[28:29]
	v_fma_f64 v[6:7], v[22:23], v[6:7], -v[8:9]
	s_wait_loadcnt_dscnt 0x100
	v_mul_f64_e32 v[26:27], v[2:3], v[12:13]
	v_mul_f64_e32 v[12:13], v[4:5], v[12:13]
	v_add_f64_e32 v[8:9], 0, v[18:19]
	v_add_f64_e32 v[18:19], 0, v[20:21]
	s_delay_alu instid0(VALU_DEP_4) | instskip(NEXT) | instid1(VALU_DEP_4)
	v_fma_f64 v[4:5], v[4:5], v[10:11], v[26:27]
	v_fma_f64 v[2:3], v[2:3], v[10:11], -v[12:13]
	s_delay_alu instid0(VALU_DEP_4) | instskip(NEXT) | instid1(VALU_DEP_4)
	v_add_f64_e32 v[6:7], v[8:9], v[6:7]
	v_add_f64_e32 v[8:9], v[18:19], v[24:25]
	s_delay_alu instid0(VALU_DEP_2) | instskip(NEXT) | instid1(VALU_DEP_2)
	v_add_f64_e32 v[2:3], v[6:7], v[2:3]
	v_add_f64_e32 v[4:5], v[8:9], v[4:5]
	s_wait_loadcnt 0x0
	s_delay_alu instid0(VALU_DEP_2) | instskip(NEXT) | instid1(VALU_DEP_2)
	v_add_f64_e64 v[2:3], v[14:15], -v[2:3]
	v_add_f64_e64 v[4:5], v[16:17], -v[4:5]
	scratch_store_b128 off, v[2:5], off offset:832
	v_cmpx_lt_u32_e32 50, v0
	s_cbranch_execz .LBB54_243
; %bb.242:
	scratch_load_b128 v[5:8], off, s5
	v_dual_mov_b32 v2, v1 :: v_dual_mov_b32 v3, v1
	v_mov_b32_e32 v4, v1
	scratch_store_b128 off, v[1:4], off offset:816
	s_wait_loadcnt 0x0
	ds_store_b128 v156, v[5:8]
.LBB54_243:
	s_wait_alu 0xfffe
	s_or_b32 exec_lo, exec_lo, s0
	s_wait_storecnt_dscnt 0x0
	s_barrier_signal -1
	s_barrier_wait -1
	global_inv scope:SCOPE_SE
	s_clause 0x4
	scratch_load_b128 v[2:5], off, off offset:832
	scratch_load_b128 v[6:9], off, off offset:848
	;; [unrolled: 1-line block ×5, first 2 shown]
	ds_load_b128 v[22:25], v1 offset:1696
	ds_load_b128 v[26:29], v1 offset:1712
	s_mov_b32 s0, exec_lo
	s_wait_loadcnt_dscnt 0x401
	v_mul_f64_e32 v[30:31], v[24:25], v[4:5]
	v_mul_f64_e32 v[4:5], v[22:23], v[4:5]
	s_wait_loadcnt_dscnt 0x300
	v_mul_f64_e32 v[32:33], v[26:27], v[8:9]
	v_mul_f64_e32 v[8:9], v[28:29], v[8:9]
	s_delay_alu instid0(VALU_DEP_4) | instskip(NEXT) | instid1(VALU_DEP_4)
	v_fma_f64 v[30:31], v[22:23], v[2:3], -v[30:31]
	v_fma_f64 v[34:35], v[24:25], v[2:3], v[4:5]
	ds_load_b128 v[2:5], v1 offset:1728
	ds_load_b128 v[22:25], v1 offset:1744
	v_fma_f64 v[28:29], v[28:29], v[6:7], v[32:33]
	v_fma_f64 v[6:7], v[26:27], v[6:7], -v[8:9]
	s_wait_loadcnt_dscnt 0x201
	v_mul_f64_e32 v[36:37], v[2:3], v[12:13]
	v_mul_f64_e32 v[12:13], v[4:5], v[12:13]
	v_add_f64_e32 v[8:9], 0, v[30:31]
	v_add_f64_e32 v[26:27], 0, v[34:35]
	s_wait_loadcnt_dscnt 0x100
	v_mul_f64_e32 v[30:31], v[22:23], v[16:17]
	v_mul_f64_e32 v[16:17], v[24:25], v[16:17]
	v_fma_f64 v[4:5], v[4:5], v[10:11], v[36:37]
	v_fma_f64 v[1:2], v[2:3], v[10:11], -v[12:13]
	v_add_f64_e32 v[6:7], v[8:9], v[6:7]
	v_add_f64_e32 v[8:9], v[26:27], v[28:29]
	v_fma_f64 v[10:11], v[24:25], v[14:15], v[30:31]
	v_fma_f64 v[12:13], v[22:23], v[14:15], -v[16:17]
	s_delay_alu instid0(VALU_DEP_4) | instskip(NEXT) | instid1(VALU_DEP_4)
	v_add_f64_e32 v[1:2], v[6:7], v[1:2]
	v_add_f64_e32 v[3:4], v[8:9], v[4:5]
	s_delay_alu instid0(VALU_DEP_2) | instskip(NEXT) | instid1(VALU_DEP_2)
	v_add_f64_e32 v[1:2], v[1:2], v[12:13]
	v_add_f64_e32 v[3:4], v[3:4], v[10:11]
	s_wait_loadcnt 0x0
	s_delay_alu instid0(VALU_DEP_2) | instskip(NEXT) | instid1(VALU_DEP_2)
	v_add_f64_e64 v[1:2], v[18:19], -v[1:2]
	v_add_f64_e64 v[3:4], v[20:21], -v[3:4]
	scratch_store_b128 off, v[1:4], off offset:816
	v_cmpx_lt_u32_e32 49, v0
	s_cbranch_execz .LBB54_245
; %bb.244:
	scratch_load_b128 v[1:4], off, s8
	v_mov_b32_e32 v5, 0
	s_delay_alu instid0(VALU_DEP_1)
	v_dual_mov_b32 v6, v5 :: v_dual_mov_b32 v7, v5
	v_mov_b32_e32 v8, v5
	scratch_store_b128 off, v[5:8], off offset:800
	s_wait_loadcnt 0x0
	ds_store_b128 v156, v[1:4]
.LBB54_245:
	s_wait_alu 0xfffe
	s_or_b32 exec_lo, exec_lo, s0
	s_wait_storecnt_dscnt 0x0
	s_barrier_signal -1
	s_barrier_wait -1
	global_inv scope:SCOPE_SE
	s_clause 0x5
	scratch_load_b128 v[2:5], off, off offset:816
	scratch_load_b128 v[6:9], off, off offset:832
	;; [unrolled: 1-line block ×6, first 2 shown]
	v_mov_b32_e32 v1, 0
	ds_load_b128 v[26:29], v1 offset:1680
	ds_load_b128 v[30:33], v1 offset:1696
	s_mov_b32 s0, exec_lo
	s_wait_loadcnt_dscnt 0x501
	v_mul_f64_e32 v[34:35], v[28:29], v[4:5]
	v_mul_f64_e32 v[4:5], v[26:27], v[4:5]
	s_wait_loadcnt_dscnt 0x400
	v_mul_f64_e32 v[36:37], v[30:31], v[8:9]
	v_mul_f64_e32 v[8:9], v[32:33], v[8:9]
	s_delay_alu instid0(VALU_DEP_4) | instskip(NEXT) | instid1(VALU_DEP_4)
	v_fma_f64 v[34:35], v[26:27], v[2:3], -v[34:35]
	v_fma_f64 v[38:39], v[28:29], v[2:3], v[4:5]
	ds_load_b128 v[2:5], v1 offset:1712
	ds_load_b128 v[26:29], v1 offset:1728
	v_fma_f64 v[32:33], v[32:33], v[6:7], v[36:37]
	v_fma_f64 v[6:7], v[30:31], v[6:7], -v[8:9]
	s_wait_loadcnt_dscnt 0x301
	v_mul_f64_e32 v[40:41], v[2:3], v[12:13]
	v_mul_f64_e32 v[12:13], v[4:5], v[12:13]
	v_add_f64_e32 v[8:9], 0, v[34:35]
	v_add_f64_e32 v[30:31], 0, v[38:39]
	s_wait_loadcnt_dscnt 0x200
	v_mul_f64_e32 v[34:35], v[26:27], v[16:17]
	v_mul_f64_e32 v[16:17], v[28:29], v[16:17]
	v_fma_f64 v[36:37], v[4:5], v[10:11], v[40:41]
	v_fma_f64 v[10:11], v[2:3], v[10:11], -v[12:13]
	ds_load_b128 v[2:5], v1 offset:1744
	v_add_f64_e32 v[6:7], v[8:9], v[6:7]
	v_add_f64_e32 v[8:9], v[30:31], v[32:33]
	v_fma_f64 v[28:29], v[28:29], v[14:15], v[34:35]
	v_fma_f64 v[14:15], v[26:27], v[14:15], -v[16:17]
	s_wait_loadcnt_dscnt 0x100
	v_mul_f64_e32 v[12:13], v[2:3], v[20:21]
	v_mul_f64_e32 v[20:21], v[4:5], v[20:21]
	v_add_f64_e32 v[6:7], v[6:7], v[10:11]
	v_add_f64_e32 v[8:9], v[8:9], v[36:37]
	s_delay_alu instid0(VALU_DEP_4) | instskip(NEXT) | instid1(VALU_DEP_4)
	v_fma_f64 v[4:5], v[4:5], v[18:19], v[12:13]
	v_fma_f64 v[2:3], v[2:3], v[18:19], -v[20:21]
	s_delay_alu instid0(VALU_DEP_4) | instskip(NEXT) | instid1(VALU_DEP_4)
	v_add_f64_e32 v[6:7], v[6:7], v[14:15]
	v_add_f64_e32 v[8:9], v[8:9], v[28:29]
	s_delay_alu instid0(VALU_DEP_2) | instskip(NEXT) | instid1(VALU_DEP_2)
	v_add_f64_e32 v[2:3], v[6:7], v[2:3]
	v_add_f64_e32 v[4:5], v[8:9], v[4:5]
	s_wait_loadcnt 0x0
	s_delay_alu instid0(VALU_DEP_2) | instskip(NEXT) | instid1(VALU_DEP_2)
	v_add_f64_e64 v[2:3], v[22:23], -v[2:3]
	v_add_f64_e64 v[4:5], v[24:25], -v[4:5]
	scratch_store_b128 off, v[2:5], off offset:800
	v_cmpx_lt_u32_e32 48, v0
	s_cbranch_execz .LBB54_247
; %bb.246:
	scratch_load_b128 v[5:8], off, s9
	v_dual_mov_b32 v2, v1 :: v_dual_mov_b32 v3, v1
	v_mov_b32_e32 v4, v1
	scratch_store_b128 off, v[1:4], off offset:784
	s_wait_loadcnt 0x0
	ds_store_b128 v156, v[5:8]
.LBB54_247:
	s_wait_alu 0xfffe
	s_or_b32 exec_lo, exec_lo, s0
	s_wait_storecnt_dscnt 0x0
	s_barrier_signal -1
	s_barrier_wait -1
	global_inv scope:SCOPE_SE
	s_clause 0x5
	scratch_load_b128 v[2:5], off, off offset:800
	scratch_load_b128 v[6:9], off, off offset:816
	;; [unrolled: 1-line block ×6, first 2 shown]
	ds_load_b128 v[26:29], v1 offset:1664
	ds_load_b128 v[34:37], v1 offset:1680
	scratch_load_b128 v[30:33], off, off offset:784
	s_mov_b32 s0, exec_lo
	s_wait_loadcnt_dscnt 0x601
	v_mul_f64_e32 v[38:39], v[28:29], v[4:5]
	v_mul_f64_e32 v[4:5], v[26:27], v[4:5]
	s_wait_loadcnt_dscnt 0x500
	v_mul_f64_e32 v[40:41], v[34:35], v[8:9]
	v_mul_f64_e32 v[8:9], v[36:37], v[8:9]
	s_delay_alu instid0(VALU_DEP_4) | instskip(NEXT) | instid1(VALU_DEP_4)
	v_fma_f64 v[38:39], v[26:27], v[2:3], -v[38:39]
	v_fma_f64 v[42:43], v[28:29], v[2:3], v[4:5]
	ds_load_b128 v[2:5], v1 offset:1696
	ds_load_b128 v[26:29], v1 offset:1712
	v_fma_f64 v[36:37], v[36:37], v[6:7], v[40:41]
	v_fma_f64 v[6:7], v[34:35], v[6:7], -v[8:9]
	s_wait_loadcnt_dscnt 0x401
	v_mul_f64_e32 v[44:45], v[2:3], v[12:13]
	v_mul_f64_e32 v[12:13], v[4:5], v[12:13]
	v_add_f64_e32 v[8:9], 0, v[38:39]
	v_add_f64_e32 v[34:35], 0, v[42:43]
	s_wait_loadcnt_dscnt 0x300
	v_mul_f64_e32 v[38:39], v[26:27], v[16:17]
	v_mul_f64_e32 v[16:17], v[28:29], v[16:17]
	v_fma_f64 v[40:41], v[4:5], v[10:11], v[44:45]
	v_fma_f64 v[10:11], v[2:3], v[10:11], -v[12:13]
	v_add_f64_e32 v[12:13], v[8:9], v[6:7]
	v_add_f64_e32 v[34:35], v[34:35], v[36:37]
	ds_load_b128 v[2:5], v1 offset:1728
	ds_load_b128 v[6:9], v1 offset:1744
	v_fma_f64 v[28:29], v[28:29], v[14:15], v[38:39]
	v_fma_f64 v[14:15], v[26:27], v[14:15], -v[16:17]
	s_wait_loadcnt_dscnt 0x201
	v_mul_f64_e32 v[36:37], v[2:3], v[20:21]
	v_mul_f64_e32 v[20:21], v[4:5], v[20:21]
	s_wait_loadcnt_dscnt 0x100
	v_mul_f64_e32 v[16:17], v[6:7], v[24:25]
	v_mul_f64_e32 v[24:25], v[8:9], v[24:25]
	v_add_f64_e32 v[10:11], v[12:13], v[10:11]
	v_add_f64_e32 v[12:13], v[34:35], v[40:41]
	v_fma_f64 v[4:5], v[4:5], v[18:19], v[36:37]
	v_fma_f64 v[1:2], v[2:3], v[18:19], -v[20:21]
	v_fma_f64 v[8:9], v[8:9], v[22:23], v[16:17]
	v_fma_f64 v[6:7], v[6:7], v[22:23], -v[24:25]
	v_add_f64_e32 v[10:11], v[10:11], v[14:15]
	v_add_f64_e32 v[12:13], v[12:13], v[28:29]
	s_delay_alu instid0(VALU_DEP_2) | instskip(NEXT) | instid1(VALU_DEP_2)
	v_add_f64_e32 v[1:2], v[10:11], v[1:2]
	v_add_f64_e32 v[3:4], v[12:13], v[4:5]
	s_delay_alu instid0(VALU_DEP_2) | instskip(NEXT) | instid1(VALU_DEP_2)
	v_add_f64_e32 v[1:2], v[1:2], v[6:7]
	v_add_f64_e32 v[3:4], v[3:4], v[8:9]
	s_wait_loadcnt 0x0
	s_delay_alu instid0(VALU_DEP_2) | instskip(NEXT) | instid1(VALU_DEP_2)
	v_add_f64_e64 v[1:2], v[30:31], -v[1:2]
	v_add_f64_e64 v[3:4], v[32:33], -v[3:4]
	scratch_store_b128 off, v[1:4], off offset:784
	v_cmpx_lt_u32_e32 47, v0
	s_cbranch_execz .LBB54_249
; %bb.248:
	scratch_load_b128 v[1:4], off, s10
	v_mov_b32_e32 v5, 0
	s_delay_alu instid0(VALU_DEP_1)
	v_dual_mov_b32 v6, v5 :: v_dual_mov_b32 v7, v5
	v_mov_b32_e32 v8, v5
	scratch_store_b128 off, v[5:8], off offset:768
	s_wait_loadcnt 0x0
	ds_store_b128 v156, v[1:4]
.LBB54_249:
	s_wait_alu 0xfffe
	s_or_b32 exec_lo, exec_lo, s0
	s_wait_storecnt_dscnt 0x0
	s_barrier_signal -1
	s_barrier_wait -1
	global_inv scope:SCOPE_SE
	s_clause 0x6
	scratch_load_b128 v[2:5], off, off offset:784
	scratch_load_b128 v[6:9], off, off offset:800
	;; [unrolled: 1-line block ×7, first 2 shown]
	v_mov_b32_e32 v1, 0
	scratch_load_b128 v[34:37], off, off offset:768
	s_mov_b32 s0, exec_lo
	ds_load_b128 v[30:33], v1 offset:1648
	ds_load_b128 v[38:41], v1 offset:1664
	s_wait_loadcnt_dscnt 0x701
	v_mul_f64_e32 v[42:43], v[32:33], v[4:5]
	v_mul_f64_e32 v[4:5], v[30:31], v[4:5]
	s_wait_loadcnt_dscnt 0x600
	v_mul_f64_e32 v[44:45], v[38:39], v[8:9]
	v_mul_f64_e32 v[8:9], v[40:41], v[8:9]
	s_delay_alu instid0(VALU_DEP_4) | instskip(NEXT) | instid1(VALU_DEP_4)
	v_fma_f64 v[42:43], v[30:31], v[2:3], -v[42:43]
	v_fma_f64 v[157:158], v[32:33], v[2:3], v[4:5]
	ds_load_b128 v[2:5], v1 offset:1680
	ds_load_b128 v[30:33], v1 offset:1696
	v_fma_f64 v[40:41], v[40:41], v[6:7], v[44:45]
	v_fma_f64 v[6:7], v[38:39], v[6:7], -v[8:9]
	s_wait_loadcnt_dscnt 0x501
	v_mul_f64_e32 v[159:160], v[2:3], v[12:13]
	v_mul_f64_e32 v[12:13], v[4:5], v[12:13]
	v_add_f64_e32 v[8:9], 0, v[42:43]
	v_add_f64_e32 v[38:39], 0, v[157:158]
	s_wait_loadcnt_dscnt 0x400
	v_mul_f64_e32 v[42:43], v[30:31], v[16:17]
	v_mul_f64_e32 v[16:17], v[32:33], v[16:17]
	v_fma_f64 v[44:45], v[4:5], v[10:11], v[159:160]
	v_fma_f64 v[10:11], v[2:3], v[10:11], -v[12:13]
	v_add_f64_e32 v[12:13], v[8:9], v[6:7]
	v_add_f64_e32 v[38:39], v[38:39], v[40:41]
	ds_load_b128 v[2:5], v1 offset:1712
	ds_load_b128 v[6:9], v1 offset:1728
	v_fma_f64 v[32:33], v[32:33], v[14:15], v[42:43]
	v_fma_f64 v[14:15], v[30:31], v[14:15], -v[16:17]
	s_wait_loadcnt_dscnt 0x301
	v_mul_f64_e32 v[40:41], v[2:3], v[20:21]
	v_mul_f64_e32 v[20:21], v[4:5], v[20:21]
	s_wait_loadcnt_dscnt 0x200
	v_mul_f64_e32 v[16:17], v[6:7], v[24:25]
	v_mul_f64_e32 v[24:25], v[8:9], v[24:25]
	v_add_f64_e32 v[10:11], v[12:13], v[10:11]
	v_add_f64_e32 v[12:13], v[38:39], v[44:45]
	v_fma_f64 v[30:31], v[4:5], v[18:19], v[40:41]
	v_fma_f64 v[18:19], v[2:3], v[18:19], -v[20:21]
	ds_load_b128 v[2:5], v1 offset:1744
	v_fma_f64 v[8:9], v[8:9], v[22:23], v[16:17]
	v_fma_f64 v[6:7], v[6:7], v[22:23], -v[24:25]
	v_add_f64_e32 v[10:11], v[10:11], v[14:15]
	v_add_f64_e32 v[12:13], v[12:13], v[32:33]
	s_wait_loadcnt_dscnt 0x100
	v_mul_f64_e32 v[14:15], v[2:3], v[28:29]
	v_mul_f64_e32 v[20:21], v[4:5], v[28:29]
	s_delay_alu instid0(VALU_DEP_4) | instskip(NEXT) | instid1(VALU_DEP_4)
	v_add_f64_e32 v[10:11], v[10:11], v[18:19]
	v_add_f64_e32 v[12:13], v[12:13], v[30:31]
	s_delay_alu instid0(VALU_DEP_4) | instskip(NEXT) | instid1(VALU_DEP_4)
	v_fma_f64 v[4:5], v[4:5], v[26:27], v[14:15]
	v_fma_f64 v[2:3], v[2:3], v[26:27], -v[20:21]
	s_delay_alu instid0(VALU_DEP_4) | instskip(NEXT) | instid1(VALU_DEP_4)
	v_add_f64_e32 v[6:7], v[10:11], v[6:7]
	v_add_f64_e32 v[8:9], v[12:13], v[8:9]
	s_delay_alu instid0(VALU_DEP_2) | instskip(NEXT) | instid1(VALU_DEP_2)
	v_add_f64_e32 v[2:3], v[6:7], v[2:3]
	v_add_f64_e32 v[4:5], v[8:9], v[4:5]
	s_wait_loadcnt 0x0
	s_delay_alu instid0(VALU_DEP_2) | instskip(NEXT) | instid1(VALU_DEP_2)
	v_add_f64_e64 v[2:3], v[34:35], -v[2:3]
	v_add_f64_e64 v[4:5], v[36:37], -v[4:5]
	scratch_store_b128 off, v[2:5], off offset:768
	v_cmpx_lt_u32_e32 46, v0
	s_cbranch_execz .LBB54_251
; %bb.250:
	scratch_load_b128 v[5:8], off, s11
	v_dual_mov_b32 v2, v1 :: v_dual_mov_b32 v3, v1
	v_mov_b32_e32 v4, v1
	scratch_store_b128 off, v[1:4], off offset:752
	s_wait_loadcnt 0x0
	ds_store_b128 v156, v[5:8]
.LBB54_251:
	s_wait_alu 0xfffe
	s_or_b32 exec_lo, exec_lo, s0
	s_wait_storecnt_dscnt 0x0
	s_barrier_signal -1
	s_barrier_wait -1
	global_inv scope:SCOPE_SE
	s_clause 0x7
	scratch_load_b128 v[2:5], off, off offset:768
	scratch_load_b128 v[6:9], off, off offset:784
	;; [unrolled: 1-line block ×8, first 2 shown]
	ds_load_b128 v[34:37], v1 offset:1632
	ds_load_b128 v[38:41], v1 offset:1648
	scratch_load_b128 v[42:45], off, off offset:752
	s_mov_b32 s0, exec_lo
	s_wait_loadcnt_dscnt 0x801
	v_mul_f64_e32 v[157:158], v[36:37], v[4:5]
	v_mul_f64_e32 v[4:5], v[34:35], v[4:5]
	s_wait_loadcnt_dscnt 0x700
	v_mul_f64_e32 v[159:160], v[38:39], v[8:9]
	v_mul_f64_e32 v[8:9], v[40:41], v[8:9]
	s_delay_alu instid0(VALU_DEP_4) | instskip(NEXT) | instid1(VALU_DEP_4)
	v_fma_f64 v[157:158], v[34:35], v[2:3], -v[157:158]
	v_fma_f64 v[161:162], v[36:37], v[2:3], v[4:5]
	ds_load_b128 v[2:5], v1 offset:1664
	ds_load_b128 v[34:37], v1 offset:1680
	v_fma_f64 v[40:41], v[40:41], v[6:7], v[159:160]
	v_fma_f64 v[6:7], v[38:39], v[6:7], -v[8:9]
	s_wait_loadcnt_dscnt 0x601
	v_mul_f64_e32 v[163:164], v[2:3], v[12:13]
	v_mul_f64_e32 v[12:13], v[4:5], v[12:13]
	v_add_f64_e32 v[8:9], 0, v[157:158]
	v_add_f64_e32 v[38:39], 0, v[161:162]
	s_wait_loadcnt_dscnt 0x500
	v_mul_f64_e32 v[157:158], v[34:35], v[16:17]
	v_mul_f64_e32 v[16:17], v[36:37], v[16:17]
	v_fma_f64 v[159:160], v[4:5], v[10:11], v[163:164]
	v_fma_f64 v[10:11], v[2:3], v[10:11], -v[12:13]
	v_add_f64_e32 v[12:13], v[8:9], v[6:7]
	v_add_f64_e32 v[38:39], v[38:39], v[40:41]
	ds_load_b128 v[2:5], v1 offset:1696
	ds_load_b128 v[6:9], v1 offset:1712
	v_fma_f64 v[36:37], v[36:37], v[14:15], v[157:158]
	v_fma_f64 v[14:15], v[34:35], v[14:15], -v[16:17]
	s_wait_loadcnt_dscnt 0x401
	v_mul_f64_e32 v[40:41], v[2:3], v[20:21]
	v_mul_f64_e32 v[20:21], v[4:5], v[20:21]
	s_wait_loadcnt_dscnt 0x300
	v_mul_f64_e32 v[16:17], v[6:7], v[24:25]
	v_mul_f64_e32 v[24:25], v[8:9], v[24:25]
	v_add_f64_e32 v[10:11], v[12:13], v[10:11]
	v_add_f64_e32 v[12:13], v[38:39], v[159:160]
	v_fma_f64 v[34:35], v[4:5], v[18:19], v[40:41]
	v_fma_f64 v[18:19], v[2:3], v[18:19], -v[20:21]
	v_fma_f64 v[8:9], v[8:9], v[22:23], v[16:17]
	v_fma_f64 v[6:7], v[6:7], v[22:23], -v[24:25]
	v_add_f64_e32 v[14:15], v[10:11], v[14:15]
	v_add_f64_e32 v[20:21], v[12:13], v[36:37]
	ds_load_b128 v[2:5], v1 offset:1728
	ds_load_b128 v[10:13], v1 offset:1744
	s_wait_loadcnt_dscnt 0x201
	v_mul_f64_e32 v[36:37], v[2:3], v[28:29]
	v_mul_f64_e32 v[28:29], v[4:5], v[28:29]
	v_add_f64_e32 v[14:15], v[14:15], v[18:19]
	v_add_f64_e32 v[16:17], v[20:21], v[34:35]
	s_wait_loadcnt_dscnt 0x100
	v_mul_f64_e32 v[18:19], v[10:11], v[32:33]
	v_mul_f64_e32 v[20:21], v[12:13], v[32:33]
	v_fma_f64 v[4:5], v[4:5], v[26:27], v[36:37]
	v_fma_f64 v[1:2], v[2:3], v[26:27], -v[28:29]
	v_add_f64_e32 v[6:7], v[14:15], v[6:7]
	v_add_f64_e32 v[8:9], v[16:17], v[8:9]
	v_fma_f64 v[12:13], v[12:13], v[30:31], v[18:19]
	v_fma_f64 v[10:11], v[10:11], v[30:31], -v[20:21]
	s_delay_alu instid0(VALU_DEP_4) | instskip(NEXT) | instid1(VALU_DEP_4)
	v_add_f64_e32 v[1:2], v[6:7], v[1:2]
	v_add_f64_e32 v[3:4], v[8:9], v[4:5]
	s_delay_alu instid0(VALU_DEP_2) | instskip(NEXT) | instid1(VALU_DEP_2)
	v_add_f64_e32 v[1:2], v[1:2], v[10:11]
	v_add_f64_e32 v[3:4], v[3:4], v[12:13]
	s_wait_loadcnt 0x0
	s_delay_alu instid0(VALU_DEP_2) | instskip(NEXT) | instid1(VALU_DEP_2)
	v_add_f64_e64 v[1:2], v[42:43], -v[1:2]
	v_add_f64_e64 v[3:4], v[44:45], -v[3:4]
	scratch_store_b128 off, v[1:4], off offset:752
	v_cmpx_lt_u32_e32 45, v0
	s_cbranch_execz .LBB54_253
; %bb.252:
	scratch_load_b128 v[1:4], off, s12
	v_mov_b32_e32 v5, 0
	s_delay_alu instid0(VALU_DEP_1)
	v_dual_mov_b32 v6, v5 :: v_dual_mov_b32 v7, v5
	v_mov_b32_e32 v8, v5
	scratch_store_b128 off, v[5:8], off offset:736
	s_wait_loadcnt 0x0
	ds_store_b128 v156, v[1:4]
.LBB54_253:
	s_wait_alu 0xfffe
	s_or_b32 exec_lo, exec_lo, s0
	s_wait_storecnt_dscnt 0x0
	s_barrier_signal -1
	s_barrier_wait -1
	global_inv scope:SCOPE_SE
	s_clause 0x7
	scratch_load_b128 v[2:5], off, off offset:752
	scratch_load_b128 v[6:9], off, off offset:768
	;; [unrolled: 1-line block ×8, first 2 shown]
	v_mov_b32_e32 v1, 0
	scratch_load_b128 v[38:41], off, off offset:880
	s_mov_b32 s0, exec_lo
	ds_load_b128 v[34:37], v1 offset:1616
	ds_load_b128 v[42:45], v1 offset:1632
	s_wait_loadcnt_dscnt 0x801
	v_mul_f64_e32 v[157:158], v[36:37], v[4:5]
	v_mul_f64_e32 v[4:5], v[34:35], v[4:5]
	s_wait_loadcnt_dscnt 0x700
	v_mul_f64_e32 v[159:160], v[42:43], v[8:9]
	v_mul_f64_e32 v[8:9], v[44:45], v[8:9]
	s_delay_alu instid0(VALU_DEP_4) | instskip(NEXT) | instid1(VALU_DEP_4)
	v_fma_f64 v[34:35], v[34:35], v[2:3], -v[157:158]
	v_fma_f64 v[36:37], v[36:37], v[2:3], v[4:5]
	ds_load_b128 v[2:5], v1 offset:1648
	v_fma_f64 v[44:45], v[44:45], v[6:7], v[159:160]
	v_fma_f64 v[42:43], v[42:43], v[6:7], -v[8:9]
	ds_load_b128 v[6:9], v1 offset:1664
	s_wait_loadcnt_dscnt 0x601
	v_mul_f64_e32 v[157:158], v[2:3], v[12:13]
	v_mul_f64_e32 v[12:13], v[4:5], v[12:13]
	s_wait_loadcnt_dscnt 0x500
	v_mul_f64_e32 v[163:164], v[6:7], v[16:17]
	v_mul_f64_e32 v[16:17], v[8:9], v[16:17]
	v_add_f64_e32 v[159:160], 0, v[34:35]
	v_add_f64_e32 v[161:162], 0, v[36:37]
	scratch_load_b128 v[34:37], off, off offset:736
	v_fma_f64 v[157:158], v[4:5], v[10:11], v[157:158]
	v_fma_f64 v[10:11], v[2:3], v[10:11], -v[12:13]
	ds_load_b128 v[2:5], v1 offset:1680
	v_add_f64_e32 v[12:13], v[159:160], v[42:43]
	v_add_f64_e32 v[42:43], v[161:162], v[44:45]
	v_fma_f64 v[159:160], v[8:9], v[14:15], v[163:164]
	v_fma_f64 v[14:15], v[6:7], v[14:15], -v[16:17]
	ds_load_b128 v[6:9], v1 offset:1696
	s_wait_loadcnt_dscnt 0x501
	v_mul_f64_e32 v[44:45], v[2:3], v[20:21]
	v_mul_f64_e32 v[20:21], v[4:5], v[20:21]
	s_wait_loadcnt_dscnt 0x400
	v_mul_f64_e32 v[16:17], v[6:7], v[24:25]
	v_mul_f64_e32 v[24:25], v[8:9], v[24:25]
	v_add_f64_e32 v[10:11], v[12:13], v[10:11]
	v_add_f64_e32 v[12:13], v[42:43], v[157:158]
	v_fma_f64 v[42:43], v[4:5], v[18:19], v[44:45]
	v_fma_f64 v[18:19], v[2:3], v[18:19], -v[20:21]
	ds_load_b128 v[2:5], v1 offset:1712
	v_fma_f64 v[16:17], v[8:9], v[22:23], v[16:17]
	v_fma_f64 v[22:23], v[6:7], v[22:23], -v[24:25]
	ds_load_b128 v[6:9], v1 offset:1728
	s_wait_loadcnt_dscnt 0x301
	v_mul_f64_e32 v[20:21], v[4:5], v[28:29]
	v_add_f64_e32 v[10:11], v[10:11], v[14:15]
	v_add_f64_e32 v[12:13], v[12:13], v[159:160]
	v_mul_f64_e32 v[14:15], v[2:3], v[28:29]
	s_wait_loadcnt_dscnt 0x200
	v_mul_f64_e32 v[24:25], v[8:9], v[32:33]
	v_fma_f64 v[20:21], v[2:3], v[26:27], -v[20:21]
	v_add_f64_e32 v[10:11], v[10:11], v[18:19]
	v_add_f64_e32 v[12:13], v[12:13], v[42:43]
	v_mul_f64_e32 v[18:19], v[6:7], v[32:33]
	v_fma_f64 v[14:15], v[4:5], v[26:27], v[14:15]
	ds_load_b128 v[2:5], v1 offset:1744
	v_fma_f64 v[6:7], v[6:7], v[30:31], -v[24:25]
	v_add_f64_e32 v[10:11], v[10:11], v[22:23]
	v_add_f64_e32 v[12:13], v[12:13], v[16:17]
	s_wait_loadcnt_dscnt 0x100
	v_mul_f64_e32 v[16:17], v[2:3], v[40:41]
	v_mul_f64_e32 v[22:23], v[4:5], v[40:41]
	v_fma_f64 v[8:9], v[8:9], v[30:31], v[18:19]
	v_add_f64_e32 v[10:11], v[10:11], v[20:21]
	v_add_f64_e32 v[12:13], v[12:13], v[14:15]
	v_fma_f64 v[4:5], v[4:5], v[38:39], v[16:17]
	v_fma_f64 v[2:3], v[2:3], v[38:39], -v[22:23]
	s_delay_alu instid0(VALU_DEP_4) | instskip(NEXT) | instid1(VALU_DEP_4)
	v_add_f64_e32 v[6:7], v[10:11], v[6:7]
	v_add_f64_e32 v[8:9], v[12:13], v[8:9]
	s_delay_alu instid0(VALU_DEP_2) | instskip(NEXT) | instid1(VALU_DEP_2)
	v_add_f64_e32 v[2:3], v[6:7], v[2:3]
	v_add_f64_e32 v[4:5], v[8:9], v[4:5]
	s_wait_loadcnt 0x0
	s_delay_alu instid0(VALU_DEP_2) | instskip(NEXT) | instid1(VALU_DEP_2)
	v_add_f64_e64 v[2:3], v[34:35], -v[2:3]
	v_add_f64_e64 v[4:5], v[36:37], -v[4:5]
	scratch_store_b128 off, v[2:5], off offset:736
	v_cmpx_lt_u32_e32 44, v0
	s_cbranch_execz .LBB54_255
; %bb.254:
	scratch_load_b128 v[5:8], off, s13
	v_dual_mov_b32 v2, v1 :: v_dual_mov_b32 v3, v1
	v_mov_b32_e32 v4, v1
	scratch_store_b128 off, v[1:4], off offset:720
	s_wait_loadcnt 0x0
	ds_store_b128 v156, v[5:8]
.LBB54_255:
	s_wait_alu 0xfffe
	s_or_b32 exec_lo, exec_lo, s0
	s_wait_storecnt_dscnt 0x0
	s_barrier_signal -1
	s_barrier_wait -1
	global_inv scope:SCOPE_SE
	s_clause 0x7
	scratch_load_b128 v[2:5], off, off offset:736
	scratch_load_b128 v[6:9], off, off offset:752
	;; [unrolled: 1-line block ×8, first 2 shown]
	ds_load_b128 v[34:37], v1 offset:1600
	ds_load_b128 v[42:45], v1 offset:1616
	s_clause 0x1
	scratch_load_b128 v[38:41], off, off offset:864
	scratch_load_b128 v[157:160], off, off offset:880
	s_mov_b32 s0, exec_lo
	s_wait_loadcnt_dscnt 0x901
	v_mul_f64_e32 v[161:162], v[36:37], v[4:5]
	v_mul_f64_e32 v[4:5], v[34:35], v[4:5]
	s_wait_loadcnt_dscnt 0x800
	v_mul_f64_e32 v[163:164], v[42:43], v[8:9]
	v_mul_f64_e32 v[8:9], v[44:45], v[8:9]
	s_delay_alu instid0(VALU_DEP_4) | instskip(NEXT) | instid1(VALU_DEP_4)
	v_fma_f64 v[34:35], v[34:35], v[2:3], -v[161:162]
	v_fma_f64 v[36:37], v[36:37], v[2:3], v[4:5]
	ds_load_b128 v[2:5], v1 offset:1632
	v_fma_f64 v[44:45], v[44:45], v[6:7], v[163:164]
	v_fma_f64 v[42:43], v[42:43], v[6:7], -v[8:9]
	ds_load_b128 v[6:9], v1 offset:1648
	s_wait_loadcnt_dscnt 0x701
	v_mul_f64_e32 v[161:162], v[2:3], v[12:13]
	v_mul_f64_e32 v[12:13], v[4:5], v[12:13]
	s_wait_loadcnt_dscnt 0x600
	v_mul_f64_e32 v[163:164], v[6:7], v[16:17]
	v_mul_f64_e32 v[16:17], v[8:9], v[16:17]
	v_add_f64_e32 v[34:35], 0, v[34:35]
	v_add_f64_e32 v[36:37], 0, v[36:37]
	v_fma_f64 v[161:162], v[4:5], v[10:11], v[161:162]
	v_fma_f64 v[165:166], v[2:3], v[10:11], -v[12:13]
	ds_load_b128 v[2:5], v1 offset:1664
	scratch_load_b128 v[10:13], off, off offset:720
	v_add_f64_e32 v[34:35], v[34:35], v[42:43]
	v_add_f64_e32 v[36:37], v[36:37], v[44:45]
	v_fma_f64 v[44:45], v[8:9], v[14:15], v[163:164]
	v_fma_f64 v[14:15], v[6:7], v[14:15], -v[16:17]
	ds_load_b128 v[6:9], v1 offset:1680
	s_wait_loadcnt_dscnt 0x601
	v_mul_f64_e32 v[42:43], v[2:3], v[20:21]
	v_mul_f64_e32 v[20:21], v[4:5], v[20:21]
	v_add_f64_e32 v[16:17], v[34:35], v[165:166]
	v_add_f64_e32 v[34:35], v[36:37], v[161:162]
	s_wait_loadcnt_dscnt 0x500
	v_mul_f64_e32 v[36:37], v[6:7], v[24:25]
	v_mul_f64_e32 v[24:25], v[8:9], v[24:25]
	v_fma_f64 v[42:43], v[4:5], v[18:19], v[42:43]
	v_fma_f64 v[18:19], v[2:3], v[18:19], -v[20:21]
	ds_load_b128 v[2:5], v1 offset:1696
	v_add_f64_e32 v[14:15], v[16:17], v[14:15]
	v_add_f64_e32 v[16:17], v[34:35], v[44:45]
	v_fma_f64 v[34:35], v[8:9], v[22:23], v[36:37]
	v_fma_f64 v[22:23], v[6:7], v[22:23], -v[24:25]
	ds_load_b128 v[6:9], v1 offset:1712
	s_wait_loadcnt_dscnt 0x401
	v_mul_f64_e32 v[20:21], v[2:3], v[28:29]
	v_mul_f64_e32 v[28:29], v[4:5], v[28:29]
	s_wait_loadcnt_dscnt 0x300
	v_mul_f64_e32 v[24:25], v[8:9], v[32:33]
	v_add_f64_e32 v[14:15], v[14:15], v[18:19]
	v_add_f64_e32 v[16:17], v[16:17], v[42:43]
	v_mul_f64_e32 v[18:19], v[6:7], v[32:33]
	v_fma_f64 v[20:21], v[4:5], v[26:27], v[20:21]
	v_fma_f64 v[26:27], v[2:3], v[26:27], -v[28:29]
	ds_load_b128 v[2:5], v1 offset:1728
	v_fma_f64 v[24:25], v[6:7], v[30:31], -v[24:25]
	v_add_f64_e32 v[14:15], v[14:15], v[22:23]
	v_add_f64_e32 v[16:17], v[16:17], v[34:35]
	v_fma_f64 v[18:19], v[8:9], v[30:31], v[18:19]
	ds_load_b128 v[6:9], v1 offset:1744
	s_wait_loadcnt_dscnt 0x201
	v_mul_f64_e32 v[22:23], v[2:3], v[40:41]
	v_mul_f64_e32 v[28:29], v[4:5], v[40:41]
	v_add_f64_e32 v[14:15], v[14:15], v[26:27]
	v_add_f64_e32 v[16:17], v[16:17], v[20:21]
	s_wait_loadcnt_dscnt 0x100
	v_mul_f64_e32 v[20:21], v[6:7], v[159:160]
	v_mul_f64_e32 v[26:27], v[8:9], v[159:160]
	v_fma_f64 v[4:5], v[4:5], v[38:39], v[22:23]
	v_fma_f64 v[1:2], v[2:3], v[38:39], -v[28:29]
	v_add_f64_e32 v[14:15], v[14:15], v[24:25]
	v_add_f64_e32 v[16:17], v[16:17], v[18:19]
	v_fma_f64 v[8:9], v[8:9], v[157:158], v[20:21]
	v_fma_f64 v[6:7], v[6:7], v[157:158], -v[26:27]
	s_delay_alu instid0(VALU_DEP_4) | instskip(NEXT) | instid1(VALU_DEP_4)
	v_add_f64_e32 v[1:2], v[14:15], v[1:2]
	v_add_f64_e32 v[3:4], v[16:17], v[4:5]
	s_delay_alu instid0(VALU_DEP_2) | instskip(NEXT) | instid1(VALU_DEP_2)
	v_add_f64_e32 v[1:2], v[1:2], v[6:7]
	v_add_f64_e32 v[3:4], v[3:4], v[8:9]
	s_wait_loadcnt 0x0
	s_delay_alu instid0(VALU_DEP_2) | instskip(NEXT) | instid1(VALU_DEP_2)
	v_add_f64_e64 v[1:2], v[10:11], -v[1:2]
	v_add_f64_e64 v[3:4], v[12:13], -v[3:4]
	scratch_store_b128 off, v[1:4], off offset:720
	v_cmpx_lt_u32_e32 43, v0
	s_cbranch_execz .LBB54_257
; %bb.256:
	scratch_load_b128 v[1:4], off, s14
	v_mov_b32_e32 v5, 0
	s_delay_alu instid0(VALU_DEP_1)
	v_dual_mov_b32 v6, v5 :: v_dual_mov_b32 v7, v5
	v_mov_b32_e32 v8, v5
	scratch_store_b128 off, v[5:8], off offset:704
	s_wait_loadcnt 0x0
	ds_store_b128 v156, v[1:4]
.LBB54_257:
	s_wait_alu 0xfffe
	s_or_b32 exec_lo, exec_lo, s0
	s_wait_storecnt_dscnt 0x0
	s_barrier_signal -1
	s_barrier_wait -1
	global_inv scope:SCOPE_SE
	s_clause 0x7
	scratch_load_b128 v[2:5], off, off offset:720
	scratch_load_b128 v[6:9], off, off offset:736
	;; [unrolled: 1-line block ×8, first 2 shown]
	v_mov_b32_e32 v1, 0
	s_clause 0x1
	scratch_load_b128 v[38:41], off, off offset:848
	scratch_load_b128 v[157:160], off, off offset:864
	s_mov_b32 s0, exec_lo
	ds_load_b128 v[34:37], v1 offset:1584
	ds_load_b128 v[42:45], v1 offset:1600
	s_wait_loadcnt_dscnt 0x901
	v_mul_f64_e32 v[161:162], v[36:37], v[4:5]
	v_mul_f64_e32 v[4:5], v[34:35], v[4:5]
	s_wait_loadcnt_dscnt 0x800
	v_mul_f64_e32 v[163:164], v[42:43], v[8:9]
	v_mul_f64_e32 v[8:9], v[44:45], v[8:9]
	s_delay_alu instid0(VALU_DEP_4) | instskip(NEXT) | instid1(VALU_DEP_4)
	v_fma_f64 v[161:162], v[34:35], v[2:3], -v[161:162]
	v_fma_f64 v[165:166], v[36:37], v[2:3], v[4:5]
	ds_load_b128 v[2:5], v1 offset:1616
	scratch_load_b128 v[34:37], off, off offset:880
	v_fma_f64 v[44:45], v[44:45], v[6:7], v[163:164]
	v_fma_f64 v[42:43], v[42:43], v[6:7], -v[8:9]
	ds_load_b128 v[6:9], v1 offset:1632
	s_wait_loadcnt_dscnt 0x801
	v_mul_f64_e32 v[167:168], v[2:3], v[12:13]
	v_mul_f64_e32 v[12:13], v[4:5], v[12:13]
	v_add_f64_e32 v[161:162], 0, v[161:162]
	v_add_f64_e32 v[163:164], 0, v[165:166]
	s_wait_loadcnt_dscnt 0x700
	v_mul_f64_e32 v[165:166], v[6:7], v[16:17]
	v_mul_f64_e32 v[16:17], v[8:9], v[16:17]
	v_fma_f64 v[167:168], v[4:5], v[10:11], v[167:168]
	v_fma_f64 v[10:11], v[2:3], v[10:11], -v[12:13]
	ds_load_b128 v[2:5], v1 offset:1648
	v_add_f64_e32 v[12:13], v[161:162], v[42:43]
	v_add_f64_e32 v[42:43], v[163:164], v[44:45]
	v_fma_f64 v[161:162], v[8:9], v[14:15], v[165:166]
	v_fma_f64 v[14:15], v[6:7], v[14:15], -v[16:17]
	ds_load_b128 v[6:9], v1 offset:1664
	s_wait_loadcnt_dscnt 0x601
	v_mul_f64_e32 v[44:45], v[2:3], v[20:21]
	v_mul_f64_e32 v[20:21], v[4:5], v[20:21]
	s_wait_loadcnt_dscnt 0x500
	v_mul_f64_e32 v[163:164], v[6:7], v[24:25]
	v_mul_f64_e32 v[24:25], v[8:9], v[24:25]
	v_add_f64_e32 v[16:17], v[12:13], v[10:11]
	v_add_f64_e32 v[42:43], v[42:43], v[167:168]
	scratch_load_b128 v[10:13], off, off offset:704
	v_fma_f64 v[44:45], v[4:5], v[18:19], v[44:45]
	v_fma_f64 v[18:19], v[2:3], v[18:19], -v[20:21]
	ds_load_b128 v[2:5], v1 offset:1680
	v_add_f64_e32 v[14:15], v[16:17], v[14:15]
	v_add_f64_e32 v[16:17], v[42:43], v[161:162]
	v_fma_f64 v[42:43], v[8:9], v[22:23], v[163:164]
	v_fma_f64 v[22:23], v[6:7], v[22:23], -v[24:25]
	ds_load_b128 v[6:9], v1 offset:1696
	s_wait_loadcnt_dscnt 0x501
	v_mul_f64_e32 v[20:21], v[2:3], v[28:29]
	v_mul_f64_e32 v[28:29], v[4:5], v[28:29]
	s_wait_loadcnt_dscnt 0x400
	v_mul_f64_e32 v[24:25], v[8:9], v[32:33]
	v_add_f64_e32 v[14:15], v[14:15], v[18:19]
	v_add_f64_e32 v[16:17], v[16:17], v[44:45]
	v_mul_f64_e32 v[18:19], v[6:7], v[32:33]
	v_fma_f64 v[20:21], v[4:5], v[26:27], v[20:21]
	v_fma_f64 v[26:27], v[2:3], v[26:27], -v[28:29]
	ds_load_b128 v[2:5], v1 offset:1712
	v_fma_f64 v[24:25], v[6:7], v[30:31], -v[24:25]
	v_add_f64_e32 v[14:15], v[14:15], v[22:23]
	v_add_f64_e32 v[16:17], v[16:17], v[42:43]
	v_fma_f64 v[18:19], v[8:9], v[30:31], v[18:19]
	ds_load_b128 v[6:9], v1 offset:1728
	s_wait_loadcnt_dscnt 0x301
	v_mul_f64_e32 v[22:23], v[2:3], v[40:41]
	v_mul_f64_e32 v[28:29], v[4:5], v[40:41]
	v_add_f64_e32 v[14:15], v[14:15], v[26:27]
	v_add_f64_e32 v[16:17], v[16:17], v[20:21]
	s_wait_loadcnt_dscnt 0x200
	v_mul_f64_e32 v[20:21], v[6:7], v[159:160]
	v_mul_f64_e32 v[26:27], v[8:9], v[159:160]
	v_fma_f64 v[22:23], v[4:5], v[38:39], v[22:23]
	v_fma_f64 v[28:29], v[2:3], v[38:39], -v[28:29]
	ds_load_b128 v[2:5], v1 offset:1744
	v_add_f64_e32 v[14:15], v[14:15], v[24:25]
	v_add_f64_e32 v[16:17], v[16:17], v[18:19]
	v_fma_f64 v[8:9], v[8:9], v[157:158], v[20:21]
	v_fma_f64 v[6:7], v[6:7], v[157:158], -v[26:27]
	s_wait_loadcnt_dscnt 0x100
	v_mul_f64_e32 v[18:19], v[2:3], v[36:37]
	v_mul_f64_e32 v[24:25], v[4:5], v[36:37]
	v_add_f64_e32 v[14:15], v[14:15], v[28:29]
	v_add_f64_e32 v[16:17], v[16:17], v[22:23]
	s_delay_alu instid0(VALU_DEP_4) | instskip(NEXT) | instid1(VALU_DEP_4)
	v_fma_f64 v[4:5], v[4:5], v[34:35], v[18:19]
	v_fma_f64 v[2:3], v[2:3], v[34:35], -v[24:25]
	s_delay_alu instid0(VALU_DEP_4) | instskip(NEXT) | instid1(VALU_DEP_4)
	v_add_f64_e32 v[6:7], v[14:15], v[6:7]
	v_add_f64_e32 v[8:9], v[16:17], v[8:9]
	s_delay_alu instid0(VALU_DEP_2) | instskip(NEXT) | instid1(VALU_DEP_2)
	v_add_f64_e32 v[2:3], v[6:7], v[2:3]
	v_add_f64_e32 v[4:5], v[8:9], v[4:5]
	s_wait_loadcnt 0x0
	s_delay_alu instid0(VALU_DEP_2) | instskip(NEXT) | instid1(VALU_DEP_2)
	v_add_f64_e64 v[2:3], v[10:11], -v[2:3]
	v_add_f64_e64 v[4:5], v[12:13], -v[4:5]
	scratch_store_b128 off, v[2:5], off offset:704
	v_cmpx_lt_u32_e32 42, v0
	s_cbranch_execz .LBB54_259
; %bb.258:
	scratch_load_b128 v[5:8], off, s20
	v_dual_mov_b32 v2, v1 :: v_dual_mov_b32 v3, v1
	v_mov_b32_e32 v4, v1
	scratch_store_b128 off, v[1:4], off offset:688
	s_wait_loadcnt 0x0
	ds_store_b128 v156, v[5:8]
.LBB54_259:
	s_wait_alu 0xfffe
	s_or_b32 exec_lo, exec_lo, s0
	s_wait_storecnt_dscnt 0x0
	s_barrier_signal -1
	s_barrier_wait -1
	global_inv scope:SCOPE_SE
	s_clause 0x8
	scratch_load_b128 v[2:5], off, off offset:704
	scratch_load_b128 v[6:9], off, off offset:720
	;; [unrolled: 1-line block ×9, first 2 shown]
	ds_load_b128 v[38:41], v1 offset:1568
	ds_load_b128 v[42:45], v1 offset:1584
	s_clause 0x1
	scratch_load_b128 v[157:160], off, off offset:688
	scratch_load_b128 v[161:164], off, off offset:848
	s_mov_b32 s0, exec_lo
	s_wait_loadcnt_dscnt 0xa01
	v_mul_f64_e32 v[165:166], v[40:41], v[4:5]
	v_mul_f64_e32 v[4:5], v[38:39], v[4:5]
	s_wait_loadcnt_dscnt 0x900
	v_mul_f64_e32 v[169:170], v[42:43], v[8:9]
	v_mul_f64_e32 v[8:9], v[44:45], v[8:9]
	s_delay_alu instid0(VALU_DEP_4) | instskip(NEXT) | instid1(VALU_DEP_4)
	v_fma_f64 v[171:172], v[38:39], v[2:3], -v[165:166]
	v_fma_f64 v[173:174], v[40:41], v[2:3], v[4:5]
	ds_load_b128 v[2:5], v1 offset:1600
	ds_load_b128 v[165:168], v1 offset:1616
	scratch_load_b128 v[38:41], off, off offset:864
	v_fma_f64 v[44:45], v[44:45], v[6:7], v[169:170]
	v_fma_f64 v[42:43], v[42:43], v[6:7], -v[8:9]
	scratch_load_b128 v[6:9], off, off offset:880
	s_wait_loadcnt_dscnt 0xa01
	v_mul_f64_e32 v[175:176], v[2:3], v[12:13]
	v_mul_f64_e32 v[12:13], v[4:5], v[12:13]
	v_add_f64_e32 v[169:170], 0, v[171:172]
	v_add_f64_e32 v[171:172], 0, v[173:174]
	s_wait_loadcnt_dscnt 0x900
	v_mul_f64_e32 v[173:174], v[165:166], v[16:17]
	v_mul_f64_e32 v[16:17], v[167:168], v[16:17]
	v_fma_f64 v[175:176], v[4:5], v[10:11], v[175:176]
	v_fma_f64 v[177:178], v[2:3], v[10:11], -v[12:13]
	ds_load_b128 v[2:5], v1 offset:1632
	ds_load_b128 v[10:13], v1 offset:1648
	v_add_f64_e32 v[42:43], v[169:170], v[42:43]
	v_add_f64_e32 v[44:45], v[171:172], v[44:45]
	v_fma_f64 v[167:168], v[167:168], v[14:15], v[173:174]
	v_fma_f64 v[14:15], v[165:166], v[14:15], -v[16:17]
	s_wait_loadcnt_dscnt 0x801
	v_mul_f64_e32 v[169:170], v[2:3], v[20:21]
	v_mul_f64_e32 v[20:21], v[4:5], v[20:21]
	v_add_f64_e32 v[16:17], v[42:43], v[177:178]
	v_add_f64_e32 v[42:43], v[44:45], v[175:176]
	s_wait_loadcnt_dscnt 0x700
	v_mul_f64_e32 v[44:45], v[10:11], v[24:25]
	v_mul_f64_e32 v[24:25], v[12:13], v[24:25]
	v_fma_f64 v[165:166], v[4:5], v[18:19], v[169:170]
	v_fma_f64 v[18:19], v[2:3], v[18:19], -v[20:21]
	v_add_f64_e32 v[20:21], v[16:17], v[14:15]
	v_add_f64_e32 v[42:43], v[42:43], v[167:168]
	ds_load_b128 v[2:5], v1 offset:1664
	ds_load_b128 v[14:17], v1 offset:1680
	v_fma_f64 v[12:13], v[12:13], v[22:23], v[44:45]
	v_fma_f64 v[10:11], v[10:11], v[22:23], -v[24:25]
	s_wait_loadcnt_dscnt 0x601
	v_mul_f64_e32 v[167:168], v[2:3], v[28:29]
	v_mul_f64_e32 v[28:29], v[4:5], v[28:29]
	s_wait_loadcnt_dscnt 0x500
	v_mul_f64_e32 v[22:23], v[14:15], v[32:33]
	v_mul_f64_e32 v[24:25], v[16:17], v[32:33]
	v_add_f64_e32 v[18:19], v[20:21], v[18:19]
	v_add_f64_e32 v[20:21], v[42:43], v[165:166]
	v_fma_f64 v[32:33], v[4:5], v[26:27], v[167:168]
	v_fma_f64 v[26:27], v[2:3], v[26:27], -v[28:29]
	v_fma_f64 v[16:17], v[16:17], v[30:31], v[22:23]
	v_fma_f64 v[14:15], v[14:15], v[30:31], -v[24:25]
	v_add_f64_e32 v[18:19], v[18:19], v[10:11]
	v_add_f64_e32 v[20:21], v[20:21], v[12:13]
	ds_load_b128 v[2:5], v1 offset:1696
	ds_load_b128 v[10:13], v1 offset:1712
	s_wait_loadcnt_dscnt 0x401
	v_mul_f64_e32 v[28:29], v[2:3], v[36:37]
	v_mul_f64_e32 v[36:37], v[4:5], v[36:37]
	s_wait_loadcnt_dscnt 0x200
	v_mul_f64_e32 v[22:23], v[10:11], v[163:164]
	v_mul_f64_e32 v[24:25], v[12:13], v[163:164]
	v_add_f64_e32 v[18:19], v[18:19], v[26:27]
	v_add_f64_e32 v[20:21], v[20:21], v[32:33]
	v_fma_f64 v[26:27], v[4:5], v[34:35], v[28:29]
	v_fma_f64 v[28:29], v[2:3], v[34:35], -v[36:37]
	v_fma_f64 v[12:13], v[12:13], v[161:162], v[22:23]
	v_fma_f64 v[10:11], v[10:11], v[161:162], -v[24:25]
	v_add_f64_e32 v[18:19], v[18:19], v[14:15]
	v_add_f64_e32 v[20:21], v[20:21], v[16:17]
	ds_load_b128 v[2:5], v1 offset:1728
	ds_load_b128 v[14:17], v1 offset:1744
	s_wait_loadcnt_dscnt 0x101
	v_mul_f64_e32 v[30:31], v[2:3], v[40:41]
	v_mul_f64_e32 v[32:33], v[4:5], v[40:41]
	s_wait_loadcnt_dscnt 0x0
	v_mul_f64_e32 v[22:23], v[14:15], v[8:9]
	v_mul_f64_e32 v[8:9], v[16:17], v[8:9]
	v_add_f64_e32 v[18:19], v[18:19], v[28:29]
	v_add_f64_e32 v[20:21], v[20:21], v[26:27]
	v_fma_f64 v[4:5], v[4:5], v[38:39], v[30:31]
	v_fma_f64 v[1:2], v[2:3], v[38:39], -v[32:33]
	v_fma_f64 v[16:17], v[16:17], v[6:7], v[22:23]
	v_fma_f64 v[6:7], v[14:15], v[6:7], -v[8:9]
	v_add_f64_e32 v[10:11], v[18:19], v[10:11]
	v_add_f64_e32 v[12:13], v[20:21], v[12:13]
	s_delay_alu instid0(VALU_DEP_2) | instskip(NEXT) | instid1(VALU_DEP_2)
	v_add_f64_e32 v[1:2], v[10:11], v[1:2]
	v_add_f64_e32 v[3:4], v[12:13], v[4:5]
	s_delay_alu instid0(VALU_DEP_2) | instskip(NEXT) | instid1(VALU_DEP_2)
	;; [unrolled: 3-line block ×3, first 2 shown]
	v_add_f64_e64 v[1:2], v[157:158], -v[1:2]
	v_add_f64_e64 v[3:4], v[159:160], -v[3:4]
	scratch_store_b128 off, v[1:4], off offset:688
	v_cmpx_lt_u32_e32 41, v0
	s_cbranch_execz .LBB54_261
; %bb.260:
	scratch_load_b128 v[1:4], off, s21
	v_mov_b32_e32 v5, 0
	s_delay_alu instid0(VALU_DEP_1)
	v_dual_mov_b32 v6, v5 :: v_dual_mov_b32 v7, v5
	v_mov_b32_e32 v8, v5
	scratch_store_b128 off, v[5:8], off offset:672
	s_wait_loadcnt 0x0
	ds_store_b128 v156, v[1:4]
.LBB54_261:
	s_wait_alu 0xfffe
	s_or_b32 exec_lo, exec_lo, s0
	s_wait_storecnt_dscnt 0x0
	s_barrier_signal -1
	s_barrier_wait -1
	global_inv scope:SCOPE_SE
	s_clause 0x7
	scratch_load_b128 v[2:5], off, off offset:688
	scratch_load_b128 v[6:9], off, off offset:704
	;; [unrolled: 1-line block ×8, first 2 shown]
	v_mov_b32_e32 v1, 0
	s_mov_b32 s0, exec_lo
	ds_load_b128 v[34:37], v1 offset:1552
	s_clause 0x1
	scratch_load_b128 v[38:41], off, off offset:816
	scratch_load_b128 v[42:45], off, off offset:672
	ds_load_b128 v[157:160], v1 offset:1568
	scratch_load_b128 v[161:164], off, off offset:832
	s_wait_loadcnt_dscnt 0xa01
	v_mul_f64_e32 v[165:166], v[36:37], v[4:5]
	v_mul_f64_e32 v[4:5], v[34:35], v[4:5]
	s_delay_alu instid0(VALU_DEP_2) | instskip(NEXT) | instid1(VALU_DEP_2)
	v_fma_f64 v[171:172], v[34:35], v[2:3], -v[165:166]
	v_fma_f64 v[173:174], v[36:37], v[2:3], v[4:5]
	ds_load_b128 v[2:5], v1 offset:1584
	s_wait_loadcnt_dscnt 0x901
	v_mul_f64_e32 v[169:170], v[157:158], v[8:9]
	v_mul_f64_e32 v[8:9], v[159:160], v[8:9]
	scratch_load_b128 v[34:37], off, off offset:848
	ds_load_b128 v[165:168], v1 offset:1600
	s_wait_loadcnt_dscnt 0x901
	v_mul_f64_e32 v[175:176], v[2:3], v[12:13]
	v_mul_f64_e32 v[12:13], v[4:5], v[12:13]
	v_fma_f64 v[159:160], v[159:160], v[6:7], v[169:170]
	v_fma_f64 v[157:158], v[157:158], v[6:7], -v[8:9]
	v_add_f64_e32 v[169:170], 0, v[171:172]
	v_add_f64_e32 v[171:172], 0, v[173:174]
	scratch_load_b128 v[6:9], off, off offset:864
	v_fma_f64 v[175:176], v[4:5], v[10:11], v[175:176]
	v_fma_f64 v[177:178], v[2:3], v[10:11], -v[12:13]
	ds_load_b128 v[2:5], v1 offset:1616
	s_wait_loadcnt_dscnt 0x901
	v_mul_f64_e32 v[173:174], v[165:166], v[16:17]
	v_mul_f64_e32 v[16:17], v[167:168], v[16:17]
	scratch_load_b128 v[10:13], off, off offset:880
	v_add_f64_e32 v[169:170], v[169:170], v[157:158]
	v_add_f64_e32 v[171:172], v[171:172], v[159:160]
	s_wait_loadcnt_dscnt 0x900
	v_mul_f64_e32 v[179:180], v[2:3], v[20:21]
	v_mul_f64_e32 v[20:21], v[4:5], v[20:21]
	ds_load_b128 v[157:160], v1 offset:1632
	v_fma_f64 v[167:168], v[167:168], v[14:15], v[173:174]
	v_fma_f64 v[14:15], v[165:166], v[14:15], -v[16:17]
	v_add_f64_e32 v[16:17], v[169:170], v[177:178]
	v_add_f64_e32 v[165:166], v[171:172], v[175:176]
	s_wait_loadcnt_dscnt 0x800
	v_mul_f64_e32 v[169:170], v[157:158], v[24:25]
	v_mul_f64_e32 v[24:25], v[159:160], v[24:25]
	v_fma_f64 v[171:172], v[4:5], v[18:19], v[179:180]
	v_fma_f64 v[18:19], v[2:3], v[18:19], -v[20:21]
	v_add_f64_e32 v[20:21], v[16:17], v[14:15]
	v_add_f64_e32 v[165:166], v[165:166], v[167:168]
	ds_load_b128 v[2:5], v1 offset:1648
	ds_load_b128 v[14:17], v1 offset:1664
	v_fma_f64 v[159:160], v[159:160], v[22:23], v[169:170]
	v_fma_f64 v[22:23], v[157:158], v[22:23], -v[24:25]
	s_wait_loadcnt_dscnt 0x701
	v_mul_f64_e32 v[167:168], v[2:3], v[28:29]
	v_mul_f64_e32 v[28:29], v[4:5], v[28:29]
	s_wait_loadcnt_dscnt 0x600
	v_mul_f64_e32 v[24:25], v[14:15], v[32:33]
	v_mul_f64_e32 v[32:33], v[16:17], v[32:33]
	v_add_f64_e32 v[18:19], v[20:21], v[18:19]
	v_add_f64_e32 v[20:21], v[165:166], v[171:172]
	v_fma_f64 v[157:158], v[4:5], v[26:27], v[167:168]
	v_fma_f64 v[26:27], v[2:3], v[26:27], -v[28:29]
	v_fma_f64 v[16:17], v[16:17], v[30:31], v[24:25]
	v_fma_f64 v[14:15], v[14:15], v[30:31], -v[32:33]
	v_add_f64_e32 v[22:23], v[18:19], v[22:23]
	v_add_f64_e32 v[28:29], v[20:21], v[159:160]
	ds_load_b128 v[2:5], v1 offset:1680
	ds_load_b128 v[18:21], v1 offset:1696
	s_wait_loadcnt_dscnt 0x501
	v_mul_f64_e32 v[159:160], v[2:3], v[40:41]
	v_mul_f64_e32 v[40:41], v[4:5], v[40:41]
	v_add_f64_e32 v[22:23], v[22:23], v[26:27]
	v_add_f64_e32 v[24:25], v[28:29], v[157:158]
	s_wait_loadcnt_dscnt 0x300
	v_mul_f64_e32 v[26:27], v[18:19], v[163:164]
	v_mul_f64_e32 v[28:29], v[20:21], v[163:164]
	v_fma_f64 v[30:31], v[4:5], v[38:39], v[159:160]
	v_fma_f64 v[32:33], v[2:3], v[38:39], -v[40:41]
	v_add_f64_e32 v[22:23], v[22:23], v[14:15]
	v_add_f64_e32 v[24:25], v[24:25], v[16:17]
	ds_load_b128 v[2:5], v1 offset:1712
	ds_load_b128 v[14:17], v1 offset:1728
	v_fma_f64 v[20:21], v[20:21], v[161:162], v[26:27]
	v_fma_f64 v[18:19], v[18:19], v[161:162], -v[28:29]
	s_wait_loadcnt_dscnt 0x201
	v_mul_f64_e32 v[38:39], v[2:3], v[36:37]
	v_mul_f64_e32 v[36:37], v[4:5], v[36:37]
	v_add_f64_e32 v[22:23], v[22:23], v[32:33]
	v_add_f64_e32 v[24:25], v[24:25], v[30:31]
	s_wait_loadcnt_dscnt 0x100
	v_mul_f64_e32 v[26:27], v[14:15], v[8:9]
	v_mul_f64_e32 v[8:9], v[16:17], v[8:9]
	v_fma_f64 v[28:29], v[4:5], v[34:35], v[38:39]
	v_fma_f64 v[30:31], v[2:3], v[34:35], -v[36:37]
	ds_load_b128 v[2:5], v1 offset:1744
	v_add_f64_e32 v[18:19], v[22:23], v[18:19]
	v_add_f64_e32 v[20:21], v[24:25], v[20:21]
	s_wait_loadcnt_dscnt 0x0
	v_mul_f64_e32 v[22:23], v[2:3], v[12:13]
	v_mul_f64_e32 v[12:13], v[4:5], v[12:13]
	v_fma_f64 v[16:17], v[16:17], v[6:7], v[26:27]
	v_fma_f64 v[6:7], v[14:15], v[6:7], -v[8:9]
	v_add_f64_e32 v[8:9], v[18:19], v[30:31]
	v_add_f64_e32 v[14:15], v[20:21], v[28:29]
	v_fma_f64 v[4:5], v[4:5], v[10:11], v[22:23]
	v_fma_f64 v[2:3], v[2:3], v[10:11], -v[12:13]
	s_delay_alu instid0(VALU_DEP_4) | instskip(NEXT) | instid1(VALU_DEP_4)
	v_add_f64_e32 v[6:7], v[8:9], v[6:7]
	v_add_f64_e32 v[8:9], v[14:15], v[16:17]
	s_delay_alu instid0(VALU_DEP_2) | instskip(NEXT) | instid1(VALU_DEP_2)
	v_add_f64_e32 v[2:3], v[6:7], v[2:3]
	v_add_f64_e32 v[4:5], v[8:9], v[4:5]
	s_delay_alu instid0(VALU_DEP_2) | instskip(NEXT) | instid1(VALU_DEP_2)
	v_add_f64_e64 v[2:3], v[42:43], -v[2:3]
	v_add_f64_e64 v[4:5], v[44:45], -v[4:5]
	scratch_store_b128 off, v[2:5], off offset:672
	v_cmpx_lt_u32_e32 40, v0
	s_cbranch_execz .LBB54_263
; %bb.262:
	scratch_load_b128 v[5:8], off, s23
	v_dual_mov_b32 v2, v1 :: v_dual_mov_b32 v3, v1
	v_mov_b32_e32 v4, v1
	scratch_store_b128 off, v[1:4], off offset:656
	s_wait_loadcnt 0x0
	ds_store_b128 v156, v[5:8]
.LBB54_263:
	s_wait_alu 0xfffe
	s_or_b32 exec_lo, exec_lo, s0
	s_wait_storecnt_dscnt 0x0
	s_barrier_signal -1
	s_barrier_wait -1
	global_inv scope:SCOPE_SE
	s_clause 0x8
	scratch_load_b128 v[2:5], off, off offset:672
	scratch_load_b128 v[6:9], off, off offset:688
	;; [unrolled: 1-line block ×9, first 2 shown]
	ds_load_b128 v[38:41], v1 offset:1536
	ds_load_b128 v[42:45], v1 offset:1552
	s_clause 0x1
	scratch_load_b128 v[157:160], off, off offset:656
	scratch_load_b128 v[161:164], off, off offset:816
	s_mov_b32 s0, exec_lo
	s_wait_loadcnt_dscnt 0xa01
	v_mul_f64_e32 v[165:166], v[40:41], v[4:5]
	v_mul_f64_e32 v[4:5], v[38:39], v[4:5]
	s_wait_loadcnt_dscnt 0x900
	v_mul_f64_e32 v[169:170], v[42:43], v[8:9]
	v_mul_f64_e32 v[8:9], v[44:45], v[8:9]
	s_delay_alu instid0(VALU_DEP_4) | instskip(NEXT) | instid1(VALU_DEP_4)
	v_fma_f64 v[171:172], v[38:39], v[2:3], -v[165:166]
	v_fma_f64 v[173:174], v[40:41], v[2:3], v[4:5]
	ds_load_b128 v[2:5], v1 offset:1568
	ds_load_b128 v[165:168], v1 offset:1584
	scratch_load_b128 v[38:41], off, off offset:832
	v_fma_f64 v[44:45], v[44:45], v[6:7], v[169:170]
	v_fma_f64 v[42:43], v[42:43], v[6:7], -v[8:9]
	scratch_load_b128 v[6:9], off, off offset:848
	s_wait_loadcnt_dscnt 0xa01
	v_mul_f64_e32 v[175:176], v[2:3], v[12:13]
	v_mul_f64_e32 v[12:13], v[4:5], v[12:13]
	v_add_f64_e32 v[169:170], 0, v[171:172]
	v_add_f64_e32 v[171:172], 0, v[173:174]
	s_wait_loadcnt_dscnt 0x900
	v_mul_f64_e32 v[173:174], v[165:166], v[16:17]
	v_mul_f64_e32 v[16:17], v[167:168], v[16:17]
	v_fma_f64 v[175:176], v[4:5], v[10:11], v[175:176]
	v_fma_f64 v[177:178], v[2:3], v[10:11], -v[12:13]
	ds_load_b128 v[2:5], v1 offset:1600
	scratch_load_b128 v[10:13], off, off offset:864
	v_add_f64_e32 v[169:170], v[169:170], v[42:43]
	v_add_f64_e32 v[171:172], v[171:172], v[44:45]
	ds_load_b128 v[42:45], v1 offset:1616
	v_fma_f64 v[167:168], v[167:168], v[14:15], v[173:174]
	v_fma_f64 v[165:166], v[165:166], v[14:15], -v[16:17]
	scratch_load_b128 v[14:17], off, off offset:880
	s_wait_loadcnt_dscnt 0xa01
	v_mul_f64_e32 v[179:180], v[2:3], v[20:21]
	v_mul_f64_e32 v[20:21], v[4:5], v[20:21]
	s_wait_loadcnt_dscnt 0x900
	v_mul_f64_e32 v[173:174], v[42:43], v[24:25]
	v_mul_f64_e32 v[24:25], v[44:45], v[24:25]
	v_add_f64_e32 v[169:170], v[169:170], v[177:178]
	v_add_f64_e32 v[171:172], v[171:172], v[175:176]
	v_fma_f64 v[175:176], v[4:5], v[18:19], v[179:180]
	v_fma_f64 v[177:178], v[2:3], v[18:19], -v[20:21]
	ds_load_b128 v[2:5], v1 offset:1632
	ds_load_b128 v[18:21], v1 offset:1648
	v_fma_f64 v[44:45], v[44:45], v[22:23], v[173:174]
	v_fma_f64 v[22:23], v[42:43], v[22:23], -v[24:25]
	v_add_f64_e32 v[165:166], v[169:170], v[165:166]
	v_add_f64_e32 v[167:168], v[171:172], v[167:168]
	s_wait_loadcnt_dscnt 0x801
	v_mul_f64_e32 v[169:170], v[2:3], v[28:29]
	v_mul_f64_e32 v[28:29], v[4:5], v[28:29]
	s_delay_alu instid0(VALU_DEP_4) | instskip(NEXT) | instid1(VALU_DEP_4)
	v_add_f64_e32 v[24:25], v[165:166], v[177:178]
	v_add_f64_e32 v[42:43], v[167:168], v[175:176]
	s_wait_loadcnt_dscnt 0x700
	v_mul_f64_e32 v[165:166], v[18:19], v[32:33]
	v_mul_f64_e32 v[32:33], v[20:21], v[32:33]
	v_fma_f64 v[167:168], v[4:5], v[26:27], v[169:170]
	v_fma_f64 v[26:27], v[2:3], v[26:27], -v[28:29]
	v_add_f64_e32 v[28:29], v[24:25], v[22:23]
	v_add_f64_e32 v[42:43], v[42:43], v[44:45]
	ds_load_b128 v[2:5], v1 offset:1664
	ds_load_b128 v[22:25], v1 offset:1680
	v_fma_f64 v[20:21], v[20:21], v[30:31], v[165:166]
	v_fma_f64 v[18:19], v[18:19], v[30:31], -v[32:33]
	s_wait_loadcnt_dscnt 0x601
	v_mul_f64_e32 v[44:45], v[2:3], v[36:37]
	v_mul_f64_e32 v[36:37], v[4:5], v[36:37]
	s_wait_loadcnt_dscnt 0x400
	v_mul_f64_e32 v[30:31], v[22:23], v[163:164]
	v_mul_f64_e32 v[32:33], v[24:25], v[163:164]
	v_add_f64_e32 v[26:27], v[28:29], v[26:27]
	v_add_f64_e32 v[28:29], v[42:43], v[167:168]
	v_fma_f64 v[42:43], v[4:5], v[34:35], v[44:45]
	v_fma_f64 v[34:35], v[2:3], v[34:35], -v[36:37]
	v_fma_f64 v[24:25], v[24:25], v[161:162], v[30:31]
	v_fma_f64 v[22:23], v[22:23], v[161:162], -v[32:33]
	v_add_f64_e32 v[26:27], v[26:27], v[18:19]
	v_add_f64_e32 v[28:29], v[28:29], v[20:21]
	ds_load_b128 v[2:5], v1 offset:1696
	ds_load_b128 v[18:21], v1 offset:1712
	s_wait_loadcnt_dscnt 0x301
	v_mul_f64_e32 v[36:37], v[2:3], v[40:41]
	v_mul_f64_e32 v[40:41], v[4:5], v[40:41]
	s_wait_loadcnt_dscnt 0x200
	v_mul_f64_e32 v[30:31], v[18:19], v[8:9]
	v_mul_f64_e32 v[8:9], v[20:21], v[8:9]
	v_add_f64_e32 v[26:27], v[26:27], v[34:35]
	v_add_f64_e32 v[28:29], v[28:29], v[42:43]
	v_fma_f64 v[32:33], v[4:5], v[38:39], v[36:37]
	v_fma_f64 v[34:35], v[2:3], v[38:39], -v[40:41]
	v_fma_f64 v[20:21], v[20:21], v[6:7], v[30:31]
	v_fma_f64 v[6:7], v[18:19], v[6:7], -v[8:9]
	v_add_f64_e32 v[26:27], v[26:27], v[22:23]
	v_add_f64_e32 v[28:29], v[28:29], v[24:25]
	ds_load_b128 v[2:5], v1 offset:1728
	ds_load_b128 v[22:25], v1 offset:1744
	s_wait_loadcnt_dscnt 0x101
	v_mul_f64_e32 v[36:37], v[2:3], v[12:13]
	v_mul_f64_e32 v[12:13], v[4:5], v[12:13]
	v_add_f64_e32 v[8:9], v[26:27], v[34:35]
	v_add_f64_e32 v[18:19], v[28:29], v[32:33]
	s_wait_loadcnt_dscnt 0x0
	v_mul_f64_e32 v[26:27], v[22:23], v[16:17]
	v_mul_f64_e32 v[16:17], v[24:25], v[16:17]
	v_fma_f64 v[4:5], v[4:5], v[10:11], v[36:37]
	v_fma_f64 v[1:2], v[2:3], v[10:11], -v[12:13]
	v_add_f64_e32 v[6:7], v[8:9], v[6:7]
	v_add_f64_e32 v[8:9], v[18:19], v[20:21]
	v_fma_f64 v[10:11], v[24:25], v[14:15], v[26:27]
	v_fma_f64 v[12:13], v[22:23], v[14:15], -v[16:17]
	s_delay_alu instid0(VALU_DEP_4) | instskip(NEXT) | instid1(VALU_DEP_4)
	v_add_f64_e32 v[1:2], v[6:7], v[1:2]
	v_add_f64_e32 v[3:4], v[8:9], v[4:5]
	s_delay_alu instid0(VALU_DEP_2) | instskip(NEXT) | instid1(VALU_DEP_2)
	v_add_f64_e32 v[1:2], v[1:2], v[12:13]
	v_add_f64_e32 v[3:4], v[3:4], v[10:11]
	s_delay_alu instid0(VALU_DEP_2) | instskip(NEXT) | instid1(VALU_DEP_2)
	v_add_f64_e64 v[1:2], v[157:158], -v[1:2]
	v_add_f64_e64 v[3:4], v[159:160], -v[3:4]
	scratch_store_b128 off, v[1:4], off offset:656
	v_cmpx_lt_u32_e32 39, v0
	s_cbranch_execz .LBB54_265
; %bb.264:
	scratch_load_b128 v[1:4], off, s25
	v_mov_b32_e32 v5, 0
	s_delay_alu instid0(VALU_DEP_1)
	v_dual_mov_b32 v6, v5 :: v_dual_mov_b32 v7, v5
	v_mov_b32_e32 v8, v5
	scratch_store_b128 off, v[5:8], off offset:640
	s_wait_loadcnt 0x0
	ds_store_b128 v156, v[1:4]
.LBB54_265:
	s_wait_alu 0xfffe
	s_or_b32 exec_lo, exec_lo, s0
	s_wait_storecnt_dscnt 0x0
	s_barrier_signal -1
	s_barrier_wait -1
	global_inv scope:SCOPE_SE
	s_clause 0x7
	scratch_load_b128 v[2:5], off, off offset:656
	scratch_load_b128 v[6:9], off, off offset:672
	;; [unrolled: 1-line block ×8, first 2 shown]
	v_mov_b32_e32 v1, 0
	s_mov_b32 s0, exec_lo
	ds_load_b128 v[34:37], v1 offset:1520
	s_clause 0x1
	scratch_load_b128 v[38:41], off, off offset:784
	scratch_load_b128 v[42:45], off, off offset:640
	ds_load_b128 v[157:160], v1 offset:1536
	scratch_load_b128 v[161:164], off, off offset:800
	s_wait_loadcnt_dscnt 0xa01
	v_mul_f64_e32 v[165:166], v[36:37], v[4:5]
	v_mul_f64_e32 v[4:5], v[34:35], v[4:5]
	s_delay_alu instid0(VALU_DEP_2) | instskip(NEXT) | instid1(VALU_DEP_2)
	v_fma_f64 v[171:172], v[34:35], v[2:3], -v[165:166]
	v_fma_f64 v[173:174], v[36:37], v[2:3], v[4:5]
	ds_load_b128 v[2:5], v1 offset:1552
	s_wait_loadcnt_dscnt 0x901
	v_mul_f64_e32 v[169:170], v[157:158], v[8:9]
	v_mul_f64_e32 v[8:9], v[159:160], v[8:9]
	scratch_load_b128 v[34:37], off, off offset:816
	ds_load_b128 v[165:168], v1 offset:1568
	s_wait_loadcnt_dscnt 0x901
	v_mul_f64_e32 v[175:176], v[2:3], v[12:13]
	v_mul_f64_e32 v[12:13], v[4:5], v[12:13]
	v_fma_f64 v[159:160], v[159:160], v[6:7], v[169:170]
	v_fma_f64 v[157:158], v[157:158], v[6:7], -v[8:9]
	v_add_f64_e32 v[169:170], 0, v[171:172]
	v_add_f64_e32 v[171:172], 0, v[173:174]
	scratch_load_b128 v[6:9], off, off offset:832
	v_fma_f64 v[175:176], v[4:5], v[10:11], v[175:176]
	v_fma_f64 v[177:178], v[2:3], v[10:11], -v[12:13]
	ds_load_b128 v[2:5], v1 offset:1584
	s_wait_loadcnt_dscnt 0x901
	v_mul_f64_e32 v[173:174], v[165:166], v[16:17]
	v_mul_f64_e32 v[16:17], v[167:168], v[16:17]
	scratch_load_b128 v[10:13], off, off offset:848
	v_add_f64_e32 v[169:170], v[169:170], v[157:158]
	v_add_f64_e32 v[171:172], v[171:172], v[159:160]
	s_wait_loadcnt_dscnt 0x900
	v_mul_f64_e32 v[179:180], v[2:3], v[20:21]
	v_mul_f64_e32 v[20:21], v[4:5], v[20:21]
	ds_load_b128 v[157:160], v1 offset:1600
	v_fma_f64 v[167:168], v[167:168], v[14:15], v[173:174]
	v_fma_f64 v[165:166], v[165:166], v[14:15], -v[16:17]
	scratch_load_b128 v[14:17], off, off offset:864
	v_add_f64_e32 v[169:170], v[169:170], v[177:178]
	v_add_f64_e32 v[171:172], v[171:172], v[175:176]
	v_fma_f64 v[175:176], v[4:5], v[18:19], v[179:180]
	v_fma_f64 v[177:178], v[2:3], v[18:19], -v[20:21]
	ds_load_b128 v[2:5], v1 offset:1616
	s_wait_loadcnt_dscnt 0x901
	v_mul_f64_e32 v[173:174], v[157:158], v[24:25]
	v_mul_f64_e32 v[24:25], v[159:160], v[24:25]
	scratch_load_b128 v[18:21], off, off offset:880
	s_wait_loadcnt_dscnt 0x900
	v_mul_f64_e32 v[179:180], v[2:3], v[28:29]
	v_mul_f64_e32 v[28:29], v[4:5], v[28:29]
	v_add_f64_e32 v[169:170], v[169:170], v[165:166]
	v_add_f64_e32 v[171:172], v[171:172], v[167:168]
	ds_load_b128 v[165:168], v1 offset:1632
	v_fma_f64 v[159:160], v[159:160], v[22:23], v[173:174]
	v_fma_f64 v[22:23], v[157:158], v[22:23], -v[24:25]
	v_add_f64_e32 v[24:25], v[169:170], v[177:178]
	v_add_f64_e32 v[157:158], v[171:172], v[175:176]
	s_wait_loadcnt_dscnt 0x800
	v_mul_f64_e32 v[169:170], v[165:166], v[32:33]
	v_mul_f64_e32 v[32:33], v[167:168], v[32:33]
	v_fma_f64 v[171:172], v[4:5], v[26:27], v[179:180]
	v_fma_f64 v[26:27], v[2:3], v[26:27], -v[28:29]
	v_add_f64_e32 v[28:29], v[24:25], v[22:23]
	v_add_f64_e32 v[157:158], v[157:158], v[159:160]
	ds_load_b128 v[2:5], v1 offset:1648
	ds_load_b128 v[22:25], v1 offset:1664
	v_fma_f64 v[167:168], v[167:168], v[30:31], v[169:170]
	v_fma_f64 v[30:31], v[165:166], v[30:31], -v[32:33]
	s_wait_loadcnt_dscnt 0x701
	v_mul_f64_e32 v[159:160], v[2:3], v[40:41]
	v_mul_f64_e32 v[40:41], v[4:5], v[40:41]
	s_wait_loadcnt_dscnt 0x500
	v_mul_f64_e32 v[32:33], v[22:23], v[163:164]
	v_add_f64_e32 v[26:27], v[28:29], v[26:27]
	v_add_f64_e32 v[28:29], v[157:158], v[171:172]
	v_mul_f64_e32 v[157:158], v[24:25], v[163:164]
	v_fma_f64 v[159:160], v[4:5], v[38:39], v[159:160]
	v_fma_f64 v[38:39], v[2:3], v[38:39], -v[40:41]
	v_fma_f64 v[24:25], v[24:25], v[161:162], v[32:33]
	v_add_f64_e32 v[30:31], v[26:27], v[30:31]
	v_add_f64_e32 v[40:41], v[28:29], v[167:168]
	ds_load_b128 v[2:5], v1 offset:1680
	ds_load_b128 v[26:29], v1 offset:1696
	v_fma_f64 v[22:23], v[22:23], v[161:162], -v[157:158]
	s_wait_loadcnt_dscnt 0x401
	v_mul_f64_e32 v[163:164], v[2:3], v[36:37]
	v_mul_f64_e32 v[36:37], v[4:5], v[36:37]
	v_add_f64_e32 v[30:31], v[30:31], v[38:39]
	v_add_f64_e32 v[32:33], v[40:41], v[159:160]
	s_wait_loadcnt_dscnt 0x300
	v_mul_f64_e32 v[38:39], v[26:27], v[8:9]
	v_mul_f64_e32 v[8:9], v[28:29], v[8:9]
	v_fma_f64 v[40:41], v[4:5], v[34:35], v[163:164]
	v_fma_f64 v[34:35], v[2:3], v[34:35], -v[36:37]
	v_add_f64_e32 v[30:31], v[30:31], v[22:23]
	v_add_f64_e32 v[32:33], v[32:33], v[24:25]
	ds_load_b128 v[2:5], v1 offset:1712
	ds_load_b128 v[22:25], v1 offset:1728
	v_fma_f64 v[28:29], v[28:29], v[6:7], v[38:39]
	v_fma_f64 v[6:7], v[26:27], v[6:7], -v[8:9]
	s_wait_loadcnt_dscnt 0x201
	v_mul_f64_e32 v[36:37], v[2:3], v[12:13]
	v_mul_f64_e32 v[12:13], v[4:5], v[12:13]
	v_add_f64_e32 v[8:9], v[30:31], v[34:35]
	v_add_f64_e32 v[26:27], v[32:33], v[40:41]
	s_wait_loadcnt_dscnt 0x100
	v_mul_f64_e32 v[30:31], v[22:23], v[16:17]
	v_mul_f64_e32 v[16:17], v[24:25], v[16:17]
	v_fma_f64 v[32:33], v[4:5], v[10:11], v[36:37]
	v_fma_f64 v[10:11], v[2:3], v[10:11], -v[12:13]
	ds_load_b128 v[2:5], v1 offset:1744
	v_add_f64_e32 v[6:7], v[8:9], v[6:7]
	v_add_f64_e32 v[8:9], v[26:27], v[28:29]
	v_fma_f64 v[24:25], v[24:25], v[14:15], v[30:31]
	v_fma_f64 v[14:15], v[22:23], v[14:15], -v[16:17]
	s_wait_loadcnt_dscnt 0x0
	v_mul_f64_e32 v[12:13], v[2:3], v[20:21]
	v_mul_f64_e32 v[20:21], v[4:5], v[20:21]
	v_add_f64_e32 v[6:7], v[6:7], v[10:11]
	v_add_f64_e32 v[8:9], v[8:9], v[32:33]
	s_delay_alu instid0(VALU_DEP_4) | instskip(NEXT) | instid1(VALU_DEP_4)
	v_fma_f64 v[4:5], v[4:5], v[18:19], v[12:13]
	v_fma_f64 v[2:3], v[2:3], v[18:19], -v[20:21]
	s_delay_alu instid0(VALU_DEP_4) | instskip(NEXT) | instid1(VALU_DEP_4)
	v_add_f64_e32 v[6:7], v[6:7], v[14:15]
	v_add_f64_e32 v[8:9], v[8:9], v[24:25]
	s_delay_alu instid0(VALU_DEP_2) | instskip(NEXT) | instid1(VALU_DEP_2)
	v_add_f64_e32 v[2:3], v[6:7], v[2:3]
	v_add_f64_e32 v[4:5], v[8:9], v[4:5]
	s_delay_alu instid0(VALU_DEP_2) | instskip(NEXT) | instid1(VALU_DEP_2)
	v_add_f64_e64 v[2:3], v[42:43], -v[2:3]
	v_add_f64_e64 v[4:5], v[44:45], -v[4:5]
	scratch_store_b128 off, v[2:5], off offset:640
	v_cmpx_lt_u32_e32 38, v0
	s_cbranch_execz .LBB54_267
; %bb.266:
	scratch_load_b128 v[5:8], off, s29
	v_dual_mov_b32 v2, v1 :: v_dual_mov_b32 v3, v1
	v_mov_b32_e32 v4, v1
	scratch_store_b128 off, v[1:4], off offset:624
	s_wait_loadcnt 0x0
	ds_store_b128 v156, v[5:8]
.LBB54_267:
	s_wait_alu 0xfffe
	s_or_b32 exec_lo, exec_lo, s0
	s_wait_storecnt_dscnt 0x0
	s_barrier_signal -1
	s_barrier_wait -1
	global_inv scope:SCOPE_SE
	s_clause 0x8
	scratch_load_b128 v[2:5], off, off offset:640
	scratch_load_b128 v[6:9], off, off offset:656
	;; [unrolled: 1-line block ×9, first 2 shown]
	ds_load_b128 v[38:41], v1 offset:1504
	ds_load_b128 v[42:45], v1 offset:1520
	s_clause 0x1
	scratch_load_b128 v[157:160], off, off offset:624
	scratch_load_b128 v[161:164], off, off offset:784
	s_mov_b32 s0, exec_lo
	s_wait_loadcnt_dscnt 0xa01
	v_mul_f64_e32 v[165:166], v[40:41], v[4:5]
	v_mul_f64_e32 v[4:5], v[38:39], v[4:5]
	s_wait_loadcnt_dscnt 0x900
	v_mul_f64_e32 v[169:170], v[42:43], v[8:9]
	v_mul_f64_e32 v[8:9], v[44:45], v[8:9]
	s_delay_alu instid0(VALU_DEP_4) | instskip(NEXT) | instid1(VALU_DEP_4)
	v_fma_f64 v[171:172], v[38:39], v[2:3], -v[165:166]
	v_fma_f64 v[173:174], v[40:41], v[2:3], v[4:5]
	ds_load_b128 v[2:5], v1 offset:1536
	ds_load_b128 v[165:168], v1 offset:1552
	scratch_load_b128 v[38:41], off, off offset:800
	v_fma_f64 v[44:45], v[44:45], v[6:7], v[169:170]
	v_fma_f64 v[42:43], v[42:43], v[6:7], -v[8:9]
	scratch_load_b128 v[6:9], off, off offset:816
	s_wait_loadcnt_dscnt 0xa01
	v_mul_f64_e32 v[175:176], v[2:3], v[12:13]
	v_mul_f64_e32 v[12:13], v[4:5], v[12:13]
	v_add_f64_e32 v[169:170], 0, v[171:172]
	v_add_f64_e32 v[171:172], 0, v[173:174]
	s_wait_loadcnt_dscnt 0x900
	v_mul_f64_e32 v[173:174], v[165:166], v[16:17]
	v_mul_f64_e32 v[16:17], v[167:168], v[16:17]
	v_fma_f64 v[175:176], v[4:5], v[10:11], v[175:176]
	v_fma_f64 v[177:178], v[2:3], v[10:11], -v[12:13]
	ds_load_b128 v[2:5], v1 offset:1568
	scratch_load_b128 v[10:13], off, off offset:832
	v_add_f64_e32 v[169:170], v[169:170], v[42:43]
	v_add_f64_e32 v[171:172], v[171:172], v[44:45]
	ds_load_b128 v[42:45], v1 offset:1584
	v_fma_f64 v[167:168], v[167:168], v[14:15], v[173:174]
	v_fma_f64 v[165:166], v[165:166], v[14:15], -v[16:17]
	scratch_load_b128 v[14:17], off, off offset:848
	s_wait_loadcnt_dscnt 0xa01
	v_mul_f64_e32 v[179:180], v[2:3], v[20:21]
	v_mul_f64_e32 v[20:21], v[4:5], v[20:21]
	s_wait_loadcnt_dscnt 0x900
	v_mul_f64_e32 v[173:174], v[42:43], v[24:25]
	v_mul_f64_e32 v[24:25], v[44:45], v[24:25]
	v_add_f64_e32 v[169:170], v[169:170], v[177:178]
	v_add_f64_e32 v[171:172], v[171:172], v[175:176]
	v_fma_f64 v[175:176], v[4:5], v[18:19], v[179:180]
	v_fma_f64 v[177:178], v[2:3], v[18:19], -v[20:21]
	ds_load_b128 v[2:5], v1 offset:1600
	scratch_load_b128 v[18:21], off, off offset:864
	v_fma_f64 v[44:45], v[44:45], v[22:23], v[173:174]
	v_fma_f64 v[42:43], v[42:43], v[22:23], -v[24:25]
	scratch_load_b128 v[22:25], off, off offset:880
	v_add_f64_e32 v[169:170], v[169:170], v[165:166]
	v_add_f64_e32 v[171:172], v[171:172], v[167:168]
	ds_load_b128 v[165:168], v1 offset:1616
	s_wait_loadcnt_dscnt 0xa01
	v_mul_f64_e32 v[179:180], v[2:3], v[28:29]
	v_mul_f64_e32 v[28:29], v[4:5], v[28:29]
	s_wait_loadcnt_dscnt 0x900
	v_mul_f64_e32 v[173:174], v[165:166], v[32:33]
	v_mul_f64_e32 v[32:33], v[167:168], v[32:33]
	v_add_f64_e32 v[169:170], v[169:170], v[177:178]
	v_add_f64_e32 v[171:172], v[171:172], v[175:176]
	v_fma_f64 v[175:176], v[4:5], v[26:27], v[179:180]
	v_fma_f64 v[177:178], v[2:3], v[26:27], -v[28:29]
	ds_load_b128 v[2:5], v1 offset:1632
	ds_load_b128 v[26:29], v1 offset:1648
	v_fma_f64 v[167:168], v[167:168], v[30:31], v[173:174]
	v_fma_f64 v[30:31], v[165:166], v[30:31], -v[32:33]
	v_add_f64_e32 v[42:43], v[169:170], v[42:43]
	v_add_f64_e32 v[44:45], v[171:172], v[44:45]
	s_wait_loadcnt_dscnt 0x801
	v_mul_f64_e32 v[169:170], v[2:3], v[36:37]
	v_mul_f64_e32 v[36:37], v[4:5], v[36:37]
	s_delay_alu instid0(VALU_DEP_4) | instskip(NEXT) | instid1(VALU_DEP_4)
	v_add_f64_e32 v[32:33], v[42:43], v[177:178]
	v_add_f64_e32 v[42:43], v[44:45], v[175:176]
	s_wait_loadcnt_dscnt 0x600
	v_mul_f64_e32 v[44:45], v[26:27], v[163:164]
	v_mul_f64_e32 v[163:164], v[28:29], v[163:164]
	v_fma_f64 v[165:166], v[4:5], v[34:35], v[169:170]
	v_fma_f64 v[34:35], v[2:3], v[34:35], -v[36:37]
	v_add_f64_e32 v[36:37], v[32:33], v[30:31]
	v_add_f64_e32 v[42:43], v[42:43], v[167:168]
	ds_load_b128 v[2:5], v1 offset:1664
	ds_load_b128 v[30:33], v1 offset:1680
	v_fma_f64 v[28:29], v[28:29], v[161:162], v[44:45]
	v_fma_f64 v[26:27], v[26:27], v[161:162], -v[163:164]
	s_wait_loadcnt_dscnt 0x501
	v_mul_f64_e32 v[167:168], v[2:3], v[40:41]
	v_mul_f64_e32 v[40:41], v[4:5], v[40:41]
	v_add_f64_e32 v[34:35], v[36:37], v[34:35]
	v_add_f64_e32 v[36:37], v[42:43], v[165:166]
	s_wait_loadcnt_dscnt 0x400
	v_mul_f64_e32 v[42:43], v[30:31], v[8:9]
	v_mul_f64_e32 v[8:9], v[32:33], v[8:9]
	v_fma_f64 v[44:45], v[4:5], v[38:39], v[167:168]
	v_fma_f64 v[38:39], v[2:3], v[38:39], -v[40:41]
	v_add_f64_e32 v[34:35], v[34:35], v[26:27]
	v_add_f64_e32 v[36:37], v[36:37], v[28:29]
	ds_load_b128 v[2:5], v1 offset:1696
	ds_load_b128 v[26:29], v1 offset:1712
	v_fma_f64 v[32:33], v[32:33], v[6:7], v[42:43]
	v_fma_f64 v[6:7], v[30:31], v[6:7], -v[8:9]
	s_wait_loadcnt_dscnt 0x301
	v_mul_f64_e32 v[40:41], v[2:3], v[12:13]
	v_mul_f64_e32 v[12:13], v[4:5], v[12:13]
	;; [unrolled: 16-line block ×3, first 2 shown]
	s_wait_loadcnt_dscnt 0x0
	v_mul_f64_e32 v[16:17], v[6:7], v[24:25]
	v_mul_f64_e32 v[24:25], v[8:9], v[24:25]
	v_add_f64_e32 v[10:11], v[12:13], v[10:11]
	v_add_f64_e32 v[12:13], v[30:31], v[36:37]
	v_fma_f64 v[4:5], v[4:5], v[18:19], v[32:33]
	v_fma_f64 v[1:2], v[2:3], v[18:19], -v[20:21]
	v_fma_f64 v[8:9], v[8:9], v[22:23], v[16:17]
	v_fma_f64 v[6:7], v[6:7], v[22:23], -v[24:25]
	v_add_f64_e32 v[10:11], v[10:11], v[14:15]
	v_add_f64_e32 v[12:13], v[12:13], v[28:29]
	s_delay_alu instid0(VALU_DEP_2) | instskip(NEXT) | instid1(VALU_DEP_2)
	v_add_f64_e32 v[1:2], v[10:11], v[1:2]
	v_add_f64_e32 v[3:4], v[12:13], v[4:5]
	s_delay_alu instid0(VALU_DEP_2) | instskip(NEXT) | instid1(VALU_DEP_2)
	;; [unrolled: 3-line block ×3, first 2 shown]
	v_add_f64_e64 v[1:2], v[157:158], -v[1:2]
	v_add_f64_e64 v[3:4], v[159:160], -v[3:4]
	scratch_store_b128 off, v[1:4], off offset:624
	v_cmpx_lt_u32_e32 37, v0
	s_cbranch_execz .LBB54_269
; %bb.268:
	scratch_load_b128 v[1:4], off, s30
	v_mov_b32_e32 v5, 0
	s_delay_alu instid0(VALU_DEP_1)
	v_dual_mov_b32 v6, v5 :: v_dual_mov_b32 v7, v5
	v_mov_b32_e32 v8, v5
	scratch_store_b128 off, v[5:8], off offset:608
	s_wait_loadcnt 0x0
	ds_store_b128 v156, v[1:4]
.LBB54_269:
	s_wait_alu 0xfffe
	s_or_b32 exec_lo, exec_lo, s0
	s_wait_storecnt_dscnt 0x0
	s_barrier_signal -1
	s_barrier_wait -1
	global_inv scope:SCOPE_SE
	s_clause 0x7
	scratch_load_b128 v[2:5], off, off offset:624
	scratch_load_b128 v[6:9], off, off offset:640
	;; [unrolled: 1-line block ×8, first 2 shown]
	v_mov_b32_e32 v1, 0
	s_mov_b32 s0, exec_lo
	ds_load_b128 v[34:37], v1 offset:1488
	s_clause 0x1
	scratch_load_b128 v[38:41], off, off offset:752
	scratch_load_b128 v[42:45], off, off offset:608
	ds_load_b128 v[157:160], v1 offset:1504
	scratch_load_b128 v[161:164], off, off offset:768
	s_wait_loadcnt_dscnt 0xa01
	v_mul_f64_e32 v[165:166], v[36:37], v[4:5]
	v_mul_f64_e32 v[4:5], v[34:35], v[4:5]
	s_delay_alu instid0(VALU_DEP_2) | instskip(NEXT) | instid1(VALU_DEP_2)
	v_fma_f64 v[171:172], v[34:35], v[2:3], -v[165:166]
	v_fma_f64 v[173:174], v[36:37], v[2:3], v[4:5]
	ds_load_b128 v[2:5], v1 offset:1520
	s_wait_loadcnt_dscnt 0x901
	v_mul_f64_e32 v[169:170], v[157:158], v[8:9]
	v_mul_f64_e32 v[8:9], v[159:160], v[8:9]
	scratch_load_b128 v[34:37], off, off offset:784
	ds_load_b128 v[165:168], v1 offset:1536
	s_wait_loadcnt_dscnt 0x901
	v_mul_f64_e32 v[175:176], v[2:3], v[12:13]
	v_mul_f64_e32 v[12:13], v[4:5], v[12:13]
	v_fma_f64 v[159:160], v[159:160], v[6:7], v[169:170]
	v_fma_f64 v[157:158], v[157:158], v[6:7], -v[8:9]
	v_add_f64_e32 v[169:170], 0, v[171:172]
	v_add_f64_e32 v[171:172], 0, v[173:174]
	scratch_load_b128 v[6:9], off, off offset:800
	v_fma_f64 v[175:176], v[4:5], v[10:11], v[175:176]
	v_fma_f64 v[177:178], v[2:3], v[10:11], -v[12:13]
	ds_load_b128 v[2:5], v1 offset:1552
	s_wait_loadcnt_dscnt 0x901
	v_mul_f64_e32 v[173:174], v[165:166], v[16:17]
	v_mul_f64_e32 v[16:17], v[167:168], v[16:17]
	scratch_load_b128 v[10:13], off, off offset:816
	v_add_f64_e32 v[169:170], v[169:170], v[157:158]
	v_add_f64_e32 v[171:172], v[171:172], v[159:160]
	s_wait_loadcnt_dscnt 0x900
	v_mul_f64_e32 v[179:180], v[2:3], v[20:21]
	v_mul_f64_e32 v[20:21], v[4:5], v[20:21]
	ds_load_b128 v[157:160], v1 offset:1568
	v_fma_f64 v[167:168], v[167:168], v[14:15], v[173:174]
	v_fma_f64 v[165:166], v[165:166], v[14:15], -v[16:17]
	scratch_load_b128 v[14:17], off, off offset:832
	v_add_f64_e32 v[169:170], v[169:170], v[177:178]
	v_add_f64_e32 v[171:172], v[171:172], v[175:176]
	v_fma_f64 v[175:176], v[4:5], v[18:19], v[179:180]
	v_fma_f64 v[177:178], v[2:3], v[18:19], -v[20:21]
	ds_load_b128 v[2:5], v1 offset:1584
	s_wait_loadcnt_dscnt 0x901
	v_mul_f64_e32 v[173:174], v[157:158], v[24:25]
	v_mul_f64_e32 v[24:25], v[159:160], v[24:25]
	scratch_load_b128 v[18:21], off, off offset:848
	s_wait_loadcnt_dscnt 0x900
	v_mul_f64_e32 v[179:180], v[2:3], v[28:29]
	v_mul_f64_e32 v[28:29], v[4:5], v[28:29]
	v_add_f64_e32 v[169:170], v[169:170], v[165:166]
	v_add_f64_e32 v[171:172], v[171:172], v[167:168]
	ds_load_b128 v[165:168], v1 offset:1600
	v_fma_f64 v[159:160], v[159:160], v[22:23], v[173:174]
	v_fma_f64 v[157:158], v[157:158], v[22:23], -v[24:25]
	scratch_load_b128 v[22:25], off, off offset:864
	v_add_f64_e32 v[169:170], v[169:170], v[177:178]
	v_add_f64_e32 v[171:172], v[171:172], v[175:176]
	v_fma_f64 v[175:176], v[4:5], v[26:27], v[179:180]
	v_fma_f64 v[177:178], v[2:3], v[26:27], -v[28:29]
	ds_load_b128 v[2:5], v1 offset:1616
	s_wait_loadcnt_dscnt 0x901
	v_mul_f64_e32 v[173:174], v[165:166], v[32:33]
	v_mul_f64_e32 v[32:33], v[167:168], v[32:33]
	scratch_load_b128 v[26:29], off, off offset:880
	s_wait_loadcnt_dscnt 0x900
	v_mul_f64_e32 v[179:180], v[2:3], v[40:41]
	v_mul_f64_e32 v[40:41], v[4:5], v[40:41]
	v_add_f64_e32 v[169:170], v[169:170], v[157:158]
	v_add_f64_e32 v[171:172], v[171:172], v[159:160]
	ds_load_b128 v[157:160], v1 offset:1632
	v_fma_f64 v[167:168], v[167:168], v[30:31], v[173:174]
	v_fma_f64 v[30:31], v[165:166], v[30:31], -v[32:33]
	v_add_f64_e32 v[32:33], v[169:170], v[177:178]
	v_add_f64_e32 v[165:166], v[171:172], v[175:176]
	s_wait_loadcnt_dscnt 0x700
	v_mul_f64_e32 v[169:170], v[157:158], v[163:164]
	v_mul_f64_e32 v[163:164], v[159:160], v[163:164]
	v_fma_f64 v[171:172], v[4:5], v[38:39], v[179:180]
	v_fma_f64 v[38:39], v[2:3], v[38:39], -v[40:41]
	v_add_f64_e32 v[40:41], v[32:33], v[30:31]
	v_add_f64_e32 v[165:166], v[165:166], v[167:168]
	ds_load_b128 v[2:5], v1 offset:1648
	ds_load_b128 v[30:33], v1 offset:1664
	v_fma_f64 v[159:160], v[159:160], v[161:162], v[169:170]
	v_fma_f64 v[157:158], v[157:158], v[161:162], -v[163:164]
	s_wait_loadcnt_dscnt 0x601
	v_mul_f64_e32 v[167:168], v[2:3], v[36:37]
	v_mul_f64_e32 v[36:37], v[4:5], v[36:37]
	v_add_f64_e32 v[38:39], v[40:41], v[38:39]
	v_add_f64_e32 v[40:41], v[165:166], v[171:172]
	s_wait_loadcnt_dscnt 0x500
	v_mul_f64_e32 v[161:162], v[30:31], v[8:9]
	v_mul_f64_e32 v[8:9], v[32:33], v[8:9]
	v_fma_f64 v[163:164], v[4:5], v[34:35], v[167:168]
	v_fma_f64 v[165:166], v[2:3], v[34:35], -v[36:37]
	ds_load_b128 v[2:5], v1 offset:1680
	ds_load_b128 v[34:37], v1 offset:1696
	v_add_f64_e32 v[38:39], v[38:39], v[157:158]
	v_add_f64_e32 v[40:41], v[40:41], v[159:160]
	s_wait_loadcnt_dscnt 0x401
	v_mul_f64_e32 v[157:158], v[2:3], v[12:13]
	v_mul_f64_e32 v[12:13], v[4:5], v[12:13]
	v_fma_f64 v[32:33], v[32:33], v[6:7], v[161:162]
	v_fma_f64 v[6:7], v[30:31], v[6:7], -v[8:9]
	v_add_f64_e32 v[8:9], v[38:39], v[165:166]
	v_add_f64_e32 v[30:31], v[40:41], v[163:164]
	s_wait_loadcnt_dscnt 0x300
	v_mul_f64_e32 v[38:39], v[34:35], v[16:17]
	v_mul_f64_e32 v[16:17], v[36:37], v[16:17]
	v_fma_f64 v[40:41], v[4:5], v[10:11], v[157:158]
	v_fma_f64 v[10:11], v[2:3], v[10:11], -v[12:13]
	v_add_f64_e32 v[12:13], v[8:9], v[6:7]
	v_add_f64_e32 v[30:31], v[30:31], v[32:33]
	ds_load_b128 v[2:5], v1 offset:1712
	ds_load_b128 v[6:9], v1 offset:1728
	v_fma_f64 v[36:37], v[36:37], v[14:15], v[38:39]
	v_fma_f64 v[14:15], v[34:35], v[14:15], -v[16:17]
	s_wait_loadcnt_dscnt 0x201
	v_mul_f64_e32 v[32:33], v[2:3], v[20:21]
	v_mul_f64_e32 v[20:21], v[4:5], v[20:21]
	s_wait_loadcnt_dscnt 0x100
	v_mul_f64_e32 v[16:17], v[6:7], v[24:25]
	v_mul_f64_e32 v[24:25], v[8:9], v[24:25]
	v_add_f64_e32 v[10:11], v[12:13], v[10:11]
	v_add_f64_e32 v[12:13], v[30:31], v[40:41]
	v_fma_f64 v[30:31], v[4:5], v[18:19], v[32:33]
	v_fma_f64 v[18:19], v[2:3], v[18:19], -v[20:21]
	ds_load_b128 v[2:5], v1 offset:1744
	v_fma_f64 v[8:9], v[8:9], v[22:23], v[16:17]
	v_fma_f64 v[6:7], v[6:7], v[22:23], -v[24:25]
	v_add_f64_e32 v[10:11], v[10:11], v[14:15]
	v_add_f64_e32 v[12:13], v[12:13], v[36:37]
	s_wait_loadcnt_dscnt 0x0
	v_mul_f64_e32 v[14:15], v[2:3], v[28:29]
	v_mul_f64_e32 v[20:21], v[4:5], v[28:29]
	s_delay_alu instid0(VALU_DEP_4) | instskip(NEXT) | instid1(VALU_DEP_4)
	v_add_f64_e32 v[10:11], v[10:11], v[18:19]
	v_add_f64_e32 v[12:13], v[12:13], v[30:31]
	s_delay_alu instid0(VALU_DEP_4) | instskip(NEXT) | instid1(VALU_DEP_4)
	v_fma_f64 v[4:5], v[4:5], v[26:27], v[14:15]
	v_fma_f64 v[2:3], v[2:3], v[26:27], -v[20:21]
	s_delay_alu instid0(VALU_DEP_4) | instskip(NEXT) | instid1(VALU_DEP_4)
	v_add_f64_e32 v[6:7], v[10:11], v[6:7]
	v_add_f64_e32 v[8:9], v[12:13], v[8:9]
	s_delay_alu instid0(VALU_DEP_2) | instskip(NEXT) | instid1(VALU_DEP_2)
	v_add_f64_e32 v[2:3], v[6:7], v[2:3]
	v_add_f64_e32 v[4:5], v[8:9], v[4:5]
	s_delay_alu instid0(VALU_DEP_2) | instskip(NEXT) | instid1(VALU_DEP_2)
	v_add_f64_e64 v[2:3], v[42:43], -v[2:3]
	v_add_f64_e64 v[4:5], v[44:45], -v[4:5]
	scratch_store_b128 off, v[2:5], off offset:608
	v_cmpx_lt_u32_e32 36, v0
	s_cbranch_execz .LBB54_271
; %bb.270:
	scratch_load_b128 v[5:8], off, s31
	v_dual_mov_b32 v2, v1 :: v_dual_mov_b32 v3, v1
	v_mov_b32_e32 v4, v1
	scratch_store_b128 off, v[1:4], off offset:592
	s_wait_loadcnt 0x0
	ds_store_b128 v156, v[5:8]
.LBB54_271:
	s_wait_alu 0xfffe
	s_or_b32 exec_lo, exec_lo, s0
	s_wait_storecnt_dscnt 0x0
	s_barrier_signal -1
	s_barrier_wait -1
	global_inv scope:SCOPE_SE
	s_clause 0x8
	scratch_load_b128 v[2:5], off, off offset:608
	scratch_load_b128 v[6:9], off, off offset:624
	;; [unrolled: 1-line block ×9, first 2 shown]
	ds_load_b128 v[38:41], v1 offset:1472
	ds_load_b128 v[42:45], v1 offset:1488
	s_clause 0x1
	scratch_load_b128 v[157:160], off, off offset:592
	scratch_load_b128 v[161:164], off, off offset:752
	s_mov_b32 s0, exec_lo
	s_wait_loadcnt_dscnt 0xa01
	v_mul_f64_e32 v[165:166], v[40:41], v[4:5]
	v_mul_f64_e32 v[4:5], v[38:39], v[4:5]
	s_wait_loadcnt_dscnt 0x900
	v_mul_f64_e32 v[169:170], v[42:43], v[8:9]
	v_mul_f64_e32 v[8:9], v[44:45], v[8:9]
	s_delay_alu instid0(VALU_DEP_4) | instskip(NEXT) | instid1(VALU_DEP_4)
	v_fma_f64 v[171:172], v[38:39], v[2:3], -v[165:166]
	v_fma_f64 v[173:174], v[40:41], v[2:3], v[4:5]
	ds_load_b128 v[2:5], v1 offset:1504
	ds_load_b128 v[165:168], v1 offset:1520
	scratch_load_b128 v[38:41], off, off offset:768
	v_fma_f64 v[44:45], v[44:45], v[6:7], v[169:170]
	v_fma_f64 v[42:43], v[42:43], v[6:7], -v[8:9]
	scratch_load_b128 v[6:9], off, off offset:784
	s_wait_loadcnt_dscnt 0xa01
	v_mul_f64_e32 v[175:176], v[2:3], v[12:13]
	v_mul_f64_e32 v[12:13], v[4:5], v[12:13]
	v_add_f64_e32 v[169:170], 0, v[171:172]
	v_add_f64_e32 v[171:172], 0, v[173:174]
	s_wait_loadcnt_dscnt 0x900
	v_mul_f64_e32 v[173:174], v[165:166], v[16:17]
	v_mul_f64_e32 v[16:17], v[167:168], v[16:17]
	v_fma_f64 v[175:176], v[4:5], v[10:11], v[175:176]
	v_fma_f64 v[177:178], v[2:3], v[10:11], -v[12:13]
	ds_load_b128 v[2:5], v1 offset:1536
	scratch_load_b128 v[10:13], off, off offset:800
	v_add_f64_e32 v[169:170], v[169:170], v[42:43]
	v_add_f64_e32 v[171:172], v[171:172], v[44:45]
	ds_load_b128 v[42:45], v1 offset:1552
	v_fma_f64 v[167:168], v[167:168], v[14:15], v[173:174]
	v_fma_f64 v[165:166], v[165:166], v[14:15], -v[16:17]
	scratch_load_b128 v[14:17], off, off offset:816
	s_wait_loadcnt_dscnt 0xa01
	v_mul_f64_e32 v[179:180], v[2:3], v[20:21]
	v_mul_f64_e32 v[20:21], v[4:5], v[20:21]
	s_wait_loadcnt_dscnt 0x900
	v_mul_f64_e32 v[173:174], v[42:43], v[24:25]
	v_mul_f64_e32 v[24:25], v[44:45], v[24:25]
	v_add_f64_e32 v[169:170], v[169:170], v[177:178]
	v_add_f64_e32 v[171:172], v[171:172], v[175:176]
	v_fma_f64 v[175:176], v[4:5], v[18:19], v[179:180]
	v_fma_f64 v[177:178], v[2:3], v[18:19], -v[20:21]
	ds_load_b128 v[2:5], v1 offset:1568
	scratch_load_b128 v[18:21], off, off offset:832
	v_fma_f64 v[44:45], v[44:45], v[22:23], v[173:174]
	v_fma_f64 v[42:43], v[42:43], v[22:23], -v[24:25]
	scratch_load_b128 v[22:25], off, off offset:848
	v_add_f64_e32 v[169:170], v[169:170], v[165:166]
	v_add_f64_e32 v[171:172], v[171:172], v[167:168]
	ds_load_b128 v[165:168], v1 offset:1584
	s_wait_loadcnt_dscnt 0xa01
	v_mul_f64_e32 v[179:180], v[2:3], v[28:29]
	v_mul_f64_e32 v[28:29], v[4:5], v[28:29]
	s_wait_loadcnt_dscnt 0x900
	v_mul_f64_e32 v[173:174], v[165:166], v[32:33]
	v_mul_f64_e32 v[32:33], v[167:168], v[32:33]
	v_add_f64_e32 v[169:170], v[169:170], v[177:178]
	v_add_f64_e32 v[171:172], v[171:172], v[175:176]
	v_fma_f64 v[175:176], v[4:5], v[26:27], v[179:180]
	v_fma_f64 v[177:178], v[2:3], v[26:27], -v[28:29]
	ds_load_b128 v[2:5], v1 offset:1600
	scratch_load_b128 v[26:29], off, off offset:864
	v_fma_f64 v[167:168], v[167:168], v[30:31], v[173:174]
	v_fma_f64 v[165:166], v[165:166], v[30:31], -v[32:33]
	scratch_load_b128 v[30:33], off, off offset:880
	v_add_f64_e32 v[169:170], v[169:170], v[42:43]
	v_add_f64_e32 v[171:172], v[171:172], v[44:45]
	ds_load_b128 v[42:45], v1 offset:1616
	s_wait_loadcnt_dscnt 0xa01
	v_mul_f64_e32 v[179:180], v[2:3], v[36:37]
	v_mul_f64_e32 v[36:37], v[4:5], v[36:37]
	s_wait_loadcnt_dscnt 0x800
	v_mul_f64_e32 v[173:174], v[42:43], v[163:164]
	v_mul_f64_e32 v[163:164], v[44:45], v[163:164]
	v_add_f64_e32 v[169:170], v[169:170], v[177:178]
	v_add_f64_e32 v[171:172], v[171:172], v[175:176]
	v_fma_f64 v[175:176], v[4:5], v[34:35], v[179:180]
	v_fma_f64 v[177:178], v[2:3], v[34:35], -v[36:37]
	ds_load_b128 v[2:5], v1 offset:1632
	ds_load_b128 v[34:37], v1 offset:1648
	v_fma_f64 v[44:45], v[44:45], v[161:162], v[173:174]
	v_fma_f64 v[42:43], v[42:43], v[161:162], -v[163:164]
	v_add_f64_e32 v[165:166], v[169:170], v[165:166]
	v_add_f64_e32 v[167:168], v[171:172], v[167:168]
	s_wait_loadcnt_dscnt 0x701
	v_mul_f64_e32 v[169:170], v[2:3], v[40:41]
	v_mul_f64_e32 v[40:41], v[4:5], v[40:41]
	s_delay_alu instid0(VALU_DEP_4) | instskip(NEXT) | instid1(VALU_DEP_4)
	v_add_f64_e32 v[161:162], v[165:166], v[177:178]
	v_add_f64_e32 v[163:164], v[167:168], v[175:176]
	s_wait_loadcnt_dscnt 0x600
	v_mul_f64_e32 v[165:166], v[34:35], v[8:9]
	v_mul_f64_e32 v[8:9], v[36:37], v[8:9]
	v_fma_f64 v[167:168], v[4:5], v[38:39], v[169:170]
	v_fma_f64 v[169:170], v[2:3], v[38:39], -v[40:41]
	ds_load_b128 v[2:5], v1 offset:1664
	ds_load_b128 v[38:41], v1 offset:1680
	v_add_f64_e32 v[42:43], v[161:162], v[42:43]
	v_add_f64_e32 v[44:45], v[163:164], v[44:45]
	v_fma_f64 v[36:37], v[36:37], v[6:7], v[165:166]
	s_wait_loadcnt_dscnt 0x501
	v_mul_f64_e32 v[161:162], v[2:3], v[12:13]
	v_mul_f64_e32 v[12:13], v[4:5], v[12:13]
	v_fma_f64 v[6:7], v[34:35], v[6:7], -v[8:9]
	v_add_f64_e32 v[8:9], v[42:43], v[169:170]
	v_add_f64_e32 v[34:35], v[44:45], v[167:168]
	s_wait_loadcnt_dscnt 0x400
	v_mul_f64_e32 v[42:43], v[38:39], v[16:17]
	v_mul_f64_e32 v[16:17], v[40:41], v[16:17]
	v_fma_f64 v[44:45], v[4:5], v[10:11], v[161:162]
	v_fma_f64 v[10:11], v[2:3], v[10:11], -v[12:13]
	v_add_f64_e32 v[12:13], v[8:9], v[6:7]
	v_add_f64_e32 v[34:35], v[34:35], v[36:37]
	ds_load_b128 v[2:5], v1 offset:1696
	ds_load_b128 v[6:9], v1 offset:1712
	v_fma_f64 v[40:41], v[40:41], v[14:15], v[42:43]
	v_fma_f64 v[14:15], v[38:39], v[14:15], -v[16:17]
	s_wait_loadcnt_dscnt 0x301
	v_mul_f64_e32 v[36:37], v[2:3], v[20:21]
	v_mul_f64_e32 v[20:21], v[4:5], v[20:21]
	s_wait_loadcnt_dscnt 0x200
	v_mul_f64_e32 v[16:17], v[6:7], v[24:25]
	v_mul_f64_e32 v[24:25], v[8:9], v[24:25]
	v_add_f64_e32 v[10:11], v[12:13], v[10:11]
	v_add_f64_e32 v[12:13], v[34:35], v[44:45]
	v_fma_f64 v[34:35], v[4:5], v[18:19], v[36:37]
	v_fma_f64 v[18:19], v[2:3], v[18:19], -v[20:21]
	v_fma_f64 v[8:9], v[8:9], v[22:23], v[16:17]
	v_fma_f64 v[6:7], v[6:7], v[22:23], -v[24:25]
	v_add_f64_e32 v[14:15], v[10:11], v[14:15]
	v_add_f64_e32 v[20:21], v[12:13], v[40:41]
	ds_load_b128 v[2:5], v1 offset:1728
	ds_load_b128 v[10:13], v1 offset:1744
	s_wait_loadcnt_dscnt 0x101
	v_mul_f64_e32 v[36:37], v[2:3], v[28:29]
	v_mul_f64_e32 v[28:29], v[4:5], v[28:29]
	v_add_f64_e32 v[14:15], v[14:15], v[18:19]
	v_add_f64_e32 v[16:17], v[20:21], v[34:35]
	s_wait_loadcnt_dscnt 0x0
	v_mul_f64_e32 v[18:19], v[10:11], v[32:33]
	v_mul_f64_e32 v[20:21], v[12:13], v[32:33]
	v_fma_f64 v[4:5], v[4:5], v[26:27], v[36:37]
	v_fma_f64 v[1:2], v[2:3], v[26:27], -v[28:29]
	v_add_f64_e32 v[6:7], v[14:15], v[6:7]
	v_add_f64_e32 v[8:9], v[16:17], v[8:9]
	v_fma_f64 v[12:13], v[12:13], v[30:31], v[18:19]
	v_fma_f64 v[10:11], v[10:11], v[30:31], -v[20:21]
	s_delay_alu instid0(VALU_DEP_4) | instskip(NEXT) | instid1(VALU_DEP_4)
	v_add_f64_e32 v[1:2], v[6:7], v[1:2]
	v_add_f64_e32 v[3:4], v[8:9], v[4:5]
	s_delay_alu instid0(VALU_DEP_2) | instskip(NEXT) | instid1(VALU_DEP_2)
	v_add_f64_e32 v[1:2], v[1:2], v[10:11]
	v_add_f64_e32 v[3:4], v[3:4], v[12:13]
	s_delay_alu instid0(VALU_DEP_2) | instskip(NEXT) | instid1(VALU_DEP_2)
	v_add_f64_e64 v[1:2], v[157:158], -v[1:2]
	v_add_f64_e64 v[3:4], v[159:160], -v[3:4]
	scratch_store_b128 off, v[1:4], off offset:592
	v_cmpx_lt_u32_e32 35, v0
	s_cbranch_execz .LBB54_273
; %bb.272:
	scratch_load_b128 v[1:4], off, s33
	v_mov_b32_e32 v5, 0
	s_delay_alu instid0(VALU_DEP_1)
	v_dual_mov_b32 v6, v5 :: v_dual_mov_b32 v7, v5
	v_mov_b32_e32 v8, v5
	scratch_store_b128 off, v[5:8], off offset:576
	s_wait_loadcnt 0x0
	ds_store_b128 v156, v[1:4]
.LBB54_273:
	s_wait_alu 0xfffe
	s_or_b32 exec_lo, exec_lo, s0
	s_wait_storecnt_dscnt 0x0
	s_barrier_signal -1
	s_barrier_wait -1
	global_inv scope:SCOPE_SE
	s_clause 0x7
	scratch_load_b128 v[2:5], off, off offset:592
	scratch_load_b128 v[6:9], off, off offset:608
	;; [unrolled: 1-line block ×8, first 2 shown]
	v_mov_b32_e32 v1, 0
	s_mov_b32 s0, exec_lo
	ds_load_b128 v[34:37], v1 offset:1456
	s_clause 0x1
	scratch_load_b128 v[38:41], off, off offset:720
	scratch_load_b128 v[42:45], off, off offset:576
	ds_load_b128 v[157:160], v1 offset:1472
	scratch_load_b128 v[161:164], off, off offset:736
	s_wait_loadcnt_dscnt 0xa01
	v_mul_f64_e32 v[165:166], v[36:37], v[4:5]
	v_mul_f64_e32 v[4:5], v[34:35], v[4:5]
	s_delay_alu instid0(VALU_DEP_2) | instskip(NEXT) | instid1(VALU_DEP_2)
	v_fma_f64 v[171:172], v[34:35], v[2:3], -v[165:166]
	v_fma_f64 v[173:174], v[36:37], v[2:3], v[4:5]
	ds_load_b128 v[2:5], v1 offset:1488
	s_wait_loadcnt_dscnt 0x901
	v_mul_f64_e32 v[169:170], v[157:158], v[8:9]
	v_mul_f64_e32 v[8:9], v[159:160], v[8:9]
	scratch_load_b128 v[34:37], off, off offset:752
	ds_load_b128 v[165:168], v1 offset:1504
	s_wait_loadcnt_dscnt 0x901
	v_mul_f64_e32 v[175:176], v[2:3], v[12:13]
	v_mul_f64_e32 v[12:13], v[4:5], v[12:13]
	v_fma_f64 v[159:160], v[159:160], v[6:7], v[169:170]
	v_fma_f64 v[157:158], v[157:158], v[6:7], -v[8:9]
	v_add_f64_e32 v[169:170], 0, v[171:172]
	v_add_f64_e32 v[171:172], 0, v[173:174]
	scratch_load_b128 v[6:9], off, off offset:768
	v_fma_f64 v[175:176], v[4:5], v[10:11], v[175:176]
	v_fma_f64 v[177:178], v[2:3], v[10:11], -v[12:13]
	ds_load_b128 v[2:5], v1 offset:1520
	s_wait_loadcnt_dscnt 0x901
	v_mul_f64_e32 v[173:174], v[165:166], v[16:17]
	v_mul_f64_e32 v[16:17], v[167:168], v[16:17]
	scratch_load_b128 v[10:13], off, off offset:784
	v_add_f64_e32 v[169:170], v[169:170], v[157:158]
	v_add_f64_e32 v[171:172], v[171:172], v[159:160]
	s_wait_loadcnt_dscnt 0x900
	v_mul_f64_e32 v[179:180], v[2:3], v[20:21]
	v_mul_f64_e32 v[20:21], v[4:5], v[20:21]
	ds_load_b128 v[157:160], v1 offset:1536
	v_fma_f64 v[167:168], v[167:168], v[14:15], v[173:174]
	v_fma_f64 v[165:166], v[165:166], v[14:15], -v[16:17]
	scratch_load_b128 v[14:17], off, off offset:800
	v_add_f64_e32 v[169:170], v[169:170], v[177:178]
	v_add_f64_e32 v[171:172], v[171:172], v[175:176]
	v_fma_f64 v[175:176], v[4:5], v[18:19], v[179:180]
	v_fma_f64 v[177:178], v[2:3], v[18:19], -v[20:21]
	ds_load_b128 v[2:5], v1 offset:1552
	s_wait_loadcnt_dscnt 0x901
	v_mul_f64_e32 v[173:174], v[157:158], v[24:25]
	v_mul_f64_e32 v[24:25], v[159:160], v[24:25]
	scratch_load_b128 v[18:21], off, off offset:816
	s_wait_loadcnt_dscnt 0x900
	v_mul_f64_e32 v[179:180], v[2:3], v[28:29]
	v_mul_f64_e32 v[28:29], v[4:5], v[28:29]
	v_add_f64_e32 v[169:170], v[169:170], v[165:166]
	v_add_f64_e32 v[171:172], v[171:172], v[167:168]
	ds_load_b128 v[165:168], v1 offset:1568
	v_fma_f64 v[159:160], v[159:160], v[22:23], v[173:174]
	v_fma_f64 v[157:158], v[157:158], v[22:23], -v[24:25]
	scratch_load_b128 v[22:25], off, off offset:832
	v_add_f64_e32 v[169:170], v[169:170], v[177:178]
	v_add_f64_e32 v[171:172], v[171:172], v[175:176]
	v_fma_f64 v[175:176], v[4:5], v[26:27], v[179:180]
	v_fma_f64 v[177:178], v[2:3], v[26:27], -v[28:29]
	ds_load_b128 v[2:5], v1 offset:1584
	s_wait_loadcnt_dscnt 0x901
	v_mul_f64_e32 v[173:174], v[165:166], v[32:33]
	v_mul_f64_e32 v[32:33], v[167:168], v[32:33]
	scratch_load_b128 v[26:29], off, off offset:848
	s_wait_loadcnt_dscnt 0x900
	v_mul_f64_e32 v[179:180], v[2:3], v[40:41]
	v_mul_f64_e32 v[40:41], v[4:5], v[40:41]
	v_add_f64_e32 v[169:170], v[169:170], v[157:158]
	v_add_f64_e32 v[171:172], v[171:172], v[159:160]
	ds_load_b128 v[157:160], v1 offset:1600
	v_fma_f64 v[167:168], v[167:168], v[30:31], v[173:174]
	v_fma_f64 v[165:166], v[165:166], v[30:31], -v[32:33]
	scratch_load_b128 v[30:33], off, off offset:864
	v_add_f64_e32 v[169:170], v[169:170], v[177:178]
	v_add_f64_e32 v[171:172], v[171:172], v[175:176]
	v_fma_f64 v[177:178], v[4:5], v[38:39], v[179:180]
	v_fma_f64 v[179:180], v[2:3], v[38:39], -v[40:41]
	ds_load_b128 v[2:5], v1 offset:1616
	s_wait_loadcnt_dscnt 0x801
	v_mul_f64_e32 v[173:174], v[157:158], v[163:164]
	v_mul_f64_e32 v[175:176], v[159:160], v[163:164]
	scratch_load_b128 v[38:41], off, off offset:880
	v_add_f64_e32 v[169:170], v[169:170], v[165:166]
	v_add_f64_e32 v[167:168], v[171:172], v[167:168]
	ds_load_b128 v[163:166], v1 offset:1632
	v_fma_f64 v[159:160], v[159:160], v[161:162], v[173:174]
	v_fma_f64 v[157:158], v[157:158], v[161:162], -v[175:176]
	s_wait_loadcnt_dscnt 0x801
	v_mul_f64_e32 v[171:172], v[2:3], v[36:37]
	v_mul_f64_e32 v[36:37], v[4:5], v[36:37]
	v_add_f64_e32 v[161:162], v[169:170], v[179:180]
	v_add_f64_e32 v[167:168], v[167:168], v[177:178]
	s_delay_alu instid0(VALU_DEP_4) | instskip(NEXT) | instid1(VALU_DEP_4)
	v_fma_f64 v[171:172], v[4:5], v[34:35], v[171:172]
	v_fma_f64 v[173:174], v[2:3], v[34:35], -v[36:37]
	s_wait_loadcnt_dscnt 0x700
	v_mul_f64_e32 v[169:170], v[163:164], v[8:9]
	v_mul_f64_e32 v[8:9], v[165:166], v[8:9]
	ds_load_b128 v[2:5], v1 offset:1648
	ds_load_b128 v[34:37], v1 offset:1664
	v_add_f64_e32 v[157:158], v[161:162], v[157:158]
	v_add_f64_e32 v[159:160], v[167:168], v[159:160]
	s_wait_loadcnt_dscnt 0x601
	v_mul_f64_e32 v[161:162], v[2:3], v[12:13]
	v_mul_f64_e32 v[12:13], v[4:5], v[12:13]
	v_fma_f64 v[165:166], v[165:166], v[6:7], v[169:170]
	v_fma_f64 v[6:7], v[163:164], v[6:7], -v[8:9]
	v_add_f64_e32 v[8:9], v[157:158], v[173:174]
	v_add_f64_e32 v[157:158], v[159:160], v[171:172]
	s_wait_loadcnt_dscnt 0x500
	v_mul_f64_e32 v[159:160], v[34:35], v[16:17]
	v_mul_f64_e32 v[16:17], v[36:37], v[16:17]
	v_fma_f64 v[161:162], v[4:5], v[10:11], v[161:162]
	v_fma_f64 v[10:11], v[2:3], v[10:11], -v[12:13]
	v_add_f64_e32 v[12:13], v[8:9], v[6:7]
	v_add_f64_e32 v[157:158], v[157:158], v[165:166]
	ds_load_b128 v[2:5], v1 offset:1680
	ds_load_b128 v[6:9], v1 offset:1696
	v_fma_f64 v[36:37], v[36:37], v[14:15], v[159:160]
	v_fma_f64 v[14:15], v[34:35], v[14:15], -v[16:17]
	s_wait_loadcnt_dscnt 0x401
	v_mul_f64_e32 v[163:164], v[2:3], v[20:21]
	v_mul_f64_e32 v[20:21], v[4:5], v[20:21]
	s_wait_loadcnt_dscnt 0x300
	v_mul_f64_e32 v[16:17], v[6:7], v[24:25]
	v_mul_f64_e32 v[24:25], v[8:9], v[24:25]
	v_add_f64_e32 v[10:11], v[12:13], v[10:11]
	v_add_f64_e32 v[12:13], v[157:158], v[161:162]
	v_fma_f64 v[34:35], v[4:5], v[18:19], v[163:164]
	v_fma_f64 v[18:19], v[2:3], v[18:19], -v[20:21]
	v_fma_f64 v[8:9], v[8:9], v[22:23], v[16:17]
	v_fma_f64 v[6:7], v[6:7], v[22:23], -v[24:25]
	v_add_f64_e32 v[14:15], v[10:11], v[14:15]
	v_add_f64_e32 v[20:21], v[12:13], v[36:37]
	ds_load_b128 v[2:5], v1 offset:1712
	ds_load_b128 v[10:13], v1 offset:1728
	s_wait_loadcnt_dscnt 0x201
	v_mul_f64_e32 v[36:37], v[2:3], v[28:29]
	v_mul_f64_e32 v[28:29], v[4:5], v[28:29]
	v_add_f64_e32 v[14:15], v[14:15], v[18:19]
	v_add_f64_e32 v[16:17], v[20:21], v[34:35]
	s_wait_loadcnt_dscnt 0x100
	v_mul_f64_e32 v[18:19], v[10:11], v[32:33]
	v_mul_f64_e32 v[20:21], v[12:13], v[32:33]
	v_fma_f64 v[22:23], v[4:5], v[26:27], v[36:37]
	v_fma_f64 v[24:25], v[2:3], v[26:27], -v[28:29]
	ds_load_b128 v[2:5], v1 offset:1744
	v_add_f64_e32 v[6:7], v[14:15], v[6:7]
	v_add_f64_e32 v[8:9], v[16:17], v[8:9]
	v_fma_f64 v[12:13], v[12:13], v[30:31], v[18:19]
	v_fma_f64 v[10:11], v[10:11], v[30:31], -v[20:21]
	s_wait_loadcnt_dscnt 0x0
	v_mul_f64_e32 v[14:15], v[2:3], v[40:41]
	v_mul_f64_e32 v[16:17], v[4:5], v[40:41]
	v_add_f64_e32 v[6:7], v[6:7], v[24:25]
	v_add_f64_e32 v[8:9], v[8:9], v[22:23]
	s_delay_alu instid0(VALU_DEP_4) | instskip(NEXT) | instid1(VALU_DEP_4)
	v_fma_f64 v[4:5], v[4:5], v[38:39], v[14:15]
	v_fma_f64 v[2:3], v[2:3], v[38:39], -v[16:17]
	s_delay_alu instid0(VALU_DEP_4) | instskip(NEXT) | instid1(VALU_DEP_4)
	v_add_f64_e32 v[6:7], v[6:7], v[10:11]
	v_add_f64_e32 v[8:9], v[8:9], v[12:13]
	s_delay_alu instid0(VALU_DEP_2) | instskip(NEXT) | instid1(VALU_DEP_2)
	v_add_f64_e32 v[2:3], v[6:7], v[2:3]
	v_add_f64_e32 v[4:5], v[8:9], v[4:5]
	s_delay_alu instid0(VALU_DEP_2) | instskip(NEXT) | instid1(VALU_DEP_2)
	v_add_f64_e64 v[2:3], v[42:43], -v[2:3]
	v_add_f64_e64 v[4:5], v[44:45], -v[4:5]
	scratch_store_b128 off, v[2:5], off offset:576
	v_cmpx_lt_u32_e32 34, v0
	s_cbranch_execz .LBB54_275
; %bb.274:
	scratch_load_b128 v[5:8], off, s34
	v_dual_mov_b32 v2, v1 :: v_dual_mov_b32 v3, v1
	v_mov_b32_e32 v4, v1
	scratch_store_b128 off, v[1:4], off offset:560
	s_wait_loadcnt 0x0
	ds_store_b128 v156, v[5:8]
.LBB54_275:
	s_wait_alu 0xfffe
	s_or_b32 exec_lo, exec_lo, s0
	s_wait_storecnt_dscnt 0x0
	s_barrier_signal -1
	s_barrier_wait -1
	global_inv scope:SCOPE_SE
	s_clause 0x8
	scratch_load_b128 v[2:5], off, off offset:576
	scratch_load_b128 v[6:9], off, off offset:592
	;; [unrolled: 1-line block ×9, first 2 shown]
	ds_load_b128 v[38:41], v1 offset:1440
	ds_load_b128 v[42:45], v1 offset:1456
	s_clause 0x1
	scratch_load_b128 v[157:160], off, off offset:560
	scratch_load_b128 v[161:164], off, off offset:720
	s_mov_b32 s0, exec_lo
	s_wait_loadcnt_dscnt 0xa01
	v_mul_f64_e32 v[165:166], v[40:41], v[4:5]
	v_mul_f64_e32 v[4:5], v[38:39], v[4:5]
	s_wait_loadcnt_dscnt 0x900
	v_mul_f64_e32 v[169:170], v[42:43], v[8:9]
	v_mul_f64_e32 v[8:9], v[44:45], v[8:9]
	s_delay_alu instid0(VALU_DEP_4) | instskip(NEXT) | instid1(VALU_DEP_4)
	v_fma_f64 v[171:172], v[38:39], v[2:3], -v[165:166]
	v_fma_f64 v[173:174], v[40:41], v[2:3], v[4:5]
	ds_load_b128 v[2:5], v1 offset:1472
	ds_load_b128 v[165:168], v1 offset:1488
	scratch_load_b128 v[38:41], off, off offset:736
	v_fma_f64 v[44:45], v[44:45], v[6:7], v[169:170]
	v_fma_f64 v[42:43], v[42:43], v[6:7], -v[8:9]
	scratch_load_b128 v[6:9], off, off offset:752
	s_wait_loadcnt_dscnt 0xa01
	v_mul_f64_e32 v[175:176], v[2:3], v[12:13]
	v_mul_f64_e32 v[12:13], v[4:5], v[12:13]
	v_add_f64_e32 v[169:170], 0, v[171:172]
	v_add_f64_e32 v[171:172], 0, v[173:174]
	s_wait_loadcnt_dscnt 0x900
	v_mul_f64_e32 v[173:174], v[165:166], v[16:17]
	v_mul_f64_e32 v[16:17], v[167:168], v[16:17]
	v_fma_f64 v[175:176], v[4:5], v[10:11], v[175:176]
	v_fma_f64 v[177:178], v[2:3], v[10:11], -v[12:13]
	ds_load_b128 v[2:5], v1 offset:1504
	scratch_load_b128 v[10:13], off, off offset:768
	v_add_f64_e32 v[169:170], v[169:170], v[42:43]
	v_add_f64_e32 v[171:172], v[171:172], v[44:45]
	ds_load_b128 v[42:45], v1 offset:1520
	v_fma_f64 v[167:168], v[167:168], v[14:15], v[173:174]
	v_fma_f64 v[165:166], v[165:166], v[14:15], -v[16:17]
	scratch_load_b128 v[14:17], off, off offset:784
	s_wait_loadcnt_dscnt 0xa01
	v_mul_f64_e32 v[179:180], v[2:3], v[20:21]
	v_mul_f64_e32 v[20:21], v[4:5], v[20:21]
	s_wait_loadcnt_dscnt 0x900
	v_mul_f64_e32 v[173:174], v[42:43], v[24:25]
	v_mul_f64_e32 v[24:25], v[44:45], v[24:25]
	v_add_f64_e32 v[169:170], v[169:170], v[177:178]
	v_add_f64_e32 v[171:172], v[171:172], v[175:176]
	v_fma_f64 v[175:176], v[4:5], v[18:19], v[179:180]
	v_fma_f64 v[177:178], v[2:3], v[18:19], -v[20:21]
	ds_load_b128 v[2:5], v1 offset:1536
	scratch_load_b128 v[18:21], off, off offset:800
	v_fma_f64 v[44:45], v[44:45], v[22:23], v[173:174]
	v_fma_f64 v[42:43], v[42:43], v[22:23], -v[24:25]
	scratch_load_b128 v[22:25], off, off offset:816
	v_add_f64_e32 v[169:170], v[169:170], v[165:166]
	v_add_f64_e32 v[171:172], v[171:172], v[167:168]
	ds_load_b128 v[165:168], v1 offset:1552
	s_wait_loadcnt_dscnt 0xa01
	v_mul_f64_e32 v[179:180], v[2:3], v[28:29]
	v_mul_f64_e32 v[28:29], v[4:5], v[28:29]
	s_wait_loadcnt_dscnt 0x900
	v_mul_f64_e32 v[173:174], v[165:166], v[32:33]
	v_mul_f64_e32 v[32:33], v[167:168], v[32:33]
	v_add_f64_e32 v[169:170], v[169:170], v[177:178]
	v_add_f64_e32 v[171:172], v[171:172], v[175:176]
	v_fma_f64 v[175:176], v[4:5], v[26:27], v[179:180]
	v_fma_f64 v[177:178], v[2:3], v[26:27], -v[28:29]
	ds_load_b128 v[2:5], v1 offset:1568
	scratch_load_b128 v[26:29], off, off offset:832
	v_fma_f64 v[167:168], v[167:168], v[30:31], v[173:174]
	v_fma_f64 v[165:166], v[165:166], v[30:31], -v[32:33]
	scratch_load_b128 v[30:33], off, off offset:848
	v_add_f64_e32 v[169:170], v[169:170], v[42:43]
	v_add_f64_e32 v[171:172], v[171:172], v[44:45]
	ds_load_b128 v[42:45], v1 offset:1584
	s_wait_loadcnt_dscnt 0xa01
	v_mul_f64_e32 v[179:180], v[2:3], v[36:37]
	v_mul_f64_e32 v[36:37], v[4:5], v[36:37]
	s_wait_loadcnt_dscnt 0x800
	v_mul_f64_e32 v[173:174], v[42:43], v[163:164]
	v_add_f64_e32 v[169:170], v[169:170], v[177:178]
	v_add_f64_e32 v[171:172], v[171:172], v[175:176]
	v_mul_f64_e32 v[175:176], v[44:45], v[163:164]
	v_fma_f64 v[177:178], v[4:5], v[34:35], v[179:180]
	v_fma_f64 v[179:180], v[2:3], v[34:35], -v[36:37]
	ds_load_b128 v[2:5], v1 offset:1600
	scratch_load_b128 v[34:37], off, off offset:864
	v_fma_f64 v[44:45], v[44:45], v[161:162], v[173:174]
	v_add_f64_e32 v[169:170], v[169:170], v[165:166]
	v_add_f64_e32 v[167:168], v[171:172], v[167:168]
	ds_load_b128 v[163:166], v1 offset:1616
	v_fma_f64 v[161:162], v[42:43], v[161:162], -v[175:176]
	s_wait_loadcnt_dscnt 0x801
	v_mul_f64_e32 v[171:172], v[2:3], v[40:41]
	v_mul_f64_e32 v[181:182], v[4:5], v[40:41]
	scratch_load_b128 v[40:43], off, off offset:880
	s_wait_loadcnt_dscnt 0x800
	v_mul_f64_e32 v[173:174], v[163:164], v[8:9]
	v_mul_f64_e32 v[8:9], v[165:166], v[8:9]
	v_add_f64_e32 v[169:170], v[169:170], v[179:180]
	v_add_f64_e32 v[167:168], v[167:168], v[177:178]
	v_fma_f64 v[171:172], v[4:5], v[38:39], v[171:172]
	v_fma_f64 v[38:39], v[2:3], v[38:39], -v[181:182]
	v_fma_f64 v[165:166], v[165:166], v[6:7], v[173:174]
	v_fma_f64 v[6:7], v[163:164], v[6:7], -v[8:9]
	v_add_f64_e32 v[161:162], v[169:170], v[161:162]
	v_add_f64_e32 v[44:45], v[167:168], v[44:45]
	ds_load_b128 v[2:5], v1 offset:1632
	ds_load_b128 v[167:170], v1 offset:1648
	s_wait_loadcnt_dscnt 0x701
	v_mul_f64_e32 v[175:176], v[2:3], v[12:13]
	v_mul_f64_e32 v[12:13], v[4:5], v[12:13]
	v_add_f64_e32 v[8:9], v[161:162], v[38:39]
	v_add_f64_e32 v[38:39], v[44:45], v[171:172]
	s_wait_loadcnt_dscnt 0x600
	v_mul_f64_e32 v[44:45], v[167:168], v[16:17]
	v_mul_f64_e32 v[16:17], v[169:170], v[16:17]
	v_fma_f64 v[161:162], v[4:5], v[10:11], v[175:176]
	v_fma_f64 v[10:11], v[2:3], v[10:11], -v[12:13]
	v_add_f64_e32 v[12:13], v[8:9], v[6:7]
	v_add_f64_e32 v[38:39], v[38:39], v[165:166]
	ds_load_b128 v[2:5], v1 offset:1664
	ds_load_b128 v[6:9], v1 offset:1680
	v_fma_f64 v[44:45], v[169:170], v[14:15], v[44:45]
	v_fma_f64 v[14:15], v[167:168], v[14:15], -v[16:17]
	s_wait_loadcnt_dscnt 0x501
	v_mul_f64_e32 v[163:164], v[2:3], v[20:21]
	v_mul_f64_e32 v[20:21], v[4:5], v[20:21]
	s_wait_loadcnt_dscnt 0x400
	v_mul_f64_e32 v[16:17], v[6:7], v[24:25]
	v_mul_f64_e32 v[24:25], v[8:9], v[24:25]
	v_add_f64_e32 v[10:11], v[12:13], v[10:11]
	v_add_f64_e32 v[12:13], v[38:39], v[161:162]
	v_fma_f64 v[38:39], v[4:5], v[18:19], v[163:164]
	v_fma_f64 v[18:19], v[2:3], v[18:19], -v[20:21]
	v_fma_f64 v[8:9], v[8:9], v[22:23], v[16:17]
	v_fma_f64 v[6:7], v[6:7], v[22:23], -v[24:25]
	v_add_f64_e32 v[14:15], v[10:11], v[14:15]
	v_add_f64_e32 v[20:21], v[12:13], v[44:45]
	ds_load_b128 v[2:5], v1 offset:1696
	ds_load_b128 v[10:13], v1 offset:1712
	s_wait_loadcnt_dscnt 0x301
	v_mul_f64_e32 v[44:45], v[2:3], v[28:29]
	v_mul_f64_e32 v[28:29], v[4:5], v[28:29]
	v_add_f64_e32 v[14:15], v[14:15], v[18:19]
	v_add_f64_e32 v[16:17], v[20:21], v[38:39]
	s_wait_loadcnt_dscnt 0x200
	v_mul_f64_e32 v[18:19], v[10:11], v[32:33]
	v_mul_f64_e32 v[20:21], v[12:13], v[32:33]
	v_fma_f64 v[22:23], v[4:5], v[26:27], v[44:45]
	v_fma_f64 v[24:25], v[2:3], v[26:27], -v[28:29]
	v_add_f64_e32 v[14:15], v[14:15], v[6:7]
	v_add_f64_e32 v[16:17], v[16:17], v[8:9]
	ds_load_b128 v[2:5], v1 offset:1728
	ds_load_b128 v[6:9], v1 offset:1744
	v_fma_f64 v[12:13], v[12:13], v[30:31], v[18:19]
	v_fma_f64 v[10:11], v[10:11], v[30:31], -v[20:21]
	s_wait_loadcnt_dscnt 0x101
	v_mul_f64_e32 v[26:27], v[2:3], v[36:37]
	v_mul_f64_e32 v[28:29], v[4:5], v[36:37]
	s_wait_loadcnt_dscnt 0x0
	v_mul_f64_e32 v[18:19], v[6:7], v[42:43]
	v_add_f64_e32 v[14:15], v[14:15], v[24:25]
	v_add_f64_e32 v[16:17], v[16:17], v[22:23]
	v_mul_f64_e32 v[20:21], v[8:9], v[42:43]
	v_fma_f64 v[4:5], v[4:5], v[34:35], v[26:27]
	v_fma_f64 v[1:2], v[2:3], v[34:35], -v[28:29]
	v_fma_f64 v[8:9], v[8:9], v[40:41], v[18:19]
	v_add_f64_e32 v[10:11], v[14:15], v[10:11]
	v_add_f64_e32 v[12:13], v[16:17], v[12:13]
	v_fma_f64 v[6:7], v[6:7], v[40:41], -v[20:21]
	s_delay_alu instid0(VALU_DEP_3) | instskip(NEXT) | instid1(VALU_DEP_3)
	v_add_f64_e32 v[1:2], v[10:11], v[1:2]
	v_add_f64_e32 v[3:4], v[12:13], v[4:5]
	s_delay_alu instid0(VALU_DEP_2) | instskip(NEXT) | instid1(VALU_DEP_2)
	v_add_f64_e32 v[1:2], v[1:2], v[6:7]
	v_add_f64_e32 v[3:4], v[3:4], v[8:9]
	s_delay_alu instid0(VALU_DEP_2) | instskip(NEXT) | instid1(VALU_DEP_2)
	v_add_f64_e64 v[1:2], v[157:158], -v[1:2]
	v_add_f64_e64 v[3:4], v[159:160], -v[3:4]
	scratch_store_b128 off, v[1:4], off offset:560
	v_cmpx_lt_u32_e32 33, v0
	s_cbranch_execz .LBB54_277
; %bb.276:
	scratch_load_b128 v[1:4], off, s35
	v_mov_b32_e32 v5, 0
	s_delay_alu instid0(VALU_DEP_1)
	v_dual_mov_b32 v6, v5 :: v_dual_mov_b32 v7, v5
	v_mov_b32_e32 v8, v5
	scratch_store_b128 off, v[5:8], off offset:544
	s_wait_loadcnt 0x0
	ds_store_b128 v156, v[1:4]
.LBB54_277:
	s_wait_alu 0xfffe
	s_or_b32 exec_lo, exec_lo, s0
	s_wait_storecnt_dscnt 0x0
	s_barrier_signal -1
	s_barrier_wait -1
	global_inv scope:SCOPE_SE
	s_clause 0x7
	scratch_load_b128 v[2:5], off, off offset:560
	scratch_load_b128 v[6:9], off, off offset:576
	;; [unrolled: 1-line block ×8, first 2 shown]
	v_mov_b32_e32 v1, 0
	s_mov_b32 s0, exec_lo
	ds_load_b128 v[34:37], v1 offset:1424
	s_clause 0x1
	scratch_load_b128 v[38:41], off, off offset:688
	scratch_load_b128 v[42:45], off, off offset:544
	ds_load_b128 v[157:160], v1 offset:1440
	scratch_load_b128 v[161:164], off, off offset:704
	s_wait_loadcnt_dscnt 0xa01
	v_mul_f64_e32 v[165:166], v[36:37], v[4:5]
	v_mul_f64_e32 v[4:5], v[34:35], v[4:5]
	s_delay_alu instid0(VALU_DEP_2) | instskip(NEXT) | instid1(VALU_DEP_2)
	v_fma_f64 v[171:172], v[34:35], v[2:3], -v[165:166]
	v_fma_f64 v[173:174], v[36:37], v[2:3], v[4:5]
	ds_load_b128 v[2:5], v1 offset:1456
	s_wait_loadcnt_dscnt 0x901
	v_mul_f64_e32 v[169:170], v[157:158], v[8:9]
	v_mul_f64_e32 v[8:9], v[159:160], v[8:9]
	scratch_load_b128 v[34:37], off, off offset:720
	ds_load_b128 v[165:168], v1 offset:1472
	s_wait_loadcnt_dscnt 0x901
	v_mul_f64_e32 v[175:176], v[2:3], v[12:13]
	v_mul_f64_e32 v[12:13], v[4:5], v[12:13]
	v_fma_f64 v[159:160], v[159:160], v[6:7], v[169:170]
	v_fma_f64 v[157:158], v[157:158], v[6:7], -v[8:9]
	v_add_f64_e32 v[169:170], 0, v[171:172]
	v_add_f64_e32 v[171:172], 0, v[173:174]
	scratch_load_b128 v[6:9], off, off offset:736
	v_fma_f64 v[175:176], v[4:5], v[10:11], v[175:176]
	v_fma_f64 v[177:178], v[2:3], v[10:11], -v[12:13]
	ds_load_b128 v[2:5], v1 offset:1488
	s_wait_loadcnt_dscnt 0x901
	v_mul_f64_e32 v[173:174], v[165:166], v[16:17]
	v_mul_f64_e32 v[16:17], v[167:168], v[16:17]
	scratch_load_b128 v[10:13], off, off offset:752
	v_add_f64_e32 v[169:170], v[169:170], v[157:158]
	v_add_f64_e32 v[171:172], v[171:172], v[159:160]
	s_wait_loadcnt_dscnt 0x900
	v_mul_f64_e32 v[179:180], v[2:3], v[20:21]
	v_mul_f64_e32 v[20:21], v[4:5], v[20:21]
	ds_load_b128 v[157:160], v1 offset:1504
	v_fma_f64 v[167:168], v[167:168], v[14:15], v[173:174]
	v_fma_f64 v[165:166], v[165:166], v[14:15], -v[16:17]
	scratch_load_b128 v[14:17], off, off offset:768
	v_add_f64_e32 v[169:170], v[169:170], v[177:178]
	v_add_f64_e32 v[171:172], v[171:172], v[175:176]
	v_fma_f64 v[175:176], v[4:5], v[18:19], v[179:180]
	v_fma_f64 v[177:178], v[2:3], v[18:19], -v[20:21]
	ds_load_b128 v[2:5], v1 offset:1520
	s_wait_loadcnt_dscnt 0x901
	v_mul_f64_e32 v[173:174], v[157:158], v[24:25]
	v_mul_f64_e32 v[24:25], v[159:160], v[24:25]
	scratch_load_b128 v[18:21], off, off offset:784
	s_wait_loadcnt_dscnt 0x900
	v_mul_f64_e32 v[179:180], v[2:3], v[28:29]
	v_mul_f64_e32 v[28:29], v[4:5], v[28:29]
	v_add_f64_e32 v[169:170], v[169:170], v[165:166]
	v_add_f64_e32 v[171:172], v[171:172], v[167:168]
	ds_load_b128 v[165:168], v1 offset:1536
	v_fma_f64 v[159:160], v[159:160], v[22:23], v[173:174]
	v_fma_f64 v[157:158], v[157:158], v[22:23], -v[24:25]
	scratch_load_b128 v[22:25], off, off offset:800
	v_add_f64_e32 v[169:170], v[169:170], v[177:178]
	v_add_f64_e32 v[171:172], v[171:172], v[175:176]
	v_fma_f64 v[175:176], v[4:5], v[26:27], v[179:180]
	v_fma_f64 v[177:178], v[2:3], v[26:27], -v[28:29]
	ds_load_b128 v[2:5], v1 offset:1552
	s_wait_loadcnt_dscnt 0x901
	v_mul_f64_e32 v[173:174], v[165:166], v[32:33]
	v_mul_f64_e32 v[32:33], v[167:168], v[32:33]
	scratch_load_b128 v[26:29], off, off offset:816
	s_wait_loadcnt_dscnt 0x900
	v_mul_f64_e32 v[179:180], v[2:3], v[40:41]
	v_mul_f64_e32 v[40:41], v[4:5], v[40:41]
	v_add_f64_e32 v[169:170], v[169:170], v[157:158]
	v_add_f64_e32 v[171:172], v[171:172], v[159:160]
	ds_load_b128 v[157:160], v1 offset:1568
	v_fma_f64 v[167:168], v[167:168], v[30:31], v[173:174]
	v_fma_f64 v[165:166], v[165:166], v[30:31], -v[32:33]
	scratch_load_b128 v[30:33], off, off offset:832
	v_add_f64_e32 v[169:170], v[169:170], v[177:178]
	v_add_f64_e32 v[171:172], v[171:172], v[175:176]
	v_fma_f64 v[177:178], v[4:5], v[38:39], v[179:180]
	v_fma_f64 v[179:180], v[2:3], v[38:39], -v[40:41]
	ds_load_b128 v[2:5], v1 offset:1584
	s_wait_loadcnt_dscnt 0x801
	v_mul_f64_e32 v[173:174], v[157:158], v[163:164]
	v_mul_f64_e32 v[175:176], v[159:160], v[163:164]
	scratch_load_b128 v[38:41], off, off offset:848
	v_add_f64_e32 v[169:170], v[169:170], v[165:166]
	v_add_f64_e32 v[167:168], v[171:172], v[167:168]
	ds_load_b128 v[163:166], v1 offset:1600
	v_fma_f64 v[173:174], v[159:160], v[161:162], v[173:174]
	v_fma_f64 v[161:162], v[157:158], v[161:162], -v[175:176]
	scratch_load_b128 v[157:160], off, off offset:864
	s_wait_loadcnt_dscnt 0x901
	v_mul_f64_e32 v[171:172], v[2:3], v[36:37]
	v_mul_f64_e32 v[36:37], v[4:5], v[36:37]
	v_add_f64_e32 v[169:170], v[169:170], v[179:180]
	v_add_f64_e32 v[167:168], v[167:168], v[177:178]
	s_delay_alu instid0(VALU_DEP_4) | instskip(NEXT) | instid1(VALU_DEP_4)
	v_fma_f64 v[171:172], v[4:5], v[34:35], v[171:172]
	v_fma_f64 v[177:178], v[2:3], v[34:35], -v[36:37]
	ds_load_b128 v[2:5], v1 offset:1616
	s_wait_loadcnt_dscnt 0x801
	v_mul_f64_e32 v[175:176], v[163:164], v[8:9]
	v_mul_f64_e32 v[8:9], v[165:166], v[8:9]
	scratch_load_b128 v[34:37], off, off offset:880
	s_wait_loadcnt_dscnt 0x800
	v_mul_f64_e32 v[179:180], v[2:3], v[12:13]
	v_add_f64_e32 v[161:162], v[169:170], v[161:162]
	v_add_f64_e32 v[173:174], v[167:168], v[173:174]
	v_mul_f64_e32 v[12:13], v[4:5], v[12:13]
	ds_load_b128 v[167:170], v1 offset:1632
	v_fma_f64 v[165:166], v[165:166], v[6:7], v[175:176]
	v_fma_f64 v[6:7], v[163:164], v[6:7], -v[8:9]
	s_wait_loadcnt_dscnt 0x700
	v_mul_f64_e32 v[163:164], v[167:168], v[16:17]
	v_add_f64_e32 v[8:9], v[161:162], v[177:178]
	v_add_f64_e32 v[161:162], v[173:174], v[171:172]
	v_mul_f64_e32 v[16:17], v[169:170], v[16:17]
	v_fma_f64 v[171:172], v[4:5], v[10:11], v[179:180]
	v_fma_f64 v[10:11], v[2:3], v[10:11], -v[12:13]
	v_fma_f64 v[163:164], v[169:170], v[14:15], v[163:164]
	v_add_f64_e32 v[12:13], v[8:9], v[6:7]
	v_add_f64_e32 v[161:162], v[161:162], v[165:166]
	ds_load_b128 v[2:5], v1 offset:1648
	ds_load_b128 v[6:9], v1 offset:1664
	v_fma_f64 v[14:15], v[167:168], v[14:15], -v[16:17]
	s_wait_loadcnt_dscnt 0x601
	v_mul_f64_e32 v[165:166], v[2:3], v[20:21]
	v_mul_f64_e32 v[20:21], v[4:5], v[20:21]
	s_wait_loadcnt_dscnt 0x500
	v_mul_f64_e32 v[16:17], v[6:7], v[24:25]
	v_mul_f64_e32 v[24:25], v[8:9], v[24:25]
	v_add_f64_e32 v[10:11], v[12:13], v[10:11]
	v_add_f64_e32 v[12:13], v[161:162], v[171:172]
	v_fma_f64 v[161:162], v[4:5], v[18:19], v[165:166]
	v_fma_f64 v[18:19], v[2:3], v[18:19], -v[20:21]
	v_fma_f64 v[8:9], v[8:9], v[22:23], v[16:17]
	v_fma_f64 v[6:7], v[6:7], v[22:23], -v[24:25]
	v_add_f64_e32 v[14:15], v[10:11], v[14:15]
	v_add_f64_e32 v[20:21], v[12:13], v[163:164]
	ds_load_b128 v[2:5], v1 offset:1680
	ds_load_b128 v[10:13], v1 offset:1696
	s_wait_loadcnt_dscnt 0x401
	v_mul_f64_e32 v[163:164], v[2:3], v[28:29]
	v_mul_f64_e32 v[28:29], v[4:5], v[28:29]
	v_add_f64_e32 v[14:15], v[14:15], v[18:19]
	v_add_f64_e32 v[16:17], v[20:21], v[161:162]
	s_wait_loadcnt_dscnt 0x300
	v_mul_f64_e32 v[18:19], v[10:11], v[32:33]
	v_mul_f64_e32 v[20:21], v[12:13], v[32:33]
	v_fma_f64 v[22:23], v[4:5], v[26:27], v[163:164]
	v_fma_f64 v[24:25], v[2:3], v[26:27], -v[28:29]
	v_add_f64_e32 v[14:15], v[14:15], v[6:7]
	v_add_f64_e32 v[16:17], v[16:17], v[8:9]
	ds_load_b128 v[2:5], v1 offset:1712
	ds_load_b128 v[6:9], v1 offset:1728
	v_fma_f64 v[12:13], v[12:13], v[30:31], v[18:19]
	v_fma_f64 v[10:11], v[10:11], v[30:31], -v[20:21]
	s_wait_loadcnt_dscnt 0x201
	v_mul_f64_e32 v[26:27], v[2:3], v[40:41]
	v_mul_f64_e32 v[28:29], v[4:5], v[40:41]
	s_wait_loadcnt_dscnt 0x100
	v_mul_f64_e32 v[18:19], v[6:7], v[159:160]
	v_mul_f64_e32 v[20:21], v[8:9], v[159:160]
	v_add_f64_e32 v[14:15], v[14:15], v[24:25]
	v_add_f64_e32 v[16:17], v[16:17], v[22:23]
	v_fma_f64 v[22:23], v[4:5], v[38:39], v[26:27]
	v_fma_f64 v[24:25], v[2:3], v[38:39], -v[28:29]
	ds_load_b128 v[2:5], v1 offset:1744
	v_fma_f64 v[8:9], v[8:9], v[157:158], v[18:19]
	v_fma_f64 v[6:7], v[6:7], v[157:158], -v[20:21]
	v_add_f64_e32 v[10:11], v[14:15], v[10:11]
	v_add_f64_e32 v[12:13], v[16:17], v[12:13]
	s_wait_loadcnt_dscnt 0x0
	v_mul_f64_e32 v[14:15], v[2:3], v[36:37]
	v_mul_f64_e32 v[16:17], v[4:5], v[36:37]
	s_delay_alu instid0(VALU_DEP_4) | instskip(NEXT) | instid1(VALU_DEP_4)
	v_add_f64_e32 v[10:11], v[10:11], v[24:25]
	v_add_f64_e32 v[12:13], v[12:13], v[22:23]
	s_delay_alu instid0(VALU_DEP_4) | instskip(NEXT) | instid1(VALU_DEP_4)
	v_fma_f64 v[4:5], v[4:5], v[34:35], v[14:15]
	v_fma_f64 v[2:3], v[2:3], v[34:35], -v[16:17]
	s_delay_alu instid0(VALU_DEP_4) | instskip(NEXT) | instid1(VALU_DEP_4)
	v_add_f64_e32 v[6:7], v[10:11], v[6:7]
	v_add_f64_e32 v[8:9], v[12:13], v[8:9]
	s_delay_alu instid0(VALU_DEP_2) | instskip(NEXT) | instid1(VALU_DEP_2)
	v_add_f64_e32 v[2:3], v[6:7], v[2:3]
	v_add_f64_e32 v[4:5], v[8:9], v[4:5]
	s_delay_alu instid0(VALU_DEP_2) | instskip(NEXT) | instid1(VALU_DEP_2)
	v_add_f64_e64 v[2:3], v[42:43], -v[2:3]
	v_add_f64_e64 v[4:5], v[44:45], -v[4:5]
	scratch_store_b128 off, v[2:5], off offset:544
	v_cmpx_lt_u32_e32 32, v0
	s_cbranch_execz .LBB54_279
; %bb.278:
	scratch_load_b128 v[5:8], off, s36
	v_dual_mov_b32 v2, v1 :: v_dual_mov_b32 v3, v1
	v_mov_b32_e32 v4, v1
	scratch_store_b128 off, v[1:4], off offset:528
	s_wait_loadcnt 0x0
	ds_store_b128 v156, v[5:8]
.LBB54_279:
	s_wait_alu 0xfffe
	s_or_b32 exec_lo, exec_lo, s0
	s_wait_storecnt_dscnt 0x0
	s_barrier_signal -1
	s_barrier_wait -1
	global_inv scope:SCOPE_SE
	s_clause 0x8
	scratch_load_b128 v[2:5], off, off offset:544
	scratch_load_b128 v[6:9], off, off offset:560
	scratch_load_b128 v[10:13], off, off offset:576
	scratch_load_b128 v[14:17], off, off offset:592
	scratch_load_b128 v[18:21], off, off offset:608
	scratch_load_b128 v[22:25], off, off offset:624
	scratch_load_b128 v[26:29], off, off offset:640
	scratch_load_b128 v[30:33], off, off offset:656
	scratch_load_b128 v[34:37], off, off offset:672
	ds_load_b128 v[38:41], v1 offset:1408
	ds_load_b128 v[42:45], v1 offset:1424
	s_clause 0x1
	scratch_load_b128 v[157:160], off, off offset:528
	scratch_load_b128 v[161:164], off, off offset:688
	s_mov_b32 s0, exec_lo
	s_wait_loadcnt_dscnt 0xa01
	v_mul_f64_e32 v[165:166], v[40:41], v[4:5]
	v_mul_f64_e32 v[4:5], v[38:39], v[4:5]
	s_wait_loadcnt_dscnt 0x900
	v_mul_f64_e32 v[169:170], v[42:43], v[8:9]
	v_mul_f64_e32 v[8:9], v[44:45], v[8:9]
	s_delay_alu instid0(VALU_DEP_4) | instskip(NEXT) | instid1(VALU_DEP_4)
	v_fma_f64 v[171:172], v[38:39], v[2:3], -v[165:166]
	v_fma_f64 v[173:174], v[40:41], v[2:3], v[4:5]
	ds_load_b128 v[2:5], v1 offset:1440
	ds_load_b128 v[165:168], v1 offset:1456
	scratch_load_b128 v[38:41], off, off offset:704
	v_fma_f64 v[44:45], v[44:45], v[6:7], v[169:170]
	v_fma_f64 v[42:43], v[42:43], v[6:7], -v[8:9]
	scratch_load_b128 v[6:9], off, off offset:720
	s_wait_loadcnt_dscnt 0xa01
	v_mul_f64_e32 v[175:176], v[2:3], v[12:13]
	v_mul_f64_e32 v[12:13], v[4:5], v[12:13]
	v_add_f64_e32 v[169:170], 0, v[171:172]
	v_add_f64_e32 v[171:172], 0, v[173:174]
	s_wait_loadcnt_dscnt 0x900
	v_mul_f64_e32 v[173:174], v[165:166], v[16:17]
	v_mul_f64_e32 v[16:17], v[167:168], v[16:17]
	v_fma_f64 v[175:176], v[4:5], v[10:11], v[175:176]
	v_fma_f64 v[177:178], v[2:3], v[10:11], -v[12:13]
	ds_load_b128 v[2:5], v1 offset:1472
	scratch_load_b128 v[10:13], off, off offset:736
	v_add_f64_e32 v[169:170], v[169:170], v[42:43]
	v_add_f64_e32 v[171:172], v[171:172], v[44:45]
	ds_load_b128 v[42:45], v1 offset:1488
	v_fma_f64 v[167:168], v[167:168], v[14:15], v[173:174]
	v_fma_f64 v[165:166], v[165:166], v[14:15], -v[16:17]
	scratch_load_b128 v[14:17], off, off offset:752
	s_wait_loadcnt_dscnt 0xa01
	v_mul_f64_e32 v[179:180], v[2:3], v[20:21]
	v_mul_f64_e32 v[20:21], v[4:5], v[20:21]
	s_wait_loadcnt_dscnt 0x900
	v_mul_f64_e32 v[173:174], v[42:43], v[24:25]
	v_mul_f64_e32 v[24:25], v[44:45], v[24:25]
	v_add_f64_e32 v[169:170], v[169:170], v[177:178]
	v_add_f64_e32 v[171:172], v[171:172], v[175:176]
	v_fma_f64 v[175:176], v[4:5], v[18:19], v[179:180]
	v_fma_f64 v[177:178], v[2:3], v[18:19], -v[20:21]
	ds_load_b128 v[2:5], v1 offset:1504
	scratch_load_b128 v[18:21], off, off offset:768
	v_fma_f64 v[44:45], v[44:45], v[22:23], v[173:174]
	v_fma_f64 v[42:43], v[42:43], v[22:23], -v[24:25]
	scratch_load_b128 v[22:25], off, off offset:784
	v_add_f64_e32 v[169:170], v[169:170], v[165:166]
	v_add_f64_e32 v[171:172], v[171:172], v[167:168]
	ds_load_b128 v[165:168], v1 offset:1520
	s_wait_loadcnt_dscnt 0xa01
	v_mul_f64_e32 v[179:180], v[2:3], v[28:29]
	v_mul_f64_e32 v[28:29], v[4:5], v[28:29]
	s_wait_loadcnt_dscnt 0x900
	v_mul_f64_e32 v[173:174], v[165:166], v[32:33]
	v_mul_f64_e32 v[32:33], v[167:168], v[32:33]
	v_add_f64_e32 v[169:170], v[169:170], v[177:178]
	v_add_f64_e32 v[171:172], v[171:172], v[175:176]
	v_fma_f64 v[175:176], v[4:5], v[26:27], v[179:180]
	v_fma_f64 v[177:178], v[2:3], v[26:27], -v[28:29]
	ds_load_b128 v[2:5], v1 offset:1536
	scratch_load_b128 v[26:29], off, off offset:800
	v_fma_f64 v[167:168], v[167:168], v[30:31], v[173:174]
	v_fma_f64 v[165:166], v[165:166], v[30:31], -v[32:33]
	scratch_load_b128 v[30:33], off, off offset:816
	v_add_f64_e32 v[169:170], v[169:170], v[42:43]
	v_add_f64_e32 v[171:172], v[171:172], v[44:45]
	ds_load_b128 v[42:45], v1 offset:1552
	s_wait_loadcnt_dscnt 0xa01
	v_mul_f64_e32 v[179:180], v[2:3], v[36:37]
	v_mul_f64_e32 v[36:37], v[4:5], v[36:37]
	s_wait_loadcnt_dscnt 0x800
	v_mul_f64_e32 v[173:174], v[42:43], v[163:164]
	v_add_f64_e32 v[169:170], v[169:170], v[177:178]
	v_add_f64_e32 v[171:172], v[171:172], v[175:176]
	v_mul_f64_e32 v[175:176], v[44:45], v[163:164]
	v_fma_f64 v[177:178], v[4:5], v[34:35], v[179:180]
	v_fma_f64 v[179:180], v[2:3], v[34:35], -v[36:37]
	ds_load_b128 v[2:5], v1 offset:1568
	scratch_load_b128 v[34:37], off, off offset:832
	v_fma_f64 v[44:45], v[44:45], v[161:162], v[173:174]
	v_add_f64_e32 v[169:170], v[169:170], v[165:166]
	v_add_f64_e32 v[167:168], v[171:172], v[167:168]
	ds_load_b128 v[163:166], v1 offset:1584
	v_fma_f64 v[161:162], v[42:43], v[161:162], -v[175:176]
	s_wait_loadcnt_dscnt 0x801
	v_mul_f64_e32 v[171:172], v[2:3], v[40:41]
	v_mul_f64_e32 v[181:182], v[4:5], v[40:41]
	scratch_load_b128 v[40:43], off, off offset:848
	s_wait_loadcnt_dscnt 0x800
	v_mul_f64_e32 v[175:176], v[163:164], v[8:9]
	v_mul_f64_e32 v[8:9], v[165:166], v[8:9]
	v_add_f64_e32 v[169:170], v[169:170], v[179:180]
	v_add_f64_e32 v[167:168], v[167:168], v[177:178]
	v_fma_f64 v[177:178], v[4:5], v[38:39], v[171:172]
	v_fma_f64 v[38:39], v[2:3], v[38:39], -v[181:182]
	ds_load_b128 v[2:5], v1 offset:1600
	ds_load_b128 v[171:174], v1 offset:1616
	v_fma_f64 v[165:166], v[165:166], v[6:7], v[175:176]
	v_fma_f64 v[163:164], v[163:164], v[6:7], -v[8:9]
	scratch_load_b128 v[6:9], off, off offset:880
	v_add_f64_e32 v[161:162], v[169:170], v[161:162]
	v_add_f64_e32 v[44:45], v[167:168], v[44:45]
	scratch_load_b128 v[167:170], off, off offset:864
	s_wait_loadcnt_dscnt 0x901
	v_mul_f64_e32 v[179:180], v[2:3], v[12:13]
	v_mul_f64_e32 v[12:13], v[4:5], v[12:13]
	v_add_f64_e32 v[38:39], v[161:162], v[38:39]
	v_add_f64_e32 v[44:45], v[44:45], v[177:178]
	s_wait_loadcnt_dscnt 0x800
	v_mul_f64_e32 v[161:162], v[171:172], v[16:17]
	v_mul_f64_e32 v[16:17], v[173:174], v[16:17]
	v_fma_f64 v[175:176], v[4:5], v[10:11], v[179:180]
	v_fma_f64 v[177:178], v[2:3], v[10:11], -v[12:13]
	ds_load_b128 v[2:5], v1 offset:1632
	ds_load_b128 v[10:13], v1 offset:1648
	v_add_f64_e32 v[38:39], v[38:39], v[163:164]
	v_add_f64_e32 v[44:45], v[44:45], v[165:166]
	s_wait_loadcnt_dscnt 0x701
	v_mul_f64_e32 v[163:164], v[2:3], v[20:21]
	v_mul_f64_e32 v[20:21], v[4:5], v[20:21]
	v_fma_f64 v[161:162], v[173:174], v[14:15], v[161:162]
	v_fma_f64 v[14:15], v[171:172], v[14:15], -v[16:17]
	v_add_f64_e32 v[16:17], v[38:39], v[177:178]
	v_add_f64_e32 v[38:39], v[44:45], v[175:176]
	s_wait_loadcnt_dscnt 0x600
	v_mul_f64_e32 v[44:45], v[10:11], v[24:25]
	v_mul_f64_e32 v[24:25], v[12:13], v[24:25]
	v_fma_f64 v[163:164], v[4:5], v[18:19], v[163:164]
	v_fma_f64 v[18:19], v[2:3], v[18:19], -v[20:21]
	v_add_f64_e32 v[20:21], v[16:17], v[14:15]
	v_add_f64_e32 v[38:39], v[38:39], v[161:162]
	ds_load_b128 v[2:5], v1 offset:1664
	ds_load_b128 v[14:17], v1 offset:1680
	v_fma_f64 v[12:13], v[12:13], v[22:23], v[44:45]
	v_fma_f64 v[10:11], v[10:11], v[22:23], -v[24:25]
	s_wait_loadcnt_dscnt 0x501
	v_mul_f64_e32 v[161:162], v[2:3], v[28:29]
	v_mul_f64_e32 v[28:29], v[4:5], v[28:29]
	s_wait_loadcnt_dscnt 0x400
	v_mul_f64_e32 v[22:23], v[14:15], v[32:33]
	v_mul_f64_e32 v[24:25], v[16:17], v[32:33]
	v_add_f64_e32 v[18:19], v[20:21], v[18:19]
	v_add_f64_e32 v[20:21], v[38:39], v[163:164]
	v_fma_f64 v[32:33], v[4:5], v[26:27], v[161:162]
	v_fma_f64 v[26:27], v[2:3], v[26:27], -v[28:29]
	v_fma_f64 v[16:17], v[16:17], v[30:31], v[22:23]
	v_fma_f64 v[14:15], v[14:15], v[30:31], -v[24:25]
	v_add_f64_e32 v[18:19], v[18:19], v[10:11]
	v_add_f64_e32 v[20:21], v[20:21], v[12:13]
	ds_load_b128 v[2:5], v1 offset:1696
	ds_load_b128 v[10:13], v1 offset:1712
	s_wait_loadcnt_dscnt 0x301
	v_mul_f64_e32 v[28:29], v[2:3], v[36:37]
	v_mul_f64_e32 v[36:37], v[4:5], v[36:37]
	s_wait_loadcnt_dscnt 0x200
	v_mul_f64_e32 v[22:23], v[10:11], v[42:43]
	v_add_f64_e32 v[18:19], v[18:19], v[26:27]
	v_add_f64_e32 v[20:21], v[20:21], v[32:33]
	v_mul_f64_e32 v[24:25], v[12:13], v[42:43]
	v_fma_f64 v[26:27], v[4:5], v[34:35], v[28:29]
	v_fma_f64 v[28:29], v[2:3], v[34:35], -v[36:37]
	v_fma_f64 v[12:13], v[12:13], v[40:41], v[22:23]
	v_add_f64_e32 v[18:19], v[18:19], v[14:15]
	v_add_f64_e32 v[20:21], v[20:21], v[16:17]
	ds_load_b128 v[2:5], v1 offset:1728
	ds_load_b128 v[14:17], v1 offset:1744
	v_fma_f64 v[10:11], v[10:11], v[40:41], -v[24:25]
	s_wait_loadcnt_dscnt 0x1
	v_mul_f64_e32 v[30:31], v[2:3], v[169:170]
	v_mul_f64_e32 v[32:33], v[4:5], v[169:170]
	s_wait_dscnt 0x0
	v_mul_f64_e32 v[22:23], v[14:15], v[8:9]
	v_mul_f64_e32 v[8:9], v[16:17], v[8:9]
	v_add_f64_e32 v[18:19], v[18:19], v[28:29]
	v_add_f64_e32 v[20:21], v[20:21], v[26:27]
	v_fma_f64 v[4:5], v[4:5], v[167:168], v[30:31]
	v_fma_f64 v[1:2], v[2:3], v[167:168], -v[32:33]
	v_fma_f64 v[16:17], v[16:17], v[6:7], v[22:23]
	v_fma_f64 v[6:7], v[14:15], v[6:7], -v[8:9]
	v_add_f64_e32 v[10:11], v[18:19], v[10:11]
	v_add_f64_e32 v[12:13], v[20:21], v[12:13]
	s_delay_alu instid0(VALU_DEP_2) | instskip(NEXT) | instid1(VALU_DEP_2)
	v_add_f64_e32 v[1:2], v[10:11], v[1:2]
	v_add_f64_e32 v[3:4], v[12:13], v[4:5]
	s_delay_alu instid0(VALU_DEP_2) | instskip(NEXT) | instid1(VALU_DEP_2)
	;; [unrolled: 3-line block ×3, first 2 shown]
	v_add_f64_e64 v[1:2], v[157:158], -v[1:2]
	v_add_f64_e64 v[3:4], v[159:160], -v[3:4]
	scratch_store_b128 off, v[1:4], off offset:528
	v_cmpx_lt_u32_e32 31, v0
	s_cbranch_execz .LBB54_281
; %bb.280:
	scratch_load_b128 v[1:4], off, s37
	v_mov_b32_e32 v5, 0
	s_delay_alu instid0(VALU_DEP_1)
	v_dual_mov_b32 v6, v5 :: v_dual_mov_b32 v7, v5
	v_mov_b32_e32 v8, v5
	scratch_store_b128 off, v[5:8], off offset:512
	s_wait_loadcnt 0x0
	ds_store_b128 v156, v[1:4]
.LBB54_281:
	s_wait_alu 0xfffe
	s_or_b32 exec_lo, exec_lo, s0
	s_wait_storecnt_dscnt 0x0
	s_barrier_signal -1
	s_barrier_wait -1
	global_inv scope:SCOPE_SE
	s_clause 0x7
	scratch_load_b128 v[2:5], off, off offset:528
	scratch_load_b128 v[6:9], off, off offset:544
	;; [unrolled: 1-line block ×8, first 2 shown]
	v_mov_b32_e32 v1, 0
	s_mov_b32 s0, exec_lo
	ds_load_b128 v[34:37], v1 offset:1392
	s_clause 0x1
	scratch_load_b128 v[38:41], off, off offset:656
	scratch_load_b128 v[42:45], off, off offset:512
	ds_load_b128 v[157:160], v1 offset:1408
	scratch_load_b128 v[161:164], off, off offset:672
	s_wait_loadcnt_dscnt 0xa01
	v_mul_f64_e32 v[165:166], v[36:37], v[4:5]
	v_mul_f64_e32 v[4:5], v[34:35], v[4:5]
	s_delay_alu instid0(VALU_DEP_2) | instskip(NEXT) | instid1(VALU_DEP_2)
	v_fma_f64 v[171:172], v[34:35], v[2:3], -v[165:166]
	v_fma_f64 v[173:174], v[36:37], v[2:3], v[4:5]
	ds_load_b128 v[2:5], v1 offset:1424
	s_wait_loadcnt_dscnt 0x901
	v_mul_f64_e32 v[169:170], v[157:158], v[8:9]
	v_mul_f64_e32 v[8:9], v[159:160], v[8:9]
	scratch_load_b128 v[34:37], off, off offset:688
	ds_load_b128 v[165:168], v1 offset:1440
	s_wait_loadcnt_dscnt 0x901
	v_mul_f64_e32 v[175:176], v[2:3], v[12:13]
	v_mul_f64_e32 v[12:13], v[4:5], v[12:13]
	v_fma_f64 v[159:160], v[159:160], v[6:7], v[169:170]
	v_fma_f64 v[157:158], v[157:158], v[6:7], -v[8:9]
	v_add_f64_e32 v[169:170], 0, v[171:172]
	v_add_f64_e32 v[171:172], 0, v[173:174]
	scratch_load_b128 v[6:9], off, off offset:704
	v_fma_f64 v[175:176], v[4:5], v[10:11], v[175:176]
	v_fma_f64 v[177:178], v[2:3], v[10:11], -v[12:13]
	ds_load_b128 v[2:5], v1 offset:1456
	s_wait_loadcnt_dscnt 0x901
	v_mul_f64_e32 v[173:174], v[165:166], v[16:17]
	v_mul_f64_e32 v[16:17], v[167:168], v[16:17]
	scratch_load_b128 v[10:13], off, off offset:720
	v_add_f64_e32 v[169:170], v[169:170], v[157:158]
	v_add_f64_e32 v[171:172], v[171:172], v[159:160]
	s_wait_loadcnt_dscnt 0x900
	v_mul_f64_e32 v[179:180], v[2:3], v[20:21]
	v_mul_f64_e32 v[20:21], v[4:5], v[20:21]
	ds_load_b128 v[157:160], v1 offset:1472
	v_fma_f64 v[167:168], v[167:168], v[14:15], v[173:174]
	v_fma_f64 v[165:166], v[165:166], v[14:15], -v[16:17]
	scratch_load_b128 v[14:17], off, off offset:736
	v_add_f64_e32 v[169:170], v[169:170], v[177:178]
	v_add_f64_e32 v[171:172], v[171:172], v[175:176]
	v_fma_f64 v[175:176], v[4:5], v[18:19], v[179:180]
	v_fma_f64 v[177:178], v[2:3], v[18:19], -v[20:21]
	ds_load_b128 v[2:5], v1 offset:1488
	s_wait_loadcnt_dscnt 0x901
	v_mul_f64_e32 v[173:174], v[157:158], v[24:25]
	v_mul_f64_e32 v[24:25], v[159:160], v[24:25]
	scratch_load_b128 v[18:21], off, off offset:752
	s_wait_loadcnt_dscnt 0x900
	v_mul_f64_e32 v[179:180], v[2:3], v[28:29]
	v_mul_f64_e32 v[28:29], v[4:5], v[28:29]
	v_add_f64_e32 v[169:170], v[169:170], v[165:166]
	v_add_f64_e32 v[171:172], v[171:172], v[167:168]
	ds_load_b128 v[165:168], v1 offset:1504
	v_fma_f64 v[159:160], v[159:160], v[22:23], v[173:174]
	v_fma_f64 v[157:158], v[157:158], v[22:23], -v[24:25]
	scratch_load_b128 v[22:25], off, off offset:768
	v_add_f64_e32 v[169:170], v[169:170], v[177:178]
	v_add_f64_e32 v[171:172], v[171:172], v[175:176]
	v_fma_f64 v[175:176], v[4:5], v[26:27], v[179:180]
	v_fma_f64 v[177:178], v[2:3], v[26:27], -v[28:29]
	ds_load_b128 v[2:5], v1 offset:1520
	s_wait_loadcnt_dscnt 0x901
	v_mul_f64_e32 v[173:174], v[165:166], v[32:33]
	v_mul_f64_e32 v[32:33], v[167:168], v[32:33]
	scratch_load_b128 v[26:29], off, off offset:784
	s_wait_loadcnt_dscnt 0x900
	v_mul_f64_e32 v[179:180], v[2:3], v[40:41]
	v_mul_f64_e32 v[40:41], v[4:5], v[40:41]
	v_add_f64_e32 v[169:170], v[169:170], v[157:158]
	v_add_f64_e32 v[171:172], v[171:172], v[159:160]
	ds_load_b128 v[157:160], v1 offset:1536
	v_fma_f64 v[167:168], v[167:168], v[30:31], v[173:174]
	v_fma_f64 v[165:166], v[165:166], v[30:31], -v[32:33]
	scratch_load_b128 v[30:33], off, off offset:800
	v_add_f64_e32 v[169:170], v[169:170], v[177:178]
	v_add_f64_e32 v[171:172], v[171:172], v[175:176]
	v_fma_f64 v[177:178], v[4:5], v[38:39], v[179:180]
	v_fma_f64 v[179:180], v[2:3], v[38:39], -v[40:41]
	ds_load_b128 v[2:5], v1 offset:1552
	s_wait_loadcnt_dscnt 0x801
	v_mul_f64_e32 v[173:174], v[157:158], v[163:164]
	v_mul_f64_e32 v[175:176], v[159:160], v[163:164]
	scratch_load_b128 v[38:41], off, off offset:816
	v_add_f64_e32 v[169:170], v[169:170], v[165:166]
	v_add_f64_e32 v[167:168], v[171:172], v[167:168]
	ds_load_b128 v[163:166], v1 offset:1568
	v_fma_f64 v[173:174], v[159:160], v[161:162], v[173:174]
	v_fma_f64 v[161:162], v[157:158], v[161:162], -v[175:176]
	scratch_load_b128 v[157:160], off, off offset:832
	s_wait_loadcnt_dscnt 0x901
	v_mul_f64_e32 v[171:172], v[2:3], v[36:37]
	v_mul_f64_e32 v[36:37], v[4:5], v[36:37]
	v_add_f64_e32 v[169:170], v[169:170], v[179:180]
	v_add_f64_e32 v[167:168], v[167:168], v[177:178]
	s_delay_alu instid0(VALU_DEP_4) | instskip(NEXT) | instid1(VALU_DEP_4)
	v_fma_f64 v[171:172], v[4:5], v[34:35], v[171:172]
	v_fma_f64 v[177:178], v[2:3], v[34:35], -v[36:37]
	ds_load_b128 v[2:5], v1 offset:1584
	s_wait_loadcnt_dscnt 0x801
	v_mul_f64_e32 v[175:176], v[163:164], v[8:9]
	v_mul_f64_e32 v[8:9], v[165:166], v[8:9]
	scratch_load_b128 v[34:37], off, off offset:848
	s_wait_loadcnt_dscnt 0x800
	v_mul_f64_e32 v[179:180], v[2:3], v[12:13]
	v_add_f64_e32 v[161:162], v[169:170], v[161:162]
	v_add_f64_e32 v[173:174], v[167:168], v[173:174]
	v_mul_f64_e32 v[12:13], v[4:5], v[12:13]
	ds_load_b128 v[167:170], v1 offset:1600
	v_fma_f64 v[165:166], v[165:166], v[6:7], v[175:176]
	v_fma_f64 v[163:164], v[163:164], v[6:7], -v[8:9]
	scratch_load_b128 v[6:9], off, off offset:864
	v_fma_f64 v[175:176], v[4:5], v[10:11], v[179:180]
	v_add_f64_e32 v[161:162], v[161:162], v[177:178]
	v_add_f64_e32 v[171:172], v[173:174], v[171:172]
	v_fma_f64 v[177:178], v[2:3], v[10:11], -v[12:13]
	ds_load_b128 v[2:5], v1 offset:1616
	s_wait_loadcnt_dscnt 0x801
	v_mul_f64_e32 v[173:174], v[167:168], v[16:17]
	v_mul_f64_e32 v[16:17], v[169:170], v[16:17]
	scratch_load_b128 v[10:13], off, off offset:880
	v_add_f64_e32 v[179:180], v[161:162], v[163:164]
	v_add_f64_e32 v[165:166], v[171:172], v[165:166]
	s_wait_loadcnt_dscnt 0x800
	v_mul_f64_e32 v[171:172], v[2:3], v[20:21]
	v_mul_f64_e32 v[20:21], v[4:5], v[20:21]
	v_fma_f64 v[169:170], v[169:170], v[14:15], v[173:174]
	v_fma_f64 v[14:15], v[167:168], v[14:15], -v[16:17]
	ds_load_b128 v[161:164], v1 offset:1632
	s_wait_loadcnt_dscnt 0x700
	v_mul_f64_e32 v[167:168], v[161:162], v[24:25]
	v_mul_f64_e32 v[24:25], v[163:164], v[24:25]
	v_add_f64_e32 v[16:17], v[179:180], v[177:178]
	v_add_f64_e32 v[165:166], v[165:166], v[175:176]
	v_fma_f64 v[171:172], v[4:5], v[18:19], v[171:172]
	v_fma_f64 v[18:19], v[2:3], v[18:19], -v[20:21]
	v_fma_f64 v[163:164], v[163:164], v[22:23], v[167:168]
	v_fma_f64 v[22:23], v[161:162], v[22:23], -v[24:25]
	v_add_f64_e32 v[20:21], v[16:17], v[14:15]
	v_add_f64_e32 v[165:166], v[165:166], v[169:170]
	ds_load_b128 v[2:5], v1 offset:1648
	ds_load_b128 v[14:17], v1 offset:1664
	s_wait_loadcnt_dscnt 0x601
	v_mul_f64_e32 v[169:170], v[2:3], v[28:29]
	v_mul_f64_e32 v[28:29], v[4:5], v[28:29]
	s_wait_loadcnt_dscnt 0x500
	v_mul_f64_e32 v[24:25], v[14:15], v[32:33]
	v_mul_f64_e32 v[32:33], v[16:17], v[32:33]
	v_add_f64_e32 v[18:19], v[20:21], v[18:19]
	v_add_f64_e32 v[20:21], v[165:166], v[171:172]
	v_fma_f64 v[161:162], v[4:5], v[26:27], v[169:170]
	v_fma_f64 v[26:27], v[2:3], v[26:27], -v[28:29]
	v_fma_f64 v[16:17], v[16:17], v[30:31], v[24:25]
	v_fma_f64 v[14:15], v[14:15], v[30:31], -v[32:33]
	v_add_f64_e32 v[22:23], v[18:19], v[22:23]
	v_add_f64_e32 v[28:29], v[20:21], v[163:164]
	ds_load_b128 v[2:5], v1 offset:1680
	ds_load_b128 v[18:21], v1 offset:1696
	s_wait_loadcnt_dscnt 0x401
	v_mul_f64_e32 v[163:164], v[2:3], v[40:41]
	v_mul_f64_e32 v[40:41], v[4:5], v[40:41]
	v_add_f64_e32 v[22:23], v[22:23], v[26:27]
	v_add_f64_e32 v[24:25], v[28:29], v[161:162]
	s_wait_loadcnt_dscnt 0x300
	v_mul_f64_e32 v[26:27], v[18:19], v[159:160]
	v_mul_f64_e32 v[28:29], v[20:21], v[159:160]
	v_fma_f64 v[30:31], v[4:5], v[38:39], v[163:164]
	v_fma_f64 v[32:33], v[2:3], v[38:39], -v[40:41]
	v_add_f64_e32 v[22:23], v[22:23], v[14:15]
	v_add_f64_e32 v[24:25], v[24:25], v[16:17]
	ds_load_b128 v[2:5], v1 offset:1712
	ds_load_b128 v[14:17], v1 offset:1728
	v_fma_f64 v[20:21], v[20:21], v[157:158], v[26:27]
	v_fma_f64 v[18:19], v[18:19], v[157:158], -v[28:29]
	s_wait_loadcnt_dscnt 0x201
	v_mul_f64_e32 v[38:39], v[2:3], v[36:37]
	v_mul_f64_e32 v[36:37], v[4:5], v[36:37]
	s_wait_loadcnt_dscnt 0x100
	v_mul_f64_e32 v[26:27], v[14:15], v[8:9]
	v_mul_f64_e32 v[8:9], v[16:17], v[8:9]
	v_add_f64_e32 v[22:23], v[22:23], v[32:33]
	v_add_f64_e32 v[24:25], v[24:25], v[30:31]
	v_fma_f64 v[28:29], v[4:5], v[34:35], v[38:39]
	v_fma_f64 v[30:31], v[2:3], v[34:35], -v[36:37]
	ds_load_b128 v[2:5], v1 offset:1744
	v_fma_f64 v[16:17], v[16:17], v[6:7], v[26:27]
	v_fma_f64 v[6:7], v[14:15], v[6:7], -v[8:9]
	v_add_f64_e32 v[18:19], v[22:23], v[18:19]
	v_add_f64_e32 v[20:21], v[24:25], v[20:21]
	s_wait_loadcnt_dscnt 0x0
	v_mul_f64_e32 v[22:23], v[2:3], v[12:13]
	v_mul_f64_e32 v[12:13], v[4:5], v[12:13]
	s_delay_alu instid0(VALU_DEP_4) | instskip(NEXT) | instid1(VALU_DEP_4)
	v_add_f64_e32 v[8:9], v[18:19], v[30:31]
	v_add_f64_e32 v[14:15], v[20:21], v[28:29]
	s_delay_alu instid0(VALU_DEP_4) | instskip(NEXT) | instid1(VALU_DEP_4)
	v_fma_f64 v[4:5], v[4:5], v[10:11], v[22:23]
	v_fma_f64 v[2:3], v[2:3], v[10:11], -v[12:13]
	s_delay_alu instid0(VALU_DEP_4) | instskip(NEXT) | instid1(VALU_DEP_4)
	v_add_f64_e32 v[6:7], v[8:9], v[6:7]
	v_add_f64_e32 v[8:9], v[14:15], v[16:17]
	s_delay_alu instid0(VALU_DEP_2) | instskip(NEXT) | instid1(VALU_DEP_2)
	v_add_f64_e32 v[2:3], v[6:7], v[2:3]
	v_add_f64_e32 v[4:5], v[8:9], v[4:5]
	s_delay_alu instid0(VALU_DEP_2) | instskip(NEXT) | instid1(VALU_DEP_2)
	v_add_f64_e64 v[2:3], v[42:43], -v[2:3]
	v_add_f64_e64 v[4:5], v[44:45], -v[4:5]
	scratch_store_b128 off, v[2:5], off offset:512
	v_cmpx_lt_u32_e32 30, v0
	s_cbranch_execz .LBB54_283
; %bb.282:
	scratch_load_b128 v[5:8], off, s38
	v_dual_mov_b32 v2, v1 :: v_dual_mov_b32 v3, v1
	v_mov_b32_e32 v4, v1
	scratch_store_b128 off, v[1:4], off offset:496
	s_wait_loadcnt 0x0
	ds_store_b128 v156, v[5:8]
.LBB54_283:
	s_wait_alu 0xfffe
	s_or_b32 exec_lo, exec_lo, s0
	s_wait_storecnt_dscnt 0x0
	s_barrier_signal -1
	s_barrier_wait -1
	global_inv scope:SCOPE_SE
	s_clause 0x8
	scratch_load_b128 v[2:5], off, off offset:512
	scratch_load_b128 v[6:9], off, off offset:528
	;; [unrolled: 1-line block ×9, first 2 shown]
	ds_load_b128 v[38:41], v1 offset:1376
	ds_load_b128 v[42:45], v1 offset:1392
	s_clause 0x1
	scratch_load_b128 v[157:160], off, off offset:496
	scratch_load_b128 v[161:164], off, off offset:656
	s_mov_b32 s0, exec_lo
	s_wait_loadcnt_dscnt 0xa01
	v_mul_f64_e32 v[165:166], v[40:41], v[4:5]
	v_mul_f64_e32 v[4:5], v[38:39], v[4:5]
	s_wait_loadcnt_dscnt 0x900
	v_mul_f64_e32 v[169:170], v[42:43], v[8:9]
	v_mul_f64_e32 v[8:9], v[44:45], v[8:9]
	s_delay_alu instid0(VALU_DEP_4) | instskip(NEXT) | instid1(VALU_DEP_4)
	v_fma_f64 v[171:172], v[38:39], v[2:3], -v[165:166]
	v_fma_f64 v[173:174], v[40:41], v[2:3], v[4:5]
	ds_load_b128 v[2:5], v1 offset:1408
	ds_load_b128 v[165:168], v1 offset:1424
	scratch_load_b128 v[38:41], off, off offset:672
	v_fma_f64 v[44:45], v[44:45], v[6:7], v[169:170]
	v_fma_f64 v[42:43], v[42:43], v[6:7], -v[8:9]
	scratch_load_b128 v[6:9], off, off offset:688
	s_wait_loadcnt_dscnt 0xa01
	v_mul_f64_e32 v[175:176], v[2:3], v[12:13]
	v_mul_f64_e32 v[12:13], v[4:5], v[12:13]
	v_add_f64_e32 v[169:170], 0, v[171:172]
	v_add_f64_e32 v[171:172], 0, v[173:174]
	s_wait_loadcnt_dscnt 0x900
	v_mul_f64_e32 v[173:174], v[165:166], v[16:17]
	v_mul_f64_e32 v[16:17], v[167:168], v[16:17]
	v_fma_f64 v[175:176], v[4:5], v[10:11], v[175:176]
	v_fma_f64 v[177:178], v[2:3], v[10:11], -v[12:13]
	ds_load_b128 v[2:5], v1 offset:1440
	scratch_load_b128 v[10:13], off, off offset:704
	v_add_f64_e32 v[169:170], v[169:170], v[42:43]
	v_add_f64_e32 v[171:172], v[171:172], v[44:45]
	ds_load_b128 v[42:45], v1 offset:1456
	v_fma_f64 v[167:168], v[167:168], v[14:15], v[173:174]
	v_fma_f64 v[165:166], v[165:166], v[14:15], -v[16:17]
	scratch_load_b128 v[14:17], off, off offset:720
	s_wait_loadcnt_dscnt 0xa01
	v_mul_f64_e32 v[179:180], v[2:3], v[20:21]
	v_mul_f64_e32 v[20:21], v[4:5], v[20:21]
	s_wait_loadcnt_dscnt 0x900
	v_mul_f64_e32 v[173:174], v[42:43], v[24:25]
	v_mul_f64_e32 v[24:25], v[44:45], v[24:25]
	v_add_f64_e32 v[169:170], v[169:170], v[177:178]
	v_add_f64_e32 v[171:172], v[171:172], v[175:176]
	v_fma_f64 v[175:176], v[4:5], v[18:19], v[179:180]
	v_fma_f64 v[177:178], v[2:3], v[18:19], -v[20:21]
	ds_load_b128 v[2:5], v1 offset:1472
	scratch_load_b128 v[18:21], off, off offset:736
	v_fma_f64 v[44:45], v[44:45], v[22:23], v[173:174]
	v_fma_f64 v[42:43], v[42:43], v[22:23], -v[24:25]
	scratch_load_b128 v[22:25], off, off offset:752
	v_add_f64_e32 v[169:170], v[169:170], v[165:166]
	v_add_f64_e32 v[171:172], v[171:172], v[167:168]
	ds_load_b128 v[165:168], v1 offset:1488
	s_wait_loadcnt_dscnt 0xa01
	v_mul_f64_e32 v[179:180], v[2:3], v[28:29]
	v_mul_f64_e32 v[28:29], v[4:5], v[28:29]
	s_wait_loadcnt_dscnt 0x900
	v_mul_f64_e32 v[173:174], v[165:166], v[32:33]
	v_mul_f64_e32 v[32:33], v[167:168], v[32:33]
	v_add_f64_e32 v[169:170], v[169:170], v[177:178]
	v_add_f64_e32 v[171:172], v[171:172], v[175:176]
	v_fma_f64 v[175:176], v[4:5], v[26:27], v[179:180]
	v_fma_f64 v[177:178], v[2:3], v[26:27], -v[28:29]
	ds_load_b128 v[2:5], v1 offset:1504
	scratch_load_b128 v[26:29], off, off offset:768
	v_fma_f64 v[167:168], v[167:168], v[30:31], v[173:174]
	v_fma_f64 v[165:166], v[165:166], v[30:31], -v[32:33]
	scratch_load_b128 v[30:33], off, off offset:784
	v_add_f64_e32 v[169:170], v[169:170], v[42:43]
	v_add_f64_e32 v[171:172], v[171:172], v[44:45]
	ds_load_b128 v[42:45], v1 offset:1520
	s_wait_loadcnt_dscnt 0xa01
	v_mul_f64_e32 v[179:180], v[2:3], v[36:37]
	v_mul_f64_e32 v[36:37], v[4:5], v[36:37]
	s_wait_loadcnt_dscnt 0x800
	v_mul_f64_e32 v[173:174], v[42:43], v[163:164]
	v_add_f64_e32 v[169:170], v[169:170], v[177:178]
	v_add_f64_e32 v[171:172], v[171:172], v[175:176]
	v_mul_f64_e32 v[175:176], v[44:45], v[163:164]
	v_fma_f64 v[177:178], v[4:5], v[34:35], v[179:180]
	v_fma_f64 v[179:180], v[2:3], v[34:35], -v[36:37]
	ds_load_b128 v[2:5], v1 offset:1536
	scratch_load_b128 v[34:37], off, off offset:800
	v_fma_f64 v[44:45], v[44:45], v[161:162], v[173:174]
	v_add_f64_e32 v[169:170], v[169:170], v[165:166]
	v_add_f64_e32 v[167:168], v[171:172], v[167:168]
	ds_load_b128 v[163:166], v1 offset:1552
	v_fma_f64 v[161:162], v[42:43], v[161:162], -v[175:176]
	s_wait_loadcnt_dscnt 0x801
	v_mul_f64_e32 v[171:172], v[2:3], v[40:41]
	v_mul_f64_e32 v[181:182], v[4:5], v[40:41]
	scratch_load_b128 v[40:43], off, off offset:816
	s_wait_loadcnt_dscnt 0x800
	v_mul_f64_e32 v[175:176], v[163:164], v[8:9]
	v_mul_f64_e32 v[8:9], v[165:166], v[8:9]
	v_add_f64_e32 v[169:170], v[169:170], v[179:180]
	v_add_f64_e32 v[167:168], v[167:168], v[177:178]
	v_fma_f64 v[177:178], v[4:5], v[38:39], v[171:172]
	v_fma_f64 v[38:39], v[2:3], v[38:39], -v[181:182]
	ds_load_b128 v[2:5], v1 offset:1568
	ds_load_b128 v[171:174], v1 offset:1584
	v_fma_f64 v[165:166], v[165:166], v[6:7], v[175:176]
	v_fma_f64 v[163:164], v[163:164], v[6:7], -v[8:9]
	scratch_load_b128 v[6:9], off, off offset:848
	v_add_f64_e32 v[161:162], v[169:170], v[161:162]
	v_add_f64_e32 v[44:45], v[167:168], v[44:45]
	scratch_load_b128 v[167:170], off, off offset:832
	s_wait_loadcnt_dscnt 0x901
	v_mul_f64_e32 v[179:180], v[2:3], v[12:13]
	v_mul_f64_e32 v[12:13], v[4:5], v[12:13]
	s_wait_loadcnt_dscnt 0x800
	v_mul_f64_e32 v[175:176], v[171:172], v[16:17]
	v_mul_f64_e32 v[16:17], v[173:174], v[16:17]
	v_add_f64_e32 v[38:39], v[161:162], v[38:39]
	v_add_f64_e32 v[44:45], v[44:45], v[177:178]
	v_fma_f64 v[177:178], v[4:5], v[10:11], v[179:180]
	v_fma_f64 v[179:180], v[2:3], v[10:11], -v[12:13]
	ds_load_b128 v[2:5], v1 offset:1600
	scratch_load_b128 v[10:13], off, off offset:864
	v_fma_f64 v[173:174], v[173:174], v[14:15], v[175:176]
	v_fma_f64 v[171:172], v[171:172], v[14:15], -v[16:17]
	scratch_load_b128 v[14:17], off, off offset:880
	v_add_f64_e32 v[38:39], v[38:39], v[163:164]
	v_add_f64_e32 v[44:45], v[44:45], v[165:166]
	ds_load_b128 v[161:164], v1 offset:1616
	s_wait_loadcnt_dscnt 0x901
	v_mul_f64_e32 v[165:166], v[2:3], v[20:21]
	v_mul_f64_e32 v[20:21], v[4:5], v[20:21]
	s_wait_loadcnt_dscnt 0x800
	v_mul_f64_e32 v[175:176], v[161:162], v[24:25]
	v_mul_f64_e32 v[24:25], v[163:164], v[24:25]
	v_add_f64_e32 v[38:39], v[38:39], v[179:180]
	v_add_f64_e32 v[44:45], v[44:45], v[177:178]
	v_fma_f64 v[165:166], v[4:5], v[18:19], v[165:166]
	v_fma_f64 v[177:178], v[2:3], v[18:19], -v[20:21]
	ds_load_b128 v[2:5], v1 offset:1632
	ds_load_b128 v[18:21], v1 offset:1648
	v_fma_f64 v[163:164], v[163:164], v[22:23], v[175:176]
	v_fma_f64 v[22:23], v[161:162], v[22:23], -v[24:25]
	v_add_f64_e32 v[38:39], v[38:39], v[171:172]
	v_add_f64_e32 v[44:45], v[44:45], v[173:174]
	s_wait_loadcnt_dscnt 0x701
	v_mul_f64_e32 v[171:172], v[2:3], v[28:29]
	v_mul_f64_e32 v[28:29], v[4:5], v[28:29]
	s_delay_alu instid0(VALU_DEP_4) | instskip(NEXT) | instid1(VALU_DEP_4)
	v_add_f64_e32 v[24:25], v[38:39], v[177:178]
	v_add_f64_e32 v[38:39], v[44:45], v[165:166]
	s_wait_loadcnt_dscnt 0x600
	v_mul_f64_e32 v[44:45], v[18:19], v[32:33]
	v_mul_f64_e32 v[32:33], v[20:21], v[32:33]
	v_fma_f64 v[161:162], v[4:5], v[26:27], v[171:172]
	v_fma_f64 v[26:27], v[2:3], v[26:27], -v[28:29]
	v_add_f64_e32 v[28:29], v[24:25], v[22:23]
	v_add_f64_e32 v[38:39], v[38:39], v[163:164]
	ds_load_b128 v[2:5], v1 offset:1664
	ds_load_b128 v[22:25], v1 offset:1680
	v_fma_f64 v[20:21], v[20:21], v[30:31], v[44:45]
	v_fma_f64 v[18:19], v[18:19], v[30:31], -v[32:33]
	s_wait_loadcnt_dscnt 0x501
	v_mul_f64_e32 v[163:164], v[2:3], v[36:37]
	v_mul_f64_e32 v[36:37], v[4:5], v[36:37]
	s_wait_loadcnt_dscnt 0x400
	v_mul_f64_e32 v[30:31], v[22:23], v[42:43]
	v_add_f64_e32 v[26:27], v[28:29], v[26:27]
	v_add_f64_e32 v[28:29], v[38:39], v[161:162]
	v_mul_f64_e32 v[32:33], v[24:25], v[42:43]
	v_fma_f64 v[38:39], v[4:5], v[34:35], v[163:164]
	v_fma_f64 v[34:35], v[2:3], v[34:35], -v[36:37]
	v_fma_f64 v[24:25], v[24:25], v[40:41], v[30:31]
	v_add_f64_e32 v[26:27], v[26:27], v[18:19]
	v_add_f64_e32 v[28:29], v[28:29], v[20:21]
	ds_load_b128 v[2:5], v1 offset:1696
	ds_load_b128 v[18:21], v1 offset:1712
	v_fma_f64 v[22:23], v[22:23], v[40:41], -v[32:33]
	s_wait_loadcnt_dscnt 0x201
	v_mul_f64_e32 v[36:37], v[2:3], v[169:170]
	v_mul_f64_e32 v[42:43], v[4:5], v[169:170]
	s_wait_dscnt 0x0
	v_mul_f64_e32 v[30:31], v[18:19], v[8:9]
	v_mul_f64_e32 v[8:9], v[20:21], v[8:9]
	v_add_f64_e32 v[26:27], v[26:27], v[34:35]
	v_add_f64_e32 v[28:29], v[28:29], v[38:39]
	v_fma_f64 v[32:33], v[4:5], v[167:168], v[36:37]
	v_fma_f64 v[34:35], v[2:3], v[167:168], -v[42:43]
	v_fma_f64 v[20:21], v[20:21], v[6:7], v[30:31]
	v_fma_f64 v[6:7], v[18:19], v[6:7], -v[8:9]
	v_add_f64_e32 v[26:27], v[26:27], v[22:23]
	v_add_f64_e32 v[28:29], v[28:29], v[24:25]
	ds_load_b128 v[2:5], v1 offset:1728
	ds_load_b128 v[22:25], v1 offset:1744
	s_wait_loadcnt_dscnt 0x101
	v_mul_f64_e32 v[36:37], v[2:3], v[12:13]
	v_mul_f64_e32 v[12:13], v[4:5], v[12:13]
	v_add_f64_e32 v[8:9], v[26:27], v[34:35]
	v_add_f64_e32 v[18:19], v[28:29], v[32:33]
	s_wait_loadcnt_dscnt 0x0
	v_mul_f64_e32 v[26:27], v[22:23], v[16:17]
	v_mul_f64_e32 v[16:17], v[24:25], v[16:17]
	v_fma_f64 v[4:5], v[4:5], v[10:11], v[36:37]
	v_fma_f64 v[1:2], v[2:3], v[10:11], -v[12:13]
	v_add_f64_e32 v[6:7], v[8:9], v[6:7]
	v_add_f64_e32 v[8:9], v[18:19], v[20:21]
	v_fma_f64 v[10:11], v[24:25], v[14:15], v[26:27]
	v_fma_f64 v[12:13], v[22:23], v[14:15], -v[16:17]
	s_delay_alu instid0(VALU_DEP_4) | instskip(NEXT) | instid1(VALU_DEP_4)
	v_add_f64_e32 v[1:2], v[6:7], v[1:2]
	v_add_f64_e32 v[3:4], v[8:9], v[4:5]
	s_delay_alu instid0(VALU_DEP_2) | instskip(NEXT) | instid1(VALU_DEP_2)
	v_add_f64_e32 v[1:2], v[1:2], v[12:13]
	v_add_f64_e32 v[3:4], v[3:4], v[10:11]
	s_delay_alu instid0(VALU_DEP_2) | instskip(NEXT) | instid1(VALU_DEP_2)
	v_add_f64_e64 v[1:2], v[157:158], -v[1:2]
	v_add_f64_e64 v[3:4], v[159:160], -v[3:4]
	scratch_store_b128 off, v[1:4], off offset:496
	v_cmpx_lt_u32_e32 29, v0
	s_cbranch_execz .LBB54_285
; %bb.284:
	scratch_load_b128 v[1:4], off, s39
	v_mov_b32_e32 v5, 0
	s_delay_alu instid0(VALU_DEP_1)
	v_dual_mov_b32 v6, v5 :: v_dual_mov_b32 v7, v5
	v_mov_b32_e32 v8, v5
	scratch_store_b128 off, v[5:8], off offset:480
	s_wait_loadcnt 0x0
	ds_store_b128 v156, v[1:4]
.LBB54_285:
	s_wait_alu 0xfffe
	s_or_b32 exec_lo, exec_lo, s0
	s_wait_storecnt_dscnt 0x0
	s_barrier_signal -1
	s_barrier_wait -1
	global_inv scope:SCOPE_SE
	s_clause 0x7
	scratch_load_b128 v[2:5], off, off offset:496
	scratch_load_b128 v[6:9], off, off offset:512
	;; [unrolled: 1-line block ×8, first 2 shown]
	v_mov_b32_e32 v1, 0
	s_mov_b32 s0, exec_lo
	ds_load_b128 v[34:37], v1 offset:1360
	s_clause 0x1
	scratch_load_b128 v[38:41], off, off offset:624
	scratch_load_b128 v[42:45], off, off offset:480
	ds_load_b128 v[157:160], v1 offset:1376
	scratch_load_b128 v[161:164], off, off offset:640
	s_wait_loadcnt_dscnt 0xa01
	v_mul_f64_e32 v[165:166], v[36:37], v[4:5]
	v_mul_f64_e32 v[4:5], v[34:35], v[4:5]
	s_delay_alu instid0(VALU_DEP_2) | instskip(NEXT) | instid1(VALU_DEP_2)
	v_fma_f64 v[171:172], v[34:35], v[2:3], -v[165:166]
	v_fma_f64 v[173:174], v[36:37], v[2:3], v[4:5]
	ds_load_b128 v[2:5], v1 offset:1392
	s_wait_loadcnt_dscnt 0x901
	v_mul_f64_e32 v[169:170], v[157:158], v[8:9]
	v_mul_f64_e32 v[8:9], v[159:160], v[8:9]
	scratch_load_b128 v[34:37], off, off offset:656
	ds_load_b128 v[165:168], v1 offset:1408
	s_wait_loadcnt_dscnt 0x901
	v_mul_f64_e32 v[175:176], v[2:3], v[12:13]
	v_mul_f64_e32 v[12:13], v[4:5], v[12:13]
	v_fma_f64 v[159:160], v[159:160], v[6:7], v[169:170]
	v_fma_f64 v[157:158], v[157:158], v[6:7], -v[8:9]
	v_add_f64_e32 v[169:170], 0, v[171:172]
	v_add_f64_e32 v[171:172], 0, v[173:174]
	scratch_load_b128 v[6:9], off, off offset:672
	v_fma_f64 v[175:176], v[4:5], v[10:11], v[175:176]
	v_fma_f64 v[177:178], v[2:3], v[10:11], -v[12:13]
	ds_load_b128 v[2:5], v1 offset:1424
	s_wait_loadcnt_dscnt 0x901
	v_mul_f64_e32 v[173:174], v[165:166], v[16:17]
	v_mul_f64_e32 v[16:17], v[167:168], v[16:17]
	scratch_load_b128 v[10:13], off, off offset:688
	v_add_f64_e32 v[169:170], v[169:170], v[157:158]
	v_add_f64_e32 v[171:172], v[171:172], v[159:160]
	s_wait_loadcnt_dscnt 0x900
	v_mul_f64_e32 v[179:180], v[2:3], v[20:21]
	v_mul_f64_e32 v[20:21], v[4:5], v[20:21]
	ds_load_b128 v[157:160], v1 offset:1440
	v_fma_f64 v[167:168], v[167:168], v[14:15], v[173:174]
	v_fma_f64 v[165:166], v[165:166], v[14:15], -v[16:17]
	scratch_load_b128 v[14:17], off, off offset:704
	v_add_f64_e32 v[169:170], v[169:170], v[177:178]
	v_add_f64_e32 v[171:172], v[171:172], v[175:176]
	v_fma_f64 v[175:176], v[4:5], v[18:19], v[179:180]
	v_fma_f64 v[177:178], v[2:3], v[18:19], -v[20:21]
	ds_load_b128 v[2:5], v1 offset:1456
	s_wait_loadcnt_dscnt 0x901
	v_mul_f64_e32 v[173:174], v[157:158], v[24:25]
	v_mul_f64_e32 v[24:25], v[159:160], v[24:25]
	scratch_load_b128 v[18:21], off, off offset:720
	s_wait_loadcnt_dscnt 0x900
	v_mul_f64_e32 v[179:180], v[2:3], v[28:29]
	v_mul_f64_e32 v[28:29], v[4:5], v[28:29]
	v_add_f64_e32 v[169:170], v[169:170], v[165:166]
	v_add_f64_e32 v[171:172], v[171:172], v[167:168]
	ds_load_b128 v[165:168], v1 offset:1472
	v_fma_f64 v[159:160], v[159:160], v[22:23], v[173:174]
	v_fma_f64 v[157:158], v[157:158], v[22:23], -v[24:25]
	scratch_load_b128 v[22:25], off, off offset:736
	v_add_f64_e32 v[169:170], v[169:170], v[177:178]
	v_add_f64_e32 v[171:172], v[171:172], v[175:176]
	v_fma_f64 v[175:176], v[4:5], v[26:27], v[179:180]
	v_fma_f64 v[177:178], v[2:3], v[26:27], -v[28:29]
	ds_load_b128 v[2:5], v1 offset:1488
	s_wait_loadcnt_dscnt 0x901
	v_mul_f64_e32 v[173:174], v[165:166], v[32:33]
	v_mul_f64_e32 v[32:33], v[167:168], v[32:33]
	scratch_load_b128 v[26:29], off, off offset:752
	s_wait_loadcnt_dscnt 0x900
	v_mul_f64_e32 v[179:180], v[2:3], v[40:41]
	v_mul_f64_e32 v[40:41], v[4:5], v[40:41]
	v_add_f64_e32 v[169:170], v[169:170], v[157:158]
	v_add_f64_e32 v[171:172], v[171:172], v[159:160]
	ds_load_b128 v[157:160], v1 offset:1504
	v_fma_f64 v[167:168], v[167:168], v[30:31], v[173:174]
	v_fma_f64 v[165:166], v[165:166], v[30:31], -v[32:33]
	scratch_load_b128 v[30:33], off, off offset:768
	v_add_f64_e32 v[169:170], v[169:170], v[177:178]
	v_add_f64_e32 v[171:172], v[171:172], v[175:176]
	v_fma_f64 v[177:178], v[4:5], v[38:39], v[179:180]
	v_fma_f64 v[179:180], v[2:3], v[38:39], -v[40:41]
	ds_load_b128 v[2:5], v1 offset:1520
	s_wait_loadcnt_dscnt 0x801
	v_mul_f64_e32 v[173:174], v[157:158], v[163:164]
	v_mul_f64_e32 v[175:176], v[159:160], v[163:164]
	scratch_load_b128 v[38:41], off, off offset:784
	v_add_f64_e32 v[169:170], v[169:170], v[165:166]
	v_add_f64_e32 v[167:168], v[171:172], v[167:168]
	ds_load_b128 v[163:166], v1 offset:1536
	v_fma_f64 v[173:174], v[159:160], v[161:162], v[173:174]
	v_fma_f64 v[161:162], v[157:158], v[161:162], -v[175:176]
	scratch_load_b128 v[157:160], off, off offset:800
	s_wait_loadcnt_dscnt 0x901
	v_mul_f64_e32 v[171:172], v[2:3], v[36:37]
	v_mul_f64_e32 v[36:37], v[4:5], v[36:37]
	v_add_f64_e32 v[169:170], v[169:170], v[179:180]
	v_add_f64_e32 v[167:168], v[167:168], v[177:178]
	s_delay_alu instid0(VALU_DEP_4) | instskip(NEXT) | instid1(VALU_DEP_4)
	v_fma_f64 v[171:172], v[4:5], v[34:35], v[171:172]
	v_fma_f64 v[177:178], v[2:3], v[34:35], -v[36:37]
	ds_load_b128 v[2:5], v1 offset:1552
	s_wait_loadcnt_dscnt 0x801
	v_mul_f64_e32 v[175:176], v[163:164], v[8:9]
	v_mul_f64_e32 v[8:9], v[165:166], v[8:9]
	scratch_load_b128 v[34:37], off, off offset:816
	s_wait_loadcnt_dscnt 0x800
	v_mul_f64_e32 v[179:180], v[2:3], v[12:13]
	v_add_f64_e32 v[161:162], v[169:170], v[161:162]
	v_add_f64_e32 v[173:174], v[167:168], v[173:174]
	v_mul_f64_e32 v[12:13], v[4:5], v[12:13]
	ds_load_b128 v[167:170], v1 offset:1568
	v_fma_f64 v[165:166], v[165:166], v[6:7], v[175:176]
	v_fma_f64 v[163:164], v[163:164], v[6:7], -v[8:9]
	scratch_load_b128 v[6:9], off, off offset:832
	v_fma_f64 v[175:176], v[4:5], v[10:11], v[179:180]
	v_add_f64_e32 v[161:162], v[161:162], v[177:178]
	v_add_f64_e32 v[171:172], v[173:174], v[171:172]
	v_fma_f64 v[177:178], v[2:3], v[10:11], -v[12:13]
	ds_load_b128 v[2:5], v1 offset:1584
	s_wait_loadcnt_dscnt 0x801
	v_mul_f64_e32 v[173:174], v[167:168], v[16:17]
	v_mul_f64_e32 v[16:17], v[169:170], v[16:17]
	scratch_load_b128 v[10:13], off, off offset:848
	v_add_f64_e32 v[179:180], v[161:162], v[163:164]
	v_add_f64_e32 v[165:166], v[171:172], v[165:166]
	s_wait_loadcnt_dscnt 0x800
	v_mul_f64_e32 v[171:172], v[2:3], v[20:21]
	v_mul_f64_e32 v[20:21], v[4:5], v[20:21]
	v_fma_f64 v[169:170], v[169:170], v[14:15], v[173:174]
	v_fma_f64 v[167:168], v[167:168], v[14:15], -v[16:17]
	ds_load_b128 v[161:164], v1 offset:1600
	scratch_load_b128 v[14:17], off, off offset:864
	v_add_f64_e32 v[173:174], v[179:180], v[177:178]
	v_add_f64_e32 v[165:166], v[165:166], v[175:176]
	v_fma_f64 v[171:172], v[4:5], v[18:19], v[171:172]
	v_fma_f64 v[177:178], v[2:3], v[18:19], -v[20:21]
	ds_load_b128 v[2:5], v1 offset:1616
	s_wait_loadcnt_dscnt 0x801
	v_mul_f64_e32 v[175:176], v[161:162], v[24:25]
	v_mul_f64_e32 v[24:25], v[163:164], v[24:25]
	scratch_load_b128 v[18:21], off, off offset:880
	s_wait_loadcnt_dscnt 0x800
	v_mul_f64_e32 v[179:180], v[2:3], v[28:29]
	v_mul_f64_e32 v[28:29], v[4:5], v[28:29]
	v_add_f64_e32 v[173:174], v[173:174], v[167:168]
	v_add_f64_e32 v[169:170], v[165:166], v[169:170]
	ds_load_b128 v[165:168], v1 offset:1632
	v_fma_f64 v[163:164], v[163:164], v[22:23], v[175:176]
	v_fma_f64 v[22:23], v[161:162], v[22:23], -v[24:25]
	v_add_f64_e32 v[24:25], v[173:174], v[177:178]
	v_add_f64_e32 v[161:162], v[169:170], v[171:172]
	s_wait_loadcnt_dscnt 0x700
	v_mul_f64_e32 v[169:170], v[165:166], v[32:33]
	v_mul_f64_e32 v[32:33], v[167:168], v[32:33]
	v_fma_f64 v[171:172], v[4:5], v[26:27], v[179:180]
	v_fma_f64 v[26:27], v[2:3], v[26:27], -v[28:29]
	v_add_f64_e32 v[28:29], v[24:25], v[22:23]
	v_add_f64_e32 v[161:162], v[161:162], v[163:164]
	ds_load_b128 v[2:5], v1 offset:1648
	ds_load_b128 v[22:25], v1 offset:1664
	v_fma_f64 v[167:168], v[167:168], v[30:31], v[169:170]
	v_fma_f64 v[30:31], v[165:166], v[30:31], -v[32:33]
	s_wait_loadcnt_dscnt 0x601
	v_mul_f64_e32 v[163:164], v[2:3], v[40:41]
	v_mul_f64_e32 v[40:41], v[4:5], v[40:41]
	s_wait_loadcnt_dscnt 0x500
	v_mul_f64_e32 v[32:33], v[22:23], v[159:160]
	v_mul_f64_e32 v[159:160], v[24:25], v[159:160]
	v_add_f64_e32 v[26:27], v[28:29], v[26:27]
	v_add_f64_e32 v[28:29], v[161:162], v[171:172]
	v_fma_f64 v[161:162], v[4:5], v[38:39], v[163:164]
	v_fma_f64 v[38:39], v[2:3], v[38:39], -v[40:41]
	v_fma_f64 v[24:25], v[24:25], v[157:158], v[32:33]
	v_fma_f64 v[22:23], v[22:23], v[157:158], -v[159:160]
	v_add_f64_e32 v[30:31], v[26:27], v[30:31]
	v_add_f64_e32 v[40:41], v[28:29], v[167:168]
	ds_load_b128 v[2:5], v1 offset:1680
	ds_load_b128 v[26:29], v1 offset:1696
	s_wait_loadcnt_dscnt 0x401
	v_mul_f64_e32 v[163:164], v[2:3], v[36:37]
	v_mul_f64_e32 v[36:37], v[4:5], v[36:37]
	v_add_f64_e32 v[30:31], v[30:31], v[38:39]
	v_add_f64_e32 v[32:33], v[40:41], v[161:162]
	s_wait_loadcnt_dscnt 0x300
	v_mul_f64_e32 v[38:39], v[26:27], v[8:9]
	v_mul_f64_e32 v[8:9], v[28:29], v[8:9]
	v_fma_f64 v[40:41], v[4:5], v[34:35], v[163:164]
	v_fma_f64 v[34:35], v[2:3], v[34:35], -v[36:37]
	v_add_f64_e32 v[30:31], v[30:31], v[22:23]
	v_add_f64_e32 v[32:33], v[32:33], v[24:25]
	ds_load_b128 v[2:5], v1 offset:1712
	ds_load_b128 v[22:25], v1 offset:1728
	v_fma_f64 v[28:29], v[28:29], v[6:7], v[38:39]
	v_fma_f64 v[6:7], v[26:27], v[6:7], -v[8:9]
	s_wait_loadcnt_dscnt 0x201
	v_mul_f64_e32 v[36:37], v[2:3], v[12:13]
	v_mul_f64_e32 v[12:13], v[4:5], v[12:13]
	v_add_f64_e32 v[8:9], v[30:31], v[34:35]
	v_add_f64_e32 v[26:27], v[32:33], v[40:41]
	s_wait_loadcnt_dscnt 0x100
	v_mul_f64_e32 v[30:31], v[22:23], v[16:17]
	v_mul_f64_e32 v[16:17], v[24:25], v[16:17]
	v_fma_f64 v[32:33], v[4:5], v[10:11], v[36:37]
	v_fma_f64 v[10:11], v[2:3], v[10:11], -v[12:13]
	ds_load_b128 v[2:5], v1 offset:1744
	v_add_f64_e32 v[6:7], v[8:9], v[6:7]
	v_add_f64_e32 v[8:9], v[26:27], v[28:29]
	v_fma_f64 v[24:25], v[24:25], v[14:15], v[30:31]
	v_fma_f64 v[14:15], v[22:23], v[14:15], -v[16:17]
	s_wait_loadcnt_dscnt 0x0
	v_mul_f64_e32 v[12:13], v[2:3], v[20:21]
	v_mul_f64_e32 v[20:21], v[4:5], v[20:21]
	v_add_f64_e32 v[6:7], v[6:7], v[10:11]
	v_add_f64_e32 v[8:9], v[8:9], v[32:33]
	s_delay_alu instid0(VALU_DEP_4) | instskip(NEXT) | instid1(VALU_DEP_4)
	v_fma_f64 v[4:5], v[4:5], v[18:19], v[12:13]
	v_fma_f64 v[2:3], v[2:3], v[18:19], -v[20:21]
	s_delay_alu instid0(VALU_DEP_4) | instskip(NEXT) | instid1(VALU_DEP_4)
	v_add_f64_e32 v[6:7], v[6:7], v[14:15]
	v_add_f64_e32 v[8:9], v[8:9], v[24:25]
	s_delay_alu instid0(VALU_DEP_2) | instskip(NEXT) | instid1(VALU_DEP_2)
	v_add_f64_e32 v[2:3], v[6:7], v[2:3]
	v_add_f64_e32 v[4:5], v[8:9], v[4:5]
	s_delay_alu instid0(VALU_DEP_2) | instskip(NEXT) | instid1(VALU_DEP_2)
	v_add_f64_e64 v[2:3], v[42:43], -v[2:3]
	v_add_f64_e64 v[4:5], v[44:45], -v[4:5]
	scratch_store_b128 off, v[2:5], off offset:480
	v_cmpx_lt_u32_e32 28, v0
	s_cbranch_execz .LBB54_287
; %bb.286:
	scratch_load_b128 v[5:8], off, s40
	v_dual_mov_b32 v2, v1 :: v_dual_mov_b32 v3, v1
	v_mov_b32_e32 v4, v1
	scratch_store_b128 off, v[1:4], off offset:464
	s_wait_loadcnt 0x0
	ds_store_b128 v156, v[5:8]
.LBB54_287:
	s_wait_alu 0xfffe
	s_or_b32 exec_lo, exec_lo, s0
	s_wait_storecnt_dscnt 0x0
	s_barrier_signal -1
	s_barrier_wait -1
	global_inv scope:SCOPE_SE
	s_clause 0x8
	scratch_load_b128 v[2:5], off, off offset:480
	scratch_load_b128 v[6:9], off, off offset:496
	;; [unrolled: 1-line block ×9, first 2 shown]
	ds_load_b128 v[38:41], v1 offset:1344
	ds_load_b128 v[42:45], v1 offset:1360
	s_clause 0x1
	scratch_load_b128 v[157:160], off, off offset:464
	scratch_load_b128 v[161:164], off, off offset:624
	s_mov_b32 s0, exec_lo
	s_wait_loadcnt_dscnt 0xa01
	v_mul_f64_e32 v[165:166], v[40:41], v[4:5]
	v_mul_f64_e32 v[4:5], v[38:39], v[4:5]
	s_wait_loadcnt_dscnt 0x900
	v_mul_f64_e32 v[169:170], v[42:43], v[8:9]
	v_mul_f64_e32 v[8:9], v[44:45], v[8:9]
	s_delay_alu instid0(VALU_DEP_4) | instskip(NEXT) | instid1(VALU_DEP_4)
	v_fma_f64 v[171:172], v[38:39], v[2:3], -v[165:166]
	v_fma_f64 v[173:174], v[40:41], v[2:3], v[4:5]
	ds_load_b128 v[2:5], v1 offset:1376
	ds_load_b128 v[165:168], v1 offset:1392
	scratch_load_b128 v[38:41], off, off offset:640
	v_fma_f64 v[44:45], v[44:45], v[6:7], v[169:170]
	v_fma_f64 v[42:43], v[42:43], v[6:7], -v[8:9]
	scratch_load_b128 v[6:9], off, off offset:656
	s_wait_loadcnt_dscnt 0xa01
	v_mul_f64_e32 v[175:176], v[2:3], v[12:13]
	v_mul_f64_e32 v[12:13], v[4:5], v[12:13]
	v_add_f64_e32 v[169:170], 0, v[171:172]
	v_add_f64_e32 v[171:172], 0, v[173:174]
	s_wait_loadcnt_dscnt 0x900
	v_mul_f64_e32 v[173:174], v[165:166], v[16:17]
	v_mul_f64_e32 v[16:17], v[167:168], v[16:17]
	v_fma_f64 v[175:176], v[4:5], v[10:11], v[175:176]
	v_fma_f64 v[177:178], v[2:3], v[10:11], -v[12:13]
	ds_load_b128 v[2:5], v1 offset:1408
	scratch_load_b128 v[10:13], off, off offset:672
	v_add_f64_e32 v[169:170], v[169:170], v[42:43]
	v_add_f64_e32 v[171:172], v[171:172], v[44:45]
	ds_load_b128 v[42:45], v1 offset:1424
	v_fma_f64 v[167:168], v[167:168], v[14:15], v[173:174]
	v_fma_f64 v[165:166], v[165:166], v[14:15], -v[16:17]
	scratch_load_b128 v[14:17], off, off offset:688
	s_wait_loadcnt_dscnt 0xa01
	v_mul_f64_e32 v[179:180], v[2:3], v[20:21]
	v_mul_f64_e32 v[20:21], v[4:5], v[20:21]
	s_wait_loadcnt_dscnt 0x900
	v_mul_f64_e32 v[173:174], v[42:43], v[24:25]
	v_mul_f64_e32 v[24:25], v[44:45], v[24:25]
	v_add_f64_e32 v[169:170], v[169:170], v[177:178]
	v_add_f64_e32 v[171:172], v[171:172], v[175:176]
	v_fma_f64 v[175:176], v[4:5], v[18:19], v[179:180]
	v_fma_f64 v[177:178], v[2:3], v[18:19], -v[20:21]
	ds_load_b128 v[2:5], v1 offset:1440
	scratch_load_b128 v[18:21], off, off offset:704
	v_fma_f64 v[44:45], v[44:45], v[22:23], v[173:174]
	v_fma_f64 v[42:43], v[42:43], v[22:23], -v[24:25]
	scratch_load_b128 v[22:25], off, off offset:720
	v_add_f64_e32 v[169:170], v[169:170], v[165:166]
	v_add_f64_e32 v[171:172], v[171:172], v[167:168]
	ds_load_b128 v[165:168], v1 offset:1456
	s_wait_loadcnt_dscnt 0xa01
	v_mul_f64_e32 v[179:180], v[2:3], v[28:29]
	v_mul_f64_e32 v[28:29], v[4:5], v[28:29]
	s_wait_loadcnt_dscnt 0x900
	v_mul_f64_e32 v[173:174], v[165:166], v[32:33]
	v_mul_f64_e32 v[32:33], v[167:168], v[32:33]
	v_add_f64_e32 v[169:170], v[169:170], v[177:178]
	v_add_f64_e32 v[171:172], v[171:172], v[175:176]
	v_fma_f64 v[175:176], v[4:5], v[26:27], v[179:180]
	v_fma_f64 v[177:178], v[2:3], v[26:27], -v[28:29]
	ds_load_b128 v[2:5], v1 offset:1472
	scratch_load_b128 v[26:29], off, off offset:736
	v_fma_f64 v[167:168], v[167:168], v[30:31], v[173:174]
	v_fma_f64 v[165:166], v[165:166], v[30:31], -v[32:33]
	scratch_load_b128 v[30:33], off, off offset:752
	v_add_f64_e32 v[169:170], v[169:170], v[42:43]
	v_add_f64_e32 v[171:172], v[171:172], v[44:45]
	ds_load_b128 v[42:45], v1 offset:1488
	s_wait_loadcnt_dscnt 0xa01
	v_mul_f64_e32 v[179:180], v[2:3], v[36:37]
	v_mul_f64_e32 v[36:37], v[4:5], v[36:37]
	s_wait_loadcnt_dscnt 0x800
	v_mul_f64_e32 v[173:174], v[42:43], v[163:164]
	v_add_f64_e32 v[169:170], v[169:170], v[177:178]
	v_add_f64_e32 v[171:172], v[171:172], v[175:176]
	v_mul_f64_e32 v[175:176], v[44:45], v[163:164]
	v_fma_f64 v[177:178], v[4:5], v[34:35], v[179:180]
	v_fma_f64 v[179:180], v[2:3], v[34:35], -v[36:37]
	ds_load_b128 v[2:5], v1 offset:1504
	scratch_load_b128 v[34:37], off, off offset:768
	v_fma_f64 v[44:45], v[44:45], v[161:162], v[173:174]
	v_add_f64_e32 v[169:170], v[169:170], v[165:166]
	v_add_f64_e32 v[167:168], v[171:172], v[167:168]
	ds_load_b128 v[163:166], v1 offset:1520
	v_fma_f64 v[161:162], v[42:43], v[161:162], -v[175:176]
	s_wait_loadcnt_dscnt 0x801
	v_mul_f64_e32 v[171:172], v[2:3], v[40:41]
	v_mul_f64_e32 v[181:182], v[4:5], v[40:41]
	scratch_load_b128 v[40:43], off, off offset:784
	s_wait_loadcnt_dscnt 0x800
	v_mul_f64_e32 v[175:176], v[163:164], v[8:9]
	v_mul_f64_e32 v[8:9], v[165:166], v[8:9]
	v_add_f64_e32 v[169:170], v[169:170], v[179:180]
	v_add_f64_e32 v[167:168], v[167:168], v[177:178]
	v_fma_f64 v[177:178], v[4:5], v[38:39], v[171:172]
	v_fma_f64 v[38:39], v[2:3], v[38:39], -v[181:182]
	ds_load_b128 v[2:5], v1 offset:1536
	ds_load_b128 v[171:174], v1 offset:1552
	v_fma_f64 v[165:166], v[165:166], v[6:7], v[175:176]
	v_fma_f64 v[163:164], v[163:164], v[6:7], -v[8:9]
	scratch_load_b128 v[6:9], off, off offset:816
	v_add_f64_e32 v[161:162], v[169:170], v[161:162]
	v_add_f64_e32 v[44:45], v[167:168], v[44:45]
	scratch_load_b128 v[167:170], off, off offset:800
	s_wait_loadcnt_dscnt 0x901
	v_mul_f64_e32 v[179:180], v[2:3], v[12:13]
	v_mul_f64_e32 v[12:13], v[4:5], v[12:13]
	s_wait_loadcnt_dscnt 0x800
	v_mul_f64_e32 v[175:176], v[171:172], v[16:17]
	v_mul_f64_e32 v[16:17], v[173:174], v[16:17]
	v_add_f64_e32 v[38:39], v[161:162], v[38:39]
	v_add_f64_e32 v[44:45], v[44:45], v[177:178]
	v_fma_f64 v[177:178], v[4:5], v[10:11], v[179:180]
	v_fma_f64 v[179:180], v[2:3], v[10:11], -v[12:13]
	ds_load_b128 v[2:5], v1 offset:1568
	scratch_load_b128 v[10:13], off, off offset:832
	v_fma_f64 v[173:174], v[173:174], v[14:15], v[175:176]
	v_fma_f64 v[171:172], v[171:172], v[14:15], -v[16:17]
	scratch_load_b128 v[14:17], off, off offset:848
	v_add_f64_e32 v[38:39], v[38:39], v[163:164]
	v_add_f64_e32 v[44:45], v[44:45], v[165:166]
	ds_load_b128 v[161:164], v1 offset:1584
	s_wait_loadcnt_dscnt 0x901
	v_mul_f64_e32 v[165:166], v[2:3], v[20:21]
	v_mul_f64_e32 v[20:21], v[4:5], v[20:21]
	s_wait_loadcnt_dscnt 0x800
	v_mul_f64_e32 v[175:176], v[161:162], v[24:25]
	v_mul_f64_e32 v[24:25], v[163:164], v[24:25]
	v_add_f64_e32 v[38:39], v[38:39], v[179:180]
	v_add_f64_e32 v[44:45], v[44:45], v[177:178]
	v_fma_f64 v[165:166], v[4:5], v[18:19], v[165:166]
	v_fma_f64 v[177:178], v[2:3], v[18:19], -v[20:21]
	ds_load_b128 v[2:5], v1 offset:1600
	scratch_load_b128 v[18:21], off, off offset:864
	v_fma_f64 v[163:164], v[163:164], v[22:23], v[175:176]
	v_fma_f64 v[161:162], v[161:162], v[22:23], -v[24:25]
	scratch_load_b128 v[22:25], off, off offset:880
	v_add_f64_e32 v[38:39], v[38:39], v[171:172]
	v_add_f64_e32 v[44:45], v[44:45], v[173:174]
	ds_load_b128 v[171:174], v1 offset:1616
	s_wait_loadcnt_dscnt 0x901
	v_mul_f64_e32 v[179:180], v[2:3], v[28:29]
	v_mul_f64_e32 v[28:29], v[4:5], v[28:29]
	v_add_f64_e32 v[38:39], v[38:39], v[177:178]
	v_add_f64_e32 v[44:45], v[44:45], v[165:166]
	s_wait_loadcnt_dscnt 0x800
	v_mul_f64_e32 v[165:166], v[171:172], v[32:33]
	v_mul_f64_e32 v[32:33], v[173:174], v[32:33]
	v_fma_f64 v[175:176], v[4:5], v[26:27], v[179:180]
	v_fma_f64 v[177:178], v[2:3], v[26:27], -v[28:29]
	ds_load_b128 v[2:5], v1 offset:1632
	ds_load_b128 v[26:29], v1 offset:1648
	v_add_f64_e32 v[38:39], v[38:39], v[161:162]
	v_add_f64_e32 v[44:45], v[44:45], v[163:164]
	s_wait_loadcnt_dscnt 0x701
	v_mul_f64_e32 v[161:162], v[2:3], v[36:37]
	v_mul_f64_e32 v[36:37], v[4:5], v[36:37]
	v_fma_f64 v[163:164], v[173:174], v[30:31], v[165:166]
	v_fma_f64 v[30:31], v[171:172], v[30:31], -v[32:33]
	v_add_f64_e32 v[32:33], v[38:39], v[177:178]
	v_add_f64_e32 v[38:39], v[44:45], v[175:176]
	s_wait_loadcnt_dscnt 0x600
	v_mul_f64_e32 v[44:45], v[26:27], v[42:43]
	v_mul_f64_e32 v[42:43], v[28:29], v[42:43]
	v_fma_f64 v[161:162], v[4:5], v[34:35], v[161:162]
	v_fma_f64 v[34:35], v[2:3], v[34:35], -v[36:37]
	v_add_f64_e32 v[36:37], v[32:33], v[30:31]
	v_add_f64_e32 v[38:39], v[38:39], v[163:164]
	ds_load_b128 v[2:5], v1 offset:1664
	ds_load_b128 v[30:33], v1 offset:1680
	v_fma_f64 v[28:29], v[28:29], v[40:41], v[44:45]
	v_fma_f64 v[26:27], v[26:27], v[40:41], -v[42:43]
	s_wait_loadcnt_dscnt 0x401
	v_mul_f64_e32 v[163:164], v[2:3], v[169:170]
	v_mul_f64_e32 v[165:166], v[4:5], v[169:170]
	v_add_f64_e32 v[34:35], v[36:37], v[34:35]
	v_add_f64_e32 v[36:37], v[38:39], v[161:162]
	s_wait_dscnt 0x0
	v_mul_f64_e32 v[38:39], v[30:31], v[8:9]
	v_mul_f64_e32 v[8:9], v[32:33], v[8:9]
	v_fma_f64 v[40:41], v[4:5], v[167:168], v[163:164]
	v_fma_f64 v[42:43], v[2:3], v[167:168], -v[165:166]
	v_add_f64_e32 v[34:35], v[34:35], v[26:27]
	v_add_f64_e32 v[36:37], v[36:37], v[28:29]
	ds_load_b128 v[2:5], v1 offset:1696
	ds_load_b128 v[26:29], v1 offset:1712
	v_fma_f64 v[32:33], v[32:33], v[6:7], v[38:39]
	v_fma_f64 v[6:7], v[30:31], v[6:7], -v[8:9]
	s_wait_loadcnt_dscnt 0x301
	v_mul_f64_e32 v[44:45], v[2:3], v[12:13]
	v_mul_f64_e32 v[12:13], v[4:5], v[12:13]
	v_add_f64_e32 v[8:9], v[34:35], v[42:43]
	v_add_f64_e32 v[30:31], v[36:37], v[40:41]
	s_wait_loadcnt_dscnt 0x200
	v_mul_f64_e32 v[34:35], v[26:27], v[16:17]
	v_mul_f64_e32 v[16:17], v[28:29], v[16:17]
	v_fma_f64 v[36:37], v[4:5], v[10:11], v[44:45]
	v_fma_f64 v[10:11], v[2:3], v[10:11], -v[12:13]
	v_add_f64_e32 v[12:13], v[8:9], v[6:7]
	v_add_f64_e32 v[30:31], v[30:31], v[32:33]
	ds_load_b128 v[2:5], v1 offset:1728
	ds_load_b128 v[6:9], v1 offset:1744
	v_fma_f64 v[28:29], v[28:29], v[14:15], v[34:35]
	v_fma_f64 v[14:15], v[26:27], v[14:15], -v[16:17]
	s_wait_loadcnt_dscnt 0x101
	v_mul_f64_e32 v[32:33], v[2:3], v[20:21]
	v_mul_f64_e32 v[20:21], v[4:5], v[20:21]
	s_wait_loadcnt_dscnt 0x0
	v_mul_f64_e32 v[16:17], v[6:7], v[24:25]
	v_mul_f64_e32 v[24:25], v[8:9], v[24:25]
	v_add_f64_e32 v[10:11], v[12:13], v[10:11]
	v_add_f64_e32 v[12:13], v[30:31], v[36:37]
	v_fma_f64 v[4:5], v[4:5], v[18:19], v[32:33]
	v_fma_f64 v[1:2], v[2:3], v[18:19], -v[20:21]
	v_fma_f64 v[8:9], v[8:9], v[22:23], v[16:17]
	v_fma_f64 v[6:7], v[6:7], v[22:23], -v[24:25]
	v_add_f64_e32 v[10:11], v[10:11], v[14:15]
	v_add_f64_e32 v[12:13], v[12:13], v[28:29]
	s_delay_alu instid0(VALU_DEP_2) | instskip(NEXT) | instid1(VALU_DEP_2)
	v_add_f64_e32 v[1:2], v[10:11], v[1:2]
	v_add_f64_e32 v[3:4], v[12:13], v[4:5]
	s_delay_alu instid0(VALU_DEP_2) | instskip(NEXT) | instid1(VALU_DEP_2)
	;; [unrolled: 3-line block ×3, first 2 shown]
	v_add_f64_e64 v[1:2], v[157:158], -v[1:2]
	v_add_f64_e64 v[3:4], v[159:160], -v[3:4]
	scratch_store_b128 off, v[1:4], off offset:464
	v_cmpx_lt_u32_e32 27, v0
	s_cbranch_execz .LBB54_289
; %bb.288:
	scratch_load_b128 v[1:4], off, s41
	v_mov_b32_e32 v5, 0
	s_delay_alu instid0(VALU_DEP_1)
	v_dual_mov_b32 v6, v5 :: v_dual_mov_b32 v7, v5
	v_mov_b32_e32 v8, v5
	scratch_store_b128 off, v[5:8], off offset:448
	s_wait_loadcnt 0x0
	ds_store_b128 v156, v[1:4]
.LBB54_289:
	s_wait_alu 0xfffe
	s_or_b32 exec_lo, exec_lo, s0
	s_wait_storecnt_dscnt 0x0
	s_barrier_signal -1
	s_barrier_wait -1
	global_inv scope:SCOPE_SE
	s_clause 0x7
	scratch_load_b128 v[2:5], off, off offset:464
	scratch_load_b128 v[6:9], off, off offset:480
	;; [unrolled: 1-line block ×8, first 2 shown]
	v_mov_b32_e32 v1, 0
	s_mov_b32 s0, exec_lo
	ds_load_b128 v[34:37], v1 offset:1328
	s_clause 0x1
	scratch_load_b128 v[38:41], off, off offset:592
	scratch_load_b128 v[42:45], off, off offset:448
	ds_load_b128 v[157:160], v1 offset:1344
	scratch_load_b128 v[161:164], off, off offset:608
	s_wait_loadcnt_dscnt 0xa01
	v_mul_f64_e32 v[165:166], v[36:37], v[4:5]
	v_mul_f64_e32 v[4:5], v[34:35], v[4:5]
	s_delay_alu instid0(VALU_DEP_2) | instskip(NEXT) | instid1(VALU_DEP_2)
	v_fma_f64 v[171:172], v[34:35], v[2:3], -v[165:166]
	v_fma_f64 v[173:174], v[36:37], v[2:3], v[4:5]
	ds_load_b128 v[2:5], v1 offset:1360
	s_wait_loadcnt_dscnt 0x901
	v_mul_f64_e32 v[169:170], v[157:158], v[8:9]
	v_mul_f64_e32 v[8:9], v[159:160], v[8:9]
	scratch_load_b128 v[34:37], off, off offset:624
	ds_load_b128 v[165:168], v1 offset:1376
	s_wait_loadcnt_dscnt 0x901
	v_mul_f64_e32 v[175:176], v[2:3], v[12:13]
	v_mul_f64_e32 v[12:13], v[4:5], v[12:13]
	v_fma_f64 v[159:160], v[159:160], v[6:7], v[169:170]
	v_fma_f64 v[157:158], v[157:158], v[6:7], -v[8:9]
	v_add_f64_e32 v[169:170], 0, v[171:172]
	v_add_f64_e32 v[171:172], 0, v[173:174]
	scratch_load_b128 v[6:9], off, off offset:640
	v_fma_f64 v[175:176], v[4:5], v[10:11], v[175:176]
	v_fma_f64 v[177:178], v[2:3], v[10:11], -v[12:13]
	ds_load_b128 v[2:5], v1 offset:1392
	s_wait_loadcnt_dscnt 0x901
	v_mul_f64_e32 v[173:174], v[165:166], v[16:17]
	v_mul_f64_e32 v[16:17], v[167:168], v[16:17]
	scratch_load_b128 v[10:13], off, off offset:656
	v_add_f64_e32 v[169:170], v[169:170], v[157:158]
	v_add_f64_e32 v[171:172], v[171:172], v[159:160]
	s_wait_loadcnt_dscnt 0x900
	v_mul_f64_e32 v[179:180], v[2:3], v[20:21]
	v_mul_f64_e32 v[20:21], v[4:5], v[20:21]
	ds_load_b128 v[157:160], v1 offset:1408
	v_fma_f64 v[167:168], v[167:168], v[14:15], v[173:174]
	v_fma_f64 v[165:166], v[165:166], v[14:15], -v[16:17]
	scratch_load_b128 v[14:17], off, off offset:672
	v_add_f64_e32 v[169:170], v[169:170], v[177:178]
	v_add_f64_e32 v[171:172], v[171:172], v[175:176]
	v_fma_f64 v[175:176], v[4:5], v[18:19], v[179:180]
	v_fma_f64 v[177:178], v[2:3], v[18:19], -v[20:21]
	ds_load_b128 v[2:5], v1 offset:1424
	s_wait_loadcnt_dscnt 0x901
	v_mul_f64_e32 v[173:174], v[157:158], v[24:25]
	v_mul_f64_e32 v[24:25], v[159:160], v[24:25]
	scratch_load_b128 v[18:21], off, off offset:688
	s_wait_loadcnt_dscnt 0x900
	v_mul_f64_e32 v[179:180], v[2:3], v[28:29]
	v_mul_f64_e32 v[28:29], v[4:5], v[28:29]
	v_add_f64_e32 v[169:170], v[169:170], v[165:166]
	v_add_f64_e32 v[171:172], v[171:172], v[167:168]
	ds_load_b128 v[165:168], v1 offset:1440
	v_fma_f64 v[159:160], v[159:160], v[22:23], v[173:174]
	v_fma_f64 v[157:158], v[157:158], v[22:23], -v[24:25]
	scratch_load_b128 v[22:25], off, off offset:704
	v_add_f64_e32 v[169:170], v[169:170], v[177:178]
	v_add_f64_e32 v[171:172], v[171:172], v[175:176]
	v_fma_f64 v[175:176], v[4:5], v[26:27], v[179:180]
	v_fma_f64 v[177:178], v[2:3], v[26:27], -v[28:29]
	ds_load_b128 v[2:5], v1 offset:1456
	s_wait_loadcnt_dscnt 0x901
	v_mul_f64_e32 v[173:174], v[165:166], v[32:33]
	v_mul_f64_e32 v[32:33], v[167:168], v[32:33]
	scratch_load_b128 v[26:29], off, off offset:720
	s_wait_loadcnt_dscnt 0x900
	v_mul_f64_e32 v[179:180], v[2:3], v[40:41]
	v_mul_f64_e32 v[40:41], v[4:5], v[40:41]
	v_add_f64_e32 v[169:170], v[169:170], v[157:158]
	v_add_f64_e32 v[171:172], v[171:172], v[159:160]
	ds_load_b128 v[157:160], v1 offset:1472
	v_fma_f64 v[167:168], v[167:168], v[30:31], v[173:174]
	v_fma_f64 v[165:166], v[165:166], v[30:31], -v[32:33]
	scratch_load_b128 v[30:33], off, off offset:736
	v_add_f64_e32 v[169:170], v[169:170], v[177:178]
	v_add_f64_e32 v[171:172], v[171:172], v[175:176]
	v_fma_f64 v[177:178], v[4:5], v[38:39], v[179:180]
	v_fma_f64 v[179:180], v[2:3], v[38:39], -v[40:41]
	ds_load_b128 v[2:5], v1 offset:1488
	s_wait_loadcnt_dscnt 0x801
	v_mul_f64_e32 v[173:174], v[157:158], v[163:164]
	v_mul_f64_e32 v[175:176], v[159:160], v[163:164]
	scratch_load_b128 v[38:41], off, off offset:752
	v_add_f64_e32 v[169:170], v[169:170], v[165:166]
	v_add_f64_e32 v[167:168], v[171:172], v[167:168]
	ds_load_b128 v[163:166], v1 offset:1504
	v_fma_f64 v[173:174], v[159:160], v[161:162], v[173:174]
	v_fma_f64 v[161:162], v[157:158], v[161:162], -v[175:176]
	scratch_load_b128 v[157:160], off, off offset:768
	s_wait_loadcnt_dscnt 0x901
	v_mul_f64_e32 v[171:172], v[2:3], v[36:37]
	v_mul_f64_e32 v[36:37], v[4:5], v[36:37]
	v_add_f64_e32 v[169:170], v[169:170], v[179:180]
	v_add_f64_e32 v[167:168], v[167:168], v[177:178]
	s_delay_alu instid0(VALU_DEP_4) | instskip(NEXT) | instid1(VALU_DEP_4)
	v_fma_f64 v[171:172], v[4:5], v[34:35], v[171:172]
	v_fma_f64 v[177:178], v[2:3], v[34:35], -v[36:37]
	ds_load_b128 v[2:5], v1 offset:1520
	s_wait_loadcnt_dscnt 0x801
	v_mul_f64_e32 v[175:176], v[163:164], v[8:9]
	v_mul_f64_e32 v[8:9], v[165:166], v[8:9]
	scratch_load_b128 v[34:37], off, off offset:784
	s_wait_loadcnt_dscnt 0x800
	v_mul_f64_e32 v[179:180], v[2:3], v[12:13]
	v_add_f64_e32 v[161:162], v[169:170], v[161:162]
	v_add_f64_e32 v[173:174], v[167:168], v[173:174]
	v_mul_f64_e32 v[12:13], v[4:5], v[12:13]
	ds_load_b128 v[167:170], v1 offset:1536
	v_fma_f64 v[165:166], v[165:166], v[6:7], v[175:176]
	v_fma_f64 v[163:164], v[163:164], v[6:7], -v[8:9]
	scratch_load_b128 v[6:9], off, off offset:800
	v_fma_f64 v[175:176], v[4:5], v[10:11], v[179:180]
	v_add_f64_e32 v[161:162], v[161:162], v[177:178]
	v_add_f64_e32 v[171:172], v[173:174], v[171:172]
	v_fma_f64 v[177:178], v[2:3], v[10:11], -v[12:13]
	ds_load_b128 v[2:5], v1 offset:1552
	s_wait_loadcnt_dscnt 0x801
	v_mul_f64_e32 v[173:174], v[167:168], v[16:17]
	v_mul_f64_e32 v[16:17], v[169:170], v[16:17]
	scratch_load_b128 v[10:13], off, off offset:816
	v_add_f64_e32 v[179:180], v[161:162], v[163:164]
	v_add_f64_e32 v[165:166], v[171:172], v[165:166]
	s_wait_loadcnt_dscnt 0x800
	v_mul_f64_e32 v[171:172], v[2:3], v[20:21]
	v_mul_f64_e32 v[20:21], v[4:5], v[20:21]
	v_fma_f64 v[169:170], v[169:170], v[14:15], v[173:174]
	v_fma_f64 v[167:168], v[167:168], v[14:15], -v[16:17]
	ds_load_b128 v[161:164], v1 offset:1568
	scratch_load_b128 v[14:17], off, off offset:832
	v_add_f64_e32 v[173:174], v[179:180], v[177:178]
	v_add_f64_e32 v[165:166], v[165:166], v[175:176]
	v_fma_f64 v[171:172], v[4:5], v[18:19], v[171:172]
	v_fma_f64 v[177:178], v[2:3], v[18:19], -v[20:21]
	ds_load_b128 v[2:5], v1 offset:1584
	s_wait_loadcnt_dscnt 0x801
	v_mul_f64_e32 v[175:176], v[161:162], v[24:25]
	v_mul_f64_e32 v[24:25], v[163:164], v[24:25]
	scratch_load_b128 v[18:21], off, off offset:848
	s_wait_loadcnt_dscnt 0x800
	v_mul_f64_e32 v[179:180], v[2:3], v[28:29]
	v_mul_f64_e32 v[28:29], v[4:5], v[28:29]
	v_add_f64_e32 v[173:174], v[173:174], v[167:168]
	v_add_f64_e32 v[169:170], v[165:166], v[169:170]
	ds_load_b128 v[165:168], v1 offset:1600
	v_fma_f64 v[163:164], v[163:164], v[22:23], v[175:176]
	v_fma_f64 v[161:162], v[161:162], v[22:23], -v[24:25]
	scratch_load_b128 v[22:25], off, off offset:864
	v_fma_f64 v[175:176], v[4:5], v[26:27], v[179:180]
	v_add_f64_e32 v[173:174], v[173:174], v[177:178]
	v_add_f64_e32 v[169:170], v[169:170], v[171:172]
	v_fma_f64 v[177:178], v[2:3], v[26:27], -v[28:29]
	ds_load_b128 v[2:5], v1 offset:1616
	s_wait_loadcnt_dscnt 0x801
	v_mul_f64_e32 v[171:172], v[165:166], v[32:33]
	v_mul_f64_e32 v[32:33], v[167:168], v[32:33]
	scratch_load_b128 v[26:29], off, off offset:880
	s_wait_loadcnt_dscnt 0x800
	v_mul_f64_e32 v[179:180], v[2:3], v[40:41]
	v_mul_f64_e32 v[40:41], v[4:5], v[40:41]
	v_add_f64_e32 v[173:174], v[173:174], v[161:162]
	v_add_f64_e32 v[169:170], v[169:170], v[163:164]
	ds_load_b128 v[161:164], v1 offset:1632
	v_fma_f64 v[167:168], v[167:168], v[30:31], v[171:172]
	v_fma_f64 v[30:31], v[165:166], v[30:31], -v[32:33]
	v_fma_f64 v[171:172], v[4:5], v[38:39], v[179:180]
	v_fma_f64 v[38:39], v[2:3], v[38:39], -v[40:41]
	v_add_f64_e32 v[32:33], v[173:174], v[177:178]
	v_add_f64_e32 v[165:166], v[169:170], v[175:176]
	s_wait_loadcnt_dscnt 0x700
	v_mul_f64_e32 v[169:170], v[161:162], v[159:160]
	v_mul_f64_e32 v[159:160], v[163:164], v[159:160]
	s_delay_alu instid0(VALU_DEP_4) | instskip(NEXT) | instid1(VALU_DEP_4)
	v_add_f64_e32 v[40:41], v[32:33], v[30:31]
	v_add_f64_e32 v[165:166], v[165:166], v[167:168]
	ds_load_b128 v[2:5], v1 offset:1648
	ds_load_b128 v[30:33], v1 offset:1664
	v_fma_f64 v[163:164], v[163:164], v[157:158], v[169:170]
	v_fma_f64 v[157:158], v[161:162], v[157:158], -v[159:160]
	s_wait_loadcnt_dscnt 0x601
	v_mul_f64_e32 v[167:168], v[2:3], v[36:37]
	v_mul_f64_e32 v[36:37], v[4:5], v[36:37]
	s_wait_loadcnt_dscnt 0x500
	v_mul_f64_e32 v[159:160], v[30:31], v[8:9]
	v_mul_f64_e32 v[8:9], v[32:33], v[8:9]
	v_add_f64_e32 v[38:39], v[40:41], v[38:39]
	v_add_f64_e32 v[40:41], v[165:166], v[171:172]
	v_fma_f64 v[161:162], v[4:5], v[34:35], v[167:168]
	v_fma_f64 v[165:166], v[2:3], v[34:35], -v[36:37]
	ds_load_b128 v[2:5], v1 offset:1680
	ds_load_b128 v[34:37], v1 offset:1696
	v_fma_f64 v[32:33], v[32:33], v[6:7], v[159:160]
	v_fma_f64 v[6:7], v[30:31], v[6:7], -v[8:9]
	v_add_f64_e32 v[38:39], v[38:39], v[157:158]
	v_add_f64_e32 v[40:41], v[40:41], v[163:164]
	s_wait_loadcnt_dscnt 0x401
	v_mul_f64_e32 v[157:158], v[2:3], v[12:13]
	v_mul_f64_e32 v[12:13], v[4:5], v[12:13]
	s_delay_alu instid0(VALU_DEP_4) | instskip(NEXT) | instid1(VALU_DEP_4)
	v_add_f64_e32 v[8:9], v[38:39], v[165:166]
	v_add_f64_e32 v[30:31], v[40:41], v[161:162]
	s_wait_loadcnt_dscnt 0x300
	v_mul_f64_e32 v[38:39], v[34:35], v[16:17]
	v_mul_f64_e32 v[16:17], v[36:37], v[16:17]
	v_fma_f64 v[40:41], v[4:5], v[10:11], v[157:158]
	v_fma_f64 v[10:11], v[2:3], v[10:11], -v[12:13]
	v_add_f64_e32 v[12:13], v[8:9], v[6:7]
	v_add_f64_e32 v[30:31], v[30:31], v[32:33]
	ds_load_b128 v[2:5], v1 offset:1712
	ds_load_b128 v[6:9], v1 offset:1728
	v_fma_f64 v[36:37], v[36:37], v[14:15], v[38:39]
	v_fma_f64 v[14:15], v[34:35], v[14:15], -v[16:17]
	s_wait_loadcnt_dscnt 0x201
	v_mul_f64_e32 v[32:33], v[2:3], v[20:21]
	v_mul_f64_e32 v[20:21], v[4:5], v[20:21]
	s_wait_loadcnt_dscnt 0x100
	v_mul_f64_e32 v[16:17], v[6:7], v[24:25]
	v_mul_f64_e32 v[24:25], v[8:9], v[24:25]
	v_add_f64_e32 v[10:11], v[12:13], v[10:11]
	v_add_f64_e32 v[12:13], v[30:31], v[40:41]
	v_fma_f64 v[30:31], v[4:5], v[18:19], v[32:33]
	v_fma_f64 v[18:19], v[2:3], v[18:19], -v[20:21]
	ds_load_b128 v[2:5], v1 offset:1744
	v_fma_f64 v[8:9], v[8:9], v[22:23], v[16:17]
	v_fma_f64 v[6:7], v[6:7], v[22:23], -v[24:25]
	v_add_f64_e32 v[10:11], v[10:11], v[14:15]
	v_add_f64_e32 v[12:13], v[12:13], v[36:37]
	s_wait_loadcnt_dscnt 0x0
	v_mul_f64_e32 v[14:15], v[2:3], v[28:29]
	v_mul_f64_e32 v[20:21], v[4:5], v[28:29]
	s_delay_alu instid0(VALU_DEP_4) | instskip(NEXT) | instid1(VALU_DEP_4)
	v_add_f64_e32 v[10:11], v[10:11], v[18:19]
	v_add_f64_e32 v[12:13], v[12:13], v[30:31]
	s_delay_alu instid0(VALU_DEP_4) | instskip(NEXT) | instid1(VALU_DEP_4)
	v_fma_f64 v[4:5], v[4:5], v[26:27], v[14:15]
	v_fma_f64 v[2:3], v[2:3], v[26:27], -v[20:21]
	s_delay_alu instid0(VALU_DEP_4) | instskip(NEXT) | instid1(VALU_DEP_4)
	v_add_f64_e32 v[6:7], v[10:11], v[6:7]
	v_add_f64_e32 v[8:9], v[12:13], v[8:9]
	s_delay_alu instid0(VALU_DEP_2) | instskip(NEXT) | instid1(VALU_DEP_2)
	v_add_f64_e32 v[2:3], v[6:7], v[2:3]
	v_add_f64_e32 v[4:5], v[8:9], v[4:5]
	s_delay_alu instid0(VALU_DEP_2) | instskip(NEXT) | instid1(VALU_DEP_2)
	v_add_f64_e64 v[2:3], v[42:43], -v[2:3]
	v_add_f64_e64 v[4:5], v[44:45], -v[4:5]
	scratch_store_b128 off, v[2:5], off offset:448
	v_cmpx_lt_u32_e32 26, v0
	s_cbranch_execz .LBB54_291
; %bb.290:
	scratch_load_b128 v[5:8], off, s42
	v_dual_mov_b32 v2, v1 :: v_dual_mov_b32 v3, v1
	v_mov_b32_e32 v4, v1
	scratch_store_b128 off, v[1:4], off offset:432
	s_wait_loadcnt 0x0
	ds_store_b128 v156, v[5:8]
.LBB54_291:
	s_wait_alu 0xfffe
	s_or_b32 exec_lo, exec_lo, s0
	s_wait_storecnt_dscnt 0x0
	s_barrier_signal -1
	s_barrier_wait -1
	global_inv scope:SCOPE_SE
	s_clause 0x8
	scratch_load_b128 v[2:5], off, off offset:448
	scratch_load_b128 v[6:9], off, off offset:464
	;; [unrolled: 1-line block ×9, first 2 shown]
	ds_load_b128 v[38:41], v1 offset:1312
	ds_load_b128 v[42:45], v1 offset:1328
	s_clause 0x1
	scratch_load_b128 v[157:160], off, off offset:432
	scratch_load_b128 v[161:164], off, off offset:592
	s_mov_b32 s0, exec_lo
	s_wait_loadcnt_dscnt 0xa01
	v_mul_f64_e32 v[165:166], v[40:41], v[4:5]
	v_mul_f64_e32 v[4:5], v[38:39], v[4:5]
	s_wait_loadcnt_dscnt 0x900
	v_mul_f64_e32 v[169:170], v[42:43], v[8:9]
	v_mul_f64_e32 v[8:9], v[44:45], v[8:9]
	s_delay_alu instid0(VALU_DEP_4) | instskip(NEXT) | instid1(VALU_DEP_4)
	v_fma_f64 v[171:172], v[38:39], v[2:3], -v[165:166]
	v_fma_f64 v[173:174], v[40:41], v[2:3], v[4:5]
	ds_load_b128 v[2:5], v1 offset:1344
	ds_load_b128 v[165:168], v1 offset:1360
	scratch_load_b128 v[38:41], off, off offset:608
	v_fma_f64 v[44:45], v[44:45], v[6:7], v[169:170]
	v_fma_f64 v[42:43], v[42:43], v[6:7], -v[8:9]
	scratch_load_b128 v[6:9], off, off offset:624
	s_wait_loadcnt_dscnt 0xa01
	v_mul_f64_e32 v[175:176], v[2:3], v[12:13]
	v_mul_f64_e32 v[12:13], v[4:5], v[12:13]
	v_add_f64_e32 v[169:170], 0, v[171:172]
	v_add_f64_e32 v[171:172], 0, v[173:174]
	s_wait_loadcnt_dscnt 0x900
	v_mul_f64_e32 v[173:174], v[165:166], v[16:17]
	v_mul_f64_e32 v[16:17], v[167:168], v[16:17]
	v_fma_f64 v[175:176], v[4:5], v[10:11], v[175:176]
	v_fma_f64 v[177:178], v[2:3], v[10:11], -v[12:13]
	ds_load_b128 v[2:5], v1 offset:1376
	scratch_load_b128 v[10:13], off, off offset:640
	v_add_f64_e32 v[169:170], v[169:170], v[42:43]
	v_add_f64_e32 v[171:172], v[171:172], v[44:45]
	ds_load_b128 v[42:45], v1 offset:1392
	v_fma_f64 v[167:168], v[167:168], v[14:15], v[173:174]
	v_fma_f64 v[165:166], v[165:166], v[14:15], -v[16:17]
	scratch_load_b128 v[14:17], off, off offset:656
	s_wait_loadcnt_dscnt 0xa01
	v_mul_f64_e32 v[179:180], v[2:3], v[20:21]
	v_mul_f64_e32 v[20:21], v[4:5], v[20:21]
	s_wait_loadcnt_dscnt 0x900
	v_mul_f64_e32 v[173:174], v[42:43], v[24:25]
	v_mul_f64_e32 v[24:25], v[44:45], v[24:25]
	v_add_f64_e32 v[169:170], v[169:170], v[177:178]
	v_add_f64_e32 v[171:172], v[171:172], v[175:176]
	v_fma_f64 v[175:176], v[4:5], v[18:19], v[179:180]
	v_fma_f64 v[177:178], v[2:3], v[18:19], -v[20:21]
	ds_load_b128 v[2:5], v1 offset:1408
	scratch_load_b128 v[18:21], off, off offset:672
	v_fma_f64 v[44:45], v[44:45], v[22:23], v[173:174]
	v_fma_f64 v[42:43], v[42:43], v[22:23], -v[24:25]
	scratch_load_b128 v[22:25], off, off offset:688
	v_add_f64_e32 v[169:170], v[169:170], v[165:166]
	v_add_f64_e32 v[171:172], v[171:172], v[167:168]
	ds_load_b128 v[165:168], v1 offset:1424
	s_wait_loadcnt_dscnt 0xa01
	v_mul_f64_e32 v[179:180], v[2:3], v[28:29]
	v_mul_f64_e32 v[28:29], v[4:5], v[28:29]
	s_wait_loadcnt_dscnt 0x900
	v_mul_f64_e32 v[173:174], v[165:166], v[32:33]
	v_mul_f64_e32 v[32:33], v[167:168], v[32:33]
	v_add_f64_e32 v[169:170], v[169:170], v[177:178]
	v_add_f64_e32 v[171:172], v[171:172], v[175:176]
	v_fma_f64 v[175:176], v[4:5], v[26:27], v[179:180]
	v_fma_f64 v[177:178], v[2:3], v[26:27], -v[28:29]
	ds_load_b128 v[2:5], v1 offset:1440
	scratch_load_b128 v[26:29], off, off offset:704
	v_fma_f64 v[167:168], v[167:168], v[30:31], v[173:174]
	v_fma_f64 v[165:166], v[165:166], v[30:31], -v[32:33]
	scratch_load_b128 v[30:33], off, off offset:720
	v_add_f64_e32 v[169:170], v[169:170], v[42:43]
	v_add_f64_e32 v[171:172], v[171:172], v[44:45]
	ds_load_b128 v[42:45], v1 offset:1456
	s_wait_loadcnt_dscnt 0xa01
	v_mul_f64_e32 v[179:180], v[2:3], v[36:37]
	v_mul_f64_e32 v[36:37], v[4:5], v[36:37]
	s_wait_loadcnt_dscnt 0x800
	v_mul_f64_e32 v[173:174], v[42:43], v[163:164]
	v_add_f64_e32 v[169:170], v[169:170], v[177:178]
	v_add_f64_e32 v[171:172], v[171:172], v[175:176]
	v_mul_f64_e32 v[175:176], v[44:45], v[163:164]
	v_fma_f64 v[177:178], v[4:5], v[34:35], v[179:180]
	v_fma_f64 v[179:180], v[2:3], v[34:35], -v[36:37]
	ds_load_b128 v[2:5], v1 offset:1472
	scratch_load_b128 v[34:37], off, off offset:736
	v_fma_f64 v[44:45], v[44:45], v[161:162], v[173:174]
	v_add_f64_e32 v[169:170], v[169:170], v[165:166]
	v_add_f64_e32 v[167:168], v[171:172], v[167:168]
	ds_load_b128 v[163:166], v1 offset:1488
	v_fma_f64 v[161:162], v[42:43], v[161:162], -v[175:176]
	s_wait_loadcnt_dscnt 0x801
	v_mul_f64_e32 v[171:172], v[2:3], v[40:41]
	v_mul_f64_e32 v[181:182], v[4:5], v[40:41]
	scratch_load_b128 v[40:43], off, off offset:752
	s_wait_loadcnt_dscnt 0x800
	v_mul_f64_e32 v[175:176], v[163:164], v[8:9]
	v_mul_f64_e32 v[8:9], v[165:166], v[8:9]
	v_add_f64_e32 v[169:170], v[169:170], v[179:180]
	v_add_f64_e32 v[167:168], v[167:168], v[177:178]
	v_fma_f64 v[177:178], v[4:5], v[38:39], v[171:172]
	v_fma_f64 v[38:39], v[2:3], v[38:39], -v[181:182]
	ds_load_b128 v[2:5], v1 offset:1504
	ds_load_b128 v[171:174], v1 offset:1520
	v_fma_f64 v[165:166], v[165:166], v[6:7], v[175:176]
	v_fma_f64 v[163:164], v[163:164], v[6:7], -v[8:9]
	scratch_load_b128 v[6:9], off, off offset:784
	v_add_f64_e32 v[161:162], v[169:170], v[161:162]
	v_add_f64_e32 v[44:45], v[167:168], v[44:45]
	scratch_load_b128 v[167:170], off, off offset:768
	s_wait_loadcnt_dscnt 0x901
	v_mul_f64_e32 v[179:180], v[2:3], v[12:13]
	v_mul_f64_e32 v[12:13], v[4:5], v[12:13]
	s_wait_loadcnt_dscnt 0x800
	v_mul_f64_e32 v[175:176], v[171:172], v[16:17]
	v_mul_f64_e32 v[16:17], v[173:174], v[16:17]
	v_add_f64_e32 v[38:39], v[161:162], v[38:39]
	v_add_f64_e32 v[44:45], v[44:45], v[177:178]
	v_fma_f64 v[177:178], v[4:5], v[10:11], v[179:180]
	v_fma_f64 v[179:180], v[2:3], v[10:11], -v[12:13]
	ds_load_b128 v[2:5], v1 offset:1536
	scratch_load_b128 v[10:13], off, off offset:800
	v_fma_f64 v[173:174], v[173:174], v[14:15], v[175:176]
	v_fma_f64 v[171:172], v[171:172], v[14:15], -v[16:17]
	scratch_load_b128 v[14:17], off, off offset:816
	v_add_f64_e32 v[38:39], v[38:39], v[163:164]
	v_add_f64_e32 v[44:45], v[44:45], v[165:166]
	ds_load_b128 v[161:164], v1 offset:1552
	s_wait_loadcnt_dscnt 0x901
	v_mul_f64_e32 v[165:166], v[2:3], v[20:21]
	v_mul_f64_e32 v[20:21], v[4:5], v[20:21]
	s_wait_loadcnt_dscnt 0x800
	v_mul_f64_e32 v[175:176], v[161:162], v[24:25]
	v_mul_f64_e32 v[24:25], v[163:164], v[24:25]
	v_add_f64_e32 v[38:39], v[38:39], v[179:180]
	v_add_f64_e32 v[44:45], v[44:45], v[177:178]
	v_fma_f64 v[165:166], v[4:5], v[18:19], v[165:166]
	v_fma_f64 v[177:178], v[2:3], v[18:19], -v[20:21]
	ds_load_b128 v[2:5], v1 offset:1568
	scratch_load_b128 v[18:21], off, off offset:832
	v_fma_f64 v[163:164], v[163:164], v[22:23], v[175:176]
	v_fma_f64 v[161:162], v[161:162], v[22:23], -v[24:25]
	scratch_load_b128 v[22:25], off, off offset:848
	v_add_f64_e32 v[38:39], v[38:39], v[171:172]
	v_add_f64_e32 v[44:45], v[44:45], v[173:174]
	ds_load_b128 v[171:174], v1 offset:1584
	s_wait_loadcnt_dscnt 0x901
	v_mul_f64_e32 v[179:180], v[2:3], v[28:29]
	v_mul_f64_e32 v[28:29], v[4:5], v[28:29]
	v_add_f64_e32 v[38:39], v[38:39], v[177:178]
	v_add_f64_e32 v[44:45], v[44:45], v[165:166]
	s_wait_loadcnt_dscnt 0x800
	v_mul_f64_e32 v[165:166], v[171:172], v[32:33]
	v_mul_f64_e32 v[32:33], v[173:174], v[32:33]
	v_fma_f64 v[175:176], v[4:5], v[26:27], v[179:180]
	v_fma_f64 v[177:178], v[2:3], v[26:27], -v[28:29]
	ds_load_b128 v[2:5], v1 offset:1600
	scratch_load_b128 v[26:29], off, off offset:864
	v_add_f64_e32 v[38:39], v[38:39], v[161:162]
	v_add_f64_e32 v[44:45], v[44:45], v[163:164]
	ds_load_b128 v[161:164], v1 offset:1616
	s_wait_loadcnt_dscnt 0x801
	v_mul_f64_e32 v[179:180], v[2:3], v[36:37]
	v_mul_f64_e32 v[36:37], v[4:5], v[36:37]
	v_fma_f64 v[165:166], v[173:174], v[30:31], v[165:166]
	v_fma_f64 v[171:172], v[171:172], v[30:31], -v[32:33]
	scratch_load_b128 v[30:33], off, off offset:880
	s_wait_loadcnt_dscnt 0x800
	v_mul_f64_e32 v[173:174], v[161:162], v[42:43]
	v_add_f64_e32 v[38:39], v[38:39], v[177:178]
	v_add_f64_e32 v[44:45], v[44:45], v[175:176]
	v_mul_f64_e32 v[42:43], v[163:164], v[42:43]
	v_fma_f64 v[175:176], v[4:5], v[34:35], v[179:180]
	v_fma_f64 v[177:178], v[2:3], v[34:35], -v[36:37]
	ds_load_b128 v[2:5], v1 offset:1632
	ds_load_b128 v[34:37], v1 offset:1648
	v_fma_f64 v[163:164], v[163:164], v[40:41], v[173:174]
	v_add_f64_e32 v[38:39], v[38:39], v[171:172]
	v_add_f64_e32 v[44:45], v[44:45], v[165:166]
	v_fma_f64 v[40:41], v[161:162], v[40:41], -v[42:43]
	s_wait_loadcnt_dscnt 0x601
	v_mul_f64_e32 v[165:166], v[2:3], v[169:170]
	v_mul_f64_e32 v[169:170], v[4:5], v[169:170]
	v_add_f64_e32 v[38:39], v[38:39], v[177:178]
	v_add_f64_e32 v[42:43], v[44:45], v[175:176]
	s_wait_dscnt 0x0
	v_mul_f64_e32 v[44:45], v[34:35], v[8:9]
	v_mul_f64_e32 v[8:9], v[36:37], v[8:9]
	v_fma_f64 v[161:162], v[4:5], v[167:168], v[165:166]
	v_fma_f64 v[165:166], v[2:3], v[167:168], -v[169:170]
	v_add_f64_e32 v[167:168], v[38:39], v[40:41]
	v_add_f64_e32 v[42:43], v[42:43], v[163:164]
	ds_load_b128 v[2:5], v1 offset:1664
	ds_load_b128 v[38:41], v1 offset:1680
	v_fma_f64 v[36:37], v[36:37], v[6:7], v[44:45]
	v_fma_f64 v[6:7], v[34:35], v[6:7], -v[8:9]
	s_wait_loadcnt_dscnt 0x501
	v_mul_f64_e32 v[163:164], v[2:3], v[12:13]
	v_mul_f64_e32 v[12:13], v[4:5], v[12:13]
	v_add_f64_e32 v[8:9], v[167:168], v[165:166]
	v_add_f64_e32 v[34:35], v[42:43], v[161:162]
	s_wait_loadcnt_dscnt 0x400
	v_mul_f64_e32 v[42:43], v[38:39], v[16:17]
	v_mul_f64_e32 v[16:17], v[40:41], v[16:17]
	v_fma_f64 v[44:45], v[4:5], v[10:11], v[163:164]
	v_fma_f64 v[10:11], v[2:3], v[10:11], -v[12:13]
	v_add_f64_e32 v[12:13], v[8:9], v[6:7]
	v_add_f64_e32 v[34:35], v[34:35], v[36:37]
	ds_load_b128 v[2:5], v1 offset:1696
	ds_load_b128 v[6:9], v1 offset:1712
	v_fma_f64 v[40:41], v[40:41], v[14:15], v[42:43]
	v_fma_f64 v[14:15], v[38:39], v[14:15], -v[16:17]
	s_wait_loadcnt_dscnt 0x301
	v_mul_f64_e32 v[36:37], v[2:3], v[20:21]
	v_mul_f64_e32 v[20:21], v[4:5], v[20:21]
	s_wait_loadcnt_dscnt 0x200
	v_mul_f64_e32 v[16:17], v[6:7], v[24:25]
	v_mul_f64_e32 v[24:25], v[8:9], v[24:25]
	v_add_f64_e32 v[10:11], v[12:13], v[10:11]
	v_add_f64_e32 v[12:13], v[34:35], v[44:45]
	v_fma_f64 v[34:35], v[4:5], v[18:19], v[36:37]
	v_fma_f64 v[18:19], v[2:3], v[18:19], -v[20:21]
	v_fma_f64 v[8:9], v[8:9], v[22:23], v[16:17]
	v_fma_f64 v[6:7], v[6:7], v[22:23], -v[24:25]
	v_add_f64_e32 v[14:15], v[10:11], v[14:15]
	v_add_f64_e32 v[20:21], v[12:13], v[40:41]
	ds_load_b128 v[2:5], v1 offset:1728
	ds_load_b128 v[10:13], v1 offset:1744
	s_wait_loadcnt_dscnt 0x101
	v_mul_f64_e32 v[36:37], v[2:3], v[28:29]
	v_mul_f64_e32 v[28:29], v[4:5], v[28:29]
	v_add_f64_e32 v[14:15], v[14:15], v[18:19]
	v_add_f64_e32 v[16:17], v[20:21], v[34:35]
	s_wait_loadcnt_dscnt 0x0
	v_mul_f64_e32 v[18:19], v[10:11], v[32:33]
	v_mul_f64_e32 v[20:21], v[12:13], v[32:33]
	v_fma_f64 v[4:5], v[4:5], v[26:27], v[36:37]
	v_fma_f64 v[1:2], v[2:3], v[26:27], -v[28:29]
	v_add_f64_e32 v[6:7], v[14:15], v[6:7]
	v_add_f64_e32 v[8:9], v[16:17], v[8:9]
	v_fma_f64 v[12:13], v[12:13], v[30:31], v[18:19]
	v_fma_f64 v[10:11], v[10:11], v[30:31], -v[20:21]
	s_delay_alu instid0(VALU_DEP_4) | instskip(NEXT) | instid1(VALU_DEP_4)
	v_add_f64_e32 v[1:2], v[6:7], v[1:2]
	v_add_f64_e32 v[3:4], v[8:9], v[4:5]
	s_delay_alu instid0(VALU_DEP_2) | instskip(NEXT) | instid1(VALU_DEP_2)
	v_add_f64_e32 v[1:2], v[1:2], v[10:11]
	v_add_f64_e32 v[3:4], v[3:4], v[12:13]
	s_delay_alu instid0(VALU_DEP_2) | instskip(NEXT) | instid1(VALU_DEP_2)
	v_add_f64_e64 v[1:2], v[157:158], -v[1:2]
	v_add_f64_e64 v[3:4], v[159:160], -v[3:4]
	scratch_store_b128 off, v[1:4], off offset:432
	v_cmpx_lt_u32_e32 25, v0
	s_cbranch_execz .LBB54_293
; %bb.292:
	scratch_load_b128 v[1:4], off, s43
	v_mov_b32_e32 v5, 0
	s_delay_alu instid0(VALU_DEP_1)
	v_dual_mov_b32 v6, v5 :: v_dual_mov_b32 v7, v5
	v_mov_b32_e32 v8, v5
	scratch_store_b128 off, v[5:8], off offset:416
	s_wait_loadcnt 0x0
	ds_store_b128 v156, v[1:4]
.LBB54_293:
	s_wait_alu 0xfffe
	s_or_b32 exec_lo, exec_lo, s0
	s_wait_storecnt_dscnt 0x0
	s_barrier_signal -1
	s_barrier_wait -1
	global_inv scope:SCOPE_SE
	s_clause 0x7
	scratch_load_b128 v[2:5], off, off offset:432
	scratch_load_b128 v[6:9], off, off offset:448
	;; [unrolled: 1-line block ×8, first 2 shown]
	v_mov_b32_e32 v1, 0
	s_mov_b32 s0, exec_lo
	ds_load_b128 v[34:37], v1 offset:1296
	s_clause 0x1
	scratch_load_b128 v[38:41], off, off offset:560
	scratch_load_b128 v[42:45], off, off offset:416
	ds_load_b128 v[157:160], v1 offset:1312
	scratch_load_b128 v[161:164], off, off offset:576
	s_wait_loadcnt_dscnt 0xa01
	v_mul_f64_e32 v[165:166], v[36:37], v[4:5]
	v_mul_f64_e32 v[4:5], v[34:35], v[4:5]
	s_delay_alu instid0(VALU_DEP_2) | instskip(NEXT) | instid1(VALU_DEP_2)
	v_fma_f64 v[171:172], v[34:35], v[2:3], -v[165:166]
	v_fma_f64 v[173:174], v[36:37], v[2:3], v[4:5]
	ds_load_b128 v[2:5], v1 offset:1328
	s_wait_loadcnt_dscnt 0x901
	v_mul_f64_e32 v[169:170], v[157:158], v[8:9]
	v_mul_f64_e32 v[8:9], v[159:160], v[8:9]
	scratch_load_b128 v[34:37], off, off offset:592
	ds_load_b128 v[165:168], v1 offset:1344
	s_wait_loadcnt_dscnt 0x901
	v_mul_f64_e32 v[175:176], v[2:3], v[12:13]
	v_mul_f64_e32 v[12:13], v[4:5], v[12:13]
	v_fma_f64 v[159:160], v[159:160], v[6:7], v[169:170]
	v_fma_f64 v[157:158], v[157:158], v[6:7], -v[8:9]
	v_add_f64_e32 v[169:170], 0, v[171:172]
	v_add_f64_e32 v[171:172], 0, v[173:174]
	scratch_load_b128 v[6:9], off, off offset:608
	v_fma_f64 v[175:176], v[4:5], v[10:11], v[175:176]
	v_fma_f64 v[177:178], v[2:3], v[10:11], -v[12:13]
	ds_load_b128 v[2:5], v1 offset:1360
	s_wait_loadcnt_dscnt 0x901
	v_mul_f64_e32 v[173:174], v[165:166], v[16:17]
	v_mul_f64_e32 v[16:17], v[167:168], v[16:17]
	scratch_load_b128 v[10:13], off, off offset:624
	v_add_f64_e32 v[169:170], v[169:170], v[157:158]
	v_add_f64_e32 v[171:172], v[171:172], v[159:160]
	s_wait_loadcnt_dscnt 0x900
	v_mul_f64_e32 v[179:180], v[2:3], v[20:21]
	v_mul_f64_e32 v[20:21], v[4:5], v[20:21]
	ds_load_b128 v[157:160], v1 offset:1376
	v_fma_f64 v[167:168], v[167:168], v[14:15], v[173:174]
	v_fma_f64 v[165:166], v[165:166], v[14:15], -v[16:17]
	scratch_load_b128 v[14:17], off, off offset:640
	v_add_f64_e32 v[169:170], v[169:170], v[177:178]
	v_add_f64_e32 v[171:172], v[171:172], v[175:176]
	v_fma_f64 v[175:176], v[4:5], v[18:19], v[179:180]
	v_fma_f64 v[177:178], v[2:3], v[18:19], -v[20:21]
	ds_load_b128 v[2:5], v1 offset:1392
	s_wait_loadcnt_dscnt 0x901
	v_mul_f64_e32 v[173:174], v[157:158], v[24:25]
	v_mul_f64_e32 v[24:25], v[159:160], v[24:25]
	scratch_load_b128 v[18:21], off, off offset:656
	s_wait_loadcnt_dscnt 0x900
	v_mul_f64_e32 v[179:180], v[2:3], v[28:29]
	v_mul_f64_e32 v[28:29], v[4:5], v[28:29]
	v_add_f64_e32 v[169:170], v[169:170], v[165:166]
	v_add_f64_e32 v[171:172], v[171:172], v[167:168]
	ds_load_b128 v[165:168], v1 offset:1408
	v_fma_f64 v[159:160], v[159:160], v[22:23], v[173:174]
	v_fma_f64 v[157:158], v[157:158], v[22:23], -v[24:25]
	scratch_load_b128 v[22:25], off, off offset:672
	v_add_f64_e32 v[169:170], v[169:170], v[177:178]
	v_add_f64_e32 v[171:172], v[171:172], v[175:176]
	v_fma_f64 v[175:176], v[4:5], v[26:27], v[179:180]
	v_fma_f64 v[177:178], v[2:3], v[26:27], -v[28:29]
	ds_load_b128 v[2:5], v1 offset:1424
	s_wait_loadcnt_dscnt 0x901
	v_mul_f64_e32 v[173:174], v[165:166], v[32:33]
	v_mul_f64_e32 v[32:33], v[167:168], v[32:33]
	scratch_load_b128 v[26:29], off, off offset:688
	s_wait_loadcnt_dscnt 0x900
	v_mul_f64_e32 v[179:180], v[2:3], v[40:41]
	v_mul_f64_e32 v[40:41], v[4:5], v[40:41]
	v_add_f64_e32 v[169:170], v[169:170], v[157:158]
	v_add_f64_e32 v[171:172], v[171:172], v[159:160]
	ds_load_b128 v[157:160], v1 offset:1440
	v_fma_f64 v[167:168], v[167:168], v[30:31], v[173:174]
	v_fma_f64 v[165:166], v[165:166], v[30:31], -v[32:33]
	scratch_load_b128 v[30:33], off, off offset:704
	v_add_f64_e32 v[169:170], v[169:170], v[177:178]
	v_add_f64_e32 v[171:172], v[171:172], v[175:176]
	v_fma_f64 v[177:178], v[4:5], v[38:39], v[179:180]
	v_fma_f64 v[179:180], v[2:3], v[38:39], -v[40:41]
	ds_load_b128 v[2:5], v1 offset:1456
	s_wait_loadcnt_dscnt 0x801
	v_mul_f64_e32 v[173:174], v[157:158], v[163:164]
	v_mul_f64_e32 v[175:176], v[159:160], v[163:164]
	scratch_load_b128 v[38:41], off, off offset:720
	v_add_f64_e32 v[169:170], v[169:170], v[165:166]
	v_add_f64_e32 v[167:168], v[171:172], v[167:168]
	ds_load_b128 v[163:166], v1 offset:1472
	v_fma_f64 v[173:174], v[159:160], v[161:162], v[173:174]
	v_fma_f64 v[161:162], v[157:158], v[161:162], -v[175:176]
	scratch_load_b128 v[157:160], off, off offset:736
	s_wait_loadcnt_dscnt 0x901
	v_mul_f64_e32 v[171:172], v[2:3], v[36:37]
	v_mul_f64_e32 v[36:37], v[4:5], v[36:37]
	v_add_f64_e32 v[169:170], v[169:170], v[179:180]
	v_add_f64_e32 v[167:168], v[167:168], v[177:178]
	s_delay_alu instid0(VALU_DEP_4) | instskip(NEXT) | instid1(VALU_DEP_4)
	v_fma_f64 v[171:172], v[4:5], v[34:35], v[171:172]
	v_fma_f64 v[177:178], v[2:3], v[34:35], -v[36:37]
	ds_load_b128 v[2:5], v1 offset:1488
	s_wait_loadcnt_dscnt 0x801
	v_mul_f64_e32 v[175:176], v[163:164], v[8:9]
	v_mul_f64_e32 v[8:9], v[165:166], v[8:9]
	scratch_load_b128 v[34:37], off, off offset:752
	s_wait_loadcnt_dscnt 0x800
	v_mul_f64_e32 v[179:180], v[2:3], v[12:13]
	v_add_f64_e32 v[161:162], v[169:170], v[161:162]
	v_add_f64_e32 v[173:174], v[167:168], v[173:174]
	v_mul_f64_e32 v[12:13], v[4:5], v[12:13]
	ds_load_b128 v[167:170], v1 offset:1504
	v_fma_f64 v[165:166], v[165:166], v[6:7], v[175:176]
	v_fma_f64 v[163:164], v[163:164], v[6:7], -v[8:9]
	scratch_load_b128 v[6:9], off, off offset:768
	v_fma_f64 v[175:176], v[4:5], v[10:11], v[179:180]
	v_add_f64_e32 v[161:162], v[161:162], v[177:178]
	v_add_f64_e32 v[171:172], v[173:174], v[171:172]
	v_fma_f64 v[177:178], v[2:3], v[10:11], -v[12:13]
	ds_load_b128 v[2:5], v1 offset:1520
	s_wait_loadcnt_dscnt 0x801
	v_mul_f64_e32 v[173:174], v[167:168], v[16:17]
	v_mul_f64_e32 v[16:17], v[169:170], v[16:17]
	scratch_load_b128 v[10:13], off, off offset:784
	v_add_f64_e32 v[179:180], v[161:162], v[163:164]
	v_add_f64_e32 v[165:166], v[171:172], v[165:166]
	s_wait_loadcnt_dscnt 0x800
	v_mul_f64_e32 v[171:172], v[2:3], v[20:21]
	v_mul_f64_e32 v[20:21], v[4:5], v[20:21]
	v_fma_f64 v[169:170], v[169:170], v[14:15], v[173:174]
	v_fma_f64 v[167:168], v[167:168], v[14:15], -v[16:17]
	ds_load_b128 v[161:164], v1 offset:1536
	scratch_load_b128 v[14:17], off, off offset:800
	v_add_f64_e32 v[173:174], v[179:180], v[177:178]
	v_add_f64_e32 v[165:166], v[165:166], v[175:176]
	v_fma_f64 v[171:172], v[4:5], v[18:19], v[171:172]
	v_fma_f64 v[177:178], v[2:3], v[18:19], -v[20:21]
	ds_load_b128 v[2:5], v1 offset:1552
	s_wait_loadcnt_dscnt 0x801
	v_mul_f64_e32 v[175:176], v[161:162], v[24:25]
	v_mul_f64_e32 v[24:25], v[163:164], v[24:25]
	scratch_load_b128 v[18:21], off, off offset:816
	s_wait_loadcnt_dscnt 0x800
	v_mul_f64_e32 v[179:180], v[2:3], v[28:29]
	v_mul_f64_e32 v[28:29], v[4:5], v[28:29]
	v_add_f64_e32 v[173:174], v[173:174], v[167:168]
	v_add_f64_e32 v[169:170], v[165:166], v[169:170]
	ds_load_b128 v[165:168], v1 offset:1568
	v_fma_f64 v[163:164], v[163:164], v[22:23], v[175:176]
	v_fma_f64 v[161:162], v[161:162], v[22:23], -v[24:25]
	scratch_load_b128 v[22:25], off, off offset:832
	v_fma_f64 v[175:176], v[4:5], v[26:27], v[179:180]
	v_add_f64_e32 v[173:174], v[173:174], v[177:178]
	v_add_f64_e32 v[169:170], v[169:170], v[171:172]
	v_fma_f64 v[177:178], v[2:3], v[26:27], -v[28:29]
	ds_load_b128 v[2:5], v1 offset:1584
	s_wait_loadcnt_dscnt 0x801
	v_mul_f64_e32 v[171:172], v[165:166], v[32:33]
	v_mul_f64_e32 v[32:33], v[167:168], v[32:33]
	scratch_load_b128 v[26:29], off, off offset:848
	s_wait_loadcnt_dscnt 0x800
	v_mul_f64_e32 v[179:180], v[2:3], v[40:41]
	v_mul_f64_e32 v[40:41], v[4:5], v[40:41]
	v_add_f64_e32 v[173:174], v[173:174], v[161:162]
	v_add_f64_e32 v[169:170], v[169:170], v[163:164]
	ds_load_b128 v[161:164], v1 offset:1600
	v_fma_f64 v[167:168], v[167:168], v[30:31], v[171:172]
	v_fma_f64 v[165:166], v[165:166], v[30:31], -v[32:33]
	scratch_load_b128 v[30:33], off, off offset:864
	v_add_f64_e32 v[171:172], v[173:174], v[177:178]
	v_add_f64_e32 v[169:170], v[169:170], v[175:176]
	v_fma_f64 v[175:176], v[4:5], v[38:39], v[179:180]
	v_fma_f64 v[177:178], v[2:3], v[38:39], -v[40:41]
	ds_load_b128 v[2:5], v1 offset:1616
	s_wait_loadcnt_dscnt 0x801
	v_mul_f64_e32 v[173:174], v[161:162], v[159:160]
	v_mul_f64_e32 v[159:160], v[163:164], v[159:160]
	scratch_load_b128 v[38:41], off, off offset:880
	s_wait_loadcnt_dscnt 0x800
	v_mul_f64_e32 v[179:180], v[2:3], v[36:37]
	v_mul_f64_e32 v[36:37], v[4:5], v[36:37]
	v_add_f64_e32 v[171:172], v[171:172], v[165:166]
	v_add_f64_e32 v[169:170], v[169:170], v[167:168]
	ds_load_b128 v[165:168], v1 offset:1632
	v_fma_f64 v[163:164], v[163:164], v[157:158], v[173:174]
	v_fma_f64 v[157:158], v[161:162], v[157:158], -v[159:160]
	v_fma_f64 v[173:174], v[2:3], v[34:35], -v[36:37]
	v_add_f64_e32 v[159:160], v[171:172], v[177:178]
	v_add_f64_e32 v[161:162], v[169:170], v[175:176]
	s_wait_loadcnt_dscnt 0x700
	v_mul_f64_e32 v[169:170], v[165:166], v[8:9]
	v_mul_f64_e32 v[8:9], v[167:168], v[8:9]
	v_fma_f64 v[171:172], v[4:5], v[34:35], v[179:180]
	ds_load_b128 v[2:5], v1 offset:1648
	ds_load_b128 v[34:37], v1 offset:1664
	v_add_f64_e32 v[157:158], v[159:160], v[157:158]
	v_add_f64_e32 v[159:160], v[161:162], v[163:164]
	s_wait_loadcnt_dscnt 0x601
	v_mul_f64_e32 v[161:162], v[2:3], v[12:13]
	v_mul_f64_e32 v[12:13], v[4:5], v[12:13]
	v_fma_f64 v[163:164], v[167:168], v[6:7], v[169:170]
	v_fma_f64 v[6:7], v[165:166], v[6:7], -v[8:9]
	v_add_f64_e32 v[8:9], v[157:158], v[173:174]
	v_add_f64_e32 v[157:158], v[159:160], v[171:172]
	s_wait_loadcnt_dscnt 0x500
	v_mul_f64_e32 v[159:160], v[34:35], v[16:17]
	v_mul_f64_e32 v[16:17], v[36:37], v[16:17]
	v_fma_f64 v[161:162], v[4:5], v[10:11], v[161:162]
	v_fma_f64 v[10:11], v[2:3], v[10:11], -v[12:13]
	v_add_f64_e32 v[12:13], v[8:9], v[6:7]
	v_add_f64_e32 v[157:158], v[157:158], v[163:164]
	ds_load_b128 v[2:5], v1 offset:1680
	ds_load_b128 v[6:9], v1 offset:1696
	v_fma_f64 v[36:37], v[36:37], v[14:15], v[159:160]
	v_fma_f64 v[14:15], v[34:35], v[14:15], -v[16:17]
	s_wait_loadcnt_dscnt 0x401
	v_mul_f64_e32 v[163:164], v[2:3], v[20:21]
	v_mul_f64_e32 v[20:21], v[4:5], v[20:21]
	s_wait_loadcnt_dscnt 0x300
	v_mul_f64_e32 v[16:17], v[6:7], v[24:25]
	v_mul_f64_e32 v[24:25], v[8:9], v[24:25]
	v_add_f64_e32 v[10:11], v[12:13], v[10:11]
	v_add_f64_e32 v[12:13], v[157:158], v[161:162]
	v_fma_f64 v[34:35], v[4:5], v[18:19], v[163:164]
	v_fma_f64 v[18:19], v[2:3], v[18:19], -v[20:21]
	v_fma_f64 v[8:9], v[8:9], v[22:23], v[16:17]
	v_fma_f64 v[6:7], v[6:7], v[22:23], -v[24:25]
	v_add_f64_e32 v[14:15], v[10:11], v[14:15]
	v_add_f64_e32 v[20:21], v[12:13], v[36:37]
	ds_load_b128 v[2:5], v1 offset:1712
	ds_load_b128 v[10:13], v1 offset:1728
	s_wait_loadcnt_dscnt 0x201
	v_mul_f64_e32 v[36:37], v[2:3], v[28:29]
	v_mul_f64_e32 v[28:29], v[4:5], v[28:29]
	v_add_f64_e32 v[14:15], v[14:15], v[18:19]
	v_add_f64_e32 v[16:17], v[20:21], v[34:35]
	s_wait_loadcnt_dscnt 0x100
	v_mul_f64_e32 v[18:19], v[10:11], v[32:33]
	v_mul_f64_e32 v[20:21], v[12:13], v[32:33]
	v_fma_f64 v[22:23], v[4:5], v[26:27], v[36:37]
	v_fma_f64 v[24:25], v[2:3], v[26:27], -v[28:29]
	ds_load_b128 v[2:5], v1 offset:1744
	v_add_f64_e32 v[6:7], v[14:15], v[6:7]
	v_add_f64_e32 v[8:9], v[16:17], v[8:9]
	v_fma_f64 v[12:13], v[12:13], v[30:31], v[18:19]
	v_fma_f64 v[10:11], v[10:11], v[30:31], -v[20:21]
	s_wait_loadcnt_dscnt 0x0
	v_mul_f64_e32 v[14:15], v[2:3], v[40:41]
	v_mul_f64_e32 v[16:17], v[4:5], v[40:41]
	v_add_f64_e32 v[6:7], v[6:7], v[24:25]
	v_add_f64_e32 v[8:9], v[8:9], v[22:23]
	s_delay_alu instid0(VALU_DEP_4) | instskip(NEXT) | instid1(VALU_DEP_4)
	v_fma_f64 v[4:5], v[4:5], v[38:39], v[14:15]
	v_fma_f64 v[2:3], v[2:3], v[38:39], -v[16:17]
	s_delay_alu instid0(VALU_DEP_4) | instskip(NEXT) | instid1(VALU_DEP_4)
	v_add_f64_e32 v[6:7], v[6:7], v[10:11]
	v_add_f64_e32 v[8:9], v[8:9], v[12:13]
	s_delay_alu instid0(VALU_DEP_2) | instskip(NEXT) | instid1(VALU_DEP_2)
	v_add_f64_e32 v[2:3], v[6:7], v[2:3]
	v_add_f64_e32 v[4:5], v[8:9], v[4:5]
	s_delay_alu instid0(VALU_DEP_2) | instskip(NEXT) | instid1(VALU_DEP_2)
	v_add_f64_e64 v[2:3], v[42:43], -v[2:3]
	v_add_f64_e64 v[4:5], v[44:45], -v[4:5]
	scratch_store_b128 off, v[2:5], off offset:416
	v_cmpx_lt_u32_e32 24, v0
	s_cbranch_execz .LBB54_295
; %bb.294:
	scratch_load_b128 v[5:8], off, s44
	v_dual_mov_b32 v2, v1 :: v_dual_mov_b32 v3, v1
	v_mov_b32_e32 v4, v1
	scratch_store_b128 off, v[1:4], off offset:400
	s_wait_loadcnt 0x0
	ds_store_b128 v156, v[5:8]
.LBB54_295:
	s_wait_alu 0xfffe
	s_or_b32 exec_lo, exec_lo, s0
	s_wait_storecnt_dscnt 0x0
	s_barrier_signal -1
	s_barrier_wait -1
	global_inv scope:SCOPE_SE
	s_clause 0x8
	scratch_load_b128 v[2:5], off, off offset:416
	scratch_load_b128 v[6:9], off, off offset:432
	;; [unrolled: 1-line block ×9, first 2 shown]
	ds_load_b128 v[38:41], v1 offset:1280
	ds_load_b128 v[42:45], v1 offset:1296
	s_clause 0x1
	scratch_load_b128 v[157:160], off, off offset:400
	scratch_load_b128 v[161:164], off, off offset:560
	s_mov_b32 s0, exec_lo
	s_wait_loadcnt_dscnt 0xa01
	v_mul_f64_e32 v[165:166], v[40:41], v[4:5]
	v_mul_f64_e32 v[4:5], v[38:39], v[4:5]
	s_wait_loadcnt_dscnt 0x900
	v_mul_f64_e32 v[169:170], v[42:43], v[8:9]
	v_mul_f64_e32 v[8:9], v[44:45], v[8:9]
	s_delay_alu instid0(VALU_DEP_4) | instskip(NEXT) | instid1(VALU_DEP_4)
	v_fma_f64 v[171:172], v[38:39], v[2:3], -v[165:166]
	v_fma_f64 v[173:174], v[40:41], v[2:3], v[4:5]
	ds_load_b128 v[2:5], v1 offset:1312
	ds_load_b128 v[165:168], v1 offset:1328
	scratch_load_b128 v[38:41], off, off offset:576
	v_fma_f64 v[44:45], v[44:45], v[6:7], v[169:170]
	v_fma_f64 v[42:43], v[42:43], v[6:7], -v[8:9]
	scratch_load_b128 v[6:9], off, off offset:592
	s_wait_loadcnt_dscnt 0xa01
	v_mul_f64_e32 v[175:176], v[2:3], v[12:13]
	v_mul_f64_e32 v[12:13], v[4:5], v[12:13]
	v_add_f64_e32 v[169:170], 0, v[171:172]
	v_add_f64_e32 v[171:172], 0, v[173:174]
	s_wait_loadcnt_dscnt 0x900
	v_mul_f64_e32 v[173:174], v[165:166], v[16:17]
	v_mul_f64_e32 v[16:17], v[167:168], v[16:17]
	v_fma_f64 v[175:176], v[4:5], v[10:11], v[175:176]
	v_fma_f64 v[177:178], v[2:3], v[10:11], -v[12:13]
	ds_load_b128 v[2:5], v1 offset:1344
	scratch_load_b128 v[10:13], off, off offset:608
	v_add_f64_e32 v[169:170], v[169:170], v[42:43]
	v_add_f64_e32 v[171:172], v[171:172], v[44:45]
	ds_load_b128 v[42:45], v1 offset:1360
	v_fma_f64 v[167:168], v[167:168], v[14:15], v[173:174]
	v_fma_f64 v[165:166], v[165:166], v[14:15], -v[16:17]
	scratch_load_b128 v[14:17], off, off offset:624
	s_wait_loadcnt_dscnt 0xa01
	v_mul_f64_e32 v[179:180], v[2:3], v[20:21]
	v_mul_f64_e32 v[20:21], v[4:5], v[20:21]
	s_wait_loadcnt_dscnt 0x900
	v_mul_f64_e32 v[173:174], v[42:43], v[24:25]
	v_mul_f64_e32 v[24:25], v[44:45], v[24:25]
	v_add_f64_e32 v[169:170], v[169:170], v[177:178]
	v_add_f64_e32 v[171:172], v[171:172], v[175:176]
	v_fma_f64 v[175:176], v[4:5], v[18:19], v[179:180]
	v_fma_f64 v[177:178], v[2:3], v[18:19], -v[20:21]
	ds_load_b128 v[2:5], v1 offset:1376
	scratch_load_b128 v[18:21], off, off offset:640
	v_fma_f64 v[44:45], v[44:45], v[22:23], v[173:174]
	v_fma_f64 v[42:43], v[42:43], v[22:23], -v[24:25]
	scratch_load_b128 v[22:25], off, off offset:656
	v_add_f64_e32 v[169:170], v[169:170], v[165:166]
	v_add_f64_e32 v[171:172], v[171:172], v[167:168]
	ds_load_b128 v[165:168], v1 offset:1392
	s_wait_loadcnt_dscnt 0xa01
	v_mul_f64_e32 v[179:180], v[2:3], v[28:29]
	v_mul_f64_e32 v[28:29], v[4:5], v[28:29]
	s_wait_loadcnt_dscnt 0x900
	v_mul_f64_e32 v[173:174], v[165:166], v[32:33]
	v_mul_f64_e32 v[32:33], v[167:168], v[32:33]
	v_add_f64_e32 v[169:170], v[169:170], v[177:178]
	v_add_f64_e32 v[171:172], v[171:172], v[175:176]
	v_fma_f64 v[175:176], v[4:5], v[26:27], v[179:180]
	v_fma_f64 v[177:178], v[2:3], v[26:27], -v[28:29]
	ds_load_b128 v[2:5], v1 offset:1408
	scratch_load_b128 v[26:29], off, off offset:672
	v_fma_f64 v[167:168], v[167:168], v[30:31], v[173:174]
	v_fma_f64 v[165:166], v[165:166], v[30:31], -v[32:33]
	scratch_load_b128 v[30:33], off, off offset:688
	v_add_f64_e32 v[169:170], v[169:170], v[42:43]
	v_add_f64_e32 v[171:172], v[171:172], v[44:45]
	ds_load_b128 v[42:45], v1 offset:1424
	s_wait_loadcnt_dscnt 0xa01
	v_mul_f64_e32 v[179:180], v[2:3], v[36:37]
	v_mul_f64_e32 v[36:37], v[4:5], v[36:37]
	s_wait_loadcnt_dscnt 0x800
	v_mul_f64_e32 v[173:174], v[42:43], v[163:164]
	v_add_f64_e32 v[169:170], v[169:170], v[177:178]
	v_add_f64_e32 v[171:172], v[171:172], v[175:176]
	v_mul_f64_e32 v[175:176], v[44:45], v[163:164]
	v_fma_f64 v[177:178], v[4:5], v[34:35], v[179:180]
	v_fma_f64 v[179:180], v[2:3], v[34:35], -v[36:37]
	ds_load_b128 v[2:5], v1 offset:1440
	scratch_load_b128 v[34:37], off, off offset:704
	v_fma_f64 v[44:45], v[44:45], v[161:162], v[173:174]
	v_add_f64_e32 v[169:170], v[169:170], v[165:166]
	v_add_f64_e32 v[167:168], v[171:172], v[167:168]
	ds_load_b128 v[163:166], v1 offset:1456
	v_fma_f64 v[161:162], v[42:43], v[161:162], -v[175:176]
	s_wait_loadcnt_dscnt 0x801
	v_mul_f64_e32 v[171:172], v[2:3], v[40:41]
	v_mul_f64_e32 v[181:182], v[4:5], v[40:41]
	scratch_load_b128 v[40:43], off, off offset:720
	s_wait_loadcnt_dscnt 0x800
	v_mul_f64_e32 v[175:176], v[163:164], v[8:9]
	v_mul_f64_e32 v[8:9], v[165:166], v[8:9]
	v_add_f64_e32 v[169:170], v[169:170], v[179:180]
	v_add_f64_e32 v[167:168], v[167:168], v[177:178]
	v_fma_f64 v[177:178], v[4:5], v[38:39], v[171:172]
	v_fma_f64 v[38:39], v[2:3], v[38:39], -v[181:182]
	ds_load_b128 v[2:5], v1 offset:1472
	ds_load_b128 v[171:174], v1 offset:1488
	v_fma_f64 v[165:166], v[165:166], v[6:7], v[175:176]
	v_fma_f64 v[163:164], v[163:164], v[6:7], -v[8:9]
	scratch_load_b128 v[6:9], off, off offset:752
	v_add_f64_e32 v[161:162], v[169:170], v[161:162]
	v_add_f64_e32 v[44:45], v[167:168], v[44:45]
	scratch_load_b128 v[167:170], off, off offset:736
	s_wait_loadcnt_dscnt 0x901
	v_mul_f64_e32 v[179:180], v[2:3], v[12:13]
	v_mul_f64_e32 v[12:13], v[4:5], v[12:13]
	s_wait_loadcnt_dscnt 0x800
	v_mul_f64_e32 v[175:176], v[171:172], v[16:17]
	v_mul_f64_e32 v[16:17], v[173:174], v[16:17]
	v_add_f64_e32 v[38:39], v[161:162], v[38:39]
	v_add_f64_e32 v[44:45], v[44:45], v[177:178]
	v_fma_f64 v[177:178], v[4:5], v[10:11], v[179:180]
	v_fma_f64 v[179:180], v[2:3], v[10:11], -v[12:13]
	ds_load_b128 v[2:5], v1 offset:1504
	scratch_load_b128 v[10:13], off, off offset:768
	v_fma_f64 v[173:174], v[173:174], v[14:15], v[175:176]
	v_fma_f64 v[171:172], v[171:172], v[14:15], -v[16:17]
	scratch_load_b128 v[14:17], off, off offset:784
	v_add_f64_e32 v[38:39], v[38:39], v[163:164]
	v_add_f64_e32 v[44:45], v[44:45], v[165:166]
	ds_load_b128 v[161:164], v1 offset:1520
	s_wait_loadcnt_dscnt 0x901
	v_mul_f64_e32 v[165:166], v[2:3], v[20:21]
	v_mul_f64_e32 v[20:21], v[4:5], v[20:21]
	s_wait_loadcnt_dscnt 0x800
	v_mul_f64_e32 v[175:176], v[161:162], v[24:25]
	v_mul_f64_e32 v[24:25], v[163:164], v[24:25]
	v_add_f64_e32 v[38:39], v[38:39], v[179:180]
	v_add_f64_e32 v[44:45], v[44:45], v[177:178]
	v_fma_f64 v[165:166], v[4:5], v[18:19], v[165:166]
	v_fma_f64 v[177:178], v[2:3], v[18:19], -v[20:21]
	ds_load_b128 v[2:5], v1 offset:1536
	scratch_load_b128 v[18:21], off, off offset:800
	v_fma_f64 v[163:164], v[163:164], v[22:23], v[175:176]
	v_fma_f64 v[161:162], v[161:162], v[22:23], -v[24:25]
	scratch_load_b128 v[22:25], off, off offset:816
	v_add_f64_e32 v[38:39], v[38:39], v[171:172]
	v_add_f64_e32 v[44:45], v[44:45], v[173:174]
	ds_load_b128 v[171:174], v1 offset:1552
	s_wait_loadcnt_dscnt 0x901
	v_mul_f64_e32 v[179:180], v[2:3], v[28:29]
	v_mul_f64_e32 v[28:29], v[4:5], v[28:29]
	v_add_f64_e32 v[38:39], v[38:39], v[177:178]
	v_add_f64_e32 v[44:45], v[44:45], v[165:166]
	s_wait_loadcnt_dscnt 0x800
	v_mul_f64_e32 v[165:166], v[171:172], v[32:33]
	v_mul_f64_e32 v[32:33], v[173:174], v[32:33]
	v_fma_f64 v[175:176], v[4:5], v[26:27], v[179:180]
	v_fma_f64 v[177:178], v[2:3], v[26:27], -v[28:29]
	ds_load_b128 v[2:5], v1 offset:1568
	scratch_load_b128 v[26:29], off, off offset:832
	v_add_f64_e32 v[38:39], v[38:39], v[161:162]
	v_add_f64_e32 v[44:45], v[44:45], v[163:164]
	ds_load_b128 v[161:164], v1 offset:1584
	s_wait_loadcnt_dscnt 0x801
	v_mul_f64_e32 v[179:180], v[2:3], v[36:37]
	v_mul_f64_e32 v[36:37], v[4:5], v[36:37]
	v_fma_f64 v[165:166], v[173:174], v[30:31], v[165:166]
	v_fma_f64 v[171:172], v[171:172], v[30:31], -v[32:33]
	scratch_load_b128 v[30:33], off, off offset:848
	s_wait_loadcnt_dscnt 0x800
	v_mul_f64_e32 v[173:174], v[161:162], v[42:43]
	v_add_f64_e32 v[38:39], v[38:39], v[177:178]
	v_add_f64_e32 v[44:45], v[44:45], v[175:176]
	v_mul_f64_e32 v[175:176], v[163:164], v[42:43]
	v_fma_f64 v[177:178], v[4:5], v[34:35], v[179:180]
	v_fma_f64 v[179:180], v[2:3], v[34:35], -v[36:37]
	ds_load_b128 v[2:5], v1 offset:1600
	scratch_load_b128 v[34:37], off, off offset:864
	v_fma_f64 v[163:164], v[163:164], v[40:41], v[173:174]
	v_add_f64_e32 v[38:39], v[38:39], v[171:172]
	v_add_f64_e32 v[165:166], v[44:45], v[165:166]
	ds_load_b128 v[42:45], v1 offset:1616
	v_fma_f64 v[161:162], v[161:162], v[40:41], -v[175:176]
	s_wait_loadcnt_dscnt 0x701
	v_mul_f64_e32 v[171:172], v[2:3], v[169:170]
	v_mul_f64_e32 v[169:170], v[4:5], v[169:170]
	s_wait_dscnt 0x0
	v_mul_f64_e32 v[175:176], v[42:43], v[8:9]
	v_mul_f64_e32 v[8:9], v[44:45], v[8:9]
	v_add_f64_e32 v[173:174], v[38:39], v[179:180]
	v_add_f64_e32 v[165:166], v[165:166], v[177:178]
	scratch_load_b128 v[38:41], off, off offset:880
	v_fma_f64 v[171:172], v[4:5], v[167:168], v[171:172]
	v_fma_f64 v[167:168], v[2:3], v[167:168], -v[169:170]
	v_fma_f64 v[44:45], v[44:45], v[6:7], v[175:176]
	v_fma_f64 v[6:7], v[42:43], v[6:7], -v[8:9]
	v_add_f64_e32 v[169:170], v[173:174], v[161:162]
	v_add_f64_e32 v[165:166], v[165:166], v[163:164]
	ds_load_b128 v[2:5], v1 offset:1632
	ds_load_b128 v[161:164], v1 offset:1648
	s_wait_loadcnt_dscnt 0x701
	v_mul_f64_e32 v[173:174], v[2:3], v[12:13]
	v_mul_f64_e32 v[12:13], v[4:5], v[12:13]
	v_add_f64_e32 v[8:9], v[169:170], v[167:168]
	v_add_f64_e32 v[42:43], v[165:166], v[171:172]
	s_wait_loadcnt_dscnt 0x600
	v_mul_f64_e32 v[165:166], v[161:162], v[16:17]
	v_mul_f64_e32 v[16:17], v[163:164], v[16:17]
	v_fma_f64 v[167:168], v[4:5], v[10:11], v[173:174]
	v_fma_f64 v[10:11], v[2:3], v[10:11], -v[12:13]
	v_add_f64_e32 v[12:13], v[8:9], v[6:7]
	v_add_f64_e32 v[42:43], v[42:43], v[44:45]
	ds_load_b128 v[2:5], v1 offset:1664
	ds_load_b128 v[6:9], v1 offset:1680
	v_fma_f64 v[163:164], v[163:164], v[14:15], v[165:166]
	v_fma_f64 v[14:15], v[161:162], v[14:15], -v[16:17]
	s_wait_loadcnt_dscnt 0x501
	v_mul_f64_e32 v[44:45], v[2:3], v[20:21]
	v_mul_f64_e32 v[20:21], v[4:5], v[20:21]
	s_wait_loadcnt_dscnt 0x400
	v_mul_f64_e32 v[16:17], v[6:7], v[24:25]
	v_mul_f64_e32 v[24:25], v[8:9], v[24:25]
	v_add_f64_e32 v[10:11], v[12:13], v[10:11]
	v_add_f64_e32 v[12:13], v[42:43], v[167:168]
	v_fma_f64 v[42:43], v[4:5], v[18:19], v[44:45]
	v_fma_f64 v[18:19], v[2:3], v[18:19], -v[20:21]
	v_fma_f64 v[8:9], v[8:9], v[22:23], v[16:17]
	v_fma_f64 v[6:7], v[6:7], v[22:23], -v[24:25]
	v_add_f64_e32 v[14:15], v[10:11], v[14:15]
	v_add_f64_e32 v[20:21], v[12:13], v[163:164]
	ds_load_b128 v[2:5], v1 offset:1696
	ds_load_b128 v[10:13], v1 offset:1712
	s_wait_loadcnt_dscnt 0x301
	v_mul_f64_e32 v[44:45], v[2:3], v[28:29]
	v_mul_f64_e32 v[28:29], v[4:5], v[28:29]
	v_add_f64_e32 v[14:15], v[14:15], v[18:19]
	v_add_f64_e32 v[16:17], v[20:21], v[42:43]
	s_wait_loadcnt_dscnt 0x200
	v_mul_f64_e32 v[18:19], v[10:11], v[32:33]
	v_mul_f64_e32 v[20:21], v[12:13], v[32:33]
	v_fma_f64 v[22:23], v[4:5], v[26:27], v[44:45]
	v_fma_f64 v[24:25], v[2:3], v[26:27], -v[28:29]
	v_add_f64_e32 v[14:15], v[14:15], v[6:7]
	v_add_f64_e32 v[16:17], v[16:17], v[8:9]
	ds_load_b128 v[2:5], v1 offset:1728
	ds_load_b128 v[6:9], v1 offset:1744
	v_fma_f64 v[12:13], v[12:13], v[30:31], v[18:19]
	v_fma_f64 v[10:11], v[10:11], v[30:31], -v[20:21]
	s_wait_loadcnt_dscnt 0x101
	v_mul_f64_e32 v[26:27], v[2:3], v[36:37]
	v_mul_f64_e32 v[28:29], v[4:5], v[36:37]
	v_add_f64_e32 v[14:15], v[14:15], v[24:25]
	v_add_f64_e32 v[16:17], v[16:17], v[22:23]
	s_wait_loadcnt_dscnt 0x0
	v_mul_f64_e32 v[18:19], v[6:7], v[40:41]
	v_mul_f64_e32 v[20:21], v[8:9], v[40:41]
	v_fma_f64 v[4:5], v[4:5], v[34:35], v[26:27]
	v_fma_f64 v[1:2], v[2:3], v[34:35], -v[28:29]
	v_add_f64_e32 v[10:11], v[14:15], v[10:11]
	v_add_f64_e32 v[12:13], v[16:17], v[12:13]
	v_fma_f64 v[8:9], v[8:9], v[38:39], v[18:19]
	v_fma_f64 v[6:7], v[6:7], v[38:39], -v[20:21]
	s_delay_alu instid0(VALU_DEP_4) | instskip(NEXT) | instid1(VALU_DEP_4)
	v_add_f64_e32 v[1:2], v[10:11], v[1:2]
	v_add_f64_e32 v[3:4], v[12:13], v[4:5]
	s_delay_alu instid0(VALU_DEP_2) | instskip(NEXT) | instid1(VALU_DEP_2)
	v_add_f64_e32 v[1:2], v[1:2], v[6:7]
	v_add_f64_e32 v[3:4], v[3:4], v[8:9]
	s_delay_alu instid0(VALU_DEP_2) | instskip(NEXT) | instid1(VALU_DEP_2)
	v_add_f64_e64 v[1:2], v[157:158], -v[1:2]
	v_add_f64_e64 v[3:4], v[159:160], -v[3:4]
	scratch_store_b128 off, v[1:4], off offset:400
	v_cmpx_lt_u32_e32 23, v0
	s_cbranch_execz .LBB54_297
; %bb.296:
	scratch_load_b128 v[1:4], off, s45
	v_mov_b32_e32 v5, 0
	s_delay_alu instid0(VALU_DEP_1)
	v_dual_mov_b32 v6, v5 :: v_dual_mov_b32 v7, v5
	v_mov_b32_e32 v8, v5
	scratch_store_b128 off, v[5:8], off offset:384
	s_wait_loadcnt 0x0
	ds_store_b128 v156, v[1:4]
.LBB54_297:
	s_wait_alu 0xfffe
	s_or_b32 exec_lo, exec_lo, s0
	s_wait_storecnt_dscnt 0x0
	s_barrier_signal -1
	s_barrier_wait -1
	global_inv scope:SCOPE_SE
	s_clause 0x7
	scratch_load_b128 v[2:5], off, off offset:400
	scratch_load_b128 v[6:9], off, off offset:416
	;; [unrolled: 1-line block ×8, first 2 shown]
	v_mov_b32_e32 v1, 0
	s_mov_b32 s0, exec_lo
	ds_load_b128 v[34:37], v1 offset:1264
	s_clause 0x1
	scratch_load_b128 v[38:41], off, off offset:528
	scratch_load_b128 v[42:45], off, off offset:384
	ds_load_b128 v[157:160], v1 offset:1280
	scratch_load_b128 v[161:164], off, off offset:544
	s_wait_loadcnt_dscnt 0xa01
	v_mul_f64_e32 v[165:166], v[36:37], v[4:5]
	v_mul_f64_e32 v[4:5], v[34:35], v[4:5]
	s_delay_alu instid0(VALU_DEP_2) | instskip(NEXT) | instid1(VALU_DEP_2)
	v_fma_f64 v[171:172], v[34:35], v[2:3], -v[165:166]
	v_fma_f64 v[173:174], v[36:37], v[2:3], v[4:5]
	ds_load_b128 v[2:5], v1 offset:1296
	s_wait_loadcnt_dscnt 0x901
	v_mul_f64_e32 v[169:170], v[157:158], v[8:9]
	v_mul_f64_e32 v[8:9], v[159:160], v[8:9]
	scratch_load_b128 v[34:37], off, off offset:560
	ds_load_b128 v[165:168], v1 offset:1312
	s_wait_loadcnt_dscnt 0x901
	v_mul_f64_e32 v[175:176], v[2:3], v[12:13]
	v_mul_f64_e32 v[12:13], v[4:5], v[12:13]
	v_fma_f64 v[159:160], v[159:160], v[6:7], v[169:170]
	v_fma_f64 v[157:158], v[157:158], v[6:7], -v[8:9]
	v_add_f64_e32 v[169:170], 0, v[171:172]
	v_add_f64_e32 v[171:172], 0, v[173:174]
	scratch_load_b128 v[6:9], off, off offset:576
	v_fma_f64 v[175:176], v[4:5], v[10:11], v[175:176]
	v_fma_f64 v[177:178], v[2:3], v[10:11], -v[12:13]
	ds_load_b128 v[2:5], v1 offset:1328
	s_wait_loadcnt_dscnt 0x901
	v_mul_f64_e32 v[173:174], v[165:166], v[16:17]
	v_mul_f64_e32 v[16:17], v[167:168], v[16:17]
	scratch_load_b128 v[10:13], off, off offset:592
	v_add_f64_e32 v[169:170], v[169:170], v[157:158]
	v_add_f64_e32 v[171:172], v[171:172], v[159:160]
	s_wait_loadcnt_dscnt 0x900
	v_mul_f64_e32 v[179:180], v[2:3], v[20:21]
	v_mul_f64_e32 v[20:21], v[4:5], v[20:21]
	ds_load_b128 v[157:160], v1 offset:1344
	v_fma_f64 v[167:168], v[167:168], v[14:15], v[173:174]
	v_fma_f64 v[165:166], v[165:166], v[14:15], -v[16:17]
	scratch_load_b128 v[14:17], off, off offset:608
	v_add_f64_e32 v[169:170], v[169:170], v[177:178]
	v_add_f64_e32 v[171:172], v[171:172], v[175:176]
	v_fma_f64 v[175:176], v[4:5], v[18:19], v[179:180]
	v_fma_f64 v[177:178], v[2:3], v[18:19], -v[20:21]
	ds_load_b128 v[2:5], v1 offset:1360
	s_wait_loadcnt_dscnt 0x901
	v_mul_f64_e32 v[173:174], v[157:158], v[24:25]
	v_mul_f64_e32 v[24:25], v[159:160], v[24:25]
	scratch_load_b128 v[18:21], off, off offset:624
	s_wait_loadcnt_dscnt 0x900
	v_mul_f64_e32 v[179:180], v[2:3], v[28:29]
	v_mul_f64_e32 v[28:29], v[4:5], v[28:29]
	v_add_f64_e32 v[169:170], v[169:170], v[165:166]
	v_add_f64_e32 v[171:172], v[171:172], v[167:168]
	ds_load_b128 v[165:168], v1 offset:1376
	v_fma_f64 v[159:160], v[159:160], v[22:23], v[173:174]
	v_fma_f64 v[157:158], v[157:158], v[22:23], -v[24:25]
	scratch_load_b128 v[22:25], off, off offset:640
	v_add_f64_e32 v[169:170], v[169:170], v[177:178]
	v_add_f64_e32 v[171:172], v[171:172], v[175:176]
	v_fma_f64 v[175:176], v[4:5], v[26:27], v[179:180]
	v_fma_f64 v[177:178], v[2:3], v[26:27], -v[28:29]
	ds_load_b128 v[2:5], v1 offset:1392
	s_wait_loadcnt_dscnt 0x901
	v_mul_f64_e32 v[173:174], v[165:166], v[32:33]
	v_mul_f64_e32 v[32:33], v[167:168], v[32:33]
	scratch_load_b128 v[26:29], off, off offset:656
	s_wait_loadcnt_dscnt 0x900
	v_mul_f64_e32 v[179:180], v[2:3], v[40:41]
	v_mul_f64_e32 v[40:41], v[4:5], v[40:41]
	v_add_f64_e32 v[169:170], v[169:170], v[157:158]
	v_add_f64_e32 v[171:172], v[171:172], v[159:160]
	ds_load_b128 v[157:160], v1 offset:1408
	v_fma_f64 v[167:168], v[167:168], v[30:31], v[173:174]
	v_fma_f64 v[165:166], v[165:166], v[30:31], -v[32:33]
	scratch_load_b128 v[30:33], off, off offset:672
	v_add_f64_e32 v[169:170], v[169:170], v[177:178]
	v_add_f64_e32 v[171:172], v[171:172], v[175:176]
	v_fma_f64 v[177:178], v[4:5], v[38:39], v[179:180]
	v_fma_f64 v[179:180], v[2:3], v[38:39], -v[40:41]
	ds_load_b128 v[2:5], v1 offset:1424
	s_wait_loadcnt_dscnt 0x801
	v_mul_f64_e32 v[173:174], v[157:158], v[163:164]
	v_mul_f64_e32 v[175:176], v[159:160], v[163:164]
	scratch_load_b128 v[38:41], off, off offset:688
	v_add_f64_e32 v[169:170], v[169:170], v[165:166]
	v_add_f64_e32 v[167:168], v[171:172], v[167:168]
	ds_load_b128 v[163:166], v1 offset:1440
	v_fma_f64 v[173:174], v[159:160], v[161:162], v[173:174]
	v_fma_f64 v[161:162], v[157:158], v[161:162], -v[175:176]
	scratch_load_b128 v[157:160], off, off offset:704
	s_wait_loadcnt_dscnt 0x901
	v_mul_f64_e32 v[171:172], v[2:3], v[36:37]
	v_mul_f64_e32 v[36:37], v[4:5], v[36:37]
	v_add_f64_e32 v[169:170], v[169:170], v[179:180]
	v_add_f64_e32 v[167:168], v[167:168], v[177:178]
	s_delay_alu instid0(VALU_DEP_4) | instskip(NEXT) | instid1(VALU_DEP_4)
	v_fma_f64 v[171:172], v[4:5], v[34:35], v[171:172]
	v_fma_f64 v[177:178], v[2:3], v[34:35], -v[36:37]
	ds_load_b128 v[2:5], v1 offset:1456
	s_wait_loadcnt_dscnt 0x801
	v_mul_f64_e32 v[175:176], v[163:164], v[8:9]
	v_mul_f64_e32 v[8:9], v[165:166], v[8:9]
	scratch_load_b128 v[34:37], off, off offset:720
	s_wait_loadcnt_dscnt 0x800
	v_mul_f64_e32 v[179:180], v[2:3], v[12:13]
	v_add_f64_e32 v[161:162], v[169:170], v[161:162]
	v_add_f64_e32 v[173:174], v[167:168], v[173:174]
	v_mul_f64_e32 v[12:13], v[4:5], v[12:13]
	ds_load_b128 v[167:170], v1 offset:1472
	v_fma_f64 v[165:166], v[165:166], v[6:7], v[175:176]
	v_fma_f64 v[163:164], v[163:164], v[6:7], -v[8:9]
	scratch_load_b128 v[6:9], off, off offset:736
	v_fma_f64 v[175:176], v[4:5], v[10:11], v[179:180]
	v_add_f64_e32 v[161:162], v[161:162], v[177:178]
	v_add_f64_e32 v[171:172], v[173:174], v[171:172]
	v_fma_f64 v[177:178], v[2:3], v[10:11], -v[12:13]
	ds_load_b128 v[2:5], v1 offset:1488
	s_wait_loadcnt_dscnt 0x801
	v_mul_f64_e32 v[173:174], v[167:168], v[16:17]
	v_mul_f64_e32 v[16:17], v[169:170], v[16:17]
	scratch_load_b128 v[10:13], off, off offset:752
	v_add_f64_e32 v[179:180], v[161:162], v[163:164]
	v_add_f64_e32 v[165:166], v[171:172], v[165:166]
	s_wait_loadcnt_dscnt 0x800
	v_mul_f64_e32 v[171:172], v[2:3], v[20:21]
	v_mul_f64_e32 v[20:21], v[4:5], v[20:21]
	v_fma_f64 v[169:170], v[169:170], v[14:15], v[173:174]
	v_fma_f64 v[167:168], v[167:168], v[14:15], -v[16:17]
	ds_load_b128 v[161:164], v1 offset:1504
	scratch_load_b128 v[14:17], off, off offset:768
	v_add_f64_e32 v[173:174], v[179:180], v[177:178]
	v_add_f64_e32 v[165:166], v[165:166], v[175:176]
	v_fma_f64 v[171:172], v[4:5], v[18:19], v[171:172]
	v_fma_f64 v[177:178], v[2:3], v[18:19], -v[20:21]
	ds_load_b128 v[2:5], v1 offset:1520
	s_wait_loadcnt_dscnt 0x801
	v_mul_f64_e32 v[175:176], v[161:162], v[24:25]
	v_mul_f64_e32 v[24:25], v[163:164], v[24:25]
	scratch_load_b128 v[18:21], off, off offset:784
	s_wait_loadcnt_dscnt 0x800
	v_mul_f64_e32 v[179:180], v[2:3], v[28:29]
	v_mul_f64_e32 v[28:29], v[4:5], v[28:29]
	v_add_f64_e32 v[173:174], v[173:174], v[167:168]
	v_add_f64_e32 v[169:170], v[165:166], v[169:170]
	ds_load_b128 v[165:168], v1 offset:1536
	v_fma_f64 v[163:164], v[163:164], v[22:23], v[175:176]
	v_fma_f64 v[161:162], v[161:162], v[22:23], -v[24:25]
	scratch_load_b128 v[22:25], off, off offset:800
	v_fma_f64 v[175:176], v[4:5], v[26:27], v[179:180]
	v_add_f64_e32 v[173:174], v[173:174], v[177:178]
	v_add_f64_e32 v[169:170], v[169:170], v[171:172]
	v_fma_f64 v[177:178], v[2:3], v[26:27], -v[28:29]
	ds_load_b128 v[2:5], v1 offset:1552
	s_wait_loadcnt_dscnt 0x801
	v_mul_f64_e32 v[171:172], v[165:166], v[32:33]
	v_mul_f64_e32 v[32:33], v[167:168], v[32:33]
	scratch_load_b128 v[26:29], off, off offset:816
	s_wait_loadcnt_dscnt 0x800
	v_mul_f64_e32 v[179:180], v[2:3], v[40:41]
	v_mul_f64_e32 v[40:41], v[4:5], v[40:41]
	v_add_f64_e32 v[173:174], v[173:174], v[161:162]
	v_add_f64_e32 v[169:170], v[169:170], v[163:164]
	ds_load_b128 v[161:164], v1 offset:1568
	v_fma_f64 v[167:168], v[167:168], v[30:31], v[171:172]
	v_fma_f64 v[165:166], v[165:166], v[30:31], -v[32:33]
	scratch_load_b128 v[30:33], off, off offset:832
	v_add_f64_e32 v[171:172], v[173:174], v[177:178]
	v_add_f64_e32 v[169:170], v[169:170], v[175:176]
	v_fma_f64 v[175:176], v[4:5], v[38:39], v[179:180]
	v_fma_f64 v[177:178], v[2:3], v[38:39], -v[40:41]
	ds_load_b128 v[2:5], v1 offset:1584
	s_wait_loadcnt_dscnt 0x801
	v_mul_f64_e32 v[173:174], v[161:162], v[159:160]
	v_mul_f64_e32 v[159:160], v[163:164], v[159:160]
	scratch_load_b128 v[38:41], off, off offset:848
	s_wait_loadcnt_dscnt 0x800
	v_mul_f64_e32 v[179:180], v[2:3], v[36:37]
	v_mul_f64_e32 v[36:37], v[4:5], v[36:37]
	v_add_f64_e32 v[171:172], v[171:172], v[165:166]
	v_add_f64_e32 v[169:170], v[169:170], v[167:168]
	ds_load_b128 v[165:168], v1 offset:1600
	v_fma_f64 v[163:164], v[163:164], v[157:158], v[173:174]
	v_fma_f64 v[161:162], v[161:162], v[157:158], -v[159:160]
	scratch_load_b128 v[157:160], off, off offset:864
	v_add_f64_e32 v[171:172], v[171:172], v[177:178]
	v_add_f64_e32 v[169:170], v[169:170], v[175:176]
	v_fma_f64 v[175:176], v[4:5], v[34:35], v[179:180]
	v_fma_f64 v[177:178], v[2:3], v[34:35], -v[36:37]
	ds_load_b128 v[2:5], v1 offset:1616
	s_wait_loadcnt_dscnt 0x801
	v_mul_f64_e32 v[173:174], v[165:166], v[8:9]
	v_mul_f64_e32 v[8:9], v[167:168], v[8:9]
	scratch_load_b128 v[34:37], off, off offset:880
	s_wait_loadcnt_dscnt 0x800
	v_mul_f64_e32 v[179:180], v[2:3], v[12:13]
	v_mul_f64_e32 v[12:13], v[4:5], v[12:13]
	v_add_f64_e32 v[171:172], v[171:172], v[161:162]
	v_add_f64_e32 v[169:170], v[169:170], v[163:164]
	ds_load_b128 v[161:164], v1 offset:1632
	v_fma_f64 v[167:168], v[167:168], v[6:7], v[173:174]
	v_fma_f64 v[6:7], v[165:166], v[6:7], -v[8:9]
	v_add_f64_e32 v[8:9], v[171:172], v[177:178]
	v_add_f64_e32 v[165:166], v[169:170], v[175:176]
	s_wait_loadcnt_dscnt 0x700
	v_mul_f64_e32 v[169:170], v[161:162], v[16:17]
	v_mul_f64_e32 v[16:17], v[163:164], v[16:17]
	v_fma_f64 v[171:172], v[4:5], v[10:11], v[179:180]
	v_fma_f64 v[10:11], v[2:3], v[10:11], -v[12:13]
	v_add_f64_e32 v[12:13], v[8:9], v[6:7]
	v_add_f64_e32 v[165:166], v[165:166], v[167:168]
	ds_load_b128 v[2:5], v1 offset:1648
	ds_load_b128 v[6:9], v1 offset:1664
	v_fma_f64 v[163:164], v[163:164], v[14:15], v[169:170]
	v_fma_f64 v[14:15], v[161:162], v[14:15], -v[16:17]
	s_wait_loadcnt_dscnt 0x601
	v_mul_f64_e32 v[167:168], v[2:3], v[20:21]
	v_mul_f64_e32 v[20:21], v[4:5], v[20:21]
	s_wait_loadcnt_dscnt 0x500
	v_mul_f64_e32 v[16:17], v[6:7], v[24:25]
	v_mul_f64_e32 v[24:25], v[8:9], v[24:25]
	v_add_f64_e32 v[10:11], v[12:13], v[10:11]
	v_add_f64_e32 v[12:13], v[165:166], v[171:172]
	v_fma_f64 v[161:162], v[4:5], v[18:19], v[167:168]
	v_fma_f64 v[18:19], v[2:3], v[18:19], -v[20:21]
	v_fma_f64 v[8:9], v[8:9], v[22:23], v[16:17]
	v_fma_f64 v[6:7], v[6:7], v[22:23], -v[24:25]
	v_add_f64_e32 v[14:15], v[10:11], v[14:15]
	v_add_f64_e32 v[20:21], v[12:13], v[163:164]
	ds_load_b128 v[2:5], v1 offset:1680
	ds_load_b128 v[10:13], v1 offset:1696
	s_wait_loadcnt_dscnt 0x401
	v_mul_f64_e32 v[163:164], v[2:3], v[28:29]
	v_mul_f64_e32 v[28:29], v[4:5], v[28:29]
	v_add_f64_e32 v[14:15], v[14:15], v[18:19]
	v_add_f64_e32 v[16:17], v[20:21], v[161:162]
	s_wait_loadcnt_dscnt 0x300
	v_mul_f64_e32 v[18:19], v[10:11], v[32:33]
	v_mul_f64_e32 v[20:21], v[12:13], v[32:33]
	v_fma_f64 v[22:23], v[4:5], v[26:27], v[163:164]
	v_fma_f64 v[24:25], v[2:3], v[26:27], -v[28:29]
	v_add_f64_e32 v[14:15], v[14:15], v[6:7]
	v_add_f64_e32 v[16:17], v[16:17], v[8:9]
	ds_load_b128 v[2:5], v1 offset:1712
	ds_load_b128 v[6:9], v1 offset:1728
	v_fma_f64 v[12:13], v[12:13], v[30:31], v[18:19]
	v_fma_f64 v[10:11], v[10:11], v[30:31], -v[20:21]
	s_wait_loadcnt_dscnt 0x201
	v_mul_f64_e32 v[26:27], v[2:3], v[40:41]
	v_mul_f64_e32 v[28:29], v[4:5], v[40:41]
	s_wait_loadcnt_dscnt 0x100
	v_mul_f64_e32 v[18:19], v[6:7], v[159:160]
	v_mul_f64_e32 v[20:21], v[8:9], v[159:160]
	v_add_f64_e32 v[14:15], v[14:15], v[24:25]
	v_add_f64_e32 v[16:17], v[16:17], v[22:23]
	v_fma_f64 v[22:23], v[4:5], v[38:39], v[26:27]
	v_fma_f64 v[24:25], v[2:3], v[38:39], -v[28:29]
	ds_load_b128 v[2:5], v1 offset:1744
	v_fma_f64 v[8:9], v[8:9], v[157:158], v[18:19]
	v_fma_f64 v[6:7], v[6:7], v[157:158], -v[20:21]
	v_add_f64_e32 v[10:11], v[14:15], v[10:11]
	v_add_f64_e32 v[12:13], v[16:17], v[12:13]
	s_wait_loadcnt_dscnt 0x0
	v_mul_f64_e32 v[14:15], v[2:3], v[36:37]
	v_mul_f64_e32 v[16:17], v[4:5], v[36:37]
	s_delay_alu instid0(VALU_DEP_4) | instskip(NEXT) | instid1(VALU_DEP_4)
	v_add_f64_e32 v[10:11], v[10:11], v[24:25]
	v_add_f64_e32 v[12:13], v[12:13], v[22:23]
	s_delay_alu instid0(VALU_DEP_4) | instskip(NEXT) | instid1(VALU_DEP_4)
	v_fma_f64 v[4:5], v[4:5], v[34:35], v[14:15]
	v_fma_f64 v[2:3], v[2:3], v[34:35], -v[16:17]
	s_delay_alu instid0(VALU_DEP_4) | instskip(NEXT) | instid1(VALU_DEP_4)
	v_add_f64_e32 v[6:7], v[10:11], v[6:7]
	v_add_f64_e32 v[8:9], v[12:13], v[8:9]
	s_delay_alu instid0(VALU_DEP_2) | instskip(NEXT) | instid1(VALU_DEP_2)
	v_add_f64_e32 v[2:3], v[6:7], v[2:3]
	v_add_f64_e32 v[4:5], v[8:9], v[4:5]
	s_delay_alu instid0(VALU_DEP_2) | instskip(NEXT) | instid1(VALU_DEP_2)
	v_add_f64_e64 v[2:3], v[42:43], -v[2:3]
	v_add_f64_e64 v[4:5], v[44:45], -v[4:5]
	scratch_store_b128 off, v[2:5], off offset:384
	v_cmpx_lt_u32_e32 22, v0
	s_cbranch_execz .LBB54_299
; %bb.298:
	scratch_load_b128 v[5:8], off, s46
	v_dual_mov_b32 v2, v1 :: v_dual_mov_b32 v3, v1
	v_mov_b32_e32 v4, v1
	scratch_store_b128 off, v[1:4], off offset:368
	s_wait_loadcnt 0x0
	ds_store_b128 v156, v[5:8]
.LBB54_299:
	s_wait_alu 0xfffe
	s_or_b32 exec_lo, exec_lo, s0
	s_wait_storecnt_dscnt 0x0
	s_barrier_signal -1
	s_barrier_wait -1
	global_inv scope:SCOPE_SE
	s_clause 0x8
	scratch_load_b128 v[2:5], off, off offset:384
	scratch_load_b128 v[6:9], off, off offset:400
	;; [unrolled: 1-line block ×9, first 2 shown]
	ds_load_b128 v[38:41], v1 offset:1248
	ds_load_b128 v[42:45], v1 offset:1264
	s_clause 0x1
	scratch_load_b128 v[157:160], off, off offset:368
	scratch_load_b128 v[161:164], off, off offset:528
	s_mov_b32 s0, exec_lo
	s_wait_loadcnt_dscnt 0xa01
	v_mul_f64_e32 v[165:166], v[40:41], v[4:5]
	v_mul_f64_e32 v[4:5], v[38:39], v[4:5]
	s_wait_loadcnt_dscnt 0x900
	v_mul_f64_e32 v[169:170], v[42:43], v[8:9]
	v_mul_f64_e32 v[8:9], v[44:45], v[8:9]
	s_delay_alu instid0(VALU_DEP_4) | instskip(NEXT) | instid1(VALU_DEP_4)
	v_fma_f64 v[171:172], v[38:39], v[2:3], -v[165:166]
	v_fma_f64 v[173:174], v[40:41], v[2:3], v[4:5]
	ds_load_b128 v[2:5], v1 offset:1280
	ds_load_b128 v[165:168], v1 offset:1296
	scratch_load_b128 v[38:41], off, off offset:544
	v_fma_f64 v[44:45], v[44:45], v[6:7], v[169:170]
	v_fma_f64 v[42:43], v[42:43], v[6:7], -v[8:9]
	scratch_load_b128 v[6:9], off, off offset:560
	s_wait_loadcnt_dscnt 0xa01
	v_mul_f64_e32 v[175:176], v[2:3], v[12:13]
	v_mul_f64_e32 v[12:13], v[4:5], v[12:13]
	v_add_f64_e32 v[169:170], 0, v[171:172]
	v_add_f64_e32 v[171:172], 0, v[173:174]
	s_wait_loadcnt_dscnt 0x900
	v_mul_f64_e32 v[173:174], v[165:166], v[16:17]
	v_mul_f64_e32 v[16:17], v[167:168], v[16:17]
	v_fma_f64 v[175:176], v[4:5], v[10:11], v[175:176]
	v_fma_f64 v[177:178], v[2:3], v[10:11], -v[12:13]
	ds_load_b128 v[2:5], v1 offset:1312
	scratch_load_b128 v[10:13], off, off offset:576
	v_add_f64_e32 v[169:170], v[169:170], v[42:43]
	v_add_f64_e32 v[171:172], v[171:172], v[44:45]
	ds_load_b128 v[42:45], v1 offset:1328
	v_fma_f64 v[167:168], v[167:168], v[14:15], v[173:174]
	v_fma_f64 v[165:166], v[165:166], v[14:15], -v[16:17]
	scratch_load_b128 v[14:17], off, off offset:592
	s_wait_loadcnt_dscnt 0xa01
	v_mul_f64_e32 v[179:180], v[2:3], v[20:21]
	v_mul_f64_e32 v[20:21], v[4:5], v[20:21]
	s_wait_loadcnt_dscnt 0x900
	v_mul_f64_e32 v[173:174], v[42:43], v[24:25]
	v_mul_f64_e32 v[24:25], v[44:45], v[24:25]
	v_add_f64_e32 v[169:170], v[169:170], v[177:178]
	v_add_f64_e32 v[171:172], v[171:172], v[175:176]
	v_fma_f64 v[175:176], v[4:5], v[18:19], v[179:180]
	v_fma_f64 v[177:178], v[2:3], v[18:19], -v[20:21]
	ds_load_b128 v[2:5], v1 offset:1344
	scratch_load_b128 v[18:21], off, off offset:608
	v_fma_f64 v[44:45], v[44:45], v[22:23], v[173:174]
	v_fma_f64 v[42:43], v[42:43], v[22:23], -v[24:25]
	scratch_load_b128 v[22:25], off, off offset:624
	v_add_f64_e32 v[169:170], v[169:170], v[165:166]
	v_add_f64_e32 v[171:172], v[171:172], v[167:168]
	ds_load_b128 v[165:168], v1 offset:1360
	s_wait_loadcnt_dscnt 0xa01
	v_mul_f64_e32 v[179:180], v[2:3], v[28:29]
	v_mul_f64_e32 v[28:29], v[4:5], v[28:29]
	s_wait_loadcnt_dscnt 0x900
	v_mul_f64_e32 v[173:174], v[165:166], v[32:33]
	v_mul_f64_e32 v[32:33], v[167:168], v[32:33]
	v_add_f64_e32 v[169:170], v[169:170], v[177:178]
	v_add_f64_e32 v[171:172], v[171:172], v[175:176]
	v_fma_f64 v[175:176], v[4:5], v[26:27], v[179:180]
	v_fma_f64 v[177:178], v[2:3], v[26:27], -v[28:29]
	ds_load_b128 v[2:5], v1 offset:1376
	scratch_load_b128 v[26:29], off, off offset:640
	v_fma_f64 v[167:168], v[167:168], v[30:31], v[173:174]
	v_fma_f64 v[165:166], v[165:166], v[30:31], -v[32:33]
	scratch_load_b128 v[30:33], off, off offset:656
	v_add_f64_e32 v[169:170], v[169:170], v[42:43]
	v_add_f64_e32 v[171:172], v[171:172], v[44:45]
	ds_load_b128 v[42:45], v1 offset:1392
	s_wait_loadcnt_dscnt 0xa01
	v_mul_f64_e32 v[179:180], v[2:3], v[36:37]
	v_mul_f64_e32 v[36:37], v[4:5], v[36:37]
	s_wait_loadcnt_dscnt 0x800
	v_mul_f64_e32 v[173:174], v[42:43], v[163:164]
	v_add_f64_e32 v[169:170], v[169:170], v[177:178]
	v_add_f64_e32 v[171:172], v[171:172], v[175:176]
	v_mul_f64_e32 v[175:176], v[44:45], v[163:164]
	v_fma_f64 v[177:178], v[4:5], v[34:35], v[179:180]
	v_fma_f64 v[179:180], v[2:3], v[34:35], -v[36:37]
	ds_load_b128 v[2:5], v1 offset:1408
	scratch_load_b128 v[34:37], off, off offset:672
	v_fma_f64 v[44:45], v[44:45], v[161:162], v[173:174]
	v_add_f64_e32 v[169:170], v[169:170], v[165:166]
	v_add_f64_e32 v[167:168], v[171:172], v[167:168]
	ds_load_b128 v[163:166], v1 offset:1424
	v_fma_f64 v[161:162], v[42:43], v[161:162], -v[175:176]
	s_wait_loadcnt_dscnt 0x801
	v_mul_f64_e32 v[171:172], v[2:3], v[40:41]
	v_mul_f64_e32 v[181:182], v[4:5], v[40:41]
	scratch_load_b128 v[40:43], off, off offset:688
	s_wait_loadcnt_dscnt 0x800
	v_mul_f64_e32 v[175:176], v[163:164], v[8:9]
	v_mul_f64_e32 v[8:9], v[165:166], v[8:9]
	v_add_f64_e32 v[169:170], v[169:170], v[179:180]
	v_add_f64_e32 v[167:168], v[167:168], v[177:178]
	v_fma_f64 v[177:178], v[4:5], v[38:39], v[171:172]
	v_fma_f64 v[38:39], v[2:3], v[38:39], -v[181:182]
	ds_load_b128 v[2:5], v1 offset:1440
	ds_load_b128 v[171:174], v1 offset:1456
	v_fma_f64 v[165:166], v[165:166], v[6:7], v[175:176]
	v_fma_f64 v[163:164], v[163:164], v[6:7], -v[8:9]
	scratch_load_b128 v[6:9], off, off offset:720
	v_add_f64_e32 v[161:162], v[169:170], v[161:162]
	v_add_f64_e32 v[44:45], v[167:168], v[44:45]
	scratch_load_b128 v[167:170], off, off offset:704
	s_wait_loadcnt_dscnt 0x901
	v_mul_f64_e32 v[179:180], v[2:3], v[12:13]
	v_mul_f64_e32 v[12:13], v[4:5], v[12:13]
	s_wait_loadcnt_dscnt 0x800
	v_mul_f64_e32 v[175:176], v[171:172], v[16:17]
	v_mul_f64_e32 v[16:17], v[173:174], v[16:17]
	v_add_f64_e32 v[38:39], v[161:162], v[38:39]
	v_add_f64_e32 v[44:45], v[44:45], v[177:178]
	v_fma_f64 v[177:178], v[4:5], v[10:11], v[179:180]
	v_fma_f64 v[179:180], v[2:3], v[10:11], -v[12:13]
	ds_load_b128 v[2:5], v1 offset:1472
	scratch_load_b128 v[10:13], off, off offset:736
	v_fma_f64 v[173:174], v[173:174], v[14:15], v[175:176]
	v_fma_f64 v[171:172], v[171:172], v[14:15], -v[16:17]
	scratch_load_b128 v[14:17], off, off offset:752
	v_add_f64_e32 v[38:39], v[38:39], v[163:164]
	v_add_f64_e32 v[44:45], v[44:45], v[165:166]
	ds_load_b128 v[161:164], v1 offset:1488
	s_wait_loadcnt_dscnt 0x901
	v_mul_f64_e32 v[165:166], v[2:3], v[20:21]
	v_mul_f64_e32 v[20:21], v[4:5], v[20:21]
	s_wait_loadcnt_dscnt 0x800
	v_mul_f64_e32 v[175:176], v[161:162], v[24:25]
	v_mul_f64_e32 v[24:25], v[163:164], v[24:25]
	v_add_f64_e32 v[38:39], v[38:39], v[179:180]
	v_add_f64_e32 v[44:45], v[44:45], v[177:178]
	v_fma_f64 v[165:166], v[4:5], v[18:19], v[165:166]
	v_fma_f64 v[177:178], v[2:3], v[18:19], -v[20:21]
	ds_load_b128 v[2:5], v1 offset:1504
	scratch_load_b128 v[18:21], off, off offset:768
	v_fma_f64 v[163:164], v[163:164], v[22:23], v[175:176]
	v_fma_f64 v[161:162], v[161:162], v[22:23], -v[24:25]
	scratch_load_b128 v[22:25], off, off offset:784
	v_add_f64_e32 v[38:39], v[38:39], v[171:172]
	v_add_f64_e32 v[44:45], v[44:45], v[173:174]
	ds_load_b128 v[171:174], v1 offset:1520
	s_wait_loadcnt_dscnt 0x901
	v_mul_f64_e32 v[179:180], v[2:3], v[28:29]
	v_mul_f64_e32 v[28:29], v[4:5], v[28:29]
	v_add_f64_e32 v[38:39], v[38:39], v[177:178]
	v_add_f64_e32 v[44:45], v[44:45], v[165:166]
	s_wait_loadcnt_dscnt 0x800
	v_mul_f64_e32 v[165:166], v[171:172], v[32:33]
	v_mul_f64_e32 v[32:33], v[173:174], v[32:33]
	v_fma_f64 v[175:176], v[4:5], v[26:27], v[179:180]
	v_fma_f64 v[177:178], v[2:3], v[26:27], -v[28:29]
	ds_load_b128 v[2:5], v1 offset:1536
	scratch_load_b128 v[26:29], off, off offset:800
	v_add_f64_e32 v[38:39], v[38:39], v[161:162]
	v_add_f64_e32 v[44:45], v[44:45], v[163:164]
	ds_load_b128 v[161:164], v1 offset:1552
	s_wait_loadcnt_dscnt 0x801
	v_mul_f64_e32 v[179:180], v[2:3], v[36:37]
	v_mul_f64_e32 v[36:37], v[4:5], v[36:37]
	v_fma_f64 v[165:166], v[173:174], v[30:31], v[165:166]
	v_fma_f64 v[171:172], v[171:172], v[30:31], -v[32:33]
	scratch_load_b128 v[30:33], off, off offset:816
	s_wait_loadcnt_dscnt 0x800
	v_mul_f64_e32 v[173:174], v[161:162], v[42:43]
	v_add_f64_e32 v[38:39], v[38:39], v[177:178]
	v_add_f64_e32 v[44:45], v[44:45], v[175:176]
	v_mul_f64_e32 v[175:176], v[163:164], v[42:43]
	v_fma_f64 v[177:178], v[4:5], v[34:35], v[179:180]
	v_fma_f64 v[179:180], v[2:3], v[34:35], -v[36:37]
	ds_load_b128 v[2:5], v1 offset:1568
	scratch_load_b128 v[34:37], off, off offset:832
	v_fma_f64 v[163:164], v[163:164], v[40:41], v[173:174]
	v_add_f64_e32 v[38:39], v[38:39], v[171:172]
	v_add_f64_e32 v[165:166], v[44:45], v[165:166]
	ds_load_b128 v[42:45], v1 offset:1584
	v_fma_f64 v[161:162], v[161:162], v[40:41], -v[175:176]
	s_wait_loadcnt_dscnt 0x701
	v_mul_f64_e32 v[171:172], v[2:3], v[169:170]
	v_mul_f64_e32 v[169:170], v[4:5], v[169:170]
	s_wait_dscnt 0x0
	v_mul_f64_e32 v[175:176], v[42:43], v[8:9]
	v_mul_f64_e32 v[8:9], v[44:45], v[8:9]
	v_add_f64_e32 v[173:174], v[38:39], v[179:180]
	v_add_f64_e32 v[165:166], v[165:166], v[177:178]
	scratch_load_b128 v[38:41], off, off offset:848
	v_fma_f64 v[171:172], v[4:5], v[167:168], v[171:172]
	v_fma_f64 v[169:170], v[2:3], v[167:168], -v[169:170]
	ds_load_b128 v[2:5], v1 offset:1600
	v_fma_f64 v[44:45], v[44:45], v[6:7], v[175:176]
	v_fma_f64 v[42:43], v[42:43], v[6:7], -v[8:9]
	scratch_load_b128 v[6:9], off, off offset:880
	v_add_f64_e32 v[173:174], v[173:174], v[161:162]
	v_add_f64_e32 v[177:178], v[165:166], v[163:164]
	scratch_load_b128 v[161:164], off, off offset:864
	ds_load_b128 v[165:168], v1 offset:1616
	s_wait_loadcnt_dscnt 0x901
	v_mul_f64_e32 v[179:180], v[2:3], v[12:13]
	v_mul_f64_e32 v[12:13], v[4:5], v[12:13]
	v_add_f64_e32 v[169:170], v[173:174], v[169:170]
	v_add_f64_e32 v[171:172], v[177:178], v[171:172]
	s_wait_loadcnt_dscnt 0x800
	v_mul_f64_e32 v[173:174], v[165:166], v[16:17]
	v_mul_f64_e32 v[16:17], v[167:168], v[16:17]
	v_fma_f64 v[175:176], v[4:5], v[10:11], v[179:180]
	v_fma_f64 v[177:178], v[2:3], v[10:11], -v[12:13]
	ds_load_b128 v[2:5], v1 offset:1632
	ds_load_b128 v[10:13], v1 offset:1648
	v_add_f64_e32 v[42:43], v[169:170], v[42:43]
	v_add_f64_e32 v[44:45], v[171:172], v[44:45]
	s_wait_loadcnt_dscnt 0x701
	v_mul_f64_e32 v[169:170], v[2:3], v[20:21]
	v_mul_f64_e32 v[20:21], v[4:5], v[20:21]
	v_fma_f64 v[167:168], v[167:168], v[14:15], v[173:174]
	v_fma_f64 v[14:15], v[165:166], v[14:15], -v[16:17]
	v_add_f64_e32 v[16:17], v[42:43], v[177:178]
	v_add_f64_e32 v[42:43], v[44:45], v[175:176]
	s_wait_loadcnt_dscnt 0x600
	v_mul_f64_e32 v[44:45], v[10:11], v[24:25]
	v_mul_f64_e32 v[24:25], v[12:13], v[24:25]
	v_fma_f64 v[165:166], v[4:5], v[18:19], v[169:170]
	v_fma_f64 v[18:19], v[2:3], v[18:19], -v[20:21]
	v_add_f64_e32 v[20:21], v[16:17], v[14:15]
	v_add_f64_e32 v[42:43], v[42:43], v[167:168]
	ds_load_b128 v[2:5], v1 offset:1664
	ds_load_b128 v[14:17], v1 offset:1680
	v_fma_f64 v[12:13], v[12:13], v[22:23], v[44:45]
	v_fma_f64 v[10:11], v[10:11], v[22:23], -v[24:25]
	s_wait_loadcnt_dscnt 0x501
	v_mul_f64_e32 v[167:168], v[2:3], v[28:29]
	v_mul_f64_e32 v[28:29], v[4:5], v[28:29]
	s_wait_loadcnt_dscnt 0x400
	v_mul_f64_e32 v[22:23], v[14:15], v[32:33]
	v_mul_f64_e32 v[24:25], v[16:17], v[32:33]
	v_add_f64_e32 v[18:19], v[20:21], v[18:19]
	v_add_f64_e32 v[20:21], v[42:43], v[165:166]
	v_fma_f64 v[32:33], v[4:5], v[26:27], v[167:168]
	v_fma_f64 v[26:27], v[2:3], v[26:27], -v[28:29]
	v_fma_f64 v[16:17], v[16:17], v[30:31], v[22:23]
	v_fma_f64 v[14:15], v[14:15], v[30:31], -v[24:25]
	v_add_f64_e32 v[18:19], v[18:19], v[10:11]
	v_add_f64_e32 v[20:21], v[20:21], v[12:13]
	ds_load_b128 v[2:5], v1 offset:1696
	ds_load_b128 v[10:13], v1 offset:1712
	s_wait_loadcnt_dscnt 0x301
	v_mul_f64_e32 v[28:29], v[2:3], v[36:37]
	v_mul_f64_e32 v[36:37], v[4:5], v[36:37]
	v_add_f64_e32 v[18:19], v[18:19], v[26:27]
	v_add_f64_e32 v[20:21], v[20:21], v[32:33]
	s_wait_loadcnt_dscnt 0x200
	v_mul_f64_e32 v[22:23], v[10:11], v[40:41]
	v_mul_f64_e32 v[24:25], v[12:13], v[40:41]
	v_fma_f64 v[26:27], v[4:5], v[34:35], v[28:29]
	v_fma_f64 v[28:29], v[2:3], v[34:35], -v[36:37]
	v_add_f64_e32 v[18:19], v[18:19], v[14:15]
	v_add_f64_e32 v[20:21], v[20:21], v[16:17]
	ds_load_b128 v[2:5], v1 offset:1728
	ds_load_b128 v[14:17], v1 offset:1744
	v_fma_f64 v[12:13], v[12:13], v[38:39], v[22:23]
	v_fma_f64 v[10:11], v[10:11], v[38:39], -v[24:25]
	s_wait_loadcnt_dscnt 0x1
	v_mul_f64_e32 v[30:31], v[2:3], v[163:164]
	v_mul_f64_e32 v[32:33], v[4:5], v[163:164]
	s_wait_dscnt 0x0
	v_mul_f64_e32 v[22:23], v[14:15], v[8:9]
	v_mul_f64_e32 v[8:9], v[16:17], v[8:9]
	v_add_f64_e32 v[18:19], v[18:19], v[28:29]
	v_add_f64_e32 v[20:21], v[20:21], v[26:27]
	v_fma_f64 v[4:5], v[4:5], v[161:162], v[30:31]
	v_fma_f64 v[1:2], v[2:3], v[161:162], -v[32:33]
	v_fma_f64 v[16:17], v[16:17], v[6:7], v[22:23]
	v_fma_f64 v[6:7], v[14:15], v[6:7], -v[8:9]
	v_add_f64_e32 v[10:11], v[18:19], v[10:11]
	v_add_f64_e32 v[12:13], v[20:21], v[12:13]
	s_delay_alu instid0(VALU_DEP_2) | instskip(NEXT) | instid1(VALU_DEP_2)
	v_add_f64_e32 v[1:2], v[10:11], v[1:2]
	v_add_f64_e32 v[3:4], v[12:13], v[4:5]
	s_delay_alu instid0(VALU_DEP_2) | instskip(NEXT) | instid1(VALU_DEP_2)
	;; [unrolled: 3-line block ×3, first 2 shown]
	v_add_f64_e64 v[1:2], v[157:158], -v[1:2]
	v_add_f64_e64 v[3:4], v[159:160], -v[3:4]
	scratch_store_b128 off, v[1:4], off offset:368
	v_cmpx_lt_u32_e32 21, v0
	s_cbranch_execz .LBB54_301
; %bb.300:
	scratch_load_b128 v[1:4], off, s47
	v_mov_b32_e32 v5, 0
	s_delay_alu instid0(VALU_DEP_1)
	v_dual_mov_b32 v6, v5 :: v_dual_mov_b32 v7, v5
	v_mov_b32_e32 v8, v5
	scratch_store_b128 off, v[5:8], off offset:352
	s_wait_loadcnt 0x0
	ds_store_b128 v156, v[1:4]
.LBB54_301:
	s_wait_alu 0xfffe
	s_or_b32 exec_lo, exec_lo, s0
	s_wait_storecnt_dscnt 0x0
	s_barrier_signal -1
	s_barrier_wait -1
	global_inv scope:SCOPE_SE
	s_clause 0x7
	scratch_load_b128 v[2:5], off, off offset:368
	scratch_load_b128 v[6:9], off, off offset:384
	scratch_load_b128 v[10:13], off, off offset:400
	scratch_load_b128 v[14:17], off, off offset:416
	scratch_load_b128 v[18:21], off, off offset:432
	scratch_load_b128 v[22:25], off, off offset:448
	scratch_load_b128 v[26:29], off, off offset:464
	scratch_load_b128 v[30:33], off, off offset:480
	v_mov_b32_e32 v1, 0
	s_mov_b32 s0, exec_lo
	ds_load_b128 v[34:37], v1 offset:1232
	s_clause 0x1
	scratch_load_b128 v[38:41], off, off offset:496
	scratch_load_b128 v[42:45], off, off offset:352
	ds_load_b128 v[157:160], v1 offset:1248
	scratch_load_b128 v[161:164], off, off offset:512
	s_wait_loadcnt_dscnt 0xa01
	v_mul_f64_e32 v[165:166], v[36:37], v[4:5]
	v_mul_f64_e32 v[4:5], v[34:35], v[4:5]
	s_delay_alu instid0(VALU_DEP_2) | instskip(NEXT) | instid1(VALU_DEP_2)
	v_fma_f64 v[171:172], v[34:35], v[2:3], -v[165:166]
	v_fma_f64 v[173:174], v[36:37], v[2:3], v[4:5]
	ds_load_b128 v[2:5], v1 offset:1264
	s_wait_loadcnt_dscnt 0x901
	v_mul_f64_e32 v[169:170], v[157:158], v[8:9]
	v_mul_f64_e32 v[8:9], v[159:160], v[8:9]
	scratch_load_b128 v[34:37], off, off offset:528
	ds_load_b128 v[165:168], v1 offset:1280
	s_wait_loadcnt_dscnt 0x901
	v_mul_f64_e32 v[175:176], v[2:3], v[12:13]
	v_mul_f64_e32 v[12:13], v[4:5], v[12:13]
	v_fma_f64 v[159:160], v[159:160], v[6:7], v[169:170]
	v_fma_f64 v[157:158], v[157:158], v[6:7], -v[8:9]
	v_add_f64_e32 v[169:170], 0, v[171:172]
	v_add_f64_e32 v[171:172], 0, v[173:174]
	scratch_load_b128 v[6:9], off, off offset:544
	v_fma_f64 v[175:176], v[4:5], v[10:11], v[175:176]
	v_fma_f64 v[177:178], v[2:3], v[10:11], -v[12:13]
	ds_load_b128 v[2:5], v1 offset:1296
	s_wait_loadcnt_dscnt 0x901
	v_mul_f64_e32 v[173:174], v[165:166], v[16:17]
	v_mul_f64_e32 v[16:17], v[167:168], v[16:17]
	scratch_load_b128 v[10:13], off, off offset:560
	v_add_f64_e32 v[169:170], v[169:170], v[157:158]
	v_add_f64_e32 v[171:172], v[171:172], v[159:160]
	s_wait_loadcnt_dscnt 0x900
	v_mul_f64_e32 v[179:180], v[2:3], v[20:21]
	v_mul_f64_e32 v[20:21], v[4:5], v[20:21]
	ds_load_b128 v[157:160], v1 offset:1312
	v_fma_f64 v[167:168], v[167:168], v[14:15], v[173:174]
	v_fma_f64 v[165:166], v[165:166], v[14:15], -v[16:17]
	scratch_load_b128 v[14:17], off, off offset:576
	v_add_f64_e32 v[169:170], v[169:170], v[177:178]
	v_add_f64_e32 v[171:172], v[171:172], v[175:176]
	v_fma_f64 v[175:176], v[4:5], v[18:19], v[179:180]
	v_fma_f64 v[177:178], v[2:3], v[18:19], -v[20:21]
	ds_load_b128 v[2:5], v1 offset:1328
	s_wait_loadcnt_dscnt 0x901
	v_mul_f64_e32 v[173:174], v[157:158], v[24:25]
	v_mul_f64_e32 v[24:25], v[159:160], v[24:25]
	scratch_load_b128 v[18:21], off, off offset:592
	s_wait_loadcnt_dscnt 0x900
	v_mul_f64_e32 v[179:180], v[2:3], v[28:29]
	v_mul_f64_e32 v[28:29], v[4:5], v[28:29]
	v_add_f64_e32 v[169:170], v[169:170], v[165:166]
	v_add_f64_e32 v[171:172], v[171:172], v[167:168]
	ds_load_b128 v[165:168], v1 offset:1344
	v_fma_f64 v[159:160], v[159:160], v[22:23], v[173:174]
	v_fma_f64 v[157:158], v[157:158], v[22:23], -v[24:25]
	scratch_load_b128 v[22:25], off, off offset:608
	v_add_f64_e32 v[169:170], v[169:170], v[177:178]
	v_add_f64_e32 v[171:172], v[171:172], v[175:176]
	v_fma_f64 v[175:176], v[4:5], v[26:27], v[179:180]
	v_fma_f64 v[177:178], v[2:3], v[26:27], -v[28:29]
	ds_load_b128 v[2:5], v1 offset:1360
	s_wait_loadcnt_dscnt 0x901
	v_mul_f64_e32 v[173:174], v[165:166], v[32:33]
	v_mul_f64_e32 v[32:33], v[167:168], v[32:33]
	scratch_load_b128 v[26:29], off, off offset:624
	s_wait_loadcnt_dscnt 0x900
	v_mul_f64_e32 v[179:180], v[2:3], v[40:41]
	v_mul_f64_e32 v[40:41], v[4:5], v[40:41]
	v_add_f64_e32 v[169:170], v[169:170], v[157:158]
	v_add_f64_e32 v[171:172], v[171:172], v[159:160]
	ds_load_b128 v[157:160], v1 offset:1376
	v_fma_f64 v[167:168], v[167:168], v[30:31], v[173:174]
	v_fma_f64 v[165:166], v[165:166], v[30:31], -v[32:33]
	scratch_load_b128 v[30:33], off, off offset:640
	v_add_f64_e32 v[169:170], v[169:170], v[177:178]
	v_add_f64_e32 v[171:172], v[171:172], v[175:176]
	v_fma_f64 v[177:178], v[4:5], v[38:39], v[179:180]
	v_fma_f64 v[179:180], v[2:3], v[38:39], -v[40:41]
	ds_load_b128 v[2:5], v1 offset:1392
	s_wait_loadcnt_dscnt 0x801
	v_mul_f64_e32 v[173:174], v[157:158], v[163:164]
	v_mul_f64_e32 v[175:176], v[159:160], v[163:164]
	scratch_load_b128 v[38:41], off, off offset:656
	v_add_f64_e32 v[169:170], v[169:170], v[165:166]
	v_add_f64_e32 v[167:168], v[171:172], v[167:168]
	ds_load_b128 v[163:166], v1 offset:1408
	v_fma_f64 v[173:174], v[159:160], v[161:162], v[173:174]
	v_fma_f64 v[161:162], v[157:158], v[161:162], -v[175:176]
	scratch_load_b128 v[157:160], off, off offset:672
	s_wait_loadcnt_dscnt 0x901
	v_mul_f64_e32 v[171:172], v[2:3], v[36:37]
	v_mul_f64_e32 v[36:37], v[4:5], v[36:37]
	v_add_f64_e32 v[169:170], v[169:170], v[179:180]
	v_add_f64_e32 v[167:168], v[167:168], v[177:178]
	s_delay_alu instid0(VALU_DEP_4) | instskip(NEXT) | instid1(VALU_DEP_4)
	v_fma_f64 v[171:172], v[4:5], v[34:35], v[171:172]
	v_fma_f64 v[177:178], v[2:3], v[34:35], -v[36:37]
	ds_load_b128 v[2:5], v1 offset:1424
	s_wait_loadcnt_dscnt 0x801
	v_mul_f64_e32 v[175:176], v[163:164], v[8:9]
	v_mul_f64_e32 v[8:9], v[165:166], v[8:9]
	scratch_load_b128 v[34:37], off, off offset:688
	s_wait_loadcnt_dscnt 0x800
	v_mul_f64_e32 v[179:180], v[2:3], v[12:13]
	v_add_f64_e32 v[161:162], v[169:170], v[161:162]
	v_add_f64_e32 v[173:174], v[167:168], v[173:174]
	v_mul_f64_e32 v[12:13], v[4:5], v[12:13]
	ds_load_b128 v[167:170], v1 offset:1440
	v_fma_f64 v[165:166], v[165:166], v[6:7], v[175:176]
	v_fma_f64 v[163:164], v[163:164], v[6:7], -v[8:9]
	scratch_load_b128 v[6:9], off, off offset:704
	v_fma_f64 v[175:176], v[4:5], v[10:11], v[179:180]
	v_add_f64_e32 v[161:162], v[161:162], v[177:178]
	v_add_f64_e32 v[171:172], v[173:174], v[171:172]
	v_fma_f64 v[177:178], v[2:3], v[10:11], -v[12:13]
	ds_load_b128 v[2:5], v1 offset:1456
	s_wait_loadcnt_dscnt 0x801
	v_mul_f64_e32 v[173:174], v[167:168], v[16:17]
	v_mul_f64_e32 v[16:17], v[169:170], v[16:17]
	scratch_load_b128 v[10:13], off, off offset:720
	v_add_f64_e32 v[179:180], v[161:162], v[163:164]
	v_add_f64_e32 v[165:166], v[171:172], v[165:166]
	s_wait_loadcnt_dscnt 0x800
	v_mul_f64_e32 v[171:172], v[2:3], v[20:21]
	v_mul_f64_e32 v[20:21], v[4:5], v[20:21]
	v_fma_f64 v[169:170], v[169:170], v[14:15], v[173:174]
	v_fma_f64 v[167:168], v[167:168], v[14:15], -v[16:17]
	ds_load_b128 v[161:164], v1 offset:1472
	scratch_load_b128 v[14:17], off, off offset:736
	v_add_f64_e32 v[173:174], v[179:180], v[177:178]
	v_add_f64_e32 v[165:166], v[165:166], v[175:176]
	v_fma_f64 v[171:172], v[4:5], v[18:19], v[171:172]
	v_fma_f64 v[177:178], v[2:3], v[18:19], -v[20:21]
	ds_load_b128 v[2:5], v1 offset:1488
	s_wait_loadcnt_dscnt 0x801
	v_mul_f64_e32 v[175:176], v[161:162], v[24:25]
	v_mul_f64_e32 v[24:25], v[163:164], v[24:25]
	scratch_load_b128 v[18:21], off, off offset:752
	s_wait_loadcnt_dscnt 0x800
	v_mul_f64_e32 v[179:180], v[2:3], v[28:29]
	v_mul_f64_e32 v[28:29], v[4:5], v[28:29]
	v_add_f64_e32 v[173:174], v[173:174], v[167:168]
	v_add_f64_e32 v[169:170], v[165:166], v[169:170]
	ds_load_b128 v[165:168], v1 offset:1504
	v_fma_f64 v[163:164], v[163:164], v[22:23], v[175:176]
	v_fma_f64 v[161:162], v[161:162], v[22:23], -v[24:25]
	scratch_load_b128 v[22:25], off, off offset:768
	v_fma_f64 v[175:176], v[4:5], v[26:27], v[179:180]
	v_add_f64_e32 v[173:174], v[173:174], v[177:178]
	v_add_f64_e32 v[169:170], v[169:170], v[171:172]
	v_fma_f64 v[177:178], v[2:3], v[26:27], -v[28:29]
	ds_load_b128 v[2:5], v1 offset:1520
	s_wait_loadcnt_dscnt 0x801
	v_mul_f64_e32 v[171:172], v[165:166], v[32:33]
	v_mul_f64_e32 v[32:33], v[167:168], v[32:33]
	scratch_load_b128 v[26:29], off, off offset:784
	s_wait_loadcnt_dscnt 0x800
	v_mul_f64_e32 v[179:180], v[2:3], v[40:41]
	v_mul_f64_e32 v[40:41], v[4:5], v[40:41]
	v_add_f64_e32 v[173:174], v[173:174], v[161:162]
	v_add_f64_e32 v[169:170], v[169:170], v[163:164]
	ds_load_b128 v[161:164], v1 offset:1536
	v_fma_f64 v[167:168], v[167:168], v[30:31], v[171:172]
	v_fma_f64 v[165:166], v[165:166], v[30:31], -v[32:33]
	scratch_load_b128 v[30:33], off, off offset:800
	v_add_f64_e32 v[171:172], v[173:174], v[177:178]
	v_add_f64_e32 v[169:170], v[169:170], v[175:176]
	v_fma_f64 v[175:176], v[4:5], v[38:39], v[179:180]
	v_fma_f64 v[177:178], v[2:3], v[38:39], -v[40:41]
	ds_load_b128 v[2:5], v1 offset:1552
	s_wait_loadcnt_dscnt 0x801
	v_mul_f64_e32 v[173:174], v[161:162], v[159:160]
	v_mul_f64_e32 v[159:160], v[163:164], v[159:160]
	scratch_load_b128 v[38:41], off, off offset:816
	s_wait_loadcnt_dscnt 0x800
	v_mul_f64_e32 v[179:180], v[2:3], v[36:37]
	v_mul_f64_e32 v[36:37], v[4:5], v[36:37]
	v_add_f64_e32 v[171:172], v[171:172], v[165:166]
	v_add_f64_e32 v[169:170], v[169:170], v[167:168]
	ds_load_b128 v[165:168], v1 offset:1568
	v_fma_f64 v[163:164], v[163:164], v[157:158], v[173:174]
	v_fma_f64 v[161:162], v[161:162], v[157:158], -v[159:160]
	scratch_load_b128 v[157:160], off, off offset:832
	v_add_f64_e32 v[171:172], v[171:172], v[177:178]
	v_add_f64_e32 v[169:170], v[169:170], v[175:176]
	v_fma_f64 v[175:176], v[4:5], v[34:35], v[179:180]
	;; [unrolled: 18-line block ×3, first 2 shown]
	v_fma_f64 v[177:178], v[2:3], v[10:11], -v[12:13]
	ds_load_b128 v[2:5], v1 offset:1616
	s_wait_loadcnt_dscnt 0x801
	v_mul_f64_e32 v[173:174], v[161:162], v[16:17]
	v_mul_f64_e32 v[16:17], v[163:164], v[16:17]
	scratch_load_b128 v[10:13], off, off offset:880
	s_wait_loadcnt_dscnt 0x800
	v_mul_f64_e32 v[179:180], v[2:3], v[20:21]
	v_mul_f64_e32 v[20:21], v[4:5], v[20:21]
	v_add_f64_e32 v[171:172], v[171:172], v[165:166]
	v_add_f64_e32 v[169:170], v[169:170], v[167:168]
	ds_load_b128 v[165:168], v1 offset:1632
	v_fma_f64 v[163:164], v[163:164], v[14:15], v[173:174]
	v_fma_f64 v[14:15], v[161:162], v[14:15], -v[16:17]
	v_add_f64_e32 v[16:17], v[171:172], v[177:178]
	v_add_f64_e32 v[161:162], v[169:170], v[175:176]
	s_wait_loadcnt_dscnt 0x700
	v_mul_f64_e32 v[169:170], v[165:166], v[24:25]
	v_mul_f64_e32 v[24:25], v[167:168], v[24:25]
	v_fma_f64 v[171:172], v[4:5], v[18:19], v[179:180]
	v_fma_f64 v[18:19], v[2:3], v[18:19], -v[20:21]
	v_add_f64_e32 v[20:21], v[16:17], v[14:15]
	v_add_f64_e32 v[161:162], v[161:162], v[163:164]
	ds_load_b128 v[2:5], v1 offset:1648
	ds_load_b128 v[14:17], v1 offset:1664
	v_fma_f64 v[167:168], v[167:168], v[22:23], v[169:170]
	v_fma_f64 v[22:23], v[165:166], v[22:23], -v[24:25]
	s_wait_loadcnt_dscnt 0x601
	v_mul_f64_e32 v[163:164], v[2:3], v[28:29]
	v_mul_f64_e32 v[28:29], v[4:5], v[28:29]
	s_wait_loadcnt_dscnt 0x500
	v_mul_f64_e32 v[24:25], v[14:15], v[32:33]
	v_mul_f64_e32 v[32:33], v[16:17], v[32:33]
	v_add_f64_e32 v[18:19], v[20:21], v[18:19]
	v_add_f64_e32 v[20:21], v[161:162], v[171:172]
	v_fma_f64 v[161:162], v[4:5], v[26:27], v[163:164]
	v_fma_f64 v[26:27], v[2:3], v[26:27], -v[28:29]
	v_fma_f64 v[16:17], v[16:17], v[30:31], v[24:25]
	v_fma_f64 v[14:15], v[14:15], v[30:31], -v[32:33]
	v_add_f64_e32 v[22:23], v[18:19], v[22:23]
	v_add_f64_e32 v[28:29], v[20:21], v[167:168]
	ds_load_b128 v[2:5], v1 offset:1680
	ds_load_b128 v[18:21], v1 offset:1696
	s_wait_loadcnt_dscnt 0x401
	v_mul_f64_e32 v[163:164], v[2:3], v[40:41]
	v_mul_f64_e32 v[40:41], v[4:5], v[40:41]
	v_add_f64_e32 v[22:23], v[22:23], v[26:27]
	v_add_f64_e32 v[24:25], v[28:29], v[161:162]
	s_wait_loadcnt_dscnt 0x300
	v_mul_f64_e32 v[26:27], v[18:19], v[159:160]
	v_mul_f64_e32 v[28:29], v[20:21], v[159:160]
	v_fma_f64 v[30:31], v[4:5], v[38:39], v[163:164]
	v_fma_f64 v[32:33], v[2:3], v[38:39], -v[40:41]
	v_add_f64_e32 v[22:23], v[22:23], v[14:15]
	v_add_f64_e32 v[24:25], v[24:25], v[16:17]
	ds_load_b128 v[2:5], v1 offset:1712
	ds_load_b128 v[14:17], v1 offset:1728
	v_fma_f64 v[20:21], v[20:21], v[157:158], v[26:27]
	v_fma_f64 v[18:19], v[18:19], v[157:158], -v[28:29]
	s_wait_loadcnt_dscnt 0x201
	v_mul_f64_e32 v[38:39], v[2:3], v[36:37]
	v_mul_f64_e32 v[36:37], v[4:5], v[36:37]
	s_wait_loadcnt_dscnt 0x100
	v_mul_f64_e32 v[26:27], v[14:15], v[8:9]
	v_mul_f64_e32 v[8:9], v[16:17], v[8:9]
	v_add_f64_e32 v[22:23], v[22:23], v[32:33]
	v_add_f64_e32 v[24:25], v[24:25], v[30:31]
	v_fma_f64 v[28:29], v[4:5], v[34:35], v[38:39]
	v_fma_f64 v[30:31], v[2:3], v[34:35], -v[36:37]
	ds_load_b128 v[2:5], v1 offset:1744
	v_fma_f64 v[16:17], v[16:17], v[6:7], v[26:27]
	v_fma_f64 v[6:7], v[14:15], v[6:7], -v[8:9]
	v_add_f64_e32 v[18:19], v[22:23], v[18:19]
	v_add_f64_e32 v[20:21], v[24:25], v[20:21]
	s_wait_loadcnt_dscnt 0x0
	v_mul_f64_e32 v[22:23], v[2:3], v[12:13]
	v_mul_f64_e32 v[12:13], v[4:5], v[12:13]
	s_delay_alu instid0(VALU_DEP_4) | instskip(NEXT) | instid1(VALU_DEP_4)
	v_add_f64_e32 v[8:9], v[18:19], v[30:31]
	v_add_f64_e32 v[14:15], v[20:21], v[28:29]
	s_delay_alu instid0(VALU_DEP_4) | instskip(NEXT) | instid1(VALU_DEP_4)
	v_fma_f64 v[4:5], v[4:5], v[10:11], v[22:23]
	v_fma_f64 v[2:3], v[2:3], v[10:11], -v[12:13]
	s_delay_alu instid0(VALU_DEP_4) | instskip(NEXT) | instid1(VALU_DEP_4)
	v_add_f64_e32 v[6:7], v[8:9], v[6:7]
	v_add_f64_e32 v[8:9], v[14:15], v[16:17]
	s_delay_alu instid0(VALU_DEP_2) | instskip(NEXT) | instid1(VALU_DEP_2)
	v_add_f64_e32 v[2:3], v[6:7], v[2:3]
	v_add_f64_e32 v[4:5], v[8:9], v[4:5]
	s_delay_alu instid0(VALU_DEP_2) | instskip(NEXT) | instid1(VALU_DEP_2)
	v_add_f64_e64 v[2:3], v[42:43], -v[2:3]
	v_add_f64_e64 v[4:5], v[44:45], -v[4:5]
	scratch_store_b128 off, v[2:5], off offset:352
	v_cmpx_lt_u32_e32 20, v0
	s_cbranch_execz .LBB54_303
; %bb.302:
	scratch_load_b128 v[5:8], off, s48
	v_dual_mov_b32 v2, v1 :: v_dual_mov_b32 v3, v1
	v_mov_b32_e32 v4, v1
	scratch_store_b128 off, v[1:4], off offset:336
	s_wait_loadcnt 0x0
	ds_store_b128 v156, v[5:8]
.LBB54_303:
	s_wait_alu 0xfffe
	s_or_b32 exec_lo, exec_lo, s0
	s_wait_storecnt_dscnt 0x0
	s_barrier_signal -1
	s_barrier_wait -1
	global_inv scope:SCOPE_SE
	s_clause 0x8
	scratch_load_b128 v[2:5], off, off offset:352
	scratch_load_b128 v[6:9], off, off offset:368
	scratch_load_b128 v[10:13], off, off offset:384
	scratch_load_b128 v[14:17], off, off offset:400
	scratch_load_b128 v[18:21], off, off offset:416
	scratch_load_b128 v[22:25], off, off offset:432
	scratch_load_b128 v[26:29], off, off offset:448
	scratch_load_b128 v[30:33], off, off offset:464
	scratch_load_b128 v[34:37], off, off offset:480
	ds_load_b128 v[38:41], v1 offset:1216
	ds_load_b128 v[42:45], v1 offset:1232
	s_clause 0x1
	scratch_load_b128 v[157:160], off, off offset:336
	scratch_load_b128 v[161:164], off, off offset:496
	s_mov_b32 s0, exec_lo
	s_wait_loadcnt_dscnt 0xa01
	v_mul_f64_e32 v[165:166], v[40:41], v[4:5]
	v_mul_f64_e32 v[4:5], v[38:39], v[4:5]
	s_wait_loadcnt_dscnt 0x900
	v_mul_f64_e32 v[169:170], v[42:43], v[8:9]
	v_mul_f64_e32 v[8:9], v[44:45], v[8:9]
	s_delay_alu instid0(VALU_DEP_4) | instskip(NEXT) | instid1(VALU_DEP_4)
	v_fma_f64 v[171:172], v[38:39], v[2:3], -v[165:166]
	v_fma_f64 v[173:174], v[40:41], v[2:3], v[4:5]
	ds_load_b128 v[2:5], v1 offset:1248
	ds_load_b128 v[165:168], v1 offset:1264
	scratch_load_b128 v[38:41], off, off offset:512
	v_fma_f64 v[44:45], v[44:45], v[6:7], v[169:170]
	v_fma_f64 v[42:43], v[42:43], v[6:7], -v[8:9]
	scratch_load_b128 v[6:9], off, off offset:528
	s_wait_loadcnt_dscnt 0xa01
	v_mul_f64_e32 v[175:176], v[2:3], v[12:13]
	v_mul_f64_e32 v[12:13], v[4:5], v[12:13]
	v_add_f64_e32 v[169:170], 0, v[171:172]
	v_add_f64_e32 v[171:172], 0, v[173:174]
	s_wait_loadcnt_dscnt 0x900
	v_mul_f64_e32 v[173:174], v[165:166], v[16:17]
	v_mul_f64_e32 v[16:17], v[167:168], v[16:17]
	v_fma_f64 v[175:176], v[4:5], v[10:11], v[175:176]
	v_fma_f64 v[177:178], v[2:3], v[10:11], -v[12:13]
	ds_load_b128 v[2:5], v1 offset:1280
	scratch_load_b128 v[10:13], off, off offset:544
	v_add_f64_e32 v[169:170], v[169:170], v[42:43]
	v_add_f64_e32 v[171:172], v[171:172], v[44:45]
	ds_load_b128 v[42:45], v1 offset:1296
	v_fma_f64 v[167:168], v[167:168], v[14:15], v[173:174]
	v_fma_f64 v[165:166], v[165:166], v[14:15], -v[16:17]
	scratch_load_b128 v[14:17], off, off offset:560
	s_wait_loadcnt_dscnt 0xa01
	v_mul_f64_e32 v[179:180], v[2:3], v[20:21]
	v_mul_f64_e32 v[20:21], v[4:5], v[20:21]
	s_wait_loadcnt_dscnt 0x900
	v_mul_f64_e32 v[173:174], v[42:43], v[24:25]
	v_mul_f64_e32 v[24:25], v[44:45], v[24:25]
	v_add_f64_e32 v[169:170], v[169:170], v[177:178]
	v_add_f64_e32 v[171:172], v[171:172], v[175:176]
	v_fma_f64 v[175:176], v[4:5], v[18:19], v[179:180]
	v_fma_f64 v[177:178], v[2:3], v[18:19], -v[20:21]
	ds_load_b128 v[2:5], v1 offset:1312
	scratch_load_b128 v[18:21], off, off offset:576
	v_fma_f64 v[44:45], v[44:45], v[22:23], v[173:174]
	v_fma_f64 v[42:43], v[42:43], v[22:23], -v[24:25]
	scratch_load_b128 v[22:25], off, off offset:592
	v_add_f64_e32 v[169:170], v[169:170], v[165:166]
	v_add_f64_e32 v[171:172], v[171:172], v[167:168]
	ds_load_b128 v[165:168], v1 offset:1328
	s_wait_loadcnt_dscnt 0xa01
	v_mul_f64_e32 v[179:180], v[2:3], v[28:29]
	v_mul_f64_e32 v[28:29], v[4:5], v[28:29]
	s_wait_loadcnt_dscnt 0x900
	v_mul_f64_e32 v[173:174], v[165:166], v[32:33]
	v_mul_f64_e32 v[32:33], v[167:168], v[32:33]
	v_add_f64_e32 v[169:170], v[169:170], v[177:178]
	v_add_f64_e32 v[171:172], v[171:172], v[175:176]
	v_fma_f64 v[175:176], v[4:5], v[26:27], v[179:180]
	v_fma_f64 v[177:178], v[2:3], v[26:27], -v[28:29]
	ds_load_b128 v[2:5], v1 offset:1344
	scratch_load_b128 v[26:29], off, off offset:608
	v_fma_f64 v[167:168], v[167:168], v[30:31], v[173:174]
	v_fma_f64 v[165:166], v[165:166], v[30:31], -v[32:33]
	scratch_load_b128 v[30:33], off, off offset:624
	v_add_f64_e32 v[169:170], v[169:170], v[42:43]
	v_add_f64_e32 v[171:172], v[171:172], v[44:45]
	ds_load_b128 v[42:45], v1 offset:1360
	s_wait_loadcnt_dscnt 0xa01
	v_mul_f64_e32 v[179:180], v[2:3], v[36:37]
	v_mul_f64_e32 v[36:37], v[4:5], v[36:37]
	s_wait_loadcnt_dscnt 0x800
	v_mul_f64_e32 v[173:174], v[42:43], v[163:164]
	v_add_f64_e32 v[169:170], v[169:170], v[177:178]
	v_add_f64_e32 v[171:172], v[171:172], v[175:176]
	v_mul_f64_e32 v[175:176], v[44:45], v[163:164]
	v_fma_f64 v[177:178], v[4:5], v[34:35], v[179:180]
	v_fma_f64 v[179:180], v[2:3], v[34:35], -v[36:37]
	ds_load_b128 v[2:5], v1 offset:1376
	scratch_load_b128 v[34:37], off, off offset:640
	v_fma_f64 v[44:45], v[44:45], v[161:162], v[173:174]
	v_add_f64_e32 v[169:170], v[169:170], v[165:166]
	v_add_f64_e32 v[167:168], v[171:172], v[167:168]
	ds_load_b128 v[163:166], v1 offset:1392
	v_fma_f64 v[161:162], v[42:43], v[161:162], -v[175:176]
	s_wait_loadcnt_dscnt 0x801
	v_mul_f64_e32 v[171:172], v[2:3], v[40:41]
	v_mul_f64_e32 v[181:182], v[4:5], v[40:41]
	scratch_load_b128 v[40:43], off, off offset:656
	s_wait_loadcnt_dscnt 0x800
	v_mul_f64_e32 v[175:176], v[163:164], v[8:9]
	v_mul_f64_e32 v[8:9], v[165:166], v[8:9]
	v_add_f64_e32 v[169:170], v[169:170], v[179:180]
	v_add_f64_e32 v[167:168], v[167:168], v[177:178]
	v_fma_f64 v[177:178], v[4:5], v[38:39], v[171:172]
	v_fma_f64 v[38:39], v[2:3], v[38:39], -v[181:182]
	ds_load_b128 v[2:5], v1 offset:1408
	ds_load_b128 v[171:174], v1 offset:1424
	v_fma_f64 v[165:166], v[165:166], v[6:7], v[175:176]
	v_fma_f64 v[163:164], v[163:164], v[6:7], -v[8:9]
	scratch_load_b128 v[6:9], off, off offset:688
	v_add_f64_e32 v[161:162], v[169:170], v[161:162]
	v_add_f64_e32 v[44:45], v[167:168], v[44:45]
	scratch_load_b128 v[167:170], off, off offset:672
	s_wait_loadcnt_dscnt 0x901
	v_mul_f64_e32 v[179:180], v[2:3], v[12:13]
	v_mul_f64_e32 v[12:13], v[4:5], v[12:13]
	s_wait_loadcnt_dscnt 0x800
	v_mul_f64_e32 v[175:176], v[171:172], v[16:17]
	v_mul_f64_e32 v[16:17], v[173:174], v[16:17]
	v_add_f64_e32 v[38:39], v[161:162], v[38:39]
	v_add_f64_e32 v[44:45], v[44:45], v[177:178]
	v_fma_f64 v[177:178], v[4:5], v[10:11], v[179:180]
	v_fma_f64 v[179:180], v[2:3], v[10:11], -v[12:13]
	ds_load_b128 v[2:5], v1 offset:1440
	scratch_load_b128 v[10:13], off, off offset:704
	v_fma_f64 v[173:174], v[173:174], v[14:15], v[175:176]
	v_fma_f64 v[171:172], v[171:172], v[14:15], -v[16:17]
	scratch_load_b128 v[14:17], off, off offset:720
	v_add_f64_e32 v[38:39], v[38:39], v[163:164]
	v_add_f64_e32 v[44:45], v[44:45], v[165:166]
	ds_load_b128 v[161:164], v1 offset:1456
	s_wait_loadcnt_dscnt 0x901
	v_mul_f64_e32 v[165:166], v[2:3], v[20:21]
	v_mul_f64_e32 v[20:21], v[4:5], v[20:21]
	s_wait_loadcnt_dscnt 0x800
	v_mul_f64_e32 v[175:176], v[161:162], v[24:25]
	v_mul_f64_e32 v[24:25], v[163:164], v[24:25]
	v_add_f64_e32 v[38:39], v[38:39], v[179:180]
	v_add_f64_e32 v[44:45], v[44:45], v[177:178]
	v_fma_f64 v[165:166], v[4:5], v[18:19], v[165:166]
	v_fma_f64 v[177:178], v[2:3], v[18:19], -v[20:21]
	ds_load_b128 v[2:5], v1 offset:1472
	scratch_load_b128 v[18:21], off, off offset:736
	v_fma_f64 v[163:164], v[163:164], v[22:23], v[175:176]
	v_fma_f64 v[161:162], v[161:162], v[22:23], -v[24:25]
	scratch_load_b128 v[22:25], off, off offset:752
	v_add_f64_e32 v[38:39], v[38:39], v[171:172]
	v_add_f64_e32 v[44:45], v[44:45], v[173:174]
	ds_load_b128 v[171:174], v1 offset:1488
	s_wait_loadcnt_dscnt 0x901
	v_mul_f64_e32 v[179:180], v[2:3], v[28:29]
	v_mul_f64_e32 v[28:29], v[4:5], v[28:29]
	v_add_f64_e32 v[38:39], v[38:39], v[177:178]
	v_add_f64_e32 v[44:45], v[44:45], v[165:166]
	s_wait_loadcnt_dscnt 0x800
	v_mul_f64_e32 v[165:166], v[171:172], v[32:33]
	v_mul_f64_e32 v[32:33], v[173:174], v[32:33]
	v_fma_f64 v[175:176], v[4:5], v[26:27], v[179:180]
	v_fma_f64 v[177:178], v[2:3], v[26:27], -v[28:29]
	ds_load_b128 v[2:5], v1 offset:1504
	scratch_load_b128 v[26:29], off, off offset:768
	v_add_f64_e32 v[38:39], v[38:39], v[161:162]
	v_add_f64_e32 v[44:45], v[44:45], v[163:164]
	ds_load_b128 v[161:164], v1 offset:1520
	s_wait_loadcnt_dscnt 0x801
	v_mul_f64_e32 v[179:180], v[2:3], v[36:37]
	v_mul_f64_e32 v[36:37], v[4:5], v[36:37]
	v_fma_f64 v[165:166], v[173:174], v[30:31], v[165:166]
	v_fma_f64 v[171:172], v[171:172], v[30:31], -v[32:33]
	scratch_load_b128 v[30:33], off, off offset:784
	s_wait_loadcnt_dscnt 0x800
	v_mul_f64_e32 v[173:174], v[161:162], v[42:43]
	v_add_f64_e32 v[38:39], v[38:39], v[177:178]
	v_add_f64_e32 v[44:45], v[44:45], v[175:176]
	v_mul_f64_e32 v[175:176], v[163:164], v[42:43]
	v_fma_f64 v[177:178], v[4:5], v[34:35], v[179:180]
	v_fma_f64 v[179:180], v[2:3], v[34:35], -v[36:37]
	ds_load_b128 v[2:5], v1 offset:1536
	scratch_load_b128 v[34:37], off, off offset:800
	v_fma_f64 v[163:164], v[163:164], v[40:41], v[173:174]
	v_add_f64_e32 v[38:39], v[38:39], v[171:172]
	v_add_f64_e32 v[165:166], v[44:45], v[165:166]
	ds_load_b128 v[42:45], v1 offset:1552
	v_fma_f64 v[161:162], v[161:162], v[40:41], -v[175:176]
	s_wait_loadcnt_dscnt 0x701
	v_mul_f64_e32 v[171:172], v[2:3], v[169:170]
	v_mul_f64_e32 v[169:170], v[4:5], v[169:170]
	s_wait_dscnt 0x0
	v_mul_f64_e32 v[175:176], v[42:43], v[8:9]
	v_mul_f64_e32 v[8:9], v[44:45], v[8:9]
	v_add_f64_e32 v[173:174], v[38:39], v[179:180]
	v_add_f64_e32 v[165:166], v[165:166], v[177:178]
	scratch_load_b128 v[38:41], off, off offset:816
	v_fma_f64 v[171:172], v[4:5], v[167:168], v[171:172]
	v_fma_f64 v[169:170], v[2:3], v[167:168], -v[169:170]
	ds_load_b128 v[2:5], v1 offset:1568
	v_fma_f64 v[44:45], v[44:45], v[6:7], v[175:176]
	v_fma_f64 v[42:43], v[42:43], v[6:7], -v[8:9]
	scratch_load_b128 v[6:9], off, off offset:848
	v_add_f64_e32 v[173:174], v[173:174], v[161:162]
	v_add_f64_e32 v[177:178], v[165:166], v[163:164]
	scratch_load_b128 v[161:164], off, off offset:832
	ds_load_b128 v[165:168], v1 offset:1584
	s_wait_loadcnt_dscnt 0x901
	v_mul_f64_e32 v[179:180], v[2:3], v[12:13]
	v_mul_f64_e32 v[12:13], v[4:5], v[12:13]
	v_add_f64_e32 v[169:170], v[173:174], v[169:170]
	v_add_f64_e32 v[171:172], v[177:178], v[171:172]
	s_wait_loadcnt_dscnt 0x800
	v_mul_f64_e32 v[173:174], v[165:166], v[16:17]
	v_mul_f64_e32 v[16:17], v[167:168], v[16:17]
	v_fma_f64 v[175:176], v[4:5], v[10:11], v[179:180]
	v_fma_f64 v[177:178], v[2:3], v[10:11], -v[12:13]
	ds_load_b128 v[2:5], v1 offset:1600
	scratch_load_b128 v[10:13], off, off offset:864
	v_add_f64_e32 v[169:170], v[169:170], v[42:43]
	v_add_f64_e32 v[171:172], v[171:172], v[44:45]
	ds_load_b128 v[42:45], v1 offset:1616
	s_wait_loadcnt_dscnt 0x801
	v_mul_f64_e32 v[179:180], v[2:3], v[20:21]
	v_mul_f64_e32 v[20:21], v[4:5], v[20:21]
	v_fma_f64 v[167:168], v[167:168], v[14:15], v[173:174]
	v_fma_f64 v[165:166], v[165:166], v[14:15], -v[16:17]
	scratch_load_b128 v[14:17], off, off offset:880
	s_wait_loadcnt_dscnt 0x800
	v_mul_f64_e32 v[173:174], v[42:43], v[24:25]
	v_mul_f64_e32 v[24:25], v[44:45], v[24:25]
	v_add_f64_e32 v[169:170], v[169:170], v[177:178]
	v_add_f64_e32 v[171:172], v[171:172], v[175:176]
	v_fma_f64 v[175:176], v[4:5], v[18:19], v[179:180]
	v_fma_f64 v[177:178], v[2:3], v[18:19], -v[20:21]
	ds_load_b128 v[2:5], v1 offset:1632
	ds_load_b128 v[18:21], v1 offset:1648
	v_fma_f64 v[44:45], v[44:45], v[22:23], v[173:174]
	v_fma_f64 v[22:23], v[42:43], v[22:23], -v[24:25]
	v_add_f64_e32 v[165:166], v[169:170], v[165:166]
	v_add_f64_e32 v[167:168], v[171:172], v[167:168]
	s_wait_loadcnt_dscnt 0x701
	v_mul_f64_e32 v[169:170], v[2:3], v[28:29]
	v_mul_f64_e32 v[28:29], v[4:5], v[28:29]
	s_delay_alu instid0(VALU_DEP_4) | instskip(NEXT) | instid1(VALU_DEP_4)
	v_add_f64_e32 v[24:25], v[165:166], v[177:178]
	v_add_f64_e32 v[42:43], v[167:168], v[175:176]
	s_wait_loadcnt_dscnt 0x600
	v_mul_f64_e32 v[165:166], v[18:19], v[32:33]
	v_mul_f64_e32 v[32:33], v[20:21], v[32:33]
	v_fma_f64 v[167:168], v[4:5], v[26:27], v[169:170]
	v_fma_f64 v[26:27], v[2:3], v[26:27], -v[28:29]
	v_add_f64_e32 v[28:29], v[24:25], v[22:23]
	v_add_f64_e32 v[42:43], v[42:43], v[44:45]
	ds_load_b128 v[2:5], v1 offset:1664
	ds_load_b128 v[22:25], v1 offset:1680
	v_fma_f64 v[20:21], v[20:21], v[30:31], v[165:166]
	v_fma_f64 v[18:19], v[18:19], v[30:31], -v[32:33]
	s_wait_loadcnt_dscnt 0x501
	v_mul_f64_e32 v[44:45], v[2:3], v[36:37]
	v_mul_f64_e32 v[36:37], v[4:5], v[36:37]
	v_add_f64_e32 v[26:27], v[28:29], v[26:27]
	v_add_f64_e32 v[28:29], v[42:43], v[167:168]
	s_wait_loadcnt_dscnt 0x400
	v_mul_f64_e32 v[30:31], v[22:23], v[40:41]
	v_mul_f64_e32 v[32:33], v[24:25], v[40:41]
	v_fma_f64 v[40:41], v[4:5], v[34:35], v[44:45]
	v_fma_f64 v[34:35], v[2:3], v[34:35], -v[36:37]
	v_add_f64_e32 v[26:27], v[26:27], v[18:19]
	v_add_f64_e32 v[28:29], v[28:29], v[20:21]
	ds_load_b128 v[2:5], v1 offset:1696
	ds_load_b128 v[18:21], v1 offset:1712
	v_fma_f64 v[24:25], v[24:25], v[38:39], v[30:31]
	v_fma_f64 v[22:23], v[22:23], v[38:39], -v[32:33]
	s_wait_loadcnt_dscnt 0x201
	v_mul_f64_e32 v[36:37], v[2:3], v[163:164]
	v_mul_f64_e32 v[42:43], v[4:5], v[163:164]
	s_wait_dscnt 0x0
	v_mul_f64_e32 v[30:31], v[18:19], v[8:9]
	v_mul_f64_e32 v[8:9], v[20:21], v[8:9]
	v_add_f64_e32 v[26:27], v[26:27], v[34:35]
	v_add_f64_e32 v[28:29], v[28:29], v[40:41]
	v_fma_f64 v[32:33], v[4:5], v[161:162], v[36:37]
	v_fma_f64 v[34:35], v[2:3], v[161:162], -v[42:43]
	v_fma_f64 v[20:21], v[20:21], v[6:7], v[30:31]
	v_fma_f64 v[6:7], v[18:19], v[6:7], -v[8:9]
	v_add_f64_e32 v[26:27], v[26:27], v[22:23]
	v_add_f64_e32 v[28:29], v[28:29], v[24:25]
	ds_load_b128 v[2:5], v1 offset:1728
	ds_load_b128 v[22:25], v1 offset:1744
	s_wait_loadcnt_dscnt 0x101
	v_mul_f64_e32 v[36:37], v[2:3], v[12:13]
	v_mul_f64_e32 v[12:13], v[4:5], v[12:13]
	v_add_f64_e32 v[8:9], v[26:27], v[34:35]
	v_add_f64_e32 v[18:19], v[28:29], v[32:33]
	s_wait_loadcnt_dscnt 0x0
	v_mul_f64_e32 v[26:27], v[22:23], v[16:17]
	v_mul_f64_e32 v[16:17], v[24:25], v[16:17]
	v_fma_f64 v[4:5], v[4:5], v[10:11], v[36:37]
	v_fma_f64 v[1:2], v[2:3], v[10:11], -v[12:13]
	v_add_f64_e32 v[6:7], v[8:9], v[6:7]
	v_add_f64_e32 v[8:9], v[18:19], v[20:21]
	v_fma_f64 v[10:11], v[24:25], v[14:15], v[26:27]
	v_fma_f64 v[12:13], v[22:23], v[14:15], -v[16:17]
	s_delay_alu instid0(VALU_DEP_4) | instskip(NEXT) | instid1(VALU_DEP_4)
	v_add_f64_e32 v[1:2], v[6:7], v[1:2]
	v_add_f64_e32 v[3:4], v[8:9], v[4:5]
	s_delay_alu instid0(VALU_DEP_2) | instskip(NEXT) | instid1(VALU_DEP_2)
	v_add_f64_e32 v[1:2], v[1:2], v[12:13]
	v_add_f64_e32 v[3:4], v[3:4], v[10:11]
	s_delay_alu instid0(VALU_DEP_2) | instskip(NEXT) | instid1(VALU_DEP_2)
	v_add_f64_e64 v[1:2], v[157:158], -v[1:2]
	v_add_f64_e64 v[3:4], v[159:160], -v[3:4]
	scratch_store_b128 off, v[1:4], off offset:336
	v_cmpx_lt_u32_e32 19, v0
	s_cbranch_execz .LBB54_305
; %bb.304:
	scratch_load_b128 v[1:4], off, s49
	v_mov_b32_e32 v5, 0
	s_delay_alu instid0(VALU_DEP_1)
	v_dual_mov_b32 v6, v5 :: v_dual_mov_b32 v7, v5
	v_mov_b32_e32 v8, v5
	scratch_store_b128 off, v[5:8], off offset:320
	s_wait_loadcnt 0x0
	ds_store_b128 v156, v[1:4]
.LBB54_305:
	s_wait_alu 0xfffe
	s_or_b32 exec_lo, exec_lo, s0
	s_wait_storecnt_dscnt 0x0
	s_barrier_signal -1
	s_barrier_wait -1
	global_inv scope:SCOPE_SE
	s_clause 0x7
	scratch_load_b128 v[2:5], off, off offset:336
	scratch_load_b128 v[6:9], off, off offset:352
	;; [unrolled: 1-line block ×8, first 2 shown]
	v_mov_b32_e32 v1, 0
	s_mov_b32 s0, exec_lo
	ds_load_b128 v[38:41], v1 offset:1200
	s_clause 0x1
	scratch_load_b128 v[34:37], off, off offset:464
	scratch_load_b128 v[42:45], off, off offset:320
	ds_load_b128 v[157:160], v1 offset:1216
	scratch_load_b128 v[161:164], off, off offset:480
	s_wait_loadcnt_dscnt 0xa01
	v_mul_f64_e32 v[165:166], v[40:41], v[4:5]
	v_mul_f64_e32 v[4:5], v[38:39], v[4:5]
	s_delay_alu instid0(VALU_DEP_2) | instskip(NEXT) | instid1(VALU_DEP_2)
	v_fma_f64 v[171:172], v[38:39], v[2:3], -v[165:166]
	v_fma_f64 v[173:174], v[40:41], v[2:3], v[4:5]
	ds_load_b128 v[2:5], v1 offset:1232
	s_wait_loadcnt_dscnt 0x901
	v_mul_f64_e32 v[169:170], v[157:158], v[8:9]
	v_mul_f64_e32 v[8:9], v[159:160], v[8:9]
	scratch_load_b128 v[38:41], off, off offset:496
	ds_load_b128 v[165:168], v1 offset:1248
	s_wait_loadcnt_dscnt 0x901
	v_mul_f64_e32 v[175:176], v[2:3], v[12:13]
	v_mul_f64_e32 v[12:13], v[4:5], v[12:13]
	v_fma_f64 v[159:160], v[159:160], v[6:7], v[169:170]
	v_fma_f64 v[157:158], v[157:158], v[6:7], -v[8:9]
	v_add_f64_e32 v[169:170], 0, v[171:172]
	v_add_f64_e32 v[171:172], 0, v[173:174]
	scratch_load_b128 v[6:9], off, off offset:512
	v_fma_f64 v[175:176], v[4:5], v[10:11], v[175:176]
	v_fma_f64 v[177:178], v[2:3], v[10:11], -v[12:13]
	ds_load_b128 v[2:5], v1 offset:1264
	s_wait_loadcnt_dscnt 0x901
	v_mul_f64_e32 v[173:174], v[165:166], v[16:17]
	v_mul_f64_e32 v[16:17], v[167:168], v[16:17]
	scratch_load_b128 v[10:13], off, off offset:528
	v_add_f64_e32 v[169:170], v[169:170], v[157:158]
	v_add_f64_e32 v[171:172], v[171:172], v[159:160]
	s_wait_loadcnt_dscnt 0x900
	v_mul_f64_e32 v[179:180], v[2:3], v[20:21]
	v_mul_f64_e32 v[20:21], v[4:5], v[20:21]
	ds_load_b128 v[157:160], v1 offset:1280
	v_fma_f64 v[167:168], v[167:168], v[14:15], v[173:174]
	v_fma_f64 v[165:166], v[165:166], v[14:15], -v[16:17]
	scratch_load_b128 v[14:17], off, off offset:544
	v_add_f64_e32 v[169:170], v[169:170], v[177:178]
	v_add_f64_e32 v[171:172], v[171:172], v[175:176]
	v_fma_f64 v[175:176], v[4:5], v[18:19], v[179:180]
	v_fma_f64 v[177:178], v[2:3], v[18:19], -v[20:21]
	ds_load_b128 v[2:5], v1 offset:1296
	s_wait_loadcnt_dscnt 0x901
	v_mul_f64_e32 v[173:174], v[157:158], v[24:25]
	v_mul_f64_e32 v[24:25], v[159:160], v[24:25]
	scratch_load_b128 v[18:21], off, off offset:560
	s_wait_loadcnt_dscnt 0x900
	v_mul_f64_e32 v[179:180], v[2:3], v[28:29]
	v_mul_f64_e32 v[28:29], v[4:5], v[28:29]
	v_add_f64_e32 v[169:170], v[169:170], v[165:166]
	v_add_f64_e32 v[171:172], v[171:172], v[167:168]
	ds_load_b128 v[165:168], v1 offset:1312
	v_fma_f64 v[159:160], v[159:160], v[22:23], v[173:174]
	v_fma_f64 v[157:158], v[157:158], v[22:23], -v[24:25]
	scratch_load_b128 v[22:25], off, off offset:576
	v_add_f64_e32 v[169:170], v[169:170], v[177:178]
	v_add_f64_e32 v[171:172], v[171:172], v[175:176]
	v_fma_f64 v[175:176], v[4:5], v[26:27], v[179:180]
	v_fma_f64 v[177:178], v[2:3], v[26:27], -v[28:29]
	ds_load_b128 v[2:5], v1 offset:1328
	s_wait_loadcnt_dscnt 0x901
	v_mul_f64_e32 v[173:174], v[165:166], v[32:33]
	v_mul_f64_e32 v[32:33], v[167:168], v[32:33]
	scratch_load_b128 v[26:29], off, off offset:592
	s_wait_loadcnt_dscnt 0x900
	v_mul_f64_e32 v[179:180], v[2:3], v[36:37]
	v_mul_f64_e32 v[36:37], v[4:5], v[36:37]
	v_add_f64_e32 v[169:170], v[169:170], v[157:158]
	v_add_f64_e32 v[171:172], v[171:172], v[159:160]
	ds_load_b128 v[157:160], v1 offset:1344
	v_fma_f64 v[167:168], v[167:168], v[30:31], v[173:174]
	v_fma_f64 v[165:166], v[165:166], v[30:31], -v[32:33]
	scratch_load_b128 v[30:33], off, off offset:608
	v_add_f64_e32 v[169:170], v[169:170], v[177:178]
	v_add_f64_e32 v[171:172], v[171:172], v[175:176]
	v_fma_f64 v[177:178], v[4:5], v[34:35], v[179:180]
	v_fma_f64 v[179:180], v[2:3], v[34:35], -v[36:37]
	ds_load_b128 v[2:5], v1 offset:1360
	s_wait_loadcnt_dscnt 0x801
	v_mul_f64_e32 v[173:174], v[157:158], v[163:164]
	v_mul_f64_e32 v[175:176], v[159:160], v[163:164]
	scratch_load_b128 v[34:37], off, off offset:624
	v_add_f64_e32 v[169:170], v[169:170], v[165:166]
	v_add_f64_e32 v[167:168], v[171:172], v[167:168]
	ds_load_b128 v[163:166], v1 offset:1376
	v_fma_f64 v[173:174], v[159:160], v[161:162], v[173:174]
	v_fma_f64 v[161:162], v[157:158], v[161:162], -v[175:176]
	scratch_load_b128 v[157:160], off, off offset:640
	s_wait_loadcnt_dscnt 0x901
	v_mul_f64_e32 v[171:172], v[2:3], v[40:41]
	v_mul_f64_e32 v[40:41], v[4:5], v[40:41]
	v_add_f64_e32 v[169:170], v[169:170], v[179:180]
	v_add_f64_e32 v[167:168], v[167:168], v[177:178]
	s_delay_alu instid0(VALU_DEP_4) | instskip(NEXT) | instid1(VALU_DEP_4)
	v_fma_f64 v[171:172], v[4:5], v[38:39], v[171:172]
	v_fma_f64 v[177:178], v[2:3], v[38:39], -v[40:41]
	ds_load_b128 v[2:5], v1 offset:1392
	s_wait_loadcnt_dscnt 0x801
	v_mul_f64_e32 v[175:176], v[163:164], v[8:9]
	v_mul_f64_e32 v[8:9], v[165:166], v[8:9]
	scratch_load_b128 v[38:41], off, off offset:656
	s_wait_loadcnt_dscnt 0x800
	v_mul_f64_e32 v[179:180], v[2:3], v[12:13]
	v_add_f64_e32 v[161:162], v[169:170], v[161:162]
	v_add_f64_e32 v[173:174], v[167:168], v[173:174]
	v_mul_f64_e32 v[12:13], v[4:5], v[12:13]
	ds_load_b128 v[167:170], v1 offset:1408
	v_fma_f64 v[165:166], v[165:166], v[6:7], v[175:176]
	v_fma_f64 v[163:164], v[163:164], v[6:7], -v[8:9]
	scratch_load_b128 v[6:9], off, off offset:672
	v_fma_f64 v[175:176], v[4:5], v[10:11], v[179:180]
	v_add_f64_e32 v[161:162], v[161:162], v[177:178]
	v_add_f64_e32 v[171:172], v[173:174], v[171:172]
	v_fma_f64 v[177:178], v[2:3], v[10:11], -v[12:13]
	ds_load_b128 v[2:5], v1 offset:1424
	s_wait_loadcnt_dscnt 0x801
	v_mul_f64_e32 v[173:174], v[167:168], v[16:17]
	v_mul_f64_e32 v[16:17], v[169:170], v[16:17]
	scratch_load_b128 v[10:13], off, off offset:688
	v_add_f64_e32 v[179:180], v[161:162], v[163:164]
	v_add_f64_e32 v[165:166], v[171:172], v[165:166]
	s_wait_loadcnt_dscnt 0x800
	v_mul_f64_e32 v[171:172], v[2:3], v[20:21]
	v_mul_f64_e32 v[20:21], v[4:5], v[20:21]
	v_fma_f64 v[169:170], v[169:170], v[14:15], v[173:174]
	v_fma_f64 v[167:168], v[167:168], v[14:15], -v[16:17]
	ds_load_b128 v[161:164], v1 offset:1440
	scratch_load_b128 v[14:17], off, off offset:704
	v_add_f64_e32 v[173:174], v[179:180], v[177:178]
	v_add_f64_e32 v[165:166], v[165:166], v[175:176]
	v_fma_f64 v[171:172], v[4:5], v[18:19], v[171:172]
	v_fma_f64 v[177:178], v[2:3], v[18:19], -v[20:21]
	ds_load_b128 v[2:5], v1 offset:1456
	s_wait_loadcnt_dscnt 0x801
	v_mul_f64_e32 v[175:176], v[161:162], v[24:25]
	v_mul_f64_e32 v[24:25], v[163:164], v[24:25]
	scratch_load_b128 v[18:21], off, off offset:720
	s_wait_loadcnt_dscnt 0x800
	v_mul_f64_e32 v[179:180], v[2:3], v[28:29]
	v_mul_f64_e32 v[28:29], v[4:5], v[28:29]
	v_add_f64_e32 v[173:174], v[173:174], v[167:168]
	v_add_f64_e32 v[169:170], v[165:166], v[169:170]
	ds_load_b128 v[165:168], v1 offset:1472
	v_fma_f64 v[163:164], v[163:164], v[22:23], v[175:176]
	v_fma_f64 v[161:162], v[161:162], v[22:23], -v[24:25]
	scratch_load_b128 v[22:25], off, off offset:736
	v_fma_f64 v[175:176], v[4:5], v[26:27], v[179:180]
	v_add_f64_e32 v[173:174], v[173:174], v[177:178]
	v_add_f64_e32 v[169:170], v[169:170], v[171:172]
	v_fma_f64 v[177:178], v[2:3], v[26:27], -v[28:29]
	ds_load_b128 v[2:5], v1 offset:1488
	s_wait_loadcnt_dscnt 0x801
	v_mul_f64_e32 v[171:172], v[165:166], v[32:33]
	v_mul_f64_e32 v[32:33], v[167:168], v[32:33]
	scratch_load_b128 v[26:29], off, off offset:752
	s_wait_loadcnt_dscnt 0x800
	v_mul_f64_e32 v[179:180], v[2:3], v[36:37]
	v_mul_f64_e32 v[36:37], v[4:5], v[36:37]
	v_add_f64_e32 v[173:174], v[173:174], v[161:162]
	v_add_f64_e32 v[169:170], v[169:170], v[163:164]
	ds_load_b128 v[161:164], v1 offset:1504
	v_fma_f64 v[167:168], v[167:168], v[30:31], v[171:172]
	v_fma_f64 v[165:166], v[165:166], v[30:31], -v[32:33]
	scratch_load_b128 v[30:33], off, off offset:768
	v_add_f64_e32 v[171:172], v[173:174], v[177:178]
	v_add_f64_e32 v[169:170], v[169:170], v[175:176]
	v_fma_f64 v[175:176], v[4:5], v[34:35], v[179:180]
	v_fma_f64 v[177:178], v[2:3], v[34:35], -v[36:37]
	ds_load_b128 v[2:5], v1 offset:1520
	s_wait_loadcnt_dscnt 0x801
	v_mul_f64_e32 v[173:174], v[161:162], v[159:160]
	v_mul_f64_e32 v[159:160], v[163:164], v[159:160]
	scratch_load_b128 v[34:37], off, off offset:784
	s_wait_loadcnt_dscnt 0x800
	v_mul_f64_e32 v[179:180], v[2:3], v[40:41]
	v_mul_f64_e32 v[40:41], v[4:5], v[40:41]
	v_add_f64_e32 v[171:172], v[171:172], v[165:166]
	v_add_f64_e32 v[169:170], v[169:170], v[167:168]
	ds_load_b128 v[165:168], v1 offset:1536
	v_fma_f64 v[163:164], v[163:164], v[157:158], v[173:174]
	v_fma_f64 v[161:162], v[161:162], v[157:158], -v[159:160]
	scratch_load_b128 v[157:160], off, off offset:800
	v_add_f64_e32 v[171:172], v[171:172], v[177:178]
	v_add_f64_e32 v[169:170], v[169:170], v[175:176]
	v_fma_f64 v[175:176], v[4:5], v[38:39], v[179:180]
	;; [unrolled: 18-line block ×4, first 2 shown]
	v_fma_f64 v[177:178], v[2:3], v[18:19], -v[20:21]
	ds_load_b128 v[2:5], v1 offset:1616
	s_wait_loadcnt_dscnt 0x801
	v_mul_f64_e32 v[173:174], v[165:166], v[24:25]
	v_mul_f64_e32 v[24:25], v[167:168], v[24:25]
	scratch_load_b128 v[18:21], off, off offset:880
	s_wait_loadcnt_dscnt 0x800
	v_mul_f64_e32 v[179:180], v[2:3], v[28:29]
	v_mul_f64_e32 v[28:29], v[4:5], v[28:29]
	v_add_f64_e32 v[171:172], v[171:172], v[161:162]
	v_add_f64_e32 v[169:170], v[169:170], v[163:164]
	ds_load_b128 v[161:164], v1 offset:1632
	v_fma_f64 v[167:168], v[167:168], v[22:23], v[173:174]
	v_fma_f64 v[22:23], v[165:166], v[22:23], -v[24:25]
	v_add_f64_e32 v[24:25], v[171:172], v[177:178]
	v_add_f64_e32 v[165:166], v[169:170], v[175:176]
	s_wait_loadcnt_dscnt 0x700
	v_mul_f64_e32 v[169:170], v[161:162], v[32:33]
	v_mul_f64_e32 v[32:33], v[163:164], v[32:33]
	v_fma_f64 v[171:172], v[4:5], v[26:27], v[179:180]
	v_fma_f64 v[26:27], v[2:3], v[26:27], -v[28:29]
	v_add_f64_e32 v[28:29], v[24:25], v[22:23]
	v_add_f64_e32 v[165:166], v[165:166], v[167:168]
	ds_load_b128 v[2:5], v1 offset:1648
	ds_load_b128 v[22:25], v1 offset:1664
	v_fma_f64 v[163:164], v[163:164], v[30:31], v[169:170]
	v_fma_f64 v[30:31], v[161:162], v[30:31], -v[32:33]
	s_wait_loadcnt_dscnt 0x601
	v_mul_f64_e32 v[167:168], v[2:3], v[36:37]
	v_mul_f64_e32 v[36:37], v[4:5], v[36:37]
	s_wait_loadcnt_dscnt 0x500
	v_mul_f64_e32 v[32:33], v[22:23], v[159:160]
	v_mul_f64_e32 v[159:160], v[24:25], v[159:160]
	v_add_f64_e32 v[26:27], v[28:29], v[26:27]
	v_add_f64_e32 v[28:29], v[165:166], v[171:172]
	v_fma_f64 v[161:162], v[4:5], v[34:35], v[167:168]
	v_fma_f64 v[34:35], v[2:3], v[34:35], -v[36:37]
	v_fma_f64 v[24:25], v[24:25], v[157:158], v[32:33]
	v_fma_f64 v[22:23], v[22:23], v[157:158], -v[159:160]
	v_add_f64_e32 v[30:31], v[26:27], v[30:31]
	v_add_f64_e32 v[36:37], v[28:29], v[163:164]
	ds_load_b128 v[2:5], v1 offset:1680
	ds_load_b128 v[26:29], v1 offset:1696
	s_wait_loadcnt_dscnt 0x401
	v_mul_f64_e32 v[163:164], v[2:3], v[40:41]
	v_mul_f64_e32 v[40:41], v[4:5], v[40:41]
	v_add_f64_e32 v[30:31], v[30:31], v[34:35]
	v_add_f64_e32 v[32:33], v[36:37], v[161:162]
	s_wait_loadcnt_dscnt 0x300
	v_mul_f64_e32 v[34:35], v[26:27], v[8:9]
	v_mul_f64_e32 v[8:9], v[28:29], v[8:9]
	v_fma_f64 v[36:37], v[4:5], v[38:39], v[163:164]
	v_fma_f64 v[38:39], v[2:3], v[38:39], -v[40:41]
	v_add_f64_e32 v[30:31], v[30:31], v[22:23]
	v_add_f64_e32 v[32:33], v[32:33], v[24:25]
	ds_load_b128 v[2:5], v1 offset:1712
	ds_load_b128 v[22:25], v1 offset:1728
	v_fma_f64 v[28:29], v[28:29], v[6:7], v[34:35]
	v_fma_f64 v[6:7], v[26:27], v[6:7], -v[8:9]
	s_wait_loadcnt_dscnt 0x201
	v_mul_f64_e32 v[40:41], v[2:3], v[12:13]
	v_mul_f64_e32 v[12:13], v[4:5], v[12:13]
	v_add_f64_e32 v[8:9], v[30:31], v[38:39]
	v_add_f64_e32 v[26:27], v[32:33], v[36:37]
	s_wait_loadcnt_dscnt 0x100
	v_mul_f64_e32 v[30:31], v[22:23], v[16:17]
	v_mul_f64_e32 v[16:17], v[24:25], v[16:17]
	v_fma_f64 v[32:33], v[4:5], v[10:11], v[40:41]
	v_fma_f64 v[10:11], v[2:3], v[10:11], -v[12:13]
	ds_load_b128 v[2:5], v1 offset:1744
	v_add_f64_e32 v[6:7], v[8:9], v[6:7]
	v_add_f64_e32 v[8:9], v[26:27], v[28:29]
	v_fma_f64 v[24:25], v[24:25], v[14:15], v[30:31]
	v_fma_f64 v[14:15], v[22:23], v[14:15], -v[16:17]
	s_wait_loadcnt_dscnt 0x0
	v_mul_f64_e32 v[12:13], v[2:3], v[20:21]
	v_mul_f64_e32 v[20:21], v[4:5], v[20:21]
	v_add_f64_e32 v[6:7], v[6:7], v[10:11]
	v_add_f64_e32 v[8:9], v[8:9], v[32:33]
	s_delay_alu instid0(VALU_DEP_4) | instskip(NEXT) | instid1(VALU_DEP_4)
	v_fma_f64 v[4:5], v[4:5], v[18:19], v[12:13]
	v_fma_f64 v[2:3], v[2:3], v[18:19], -v[20:21]
	s_delay_alu instid0(VALU_DEP_4) | instskip(NEXT) | instid1(VALU_DEP_4)
	v_add_f64_e32 v[6:7], v[6:7], v[14:15]
	v_add_f64_e32 v[8:9], v[8:9], v[24:25]
	s_delay_alu instid0(VALU_DEP_2) | instskip(NEXT) | instid1(VALU_DEP_2)
	v_add_f64_e32 v[2:3], v[6:7], v[2:3]
	v_add_f64_e32 v[4:5], v[8:9], v[4:5]
	s_delay_alu instid0(VALU_DEP_2) | instskip(NEXT) | instid1(VALU_DEP_2)
	v_add_f64_e64 v[2:3], v[42:43], -v[2:3]
	v_add_f64_e64 v[4:5], v[44:45], -v[4:5]
	scratch_store_b128 off, v[2:5], off offset:320
	v_cmpx_lt_u32_e32 18, v0
	s_cbranch_execz .LBB54_307
; %bb.306:
	scratch_load_b128 v[5:8], off, s50
	v_dual_mov_b32 v2, v1 :: v_dual_mov_b32 v3, v1
	v_mov_b32_e32 v4, v1
	scratch_store_b128 off, v[1:4], off offset:304
	s_wait_loadcnt 0x0
	ds_store_b128 v156, v[5:8]
.LBB54_307:
	s_wait_alu 0xfffe
	s_or_b32 exec_lo, exec_lo, s0
	s_wait_storecnt_dscnt 0x0
	s_barrier_signal -1
	s_barrier_wait -1
	global_inv scope:SCOPE_SE
	s_clause 0x8
	scratch_load_b128 v[2:5], off, off offset:320
	scratch_load_b128 v[6:9], off, off offset:336
	scratch_load_b128 v[10:13], off, off offset:352
	scratch_load_b128 v[14:17], off, off offset:368
	scratch_load_b128 v[18:21], off, off offset:384
	scratch_load_b128 v[22:25], off, off offset:400
	scratch_load_b128 v[26:29], off, off offset:416
	scratch_load_b128 v[30:33], off, off offset:432
	scratch_load_b128 v[34:37], off, off offset:448
	ds_load_b128 v[38:41], v1 offset:1184
	ds_load_b128 v[42:45], v1 offset:1200
	s_clause 0x1
	scratch_load_b128 v[157:160], off, off offset:304
	scratch_load_b128 v[161:164], off, off offset:464
	s_mov_b32 s0, exec_lo
	s_wait_loadcnt_dscnt 0xa01
	v_mul_f64_e32 v[165:166], v[40:41], v[4:5]
	v_mul_f64_e32 v[4:5], v[38:39], v[4:5]
	s_wait_loadcnt_dscnt 0x900
	v_mul_f64_e32 v[169:170], v[42:43], v[8:9]
	v_mul_f64_e32 v[8:9], v[44:45], v[8:9]
	s_delay_alu instid0(VALU_DEP_4) | instskip(NEXT) | instid1(VALU_DEP_4)
	v_fma_f64 v[171:172], v[38:39], v[2:3], -v[165:166]
	v_fma_f64 v[173:174], v[40:41], v[2:3], v[4:5]
	ds_load_b128 v[2:5], v1 offset:1216
	ds_load_b128 v[165:168], v1 offset:1232
	scratch_load_b128 v[38:41], off, off offset:480
	v_fma_f64 v[44:45], v[44:45], v[6:7], v[169:170]
	v_fma_f64 v[42:43], v[42:43], v[6:7], -v[8:9]
	scratch_load_b128 v[6:9], off, off offset:496
	s_wait_loadcnt_dscnt 0xa01
	v_mul_f64_e32 v[175:176], v[2:3], v[12:13]
	v_mul_f64_e32 v[12:13], v[4:5], v[12:13]
	v_add_f64_e32 v[169:170], 0, v[171:172]
	v_add_f64_e32 v[171:172], 0, v[173:174]
	s_wait_loadcnt_dscnt 0x900
	v_mul_f64_e32 v[173:174], v[165:166], v[16:17]
	v_mul_f64_e32 v[16:17], v[167:168], v[16:17]
	v_fma_f64 v[175:176], v[4:5], v[10:11], v[175:176]
	v_fma_f64 v[177:178], v[2:3], v[10:11], -v[12:13]
	ds_load_b128 v[2:5], v1 offset:1248
	scratch_load_b128 v[10:13], off, off offset:512
	v_add_f64_e32 v[169:170], v[169:170], v[42:43]
	v_add_f64_e32 v[171:172], v[171:172], v[44:45]
	ds_load_b128 v[42:45], v1 offset:1264
	v_fma_f64 v[167:168], v[167:168], v[14:15], v[173:174]
	v_fma_f64 v[165:166], v[165:166], v[14:15], -v[16:17]
	scratch_load_b128 v[14:17], off, off offset:528
	s_wait_loadcnt_dscnt 0xa01
	v_mul_f64_e32 v[179:180], v[2:3], v[20:21]
	v_mul_f64_e32 v[20:21], v[4:5], v[20:21]
	s_wait_loadcnt_dscnt 0x900
	v_mul_f64_e32 v[173:174], v[42:43], v[24:25]
	v_mul_f64_e32 v[24:25], v[44:45], v[24:25]
	v_add_f64_e32 v[169:170], v[169:170], v[177:178]
	v_add_f64_e32 v[171:172], v[171:172], v[175:176]
	v_fma_f64 v[175:176], v[4:5], v[18:19], v[179:180]
	v_fma_f64 v[177:178], v[2:3], v[18:19], -v[20:21]
	ds_load_b128 v[2:5], v1 offset:1280
	scratch_load_b128 v[18:21], off, off offset:544
	v_fma_f64 v[44:45], v[44:45], v[22:23], v[173:174]
	v_fma_f64 v[42:43], v[42:43], v[22:23], -v[24:25]
	scratch_load_b128 v[22:25], off, off offset:560
	v_add_f64_e32 v[169:170], v[169:170], v[165:166]
	v_add_f64_e32 v[171:172], v[171:172], v[167:168]
	ds_load_b128 v[165:168], v1 offset:1296
	s_wait_loadcnt_dscnt 0xa01
	v_mul_f64_e32 v[179:180], v[2:3], v[28:29]
	v_mul_f64_e32 v[28:29], v[4:5], v[28:29]
	s_wait_loadcnt_dscnt 0x900
	v_mul_f64_e32 v[173:174], v[165:166], v[32:33]
	v_mul_f64_e32 v[32:33], v[167:168], v[32:33]
	v_add_f64_e32 v[169:170], v[169:170], v[177:178]
	v_add_f64_e32 v[171:172], v[171:172], v[175:176]
	v_fma_f64 v[175:176], v[4:5], v[26:27], v[179:180]
	v_fma_f64 v[177:178], v[2:3], v[26:27], -v[28:29]
	ds_load_b128 v[2:5], v1 offset:1312
	scratch_load_b128 v[26:29], off, off offset:576
	v_fma_f64 v[167:168], v[167:168], v[30:31], v[173:174]
	v_fma_f64 v[165:166], v[165:166], v[30:31], -v[32:33]
	scratch_load_b128 v[30:33], off, off offset:592
	v_add_f64_e32 v[169:170], v[169:170], v[42:43]
	v_add_f64_e32 v[171:172], v[171:172], v[44:45]
	ds_load_b128 v[42:45], v1 offset:1328
	s_wait_loadcnt_dscnt 0xa01
	v_mul_f64_e32 v[179:180], v[2:3], v[36:37]
	v_mul_f64_e32 v[36:37], v[4:5], v[36:37]
	s_wait_loadcnt_dscnt 0x800
	v_mul_f64_e32 v[173:174], v[42:43], v[163:164]
	v_add_f64_e32 v[169:170], v[169:170], v[177:178]
	v_add_f64_e32 v[171:172], v[171:172], v[175:176]
	v_mul_f64_e32 v[175:176], v[44:45], v[163:164]
	v_fma_f64 v[177:178], v[4:5], v[34:35], v[179:180]
	v_fma_f64 v[179:180], v[2:3], v[34:35], -v[36:37]
	ds_load_b128 v[2:5], v1 offset:1344
	scratch_load_b128 v[34:37], off, off offset:608
	v_fma_f64 v[44:45], v[44:45], v[161:162], v[173:174]
	v_add_f64_e32 v[169:170], v[169:170], v[165:166]
	v_add_f64_e32 v[167:168], v[171:172], v[167:168]
	ds_load_b128 v[163:166], v1 offset:1360
	v_fma_f64 v[161:162], v[42:43], v[161:162], -v[175:176]
	s_wait_loadcnt_dscnt 0x801
	v_mul_f64_e32 v[171:172], v[2:3], v[40:41]
	v_mul_f64_e32 v[181:182], v[4:5], v[40:41]
	scratch_load_b128 v[40:43], off, off offset:624
	s_wait_loadcnt_dscnt 0x800
	v_mul_f64_e32 v[175:176], v[163:164], v[8:9]
	v_mul_f64_e32 v[8:9], v[165:166], v[8:9]
	v_add_f64_e32 v[169:170], v[169:170], v[179:180]
	v_add_f64_e32 v[167:168], v[167:168], v[177:178]
	v_fma_f64 v[177:178], v[4:5], v[38:39], v[171:172]
	v_fma_f64 v[38:39], v[2:3], v[38:39], -v[181:182]
	ds_load_b128 v[2:5], v1 offset:1376
	ds_load_b128 v[171:174], v1 offset:1392
	v_fma_f64 v[165:166], v[165:166], v[6:7], v[175:176]
	v_fma_f64 v[163:164], v[163:164], v[6:7], -v[8:9]
	scratch_load_b128 v[6:9], off, off offset:656
	v_add_f64_e32 v[161:162], v[169:170], v[161:162]
	v_add_f64_e32 v[44:45], v[167:168], v[44:45]
	scratch_load_b128 v[167:170], off, off offset:640
	s_wait_loadcnt_dscnt 0x901
	v_mul_f64_e32 v[179:180], v[2:3], v[12:13]
	v_mul_f64_e32 v[12:13], v[4:5], v[12:13]
	s_wait_loadcnt_dscnt 0x800
	v_mul_f64_e32 v[175:176], v[171:172], v[16:17]
	v_mul_f64_e32 v[16:17], v[173:174], v[16:17]
	v_add_f64_e32 v[38:39], v[161:162], v[38:39]
	v_add_f64_e32 v[44:45], v[44:45], v[177:178]
	v_fma_f64 v[177:178], v[4:5], v[10:11], v[179:180]
	v_fma_f64 v[179:180], v[2:3], v[10:11], -v[12:13]
	ds_load_b128 v[2:5], v1 offset:1408
	scratch_load_b128 v[10:13], off, off offset:672
	v_fma_f64 v[173:174], v[173:174], v[14:15], v[175:176]
	v_fma_f64 v[171:172], v[171:172], v[14:15], -v[16:17]
	scratch_load_b128 v[14:17], off, off offset:688
	v_add_f64_e32 v[38:39], v[38:39], v[163:164]
	v_add_f64_e32 v[44:45], v[44:45], v[165:166]
	ds_load_b128 v[161:164], v1 offset:1424
	s_wait_loadcnt_dscnt 0x901
	v_mul_f64_e32 v[165:166], v[2:3], v[20:21]
	v_mul_f64_e32 v[20:21], v[4:5], v[20:21]
	s_wait_loadcnt_dscnt 0x800
	v_mul_f64_e32 v[175:176], v[161:162], v[24:25]
	v_mul_f64_e32 v[24:25], v[163:164], v[24:25]
	v_add_f64_e32 v[38:39], v[38:39], v[179:180]
	v_add_f64_e32 v[44:45], v[44:45], v[177:178]
	v_fma_f64 v[165:166], v[4:5], v[18:19], v[165:166]
	v_fma_f64 v[177:178], v[2:3], v[18:19], -v[20:21]
	ds_load_b128 v[2:5], v1 offset:1440
	scratch_load_b128 v[18:21], off, off offset:704
	v_fma_f64 v[163:164], v[163:164], v[22:23], v[175:176]
	v_fma_f64 v[161:162], v[161:162], v[22:23], -v[24:25]
	scratch_load_b128 v[22:25], off, off offset:720
	v_add_f64_e32 v[38:39], v[38:39], v[171:172]
	v_add_f64_e32 v[44:45], v[44:45], v[173:174]
	ds_load_b128 v[171:174], v1 offset:1456
	s_wait_loadcnt_dscnt 0x901
	v_mul_f64_e32 v[179:180], v[2:3], v[28:29]
	v_mul_f64_e32 v[28:29], v[4:5], v[28:29]
	v_add_f64_e32 v[38:39], v[38:39], v[177:178]
	v_add_f64_e32 v[44:45], v[44:45], v[165:166]
	s_wait_loadcnt_dscnt 0x800
	v_mul_f64_e32 v[165:166], v[171:172], v[32:33]
	v_mul_f64_e32 v[32:33], v[173:174], v[32:33]
	v_fma_f64 v[175:176], v[4:5], v[26:27], v[179:180]
	v_fma_f64 v[177:178], v[2:3], v[26:27], -v[28:29]
	ds_load_b128 v[2:5], v1 offset:1472
	scratch_load_b128 v[26:29], off, off offset:736
	v_add_f64_e32 v[38:39], v[38:39], v[161:162]
	v_add_f64_e32 v[44:45], v[44:45], v[163:164]
	ds_load_b128 v[161:164], v1 offset:1488
	s_wait_loadcnt_dscnt 0x801
	v_mul_f64_e32 v[179:180], v[2:3], v[36:37]
	v_mul_f64_e32 v[36:37], v[4:5], v[36:37]
	v_fma_f64 v[165:166], v[173:174], v[30:31], v[165:166]
	v_fma_f64 v[171:172], v[171:172], v[30:31], -v[32:33]
	scratch_load_b128 v[30:33], off, off offset:752
	s_wait_loadcnt_dscnt 0x800
	v_mul_f64_e32 v[173:174], v[161:162], v[42:43]
	v_add_f64_e32 v[38:39], v[38:39], v[177:178]
	v_add_f64_e32 v[44:45], v[44:45], v[175:176]
	v_mul_f64_e32 v[175:176], v[163:164], v[42:43]
	v_fma_f64 v[177:178], v[4:5], v[34:35], v[179:180]
	v_fma_f64 v[179:180], v[2:3], v[34:35], -v[36:37]
	ds_load_b128 v[2:5], v1 offset:1504
	scratch_load_b128 v[34:37], off, off offset:768
	v_fma_f64 v[163:164], v[163:164], v[40:41], v[173:174]
	v_add_f64_e32 v[38:39], v[38:39], v[171:172]
	v_add_f64_e32 v[165:166], v[44:45], v[165:166]
	ds_load_b128 v[42:45], v1 offset:1520
	v_fma_f64 v[161:162], v[161:162], v[40:41], -v[175:176]
	s_wait_loadcnt_dscnt 0x701
	v_mul_f64_e32 v[171:172], v[2:3], v[169:170]
	v_mul_f64_e32 v[169:170], v[4:5], v[169:170]
	s_wait_dscnt 0x0
	v_mul_f64_e32 v[175:176], v[42:43], v[8:9]
	v_mul_f64_e32 v[8:9], v[44:45], v[8:9]
	v_add_f64_e32 v[173:174], v[38:39], v[179:180]
	v_add_f64_e32 v[165:166], v[165:166], v[177:178]
	scratch_load_b128 v[38:41], off, off offset:784
	v_fma_f64 v[171:172], v[4:5], v[167:168], v[171:172]
	v_fma_f64 v[169:170], v[2:3], v[167:168], -v[169:170]
	ds_load_b128 v[2:5], v1 offset:1536
	v_fma_f64 v[44:45], v[44:45], v[6:7], v[175:176]
	v_fma_f64 v[42:43], v[42:43], v[6:7], -v[8:9]
	scratch_load_b128 v[6:9], off, off offset:816
	v_add_f64_e32 v[173:174], v[173:174], v[161:162]
	v_add_f64_e32 v[177:178], v[165:166], v[163:164]
	scratch_load_b128 v[161:164], off, off offset:800
	ds_load_b128 v[165:168], v1 offset:1552
	s_wait_loadcnt_dscnt 0x901
	v_mul_f64_e32 v[179:180], v[2:3], v[12:13]
	v_mul_f64_e32 v[12:13], v[4:5], v[12:13]
	v_add_f64_e32 v[169:170], v[173:174], v[169:170]
	v_add_f64_e32 v[171:172], v[177:178], v[171:172]
	s_wait_loadcnt_dscnt 0x800
	v_mul_f64_e32 v[173:174], v[165:166], v[16:17]
	v_mul_f64_e32 v[16:17], v[167:168], v[16:17]
	v_fma_f64 v[175:176], v[4:5], v[10:11], v[179:180]
	v_fma_f64 v[177:178], v[2:3], v[10:11], -v[12:13]
	ds_load_b128 v[2:5], v1 offset:1568
	scratch_load_b128 v[10:13], off, off offset:832
	v_add_f64_e32 v[169:170], v[169:170], v[42:43]
	v_add_f64_e32 v[171:172], v[171:172], v[44:45]
	ds_load_b128 v[42:45], v1 offset:1584
	s_wait_loadcnt_dscnt 0x801
	v_mul_f64_e32 v[179:180], v[2:3], v[20:21]
	v_mul_f64_e32 v[20:21], v[4:5], v[20:21]
	v_fma_f64 v[167:168], v[167:168], v[14:15], v[173:174]
	v_fma_f64 v[165:166], v[165:166], v[14:15], -v[16:17]
	scratch_load_b128 v[14:17], off, off offset:848
	s_wait_loadcnt_dscnt 0x800
	v_mul_f64_e32 v[173:174], v[42:43], v[24:25]
	v_mul_f64_e32 v[24:25], v[44:45], v[24:25]
	v_add_f64_e32 v[169:170], v[169:170], v[177:178]
	v_add_f64_e32 v[171:172], v[171:172], v[175:176]
	v_fma_f64 v[175:176], v[4:5], v[18:19], v[179:180]
	v_fma_f64 v[177:178], v[2:3], v[18:19], -v[20:21]
	ds_load_b128 v[2:5], v1 offset:1600
	scratch_load_b128 v[18:21], off, off offset:864
	v_fma_f64 v[44:45], v[44:45], v[22:23], v[173:174]
	v_fma_f64 v[42:43], v[42:43], v[22:23], -v[24:25]
	scratch_load_b128 v[22:25], off, off offset:880
	v_add_f64_e32 v[169:170], v[169:170], v[165:166]
	v_add_f64_e32 v[171:172], v[171:172], v[167:168]
	ds_load_b128 v[165:168], v1 offset:1616
	s_wait_loadcnt_dscnt 0x901
	v_mul_f64_e32 v[179:180], v[2:3], v[28:29]
	v_mul_f64_e32 v[28:29], v[4:5], v[28:29]
	s_wait_loadcnt_dscnt 0x800
	v_mul_f64_e32 v[173:174], v[165:166], v[32:33]
	v_mul_f64_e32 v[32:33], v[167:168], v[32:33]
	v_add_f64_e32 v[169:170], v[169:170], v[177:178]
	v_add_f64_e32 v[171:172], v[171:172], v[175:176]
	v_fma_f64 v[175:176], v[4:5], v[26:27], v[179:180]
	v_fma_f64 v[177:178], v[2:3], v[26:27], -v[28:29]
	ds_load_b128 v[2:5], v1 offset:1632
	ds_load_b128 v[26:29], v1 offset:1648
	v_fma_f64 v[167:168], v[167:168], v[30:31], v[173:174]
	v_fma_f64 v[30:31], v[165:166], v[30:31], -v[32:33]
	v_add_f64_e32 v[42:43], v[169:170], v[42:43]
	v_add_f64_e32 v[44:45], v[171:172], v[44:45]
	s_wait_loadcnt_dscnt 0x701
	v_mul_f64_e32 v[169:170], v[2:3], v[36:37]
	v_mul_f64_e32 v[36:37], v[4:5], v[36:37]
	s_delay_alu instid0(VALU_DEP_4) | instskip(NEXT) | instid1(VALU_DEP_4)
	v_add_f64_e32 v[32:33], v[42:43], v[177:178]
	v_add_f64_e32 v[42:43], v[44:45], v[175:176]
	s_delay_alu instid0(VALU_DEP_4) | instskip(NEXT) | instid1(VALU_DEP_4)
	v_fma_f64 v[165:166], v[4:5], v[34:35], v[169:170]
	v_fma_f64 v[34:35], v[2:3], v[34:35], -v[36:37]
	s_wait_loadcnt_dscnt 0x600
	v_mul_f64_e32 v[44:45], v[26:27], v[40:41]
	v_mul_f64_e32 v[40:41], v[28:29], v[40:41]
	v_add_f64_e32 v[36:37], v[32:33], v[30:31]
	v_add_f64_e32 v[42:43], v[42:43], v[167:168]
	ds_load_b128 v[2:5], v1 offset:1664
	ds_load_b128 v[30:33], v1 offset:1680
	v_fma_f64 v[28:29], v[28:29], v[38:39], v[44:45]
	v_fma_f64 v[26:27], v[26:27], v[38:39], -v[40:41]
	s_wait_loadcnt_dscnt 0x401
	v_mul_f64_e32 v[167:168], v[2:3], v[163:164]
	v_mul_f64_e32 v[163:164], v[4:5], v[163:164]
	s_wait_dscnt 0x0
	v_mul_f64_e32 v[38:39], v[30:31], v[8:9]
	v_mul_f64_e32 v[8:9], v[32:33], v[8:9]
	v_add_f64_e32 v[34:35], v[36:37], v[34:35]
	v_add_f64_e32 v[36:37], v[42:43], v[165:166]
	v_fma_f64 v[40:41], v[4:5], v[161:162], v[167:168]
	v_fma_f64 v[42:43], v[2:3], v[161:162], -v[163:164]
	v_fma_f64 v[32:33], v[32:33], v[6:7], v[38:39]
	v_fma_f64 v[6:7], v[30:31], v[6:7], -v[8:9]
	v_add_f64_e32 v[34:35], v[34:35], v[26:27]
	v_add_f64_e32 v[36:37], v[36:37], v[28:29]
	ds_load_b128 v[2:5], v1 offset:1696
	ds_load_b128 v[26:29], v1 offset:1712
	s_wait_loadcnt_dscnt 0x301
	v_mul_f64_e32 v[44:45], v[2:3], v[12:13]
	v_mul_f64_e32 v[12:13], v[4:5], v[12:13]
	v_add_f64_e32 v[8:9], v[34:35], v[42:43]
	v_add_f64_e32 v[30:31], v[36:37], v[40:41]
	s_wait_loadcnt_dscnt 0x200
	v_mul_f64_e32 v[34:35], v[26:27], v[16:17]
	v_mul_f64_e32 v[16:17], v[28:29], v[16:17]
	v_fma_f64 v[36:37], v[4:5], v[10:11], v[44:45]
	v_fma_f64 v[10:11], v[2:3], v[10:11], -v[12:13]
	v_add_f64_e32 v[12:13], v[8:9], v[6:7]
	v_add_f64_e32 v[30:31], v[30:31], v[32:33]
	ds_load_b128 v[2:5], v1 offset:1728
	ds_load_b128 v[6:9], v1 offset:1744
	v_fma_f64 v[28:29], v[28:29], v[14:15], v[34:35]
	v_fma_f64 v[14:15], v[26:27], v[14:15], -v[16:17]
	s_wait_loadcnt_dscnt 0x101
	v_mul_f64_e32 v[32:33], v[2:3], v[20:21]
	v_mul_f64_e32 v[20:21], v[4:5], v[20:21]
	s_wait_loadcnt_dscnt 0x0
	v_mul_f64_e32 v[16:17], v[6:7], v[24:25]
	v_mul_f64_e32 v[24:25], v[8:9], v[24:25]
	v_add_f64_e32 v[10:11], v[12:13], v[10:11]
	v_add_f64_e32 v[12:13], v[30:31], v[36:37]
	v_fma_f64 v[4:5], v[4:5], v[18:19], v[32:33]
	v_fma_f64 v[1:2], v[2:3], v[18:19], -v[20:21]
	v_fma_f64 v[8:9], v[8:9], v[22:23], v[16:17]
	v_fma_f64 v[6:7], v[6:7], v[22:23], -v[24:25]
	v_add_f64_e32 v[10:11], v[10:11], v[14:15]
	v_add_f64_e32 v[12:13], v[12:13], v[28:29]
	s_delay_alu instid0(VALU_DEP_2) | instskip(NEXT) | instid1(VALU_DEP_2)
	v_add_f64_e32 v[1:2], v[10:11], v[1:2]
	v_add_f64_e32 v[3:4], v[12:13], v[4:5]
	s_delay_alu instid0(VALU_DEP_2) | instskip(NEXT) | instid1(VALU_DEP_2)
	;; [unrolled: 3-line block ×3, first 2 shown]
	v_add_f64_e64 v[1:2], v[157:158], -v[1:2]
	v_add_f64_e64 v[3:4], v[159:160], -v[3:4]
	scratch_store_b128 off, v[1:4], off offset:304
	v_cmpx_lt_u32_e32 17, v0
	s_cbranch_execz .LBB54_309
; %bb.308:
	scratch_load_b128 v[1:4], off, s51
	v_mov_b32_e32 v5, 0
	s_delay_alu instid0(VALU_DEP_1)
	v_dual_mov_b32 v6, v5 :: v_dual_mov_b32 v7, v5
	v_mov_b32_e32 v8, v5
	scratch_store_b128 off, v[5:8], off offset:288
	s_wait_loadcnt 0x0
	ds_store_b128 v156, v[1:4]
.LBB54_309:
	s_wait_alu 0xfffe
	s_or_b32 exec_lo, exec_lo, s0
	s_wait_storecnt_dscnt 0x0
	s_barrier_signal -1
	s_barrier_wait -1
	global_inv scope:SCOPE_SE
	s_clause 0x7
	scratch_load_b128 v[2:5], off, off offset:304
	scratch_load_b128 v[6:9], off, off offset:320
	;; [unrolled: 1-line block ×8, first 2 shown]
	v_mov_b32_e32 v1, 0
	s_mov_b32 s0, exec_lo
	ds_load_b128 v[38:41], v1 offset:1168
	s_clause 0x1
	scratch_load_b128 v[34:37], off, off offset:432
	scratch_load_b128 v[42:45], off, off offset:288
	ds_load_b128 v[157:160], v1 offset:1184
	scratch_load_b128 v[161:164], off, off offset:448
	s_wait_loadcnt_dscnt 0xa01
	v_mul_f64_e32 v[165:166], v[40:41], v[4:5]
	v_mul_f64_e32 v[4:5], v[38:39], v[4:5]
	s_delay_alu instid0(VALU_DEP_2) | instskip(NEXT) | instid1(VALU_DEP_2)
	v_fma_f64 v[171:172], v[38:39], v[2:3], -v[165:166]
	v_fma_f64 v[173:174], v[40:41], v[2:3], v[4:5]
	ds_load_b128 v[2:5], v1 offset:1200
	s_wait_loadcnt_dscnt 0x901
	v_mul_f64_e32 v[169:170], v[157:158], v[8:9]
	v_mul_f64_e32 v[8:9], v[159:160], v[8:9]
	scratch_load_b128 v[38:41], off, off offset:464
	ds_load_b128 v[165:168], v1 offset:1216
	s_wait_loadcnt_dscnt 0x901
	v_mul_f64_e32 v[175:176], v[2:3], v[12:13]
	v_mul_f64_e32 v[12:13], v[4:5], v[12:13]
	v_fma_f64 v[159:160], v[159:160], v[6:7], v[169:170]
	v_fma_f64 v[157:158], v[157:158], v[6:7], -v[8:9]
	v_add_f64_e32 v[169:170], 0, v[171:172]
	v_add_f64_e32 v[171:172], 0, v[173:174]
	scratch_load_b128 v[6:9], off, off offset:480
	v_fma_f64 v[175:176], v[4:5], v[10:11], v[175:176]
	v_fma_f64 v[177:178], v[2:3], v[10:11], -v[12:13]
	ds_load_b128 v[2:5], v1 offset:1232
	s_wait_loadcnt_dscnt 0x901
	v_mul_f64_e32 v[173:174], v[165:166], v[16:17]
	v_mul_f64_e32 v[16:17], v[167:168], v[16:17]
	scratch_load_b128 v[10:13], off, off offset:496
	v_add_f64_e32 v[169:170], v[169:170], v[157:158]
	v_add_f64_e32 v[171:172], v[171:172], v[159:160]
	s_wait_loadcnt_dscnt 0x900
	v_mul_f64_e32 v[179:180], v[2:3], v[20:21]
	v_mul_f64_e32 v[20:21], v[4:5], v[20:21]
	ds_load_b128 v[157:160], v1 offset:1248
	v_fma_f64 v[167:168], v[167:168], v[14:15], v[173:174]
	v_fma_f64 v[165:166], v[165:166], v[14:15], -v[16:17]
	scratch_load_b128 v[14:17], off, off offset:512
	v_add_f64_e32 v[169:170], v[169:170], v[177:178]
	v_add_f64_e32 v[171:172], v[171:172], v[175:176]
	v_fma_f64 v[175:176], v[4:5], v[18:19], v[179:180]
	v_fma_f64 v[177:178], v[2:3], v[18:19], -v[20:21]
	ds_load_b128 v[2:5], v1 offset:1264
	s_wait_loadcnt_dscnt 0x901
	v_mul_f64_e32 v[173:174], v[157:158], v[24:25]
	v_mul_f64_e32 v[24:25], v[159:160], v[24:25]
	scratch_load_b128 v[18:21], off, off offset:528
	s_wait_loadcnt_dscnt 0x900
	v_mul_f64_e32 v[179:180], v[2:3], v[28:29]
	v_mul_f64_e32 v[28:29], v[4:5], v[28:29]
	v_add_f64_e32 v[169:170], v[169:170], v[165:166]
	v_add_f64_e32 v[171:172], v[171:172], v[167:168]
	ds_load_b128 v[165:168], v1 offset:1280
	v_fma_f64 v[159:160], v[159:160], v[22:23], v[173:174]
	v_fma_f64 v[157:158], v[157:158], v[22:23], -v[24:25]
	scratch_load_b128 v[22:25], off, off offset:544
	v_add_f64_e32 v[169:170], v[169:170], v[177:178]
	v_add_f64_e32 v[171:172], v[171:172], v[175:176]
	v_fma_f64 v[175:176], v[4:5], v[26:27], v[179:180]
	v_fma_f64 v[177:178], v[2:3], v[26:27], -v[28:29]
	ds_load_b128 v[2:5], v1 offset:1296
	s_wait_loadcnt_dscnt 0x901
	v_mul_f64_e32 v[173:174], v[165:166], v[32:33]
	v_mul_f64_e32 v[32:33], v[167:168], v[32:33]
	scratch_load_b128 v[26:29], off, off offset:560
	s_wait_loadcnt_dscnt 0x900
	v_mul_f64_e32 v[179:180], v[2:3], v[36:37]
	v_mul_f64_e32 v[36:37], v[4:5], v[36:37]
	v_add_f64_e32 v[169:170], v[169:170], v[157:158]
	v_add_f64_e32 v[171:172], v[171:172], v[159:160]
	ds_load_b128 v[157:160], v1 offset:1312
	v_fma_f64 v[167:168], v[167:168], v[30:31], v[173:174]
	v_fma_f64 v[165:166], v[165:166], v[30:31], -v[32:33]
	scratch_load_b128 v[30:33], off, off offset:576
	v_add_f64_e32 v[169:170], v[169:170], v[177:178]
	v_add_f64_e32 v[171:172], v[171:172], v[175:176]
	v_fma_f64 v[177:178], v[4:5], v[34:35], v[179:180]
	v_fma_f64 v[179:180], v[2:3], v[34:35], -v[36:37]
	ds_load_b128 v[2:5], v1 offset:1328
	s_wait_loadcnt_dscnt 0x801
	v_mul_f64_e32 v[173:174], v[157:158], v[163:164]
	v_mul_f64_e32 v[175:176], v[159:160], v[163:164]
	scratch_load_b128 v[34:37], off, off offset:592
	v_add_f64_e32 v[169:170], v[169:170], v[165:166]
	v_add_f64_e32 v[167:168], v[171:172], v[167:168]
	ds_load_b128 v[163:166], v1 offset:1344
	v_fma_f64 v[173:174], v[159:160], v[161:162], v[173:174]
	v_fma_f64 v[161:162], v[157:158], v[161:162], -v[175:176]
	scratch_load_b128 v[157:160], off, off offset:608
	s_wait_loadcnt_dscnt 0x901
	v_mul_f64_e32 v[171:172], v[2:3], v[40:41]
	v_mul_f64_e32 v[40:41], v[4:5], v[40:41]
	v_add_f64_e32 v[169:170], v[169:170], v[179:180]
	v_add_f64_e32 v[167:168], v[167:168], v[177:178]
	s_delay_alu instid0(VALU_DEP_4) | instskip(NEXT) | instid1(VALU_DEP_4)
	v_fma_f64 v[171:172], v[4:5], v[38:39], v[171:172]
	v_fma_f64 v[177:178], v[2:3], v[38:39], -v[40:41]
	ds_load_b128 v[2:5], v1 offset:1360
	s_wait_loadcnt_dscnt 0x801
	v_mul_f64_e32 v[175:176], v[163:164], v[8:9]
	v_mul_f64_e32 v[8:9], v[165:166], v[8:9]
	scratch_load_b128 v[38:41], off, off offset:624
	s_wait_loadcnt_dscnt 0x800
	v_mul_f64_e32 v[179:180], v[2:3], v[12:13]
	v_add_f64_e32 v[161:162], v[169:170], v[161:162]
	v_add_f64_e32 v[173:174], v[167:168], v[173:174]
	v_mul_f64_e32 v[12:13], v[4:5], v[12:13]
	ds_load_b128 v[167:170], v1 offset:1376
	v_fma_f64 v[165:166], v[165:166], v[6:7], v[175:176]
	v_fma_f64 v[163:164], v[163:164], v[6:7], -v[8:9]
	scratch_load_b128 v[6:9], off, off offset:640
	v_fma_f64 v[175:176], v[4:5], v[10:11], v[179:180]
	v_add_f64_e32 v[161:162], v[161:162], v[177:178]
	v_add_f64_e32 v[171:172], v[173:174], v[171:172]
	v_fma_f64 v[177:178], v[2:3], v[10:11], -v[12:13]
	ds_load_b128 v[2:5], v1 offset:1392
	s_wait_loadcnt_dscnt 0x801
	v_mul_f64_e32 v[173:174], v[167:168], v[16:17]
	v_mul_f64_e32 v[16:17], v[169:170], v[16:17]
	scratch_load_b128 v[10:13], off, off offset:656
	v_add_f64_e32 v[179:180], v[161:162], v[163:164]
	v_add_f64_e32 v[165:166], v[171:172], v[165:166]
	s_wait_loadcnt_dscnt 0x800
	v_mul_f64_e32 v[171:172], v[2:3], v[20:21]
	v_mul_f64_e32 v[20:21], v[4:5], v[20:21]
	v_fma_f64 v[169:170], v[169:170], v[14:15], v[173:174]
	v_fma_f64 v[167:168], v[167:168], v[14:15], -v[16:17]
	ds_load_b128 v[161:164], v1 offset:1408
	scratch_load_b128 v[14:17], off, off offset:672
	v_add_f64_e32 v[173:174], v[179:180], v[177:178]
	v_add_f64_e32 v[165:166], v[165:166], v[175:176]
	v_fma_f64 v[171:172], v[4:5], v[18:19], v[171:172]
	v_fma_f64 v[177:178], v[2:3], v[18:19], -v[20:21]
	ds_load_b128 v[2:5], v1 offset:1424
	s_wait_loadcnt_dscnt 0x801
	v_mul_f64_e32 v[175:176], v[161:162], v[24:25]
	v_mul_f64_e32 v[24:25], v[163:164], v[24:25]
	scratch_load_b128 v[18:21], off, off offset:688
	s_wait_loadcnt_dscnt 0x800
	v_mul_f64_e32 v[179:180], v[2:3], v[28:29]
	v_mul_f64_e32 v[28:29], v[4:5], v[28:29]
	v_add_f64_e32 v[173:174], v[173:174], v[167:168]
	v_add_f64_e32 v[169:170], v[165:166], v[169:170]
	ds_load_b128 v[165:168], v1 offset:1440
	v_fma_f64 v[163:164], v[163:164], v[22:23], v[175:176]
	v_fma_f64 v[161:162], v[161:162], v[22:23], -v[24:25]
	scratch_load_b128 v[22:25], off, off offset:704
	v_fma_f64 v[175:176], v[4:5], v[26:27], v[179:180]
	v_add_f64_e32 v[173:174], v[173:174], v[177:178]
	v_add_f64_e32 v[169:170], v[169:170], v[171:172]
	v_fma_f64 v[177:178], v[2:3], v[26:27], -v[28:29]
	ds_load_b128 v[2:5], v1 offset:1456
	s_wait_loadcnt_dscnt 0x801
	v_mul_f64_e32 v[171:172], v[165:166], v[32:33]
	v_mul_f64_e32 v[32:33], v[167:168], v[32:33]
	scratch_load_b128 v[26:29], off, off offset:720
	s_wait_loadcnt_dscnt 0x800
	v_mul_f64_e32 v[179:180], v[2:3], v[36:37]
	v_mul_f64_e32 v[36:37], v[4:5], v[36:37]
	v_add_f64_e32 v[173:174], v[173:174], v[161:162]
	v_add_f64_e32 v[169:170], v[169:170], v[163:164]
	ds_load_b128 v[161:164], v1 offset:1472
	v_fma_f64 v[167:168], v[167:168], v[30:31], v[171:172]
	v_fma_f64 v[165:166], v[165:166], v[30:31], -v[32:33]
	scratch_load_b128 v[30:33], off, off offset:736
	v_add_f64_e32 v[171:172], v[173:174], v[177:178]
	v_add_f64_e32 v[169:170], v[169:170], v[175:176]
	v_fma_f64 v[175:176], v[4:5], v[34:35], v[179:180]
	v_fma_f64 v[177:178], v[2:3], v[34:35], -v[36:37]
	ds_load_b128 v[2:5], v1 offset:1488
	s_wait_loadcnt_dscnt 0x801
	v_mul_f64_e32 v[173:174], v[161:162], v[159:160]
	v_mul_f64_e32 v[159:160], v[163:164], v[159:160]
	scratch_load_b128 v[34:37], off, off offset:752
	s_wait_loadcnt_dscnt 0x800
	v_mul_f64_e32 v[179:180], v[2:3], v[40:41]
	v_mul_f64_e32 v[40:41], v[4:5], v[40:41]
	v_add_f64_e32 v[171:172], v[171:172], v[165:166]
	v_add_f64_e32 v[169:170], v[169:170], v[167:168]
	ds_load_b128 v[165:168], v1 offset:1504
	v_fma_f64 v[163:164], v[163:164], v[157:158], v[173:174]
	v_fma_f64 v[161:162], v[161:162], v[157:158], -v[159:160]
	scratch_load_b128 v[157:160], off, off offset:768
	v_add_f64_e32 v[171:172], v[171:172], v[177:178]
	v_add_f64_e32 v[169:170], v[169:170], v[175:176]
	v_fma_f64 v[175:176], v[4:5], v[38:39], v[179:180]
	;; [unrolled: 18-line block ×5, first 2 shown]
	v_fma_f64 v[177:178], v[2:3], v[26:27], -v[28:29]
	ds_load_b128 v[2:5], v1 offset:1616
	s_wait_loadcnt_dscnt 0x801
	v_mul_f64_e32 v[173:174], v[161:162], v[32:33]
	v_mul_f64_e32 v[32:33], v[163:164], v[32:33]
	scratch_load_b128 v[26:29], off, off offset:880
	s_wait_loadcnt_dscnt 0x800
	v_mul_f64_e32 v[179:180], v[2:3], v[36:37]
	v_mul_f64_e32 v[36:37], v[4:5], v[36:37]
	v_add_f64_e32 v[171:172], v[171:172], v[165:166]
	v_add_f64_e32 v[169:170], v[169:170], v[167:168]
	ds_load_b128 v[165:168], v1 offset:1632
	v_fma_f64 v[163:164], v[163:164], v[30:31], v[173:174]
	v_fma_f64 v[30:31], v[161:162], v[30:31], -v[32:33]
	v_add_f64_e32 v[32:33], v[171:172], v[177:178]
	v_add_f64_e32 v[161:162], v[169:170], v[175:176]
	s_wait_loadcnt_dscnt 0x700
	v_mul_f64_e32 v[169:170], v[165:166], v[159:160]
	v_mul_f64_e32 v[159:160], v[167:168], v[159:160]
	v_fma_f64 v[171:172], v[4:5], v[34:35], v[179:180]
	v_fma_f64 v[34:35], v[2:3], v[34:35], -v[36:37]
	v_add_f64_e32 v[36:37], v[32:33], v[30:31]
	v_add_f64_e32 v[161:162], v[161:162], v[163:164]
	ds_load_b128 v[2:5], v1 offset:1648
	ds_load_b128 v[30:33], v1 offset:1664
	v_fma_f64 v[167:168], v[167:168], v[157:158], v[169:170]
	v_fma_f64 v[157:158], v[165:166], v[157:158], -v[159:160]
	s_wait_loadcnt_dscnt 0x601
	v_mul_f64_e32 v[163:164], v[2:3], v[40:41]
	v_mul_f64_e32 v[40:41], v[4:5], v[40:41]
	s_wait_loadcnt_dscnt 0x500
	v_mul_f64_e32 v[159:160], v[30:31], v[8:9]
	v_mul_f64_e32 v[8:9], v[32:33], v[8:9]
	v_add_f64_e32 v[34:35], v[36:37], v[34:35]
	v_add_f64_e32 v[36:37], v[161:162], v[171:172]
	v_fma_f64 v[161:162], v[4:5], v[38:39], v[163:164]
	v_fma_f64 v[38:39], v[2:3], v[38:39], -v[40:41]
	v_fma_f64 v[32:33], v[32:33], v[6:7], v[159:160]
	v_fma_f64 v[6:7], v[30:31], v[6:7], -v[8:9]
	v_add_f64_e32 v[40:41], v[34:35], v[157:158]
	v_add_f64_e32 v[157:158], v[36:37], v[167:168]
	ds_load_b128 v[2:5], v1 offset:1680
	ds_load_b128 v[34:37], v1 offset:1696
	s_wait_loadcnt_dscnt 0x401
	v_mul_f64_e32 v[163:164], v[2:3], v[12:13]
	v_mul_f64_e32 v[12:13], v[4:5], v[12:13]
	v_add_f64_e32 v[8:9], v[40:41], v[38:39]
	v_add_f64_e32 v[30:31], v[157:158], v[161:162]
	s_wait_loadcnt_dscnt 0x300
	v_mul_f64_e32 v[38:39], v[34:35], v[16:17]
	v_mul_f64_e32 v[16:17], v[36:37], v[16:17]
	v_fma_f64 v[40:41], v[4:5], v[10:11], v[163:164]
	v_fma_f64 v[10:11], v[2:3], v[10:11], -v[12:13]
	v_add_f64_e32 v[12:13], v[8:9], v[6:7]
	v_add_f64_e32 v[30:31], v[30:31], v[32:33]
	ds_load_b128 v[2:5], v1 offset:1712
	ds_load_b128 v[6:9], v1 offset:1728
	v_fma_f64 v[36:37], v[36:37], v[14:15], v[38:39]
	v_fma_f64 v[14:15], v[34:35], v[14:15], -v[16:17]
	s_wait_loadcnt_dscnt 0x201
	v_mul_f64_e32 v[32:33], v[2:3], v[20:21]
	v_mul_f64_e32 v[20:21], v[4:5], v[20:21]
	s_wait_loadcnt_dscnt 0x100
	v_mul_f64_e32 v[16:17], v[6:7], v[24:25]
	v_mul_f64_e32 v[24:25], v[8:9], v[24:25]
	v_add_f64_e32 v[10:11], v[12:13], v[10:11]
	v_add_f64_e32 v[12:13], v[30:31], v[40:41]
	v_fma_f64 v[30:31], v[4:5], v[18:19], v[32:33]
	v_fma_f64 v[18:19], v[2:3], v[18:19], -v[20:21]
	ds_load_b128 v[2:5], v1 offset:1744
	v_fma_f64 v[8:9], v[8:9], v[22:23], v[16:17]
	v_fma_f64 v[6:7], v[6:7], v[22:23], -v[24:25]
	v_add_f64_e32 v[10:11], v[10:11], v[14:15]
	v_add_f64_e32 v[12:13], v[12:13], v[36:37]
	s_wait_loadcnt_dscnt 0x0
	v_mul_f64_e32 v[14:15], v[2:3], v[28:29]
	v_mul_f64_e32 v[20:21], v[4:5], v[28:29]
	s_delay_alu instid0(VALU_DEP_4) | instskip(NEXT) | instid1(VALU_DEP_4)
	v_add_f64_e32 v[10:11], v[10:11], v[18:19]
	v_add_f64_e32 v[12:13], v[12:13], v[30:31]
	s_delay_alu instid0(VALU_DEP_4) | instskip(NEXT) | instid1(VALU_DEP_4)
	v_fma_f64 v[4:5], v[4:5], v[26:27], v[14:15]
	v_fma_f64 v[2:3], v[2:3], v[26:27], -v[20:21]
	s_delay_alu instid0(VALU_DEP_4) | instskip(NEXT) | instid1(VALU_DEP_4)
	v_add_f64_e32 v[6:7], v[10:11], v[6:7]
	v_add_f64_e32 v[8:9], v[12:13], v[8:9]
	s_delay_alu instid0(VALU_DEP_2) | instskip(NEXT) | instid1(VALU_DEP_2)
	v_add_f64_e32 v[2:3], v[6:7], v[2:3]
	v_add_f64_e32 v[4:5], v[8:9], v[4:5]
	s_delay_alu instid0(VALU_DEP_2) | instskip(NEXT) | instid1(VALU_DEP_2)
	v_add_f64_e64 v[2:3], v[42:43], -v[2:3]
	v_add_f64_e64 v[4:5], v[44:45], -v[4:5]
	scratch_store_b128 off, v[2:5], off offset:288
	v_cmpx_lt_u32_e32 16, v0
	s_cbranch_execz .LBB54_311
; %bb.310:
	scratch_load_b128 v[5:8], off, s52
	v_dual_mov_b32 v2, v1 :: v_dual_mov_b32 v3, v1
	v_mov_b32_e32 v4, v1
	scratch_store_b128 off, v[1:4], off offset:272
	s_wait_loadcnt 0x0
	ds_store_b128 v156, v[5:8]
.LBB54_311:
	s_wait_alu 0xfffe
	s_or_b32 exec_lo, exec_lo, s0
	s_wait_storecnt_dscnt 0x0
	s_barrier_signal -1
	s_barrier_wait -1
	global_inv scope:SCOPE_SE
	s_clause 0x8
	scratch_load_b128 v[2:5], off, off offset:288
	scratch_load_b128 v[6:9], off, off offset:304
	;; [unrolled: 1-line block ×9, first 2 shown]
	ds_load_b128 v[42:45], v1 offset:1152
	ds_load_b128 v[38:41], v1 offset:1168
	s_clause 0x1
	scratch_load_b128 v[157:160], off, off offset:272
	scratch_load_b128 v[161:164], off, off offset:432
	s_mov_b32 s0, exec_lo
	s_wait_loadcnt_dscnt 0xa01
	v_mul_f64_e32 v[165:166], v[44:45], v[4:5]
	v_mul_f64_e32 v[4:5], v[42:43], v[4:5]
	s_wait_loadcnt_dscnt 0x900
	v_mul_f64_e32 v[169:170], v[38:39], v[8:9]
	v_mul_f64_e32 v[8:9], v[40:41], v[8:9]
	s_delay_alu instid0(VALU_DEP_4) | instskip(NEXT) | instid1(VALU_DEP_4)
	v_fma_f64 v[171:172], v[42:43], v[2:3], -v[165:166]
	v_fma_f64 v[173:174], v[44:45], v[2:3], v[4:5]
	ds_load_b128 v[2:5], v1 offset:1184
	ds_load_b128 v[165:168], v1 offset:1200
	scratch_load_b128 v[42:45], off, off offset:448
	v_fma_f64 v[40:41], v[40:41], v[6:7], v[169:170]
	v_fma_f64 v[38:39], v[38:39], v[6:7], -v[8:9]
	scratch_load_b128 v[6:9], off, off offset:464
	s_wait_loadcnt_dscnt 0xa01
	v_mul_f64_e32 v[175:176], v[2:3], v[12:13]
	v_mul_f64_e32 v[12:13], v[4:5], v[12:13]
	v_add_f64_e32 v[169:170], 0, v[171:172]
	v_add_f64_e32 v[171:172], 0, v[173:174]
	s_wait_loadcnt_dscnt 0x900
	v_mul_f64_e32 v[173:174], v[165:166], v[16:17]
	v_mul_f64_e32 v[16:17], v[167:168], v[16:17]
	v_fma_f64 v[175:176], v[4:5], v[10:11], v[175:176]
	v_fma_f64 v[177:178], v[2:3], v[10:11], -v[12:13]
	ds_load_b128 v[2:5], v1 offset:1216
	scratch_load_b128 v[10:13], off, off offset:480
	v_add_f64_e32 v[169:170], v[169:170], v[38:39]
	v_add_f64_e32 v[171:172], v[171:172], v[40:41]
	ds_load_b128 v[38:41], v1 offset:1232
	v_fma_f64 v[167:168], v[167:168], v[14:15], v[173:174]
	v_fma_f64 v[165:166], v[165:166], v[14:15], -v[16:17]
	scratch_load_b128 v[14:17], off, off offset:496
	s_wait_loadcnt_dscnt 0xa01
	v_mul_f64_e32 v[179:180], v[2:3], v[20:21]
	v_mul_f64_e32 v[20:21], v[4:5], v[20:21]
	s_wait_loadcnt_dscnt 0x900
	v_mul_f64_e32 v[173:174], v[38:39], v[24:25]
	v_mul_f64_e32 v[24:25], v[40:41], v[24:25]
	v_add_f64_e32 v[169:170], v[169:170], v[177:178]
	v_add_f64_e32 v[171:172], v[171:172], v[175:176]
	v_fma_f64 v[175:176], v[4:5], v[18:19], v[179:180]
	v_fma_f64 v[177:178], v[2:3], v[18:19], -v[20:21]
	ds_load_b128 v[2:5], v1 offset:1248
	scratch_load_b128 v[18:21], off, off offset:512
	v_fma_f64 v[40:41], v[40:41], v[22:23], v[173:174]
	v_fma_f64 v[38:39], v[38:39], v[22:23], -v[24:25]
	scratch_load_b128 v[22:25], off, off offset:528
	v_add_f64_e32 v[169:170], v[169:170], v[165:166]
	v_add_f64_e32 v[171:172], v[171:172], v[167:168]
	ds_load_b128 v[165:168], v1 offset:1264
	s_wait_loadcnt_dscnt 0xa01
	v_mul_f64_e32 v[179:180], v[2:3], v[28:29]
	v_mul_f64_e32 v[28:29], v[4:5], v[28:29]
	s_wait_loadcnt_dscnt 0x900
	v_mul_f64_e32 v[173:174], v[165:166], v[32:33]
	v_mul_f64_e32 v[32:33], v[167:168], v[32:33]
	v_add_f64_e32 v[169:170], v[169:170], v[177:178]
	v_add_f64_e32 v[171:172], v[171:172], v[175:176]
	v_fma_f64 v[175:176], v[4:5], v[26:27], v[179:180]
	v_fma_f64 v[177:178], v[2:3], v[26:27], -v[28:29]
	ds_load_b128 v[2:5], v1 offset:1280
	scratch_load_b128 v[26:29], off, off offset:544
	v_fma_f64 v[167:168], v[167:168], v[30:31], v[173:174]
	v_fma_f64 v[165:166], v[165:166], v[30:31], -v[32:33]
	scratch_load_b128 v[30:33], off, off offset:560
	v_add_f64_e32 v[169:170], v[169:170], v[38:39]
	v_add_f64_e32 v[171:172], v[171:172], v[40:41]
	ds_load_b128 v[38:41], v1 offset:1296
	s_wait_loadcnt_dscnt 0xa01
	v_mul_f64_e32 v[179:180], v[2:3], v[36:37]
	v_mul_f64_e32 v[36:37], v[4:5], v[36:37]
	s_wait_loadcnt_dscnt 0x800
	v_mul_f64_e32 v[173:174], v[38:39], v[163:164]
	v_add_f64_e32 v[169:170], v[169:170], v[177:178]
	v_add_f64_e32 v[171:172], v[171:172], v[175:176]
	v_mul_f64_e32 v[175:176], v[40:41], v[163:164]
	v_fma_f64 v[177:178], v[4:5], v[34:35], v[179:180]
	v_fma_f64 v[179:180], v[2:3], v[34:35], -v[36:37]
	ds_load_b128 v[2:5], v1 offset:1312
	scratch_load_b128 v[34:37], off, off offset:576
	v_fma_f64 v[173:174], v[40:41], v[161:162], v[173:174]
	v_add_f64_e32 v[169:170], v[169:170], v[165:166]
	v_add_f64_e32 v[167:168], v[171:172], v[167:168]
	ds_load_b128 v[163:166], v1 offset:1328
	v_fma_f64 v[161:162], v[38:39], v[161:162], -v[175:176]
	scratch_load_b128 v[38:41], off, off offset:592
	s_wait_loadcnt_dscnt 0x901
	v_mul_f64_e32 v[171:172], v[2:3], v[44:45]
	v_mul_f64_e32 v[44:45], v[4:5], v[44:45]
	s_wait_loadcnt_dscnt 0x800
	v_mul_f64_e32 v[175:176], v[163:164], v[8:9]
	v_mul_f64_e32 v[8:9], v[165:166], v[8:9]
	v_add_f64_e32 v[169:170], v[169:170], v[179:180]
	v_add_f64_e32 v[167:168], v[167:168], v[177:178]
	v_fma_f64 v[171:172], v[4:5], v[42:43], v[171:172]
	v_fma_f64 v[177:178], v[2:3], v[42:43], -v[44:45]
	ds_load_b128 v[2:5], v1 offset:1344
	scratch_load_b128 v[42:45], off, off offset:608
	v_fma_f64 v[165:166], v[165:166], v[6:7], v[175:176]
	v_fma_f64 v[163:164], v[163:164], v[6:7], -v[8:9]
	scratch_load_b128 v[6:9], off, off offset:624
	v_add_f64_e32 v[161:162], v[169:170], v[161:162]
	v_add_f64_e32 v[173:174], v[167:168], v[173:174]
	ds_load_b128 v[167:170], v1 offset:1360
	s_wait_loadcnt_dscnt 0x901
	v_mul_f64_e32 v[179:180], v[2:3], v[12:13]
	v_mul_f64_e32 v[12:13], v[4:5], v[12:13]
	v_add_f64_e32 v[161:162], v[161:162], v[177:178]
	v_add_f64_e32 v[171:172], v[173:174], v[171:172]
	s_wait_loadcnt_dscnt 0x800
	v_mul_f64_e32 v[173:174], v[167:168], v[16:17]
	v_mul_f64_e32 v[16:17], v[169:170], v[16:17]
	v_fma_f64 v[175:176], v[4:5], v[10:11], v[179:180]
	v_fma_f64 v[177:178], v[2:3], v[10:11], -v[12:13]
	ds_load_b128 v[2:5], v1 offset:1376
	scratch_load_b128 v[10:13], off, off offset:640
	v_add_f64_e32 v[179:180], v[161:162], v[163:164]
	v_add_f64_e32 v[165:166], v[171:172], v[165:166]
	ds_load_b128 v[161:164], v1 offset:1392
	s_wait_loadcnt_dscnt 0x801
	v_mul_f64_e32 v[171:172], v[2:3], v[20:21]
	v_mul_f64_e32 v[20:21], v[4:5], v[20:21]
	v_fma_f64 v[169:170], v[169:170], v[14:15], v[173:174]
	v_fma_f64 v[167:168], v[167:168], v[14:15], -v[16:17]
	scratch_load_b128 v[14:17], off, off offset:656
	v_add_f64_e32 v[173:174], v[179:180], v[177:178]
	v_add_f64_e32 v[165:166], v[165:166], v[175:176]
	s_wait_loadcnt_dscnt 0x800
	v_mul_f64_e32 v[175:176], v[161:162], v[24:25]
	v_mul_f64_e32 v[24:25], v[163:164], v[24:25]
	v_fma_f64 v[171:172], v[4:5], v[18:19], v[171:172]
	v_fma_f64 v[177:178], v[2:3], v[18:19], -v[20:21]
	ds_load_b128 v[2:5], v1 offset:1408
	scratch_load_b128 v[18:21], off, off offset:672
	v_add_f64_e32 v[173:174], v[173:174], v[167:168]
	v_add_f64_e32 v[169:170], v[165:166], v[169:170]
	ds_load_b128 v[165:168], v1 offset:1424
	s_wait_loadcnt_dscnt 0x801
	v_mul_f64_e32 v[179:180], v[2:3], v[28:29]
	v_mul_f64_e32 v[28:29], v[4:5], v[28:29]
	v_fma_f64 v[163:164], v[163:164], v[22:23], v[175:176]
	v_fma_f64 v[161:162], v[161:162], v[22:23], -v[24:25]
	scratch_load_b128 v[22:25], off, off offset:688
	v_add_f64_e32 v[173:174], v[173:174], v[177:178]
	v_add_f64_e32 v[169:170], v[169:170], v[171:172]
	s_wait_loadcnt_dscnt 0x800
	v_mul_f64_e32 v[171:172], v[165:166], v[32:33]
	v_mul_f64_e32 v[32:33], v[167:168], v[32:33]
	v_fma_f64 v[175:176], v[4:5], v[26:27], v[179:180]
	v_fma_f64 v[177:178], v[2:3], v[26:27], -v[28:29]
	ds_load_b128 v[2:5], v1 offset:1440
	scratch_load_b128 v[26:29], off, off offset:704
	v_add_f64_e32 v[173:174], v[173:174], v[161:162]
	v_add_f64_e32 v[169:170], v[169:170], v[163:164]
	ds_load_b128 v[161:164], v1 offset:1456
	s_wait_loadcnt_dscnt 0x801
	v_mul_f64_e32 v[179:180], v[2:3], v[36:37]
	v_mul_f64_e32 v[36:37], v[4:5], v[36:37]
	v_fma_f64 v[167:168], v[167:168], v[30:31], v[171:172]
	v_fma_f64 v[165:166], v[165:166], v[30:31], -v[32:33]
	scratch_load_b128 v[30:33], off, off offset:720
	v_add_f64_e32 v[171:172], v[173:174], v[177:178]
	v_add_f64_e32 v[169:170], v[169:170], v[175:176]
	s_wait_loadcnt_dscnt 0x800
	v_mul_f64_e32 v[173:174], v[161:162], v[40:41]
	v_mul_f64_e32 v[40:41], v[163:164], v[40:41]
	v_fma_f64 v[175:176], v[4:5], v[34:35], v[179:180]
	v_fma_f64 v[177:178], v[2:3], v[34:35], -v[36:37]
	ds_load_b128 v[2:5], v1 offset:1472
	scratch_load_b128 v[34:37], off, off offset:736
	v_add_f64_e32 v[171:172], v[171:172], v[165:166]
	v_add_f64_e32 v[169:170], v[169:170], v[167:168]
	ds_load_b128 v[165:168], v1 offset:1488
	s_wait_loadcnt_dscnt 0x801
	v_mul_f64_e32 v[179:180], v[2:3], v[44:45]
	v_mul_f64_e32 v[44:45], v[4:5], v[44:45]
	v_fma_f64 v[163:164], v[163:164], v[38:39], v[173:174]
	v_fma_f64 v[161:162], v[161:162], v[38:39], -v[40:41]
	scratch_load_b128 v[38:41], off, off offset:752
	s_wait_loadcnt_dscnt 0x800
	v_mul_f64_e32 v[173:174], v[165:166], v[8:9]
	v_mul_f64_e32 v[8:9], v[167:168], v[8:9]
	v_add_f64_e32 v[171:172], v[171:172], v[177:178]
	v_add_f64_e32 v[169:170], v[169:170], v[175:176]
	v_fma_f64 v[175:176], v[4:5], v[42:43], v[179:180]
	v_fma_f64 v[177:178], v[2:3], v[42:43], -v[44:45]
	ds_load_b128 v[2:5], v1 offset:1504
	scratch_load_b128 v[42:45], off, off offset:768
	v_fma_f64 v[167:168], v[167:168], v[6:7], v[173:174]
	v_fma_f64 v[165:166], v[165:166], v[6:7], -v[8:9]
	scratch_load_b128 v[6:9], off, off offset:784
	v_add_f64_e32 v[171:172], v[171:172], v[161:162]
	v_add_f64_e32 v[169:170], v[169:170], v[163:164]
	ds_load_b128 v[161:164], v1 offset:1520
	s_wait_loadcnt_dscnt 0x901
	v_mul_f64_e32 v[179:180], v[2:3], v[12:13]
	v_mul_f64_e32 v[12:13], v[4:5], v[12:13]
	s_wait_loadcnt_dscnt 0x800
	v_mul_f64_e32 v[173:174], v[161:162], v[16:17]
	v_mul_f64_e32 v[16:17], v[163:164], v[16:17]
	v_add_f64_e32 v[171:172], v[171:172], v[177:178]
	v_add_f64_e32 v[169:170], v[169:170], v[175:176]
	v_fma_f64 v[175:176], v[4:5], v[10:11], v[179:180]
	v_fma_f64 v[177:178], v[2:3], v[10:11], -v[12:13]
	ds_load_b128 v[2:5], v1 offset:1536
	scratch_load_b128 v[10:13], off, off offset:800
	v_fma_f64 v[163:164], v[163:164], v[14:15], v[173:174]
	v_fma_f64 v[161:162], v[161:162], v[14:15], -v[16:17]
	scratch_load_b128 v[14:17], off, off offset:816
	v_add_f64_e32 v[171:172], v[171:172], v[165:166]
	v_add_f64_e32 v[169:170], v[169:170], v[167:168]
	ds_load_b128 v[165:168], v1 offset:1552
	s_wait_loadcnt_dscnt 0x901
	v_mul_f64_e32 v[179:180], v[2:3], v[20:21]
	v_mul_f64_e32 v[20:21], v[4:5], v[20:21]
	;; [unrolled: 18-line block ×4, first 2 shown]
	s_wait_loadcnt_dscnt 0x800
	v_mul_f64_e32 v[173:174], v[165:166], v[40:41]
	v_mul_f64_e32 v[40:41], v[167:168], v[40:41]
	v_add_f64_e32 v[171:172], v[171:172], v[177:178]
	v_add_f64_e32 v[169:170], v[169:170], v[175:176]
	v_fma_f64 v[175:176], v[4:5], v[34:35], v[179:180]
	v_fma_f64 v[177:178], v[2:3], v[34:35], -v[36:37]
	ds_load_b128 v[2:5], v1 offset:1632
	ds_load_b128 v[34:37], v1 offset:1648
	v_fma_f64 v[167:168], v[167:168], v[38:39], v[173:174]
	v_fma_f64 v[38:39], v[165:166], v[38:39], -v[40:41]
	v_add_f64_e32 v[161:162], v[171:172], v[161:162]
	v_add_f64_e32 v[163:164], v[169:170], v[163:164]
	s_wait_loadcnt_dscnt 0x701
	v_mul_f64_e32 v[169:170], v[2:3], v[44:45]
	v_mul_f64_e32 v[44:45], v[4:5], v[44:45]
	s_delay_alu instid0(VALU_DEP_4) | instskip(NEXT) | instid1(VALU_DEP_4)
	v_add_f64_e32 v[40:41], v[161:162], v[177:178]
	v_add_f64_e32 v[161:162], v[163:164], v[175:176]
	s_wait_loadcnt_dscnt 0x600
	v_mul_f64_e32 v[163:164], v[34:35], v[8:9]
	v_mul_f64_e32 v[8:9], v[36:37], v[8:9]
	v_fma_f64 v[165:166], v[4:5], v[42:43], v[169:170]
	v_fma_f64 v[42:43], v[2:3], v[42:43], -v[44:45]
	v_add_f64_e32 v[44:45], v[40:41], v[38:39]
	v_add_f64_e32 v[161:162], v[161:162], v[167:168]
	ds_load_b128 v[2:5], v1 offset:1664
	ds_load_b128 v[38:41], v1 offset:1680
	v_fma_f64 v[36:37], v[36:37], v[6:7], v[163:164]
	v_fma_f64 v[6:7], v[34:35], v[6:7], -v[8:9]
	s_wait_loadcnt_dscnt 0x501
	v_mul_f64_e32 v[167:168], v[2:3], v[12:13]
	v_mul_f64_e32 v[12:13], v[4:5], v[12:13]
	v_add_f64_e32 v[8:9], v[44:45], v[42:43]
	v_add_f64_e32 v[34:35], v[161:162], v[165:166]
	s_wait_loadcnt_dscnt 0x400
	v_mul_f64_e32 v[42:43], v[38:39], v[16:17]
	v_mul_f64_e32 v[16:17], v[40:41], v[16:17]
	v_fma_f64 v[44:45], v[4:5], v[10:11], v[167:168]
	v_fma_f64 v[10:11], v[2:3], v[10:11], -v[12:13]
	v_add_f64_e32 v[12:13], v[8:9], v[6:7]
	v_add_f64_e32 v[34:35], v[34:35], v[36:37]
	ds_load_b128 v[2:5], v1 offset:1696
	ds_load_b128 v[6:9], v1 offset:1712
	v_fma_f64 v[40:41], v[40:41], v[14:15], v[42:43]
	v_fma_f64 v[14:15], v[38:39], v[14:15], -v[16:17]
	s_wait_loadcnt_dscnt 0x301
	v_mul_f64_e32 v[36:37], v[2:3], v[20:21]
	v_mul_f64_e32 v[20:21], v[4:5], v[20:21]
	s_wait_loadcnt_dscnt 0x200
	v_mul_f64_e32 v[16:17], v[6:7], v[24:25]
	v_mul_f64_e32 v[24:25], v[8:9], v[24:25]
	v_add_f64_e32 v[10:11], v[12:13], v[10:11]
	v_add_f64_e32 v[12:13], v[34:35], v[44:45]
	v_fma_f64 v[34:35], v[4:5], v[18:19], v[36:37]
	v_fma_f64 v[18:19], v[2:3], v[18:19], -v[20:21]
	v_fma_f64 v[8:9], v[8:9], v[22:23], v[16:17]
	v_fma_f64 v[6:7], v[6:7], v[22:23], -v[24:25]
	v_add_f64_e32 v[14:15], v[10:11], v[14:15]
	v_add_f64_e32 v[20:21], v[12:13], v[40:41]
	ds_load_b128 v[2:5], v1 offset:1728
	ds_load_b128 v[10:13], v1 offset:1744
	s_wait_loadcnt_dscnt 0x101
	v_mul_f64_e32 v[36:37], v[2:3], v[28:29]
	v_mul_f64_e32 v[28:29], v[4:5], v[28:29]
	v_add_f64_e32 v[14:15], v[14:15], v[18:19]
	v_add_f64_e32 v[16:17], v[20:21], v[34:35]
	s_wait_loadcnt_dscnt 0x0
	v_mul_f64_e32 v[18:19], v[10:11], v[32:33]
	v_mul_f64_e32 v[20:21], v[12:13], v[32:33]
	v_fma_f64 v[4:5], v[4:5], v[26:27], v[36:37]
	v_fma_f64 v[1:2], v[2:3], v[26:27], -v[28:29]
	v_add_f64_e32 v[6:7], v[14:15], v[6:7]
	v_add_f64_e32 v[8:9], v[16:17], v[8:9]
	v_fma_f64 v[12:13], v[12:13], v[30:31], v[18:19]
	v_fma_f64 v[10:11], v[10:11], v[30:31], -v[20:21]
	s_delay_alu instid0(VALU_DEP_4) | instskip(NEXT) | instid1(VALU_DEP_4)
	v_add_f64_e32 v[1:2], v[6:7], v[1:2]
	v_add_f64_e32 v[3:4], v[8:9], v[4:5]
	s_delay_alu instid0(VALU_DEP_2) | instskip(NEXT) | instid1(VALU_DEP_2)
	v_add_f64_e32 v[1:2], v[1:2], v[10:11]
	v_add_f64_e32 v[3:4], v[3:4], v[12:13]
	s_delay_alu instid0(VALU_DEP_2) | instskip(NEXT) | instid1(VALU_DEP_2)
	v_add_f64_e64 v[1:2], v[157:158], -v[1:2]
	v_add_f64_e64 v[3:4], v[159:160], -v[3:4]
	scratch_store_b128 off, v[1:4], off offset:272
	v_cmpx_lt_u32_e32 15, v0
	s_cbranch_execz .LBB54_313
; %bb.312:
	scratch_load_b128 v[1:4], off, s53
	v_mov_b32_e32 v5, 0
	s_delay_alu instid0(VALU_DEP_1)
	v_dual_mov_b32 v6, v5 :: v_dual_mov_b32 v7, v5
	v_mov_b32_e32 v8, v5
	scratch_store_b128 off, v[5:8], off offset:256
	s_wait_loadcnt 0x0
	ds_store_b128 v156, v[1:4]
.LBB54_313:
	s_wait_alu 0xfffe
	s_or_b32 exec_lo, exec_lo, s0
	s_wait_storecnt_dscnt 0x0
	s_barrier_signal -1
	s_barrier_wait -1
	global_inv scope:SCOPE_SE
	s_clause 0x7
	scratch_load_b128 v[2:5], off, off offset:272
	scratch_load_b128 v[6:9], off, off offset:288
	;; [unrolled: 1-line block ×8, first 2 shown]
	v_mov_b32_e32 v1, 0
	s_mov_b32 s0, exec_lo
	ds_load_b128 v[38:41], v1 offset:1136
	s_clause 0x1
	scratch_load_b128 v[34:37], off, off offset:400
	scratch_load_b128 v[42:45], off, off offset:256
	ds_load_b128 v[157:160], v1 offset:1152
	scratch_load_b128 v[161:164], off, off offset:416
	s_wait_loadcnt_dscnt 0xa01
	v_mul_f64_e32 v[165:166], v[40:41], v[4:5]
	v_mul_f64_e32 v[4:5], v[38:39], v[4:5]
	s_delay_alu instid0(VALU_DEP_2) | instskip(NEXT) | instid1(VALU_DEP_2)
	v_fma_f64 v[171:172], v[38:39], v[2:3], -v[165:166]
	v_fma_f64 v[173:174], v[40:41], v[2:3], v[4:5]
	ds_load_b128 v[2:5], v1 offset:1168
	s_wait_loadcnt_dscnt 0x901
	v_mul_f64_e32 v[169:170], v[157:158], v[8:9]
	v_mul_f64_e32 v[8:9], v[159:160], v[8:9]
	scratch_load_b128 v[38:41], off, off offset:432
	ds_load_b128 v[165:168], v1 offset:1184
	s_wait_loadcnt_dscnt 0x901
	v_mul_f64_e32 v[175:176], v[2:3], v[12:13]
	v_mul_f64_e32 v[12:13], v[4:5], v[12:13]
	v_fma_f64 v[159:160], v[159:160], v[6:7], v[169:170]
	v_fma_f64 v[157:158], v[157:158], v[6:7], -v[8:9]
	v_add_f64_e32 v[169:170], 0, v[171:172]
	v_add_f64_e32 v[171:172], 0, v[173:174]
	scratch_load_b128 v[6:9], off, off offset:448
	v_fma_f64 v[175:176], v[4:5], v[10:11], v[175:176]
	v_fma_f64 v[177:178], v[2:3], v[10:11], -v[12:13]
	ds_load_b128 v[2:5], v1 offset:1200
	s_wait_loadcnt_dscnt 0x901
	v_mul_f64_e32 v[173:174], v[165:166], v[16:17]
	v_mul_f64_e32 v[16:17], v[167:168], v[16:17]
	scratch_load_b128 v[10:13], off, off offset:464
	v_add_f64_e32 v[169:170], v[169:170], v[157:158]
	v_add_f64_e32 v[171:172], v[171:172], v[159:160]
	s_wait_loadcnt_dscnt 0x900
	v_mul_f64_e32 v[179:180], v[2:3], v[20:21]
	v_mul_f64_e32 v[20:21], v[4:5], v[20:21]
	ds_load_b128 v[157:160], v1 offset:1216
	v_fma_f64 v[167:168], v[167:168], v[14:15], v[173:174]
	v_fma_f64 v[165:166], v[165:166], v[14:15], -v[16:17]
	scratch_load_b128 v[14:17], off, off offset:480
	v_add_f64_e32 v[169:170], v[169:170], v[177:178]
	v_add_f64_e32 v[171:172], v[171:172], v[175:176]
	v_fma_f64 v[175:176], v[4:5], v[18:19], v[179:180]
	v_fma_f64 v[177:178], v[2:3], v[18:19], -v[20:21]
	ds_load_b128 v[2:5], v1 offset:1232
	s_wait_loadcnt_dscnt 0x901
	v_mul_f64_e32 v[173:174], v[157:158], v[24:25]
	v_mul_f64_e32 v[24:25], v[159:160], v[24:25]
	scratch_load_b128 v[18:21], off, off offset:496
	s_wait_loadcnt_dscnt 0x900
	v_mul_f64_e32 v[179:180], v[2:3], v[28:29]
	v_mul_f64_e32 v[28:29], v[4:5], v[28:29]
	v_add_f64_e32 v[169:170], v[169:170], v[165:166]
	v_add_f64_e32 v[171:172], v[171:172], v[167:168]
	ds_load_b128 v[165:168], v1 offset:1248
	v_fma_f64 v[159:160], v[159:160], v[22:23], v[173:174]
	v_fma_f64 v[157:158], v[157:158], v[22:23], -v[24:25]
	scratch_load_b128 v[22:25], off, off offset:512
	v_add_f64_e32 v[169:170], v[169:170], v[177:178]
	v_add_f64_e32 v[171:172], v[171:172], v[175:176]
	v_fma_f64 v[175:176], v[4:5], v[26:27], v[179:180]
	v_fma_f64 v[177:178], v[2:3], v[26:27], -v[28:29]
	ds_load_b128 v[2:5], v1 offset:1264
	s_wait_loadcnt_dscnt 0x901
	v_mul_f64_e32 v[173:174], v[165:166], v[32:33]
	v_mul_f64_e32 v[32:33], v[167:168], v[32:33]
	scratch_load_b128 v[26:29], off, off offset:528
	s_wait_loadcnt_dscnt 0x900
	v_mul_f64_e32 v[179:180], v[2:3], v[36:37]
	v_mul_f64_e32 v[36:37], v[4:5], v[36:37]
	v_add_f64_e32 v[169:170], v[169:170], v[157:158]
	v_add_f64_e32 v[171:172], v[171:172], v[159:160]
	ds_load_b128 v[157:160], v1 offset:1280
	v_fma_f64 v[167:168], v[167:168], v[30:31], v[173:174]
	v_fma_f64 v[165:166], v[165:166], v[30:31], -v[32:33]
	scratch_load_b128 v[30:33], off, off offset:544
	v_add_f64_e32 v[169:170], v[169:170], v[177:178]
	v_add_f64_e32 v[171:172], v[171:172], v[175:176]
	v_fma_f64 v[177:178], v[4:5], v[34:35], v[179:180]
	v_fma_f64 v[179:180], v[2:3], v[34:35], -v[36:37]
	ds_load_b128 v[2:5], v1 offset:1296
	s_wait_loadcnt_dscnt 0x801
	v_mul_f64_e32 v[173:174], v[157:158], v[163:164]
	v_mul_f64_e32 v[175:176], v[159:160], v[163:164]
	scratch_load_b128 v[34:37], off, off offset:560
	v_add_f64_e32 v[169:170], v[169:170], v[165:166]
	v_add_f64_e32 v[167:168], v[171:172], v[167:168]
	ds_load_b128 v[163:166], v1 offset:1312
	v_fma_f64 v[173:174], v[159:160], v[161:162], v[173:174]
	v_fma_f64 v[161:162], v[157:158], v[161:162], -v[175:176]
	scratch_load_b128 v[157:160], off, off offset:576
	s_wait_loadcnt_dscnt 0x901
	v_mul_f64_e32 v[171:172], v[2:3], v[40:41]
	v_mul_f64_e32 v[40:41], v[4:5], v[40:41]
	v_add_f64_e32 v[169:170], v[169:170], v[179:180]
	v_add_f64_e32 v[167:168], v[167:168], v[177:178]
	s_delay_alu instid0(VALU_DEP_4) | instskip(NEXT) | instid1(VALU_DEP_4)
	v_fma_f64 v[171:172], v[4:5], v[38:39], v[171:172]
	v_fma_f64 v[177:178], v[2:3], v[38:39], -v[40:41]
	ds_load_b128 v[2:5], v1 offset:1328
	s_wait_loadcnt_dscnt 0x801
	v_mul_f64_e32 v[175:176], v[163:164], v[8:9]
	v_mul_f64_e32 v[8:9], v[165:166], v[8:9]
	scratch_load_b128 v[38:41], off, off offset:592
	s_wait_loadcnt_dscnt 0x800
	v_mul_f64_e32 v[179:180], v[2:3], v[12:13]
	v_add_f64_e32 v[161:162], v[169:170], v[161:162]
	v_add_f64_e32 v[173:174], v[167:168], v[173:174]
	v_mul_f64_e32 v[12:13], v[4:5], v[12:13]
	ds_load_b128 v[167:170], v1 offset:1344
	v_fma_f64 v[165:166], v[165:166], v[6:7], v[175:176]
	v_fma_f64 v[163:164], v[163:164], v[6:7], -v[8:9]
	scratch_load_b128 v[6:9], off, off offset:608
	v_fma_f64 v[175:176], v[4:5], v[10:11], v[179:180]
	v_add_f64_e32 v[161:162], v[161:162], v[177:178]
	v_add_f64_e32 v[171:172], v[173:174], v[171:172]
	v_fma_f64 v[177:178], v[2:3], v[10:11], -v[12:13]
	ds_load_b128 v[2:5], v1 offset:1360
	s_wait_loadcnt_dscnt 0x801
	v_mul_f64_e32 v[173:174], v[167:168], v[16:17]
	v_mul_f64_e32 v[16:17], v[169:170], v[16:17]
	scratch_load_b128 v[10:13], off, off offset:624
	v_add_f64_e32 v[179:180], v[161:162], v[163:164]
	v_add_f64_e32 v[165:166], v[171:172], v[165:166]
	s_wait_loadcnt_dscnt 0x800
	v_mul_f64_e32 v[171:172], v[2:3], v[20:21]
	v_mul_f64_e32 v[20:21], v[4:5], v[20:21]
	v_fma_f64 v[169:170], v[169:170], v[14:15], v[173:174]
	v_fma_f64 v[167:168], v[167:168], v[14:15], -v[16:17]
	ds_load_b128 v[161:164], v1 offset:1376
	scratch_load_b128 v[14:17], off, off offset:640
	v_add_f64_e32 v[173:174], v[179:180], v[177:178]
	v_add_f64_e32 v[165:166], v[165:166], v[175:176]
	v_fma_f64 v[171:172], v[4:5], v[18:19], v[171:172]
	v_fma_f64 v[177:178], v[2:3], v[18:19], -v[20:21]
	ds_load_b128 v[2:5], v1 offset:1392
	s_wait_loadcnt_dscnt 0x801
	v_mul_f64_e32 v[175:176], v[161:162], v[24:25]
	v_mul_f64_e32 v[24:25], v[163:164], v[24:25]
	scratch_load_b128 v[18:21], off, off offset:656
	s_wait_loadcnt_dscnt 0x800
	v_mul_f64_e32 v[179:180], v[2:3], v[28:29]
	v_mul_f64_e32 v[28:29], v[4:5], v[28:29]
	v_add_f64_e32 v[173:174], v[173:174], v[167:168]
	v_add_f64_e32 v[169:170], v[165:166], v[169:170]
	ds_load_b128 v[165:168], v1 offset:1408
	v_fma_f64 v[163:164], v[163:164], v[22:23], v[175:176]
	v_fma_f64 v[161:162], v[161:162], v[22:23], -v[24:25]
	scratch_load_b128 v[22:25], off, off offset:672
	v_fma_f64 v[175:176], v[4:5], v[26:27], v[179:180]
	v_add_f64_e32 v[173:174], v[173:174], v[177:178]
	v_add_f64_e32 v[169:170], v[169:170], v[171:172]
	v_fma_f64 v[177:178], v[2:3], v[26:27], -v[28:29]
	ds_load_b128 v[2:5], v1 offset:1424
	s_wait_loadcnt_dscnt 0x801
	v_mul_f64_e32 v[171:172], v[165:166], v[32:33]
	v_mul_f64_e32 v[32:33], v[167:168], v[32:33]
	scratch_load_b128 v[26:29], off, off offset:688
	s_wait_loadcnt_dscnt 0x800
	v_mul_f64_e32 v[179:180], v[2:3], v[36:37]
	v_mul_f64_e32 v[36:37], v[4:5], v[36:37]
	v_add_f64_e32 v[173:174], v[173:174], v[161:162]
	v_add_f64_e32 v[169:170], v[169:170], v[163:164]
	ds_load_b128 v[161:164], v1 offset:1440
	v_fma_f64 v[167:168], v[167:168], v[30:31], v[171:172]
	v_fma_f64 v[165:166], v[165:166], v[30:31], -v[32:33]
	scratch_load_b128 v[30:33], off, off offset:704
	v_add_f64_e32 v[171:172], v[173:174], v[177:178]
	v_add_f64_e32 v[169:170], v[169:170], v[175:176]
	v_fma_f64 v[175:176], v[4:5], v[34:35], v[179:180]
	v_fma_f64 v[177:178], v[2:3], v[34:35], -v[36:37]
	ds_load_b128 v[2:5], v1 offset:1456
	s_wait_loadcnt_dscnt 0x801
	v_mul_f64_e32 v[173:174], v[161:162], v[159:160]
	v_mul_f64_e32 v[159:160], v[163:164], v[159:160]
	scratch_load_b128 v[34:37], off, off offset:720
	s_wait_loadcnt_dscnt 0x800
	v_mul_f64_e32 v[179:180], v[2:3], v[40:41]
	v_mul_f64_e32 v[40:41], v[4:5], v[40:41]
	v_add_f64_e32 v[171:172], v[171:172], v[165:166]
	v_add_f64_e32 v[169:170], v[169:170], v[167:168]
	ds_load_b128 v[165:168], v1 offset:1472
	v_fma_f64 v[163:164], v[163:164], v[157:158], v[173:174]
	v_fma_f64 v[161:162], v[161:162], v[157:158], -v[159:160]
	scratch_load_b128 v[157:160], off, off offset:736
	v_add_f64_e32 v[171:172], v[171:172], v[177:178]
	v_add_f64_e32 v[169:170], v[169:170], v[175:176]
	v_fma_f64 v[175:176], v[4:5], v[38:39], v[179:180]
	;; [unrolled: 18-line block ×6, first 2 shown]
	v_fma_f64 v[179:180], v[2:3], v[34:35], -v[36:37]
	ds_load_b128 v[2:5], v1 offset:1616
	s_wait_loadcnt_dscnt 0x801
	v_mul_f64_e32 v[173:174], v[165:166], v[159:160]
	v_mul_f64_e32 v[175:176], v[167:168], v[159:160]
	scratch_load_b128 v[34:37], off, off offset:880
	v_add_f64_e32 v[171:172], v[171:172], v[161:162]
	v_add_f64_e32 v[163:164], v[169:170], v[163:164]
	s_wait_loadcnt_dscnt 0x800
	v_mul_f64_e32 v[169:170], v[2:3], v[40:41]
	v_mul_f64_e32 v[40:41], v[4:5], v[40:41]
	ds_load_b128 v[159:162], v1 offset:1632
	v_fma_f64 v[167:168], v[167:168], v[157:158], v[173:174]
	v_fma_f64 v[157:158], v[165:166], v[157:158], -v[175:176]
	v_add_f64_e32 v[165:166], v[171:172], v[179:180]
	v_add_f64_e32 v[163:164], v[163:164], v[177:178]
	s_wait_loadcnt_dscnt 0x700
	v_mul_f64_e32 v[171:172], v[159:160], v[8:9]
	v_mul_f64_e32 v[8:9], v[161:162], v[8:9]
	v_fma_f64 v[169:170], v[4:5], v[38:39], v[169:170]
	v_fma_f64 v[173:174], v[2:3], v[38:39], -v[40:41]
	ds_load_b128 v[2:5], v1 offset:1648
	ds_load_b128 v[38:41], v1 offset:1664
	v_add_f64_e32 v[157:158], v[165:166], v[157:158]
	v_add_f64_e32 v[163:164], v[163:164], v[167:168]
	s_wait_loadcnt_dscnt 0x601
	v_mul_f64_e32 v[165:166], v[2:3], v[12:13]
	v_mul_f64_e32 v[12:13], v[4:5], v[12:13]
	v_fma_f64 v[161:162], v[161:162], v[6:7], v[171:172]
	v_fma_f64 v[6:7], v[159:160], v[6:7], -v[8:9]
	s_wait_loadcnt_dscnt 0x500
	v_mul_f64_e32 v[159:160], v[38:39], v[16:17]
	v_mul_f64_e32 v[16:17], v[40:41], v[16:17]
	v_add_f64_e32 v[8:9], v[157:158], v[173:174]
	v_add_f64_e32 v[157:158], v[163:164], v[169:170]
	v_fma_f64 v[163:164], v[4:5], v[10:11], v[165:166]
	v_fma_f64 v[10:11], v[2:3], v[10:11], -v[12:13]
	v_fma_f64 v[40:41], v[40:41], v[14:15], v[159:160]
	v_fma_f64 v[14:15], v[38:39], v[14:15], -v[16:17]
	v_add_f64_e32 v[12:13], v[8:9], v[6:7]
	v_add_f64_e32 v[157:158], v[157:158], v[161:162]
	ds_load_b128 v[2:5], v1 offset:1680
	ds_load_b128 v[6:9], v1 offset:1696
	s_wait_loadcnt_dscnt 0x401
	v_mul_f64_e32 v[161:162], v[2:3], v[20:21]
	v_mul_f64_e32 v[20:21], v[4:5], v[20:21]
	s_wait_loadcnt_dscnt 0x300
	v_mul_f64_e32 v[16:17], v[6:7], v[24:25]
	v_mul_f64_e32 v[24:25], v[8:9], v[24:25]
	v_add_f64_e32 v[10:11], v[12:13], v[10:11]
	v_add_f64_e32 v[12:13], v[157:158], v[163:164]
	v_fma_f64 v[38:39], v[4:5], v[18:19], v[161:162]
	v_fma_f64 v[18:19], v[2:3], v[18:19], -v[20:21]
	v_fma_f64 v[8:9], v[8:9], v[22:23], v[16:17]
	v_fma_f64 v[6:7], v[6:7], v[22:23], -v[24:25]
	v_add_f64_e32 v[14:15], v[10:11], v[14:15]
	v_add_f64_e32 v[20:21], v[12:13], v[40:41]
	ds_load_b128 v[2:5], v1 offset:1712
	ds_load_b128 v[10:13], v1 offset:1728
	s_wait_loadcnt_dscnt 0x201
	v_mul_f64_e32 v[40:41], v[2:3], v[28:29]
	v_mul_f64_e32 v[28:29], v[4:5], v[28:29]
	v_add_f64_e32 v[14:15], v[14:15], v[18:19]
	v_add_f64_e32 v[16:17], v[20:21], v[38:39]
	s_wait_loadcnt_dscnt 0x100
	v_mul_f64_e32 v[18:19], v[10:11], v[32:33]
	v_mul_f64_e32 v[20:21], v[12:13], v[32:33]
	v_fma_f64 v[22:23], v[4:5], v[26:27], v[40:41]
	v_fma_f64 v[24:25], v[2:3], v[26:27], -v[28:29]
	ds_load_b128 v[2:5], v1 offset:1744
	v_add_f64_e32 v[6:7], v[14:15], v[6:7]
	v_add_f64_e32 v[8:9], v[16:17], v[8:9]
	v_fma_f64 v[12:13], v[12:13], v[30:31], v[18:19]
	v_fma_f64 v[10:11], v[10:11], v[30:31], -v[20:21]
	s_wait_loadcnt_dscnt 0x0
	v_mul_f64_e32 v[14:15], v[2:3], v[36:37]
	v_mul_f64_e32 v[16:17], v[4:5], v[36:37]
	v_add_f64_e32 v[6:7], v[6:7], v[24:25]
	v_add_f64_e32 v[8:9], v[8:9], v[22:23]
	s_delay_alu instid0(VALU_DEP_4) | instskip(NEXT) | instid1(VALU_DEP_4)
	v_fma_f64 v[4:5], v[4:5], v[34:35], v[14:15]
	v_fma_f64 v[2:3], v[2:3], v[34:35], -v[16:17]
	s_delay_alu instid0(VALU_DEP_4) | instskip(NEXT) | instid1(VALU_DEP_4)
	v_add_f64_e32 v[6:7], v[6:7], v[10:11]
	v_add_f64_e32 v[8:9], v[8:9], v[12:13]
	s_delay_alu instid0(VALU_DEP_2) | instskip(NEXT) | instid1(VALU_DEP_2)
	v_add_f64_e32 v[2:3], v[6:7], v[2:3]
	v_add_f64_e32 v[4:5], v[8:9], v[4:5]
	s_delay_alu instid0(VALU_DEP_2) | instskip(NEXT) | instid1(VALU_DEP_2)
	v_add_f64_e64 v[2:3], v[42:43], -v[2:3]
	v_add_f64_e64 v[4:5], v[44:45], -v[4:5]
	scratch_store_b128 off, v[2:5], off offset:256
	v_cmpx_lt_u32_e32 14, v0
	s_cbranch_execz .LBB54_315
; %bb.314:
	scratch_load_b128 v[5:8], off, s54
	v_dual_mov_b32 v2, v1 :: v_dual_mov_b32 v3, v1
	v_mov_b32_e32 v4, v1
	scratch_store_b128 off, v[1:4], off offset:240
	s_wait_loadcnt 0x0
	ds_store_b128 v156, v[5:8]
.LBB54_315:
	s_wait_alu 0xfffe
	s_or_b32 exec_lo, exec_lo, s0
	s_wait_storecnt_dscnt 0x0
	s_barrier_signal -1
	s_barrier_wait -1
	global_inv scope:SCOPE_SE
	s_clause 0x8
	scratch_load_b128 v[2:5], off, off offset:256
	scratch_load_b128 v[6:9], off, off offset:272
	;; [unrolled: 1-line block ×9, first 2 shown]
	ds_load_b128 v[42:45], v1 offset:1120
	ds_load_b128 v[38:41], v1 offset:1136
	s_clause 0x1
	scratch_load_b128 v[157:160], off, off offset:240
	scratch_load_b128 v[161:164], off, off offset:400
	s_mov_b32 s0, exec_lo
	s_wait_loadcnt_dscnt 0xa01
	v_mul_f64_e32 v[165:166], v[44:45], v[4:5]
	v_mul_f64_e32 v[4:5], v[42:43], v[4:5]
	s_wait_loadcnt_dscnt 0x900
	v_mul_f64_e32 v[169:170], v[38:39], v[8:9]
	v_mul_f64_e32 v[8:9], v[40:41], v[8:9]
	s_delay_alu instid0(VALU_DEP_4) | instskip(NEXT) | instid1(VALU_DEP_4)
	v_fma_f64 v[171:172], v[42:43], v[2:3], -v[165:166]
	v_fma_f64 v[173:174], v[44:45], v[2:3], v[4:5]
	ds_load_b128 v[2:5], v1 offset:1152
	ds_load_b128 v[165:168], v1 offset:1168
	scratch_load_b128 v[42:45], off, off offset:416
	v_fma_f64 v[40:41], v[40:41], v[6:7], v[169:170]
	v_fma_f64 v[38:39], v[38:39], v[6:7], -v[8:9]
	scratch_load_b128 v[6:9], off, off offset:432
	s_wait_loadcnt_dscnt 0xa01
	v_mul_f64_e32 v[175:176], v[2:3], v[12:13]
	v_mul_f64_e32 v[12:13], v[4:5], v[12:13]
	v_add_f64_e32 v[169:170], 0, v[171:172]
	v_add_f64_e32 v[171:172], 0, v[173:174]
	s_wait_loadcnt_dscnt 0x900
	v_mul_f64_e32 v[173:174], v[165:166], v[16:17]
	v_mul_f64_e32 v[16:17], v[167:168], v[16:17]
	v_fma_f64 v[175:176], v[4:5], v[10:11], v[175:176]
	v_fma_f64 v[177:178], v[2:3], v[10:11], -v[12:13]
	ds_load_b128 v[2:5], v1 offset:1184
	scratch_load_b128 v[10:13], off, off offset:448
	v_add_f64_e32 v[169:170], v[169:170], v[38:39]
	v_add_f64_e32 v[171:172], v[171:172], v[40:41]
	ds_load_b128 v[38:41], v1 offset:1200
	v_fma_f64 v[167:168], v[167:168], v[14:15], v[173:174]
	v_fma_f64 v[165:166], v[165:166], v[14:15], -v[16:17]
	scratch_load_b128 v[14:17], off, off offset:464
	s_wait_loadcnt_dscnt 0xa01
	v_mul_f64_e32 v[179:180], v[2:3], v[20:21]
	v_mul_f64_e32 v[20:21], v[4:5], v[20:21]
	s_wait_loadcnt_dscnt 0x900
	v_mul_f64_e32 v[173:174], v[38:39], v[24:25]
	v_mul_f64_e32 v[24:25], v[40:41], v[24:25]
	v_add_f64_e32 v[169:170], v[169:170], v[177:178]
	v_add_f64_e32 v[171:172], v[171:172], v[175:176]
	v_fma_f64 v[175:176], v[4:5], v[18:19], v[179:180]
	v_fma_f64 v[177:178], v[2:3], v[18:19], -v[20:21]
	ds_load_b128 v[2:5], v1 offset:1216
	scratch_load_b128 v[18:21], off, off offset:480
	v_fma_f64 v[40:41], v[40:41], v[22:23], v[173:174]
	v_fma_f64 v[38:39], v[38:39], v[22:23], -v[24:25]
	scratch_load_b128 v[22:25], off, off offset:496
	v_add_f64_e32 v[169:170], v[169:170], v[165:166]
	v_add_f64_e32 v[171:172], v[171:172], v[167:168]
	ds_load_b128 v[165:168], v1 offset:1232
	s_wait_loadcnt_dscnt 0xa01
	v_mul_f64_e32 v[179:180], v[2:3], v[28:29]
	v_mul_f64_e32 v[28:29], v[4:5], v[28:29]
	s_wait_loadcnt_dscnt 0x900
	v_mul_f64_e32 v[173:174], v[165:166], v[32:33]
	v_mul_f64_e32 v[32:33], v[167:168], v[32:33]
	v_add_f64_e32 v[169:170], v[169:170], v[177:178]
	v_add_f64_e32 v[171:172], v[171:172], v[175:176]
	v_fma_f64 v[175:176], v[4:5], v[26:27], v[179:180]
	v_fma_f64 v[177:178], v[2:3], v[26:27], -v[28:29]
	ds_load_b128 v[2:5], v1 offset:1248
	scratch_load_b128 v[26:29], off, off offset:512
	v_fma_f64 v[167:168], v[167:168], v[30:31], v[173:174]
	v_fma_f64 v[165:166], v[165:166], v[30:31], -v[32:33]
	scratch_load_b128 v[30:33], off, off offset:528
	v_add_f64_e32 v[169:170], v[169:170], v[38:39]
	v_add_f64_e32 v[171:172], v[171:172], v[40:41]
	ds_load_b128 v[38:41], v1 offset:1264
	s_wait_loadcnt_dscnt 0xa01
	v_mul_f64_e32 v[179:180], v[2:3], v[36:37]
	v_mul_f64_e32 v[36:37], v[4:5], v[36:37]
	s_wait_loadcnt_dscnt 0x800
	v_mul_f64_e32 v[173:174], v[38:39], v[163:164]
	v_add_f64_e32 v[169:170], v[169:170], v[177:178]
	v_add_f64_e32 v[171:172], v[171:172], v[175:176]
	v_mul_f64_e32 v[175:176], v[40:41], v[163:164]
	v_fma_f64 v[177:178], v[4:5], v[34:35], v[179:180]
	v_fma_f64 v[179:180], v[2:3], v[34:35], -v[36:37]
	ds_load_b128 v[2:5], v1 offset:1280
	scratch_load_b128 v[34:37], off, off offset:544
	v_fma_f64 v[173:174], v[40:41], v[161:162], v[173:174]
	v_add_f64_e32 v[169:170], v[169:170], v[165:166]
	v_add_f64_e32 v[167:168], v[171:172], v[167:168]
	ds_load_b128 v[163:166], v1 offset:1296
	v_fma_f64 v[161:162], v[38:39], v[161:162], -v[175:176]
	scratch_load_b128 v[38:41], off, off offset:560
	s_wait_loadcnt_dscnt 0x901
	v_mul_f64_e32 v[171:172], v[2:3], v[44:45]
	v_mul_f64_e32 v[44:45], v[4:5], v[44:45]
	s_wait_loadcnt_dscnt 0x800
	v_mul_f64_e32 v[175:176], v[163:164], v[8:9]
	v_mul_f64_e32 v[8:9], v[165:166], v[8:9]
	v_add_f64_e32 v[169:170], v[169:170], v[179:180]
	v_add_f64_e32 v[167:168], v[167:168], v[177:178]
	v_fma_f64 v[171:172], v[4:5], v[42:43], v[171:172]
	v_fma_f64 v[177:178], v[2:3], v[42:43], -v[44:45]
	ds_load_b128 v[2:5], v1 offset:1312
	scratch_load_b128 v[42:45], off, off offset:576
	v_fma_f64 v[165:166], v[165:166], v[6:7], v[175:176]
	v_fma_f64 v[163:164], v[163:164], v[6:7], -v[8:9]
	scratch_load_b128 v[6:9], off, off offset:592
	v_add_f64_e32 v[161:162], v[169:170], v[161:162]
	v_add_f64_e32 v[173:174], v[167:168], v[173:174]
	ds_load_b128 v[167:170], v1 offset:1328
	s_wait_loadcnt_dscnt 0x901
	v_mul_f64_e32 v[179:180], v[2:3], v[12:13]
	v_mul_f64_e32 v[12:13], v[4:5], v[12:13]
	v_add_f64_e32 v[161:162], v[161:162], v[177:178]
	v_add_f64_e32 v[171:172], v[173:174], v[171:172]
	s_wait_loadcnt_dscnt 0x800
	v_mul_f64_e32 v[173:174], v[167:168], v[16:17]
	v_mul_f64_e32 v[16:17], v[169:170], v[16:17]
	v_fma_f64 v[175:176], v[4:5], v[10:11], v[179:180]
	v_fma_f64 v[177:178], v[2:3], v[10:11], -v[12:13]
	ds_load_b128 v[2:5], v1 offset:1344
	scratch_load_b128 v[10:13], off, off offset:608
	v_add_f64_e32 v[179:180], v[161:162], v[163:164]
	v_add_f64_e32 v[165:166], v[171:172], v[165:166]
	ds_load_b128 v[161:164], v1 offset:1360
	s_wait_loadcnt_dscnt 0x801
	v_mul_f64_e32 v[171:172], v[2:3], v[20:21]
	v_mul_f64_e32 v[20:21], v[4:5], v[20:21]
	v_fma_f64 v[169:170], v[169:170], v[14:15], v[173:174]
	v_fma_f64 v[167:168], v[167:168], v[14:15], -v[16:17]
	scratch_load_b128 v[14:17], off, off offset:624
	v_add_f64_e32 v[173:174], v[179:180], v[177:178]
	v_add_f64_e32 v[165:166], v[165:166], v[175:176]
	s_wait_loadcnt_dscnt 0x800
	v_mul_f64_e32 v[175:176], v[161:162], v[24:25]
	v_mul_f64_e32 v[24:25], v[163:164], v[24:25]
	v_fma_f64 v[171:172], v[4:5], v[18:19], v[171:172]
	v_fma_f64 v[177:178], v[2:3], v[18:19], -v[20:21]
	ds_load_b128 v[2:5], v1 offset:1376
	scratch_load_b128 v[18:21], off, off offset:640
	v_add_f64_e32 v[173:174], v[173:174], v[167:168]
	v_add_f64_e32 v[169:170], v[165:166], v[169:170]
	ds_load_b128 v[165:168], v1 offset:1392
	s_wait_loadcnt_dscnt 0x801
	v_mul_f64_e32 v[179:180], v[2:3], v[28:29]
	v_mul_f64_e32 v[28:29], v[4:5], v[28:29]
	v_fma_f64 v[163:164], v[163:164], v[22:23], v[175:176]
	v_fma_f64 v[161:162], v[161:162], v[22:23], -v[24:25]
	scratch_load_b128 v[22:25], off, off offset:656
	;; [unrolled: 18-line block ×4, first 2 shown]
	s_wait_loadcnt_dscnt 0x800
	v_mul_f64_e32 v[173:174], v[165:166], v[8:9]
	v_mul_f64_e32 v[8:9], v[167:168], v[8:9]
	v_add_f64_e32 v[171:172], v[171:172], v[177:178]
	v_add_f64_e32 v[169:170], v[169:170], v[175:176]
	v_fma_f64 v[175:176], v[4:5], v[42:43], v[179:180]
	v_fma_f64 v[177:178], v[2:3], v[42:43], -v[44:45]
	ds_load_b128 v[2:5], v1 offset:1472
	scratch_load_b128 v[42:45], off, off offset:736
	v_fma_f64 v[167:168], v[167:168], v[6:7], v[173:174]
	v_fma_f64 v[165:166], v[165:166], v[6:7], -v[8:9]
	scratch_load_b128 v[6:9], off, off offset:752
	v_add_f64_e32 v[171:172], v[171:172], v[161:162]
	v_add_f64_e32 v[169:170], v[169:170], v[163:164]
	ds_load_b128 v[161:164], v1 offset:1488
	s_wait_loadcnt_dscnt 0x901
	v_mul_f64_e32 v[179:180], v[2:3], v[12:13]
	v_mul_f64_e32 v[12:13], v[4:5], v[12:13]
	s_wait_loadcnt_dscnt 0x800
	v_mul_f64_e32 v[173:174], v[161:162], v[16:17]
	v_mul_f64_e32 v[16:17], v[163:164], v[16:17]
	v_add_f64_e32 v[171:172], v[171:172], v[177:178]
	v_add_f64_e32 v[169:170], v[169:170], v[175:176]
	v_fma_f64 v[175:176], v[4:5], v[10:11], v[179:180]
	v_fma_f64 v[177:178], v[2:3], v[10:11], -v[12:13]
	ds_load_b128 v[2:5], v1 offset:1504
	scratch_load_b128 v[10:13], off, off offset:768
	v_fma_f64 v[163:164], v[163:164], v[14:15], v[173:174]
	v_fma_f64 v[161:162], v[161:162], v[14:15], -v[16:17]
	scratch_load_b128 v[14:17], off, off offset:784
	v_add_f64_e32 v[171:172], v[171:172], v[165:166]
	v_add_f64_e32 v[169:170], v[169:170], v[167:168]
	ds_load_b128 v[165:168], v1 offset:1520
	s_wait_loadcnt_dscnt 0x901
	v_mul_f64_e32 v[179:180], v[2:3], v[20:21]
	v_mul_f64_e32 v[20:21], v[4:5], v[20:21]
	;; [unrolled: 18-line block ×5, first 2 shown]
	s_wait_loadcnt_dscnt 0x800
	v_mul_f64_e32 v[173:174], v[161:162], v[8:9]
	v_mul_f64_e32 v[8:9], v[163:164], v[8:9]
	v_add_f64_e32 v[171:172], v[171:172], v[177:178]
	v_add_f64_e32 v[169:170], v[169:170], v[175:176]
	v_fma_f64 v[175:176], v[4:5], v[42:43], v[179:180]
	v_fma_f64 v[177:178], v[2:3], v[42:43], -v[44:45]
	ds_load_b128 v[2:5], v1 offset:1632
	ds_load_b128 v[42:45], v1 offset:1648
	v_fma_f64 v[163:164], v[163:164], v[6:7], v[173:174]
	v_fma_f64 v[6:7], v[161:162], v[6:7], -v[8:9]
	v_add_f64_e32 v[165:166], v[171:172], v[165:166]
	v_add_f64_e32 v[167:168], v[169:170], v[167:168]
	s_wait_loadcnt_dscnt 0x701
	v_mul_f64_e32 v[169:170], v[2:3], v[12:13]
	v_mul_f64_e32 v[12:13], v[4:5], v[12:13]
	s_delay_alu instid0(VALU_DEP_4) | instskip(NEXT) | instid1(VALU_DEP_4)
	v_add_f64_e32 v[8:9], v[165:166], v[177:178]
	v_add_f64_e32 v[161:162], v[167:168], v[175:176]
	s_wait_loadcnt_dscnt 0x600
	v_mul_f64_e32 v[165:166], v[42:43], v[16:17]
	v_mul_f64_e32 v[16:17], v[44:45], v[16:17]
	v_fma_f64 v[167:168], v[4:5], v[10:11], v[169:170]
	v_fma_f64 v[10:11], v[2:3], v[10:11], -v[12:13]
	v_add_f64_e32 v[12:13], v[8:9], v[6:7]
	v_add_f64_e32 v[161:162], v[161:162], v[163:164]
	ds_load_b128 v[2:5], v1 offset:1664
	ds_load_b128 v[6:9], v1 offset:1680
	v_fma_f64 v[44:45], v[44:45], v[14:15], v[165:166]
	v_fma_f64 v[14:15], v[42:43], v[14:15], -v[16:17]
	s_wait_loadcnt_dscnt 0x501
	v_mul_f64_e32 v[163:164], v[2:3], v[20:21]
	v_mul_f64_e32 v[20:21], v[4:5], v[20:21]
	s_wait_loadcnt_dscnt 0x400
	v_mul_f64_e32 v[16:17], v[6:7], v[24:25]
	v_mul_f64_e32 v[24:25], v[8:9], v[24:25]
	v_add_f64_e32 v[10:11], v[12:13], v[10:11]
	v_add_f64_e32 v[12:13], v[161:162], v[167:168]
	v_fma_f64 v[42:43], v[4:5], v[18:19], v[163:164]
	v_fma_f64 v[18:19], v[2:3], v[18:19], -v[20:21]
	v_fma_f64 v[8:9], v[8:9], v[22:23], v[16:17]
	v_fma_f64 v[6:7], v[6:7], v[22:23], -v[24:25]
	v_add_f64_e32 v[14:15], v[10:11], v[14:15]
	v_add_f64_e32 v[20:21], v[12:13], v[44:45]
	ds_load_b128 v[2:5], v1 offset:1696
	ds_load_b128 v[10:13], v1 offset:1712
	s_wait_loadcnt_dscnt 0x301
	v_mul_f64_e32 v[44:45], v[2:3], v[28:29]
	v_mul_f64_e32 v[28:29], v[4:5], v[28:29]
	v_add_f64_e32 v[14:15], v[14:15], v[18:19]
	v_add_f64_e32 v[16:17], v[20:21], v[42:43]
	s_wait_loadcnt_dscnt 0x200
	v_mul_f64_e32 v[18:19], v[10:11], v[32:33]
	v_mul_f64_e32 v[20:21], v[12:13], v[32:33]
	v_fma_f64 v[22:23], v[4:5], v[26:27], v[44:45]
	v_fma_f64 v[24:25], v[2:3], v[26:27], -v[28:29]
	v_add_f64_e32 v[14:15], v[14:15], v[6:7]
	v_add_f64_e32 v[16:17], v[16:17], v[8:9]
	ds_load_b128 v[2:5], v1 offset:1728
	ds_load_b128 v[6:9], v1 offset:1744
	v_fma_f64 v[12:13], v[12:13], v[30:31], v[18:19]
	v_fma_f64 v[10:11], v[10:11], v[30:31], -v[20:21]
	s_wait_loadcnt_dscnt 0x101
	v_mul_f64_e32 v[26:27], v[2:3], v[36:37]
	v_mul_f64_e32 v[28:29], v[4:5], v[36:37]
	s_wait_loadcnt_dscnt 0x0
	v_mul_f64_e32 v[18:19], v[6:7], v[40:41]
	v_mul_f64_e32 v[20:21], v[8:9], v[40:41]
	v_add_f64_e32 v[14:15], v[14:15], v[24:25]
	v_add_f64_e32 v[16:17], v[16:17], v[22:23]
	v_fma_f64 v[4:5], v[4:5], v[34:35], v[26:27]
	v_fma_f64 v[1:2], v[2:3], v[34:35], -v[28:29]
	v_fma_f64 v[8:9], v[8:9], v[38:39], v[18:19]
	v_fma_f64 v[6:7], v[6:7], v[38:39], -v[20:21]
	v_add_f64_e32 v[10:11], v[14:15], v[10:11]
	v_add_f64_e32 v[12:13], v[16:17], v[12:13]
	s_delay_alu instid0(VALU_DEP_2) | instskip(NEXT) | instid1(VALU_DEP_2)
	v_add_f64_e32 v[1:2], v[10:11], v[1:2]
	v_add_f64_e32 v[3:4], v[12:13], v[4:5]
	s_delay_alu instid0(VALU_DEP_2) | instskip(NEXT) | instid1(VALU_DEP_2)
	;; [unrolled: 3-line block ×3, first 2 shown]
	v_add_f64_e64 v[1:2], v[157:158], -v[1:2]
	v_add_f64_e64 v[3:4], v[159:160], -v[3:4]
	scratch_store_b128 off, v[1:4], off offset:240
	v_cmpx_lt_u32_e32 13, v0
	s_cbranch_execz .LBB54_317
; %bb.316:
	scratch_load_b128 v[1:4], off, s55
	v_mov_b32_e32 v5, 0
	s_delay_alu instid0(VALU_DEP_1)
	v_dual_mov_b32 v6, v5 :: v_dual_mov_b32 v7, v5
	v_mov_b32_e32 v8, v5
	scratch_store_b128 off, v[5:8], off offset:224
	s_wait_loadcnt 0x0
	ds_store_b128 v156, v[1:4]
.LBB54_317:
	s_wait_alu 0xfffe
	s_or_b32 exec_lo, exec_lo, s0
	s_wait_storecnt_dscnt 0x0
	s_barrier_signal -1
	s_barrier_wait -1
	global_inv scope:SCOPE_SE
	s_clause 0x7
	scratch_load_b128 v[2:5], off, off offset:240
	scratch_load_b128 v[6:9], off, off offset:256
	;; [unrolled: 1-line block ×8, first 2 shown]
	v_mov_b32_e32 v1, 0
	s_mov_b32 s0, exec_lo
	ds_load_b128 v[38:41], v1 offset:1104
	s_clause 0x1
	scratch_load_b128 v[34:37], off, off offset:368
	scratch_load_b128 v[42:45], off, off offset:224
	ds_load_b128 v[157:160], v1 offset:1120
	scratch_load_b128 v[161:164], off, off offset:384
	s_wait_loadcnt_dscnt 0xa01
	v_mul_f64_e32 v[165:166], v[40:41], v[4:5]
	v_mul_f64_e32 v[4:5], v[38:39], v[4:5]
	s_delay_alu instid0(VALU_DEP_2) | instskip(NEXT) | instid1(VALU_DEP_2)
	v_fma_f64 v[171:172], v[38:39], v[2:3], -v[165:166]
	v_fma_f64 v[173:174], v[40:41], v[2:3], v[4:5]
	ds_load_b128 v[2:5], v1 offset:1136
	s_wait_loadcnt_dscnt 0x901
	v_mul_f64_e32 v[169:170], v[157:158], v[8:9]
	v_mul_f64_e32 v[8:9], v[159:160], v[8:9]
	scratch_load_b128 v[38:41], off, off offset:400
	ds_load_b128 v[165:168], v1 offset:1152
	s_wait_loadcnt_dscnt 0x901
	v_mul_f64_e32 v[175:176], v[2:3], v[12:13]
	v_mul_f64_e32 v[12:13], v[4:5], v[12:13]
	v_fma_f64 v[159:160], v[159:160], v[6:7], v[169:170]
	v_fma_f64 v[157:158], v[157:158], v[6:7], -v[8:9]
	v_add_f64_e32 v[169:170], 0, v[171:172]
	v_add_f64_e32 v[171:172], 0, v[173:174]
	scratch_load_b128 v[6:9], off, off offset:416
	v_fma_f64 v[175:176], v[4:5], v[10:11], v[175:176]
	v_fma_f64 v[177:178], v[2:3], v[10:11], -v[12:13]
	ds_load_b128 v[2:5], v1 offset:1168
	s_wait_loadcnt_dscnt 0x901
	v_mul_f64_e32 v[173:174], v[165:166], v[16:17]
	v_mul_f64_e32 v[16:17], v[167:168], v[16:17]
	scratch_load_b128 v[10:13], off, off offset:432
	v_add_f64_e32 v[169:170], v[169:170], v[157:158]
	v_add_f64_e32 v[171:172], v[171:172], v[159:160]
	s_wait_loadcnt_dscnt 0x900
	v_mul_f64_e32 v[179:180], v[2:3], v[20:21]
	v_mul_f64_e32 v[20:21], v[4:5], v[20:21]
	ds_load_b128 v[157:160], v1 offset:1184
	v_fma_f64 v[167:168], v[167:168], v[14:15], v[173:174]
	v_fma_f64 v[165:166], v[165:166], v[14:15], -v[16:17]
	scratch_load_b128 v[14:17], off, off offset:448
	v_add_f64_e32 v[169:170], v[169:170], v[177:178]
	v_add_f64_e32 v[171:172], v[171:172], v[175:176]
	v_fma_f64 v[175:176], v[4:5], v[18:19], v[179:180]
	v_fma_f64 v[177:178], v[2:3], v[18:19], -v[20:21]
	ds_load_b128 v[2:5], v1 offset:1200
	s_wait_loadcnt_dscnt 0x901
	v_mul_f64_e32 v[173:174], v[157:158], v[24:25]
	v_mul_f64_e32 v[24:25], v[159:160], v[24:25]
	scratch_load_b128 v[18:21], off, off offset:464
	s_wait_loadcnt_dscnt 0x900
	v_mul_f64_e32 v[179:180], v[2:3], v[28:29]
	v_mul_f64_e32 v[28:29], v[4:5], v[28:29]
	v_add_f64_e32 v[169:170], v[169:170], v[165:166]
	v_add_f64_e32 v[171:172], v[171:172], v[167:168]
	ds_load_b128 v[165:168], v1 offset:1216
	v_fma_f64 v[159:160], v[159:160], v[22:23], v[173:174]
	v_fma_f64 v[157:158], v[157:158], v[22:23], -v[24:25]
	scratch_load_b128 v[22:25], off, off offset:480
	v_add_f64_e32 v[169:170], v[169:170], v[177:178]
	v_add_f64_e32 v[171:172], v[171:172], v[175:176]
	v_fma_f64 v[175:176], v[4:5], v[26:27], v[179:180]
	v_fma_f64 v[177:178], v[2:3], v[26:27], -v[28:29]
	ds_load_b128 v[2:5], v1 offset:1232
	s_wait_loadcnt_dscnt 0x901
	v_mul_f64_e32 v[173:174], v[165:166], v[32:33]
	v_mul_f64_e32 v[32:33], v[167:168], v[32:33]
	scratch_load_b128 v[26:29], off, off offset:496
	s_wait_loadcnt_dscnt 0x900
	v_mul_f64_e32 v[179:180], v[2:3], v[36:37]
	v_mul_f64_e32 v[36:37], v[4:5], v[36:37]
	v_add_f64_e32 v[169:170], v[169:170], v[157:158]
	v_add_f64_e32 v[171:172], v[171:172], v[159:160]
	ds_load_b128 v[157:160], v1 offset:1248
	v_fma_f64 v[167:168], v[167:168], v[30:31], v[173:174]
	v_fma_f64 v[165:166], v[165:166], v[30:31], -v[32:33]
	scratch_load_b128 v[30:33], off, off offset:512
	v_add_f64_e32 v[169:170], v[169:170], v[177:178]
	v_add_f64_e32 v[171:172], v[171:172], v[175:176]
	v_fma_f64 v[177:178], v[4:5], v[34:35], v[179:180]
	v_fma_f64 v[179:180], v[2:3], v[34:35], -v[36:37]
	ds_load_b128 v[2:5], v1 offset:1264
	s_wait_loadcnt_dscnt 0x801
	v_mul_f64_e32 v[173:174], v[157:158], v[163:164]
	v_mul_f64_e32 v[175:176], v[159:160], v[163:164]
	scratch_load_b128 v[34:37], off, off offset:528
	v_add_f64_e32 v[169:170], v[169:170], v[165:166]
	v_add_f64_e32 v[167:168], v[171:172], v[167:168]
	ds_load_b128 v[163:166], v1 offset:1280
	v_fma_f64 v[173:174], v[159:160], v[161:162], v[173:174]
	v_fma_f64 v[161:162], v[157:158], v[161:162], -v[175:176]
	scratch_load_b128 v[157:160], off, off offset:544
	s_wait_loadcnt_dscnt 0x901
	v_mul_f64_e32 v[171:172], v[2:3], v[40:41]
	v_mul_f64_e32 v[40:41], v[4:5], v[40:41]
	v_add_f64_e32 v[169:170], v[169:170], v[179:180]
	v_add_f64_e32 v[167:168], v[167:168], v[177:178]
	s_delay_alu instid0(VALU_DEP_4) | instskip(NEXT) | instid1(VALU_DEP_4)
	v_fma_f64 v[171:172], v[4:5], v[38:39], v[171:172]
	v_fma_f64 v[177:178], v[2:3], v[38:39], -v[40:41]
	ds_load_b128 v[2:5], v1 offset:1296
	s_wait_loadcnt_dscnt 0x801
	v_mul_f64_e32 v[175:176], v[163:164], v[8:9]
	v_mul_f64_e32 v[8:9], v[165:166], v[8:9]
	scratch_load_b128 v[38:41], off, off offset:560
	s_wait_loadcnt_dscnt 0x800
	v_mul_f64_e32 v[179:180], v[2:3], v[12:13]
	v_add_f64_e32 v[161:162], v[169:170], v[161:162]
	v_add_f64_e32 v[173:174], v[167:168], v[173:174]
	v_mul_f64_e32 v[12:13], v[4:5], v[12:13]
	ds_load_b128 v[167:170], v1 offset:1312
	v_fma_f64 v[165:166], v[165:166], v[6:7], v[175:176]
	v_fma_f64 v[163:164], v[163:164], v[6:7], -v[8:9]
	scratch_load_b128 v[6:9], off, off offset:576
	v_fma_f64 v[175:176], v[4:5], v[10:11], v[179:180]
	v_add_f64_e32 v[161:162], v[161:162], v[177:178]
	v_add_f64_e32 v[171:172], v[173:174], v[171:172]
	v_fma_f64 v[177:178], v[2:3], v[10:11], -v[12:13]
	ds_load_b128 v[2:5], v1 offset:1328
	s_wait_loadcnt_dscnt 0x801
	v_mul_f64_e32 v[173:174], v[167:168], v[16:17]
	v_mul_f64_e32 v[16:17], v[169:170], v[16:17]
	scratch_load_b128 v[10:13], off, off offset:592
	v_add_f64_e32 v[179:180], v[161:162], v[163:164]
	v_add_f64_e32 v[165:166], v[171:172], v[165:166]
	s_wait_loadcnt_dscnt 0x800
	v_mul_f64_e32 v[171:172], v[2:3], v[20:21]
	v_mul_f64_e32 v[20:21], v[4:5], v[20:21]
	v_fma_f64 v[169:170], v[169:170], v[14:15], v[173:174]
	v_fma_f64 v[167:168], v[167:168], v[14:15], -v[16:17]
	ds_load_b128 v[161:164], v1 offset:1344
	scratch_load_b128 v[14:17], off, off offset:608
	v_add_f64_e32 v[173:174], v[179:180], v[177:178]
	v_add_f64_e32 v[165:166], v[165:166], v[175:176]
	v_fma_f64 v[171:172], v[4:5], v[18:19], v[171:172]
	v_fma_f64 v[177:178], v[2:3], v[18:19], -v[20:21]
	ds_load_b128 v[2:5], v1 offset:1360
	s_wait_loadcnt_dscnt 0x801
	v_mul_f64_e32 v[175:176], v[161:162], v[24:25]
	v_mul_f64_e32 v[24:25], v[163:164], v[24:25]
	scratch_load_b128 v[18:21], off, off offset:624
	s_wait_loadcnt_dscnt 0x800
	v_mul_f64_e32 v[179:180], v[2:3], v[28:29]
	v_mul_f64_e32 v[28:29], v[4:5], v[28:29]
	v_add_f64_e32 v[173:174], v[173:174], v[167:168]
	v_add_f64_e32 v[169:170], v[165:166], v[169:170]
	ds_load_b128 v[165:168], v1 offset:1376
	v_fma_f64 v[163:164], v[163:164], v[22:23], v[175:176]
	v_fma_f64 v[161:162], v[161:162], v[22:23], -v[24:25]
	scratch_load_b128 v[22:25], off, off offset:640
	v_fma_f64 v[175:176], v[4:5], v[26:27], v[179:180]
	v_add_f64_e32 v[173:174], v[173:174], v[177:178]
	v_add_f64_e32 v[169:170], v[169:170], v[171:172]
	v_fma_f64 v[177:178], v[2:3], v[26:27], -v[28:29]
	ds_load_b128 v[2:5], v1 offset:1392
	s_wait_loadcnt_dscnt 0x801
	v_mul_f64_e32 v[171:172], v[165:166], v[32:33]
	v_mul_f64_e32 v[32:33], v[167:168], v[32:33]
	scratch_load_b128 v[26:29], off, off offset:656
	s_wait_loadcnt_dscnt 0x800
	v_mul_f64_e32 v[179:180], v[2:3], v[36:37]
	v_mul_f64_e32 v[36:37], v[4:5], v[36:37]
	v_add_f64_e32 v[173:174], v[173:174], v[161:162]
	v_add_f64_e32 v[169:170], v[169:170], v[163:164]
	ds_load_b128 v[161:164], v1 offset:1408
	v_fma_f64 v[167:168], v[167:168], v[30:31], v[171:172]
	v_fma_f64 v[165:166], v[165:166], v[30:31], -v[32:33]
	scratch_load_b128 v[30:33], off, off offset:672
	v_add_f64_e32 v[171:172], v[173:174], v[177:178]
	v_add_f64_e32 v[169:170], v[169:170], v[175:176]
	v_fma_f64 v[175:176], v[4:5], v[34:35], v[179:180]
	v_fma_f64 v[177:178], v[2:3], v[34:35], -v[36:37]
	ds_load_b128 v[2:5], v1 offset:1424
	s_wait_loadcnt_dscnt 0x801
	v_mul_f64_e32 v[173:174], v[161:162], v[159:160]
	v_mul_f64_e32 v[159:160], v[163:164], v[159:160]
	scratch_load_b128 v[34:37], off, off offset:688
	s_wait_loadcnt_dscnt 0x800
	v_mul_f64_e32 v[179:180], v[2:3], v[40:41]
	v_mul_f64_e32 v[40:41], v[4:5], v[40:41]
	v_add_f64_e32 v[171:172], v[171:172], v[165:166]
	v_add_f64_e32 v[169:170], v[169:170], v[167:168]
	ds_load_b128 v[165:168], v1 offset:1440
	v_fma_f64 v[163:164], v[163:164], v[157:158], v[173:174]
	v_fma_f64 v[161:162], v[161:162], v[157:158], -v[159:160]
	scratch_load_b128 v[157:160], off, off offset:704
	v_add_f64_e32 v[171:172], v[171:172], v[177:178]
	v_add_f64_e32 v[169:170], v[169:170], v[175:176]
	v_fma_f64 v[175:176], v[4:5], v[38:39], v[179:180]
	;; [unrolled: 18-line block ×6, first 2 shown]
	v_fma_f64 v[179:180], v[2:3], v[34:35], -v[36:37]
	ds_load_b128 v[2:5], v1 offset:1584
	s_wait_loadcnt_dscnt 0x801
	v_mul_f64_e32 v[173:174], v[165:166], v[159:160]
	v_mul_f64_e32 v[175:176], v[167:168], v[159:160]
	scratch_load_b128 v[34:37], off, off offset:848
	v_add_f64_e32 v[171:172], v[171:172], v[161:162]
	v_add_f64_e32 v[163:164], v[169:170], v[163:164]
	s_wait_loadcnt_dscnt 0x800
	v_mul_f64_e32 v[169:170], v[2:3], v[40:41]
	v_mul_f64_e32 v[40:41], v[4:5], v[40:41]
	ds_load_b128 v[159:162], v1 offset:1600
	v_fma_f64 v[167:168], v[167:168], v[157:158], v[173:174]
	v_fma_f64 v[157:158], v[165:166], v[157:158], -v[175:176]
	v_add_f64_e32 v[171:172], v[171:172], v[179:180]
	v_add_f64_e32 v[173:174], v[163:164], v[177:178]
	scratch_load_b128 v[163:166], off, off offset:864
	v_fma_f64 v[177:178], v[4:5], v[38:39], v[169:170]
	v_fma_f64 v[179:180], v[2:3], v[38:39], -v[40:41]
	ds_load_b128 v[2:5], v1 offset:1616
	s_wait_loadcnt_dscnt 0x801
	v_mul_f64_e32 v[175:176], v[159:160], v[8:9]
	v_mul_f64_e32 v[8:9], v[161:162], v[8:9]
	scratch_load_b128 v[38:41], off, off offset:880
	v_add_f64_e32 v[157:158], v[171:172], v[157:158]
	v_add_f64_e32 v[171:172], v[173:174], v[167:168]
	s_wait_loadcnt_dscnt 0x800
	v_mul_f64_e32 v[173:174], v[2:3], v[12:13]
	v_mul_f64_e32 v[12:13], v[4:5], v[12:13]
	ds_load_b128 v[167:170], v1 offset:1632
	v_fma_f64 v[161:162], v[161:162], v[6:7], v[175:176]
	v_fma_f64 v[6:7], v[159:160], v[6:7], -v[8:9]
	s_wait_loadcnt_dscnt 0x700
	v_mul_f64_e32 v[159:160], v[167:168], v[16:17]
	v_mul_f64_e32 v[16:17], v[169:170], v[16:17]
	v_add_f64_e32 v[8:9], v[157:158], v[179:180]
	v_add_f64_e32 v[157:158], v[171:172], v[177:178]
	v_fma_f64 v[171:172], v[4:5], v[10:11], v[173:174]
	v_fma_f64 v[10:11], v[2:3], v[10:11], -v[12:13]
	v_fma_f64 v[159:160], v[169:170], v[14:15], v[159:160]
	v_fma_f64 v[14:15], v[167:168], v[14:15], -v[16:17]
	v_add_f64_e32 v[12:13], v[8:9], v[6:7]
	v_add_f64_e32 v[157:158], v[157:158], v[161:162]
	ds_load_b128 v[2:5], v1 offset:1648
	ds_load_b128 v[6:9], v1 offset:1664
	s_wait_loadcnt_dscnt 0x601
	v_mul_f64_e32 v[161:162], v[2:3], v[20:21]
	v_mul_f64_e32 v[20:21], v[4:5], v[20:21]
	s_wait_loadcnt_dscnt 0x500
	v_mul_f64_e32 v[16:17], v[6:7], v[24:25]
	v_mul_f64_e32 v[24:25], v[8:9], v[24:25]
	v_add_f64_e32 v[10:11], v[12:13], v[10:11]
	v_add_f64_e32 v[12:13], v[157:158], v[171:172]
	v_fma_f64 v[157:158], v[4:5], v[18:19], v[161:162]
	v_fma_f64 v[18:19], v[2:3], v[18:19], -v[20:21]
	v_fma_f64 v[8:9], v[8:9], v[22:23], v[16:17]
	v_fma_f64 v[6:7], v[6:7], v[22:23], -v[24:25]
	v_add_f64_e32 v[14:15], v[10:11], v[14:15]
	v_add_f64_e32 v[20:21], v[12:13], v[159:160]
	ds_load_b128 v[2:5], v1 offset:1680
	ds_load_b128 v[10:13], v1 offset:1696
	s_wait_loadcnt_dscnt 0x401
	v_mul_f64_e32 v[159:160], v[2:3], v[28:29]
	v_mul_f64_e32 v[28:29], v[4:5], v[28:29]
	v_add_f64_e32 v[14:15], v[14:15], v[18:19]
	v_add_f64_e32 v[16:17], v[20:21], v[157:158]
	s_wait_loadcnt_dscnt 0x300
	v_mul_f64_e32 v[18:19], v[10:11], v[32:33]
	v_mul_f64_e32 v[20:21], v[12:13], v[32:33]
	v_fma_f64 v[22:23], v[4:5], v[26:27], v[159:160]
	v_fma_f64 v[24:25], v[2:3], v[26:27], -v[28:29]
	v_add_f64_e32 v[14:15], v[14:15], v[6:7]
	v_add_f64_e32 v[16:17], v[16:17], v[8:9]
	ds_load_b128 v[2:5], v1 offset:1712
	ds_load_b128 v[6:9], v1 offset:1728
	v_fma_f64 v[12:13], v[12:13], v[30:31], v[18:19]
	v_fma_f64 v[10:11], v[10:11], v[30:31], -v[20:21]
	s_wait_loadcnt_dscnt 0x201
	v_mul_f64_e32 v[26:27], v[2:3], v[36:37]
	v_mul_f64_e32 v[28:29], v[4:5], v[36:37]
	v_add_f64_e32 v[14:15], v[14:15], v[24:25]
	v_add_f64_e32 v[16:17], v[16:17], v[22:23]
	s_wait_loadcnt_dscnt 0x100
	v_mul_f64_e32 v[18:19], v[6:7], v[165:166]
	v_mul_f64_e32 v[20:21], v[8:9], v[165:166]
	v_fma_f64 v[22:23], v[4:5], v[34:35], v[26:27]
	v_fma_f64 v[24:25], v[2:3], v[34:35], -v[28:29]
	ds_load_b128 v[2:5], v1 offset:1744
	v_add_f64_e32 v[10:11], v[14:15], v[10:11]
	v_add_f64_e32 v[12:13], v[16:17], v[12:13]
	s_wait_loadcnt_dscnt 0x0
	v_mul_f64_e32 v[14:15], v[2:3], v[40:41]
	v_mul_f64_e32 v[16:17], v[4:5], v[40:41]
	v_fma_f64 v[8:9], v[8:9], v[163:164], v[18:19]
	v_fma_f64 v[6:7], v[6:7], v[163:164], -v[20:21]
	v_add_f64_e32 v[10:11], v[10:11], v[24:25]
	v_add_f64_e32 v[12:13], v[12:13], v[22:23]
	v_fma_f64 v[4:5], v[4:5], v[38:39], v[14:15]
	v_fma_f64 v[2:3], v[2:3], v[38:39], -v[16:17]
	s_delay_alu instid0(VALU_DEP_4) | instskip(NEXT) | instid1(VALU_DEP_4)
	v_add_f64_e32 v[6:7], v[10:11], v[6:7]
	v_add_f64_e32 v[8:9], v[12:13], v[8:9]
	s_delay_alu instid0(VALU_DEP_2) | instskip(NEXT) | instid1(VALU_DEP_2)
	v_add_f64_e32 v[2:3], v[6:7], v[2:3]
	v_add_f64_e32 v[4:5], v[8:9], v[4:5]
	s_delay_alu instid0(VALU_DEP_2) | instskip(NEXT) | instid1(VALU_DEP_2)
	v_add_f64_e64 v[2:3], v[42:43], -v[2:3]
	v_add_f64_e64 v[4:5], v[44:45], -v[4:5]
	scratch_store_b128 off, v[2:5], off offset:224
	v_cmpx_lt_u32_e32 12, v0
	s_cbranch_execz .LBB54_319
; %bb.318:
	scratch_load_b128 v[5:8], off, s56
	v_dual_mov_b32 v2, v1 :: v_dual_mov_b32 v3, v1
	v_mov_b32_e32 v4, v1
	scratch_store_b128 off, v[1:4], off offset:208
	s_wait_loadcnt 0x0
	ds_store_b128 v156, v[5:8]
.LBB54_319:
	s_wait_alu 0xfffe
	s_or_b32 exec_lo, exec_lo, s0
	s_wait_storecnt_dscnt 0x0
	s_barrier_signal -1
	s_barrier_wait -1
	global_inv scope:SCOPE_SE
	s_clause 0x8
	scratch_load_b128 v[2:5], off, off offset:224
	scratch_load_b128 v[6:9], off, off offset:240
	;; [unrolled: 1-line block ×9, first 2 shown]
	ds_load_b128 v[42:45], v1 offset:1088
	ds_load_b128 v[38:41], v1 offset:1104
	s_clause 0x1
	scratch_load_b128 v[157:160], off, off offset:208
	scratch_load_b128 v[161:164], off, off offset:368
	s_mov_b32 s0, exec_lo
	s_wait_loadcnt_dscnt 0xa01
	v_mul_f64_e32 v[165:166], v[44:45], v[4:5]
	v_mul_f64_e32 v[4:5], v[42:43], v[4:5]
	s_wait_loadcnt_dscnt 0x900
	v_mul_f64_e32 v[169:170], v[38:39], v[8:9]
	v_mul_f64_e32 v[8:9], v[40:41], v[8:9]
	s_delay_alu instid0(VALU_DEP_4) | instskip(NEXT) | instid1(VALU_DEP_4)
	v_fma_f64 v[171:172], v[42:43], v[2:3], -v[165:166]
	v_fma_f64 v[173:174], v[44:45], v[2:3], v[4:5]
	ds_load_b128 v[2:5], v1 offset:1120
	ds_load_b128 v[165:168], v1 offset:1136
	scratch_load_b128 v[42:45], off, off offset:384
	v_fma_f64 v[40:41], v[40:41], v[6:7], v[169:170]
	v_fma_f64 v[38:39], v[38:39], v[6:7], -v[8:9]
	scratch_load_b128 v[6:9], off, off offset:400
	s_wait_loadcnt_dscnt 0xa01
	v_mul_f64_e32 v[175:176], v[2:3], v[12:13]
	v_mul_f64_e32 v[12:13], v[4:5], v[12:13]
	v_add_f64_e32 v[169:170], 0, v[171:172]
	v_add_f64_e32 v[171:172], 0, v[173:174]
	s_wait_loadcnt_dscnt 0x900
	v_mul_f64_e32 v[173:174], v[165:166], v[16:17]
	v_mul_f64_e32 v[16:17], v[167:168], v[16:17]
	v_fma_f64 v[175:176], v[4:5], v[10:11], v[175:176]
	v_fma_f64 v[177:178], v[2:3], v[10:11], -v[12:13]
	ds_load_b128 v[2:5], v1 offset:1152
	scratch_load_b128 v[10:13], off, off offset:416
	v_add_f64_e32 v[169:170], v[169:170], v[38:39]
	v_add_f64_e32 v[171:172], v[171:172], v[40:41]
	ds_load_b128 v[38:41], v1 offset:1168
	v_fma_f64 v[167:168], v[167:168], v[14:15], v[173:174]
	v_fma_f64 v[165:166], v[165:166], v[14:15], -v[16:17]
	scratch_load_b128 v[14:17], off, off offset:432
	s_wait_loadcnt_dscnt 0xa01
	v_mul_f64_e32 v[179:180], v[2:3], v[20:21]
	v_mul_f64_e32 v[20:21], v[4:5], v[20:21]
	s_wait_loadcnt_dscnt 0x900
	v_mul_f64_e32 v[173:174], v[38:39], v[24:25]
	v_mul_f64_e32 v[24:25], v[40:41], v[24:25]
	v_add_f64_e32 v[169:170], v[169:170], v[177:178]
	v_add_f64_e32 v[171:172], v[171:172], v[175:176]
	v_fma_f64 v[175:176], v[4:5], v[18:19], v[179:180]
	v_fma_f64 v[177:178], v[2:3], v[18:19], -v[20:21]
	ds_load_b128 v[2:5], v1 offset:1184
	scratch_load_b128 v[18:21], off, off offset:448
	v_fma_f64 v[40:41], v[40:41], v[22:23], v[173:174]
	v_fma_f64 v[38:39], v[38:39], v[22:23], -v[24:25]
	scratch_load_b128 v[22:25], off, off offset:464
	v_add_f64_e32 v[169:170], v[169:170], v[165:166]
	v_add_f64_e32 v[171:172], v[171:172], v[167:168]
	ds_load_b128 v[165:168], v1 offset:1200
	s_wait_loadcnt_dscnt 0xa01
	v_mul_f64_e32 v[179:180], v[2:3], v[28:29]
	v_mul_f64_e32 v[28:29], v[4:5], v[28:29]
	s_wait_loadcnt_dscnt 0x900
	v_mul_f64_e32 v[173:174], v[165:166], v[32:33]
	v_mul_f64_e32 v[32:33], v[167:168], v[32:33]
	v_add_f64_e32 v[169:170], v[169:170], v[177:178]
	v_add_f64_e32 v[171:172], v[171:172], v[175:176]
	v_fma_f64 v[175:176], v[4:5], v[26:27], v[179:180]
	v_fma_f64 v[177:178], v[2:3], v[26:27], -v[28:29]
	ds_load_b128 v[2:5], v1 offset:1216
	scratch_load_b128 v[26:29], off, off offset:480
	v_fma_f64 v[167:168], v[167:168], v[30:31], v[173:174]
	v_fma_f64 v[165:166], v[165:166], v[30:31], -v[32:33]
	scratch_load_b128 v[30:33], off, off offset:496
	v_add_f64_e32 v[169:170], v[169:170], v[38:39]
	v_add_f64_e32 v[171:172], v[171:172], v[40:41]
	ds_load_b128 v[38:41], v1 offset:1232
	s_wait_loadcnt_dscnt 0xa01
	v_mul_f64_e32 v[179:180], v[2:3], v[36:37]
	v_mul_f64_e32 v[36:37], v[4:5], v[36:37]
	s_wait_loadcnt_dscnt 0x800
	v_mul_f64_e32 v[173:174], v[38:39], v[163:164]
	v_add_f64_e32 v[169:170], v[169:170], v[177:178]
	v_add_f64_e32 v[171:172], v[171:172], v[175:176]
	v_mul_f64_e32 v[175:176], v[40:41], v[163:164]
	v_fma_f64 v[177:178], v[4:5], v[34:35], v[179:180]
	v_fma_f64 v[179:180], v[2:3], v[34:35], -v[36:37]
	ds_load_b128 v[2:5], v1 offset:1248
	scratch_load_b128 v[34:37], off, off offset:512
	v_fma_f64 v[173:174], v[40:41], v[161:162], v[173:174]
	v_add_f64_e32 v[169:170], v[169:170], v[165:166]
	v_add_f64_e32 v[167:168], v[171:172], v[167:168]
	ds_load_b128 v[163:166], v1 offset:1264
	v_fma_f64 v[161:162], v[38:39], v[161:162], -v[175:176]
	scratch_load_b128 v[38:41], off, off offset:528
	s_wait_loadcnt_dscnt 0x901
	v_mul_f64_e32 v[171:172], v[2:3], v[44:45]
	v_mul_f64_e32 v[44:45], v[4:5], v[44:45]
	s_wait_loadcnt_dscnt 0x800
	v_mul_f64_e32 v[175:176], v[163:164], v[8:9]
	v_mul_f64_e32 v[8:9], v[165:166], v[8:9]
	v_add_f64_e32 v[169:170], v[169:170], v[179:180]
	v_add_f64_e32 v[167:168], v[167:168], v[177:178]
	v_fma_f64 v[171:172], v[4:5], v[42:43], v[171:172]
	v_fma_f64 v[177:178], v[2:3], v[42:43], -v[44:45]
	ds_load_b128 v[2:5], v1 offset:1280
	scratch_load_b128 v[42:45], off, off offset:544
	v_fma_f64 v[165:166], v[165:166], v[6:7], v[175:176]
	v_fma_f64 v[163:164], v[163:164], v[6:7], -v[8:9]
	scratch_load_b128 v[6:9], off, off offset:560
	v_add_f64_e32 v[161:162], v[169:170], v[161:162]
	v_add_f64_e32 v[173:174], v[167:168], v[173:174]
	ds_load_b128 v[167:170], v1 offset:1296
	s_wait_loadcnt_dscnt 0x901
	v_mul_f64_e32 v[179:180], v[2:3], v[12:13]
	v_mul_f64_e32 v[12:13], v[4:5], v[12:13]
	v_add_f64_e32 v[161:162], v[161:162], v[177:178]
	v_add_f64_e32 v[171:172], v[173:174], v[171:172]
	s_wait_loadcnt_dscnt 0x800
	v_mul_f64_e32 v[173:174], v[167:168], v[16:17]
	v_mul_f64_e32 v[16:17], v[169:170], v[16:17]
	v_fma_f64 v[175:176], v[4:5], v[10:11], v[179:180]
	v_fma_f64 v[177:178], v[2:3], v[10:11], -v[12:13]
	ds_load_b128 v[2:5], v1 offset:1312
	scratch_load_b128 v[10:13], off, off offset:576
	v_add_f64_e32 v[179:180], v[161:162], v[163:164]
	v_add_f64_e32 v[165:166], v[171:172], v[165:166]
	ds_load_b128 v[161:164], v1 offset:1328
	s_wait_loadcnt_dscnt 0x801
	v_mul_f64_e32 v[171:172], v[2:3], v[20:21]
	v_mul_f64_e32 v[20:21], v[4:5], v[20:21]
	v_fma_f64 v[169:170], v[169:170], v[14:15], v[173:174]
	v_fma_f64 v[167:168], v[167:168], v[14:15], -v[16:17]
	scratch_load_b128 v[14:17], off, off offset:592
	v_add_f64_e32 v[173:174], v[179:180], v[177:178]
	v_add_f64_e32 v[165:166], v[165:166], v[175:176]
	s_wait_loadcnt_dscnt 0x800
	v_mul_f64_e32 v[175:176], v[161:162], v[24:25]
	v_mul_f64_e32 v[24:25], v[163:164], v[24:25]
	v_fma_f64 v[171:172], v[4:5], v[18:19], v[171:172]
	v_fma_f64 v[177:178], v[2:3], v[18:19], -v[20:21]
	ds_load_b128 v[2:5], v1 offset:1344
	scratch_load_b128 v[18:21], off, off offset:608
	v_add_f64_e32 v[173:174], v[173:174], v[167:168]
	v_add_f64_e32 v[169:170], v[165:166], v[169:170]
	ds_load_b128 v[165:168], v1 offset:1360
	s_wait_loadcnt_dscnt 0x801
	v_mul_f64_e32 v[179:180], v[2:3], v[28:29]
	v_mul_f64_e32 v[28:29], v[4:5], v[28:29]
	v_fma_f64 v[163:164], v[163:164], v[22:23], v[175:176]
	v_fma_f64 v[161:162], v[161:162], v[22:23], -v[24:25]
	scratch_load_b128 v[22:25], off, off offset:624
	;; [unrolled: 18-line block ×4, first 2 shown]
	s_wait_loadcnt_dscnt 0x800
	v_mul_f64_e32 v[173:174], v[165:166], v[8:9]
	v_mul_f64_e32 v[8:9], v[167:168], v[8:9]
	v_add_f64_e32 v[171:172], v[171:172], v[177:178]
	v_add_f64_e32 v[169:170], v[169:170], v[175:176]
	v_fma_f64 v[175:176], v[4:5], v[42:43], v[179:180]
	v_fma_f64 v[177:178], v[2:3], v[42:43], -v[44:45]
	ds_load_b128 v[2:5], v1 offset:1440
	scratch_load_b128 v[42:45], off, off offset:704
	v_fma_f64 v[167:168], v[167:168], v[6:7], v[173:174]
	v_fma_f64 v[165:166], v[165:166], v[6:7], -v[8:9]
	scratch_load_b128 v[6:9], off, off offset:720
	v_add_f64_e32 v[171:172], v[171:172], v[161:162]
	v_add_f64_e32 v[169:170], v[169:170], v[163:164]
	ds_load_b128 v[161:164], v1 offset:1456
	s_wait_loadcnt_dscnt 0x901
	v_mul_f64_e32 v[179:180], v[2:3], v[12:13]
	v_mul_f64_e32 v[12:13], v[4:5], v[12:13]
	s_wait_loadcnt_dscnt 0x800
	v_mul_f64_e32 v[173:174], v[161:162], v[16:17]
	v_mul_f64_e32 v[16:17], v[163:164], v[16:17]
	v_add_f64_e32 v[171:172], v[171:172], v[177:178]
	v_add_f64_e32 v[169:170], v[169:170], v[175:176]
	v_fma_f64 v[175:176], v[4:5], v[10:11], v[179:180]
	v_fma_f64 v[177:178], v[2:3], v[10:11], -v[12:13]
	ds_load_b128 v[2:5], v1 offset:1472
	scratch_load_b128 v[10:13], off, off offset:736
	v_fma_f64 v[163:164], v[163:164], v[14:15], v[173:174]
	v_fma_f64 v[161:162], v[161:162], v[14:15], -v[16:17]
	scratch_load_b128 v[14:17], off, off offset:752
	v_add_f64_e32 v[171:172], v[171:172], v[165:166]
	v_add_f64_e32 v[169:170], v[169:170], v[167:168]
	ds_load_b128 v[165:168], v1 offset:1488
	s_wait_loadcnt_dscnt 0x901
	v_mul_f64_e32 v[179:180], v[2:3], v[20:21]
	v_mul_f64_e32 v[20:21], v[4:5], v[20:21]
	;; [unrolled: 18-line block ×6, first 2 shown]
	s_wait_loadcnt_dscnt 0x800
	v_mul_f64_e32 v[173:174], v[165:166], v[16:17]
	v_mul_f64_e32 v[16:17], v[167:168], v[16:17]
	v_add_f64_e32 v[171:172], v[171:172], v[177:178]
	v_add_f64_e32 v[169:170], v[169:170], v[175:176]
	v_fma_f64 v[175:176], v[4:5], v[10:11], v[179:180]
	v_fma_f64 v[177:178], v[2:3], v[10:11], -v[12:13]
	ds_load_b128 v[2:5], v1 offset:1632
	ds_load_b128 v[10:13], v1 offset:1648
	v_fma_f64 v[167:168], v[167:168], v[14:15], v[173:174]
	v_fma_f64 v[14:15], v[165:166], v[14:15], -v[16:17]
	v_add_f64_e32 v[161:162], v[171:172], v[161:162]
	v_add_f64_e32 v[163:164], v[169:170], v[163:164]
	s_wait_loadcnt_dscnt 0x701
	v_mul_f64_e32 v[169:170], v[2:3], v[20:21]
	v_mul_f64_e32 v[20:21], v[4:5], v[20:21]
	s_delay_alu instid0(VALU_DEP_4) | instskip(NEXT) | instid1(VALU_DEP_4)
	v_add_f64_e32 v[16:17], v[161:162], v[177:178]
	v_add_f64_e32 v[161:162], v[163:164], v[175:176]
	s_wait_loadcnt_dscnt 0x600
	v_mul_f64_e32 v[163:164], v[10:11], v[24:25]
	v_mul_f64_e32 v[24:25], v[12:13], v[24:25]
	v_fma_f64 v[165:166], v[4:5], v[18:19], v[169:170]
	v_fma_f64 v[18:19], v[2:3], v[18:19], -v[20:21]
	v_add_f64_e32 v[20:21], v[16:17], v[14:15]
	v_add_f64_e32 v[161:162], v[161:162], v[167:168]
	ds_load_b128 v[2:5], v1 offset:1664
	ds_load_b128 v[14:17], v1 offset:1680
	v_fma_f64 v[12:13], v[12:13], v[22:23], v[163:164]
	v_fma_f64 v[10:11], v[10:11], v[22:23], -v[24:25]
	s_wait_loadcnt_dscnt 0x501
	v_mul_f64_e32 v[167:168], v[2:3], v[28:29]
	v_mul_f64_e32 v[28:29], v[4:5], v[28:29]
	s_wait_loadcnt_dscnt 0x400
	v_mul_f64_e32 v[22:23], v[14:15], v[32:33]
	v_mul_f64_e32 v[24:25], v[16:17], v[32:33]
	v_add_f64_e32 v[18:19], v[20:21], v[18:19]
	v_add_f64_e32 v[20:21], v[161:162], v[165:166]
	v_fma_f64 v[32:33], v[4:5], v[26:27], v[167:168]
	v_fma_f64 v[26:27], v[2:3], v[26:27], -v[28:29]
	v_fma_f64 v[16:17], v[16:17], v[30:31], v[22:23]
	v_fma_f64 v[14:15], v[14:15], v[30:31], -v[24:25]
	v_add_f64_e32 v[18:19], v[18:19], v[10:11]
	v_add_f64_e32 v[20:21], v[20:21], v[12:13]
	ds_load_b128 v[2:5], v1 offset:1696
	ds_load_b128 v[10:13], v1 offset:1712
	s_wait_loadcnt_dscnt 0x301
	v_mul_f64_e32 v[28:29], v[2:3], v[36:37]
	v_mul_f64_e32 v[36:37], v[4:5], v[36:37]
	s_wait_loadcnt_dscnt 0x200
	v_mul_f64_e32 v[22:23], v[10:11], v[40:41]
	v_mul_f64_e32 v[24:25], v[12:13], v[40:41]
	v_add_f64_e32 v[18:19], v[18:19], v[26:27]
	v_add_f64_e32 v[20:21], v[20:21], v[32:33]
	v_fma_f64 v[26:27], v[4:5], v[34:35], v[28:29]
	v_fma_f64 v[28:29], v[2:3], v[34:35], -v[36:37]
	v_fma_f64 v[12:13], v[12:13], v[38:39], v[22:23]
	v_fma_f64 v[10:11], v[10:11], v[38:39], -v[24:25]
	v_add_f64_e32 v[18:19], v[18:19], v[14:15]
	v_add_f64_e32 v[20:21], v[20:21], v[16:17]
	ds_load_b128 v[2:5], v1 offset:1728
	ds_load_b128 v[14:17], v1 offset:1744
	s_wait_loadcnt_dscnt 0x101
	v_mul_f64_e32 v[30:31], v[2:3], v[44:45]
	v_mul_f64_e32 v[32:33], v[4:5], v[44:45]
	s_wait_loadcnt_dscnt 0x0
	v_mul_f64_e32 v[22:23], v[14:15], v[8:9]
	v_mul_f64_e32 v[8:9], v[16:17], v[8:9]
	v_add_f64_e32 v[18:19], v[18:19], v[28:29]
	v_add_f64_e32 v[20:21], v[20:21], v[26:27]
	v_fma_f64 v[4:5], v[4:5], v[42:43], v[30:31]
	v_fma_f64 v[1:2], v[2:3], v[42:43], -v[32:33]
	v_fma_f64 v[16:17], v[16:17], v[6:7], v[22:23]
	v_fma_f64 v[6:7], v[14:15], v[6:7], -v[8:9]
	v_add_f64_e32 v[10:11], v[18:19], v[10:11]
	v_add_f64_e32 v[12:13], v[20:21], v[12:13]
	s_delay_alu instid0(VALU_DEP_2) | instskip(NEXT) | instid1(VALU_DEP_2)
	v_add_f64_e32 v[1:2], v[10:11], v[1:2]
	v_add_f64_e32 v[3:4], v[12:13], v[4:5]
	s_delay_alu instid0(VALU_DEP_2) | instskip(NEXT) | instid1(VALU_DEP_2)
	;; [unrolled: 3-line block ×3, first 2 shown]
	v_add_f64_e64 v[1:2], v[157:158], -v[1:2]
	v_add_f64_e64 v[3:4], v[159:160], -v[3:4]
	scratch_store_b128 off, v[1:4], off offset:208
	v_cmpx_lt_u32_e32 11, v0
	s_cbranch_execz .LBB54_321
; %bb.320:
	scratch_load_b128 v[1:4], off, s57
	v_mov_b32_e32 v5, 0
	s_delay_alu instid0(VALU_DEP_1)
	v_dual_mov_b32 v6, v5 :: v_dual_mov_b32 v7, v5
	v_mov_b32_e32 v8, v5
	scratch_store_b128 off, v[5:8], off offset:192
	s_wait_loadcnt 0x0
	ds_store_b128 v156, v[1:4]
.LBB54_321:
	s_wait_alu 0xfffe
	s_or_b32 exec_lo, exec_lo, s0
	s_wait_storecnt_dscnt 0x0
	s_barrier_signal -1
	s_barrier_wait -1
	global_inv scope:SCOPE_SE
	s_clause 0x7
	scratch_load_b128 v[2:5], off, off offset:208
	scratch_load_b128 v[6:9], off, off offset:224
	;; [unrolled: 1-line block ×8, first 2 shown]
	v_mov_b32_e32 v1, 0
	s_mov_b32 s0, exec_lo
	ds_load_b128 v[38:41], v1 offset:1072
	s_clause 0x1
	scratch_load_b128 v[34:37], off, off offset:336
	scratch_load_b128 v[42:45], off, off offset:192
	ds_load_b128 v[157:160], v1 offset:1088
	scratch_load_b128 v[161:164], off, off offset:352
	s_wait_loadcnt_dscnt 0xa01
	v_mul_f64_e32 v[165:166], v[40:41], v[4:5]
	v_mul_f64_e32 v[4:5], v[38:39], v[4:5]
	s_delay_alu instid0(VALU_DEP_2) | instskip(NEXT) | instid1(VALU_DEP_2)
	v_fma_f64 v[171:172], v[38:39], v[2:3], -v[165:166]
	v_fma_f64 v[173:174], v[40:41], v[2:3], v[4:5]
	ds_load_b128 v[2:5], v1 offset:1104
	s_wait_loadcnt_dscnt 0x901
	v_mul_f64_e32 v[169:170], v[157:158], v[8:9]
	v_mul_f64_e32 v[8:9], v[159:160], v[8:9]
	scratch_load_b128 v[38:41], off, off offset:368
	ds_load_b128 v[165:168], v1 offset:1120
	s_wait_loadcnt_dscnt 0x901
	v_mul_f64_e32 v[175:176], v[2:3], v[12:13]
	v_mul_f64_e32 v[12:13], v[4:5], v[12:13]
	v_fma_f64 v[159:160], v[159:160], v[6:7], v[169:170]
	v_fma_f64 v[157:158], v[157:158], v[6:7], -v[8:9]
	v_add_f64_e32 v[169:170], 0, v[171:172]
	v_add_f64_e32 v[171:172], 0, v[173:174]
	scratch_load_b128 v[6:9], off, off offset:384
	v_fma_f64 v[175:176], v[4:5], v[10:11], v[175:176]
	v_fma_f64 v[177:178], v[2:3], v[10:11], -v[12:13]
	ds_load_b128 v[2:5], v1 offset:1136
	s_wait_loadcnt_dscnt 0x901
	v_mul_f64_e32 v[173:174], v[165:166], v[16:17]
	v_mul_f64_e32 v[16:17], v[167:168], v[16:17]
	scratch_load_b128 v[10:13], off, off offset:400
	v_add_f64_e32 v[169:170], v[169:170], v[157:158]
	v_add_f64_e32 v[171:172], v[171:172], v[159:160]
	s_wait_loadcnt_dscnt 0x900
	v_mul_f64_e32 v[179:180], v[2:3], v[20:21]
	v_mul_f64_e32 v[20:21], v[4:5], v[20:21]
	ds_load_b128 v[157:160], v1 offset:1152
	v_fma_f64 v[167:168], v[167:168], v[14:15], v[173:174]
	v_fma_f64 v[165:166], v[165:166], v[14:15], -v[16:17]
	scratch_load_b128 v[14:17], off, off offset:416
	v_add_f64_e32 v[169:170], v[169:170], v[177:178]
	v_add_f64_e32 v[171:172], v[171:172], v[175:176]
	v_fma_f64 v[175:176], v[4:5], v[18:19], v[179:180]
	v_fma_f64 v[177:178], v[2:3], v[18:19], -v[20:21]
	ds_load_b128 v[2:5], v1 offset:1168
	s_wait_loadcnt_dscnt 0x901
	v_mul_f64_e32 v[173:174], v[157:158], v[24:25]
	v_mul_f64_e32 v[24:25], v[159:160], v[24:25]
	scratch_load_b128 v[18:21], off, off offset:432
	s_wait_loadcnt_dscnt 0x900
	v_mul_f64_e32 v[179:180], v[2:3], v[28:29]
	v_mul_f64_e32 v[28:29], v[4:5], v[28:29]
	v_add_f64_e32 v[169:170], v[169:170], v[165:166]
	v_add_f64_e32 v[171:172], v[171:172], v[167:168]
	ds_load_b128 v[165:168], v1 offset:1184
	v_fma_f64 v[159:160], v[159:160], v[22:23], v[173:174]
	v_fma_f64 v[157:158], v[157:158], v[22:23], -v[24:25]
	scratch_load_b128 v[22:25], off, off offset:448
	v_add_f64_e32 v[169:170], v[169:170], v[177:178]
	v_add_f64_e32 v[171:172], v[171:172], v[175:176]
	v_fma_f64 v[175:176], v[4:5], v[26:27], v[179:180]
	v_fma_f64 v[177:178], v[2:3], v[26:27], -v[28:29]
	ds_load_b128 v[2:5], v1 offset:1200
	s_wait_loadcnt_dscnt 0x901
	v_mul_f64_e32 v[173:174], v[165:166], v[32:33]
	v_mul_f64_e32 v[32:33], v[167:168], v[32:33]
	scratch_load_b128 v[26:29], off, off offset:464
	s_wait_loadcnt_dscnt 0x900
	v_mul_f64_e32 v[179:180], v[2:3], v[36:37]
	v_mul_f64_e32 v[36:37], v[4:5], v[36:37]
	v_add_f64_e32 v[169:170], v[169:170], v[157:158]
	v_add_f64_e32 v[171:172], v[171:172], v[159:160]
	ds_load_b128 v[157:160], v1 offset:1216
	v_fma_f64 v[167:168], v[167:168], v[30:31], v[173:174]
	v_fma_f64 v[165:166], v[165:166], v[30:31], -v[32:33]
	scratch_load_b128 v[30:33], off, off offset:480
	v_add_f64_e32 v[169:170], v[169:170], v[177:178]
	v_add_f64_e32 v[171:172], v[171:172], v[175:176]
	v_fma_f64 v[177:178], v[4:5], v[34:35], v[179:180]
	v_fma_f64 v[179:180], v[2:3], v[34:35], -v[36:37]
	ds_load_b128 v[2:5], v1 offset:1232
	s_wait_loadcnt_dscnt 0x801
	v_mul_f64_e32 v[173:174], v[157:158], v[163:164]
	v_mul_f64_e32 v[175:176], v[159:160], v[163:164]
	scratch_load_b128 v[34:37], off, off offset:496
	v_add_f64_e32 v[169:170], v[169:170], v[165:166]
	v_add_f64_e32 v[167:168], v[171:172], v[167:168]
	ds_load_b128 v[163:166], v1 offset:1248
	v_fma_f64 v[173:174], v[159:160], v[161:162], v[173:174]
	v_fma_f64 v[161:162], v[157:158], v[161:162], -v[175:176]
	scratch_load_b128 v[157:160], off, off offset:512
	s_wait_loadcnt_dscnt 0x901
	v_mul_f64_e32 v[171:172], v[2:3], v[40:41]
	v_mul_f64_e32 v[40:41], v[4:5], v[40:41]
	v_add_f64_e32 v[169:170], v[169:170], v[179:180]
	v_add_f64_e32 v[167:168], v[167:168], v[177:178]
	s_delay_alu instid0(VALU_DEP_4) | instskip(NEXT) | instid1(VALU_DEP_4)
	v_fma_f64 v[171:172], v[4:5], v[38:39], v[171:172]
	v_fma_f64 v[177:178], v[2:3], v[38:39], -v[40:41]
	ds_load_b128 v[2:5], v1 offset:1264
	s_wait_loadcnt_dscnt 0x801
	v_mul_f64_e32 v[175:176], v[163:164], v[8:9]
	v_mul_f64_e32 v[8:9], v[165:166], v[8:9]
	scratch_load_b128 v[38:41], off, off offset:528
	s_wait_loadcnt_dscnt 0x800
	v_mul_f64_e32 v[179:180], v[2:3], v[12:13]
	v_add_f64_e32 v[161:162], v[169:170], v[161:162]
	v_add_f64_e32 v[173:174], v[167:168], v[173:174]
	v_mul_f64_e32 v[12:13], v[4:5], v[12:13]
	ds_load_b128 v[167:170], v1 offset:1280
	v_fma_f64 v[165:166], v[165:166], v[6:7], v[175:176]
	v_fma_f64 v[163:164], v[163:164], v[6:7], -v[8:9]
	scratch_load_b128 v[6:9], off, off offset:544
	v_fma_f64 v[175:176], v[4:5], v[10:11], v[179:180]
	v_add_f64_e32 v[161:162], v[161:162], v[177:178]
	v_add_f64_e32 v[171:172], v[173:174], v[171:172]
	v_fma_f64 v[177:178], v[2:3], v[10:11], -v[12:13]
	ds_load_b128 v[2:5], v1 offset:1296
	s_wait_loadcnt_dscnt 0x801
	v_mul_f64_e32 v[173:174], v[167:168], v[16:17]
	v_mul_f64_e32 v[16:17], v[169:170], v[16:17]
	scratch_load_b128 v[10:13], off, off offset:560
	v_add_f64_e32 v[179:180], v[161:162], v[163:164]
	v_add_f64_e32 v[165:166], v[171:172], v[165:166]
	s_wait_loadcnt_dscnt 0x800
	v_mul_f64_e32 v[171:172], v[2:3], v[20:21]
	v_mul_f64_e32 v[20:21], v[4:5], v[20:21]
	v_fma_f64 v[169:170], v[169:170], v[14:15], v[173:174]
	v_fma_f64 v[167:168], v[167:168], v[14:15], -v[16:17]
	ds_load_b128 v[161:164], v1 offset:1312
	scratch_load_b128 v[14:17], off, off offset:576
	v_add_f64_e32 v[173:174], v[179:180], v[177:178]
	v_add_f64_e32 v[165:166], v[165:166], v[175:176]
	v_fma_f64 v[171:172], v[4:5], v[18:19], v[171:172]
	v_fma_f64 v[177:178], v[2:3], v[18:19], -v[20:21]
	ds_load_b128 v[2:5], v1 offset:1328
	s_wait_loadcnt_dscnt 0x801
	v_mul_f64_e32 v[175:176], v[161:162], v[24:25]
	v_mul_f64_e32 v[24:25], v[163:164], v[24:25]
	scratch_load_b128 v[18:21], off, off offset:592
	s_wait_loadcnt_dscnt 0x800
	v_mul_f64_e32 v[179:180], v[2:3], v[28:29]
	v_mul_f64_e32 v[28:29], v[4:5], v[28:29]
	v_add_f64_e32 v[173:174], v[173:174], v[167:168]
	v_add_f64_e32 v[169:170], v[165:166], v[169:170]
	ds_load_b128 v[165:168], v1 offset:1344
	v_fma_f64 v[163:164], v[163:164], v[22:23], v[175:176]
	v_fma_f64 v[161:162], v[161:162], v[22:23], -v[24:25]
	scratch_load_b128 v[22:25], off, off offset:608
	v_fma_f64 v[175:176], v[4:5], v[26:27], v[179:180]
	v_add_f64_e32 v[173:174], v[173:174], v[177:178]
	v_add_f64_e32 v[169:170], v[169:170], v[171:172]
	v_fma_f64 v[177:178], v[2:3], v[26:27], -v[28:29]
	ds_load_b128 v[2:5], v1 offset:1360
	s_wait_loadcnt_dscnt 0x801
	v_mul_f64_e32 v[171:172], v[165:166], v[32:33]
	v_mul_f64_e32 v[32:33], v[167:168], v[32:33]
	scratch_load_b128 v[26:29], off, off offset:624
	s_wait_loadcnt_dscnt 0x800
	v_mul_f64_e32 v[179:180], v[2:3], v[36:37]
	v_mul_f64_e32 v[36:37], v[4:5], v[36:37]
	v_add_f64_e32 v[173:174], v[173:174], v[161:162]
	v_add_f64_e32 v[169:170], v[169:170], v[163:164]
	ds_load_b128 v[161:164], v1 offset:1376
	v_fma_f64 v[167:168], v[167:168], v[30:31], v[171:172]
	v_fma_f64 v[165:166], v[165:166], v[30:31], -v[32:33]
	scratch_load_b128 v[30:33], off, off offset:640
	v_add_f64_e32 v[171:172], v[173:174], v[177:178]
	v_add_f64_e32 v[169:170], v[169:170], v[175:176]
	v_fma_f64 v[175:176], v[4:5], v[34:35], v[179:180]
	v_fma_f64 v[177:178], v[2:3], v[34:35], -v[36:37]
	ds_load_b128 v[2:5], v1 offset:1392
	s_wait_loadcnt_dscnt 0x801
	v_mul_f64_e32 v[173:174], v[161:162], v[159:160]
	v_mul_f64_e32 v[159:160], v[163:164], v[159:160]
	scratch_load_b128 v[34:37], off, off offset:656
	s_wait_loadcnt_dscnt 0x800
	v_mul_f64_e32 v[179:180], v[2:3], v[40:41]
	v_mul_f64_e32 v[40:41], v[4:5], v[40:41]
	v_add_f64_e32 v[171:172], v[171:172], v[165:166]
	v_add_f64_e32 v[169:170], v[169:170], v[167:168]
	ds_load_b128 v[165:168], v1 offset:1408
	v_fma_f64 v[163:164], v[163:164], v[157:158], v[173:174]
	v_fma_f64 v[161:162], v[161:162], v[157:158], -v[159:160]
	scratch_load_b128 v[157:160], off, off offset:672
	v_add_f64_e32 v[171:172], v[171:172], v[177:178]
	v_add_f64_e32 v[169:170], v[169:170], v[175:176]
	v_fma_f64 v[175:176], v[4:5], v[38:39], v[179:180]
	;; [unrolled: 18-line block ×6, first 2 shown]
	v_fma_f64 v[179:180], v[2:3], v[34:35], -v[36:37]
	ds_load_b128 v[2:5], v1 offset:1552
	s_wait_loadcnt_dscnt 0x801
	v_mul_f64_e32 v[173:174], v[165:166], v[159:160]
	v_mul_f64_e32 v[175:176], v[167:168], v[159:160]
	scratch_load_b128 v[34:37], off, off offset:816
	v_add_f64_e32 v[171:172], v[171:172], v[161:162]
	v_add_f64_e32 v[163:164], v[169:170], v[163:164]
	s_wait_loadcnt_dscnt 0x800
	v_mul_f64_e32 v[169:170], v[2:3], v[40:41]
	v_mul_f64_e32 v[40:41], v[4:5], v[40:41]
	ds_load_b128 v[159:162], v1 offset:1568
	v_fma_f64 v[167:168], v[167:168], v[157:158], v[173:174]
	v_fma_f64 v[157:158], v[165:166], v[157:158], -v[175:176]
	v_add_f64_e32 v[171:172], v[171:172], v[179:180]
	v_add_f64_e32 v[173:174], v[163:164], v[177:178]
	scratch_load_b128 v[163:166], off, off offset:832
	v_fma_f64 v[177:178], v[4:5], v[38:39], v[169:170]
	v_fma_f64 v[179:180], v[2:3], v[38:39], -v[40:41]
	ds_load_b128 v[2:5], v1 offset:1584
	s_wait_loadcnt_dscnt 0x801
	v_mul_f64_e32 v[175:176], v[159:160], v[8:9]
	v_mul_f64_e32 v[8:9], v[161:162], v[8:9]
	scratch_load_b128 v[38:41], off, off offset:848
	v_add_f64_e32 v[157:158], v[171:172], v[157:158]
	v_add_f64_e32 v[171:172], v[173:174], v[167:168]
	s_wait_loadcnt_dscnt 0x800
	v_mul_f64_e32 v[173:174], v[2:3], v[12:13]
	v_mul_f64_e32 v[12:13], v[4:5], v[12:13]
	ds_load_b128 v[167:170], v1 offset:1600
	v_fma_f64 v[161:162], v[161:162], v[6:7], v[175:176]
	v_fma_f64 v[159:160], v[159:160], v[6:7], -v[8:9]
	scratch_load_b128 v[6:9], off, off offset:864
	v_add_f64_e32 v[157:158], v[157:158], v[179:180]
	v_add_f64_e32 v[171:172], v[171:172], v[177:178]
	v_fma_f64 v[173:174], v[4:5], v[10:11], v[173:174]
	v_fma_f64 v[177:178], v[2:3], v[10:11], -v[12:13]
	ds_load_b128 v[2:5], v1 offset:1616
	s_wait_loadcnt_dscnt 0x801
	v_mul_f64_e32 v[175:176], v[167:168], v[16:17]
	v_mul_f64_e32 v[16:17], v[169:170], v[16:17]
	scratch_load_b128 v[10:13], off, off offset:880
	v_add_f64_e32 v[179:180], v[157:158], v[159:160]
	v_add_f64_e32 v[161:162], v[171:172], v[161:162]
	s_wait_loadcnt_dscnt 0x800
	v_mul_f64_e32 v[171:172], v[2:3], v[20:21]
	v_mul_f64_e32 v[20:21], v[4:5], v[20:21]
	ds_load_b128 v[157:160], v1 offset:1632
	v_fma_f64 v[169:170], v[169:170], v[14:15], v[175:176]
	v_fma_f64 v[14:15], v[167:168], v[14:15], -v[16:17]
	s_wait_loadcnt_dscnt 0x700
	v_mul_f64_e32 v[167:168], v[157:158], v[24:25]
	v_mul_f64_e32 v[24:25], v[159:160], v[24:25]
	v_add_f64_e32 v[16:17], v[179:180], v[177:178]
	v_add_f64_e32 v[161:162], v[161:162], v[173:174]
	v_fma_f64 v[171:172], v[4:5], v[18:19], v[171:172]
	v_fma_f64 v[18:19], v[2:3], v[18:19], -v[20:21]
	v_fma_f64 v[159:160], v[159:160], v[22:23], v[167:168]
	v_fma_f64 v[22:23], v[157:158], v[22:23], -v[24:25]
	v_add_f64_e32 v[20:21], v[16:17], v[14:15]
	v_add_f64_e32 v[161:162], v[161:162], v[169:170]
	ds_load_b128 v[2:5], v1 offset:1648
	ds_load_b128 v[14:17], v1 offset:1664
	s_wait_loadcnt_dscnt 0x601
	v_mul_f64_e32 v[169:170], v[2:3], v[28:29]
	v_mul_f64_e32 v[28:29], v[4:5], v[28:29]
	s_wait_loadcnt_dscnt 0x500
	v_mul_f64_e32 v[24:25], v[14:15], v[32:33]
	v_mul_f64_e32 v[32:33], v[16:17], v[32:33]
	v_add_f64_e32 v[18:19], v[20:21], v[18:19]
	v_add_f64_e32 v[20:21], v[161:162], v[171:172]
	v_fma_f64 v[157:158], v[4:5], v[26:27], v[169:170]
	v_fma_f64 v[26:27], v[2:3], v[26:27], -v[28:29]
	v_fma_f64 v[16:17], v[16:17], v[30:31], v[24:25]
	v_fma_f64 v[14:15], v[14:15], v[30:31], -v[32:33]
	v_add_f64_e32 v[22:23], v[18:19], v[22:23]
	v_add_f64_e32 v[28:29], v[20:21], v[159:160]
	ds_load_b128 v[2:5], v1 offset:1680
	ds_load_b128 v[18:21], v1 offset:1696
	s_wait_loadcnt_dscnt 0x401
	v_mul_f64_e32 v[159:160], v[2:3], v[36:37]
	v_mul_f64_e32 v[36:37], v[4:5], v[36:37]
	v_add_f64_e32 v[22:23], v[22:23], v[26:27]
	v_add_f64_e32 v[24:25], v[28:29], v[157:158]
	s_wait_loadcnt_dscnt 0x300
	v_mul_f64_e32 v[26:27], v[18:19], v[165:166]
	v_mul_f64_e32 v[28:29], v[20:21], v[165:166]
	v_fma_f64 v[30:31], v[4:5], v[34:35], v[159:160]
	v_fma_f64 v[32:33], v[2:3], v[34:35], -v[36:37]
	v_add_f64_e32 v[22:23], v[22:23], v[14:15]
	v_add_f64_e32 v[24:25], v[24:25], v[16:17]
	ds_load_b128 v[2:5], v1 offset:1712
	ds_load_b128 v[14:17], v1 offset:1728
	v_fma_f64 v[20:21], v[20:21], v[163:164], v[26:27]
	v_fma_f64 v[18:19], v[18:19], v[163:164], -v[28:29]
	s_wait_loadcnt_dscnt 0x201
	v_mul_f64_e32 v[34:35], v[2:3], v[40:41]
	v_mul_f64_e32 v[36:37], v[4:5], v[40:41]
	s_wait_loadcnt_dscnt 0x100
	v_mul_f64_e32 v[26:27], v[14:15], v[8:9]
	v_mul_f64_e32 v[8:9], v[16:17], v[8:9]
	v_add_f64_e32 v[22:23], v[22:23], v[32:33]
	v_add_f64_e32 v[24:25], v[24:25], v[30:31]
	v_fma_f64 v[28:29], v[4:5], v[38:39], v[34:35]
	v_fma_f64 v[30:31], v[2:3], v[38:39], -v[36:37]
	ds_load_b128 v[2:5], v1 offset:1744
	v_fma_f64 v[16:17], v[16:17], v[6:7], v[26:27]
	v_fma_f64 v[6:7], v[14:15], v[6:7], -v[8:9]
	v_add_f64_e32 v[18:19], v[22:23], v[18:19]
	v_add_f64_e32 v[20:21], v[24:25], v[20:21]
	s_wait_loadcnt_dscnt 0x0
	v_mul_f64_e32 v[22:23], v[2:3], v[12:13]
	v_mul_f64_e32 v[12:13], v[4:5], v[12:13]
	s_delay_alu instid0(VALU_DEP_4) | instskip(NEXT) | instid1(VALU_DEP_4)
	v_add_f64_e32 v[8:9], v[18:19], v[30:31]
	v_add_f64_e32 v[14:15], v[20:21], v[28:29]
	s_delay_alu instid0(VALU_DEP_4) | instskip(NEXT) | instid1(VALU_DEP_4)
	v_fma_f64 v[4:5], v[4:5], v[10:11], v[22:23]
	v_fma_f64 v[2:3], v[2:3], v[10:11], -v[12:13]
	s_delay_alu instid0(VALU_DEP_4) | instskip(NEXT) | instid1(VALU_DEP_4)
	v_add_f64_e32 v[6:7], v[8:9], v[6:7]
	v_add_f64_e32 v[8:9], v[14:15], v[16:17]
	s_delay_alu instid0(VALU_DEP_2) | instskip(NEXT) | instid1(VALU_DEP_2)
	v_add_f64_e32 v[2:3], v[6:7], v[2:3]
	v_add_f64_e32 v[4:5], v[8:9], v[4:5]
	s_delay_alu instid0(VALU_DEP_2) | instskip(NEXT) | instid1(VALU_DEP_2)
	v_add_f64_e64 v[2:3], v[42:43], -v[2:3]
	v_add_f64_e64 v[4:5], v[44:45], -v[4:5]
	scratch_store_b128 off, v[2:5], off offset:192
	v_cmpx_lt_u32_e32 10, v0
	s_cbranch_execz .LBB54_323
; %bb.322:
	scratch_load_b128 v[5:8], off, s58
	v_dual_mov_b32 v2, v1 :: v_dual_mov_b32 v3, v1
	v_mov_b32_e32 v4, v1
	scratch_store_b128 off, v[1:4], off offset:176
	s_wait_loadcnt 0x0
	ds_store_b128 v156, v[5:8]
.LBB54_323:
	s_wait_alu 0xfffe
	s_or_b32 exec_lo, exec_lo, s0
	s_wait_storecnt_dscnt 0x0
	s_barrier_signal -1
	s_barrier_wait -1
	global_inv scope:SCOPE_SE
	s_clause 0x8
	scratch_load_b128 v[2:5], off, off offset:192
	scratch_load_b128 v[6:9], off, off offset:208
	;; [unrolled: 1-line block ×9, first 2 shown]
	ds_load_b128 v[42:45], v1 offset:1056
	ds_load_b128 v[38:41], v1 offset:1072
	s_clause 0x1
	scratch_load_b128 v[157:160], off, off offset:176
	scratch_load_b128 v[161:164], off, off offset:336
	s_mov_b32 s0, exec_lo
	s_wait_loadcnt_dscnt 0xa01
	v_mul_f64_e32 v[165:166], v[44:45], v[4:5]
	v_mul_f64_e32 v[4:5], v[42:43], v[4:5]
	s_wait_loadcnt_dscnt 0x900
	v_mul_f64_e32 v[169:170], v[38:39], v[8:9]
	v_mul_f64_e32 v[8:9], v[40:41], v[8:9]
	s_delay_alu instid0(VALU_DEP_4) | instskip(NEXT) | instid1(VALU_DEP_4)
	v_fma_f64 v[171:172], v[42:43], v[2:3], -v[165:166]
	v_fma_f64 v[173:174], v[44:45], v[2:3], v[4:5]
	ds_load_b128 v[2:5], v1 offset:1088
	ds_load_b128 v[165:168], v1 offset:1104
	scratch_load_b128 v[42:45], off, off offset:352
	v_fma_f64 v[40:41], v[40:41], v[6:7], v[169:170]
	v_fma_f64 v[38:39], v[38:39], v[6:7], -v[8:9]
	scratch_load_b128 v[6:9], off, off offset:368
	s_wait_loadcnt_dscnt 0xa01
	v_mul_f64_e32 v[175:176], v[2:3], v[12:13]
	v_mul_f64_e32 v[12:13], v[4:5], v[12:13]
	v_add_f64_e32 v[169:170], 0, v[171:172]
	v_add_f64_e32 v[171:172], 0, v[173:174]
	s_wait_loadcnt_dscnt 0x900
	v_mul_f64_e32 v[173:174], v[165:166], v[16:17]
	v_mul_f64_e32 v[16:17], v[167:168], v[16:17]
	v_fma_f64 v[175:176], v[4:5], v[10:11], v[175:176]
	v_fma_f64 v[177:178], v[2:3], v[10:11], -v[12:13]
	ds_load_b128 v[2:5], v1 offset:1120
	scratch_load_b128 v[10:13], off, off offset:384
	v_add_f64_e32 v[169:170], v[169:170], v[38:39]
	v_add_f64_e32 v[171:172], v[171:172], v[40:41]
	ds_load_b128 v[38:41], v1 offset:1136
	v_fma_f64 v[167:168], v[167:168], v[14:15], v[173:174]
	v_fma_f64 v[165:166], v[165:166], v[14:15], -v[16:17]
	scratch_load_b128 v[14:17], off, off offset:400
	s_wait_loadcnt_dscnt 0xa01
	v_mul_f64_e32 v[179:180], v[2:3], v[20:21]
	v_mul_f64_e32 v[20:21], v[4:5], v[20:21]
	s_wait_loadcnt_dscnt 0x900
	v_mul_f64_e32 v[173:174], v[38:39], v[24:25]
	v_mul_f64_e32 v[24:25], v[40:41], v[24:25]
	v_add_f64_e32 v[169:170], v[169:170], v[177:178]
	v_add_f64_e32 v[171:172], v[171:172], v[175:176]
	v_fma_f64 v[175:176], v[4:5], v[18:19], v[179:180]
	v_fma_f64 v[177:178], v[2:3], v[18:19], -v[20:21]
	ds_load_b128 v[2:5], v1 offset:1152
	scratch_load_b128 v[18:21], off, off offset:416
	v_fma_f64 v[40:41], v[40:41], v[22:23], v[173:174]
	v_fma_f64 v[38:39], v[38:39], v[22:23], -v[24:25]
	scratch_load_b128 v[22:25], off, off offset:432
	v_add_f64_e32 v[169:170], v[169:170], v[165:166]
	v_add_f64_e32 v[171:172], v[171:172], v[167:168]
	ds_load_b128 v[165:168], v1 offset:1168
	s_wait_loadcnt_dscnt 0xa01
	v_mul_f64_e32 v[179:180], v[2:3], v[28:29]
	v_mul_f64_e32 v[28:29], v[4:5], v[28:29]
	s_wait_loadcnt_dscnt 0x900
	v_mul_f64_e32 v[173:174], v[165:166], v[32:33]
	v_mul_f64_e32 v[32:33], v[167:168], v[32:33]
	v_add_f64_e32 v[169:170], v[169:170], v[177:178]
	v_add_f64_e32 v[171:172], v[171:172], v[175:176]
	v_fma_f64 v[175:176], v[4:5], v[26:27], v[179:180]
	v_fma_f64 v[177:178], v[2:3], v[26:27], -v[28:29]
	ds_load_b128 v[2:5], v1 offset:1184
	scratch_load_b128 v[26:29], off, off offset:448
	v_fma_f64 v[167:168], v[167:168], v[30:31], v[173:174]
	v_fma_f64 v[165:166], v[165:166], v[30:31], -v[32:33]
	scratch_load_b128 v[30:33], off, off offset:464
	v_add_f64_e32 v[169:170], v[169:170], v[38:39]
	v_add_f64_e32 v[171:172], v[171:172], v[40:41]
	ds_load_b128 v[38:41], v1 offset:1200
	s_wait_loadcnt_dscnt 0xa01
	v_mul_f64_e32 v[179:180], v[2:3], v[36:37]
	v_mul_f64_e32 v[36:37], v[4:5], v[36:37]
	s_wait_loadcnt_dscnt 0x800
	v_mul_f64_e32 v[173:174], v[38:39], v[163:164]
	v_add_f64_e32 v[169:170], v[169:170], v[177:178]
	v_add_f64_e32 v[171:172], v[171:172], v[175:176]
	v_mul_f64_e32 v[175:176], v[40:41], v[163:164]
	v_fma_f64 v[177:178], v[4:5], v[34:35], v[179:180]
	v_fma_f64 v[179:180], v[2:3], v[34:35], -v[36:37]
	ds_load_b128 v[2:5], v1 offset:1216
	scratch_load_b128 v[34:37], off, off offset:480
	v_fma_f64 v[173:174], v[40:41], v[161:162], v[173:174]
	v_add_f64_e32 v[169:170], v[169:170], v[165:166]
	v_add_f64_e32 v[167:168], v[171:172], v[167:168]
	ds_load_b128 v[163:166], v1 offset:1232
	v_fma_f64 v[161:162], v[38:39], v[161:162], -v[175:176]
	scratch_load_b128 v[38:41], off, off offset:496
	s_wait_loadcnt_dscnt 0x901
	v_mul_f64_e32 v[171:172], v[2:3], v[44:45]
	v_mul_f64_e32 v[44:45], v[4:5], v[44:45]
	s_wait_loadcnt_dscnt 0x800
	v_mul_f64_e32 v[175:176], v[163:164], v[8:9]
	v_mul_f64_e32 v[8:9], v[165:166], v[8:9]
	v_add_f64_e32 v[169:170], v[169:170], v[179:180]
	v_add_f64_e32 v[167:168], v[167:168], v[177:178]
	v_fma_f64 v[171:172], v[4:5], v[42:43], v[171:172]
	v_fma_f64 v[177:178], v[2:3], v[42:43], -v[44:45]
	ds_load_b128 v[2:5], v1 offset:1248
	scratch_load_b128 v[42:45], off, off offset:512
	v_fma_f64 v[165:166], v[165:166], v[6:7], v[175:176]
	v_fma_f64 v[163:164], v[163:164], v[6:7], -v[8:9]
	scratch_load_b128 v[6:9], off, off offset:528
	v_add_f64_e32 v[161:162], v[169:170], v[161:162]
	v_add_f64_e32 v[173:174], v[167:168], v[173:174]
	ds_load_b128 v[167:170], v1 offset:1264
	s_wait_loadcnt_dscnt 0x901
	v_mul_f64_e32 v[179:180], v[2:3], v[12:13]
	v_mul_f64_e32 v[12:13], v[4:5], v[12:13]
	v_add_f64_e32 v[161:162], v[161:162], v[177:178]
	v_add_f64_e32 v[171:172], v[173:174], v[171:172]
	s_wait_loadcnt_dscnt 0x800
	v_mul_f64_e32 v[173:174], v[167:168], v[16:17]
	v_mul_f64_e32 v[16:17], v[169:170], v[16:17]
	v_fma_f64 v[175:176], v[4:5], v[10:11], v[179:180]
	v_fma_f64 v[177:178], v[2:3], v[10:11], -v[12:13]
	ds_load_b128 v[2:5], v1 offset:1280
	scratch_load_b128 v[10:13], off, off offset:544
	v_add_f64_e32 v[179:180], v[161:162], v[163:164]
	v_add_f64_e32 v[165:166], v[171:172], v[165:166]
	ds_load_b128 v[161:164], v1 offset:1296
	s_wait_loadcnt_dscnt 0x801
	v_mul_f64_e32 v[171:172], v[2:3], v[20:21]
	v_mul_f64_e32 v[20:21], v[4:5], v[20:21]
	v_fma_f64 v[169:170], v[169:170], v[14:15], v[173:174]
	v_fma_f64 v[167:168], v[167:168], v[14:15], -v[16:17]
	scratch_load_b128 v[14:17], off, off offset:560
	v_add_f64_e32 v[173:174], v[179:180], v[177:178]
	v_add_f64_e32 v[165:166], v[165:166], v[175:176]
	s_wait_loadcnt_dscnt 0x800
	v_mul_f64_e32 v[175:176], v[161:162], v[24:25]
	v_mul_f64_e32 v[24:25], v[163:164], v[24:25]
	v_fma_f64 v[171:172], v[4:5], v[18:19], v[171:172]
	v_fma_f64 v[177:178], v[2:3], v[18:19], -v[20:21]
	ds_load_b128 v[2:5], v1 offset:1312
	scratch_load_b128 v[18:21], off, off offset:576
	v_add_f64_e32 v[173:174], v[173:174], v[167:168]
	v_add_f64_e32 v[169:170], v[165:166], v[169:170]
	ds_load_b128 v[165:168], v1 offset:1328
	s_wait_loadcnt_dscnt 0x801
	v_mul_f64_e32 v[179:180], v[2:3], v[28:29]
	v_mul_f64_e32 v[28:29], v[4:5], v[28:29]
	v_fma_f64 v[163:164], v[163:164], v[22:23], v[175:176]
	v_fma_f64 v[161:162], v[161:162], v[22:23], -v[24:25]
	scratch_load_b128 v[22:25], off, off offset:592
	;; [unrolled: 18-line block ×4, first 2 shown]
	s_wait_loadcnt_dscnt 0x800
	v_mul_f64_e32 v[173:174], v[165:166], v[8:9]
	v_mul_f64_e32 v[8:9], v[167:168], v[8:9]
	v_add_f64_e32 v[171:172], v[171:172], v[177:178]
	v_add_f64_e32 v[169:170], v[169:170], v[175:176]
	v_fma_f64 v[175:176], v[4:5], v[42:43], v[179:180]
	v_fma_f64 v[177:178], v[2:3], v[42:43], -v[44:45]
	ds_load_b128 v[2:5], v1 offset:1408
	scratch_load_b128 v[42:45], off, off offset:672
	v_fma_f64 v[167:168], v[167:168], v[6:7], v[173:174]
	v_fma_f64 v[165:166], v[165:166], v[6:7], -v[8:9]
	scratch_load_b128 v[6:9], off, off offset:688
	v_add_f64_e32 v[171:172], v[171:172], v[161:162]
	v_add_f64_e32 v[169:170], v[169:170], v[163:164]
	ds_load_b128 v[161:164], v1 offset:1424
	s_wait_loadcnt_dscnt 0x901
	v_mul_f64_e32 v[179:180], v[2:3], v[12:13]
	v_mul_f64_e32 v[12:13], v[4:5], v[12:13]
	s_wait_loadcnt_dscnt 0x800
	v_mul_f64_e32 v[173:174], v[161:162], v[16:17]
	v_mul_f64_e32 v[16:17], v[163:164], v[16:17]
	v_add_f64_e32 v[171:172], v[171:172], v[177:178]
	v_add_f64_e32 v[169:170], v[169:170], v[175:176]
	v_fma_f64 v[175:176], v[4:5], v[10:11], v[179:180]
	v_fma_f64 v[177:178], v[2:3], v[10:11], -v[12:13]
	ds_load_b128 v[2:5], v1 offset:1440
	scratch_load_b128 v[10:13], off, off offset:704
	v_fma_f64 v[163:164], v[163:164], v[14:15], v[173:174]
	v_fma_f64 v[161:162], v[161:162], v[14:15], -v[16:17]
	scratch_load_b128 v[14:17], off, off offset:720
	v_add_f64_e32 v[171:172], v[171:172], v[165:166]
	v_add_f64_e32 v[169:170], v[169:170], v[167:168]
	ds_load_b128 v[165:168], v1 offset:1456
	s_wait_loadcnt_dscnt 0x901
	v_mul_f64_e32 v[179:180], v[2:3], v[20:21]
	v_mul_f64_e32 v[20:21], v[4:5], v[20:21]
	;; [unrolled: 18-line block ×7, first 2 shown]
	s_wait_loadcnt_dscnt 0x800
	v_mul_f64_e32 v[173:174], v[161:162], v[24:25]
	v_mul_f64_e32 v[24:25], v[163:164], v[24:25]
	v_add_f64_e32 v[171:172], v[171:172], v[177:178]
	v_add_f64_e32 v[169:170], v[169:170], v[175:176]
	v_fma_f64 v[175:176], v[4:5], v[18:19], v[179:180]
	v_fma_f64 v[177:178], v[2:3], v[18:19], -v[20:21]
	ds_load_b128 v[2:5], v1 offset:1632
	ds_load_b128 v[18:21], v1 offset:1648
	v_fma_f64 v[163:164], v[163:164], v[22:23], v[173:174]
	v_fma_f64 v[22:23], v[161:162], v[22:23], -v[24:25]
	v_add_f64_e32 v[165:166], v[171:172], v[165:166]
	v_add_f64_e32 v[167:168], v[169:170], v[167:168]
	s_wait_loadcnt_dscnt 0x701
	v_mul_f64_e32 v[169:170], v[2:3], v[28:29]
	v_mul_f64_e32 v[28:29], v[4:5], v[28:29]
	s_delay_alu instid0(VALU_DEP_4) | instskip(NEXT) | instid1(VALU_DEP_4)
	v_add_f64_e32 v[24:25], v[165:166], v[177:178]
	v_add_f64_e32 v[161:162], v[167:168], v[175:176]
	s_wait_loadcnt_dscnt 0x600
	v_mul_f64_e32 v[165:166], v[18:19], v[32:33]
	v_mul_f64_e32 v[32:33], v[20:21], v[32:33]
	v_fma_f64 v[167:168], v[4:5], v[26:27], v[169:170]
	v_fma_f64 v[26:27], v[2:3], v[26:27], -v[28:29]
	v_add_f64_e32 v[28:29], v[24:25], v[22:23]
	v_add_f64_e32 v[161:162], v[161:162], v[163:164]
	ds_load_b128 v[2:5], v1 offset:1664
	ds_load_b128 v[22:25], v1 offset:1680
	v_fma_f64 v[20:21], v[20:21], v[30:31], v[165:166]
	v_fma_f64 v[18:19], v[18:19], v[30:31], -v[32:33]
	s_wait_loadcnt_dscnt 0x501
	v_mul_f64_e32 v[163:164], v[2:3], v[36:37]
	v_mul_f64_e32 v[36:37], v[4:5], v[36:37]
	s_wait_loadcnt_dscnt 0x400
	v_mul_f64_e32 v[30:31], v[22:23], v[40:41]
	v_mul_f64_e32 v[32:33], v[24:25], v[40:41]
	v_add_f64_e32 v[26:27], v[28:29], v[26:27]
	v_add_f64_e32 v[28:29], v[161:162], v[167:168]
	v_fma_f64 v[40:41], v[4:5], v[34:35], v[163:164]
	v_fma_f64 v[34:35], v[2:3], v[34:35], -v[36:37]
	v_fma_f64 v[24:25], v[24:25], v[38:39], v[30:31]
	v_fma_f64 v[22:23], v[22:23], v[38:39], -v[32:33]
	v_add_f64_e32 v[26:27], v[26:27], v[18:19]
	v_add_f64_e32 v[28:29], v[28:29], v[20:21]
	ds_load_b128 v[2:5], v1 offset:1696
	ds_load_b128 v[18:21], v1 offset:1712
	s_wait_loadcnt_dscnt 0x301
	v_mul_f64_e32 v[36:37], v[2:3], v[44:45]
	v_mul_f64_e32 v[44:45], v[4:5], v[44:45]
	s_wait_loadcnt_dscnt 0x200
	v_mul_f64_e32 v[30:31], v[18:19], v[8:9]
	v_mul_f64_e32 v[8:9], v[20:21], v[8:9]
	v_add_f64_e32 v[26:27], v[26:27], v[34:35]
	v_add_f64_e32 v[28:29], v[28:29], v[40:41]
	v_fma_f64 v[32:33], v[4:5], v[42:43], v[36:37]
	v_fma_f64 v[34:35], v[2:3], v[42:43], -v[44:45]
	v_fma_f64 v[20:21], v[20:21], v[6:7], v[30:31]
	v_fma_f64 v[6:7], v[18:19], v[6:7], -v[8:9]
	v_add_f64_e32 v[26:27], v[26:27], v[22:23]
	v_add_f64_e32 v[28:29], v[28:29], v[24:25]
	ds_load_b128 v[2:5], v1 offset:1728
	ds_load_b128 v[22:25], v1 offset:1744
	s_wait_loadcnt_dscnt 0x101
	v_mul_f64_e32 v[36:37], v[2:3], v[12:13]
	v_mul_f64_e32 v[12:13], v[4:5], v[12:13]
	v_add_f64_e32 v[8:9], v[26:27], v[34:35]
	v_add_f64_e32 v[18:19], v[28:29], v[32:33]
	s_wait_loadcnt_dscnt 0x0
	v_mul_f64_e32 v[26:27], v[22:23], v[16:17]
	v_mul_f64_e32 v[16:17], v[24:25], v[16:17]
	v_fma_f64 v[4:5], v[4:5], v[10:11], v[36:37]
	v_fma_f64 v[1:2], v[2:3], v[10:11], -v[12:13]
	v_add_f64_e32 v[6:7], v[8:9], v[6:7]
	v_add_f64_e32 v[8:9], v[18:19], v[20:21]
	v_fma_f64 v[10:11], v[24:25], v[14:15], v[26:27]
	v_fma_f64 v[12:13], v[22:23], v[14:15], -v[16:17]
	s_delay_alu instid0(VALU_DEP_4) | instskip(NEXT) | instid1(VALU_DEP_4)
	v_add_f64_e32 v[1:2], v[6:7], v[1:2]
	v_add_f64_e32 v[3:4], v[8:9], v[4:5]
	s_delay_alu instid0(VALU_DEP_2) | instskip(NEXT) | instid1(VALU_DEP_2)
	v_add_f64_e32 v[1:2], v[1:2], v[12:13]
	v_add_f64_e32 v[3:4], v[3:4], v[10:11]
	s_delay_alu instid0(VALU_DEP_2) | instskip(NEXT) | instid1(VALU_DEP_2)
	v_add_f64_e64 v[1:2], v[157:158], -v[1:2]
	v_add_f64_e64 v[3:4], v[159:160], -v[3:4]
	scratch_store_b128 off, v[1:4], off offset:176
	v_cmpx_lt_u32_e32 9, v0
	s_cbranch_execz .LBB54_325
; %bb.324:
	scratch_load_b128 v[1:4], off, s59
	v_mov_b32_e32 v5, 0
	s_delay_alu instid0(VALU_DEP_1)
	v_dual_mov_b32 v6, v5 :: v_dual_mov_b32 v7, v5
	v_mov_b32_e32 v8, v5
	scratch_store_b128 off, v[5:8], off offset:160
	s_wait_loadcnt 0x0
	ds_store_b128 v156, v[1:4]
.LBB54_325:
	s_wait_alu 0xfffe
	s_or_b32 exec_lo, exec_lo, s0
	s_wait_storecnt_dscnt 0x0
	s_barrier_signal -1
	s_barrier_wait -1
	global_inv scope:SCOPE_SE
	s_clause 0x7
	scratch_load_b128 v[2:5], off, off offset:176
	scratch_load_b128 v[6:9], off, off offset:192
	;; [unrolled: 1-line block ×8, first 2 shown]
	v_mov_b32_e32 v1, 0
	s_mov_b32 s0, exec_lo
	ds_load_b128 v[38:41], v1 offset:1040
	s_clause 0x1
	scratch_load_b128 v[34:37], off, off offset:304
	scratch_load_b128 v[42:45], off, off offset:160
	ds_load_b128 v[157:160], v1 offset:1056
	scratch_load_b128 v[161:164], off, off offset:320
	s_wait_loadcnt_dscnt 0xa01
	v_mul_f64_e32 v[165:166], v[40:41], v[4:5]
	v_mul_f64_e32 v[4:5], v[38:39], v[4:5]
	s_delay_alu instid0(VALU_DEP_2) | instskip(NEXT) | instid1(VALU_DEP_2)
	v_fma_f64 v[171:172], v[38:39], v[2:3], -v[165:166]
	v_fma_f64 v[173:174], v[40:41], v[2:3], v[4:5]
	ds_load_b128 v[2:5], v1 offset:1072
	s_wait_loadcnt_dscnt 0x901
	v_mul_f64_e32 v[169:170], v[157:158], v[8:9]
	v_mul_f64_e32 v[8:9], v[159:160], v[8:9]
	scratch_load_b128 v[38:41], off, off offset:336
	ds_load_b128 v[165:168], v1 offset:1088
	s_wait_loadcnt_dscnt 0x901
	v_mul_f64_e32 v[175:176], v[2:3], v[12:13]
	v_mul_f64_e32 v[12:13], v[4:5], v[12:13]
	v_fma_f64 v[159:160], v[159:160], v[6:7], v[169:170]
	v_fma_f64 v[157:158], v[157:158], v[6:7], -v[8:9]
	v_add_f64_e32 v[169:170], 0, v[171:172]
	v_add_f64_e32 v[171:172], 0, v[173:174]
	scratch_load_b128 v[6:9], off, off offset:352
	v_fma_f64 v[175:176], v[4:5], v[10:11], v[175:176]
	v_fma_f64 v[177:178], v[2:3], v[10:11], -v[12:13]
	ds_load_b128 v[2:5], v1 offset:1104
	s_wait_loadcnt_dscnt 0x901
	v_mul_f64_e32 v[173:174], v[165:166], v[16:17]
	v_mul_f64_e32 v[16:17], v[167:168], v[16:17]
	scratch_load_b128 v[10:13], off, off offset:368
	v_add_f64_e32 v[169:170], v[169:170], v[157:158]
	v_add_f64_e32 v[171:172], v[171:172], v[159:160]
	s_wait_loadcnt_dscnt 0x900
	v_mul_f64_e32 v[179:180], v[2:3], v[20:21]
	v_mul_f64_e32 v[20:21], v[4:5], v[20:21]
	ds_load_b128 v[157:160], v1 offset:1120
	v_fma_f64 v[167:168], v[167:168], v[14:15], v[173:174]
	v_fma_f64 v[165:166], v[165:166], v[14:15], -v[16:17]
	scratch_load_b128 v[14:17], off, off offset:384
	v_add_f64_e32 v[169:170], v[169:170], v[177:178]
	v_add_f64_e32 v[171:172], v[171:172], v[175:176]
	v_fma_f64 v[175:176], v[4:5], v[18:19], v[179:180]
	v_fma_f64 v[177:178], v[2:3], v[18:19], -v[20:21]
	ds_load_b128 v[2:5], v1 offset:1136
	s_wait_loadcnt_dscnt 0x901
	v_mul_f64_e32 v[173:174], v[157:158], v[24:25]
	v_mul_f64_e32 v[24:25], v[159:160], v[24:25]
	scratch_load_b128 v[18:21], off, off offset:400
	s_wait_loadcnt_dscnt 0x900
	v_mul_f64_e32 v[179:180], v[2:3], v[28:29]
	v_mul_f64_e32 v[28:29], v[4:5], v[28:29]
	v_add_f64_e32 v[169:170], v[169:170], v[165:166]
	v_add_f64_e32 v[171:172], v[171:172], v[167:168]
	ds_load_b128 v[165:168], v1 offset:1152
	v_fma_f64 v[159:160], v[159:160], v[22:23], v[173:174]
	v_fma_f64 v[157:158], v[157:158], v[22:23], -v[24:25]
	scratch_load_b128 v[22:25], off, off offset:416
	v_add_f64_e32 v[169:170], v[169:170], v[177:178]
	v_add_f64_e32 v[171:172], v[171:172], v[175:176]
	v_fma_f64 v[175:176], v[4:5], v[26:27], v[179:180]
	v_fma_f64 v[177:178], v[2:3], v[26:27], -v[28:29]
	ds_load_b128 v[2:5], v1 offset:1168
	s_wait_loadcnt_dscnt 0x901
	v_mul_f64_e32 v[173:174], v[165:166], v[32:33]
	v_mul_f64_e32 v[32:33], v[167:168], v[32:33]
	scratch_load_b128 v[26:29], off, off offset:432
	s_wait_loadcnt_dscnt 0x900
	v_mul_f64_e32 v[179:180], v[2:3], v[36:37]
	v_mul_f64_e32 v[36:37], v[4:5], v[36:37]
	v_add_f64_e32 v[169:170], v[169:170], v[157:158]
	v_add_f64_e32 v[171:172], v[171:172], v[159:160]
	ds_load_b128 v[157:160], v1 offset:1184
	v_fma_f64 v[167:168], v[167:168], v[30:31], v[173:174]
	v_fma_f64 v[165:166], v[165:166], v[30:31], -v[32:33]
	scratch_load_b128 v[30:33], off, off offset:448
	v_add_f64_e32 v[169:170], v[169:170], v[177:178]
	v_add_f64_e32 v[171:172], v[171:172], v[175:176]
	v_fma_f64 v[177:178], v[4:5], v[34:35], v[179:180]
	v_fma_f64 v[179:180], v[2:3], v[34:35], -v[36:37]
	ds_load_b128 v[2:5], v1 offset:1200
	s_wait_loadcnt_dscnt 0x801
	v_mul_f64_e32 v[173:174], v[157:158], v[163:164]
	v_mul_f64_e32 v[175:176], v[159:160], v[163:164]
	scratch_load_b128 v[34:37], off, off offset:464
	v_add_f64_e32 v[169:170], v[169:170], v[165:166]
	v_add_f64_e32 v[167:168], v[171:172], v[167:168]
	ds_load_b128 v[163:166], v1 offset:1216
	v_fma_f64 v[173:174], v[159:160], v[161:162], v[173:174]
	v_fma_f64 v[161:162], v[157:158], v[161:162], -v[175:176]
	scratch_load_b128 v[157:160], off, off offset:480
	s_wait_loadcnt_dscnt 0x901
	v_mul_f64_e32 v[171:172], v[2:3], v[40:41]
	v_mul_f64_e32 v[40:41], v[4:5], v[40:41]
	v_add_f64_e32 v[169:170], v[169:170], v[179:180]
	v_add_f64_e32 v[167:168], v[167:168], v[177:178]
	s_delay_alu instid0(VALU_DEP_4) | instskip(NEXT) | instid1(VALU_DEP_4)
	v_fma_f64 v[171:172], v[4:5], v[38:39], v[171:172]
	v_fma_f64 v[177:178], v[2:3], v[38:39], -v[40:41]
	ds_load_b128 v[2:5], v1 offset:1232
	s_wait_loadcnt_dscnt 0x801
	v_mul_f64_e32 v[175:176], v[163:164], v[8:9]
	v_mul_f64_e32 v[8:9], v[165:166], v[8:9]
	scratch_load_b128 v[38:41], off, off offset:496
	s_wait_loadcnt_dscnt 0x800
	v_mul_f64_e32 v[179:180], v[2:3], v[12:13]
	v_add_f64_e32 v[161:162], v[169:170], v[161:162]
	v_add_f64_e32 v[173:174], v[167:168], v[173:174]
	v_mul_f64_e32 v[12:13], v[4:5], v[12:13]
	ds_load_b128 v[167:170], v1 offset:1248
	v_fma_f64 v[165:166], v[165:166], v[6:7], v[175:176]
	v_fma_f64 v[163:164], v[163:164], v[6:7], -v[8:9]
	scratch_load_b128 v[6:9], off, off offset:512
	v_fma_f64 v[175:176], v[4:5], v[10:11], v[179:180]
	v_add_f64_e32 v[161:162], v[161:162], v[177:178]
	v_add_f64_e32 v[171:172], v[173:174], v[171:172]
	v_fma_f64 v[177:178], v[2:3], v[10:11], -v[12:13]
	ds_load_b128 v[2:5], v1 offset:1264
	s_wait_loadcnt_dscnt 0x801
	v_mul_f64_e32 v[173:174], v[167:168], v[16:17]
	v_mul_f64_e32 v[16:17], v[169:170], v[16:17]
	scratch_load_b128 v[10:13], off, off offset:528
	v_add_f64_e32 v[179:180], v[161:162], v[163:164]
	v_add_f64_e32 v[165:166], v[171:172], v[165:166]
	s_wait_loadcnt_dscnt 0x800
	v_mul_f64_e32 v[171:172], v[2:3], v[20:21]
	v_mul_f64_e32 v[20:21], v[4:5], v[20:21]
	v_fma_f64 v[169:170], v[169:170], v[14:15], v[173:174]
	v_fma_f64 v[167:168], v[167:168], v[14:15], -v[16:17]
	ds_load_b128 v[161:164], v1 offset:1280
	scratch_load_b128 v[14:17], off, off offset:544
	v_add_f64_e32 v[173:174], v[179:180], v[177:178]
	v_add_f64_e32 v[165:166], v[165:166], v[175:176]
	v_fma_f64 v[171:172], v[4:5], v[18:19], v[171:172]
	v_fma_f64 v[177:178], v[2:3], v[18:19], -v[20:21]
	ds_load_b128 v[2:5], v1 offset:1296
	s_wait_loadcnt_dscnt 0x801
	v_mul_f64_e32 v[175:176], v[161:162], v[24:25]
	v_mul_f64_e32 v[24:25], v[163:164], v[24:25]
	scratch_load_b128 v[18:21], off, off offset:560
	s_wait_loadcnt_dscnt 0x800
	v_mul_f64_e32 v[179:180], v[2:3], v[28:29]
	v_mul_f64_e32 v[28:29], v[4:5], v[28:29]
	v_add_f64_e32 v[173:174], v[173:174], v[167:168]
	v_add_f64_e32 v[169:170], v[165:166], v[169:170]
	ds_load_b128 v[165:168], v1 offset:1312
	v_fma_f64 v[163:164], v[163:164], v[22:23], v[175:176]
	v_fma_f64 v[161:162], v[161:162], v[22:23], -v[24:25]
	scratch_load_b128 v[22:25], off, off offset:576
	v_fma_f64 v[175:176], v[4:5], v[26:27], v[179:180]
	v_add_f64_e32 v[173:174], v[173:174], v[177:178]
	v_add_f64_e32 v[169:170], v[169:170], v[171:172]
	v_fma_f64 v[177:178], v[2:3], v[26:27], -v[28:29]
	ds_load_b128 v[2:5], v1 offset:1328
	s_wait_loadcnt_dscnt 0x801
	v_mul_f64_e32 v[171:172], v[165:166], v[32:33]
	v_mul_f64_e32 v[32:33], v[167:168], v[32:33]
	scratch_load_b128 v[26:29], off, off offset:592
	s_wait_loadcnt_dscnt 0x800
	v_mul_f64_e32 v[179:180], v[2:3], v[36:37]
	v_mul_f64_e32 v[36:37], v[4:5], v[36:37]
	v_add_f64_e32 v[173:174], v[173:174], v[161:162]
	v_add_f64_e32 v[169:170], v[169:170], v[163:164]
	ds_load_b128 v[161:164], v1 offset:1344
	v_fma_f64 v[167:168], v[167:168], v[30:31], v[171:172]
	v_fma_f64 v[165:166], v[165:166], v[30:31], -v[32:33]
	scratch_load_b128 v[30:33], off, off offset:608
	v_add_f64_e32 v[171:172], v[173:174], v[177:178]
	v_add_f64_e32 v[169:170], v[169:170], v[175:176]
	v_fma_f64 v[175:176], v[4:5], v[34:35], v[179:180]
	v_fma_f64 v[177:178], v[2:3], v[34:35], -v[36:37]
	ds_load_b128 v[2:5], v1 offset:1360
	s_wait_loadcnt_dscnt 0x801
	v_mul_f64_e32 v[173:174], v[161:162], v[159:160]
	v_mul_f64_e32 v[159:160], v[163:164], v[159:160]
	scratch_load_b128 v[34:37], off, off offset:624
	s_wait_loadcnt_dscnt 0x800
	v_mul_f64_e32 v[179:180], v[2:3], v[40:41]
	v_mul_f64_e32 v[40:41], v[4:5], v[40:41]
	v_add_f64_e32 v[171:172], v[171:172], v[165:166]
	v_add_f64_e32 v[169:170], v[169:170], v[167:168]
	ds_load_b128 v[165:168], v1 offset:1376
	v_fma_f64 v[163:164], v[163:164], v[157:158], v[173:174]
	v_fma_f64 v[161:162], v[161:162], v[157:158], -v[159:160]
	scratch_load_b128 v[157:160], off, off offset:640
	v_add_f64_e32 v[171:172], v[171:172], v[177:178]
	v_add_f64_e32 v[169:170], v[169:170], v[175:176]
	v_fma_f64 v[175:176], v[4:5], v[38:39], v[179:180]
	;; [unrolled: 18-line block ×6, first 2 shown]
	v_fma_f64 v[179:180], v[2:3], v[34:35], -v[36:37]
	ds_load_b128 v[2:5], v1 offset:1520
	s_wait_loadcnt_dscnt 0x801
	v_mul_f64_e32 v[173:174], v[165:166], v[159:160]
	v_mul_f64_e32 v[175:176], v[167:168], v[159:160]
	scratch_load_b128 v[34:37], off, off offset:784
	v_add_f64_e32 v[171:172], v[171:172], v[161:162]
	v_add_f64_e32 v[163:164], v[169:170], v[163:164]
	s_wait_loadcnt_dscnt 0x800
	v_mul_f64_e32 v[169:170], v[2:3], v[40:41]
	v_mul_f64_e32 v[40:41], v[4:5], v[40:41]
	ds_load_b128 v[159:162], v1 offset:1536
	v_fma_f64 v[167:168], v[167:168], v[157:158], v[173:174]
	v_fma_f64 v[157:158], v[165:166], v[157:158], -v[175:176]
	v_add_f64_e32 v[171:172], v[171:172], v[179:180]
	v_add_f64_e32 v[173:174], v[163:164], v[177:178]
	scratch_load_b128 v[163:166], off, off offset:800
	v_fma_f64 v[177:178], v[4:5], v[38:39], v[169:170]
	v_fma_f64 v[179:180], v[2:3], v[38:39], -v[40:41]
	ds_load_b128 v[2:5], v1 offset:1552
	s_wait_loadcnt_dscnt 0x801
	v_mul_f64_e32 v[175:176], v[159:160], v[8:9]
	v_mul_f64_e32 v[8:9], v[161:162], v[8:9]
	scratch_load_b128 v[38:41], off, off offset:816
	v_add_f64_e32 v[157:158], v[171:172], v[157:158]
	v_add_f64_e32 v[171:172], v[173:174], v[167:168]
	s_wait_loadcnt_dscnt 0x800
	v_mul_f64_e32 v[173:174], v[2:3], v[12:13]
	v_mul_f64_e32 v[12:13], v[4:5], v[12:13]
	ds_load_b128 v[167:170], v1 offset:1568
	v_fma_f64 v[161:162], v[161:162], v[6:7], v[175:176]
	v_fma_f64 v[159:160], v[159:160], v[6:7], -v[8:9]
	scratch_load_b128 v[6:9], off, off offset:832
	v_add_f64_e32 v[157:158], v[157:158], v[179:180]
	v_add_f64_e32 v[171:172], v[171:172], v[177:178]
	v_fma_f64 v[173:174], v[4:5], v[10:11], v[173:174]
	v_fma_f64 v[177:178], v[2:3], v[10:11], -v[12:13]
	ds_load_b128 v[2:5], v1 offset:1584
	s_wait_loadcnt_dscnt 0x801
	v_mul_f64_e32 v[175:176], v[167:168], v[16:17]
	v_mul_f64_e32 v[16:17], v[169:170], v[16:17]
	scratch_load_b128 v[10:13], off, off offset:848
	v_add_f64_e32 v[179:180], v[157:158], v[159:160]
	v_add_f64_e32 v[161:162], v[171:172], v[161:162]
	s_wait_loadcnt_dscnt 0x800
	v_mul_f64_e32 v[171:172], v[2:3], v[20:21]
	v_mul_f64_e32 v[20:21], v[4:5], v[20:21]
	ds_load_b128 v[157:160], v1 offset:1600
	v_fma_f64 v[169:170], v[169:170], v[14:15], v[175:176]
	v_fma_f64 v[167:168], v[167:168], v[14:15], -v[16:17]
	scratch_load_b128 v[14:17], off, off offset:864
	v_add_f64_e32 v[175:176], v[179:180], v[177:178]
	v_add_f64_e32 v[161:162], v[161:162], v[173:174]
	v_fma_f64 v[171:172], v[4:5], v[18:19], v[171:172]
	v_fma_f64 v[177:178], v[2:3], v[18:19], -v[20:21]
	ds_load_b128 v[2:5], v1 offset:1616
	s_wait_loadcnt_dscnt 0x801
	v_mul_f64_e32 v[173:174], v[157:158], v[24:25]
	v_mul_f64_e32 v[24:25], v[159:160], v[24:25]
	scratch_load_b128 v[18:21], off, off offset:880
	s_wait_loadcnt_dscnt 0x800
	v_mul_f64_e32 v[179:180], v[2:3], v[28:29]
	v_mul_f64_e32 v[28:29], v[4:5], v[28:29]
	v_add_f64_e32 v[175:176], v[175:176], v[167:168]
	v_add_f64_e32 v[161:162], v[161:162], v[169:170]
	ds_load_b128 v[167:170], v1 offset:1632
	v_fma_f64 v[159:160], v[159:160], v[22:23], v[173:174]
	v_fma_f64 v[22:23], v[157:158], v[22:23], -v[24:25]
	v_add_f64_e32 v[24:25], v[175:176], v[177:178]
	v_add_f64_e32 v[157:158], v[161:162], v[171:172]
	s_wait_loadcnt_dscnt 0x700
	v_mul_f64_e32 v[161:162], v[167:168], v[32:33]
	v_mul_f64_e32 v[32:33], v[169:170], v[32:33]
	v_fma_f64 v[171:172], v[4:5], v[26:27], v[179:180]
	v_fma_f64 v[26:27], v[2:3], v[26:27], -v[28:29]
	v_add_f64_e32 v[28:29], v[24:25], v[22:23]
	v_add_f64_e32 v[157:158], v[157:158], v[159:160]
	ds_load_b128 v[2:5], v1 offset:1648
	ds_load_b128 v[22:25], v1 offset:1664
	v_fma_f64 v[161:162], v[169:170], v[30:31], v[161:162]
	v_fma_f64 v[30:31], v[167:168], v[30:31], -v[32:33]
	s_wait_loadcnt_dscnt 0x601
	v_mul_f64_e32 v[159:160], v[2:3], v[36:37]
	v_mul_f64_e32 v[36:37], v[4:5], v[36:37]
	v_add_f64_e32 v[26:27], v[28:29], v[26:27]
	v_add_f64_e32 v[28:29], v[157:158], v[171:172]
	s_wait_loadcnt_dscnt 0x500
	v_mul_f64_e32 v[32:33], v[22:23], v[165:166]
	v_mul_f64_e32 v[157:158], v[24:25], v[165:166]
	v_fma_f64 v[159:160], v[4:5], v[34:35], v[159:160]
	v_fma_f64 v[34:35], v[2:3], v[34:35], -v[36:37]
	v_add_f64_e32 v[30:31], v[26:27], v[30:31]
	v_add_f64_e32 v[36:37], v[28:29], v[161:162]
	ds_load_b128 v[2:5], v1 offset:1680
	ds_load_b128 v[26:29], v1 offset:1696
	v_fma_f64 v[24:25], v[24:25], v[163:164], v[32:33]
	v_fma_f64 v[22:23], v[22:23], v[163:164], -v[157:158]
	s_wait_loadcnt_dscnt 0x401
	v_mul_f64_e32 v[161:162], v[2:3], v[40:41]
	v_mul_f64_e32 v[40:41], v[4:5], v[40:41]
	;; [unrolled: 16-line block ×3, first 2 shown]
	v_add_f64_e32 v[8:9], v[30:31], v[38:39]
	v_add_f64_e32 v[26:27], v[32:33], v[36:37]
	s_wait_loadcnt_dscnt 0x100
	v_mul_f64_e32 v[30:31], v[22:23], v[16:17]
	v_mul_f64_e32 v[16:17], v[24:25], v[16:17]
	v_fma_f64 v[32:33], v[4:5], v[10:11], v[40:41]
	v_fma_f64 v[10:11], v[2:3], v[10:11], -v[12:13]
	ds_load_b128 v[2:5], v1 offset:1744
	v_add_f64_e32 v[6:7], v[8:9], v[6:7]
	v_add_f64_e32 v[8:9], v[26:27], v[28:29]
	v_fma_f64 v[24:25], v[24:25], v[14:15], v[30:31]
	v_fma_f64 v[14:15], v[22:23], v[14:15], -v[16:17]
	s_wait_loadcnt_dscnt 0x0
	v_mul_f64_e32 v[12:13], v[2:3], v[20:21]
	v_mul_f64_e32 v[20:21], v[4:5], v[20:21]
	v_add_f64_e32 v[6:7], v[6:7], v[10:11]
	v_add_f64_e32 v[8:9], v[8:9], v[32:33]
	s_delay_alu instid0(VALU_DEP_4) | instskip(NEXT) | instid1(VALU_DEP_4)
	v_fma_f64 v[4:5], v[4:5], v[18:19], v[12:13]
	v_fma_f64 v[2:3], v[2:3], v[18:19], -v[20:21]
	s_delay_alu instid0(VALU_DEP_4) | instskip(NEXT) | instid1(VALU_DEP_4)
	v_add_f64_e32 v[6:7], v[6:7], v[14:15]
	v_add_f64_e32 v[8:9], v[8:9], v[24:25]
	s_delay_alu instid0(VALU_DEP_2) | instskip(NEXT) | instid1(VALU_DEP_2)
	v_add_f64_e32 v[2:3], v[6:7], v[2:3]
	v_add_f64_e32 v[4:5], v[8:9], v[4:5]
	s_delay_alu instid0(VALU_DEP_2) | instskip(NEXT) | instid1(VALU_DEP_2)
	v_add_f64_e64 v[2:3], v[42:43], -v[2:3]
	v_add_f64_e64 v[4:5], v[44:45], -v[4:5]
	scratch_store_b128 off, v[2:5], off offset:160
	v_cmpx_lt_u32_e32 8, v0
	s_cbranch_execz .LBB54_327
; %bb.326:
	scratch_load_b128 v[5:8], off, s60
	v_dual_mov_b32 v2, v1 :: v_dual_mov_b32 v3, v1
	v_mov_b32_e32 v4, v1
	scratch_store_b128 off, v[1:4], off offset:144
	s_wait_loadcnt 0x0
	ds_store_b128 v156, v[5:8]
.LBB54_327:
	s_wait_alu 0xfffe
	s_or_b32 exec_lo, exec_lo, s0
	s_wait_storecnt_dscnt 0x0
	s_barrier_signal -1
	s_barrier_wait -1
	global_inv scope:SCOPE_SE
	s_clause 0x8
	scratch_load_b128 v[2:5], off, off offset:160
	scratch_load_b128 v[6:9], off, off offset:176
	;; [unrolled: 1-line block ×9, first 2 shown]
	ds_load_b128 v[42:45], v1 offset:1024
	ds_load_b128 v[38:41], v1 offset:1040
	s_clause 0x1
	scratch_load_b128 v[157:160], off, off offset:144
	scratch_load_b128 v[161:164], off, off offset:304
	s_mov_b32 s0, exec_lo
	s_wait_loadcnt_dscnt 0xa01
	v_mul_f64_e32 v[165:166], v[44:45], v[4:5]
	v_mul_f64_e32 v[4:5], v[42:43], v[4:5]
	s_wait_loadcnt_dscnt 0x900
	v_mul_f64_e32 v[169:170], v[38:39], v[8:9]
	v_mul_f64_e32 v[8:9], v[40:41], v[8:9]
	s_delay_alu instid0(VALU_DEP_4) | instskip(NEXT) | instid1(VALU_DEP_4)
	v_fma_f64 v[171:172], v[42:43], v[2:3], -v[165:166]
	v_fma_f64 v[173:174], v[44:45], v[2:3], v[4:5]
	ds_load_b128 v[2:5], v1 offset:1056
	ds_load_b128 v[165:168], v1 offset:1072
	scratch_load_b128 v[42:45], off, off offset:320
	v_fma_f64 v[40:41], v[40:41], v[6:7], v[169:170]
	v_fma_f64 v[38:39], v[38:39], v[6:7], -v[8:9]
	scratch_load_b128 v[6:9], off, off offset:336
	s_wait_loadcnt_dscnt 0xa01
	v_mul_f64_e32 v[175:176], v[2:3], v[12:13]
	v_mul_f64_e32 v[12:13], v[4:5], v[12:13]
	v_add_f64_e32 v[169:170], 0, v[171:172]
	v_add_f64_e32 v[171:172], 0, v[173:174]
	s_wait_loadcnt_dscnt 0x900
	v_mul_f64_e32 v[173:174], v[165:166], v[16:17]
	v_mul_f64_e32 v[16:17], v[167:168], v[16:17]
	v_fma_f64 v[175:176], v[4:5], v[10:11], v[175:176]
	v_fma_f64 v[177:178], v[2:3], v[10:11], -v[12:13]
	ds_load_b128 v[2:5], v1 offset:1088
	scratch_load_b128 v[10:13], off, off offset:352
	v_add_f64_e32 v[169:170], v[169:170], v[38:39]
	v_add_f64_e32 v[171:172], v[171:172], v[40:41]
	ds_load_b128 v[38:41], v1 offset:1104
	v_fma_f64 v[167:168], v[167:168], v[14:15], v[173:174]
	v_fma_f64 v[165:166], v[165:166], v[14:15], -v[16:17]
	scratch_load_b128 v[14:17], off, off offset:368
	s_wait_loadcnt_dscnt 0xa01
	v_mul_f64_e32 v[179:180], v[2:3], v[20:21]
	v_mul_f64_e32 v[20:21], v[4:5], v[20:21]
	s_wait_loadcnt_dscnt 0x900
	v_mul_f64_e32 v[173:174], v[38:39], v[24:25]
	v_mul_f64_e32 v[24:25], v[40:41], v[24:25]
	v_add_f64_e32 v[169:170], v[169:170], v[177:178]
	v_add_f64_e32 v[171:172], v[171:172], v[175:176]
	v_fma_f64 v[175:176], v[4:5], v[18:19], v[179:180]
	v_fma_f64 v[177:178], v[2:3], v[18:19], -v[20:21]
	ds_load_b128 v[2:5], v1 offset:1120
	scratch_load_b128 v[18:21], off, off offset:384
	v_fma_f64 v[40:41], v[40:41], v[22:23], v[173:174]
	v_fma_f64 v[38:39], v[38:39], v[22:23], -v[24:25]
	scratch_load_b128 v[22:25], off, off offset:400
	v_add_f64_e32 v[169:170], v[169:170], v[165:166]
	v_add_f64_e32 v[171:172], v[171:172], v[167:168]
	ds_load_b128 v[165:168], v1 offset:1136
	s_wait_loadcnt_dscnt 0xa01
	v_mul_f64_e32 v[179:180], v[2:3], v[28:29]
	v_mul_f64_e32 v[28:29], v[4:5], v[28:29]
	s_wait_loadcnt_dscnt 0x900
	v_mul_f64_e32 v[173:174], v[165:166], v[32:33]
	v_mul_f64_e32 v[32:33], v[167:168], v[32:33]
	v_add_f64_e32 v[169:170], v[169:170], v[177:178]
	v_add_f64_e32 v[171:172], v[171:172], v[175:176]
	v_fma_f64 v[175:176], v[4:5], v[26:27], v[179:180]
	v_fma_f64 v[177:178], v[2:3], v[26:27], -v[28:29]
	ds_load_b128 v[2:5], v1 offset:1152
	scratch_load_b128 v[26:29], off, off offset:416
	v_fma_f64 v[167:168], v[167:168], v[30:31], v[173:174]
	v_fma_f64 v[165:166], v[165:166], v[30:31], -v[32:33]
	scratch_load_b128 v[30:33], off, off offset:432
	v_add_f64_e32 v[169:170], v[169:170], v[38:39]
	v_add_f64_e32 v[171:172], v[171:172], v[40:41]
	ds_load_b128 v[38:41], v1 offset:1168
	s_wait_loadcnt_dscnt 0xa01
	v_mul_f64_e32 v[179:180], v[2:3], v[36:37]
	v_mul_f64_e32 v[36:37], v[4:5], v[36:37]
	s_wait_loadcnt_dscnt 0x800
	v_mul_f64_e32 v[173:174], v[38:39], v[163:164]
	v_add_f64_e32 v[169:170], v[169:170], v[177:178]
	v_add_f64_e32 v[171:172], v[171:172], v[175:176]
	v_mul_f64_e32 v[175:176], v[40:41], v[163:164]
	v_fma_f64 v[177:178], v[4:5], v[34:35], v[179:180]
	v_fma_f64 v[179:180], v[2:3], v[34:35], -v[36:37]
	ds_load_b128 v[2:5], v1 offset:1184
	scratch_load_b128 v[34:37], off, off offset:448
	v_fma_f64 v[173:174], v[40:41], v[161:162], v[173:174]
	v_add_f64_e32 v[169:170], v[169:170], v[165:166]
	v_add_f64_e32 v[167:168], v[171:172], v[167:168]
	ds_load_b128 v[163:166], v1 offset:1200
	v_fma_f64 v[161:162], v[38:39], v[161:162], -v[175:176]
	scratch_load_b128 v[38:41], off, off offset:464
	s_wait_loadcnt_dscnt 0x901
	v_mul_f64_e32 v[171:172], v[2:3], v[44:45]
	v_mul_f64_e32 v[44:45], v[4:5], v[44:45]
	s_wait_loadcnt_dscnt 0x800
	v_mul_f64_e32 v[175:176], v[163:164], v[8:9]
	v_mul_f64_e32 v[8:9], v[165:166], v[8:9]
	v_add_f64_e32 v[169:170], v[169:170], v[179:180]
	v_add_f64_e32 v[167:168], v[167:168], v[177:178]
	v_fma_f64 v[171:172], v[4:5], v[42:43], v[171:172]
	v_fma_f64 v[177:178], v[2:3], v[42:43], -v[44:45]
	ds_load_b128 v[2:5], v1 offset:1216
	scratch_load_b128 v[42:45], off, off offset:480
	v_fma_f64 v[165:166], v[165:166], v[6:7], v[175:176]
	v_fma_f64 v[163:164], v[163:164], v[6:7], -v[8:9]
	scratch_load_b128 v[6:9], off, off offset:496
	v_add_f64_e32 v[161:162], v[169:170], v[161:162]
	v_add_f64_e32 v[173:174], v[167:168], v[173:174]
	ds_load_b128 v[167:170], v1 offset:1232
	s_wait_loadcnt_dscnt 0x901
	v_mul_f64_e32 v[179:180], v[2:3], v[12:13]
	v_mul_f64_e32 v[12:13], v[4:5], v[12:13]
	v_add_f64_e32 v[161:162], v[161:162], v[177:178]
	v_add_f64_e32 v[171:172], v[173:174], v[171:172]
	s_wait_loadcnt_dscnt 0x800
	v_mul_f64_e32 v[173:174], v[167:168], v[16:17]
	v_mul_f64_e32 v[16:17], v[169:170], v[16:17]
	v_fma_f64 v[175:176], v[4:5], v[10:11], v[179:180]
	v_fma_f64 v[177:178], v[2:3], v[10:11], -v[12:13]
	ds_load_b128 v[2:5], v1 offset:1248
	scratch_load_b128 v[10:13], off, off offset:512
	v_add_f64_e32 v[179:180], v[161:162], v[163:164]
	v_add_f64_e32 v[165:166], v[171:172], v[165:166]
	ds_load_b128 v[161:164], v1 offset:1264
	s_wait_loadcnt_dscnt 0x801
	v_mul_f64_e32 v[171:172], v[2:3], v[20:21]
	v_mul_f64_e32 v[20:21], v[4:5], v[20:21]
	v_fma_f64 v[169:170], v[169:170], v[14:15], v[173:174]
	v_fma_f64 v[167:168], v[167:168], v[14:15], -v[16:17]
	scratch_load_b128 v[14:17], off, off offset:528
	v_add_f64_e32 v[173:174], v[179:180], v[177:178]
	v_add_f64_e32 v[165:166], v[165:166], v[175:176]
	s_wait_loadcnt_dscnt 0x800
	v_mul_f64_e32 v[175:176], v[161:162], v[24:25]
	v_mul_f64_e32 v[24:25], v[163:164], v[24:25]
	v_fma_f64 v[171:172], v[4:5], v[18:19], v[171:172]
	v_fma_f64 v[177:178], v[2:3], v[18:19], -v[20:21]
	ds_load_b128 v[2:5], v1 offset:1280
	scratch_load_b128 v[18:21], off, off offset:544
	v_add_f64_e32 v[173:174], v[173:174], v[167:168]
	v_add_f64_e32 v[169:170], v[165:166], v[169:170]
	ds_load_b128 v[165:168], v1 offset:1296
	s_wait_loadcnt_dscnt 0x801
	v_mul_f64_e32 v[179:180], v[2:3], v[28:29]
	v_mul_f64_e32 v[28:29], v[4:5], v[28:29]
	v_fma_f64 v[163:164], v[163:164], v[22:23], v[175:176]
	v_fma_f64 v[161:162], v[161:162], v[22:23], -v[24:25]
	scratch_load_b128 v[22:25], off, off offset:560
	;; [unrolled: 18-line block ×4, first 2 shown]
	s_wait_loadcnt_dscnt 0x800
	v_mul_f64_e32 v[173:174], v[165:166], v[8:9]
	v_mul_f64_e32 v[8:9], v[167:168], v[8:9]
	v_add_f64_e32 v[171:172], v[171:172], v[177:178]
	v_add_f64_e32 v[169:170], v[169:170], v[175:176]
	v_fma_f64 v[175:176], v[4:5], v[42:43], v[179:180]
	v_fma_f64 v[177:178], v[2:3], v[42:43], -v[44:45]
	ds_load_b128 v[2:5], v1 offset:1376
	scratch_load_b128 v[42:45], off, off offset:640
	v_fma_f64 v[167:168], v[167:168], v[6:7], v[173:174]
	v_fma_f64 v[165:166], v[165:166], v[6:7], -v[8:9]
	scratch_load_b128 v[6:9], off, off offset:656
	v_add_f64_e32 v[171:172], v[171:172], v[161:162]
	v_add_f64_e32 v[169:170], v[169:170], v[163:164]
	ds_load_b128 v[161:164], v1 offset:1392
	s_wait_loadcnt_dscnt 0x901
	v_mul_f64_e32 v[179:180], v[2:3], v[12:13]
	v_mul_f64_e32 v[12:13], v[4:5], v[12:13]
	s_wait_loadcnt_dscnt 0x800
	v_mul_f64_e32 v[173:174], v[161:162], v[16:17]
	v_mul_f64_e32 v[16:17], v[163:164], v[16:17]
	v_add_f64_e32 v[171:172], v[171:172], v[177:178]
	v_add_f64_e32 v[169:170], v[169:170], v[175:176]
	v_fma_f64 v[175:176], v[4:5], v[10:11], v[179:180]
	v_fma_f64 v[177:178], v[2:3], v[10:11], -v[12:13]
	ds_load_b128 v[2:5], v1 offset:1408
	scratch_load_b128 v[10:13], off, off offset:672
	v_fma_f64 v[163:164], v[163:164], v[14:15], v[173:174]
	v_fma_f64 v[161:162], v[161:162], v[14:15], -v[16:17]
	scratch_load_b128 v[14:17], off, off offset:688
	v_add_f64_e32 v[171:172], v[171:172], v[165:166]
	v_add_f64_e32 v[169:170], v[169:170], v[167:168]
	ds_load_b128 v[165:168], v1 offset:1424
	s_wait_loadcnt_dscnt 0x901
	v_mul_f64_e32 v[179:180], v[2:3], v[20:21]
	v_mul_f64_e32 v[20:21], v[4:5], v[20:21]
	s_wait_loadcnt_dscnt 0x800
	v_mul_f64_e32 v[173:174], v[165:166], v[24:25]
	v_mul_f64_e32 v[24:25], v[167:168], v[24:25]
	v_add_f64_e32 v[171:172], v[171:172], v[177:178]
	v_add_f64_e32 v[169:170], v[169:170], v[175:176]
	v_fma_f64 v[175:176], v[4:5], v[18:19], v[179:180]
	v_fma_f64 v[177:178], v[2:3], v[18:19], -v[20:21]
	ds_load_b128 v[2:5], v1 offset:1440
	scratch_load_b128 v[18:21], off, off offset:704
	v_fma_f64 v[167:168], v[167:168], v[22:23], v[173:174]
	v_fma_f64 v[165:166], v[165:166], v[22:23], -v[24:25]
	scratch_load_b128 v[22:25], off, off offset:720
	v_add_f64_e32 v[171:172], v[171:172], v[161:162]
	v_add_f64_e32 v[169:170], v[169:170], v[163:164]
	ds_load_b128 v[161:164], v1 offset:1456
	s_wait_loadcnt_dscnt 0x901
	v_mul_f64_e32 v[179:180], v[2:3], v[28:29]
	v_mul_f64_e32 v[28:29], v[4:5], v[28:29]
	s_wait_loadcnt_dscnt 0x800
	v_mul_f64_e32 v[173:174], v[161:162], v[32:33]
	v_mul_f64_e32 v[32:33], v[163:164], v[32:33]
	v_add_f64_e32 v[171:172], v[171:172], v[177:178]
	v_add_f64_e32 v[169:170], v[169:170], v[175:176]
	v_fma_f64 v[175:176], v[4:5], v[26:27], v[179:180]
	v_fma_f64 v[177:178], v[2:3], v[26:27], -v[28:29]
	ds_load_b128 v[2:5], v1 offset:1472
	scratch_load_b128 v[26:29], off, off offset:736
	v_fma_f64 v[163:164], v[163:164], v[30:31], v[173:174]
	v_fma_f64 v[161:162], v[161:162], v[30:31], -v[32:33]
	scratch_load_b128 v[30:33], off, off offset:752
	v_add_f64_e32 v[171:172], v[171:172], v[165:166]
	v_add_f64_e32 v[169:170], v[169:170], v[167:168]
	ds_load_b128 v[165:168], v1 offset:1488
	s_wait_loadcnt_dscnt 0x901
	v_mul_f64_e32 v[179:180], v[2:3], v[36:37]
	v_mul_f64_e32 v[36:37], v[4:5], v[36:37]
	s_wait_loadcnt_dscnt 0x800
	v_mul_f64_e32 v[173:174], v[165:166], v[40:41]
	v_mul_f64_e32 v[40:41], v[167:168], v[40:41]
	v_add_f64_e32 v[171:172], v[171:172], v[177:178]
	v_add_f64_e32 v[169:170], v[169:170], v[175:176]
	v_fma_f64 v[175:176], v[4:5], v[34:35], v[179:180]
	v_fma_f64 v[177:178], v[2:3], v[34:35], -v[36:37]
	ds_load_b128 v[2:5], v1 offset:1504
	scratch_load_b128 v[34:37], off, off offset:768
	v_fma_f64 v[167:168], v[167:168], v[38:39], v[173:174]
	v_fma_f64 v[165:166], v[165:166], v[38:39], -v[40:41]
	scratch_load_b128 v[38:41], off, off offset:784
	v_add_f64_e32 v[171:172], v[171:172], v[161:162]
	v_add_f64_e32 v[169:170], v[169:170], v[163:164]
	ds_load_b128 v[161:164], v1 offset:1520
	s_wait_loadcnt_dscnt 0x901
	v_mul_f64_e32 v[179:180], v[2:3], v[44:45]
	v_mul_f64_e32 v[44:45], v[4:5], v[44:45]
	s_wait_loadcnt_dscnt 0x800
	v_mul_f64_e32 v[173:174], v[161:162], v[8:9]
	v_mul_f64_e32 v[8:9], v[163:164], v[8:9]
	v_add_f64_e32 v[171:172], v[171:172], v[177:178]
	v_add_f64_e32 v[169:170], v[169:170], v[175:176]
	v_fma_f64 v[175:176], v[4:5], v[42:43], v[179:180]
	v_fma_f64 v[177:178], v[2:3], v[42:43], -v[44:45]
	ds_load_b128 v[2:5], v1 offset:1536
	scratch_load_b128 v[42:45], off, off offset:800
	v_fma_f64 v[163:164], v[163:164], v[6:7], v[173:174]
	v_fma_f64 v[161:162], v[161:162], v[6:7], -v[8:9]
	scratch_load_b128 v[6:9], off, off offset:816
	v_add_f64_e32 v[171:172], v[171:172], v[165:166]
	v_add_f64_e32 v[169:170], v[169:170], v[167:168]
	ds_load_b128 v[165:168], v1 offset:1552
	s_wait_loadcnt_dscnt 0x901
	v_mul_f64_e32 v[179:180], v[2:3], v[12:13]
	v_mul_f64_e32 v[12:13], v[4:5], v[12:13]
	s_wait_loadcnt_dscnt 0x800
	v_mul_f64_e32 v[173:174], v[165:166], v[16:17]
	v_mul_f64_e32 v[16:17], v[167:168], v[16:17]
	v_add_f64_e32 v[171:172], v[171:172], v[177:178]
	v_add_f64_e32 v[169:170], v[169:170], v[175:176]
	v_fma_f64 v[175:176], v[4:5], v[10:11], v[179:180]
	v_fma_f64 v[177:178], v[2:3], v[10:11], -v[12:13]
	ds_load_b128 v[2:5], v1 offset:1568
	scratch_load_b128 v[10:13], off, off offset:832
	v_fma_f64 v[167:168], v[167:168], v[14:15], v[173:174]
	v_fma_f64 v[165:166], v[165:166], v[14:15], -v[16:17]
	scratch_load_b128 v[14:17], off, off offset:848
	v_add_f64_e32 v[171:172], v[171:172], v[161:162]
	v_add_f64_e32 v[169:170], v[169:170], v[163:164]
	ds_load_b128 v[161:164], v1 offset:1584
	s_wait_loadcnt_dscnt 0x901
	v_mul_f64_e32 v[179:180], v[2:3], v[20:21]
	v_mul_f64_e32 v[20:21], v[4:5], v[20:21]
	s_wait_loadcnt_dscnt 0x800
	v_mul_f64_e32 v[173:174], v[161:162], v[24:25]
	v_mul_f64_e32 v[24:25], v[163:164], v[24:25]
	v_add_f64_e32 v[171:172], v[171:172], v[177:178]
	v_add_f64_e32 v[169:170], v[169:170], v[175:176]
	v_fma_f64 v[175:176], v[4:5], v[18:19], v[179:180]
	v_fma_f64 v[177:178], v[2:3], v[18:19], -v[20:21]
	ds_load_b128 v[2:5], v1 offset:1600
	scratch_load_b128 v[18:21], off, off offset:864
	v_fma_f64 v[163:164], v[163:164], v[22:23], v[173:174]
	v_fma_f64 v[161:162], v[161:162], v[22:23], -v[24:25]
	scratch_load_b128 v[22:25], off, off offset:880
	v_add_f64_e32 v[171:172], v[171:172], v[165:166]
	v_add_f64_e32 v[169:170], v[169:170], v[167:168]
	ds_load_b128 v[165:168], v1 offset:1616
	s_wait_loadcnt_dscnt 0x901
	v_mul_f64_e32 v[179:180], v[2:3], v[28:29]
	v_mul_f64_e32 v[28:29], v[4:5], v[28:29]
	s_wait_loadcnt_dscnt 0x800
	v_mul_f64_e32 v[173:174], v[165:166], v[32:33]
	v_mul_f64_e32 v[32:33], v[167:168], v[32:33]
	v_add_f64_e32 v[171:172], v[171:172], v[177:178]
	v_add_f64_e32 v[169:170], v[169:170], v[175:176]
	v_fma_f64 v[175:176], v[4:5], v[26:27], v[179:180]
	v_fma_f64 v[177:178], v[2:3], v[26:27], -v[28:29]
	ds_load_b128 v[2:5], v1 offset:1632
	ds_load_b128 v[26:29], v1 offset:1648
	v_fma_f64 v[167:168], v[167:168], v[30:31], v[173:174]
	v_fma_f64 v[30:31], v[165:166], v[30:31], -v[32:33]
	v_add_f64_e32 v[161:162], v[171:172], v[161:162]
	v_add_f64_e32 v[163:164], v[169:170], v[163:164]
	s_wait_loadcnt_dscnt 0x701
	v_mul_f64_e32 v[169:170], v[2:3], v[36:37]
	v_mul_f64_e32 v[36:37], v[4:5], v[36:37]
	s_delay_alu instid0(VALU_DEP_4) | instskip(NEXT) | instid1(VALU_DEP_4)
	v_add_f64_e32 v[32:33], v[161:162], v[177:178]
	v_add_f64_e32 v[161:162], v[163:164], v[175:176]
	s_wait_loadcnt_dscnt 0x600
	v_mul_f64_e32 v[163:164], v[26:27], v[40:41]
	v_mul_f64_e32 v[40:41], v[28:29], v[40:41]
	v_fma_f64 v[165:166], v[4:5], v[34:35], v[169:170]
	v_fma_f64 v[34:35], v[2:3], v[34:35], -v[36:37]
	v_add_f64_e32 v[36:37], v[32:33], v[30:31]
	v_add_f64_e32 v[161:162], v[161:162], v[167:168]
	ds_load_b128 v[2:5], v1 offset:1664
	ds_load_b128 v[30:33], v1 offset:1680
	v_fma_f64 v[28:29], v[28:29], v[38:39], v[163:164]
	v_fma_f64 v[26:27], v[26:27], v[38:39], -v[40:41]
	s_wait_loadcnt_dscnt 0x501
	v_mul_f64_e32 v[167:168], v[2:3], v[44:45]
	v_mul_f64_e32 v[44:45], v[4:5], v[44:45]
	s_wait_loadcnt_dscnt 0x400
	v_mul_f64_e32 v[38:39], v[30:31], v[8:9]
	v_mul_f64_e32 v[8:9], v[32:33], v[8:9]
	v_add_f64_e32 v[34:35], v[36:37], v[34:35]
	v_add_f64_e32 v[36:37], v[161:162], v[165:166]
	v_fma_f64 v[40:41], v[4:5], v[42:43], v[167:168]
	v_fma_f64 v[42:43], v[2:3], v[42:43], -v[44:45]
	v_fma_f64 v[32:33], v[32:33], v[6:7], v[38:39]
	v_fma_f64 v[6:7], v[30:31], v[6:7], -v[8:9]
	v_add_f64_e32 v[34:35], v[34:35], v[26:27]
	v_add_f64_e32 v[36:37], v[36:37], v[28:29]
	ds_load_b128 v[2:5], v1 offset:1696
	ds_load_b128 v[26:29], v1 offset:1712
	s_wait_loadcnt_dscnt 0x301
	v_mul_f64_e32 v[44:45], v[2:3], v[12:13]
	v_mul_f64_e32 v[12:13], v[4:5], v[12:13]
	v_add_f64_e32 v[8:9], v[34:35], v[42:43]
	v_add_f64_e32 v[30:31], v[36:37], v[40:41]
	s_wait_loadcnt_dscnt 0x200
	v_mul_f64_e32 v[34:35], v[26:27], v[16:17]
	v_mul_f64_e32 v[16:17], v[28:29], v[16:17]
	v_fma_f64 v[36:37], v[4:5], v[10:11], v[44:45]
	v_fma_f64 v[10:11], v[2:3], v[10:11], -v[12:13]
	v_add_f64_e32 v[12:13], v[8:9], v[6:7]
	v_add_f64_e32 v[30:31], v[30:31], v[32:33]
	ds_load_b128 v[2:5], v1 offset:1728
	ds_load_b128 v[6:9], v1 offset:1744
	v_fma_f64 v[28:29], v[28:29], v[14:15], v[34:35]
	v_fma_f64 v[14:15], v[26:27], v[14:15], -v[16:17]
	s_wait_loadcnt_dscnt 0x101
	v_mul_f64_e32 v[32:33], v[2:3], v[20:21]
	v_mul_f64_e32 v[20:21], v[4:5], v[20:21]
	s_wait_loadcnt_dscnt 0x0
	v_mul_f64_e32 v[16:17], v[6:7], v[24:25]
	v_mul_f64_e32 v[24:25], v[8:9], v[24:25]
	v_add_f64_e32 v[10:11], v[12:13], v[10:11]
	v_add_f64_e32 v[12:13], v[30:31], v[36:37]
	v_fma_f64 v[4:5], v[4:5], v[18:19], v[32:33]
	v_fma_f64 v[1:2], v[2:3], v[18:19], -v[20:21]
	v_fma_f64 v[8:9], v[8:9], v[22:23], v[16:17]
	v_fma_f64 v[6:7], v[6:7], v[22:23], -v[24:25]
	v_add_f64_e32 v[10:11], v[10:11], v[14:15]
	v_add_f64_e32 v[12:13], v[12:13], v[28:29]
	s_delay_alu instid0(VALU_DEP_2) | instskip(NEXT) | instid1(VALU_DEP_2)
	v_add_f64_e32 v[1:2], v[10:11], v[1:2]
	v_add_f64_e32 v[3:4], v[12:13], v[4:5]
	s_delay_alu instid0(VALU_DEP_2) | instskip(NEXT) | instid1(VALU_DEP_2)
	;; [unrolled: 3-line block ×3, first 2 shown]
	v_add_f64_e64 v[1:2], v[157:158], -v[1:2]
	v_add_f64_e64 v[3:4], v[159:160], -v[3:4]
	scratch_store_b128 off, v[1:4], off offset:144
	v_cmpx_lt_u32_e32 7, v0
	s_cbranch_execz .LBB54_329
; %bb.328:
	scratch_load_b128 v[1:4], off, s61
	v_mov_b32_e32 v5, 0
	s_delay_alu instid0(VALU_DEP_1)
	v_dual_mov_b32 v6, v5 :: v_dual_mov_b32 v7, v5
	v_mov_b32_e32 v8, v5
	scratch_store_b128 off, v[5:8], off offset:128
	s_wait_loadcnt 0x0
	ds_store_b128 v156, v[1:4]
.LBB54_329:
	s_wait_alu 0xfffe
	s_or_b32 exec_lo, exec_lo, s0
	s_wait_storecnt_dscnt 0x0
	s_barrier_signal -1
	s_barrier_wait -1
	global_inv scope:SCOPE_SE
	s_clause 0x7
	scratch_load_b128 v[2:5], off, off offset:144
	scratch_load_b128 v[6:9], off, off offset:160
	;; [unrolled: 1-line block ×8, first 2 shown]
	v_mov_b32_e32 v1, 0
	s_mov_b32 s0, exec_lo
	ds_load_b128 v[38:41], v1 offset:1008
	s_clause 0x1
	scratch_load_b128 v[34:37], off, off offset:272
	scratch_load_b128 v[42:45], off, off offset:128
	ds_load_b128 v[157:160], v1 offset:1024
	scratch_load_b128 v[161:164], off, off offset:288
	s_wait_loadcnt_dscnt 0xa01
	v_mul_f64_e32 v[165:166], v[40:41], v[4:5]
	v_mul_f64_e32 v[4:5], v[38:39], v[4:5]
	s_delay_alu instid0(VALU_DEP_2) | instskip(NEXT) | instid1(VALU_DEP_2)
	v_fma_f64 v[171:172], v[38:39], v[2:3], -v[165:166]
	v_fma_f64 v[173:174], v[40:41], v[2:3], v[4:5]
	ds_load_b128 v[2:5], v1 offset:1040
	s_wait_loadcnt_dscnt 0x901
	v_mul_f64_e32 v[169:170], v[157:158], v[8:9]
	v_mul_f64_e32 v[8:9], v[159:160], v[8:9]
	scratch_load_b128 v[38:41], off, off offset:304
	ds_load_b128 v[165:168], v1 offset:1056
	s_wait_loadcnt_dscnt 0x901
	v_mul_f64_e32 v[175:176], v[2:3], v[12:13]
	v_mul_f64_e32 v[12:13], v[4:5], v[12:13]
	v_fma_f64 v[159:160], v[159:160], v[6:7], v[169:170]
	v_fma_f64 v[157:158], v[157:158], v[6:7], -v[8:9]
	v_add_f64_e32 v[169:170], 0, v[171:172]
	v_add_f64_e32 v[171:172], 0, v[173:174]
	scratch_load_b128 v[6:9], off, off offset:320
	v_fma_f64 v[175:176], v[4:5], v[10:11], v[175:176]
	v_fma_f64 v[177:178], v[2:3], v[10:11], -v[12:13]
	ds_load_b128 v[2:5], v1 offset:1072
	s_wait_loadcnt_dscnt 0x901
	v_mul_f64_e32 v[173:174], v[165:166], v[16:17]
	v_mul_f64_e32 v[16:17], v[167:168], v[16:17]
	scratch_load_b128 v[10:13], off, off offset:336
	v_add_f64_e32 v[169:170], v[169:170], v[157:158]
	v_add_f64_e32 v[171:172], v[171:172], v[159:160]
	s_wait_loadcnt_dscnt 0x900
	v_mul_f64_e32 v[179:180], v[2:3], v[20:21]
	v_mul_f64_e32 v[20:21], v[4:5], v[20:21]
	ds_load_b128 v[157:160], v1 offset:1088
	v_fma_f64 v[167:168], v[167:168], v[14:15], v[173:174]
	v_fma_f64 v[165:166], v[165:166], v[14:15], -v[16:17]
	scratch_load_b128 v[14:17], off, off offset:352
	v_add_f64_e32 v[169:170], v[169:170], v[177:178]
	v_add_f64_e32 v[171:172], v[171:172], v[175:176]
	v_fma_f64 v[175:176], v[4:5], v[18:19], v[179:180]
	v_fma_f64 v[177:178], v[2:3], v[18:19], -v[20:21]
	ds_load_b128 v[2:5], v1 offset:1104
	s_wait_loadcnt_dscnt 0x901
	v_mul_f64_e32 v[173:174], v[157:158], v[24:25]
	v_mul_f64_e32 v[24:25], v[159:160], v[24:25]
	scratch_load_b128 v[18:21], off, off offset:368
	s_wait_loadcnt_dscnt 0x900
	v_mul_f64_e32 v[179:180], v[2:3], v[28:29]
	v_mul_f64_e32 v[28:29], v[4:5], v[28:29]
	v_add_f64_e32 v[169:170], v[169:170], v[165:166]
	v_add_f64_e32 v[171:172], v[171:172], v[167:168]
	ds_load_b128 v[165:168], v1 offset:1120
	v_fma_f64 v[159:160], v[159:160], v[22:23], v[173:174]
	v_fma_f64 v[157:158], v[157:158], v[22:23], -v[24:25]
	scratch_load_b128 v[22:25], off, off offset:384
	v_add_f64_e32 v[169:170], v[169:170], v[177:178]
	v_add_f64_e32 v[171:172], v[171:172], v[175:176]
	v_fma_f64 v[175:176], v[4:5], v[26:27], v[179:180]
	v_fma_f64 v[177:178], v[2:3], v[26:27], -v[28:29]
	ds_load_b128 v[2:5], v1 offset:1136
	s_wait_loadcnt_dscnt 0x901
	v_mul_f64_e32 v[173:174], v[165:166], v[32:33]
	v_mul_f64_e32 v[32:33], v[167:168], v[32:33]
	scratch_load_b128 v[26:29], off, off offset:400
	s_wait_loadcnt_dscnt 0x900
	v_mul_f64_e32 v[179:180], v[2:3], v[36:37]
	v_mul_f64_e32 v[36:37], v[4:5], v[36:37]
	v_add_f64_e32 v[169:170], v[169:170], v[157:158]
	v_add_f64_e32 v[171:172], v[171:172], v[159:160]
	ds_load_b128 v[157:160], v1 offset:1152
	v_fma_f64 v[167:168], v[167:168], v[30:31], v[173:174]
	v_fma_f64 v[165:166], v[165:166], v[30:31], -v[32:33]
	scratch_load_b128 v[30:33], off, off offset:416
	v_add_f64_e32 v[169:170], v[169:170], v[177:178]
	v_add_f64_e32 v[171:172], v[171:172], v[175:176]
	v_fma_f64 v[177:178], v[4:5], v[34:35], v[179:180]
	v_fma_f64 v[179:180], v[2:3], v[34:35], -v[36:37]
	ds_load_b128 v[2:5], v1 offset:1168
	s_wait_loadcnt_dscnt 0x801
	v_mul_f64_e32 v[173:174], v[157:158], v[163:164]
	v_mul_f64_e32 v[175:176], v[159:160], v[163:164]
	scratch_load_b128 v[34:37], off, off offset:432
	v_add_f64_e32 v[169:170], v[169:170], v[165:166]
	v_add_f64_e32 v[167:168], v[171:172], v[167:168]
	ds_load_b128 v[163:166], v1 offset:1184
	v_fma_f64 v[173:174], v[159:160], v[161:162], v[173:174]
	v_fma_f64 v[161:162], v[157:158], v[161:162], -v[175:176]
	scratch_load_b128 v[157:160], off, off offset:448
	s_wait_loadcnt_dscnt 0x901
	v_mul_f64_e32 v[171:172], v[2:3], v[40:41]
	v_mul_f64_e32 v[40:41], v[4:5], v[40:41]
	v_add_f64_e32 v[169:170], v[169:170], v[179:180]
	v_add_f64_e32 v[167:168], v[167:168], v[177:178]
	s_delay_alu instid0(VALU_DEP_4) | instskip(NEXT) | instid1(VALU_DEP_4)
	v_fma_f64 v[171:172], v[4:5], v[38:39], v[171:172]
	v_fma_f64 v[177:178], v[2:3], v[38:39], -v[40:41]
	ds_load_b128 v[2:5], v1 offset:1200
	s_wait_loadcnt_dscnt 0x801
	v_mul_f64_e32 v[175:176], v[163:164], v[8:9]
	v_mul_f64_e32 v[8:9], v[165:166], v[8:9]
	scratch_load_b128 v[38:41], off, off offset:464
	s_wait_loadcnt_dscnt 0x800
	v_mul_f64_e32 v[179:180], v[2:3], v[12:13]
	v_add_f64_e32 v[161:162], v[169:170], v[161:162]
	v_add_f64_e32 v[173:174], v[167:168], v[173:174]
	v_mul_f64_e32 v[12:13], v[4:5], v[12:13]
	ds_load_b128 v[167:170], v1 offset:1216
	v_fma_f64 v[165:166], v[165:166], v[6:7], v[175:176]
	v_fma_f64 v[163:164], v[163:164], v[6:7], -v[8:9]
	scratch_load_b128 v[6:9], off, off offset:480
	v_fma_f64 v[175:176], v[4:5], v[10:11], v[179:180]
	v_add_f64_e32 v[161:162], v[161:162], v[177:178]
	v_add_f64_e32 v[171:172], v[173:174], v[171:172]
	v_fma_f64 v[177:178], v[2:3], v[10:11], -v[12:13]
	ds_load_b128 v[2:5], v1 offset:1232
	s_wait_loadcnt_dscnt 0x801
	v_mul_f64_e32 v[173:174], v[167:168], v[16:17]
	v_mul_f64_e32 v[16:17], v[169:170], v[16:17]
	scratch_load_b128 v[10:13], off, off offset:496
	v_add_f64_e32 v[179:180], v[161:162], v[163:164]
	v_add_f64_e32 v[165:166], v[171:172], v[165:166]
	s_wait_loadcnt_dscnt 0x800
	v_mul_f64_e32 v[171:172], v[2:3], v[20:21]
	v_mul_f64_e32 v[20:21], v[4:5], v[20:21]
	v_fma_f64 v[169:170], v[169:170], v[14:15], v[173:174]
	v_fma_f64 v[167:168], v[167:168], v[14:15], -v[16:17]
	ds_load_b128 v[161:164], v1 offset:1248
	scratch_load_b128 v[14:17], off, off offset:512
	v_add_f64_e32 v[173:174], v[179:180], v[177:178]
	v_add_f64_e32 v[165:166], v[165:166], v[175:176]
	v_fma_f64 v[171:172], v[4:5], v[18:19], v[171:172]
	v_fma_f64 v[177:178], v[2:3], v[18:19], -v[20:21]
	ds_load_b128 v[2:5], v1 offset:1264
	s_wait_loadcnt_dscnt 0x801
	v_mul_f64_e32 v[175:176], v[161:162], v[24:25]
	v_mul_f64_e32 v[24:25], v[163:164], v[24:25]
	scratch_load_b128 v[18:21], off, off offset:528
	s_wait_loadcnt_dscnt 0x800
	v_mul_f64_e32 v[179:180], v[2:3], v[28:29]
	v_mul_f64_e32 v[28:29], v[4:5], v[28:29]
	v_add_f64_e32 v[173:174], v[173:174], v[167:168]
	v_add_f64_e32 v[169:170], v[165:166], v[169:170]
	ds_load_b128 v[165:168], v1 offset:1280
	v_fma_f64 v[163:164], v[163:164], v[22:23], v[175:176]
	v_fma_f64 v[161:162], v[161:162], v[22:23], -v[24:25]
	scratch_load_b128 v[22:25], off, off offset:544
	v_fma_f64 v[175:176], v[4:5], v[26:27], v[179:180]
	v_add_f64_e32 v[173:174], v[173:174], v[177:178]
	v_add_f64_e32 v[169:170], v[169:170], v[171:172]
	v_fma_f64 v[177:178], v[2:3], v[26:27], -v[28:29]
	ds_load_b128 v[2:5], v1 offset:1296
	s_wait_loadcnt_dscnt 0x801
	v_mul_f64_e32 v[171:172], v[165:166], v[32:33]
	v_mul_f64_e32 v[32:33], v[167:168], v[32:33]
	scratch_load_b128 v[26:29], off, off offset:560
	s_wait_loadcnt_dscnt 0x800
	v_mul_f64_e32 v[179:180], v[2:3], v[36:37]
	v_mul_f64_e32 v[36:37], v[4:5], v[36:37]
	v_add_f64_e32 v[173:174], v[173:174], v[161:162]
	v_add_f64_e32 v[169:170], v[169:170], v[163:164]
	ds_load_b128 v[161:164], v1 offset:1312
	v_fma_f64 v[167:168], v[167:168], v[30:31], v[171:172]
	v_fma_f64 v[165:166], v[165:166], v[30:31], -v[32:33]
	scratch_load_b128 v[30:33], off, off offset:576
	v_add_f64_e32 v[171:172], v[173:174], v[177:178]
	v_add_f64_e32 v[169:170], v[169:170], v[175:176]
	v_fma_f64 v[175:176], v[4:5], v[34:35], v[179:180]
	v_fma_f64 v[177:178], v[2:3], v[34:35], -v[36:37]
	ds_load_b128 v[2:5], v1 offset:1328
	s_wait_loadcnt_dscnt 0x801
	v_mul_f64_e32 v[173:174], v[161:162], v[159:160]
	v_mul_f64_e32 v[159:160], v[163:164], v[159:160]
	scratch_load_b128 v[34:37], off, off offset:592
	s_wait_loadcnt_dscnt 0x800
	v_mul_f64_e32 v[179:180], v[2:3], v[40:41]
	v_mul_f64_e32 v[40:41], v[4:5], v[40:41]
	v_add_f64_e32 v[171:172], v[171:172], v[165:166]
	v_add_f64_e32 v[169:170], v[169:170], v[167:168]
	ds_load_b128 v[165:168], v1 offset:1344
	v_fma_f64 v[163:164], v[163:164], v[157:158], v[173:174]
	v_fma_f64 v[161:162], v[161:162], v[157:158], -v[159:160]
	scratch_load_b128 v[157:160], off, off offset:608
	v_add_f64_e32 v[171:172], v[171:172], v[177:178]
	v_add_f64_e32 v[169:170], v[169:170], v[175:176]
	v_fma_f64 v[175:176], v[4:5], v[38:39], v[179:180]
	;; [unrolled: 18-line block ×6, first 2 shown]
	v_fma_f64 v[179:180], v[2:3], v[34:35], -v[36:37]
	ds_load_b128 v[2:5], v1 offset:1488
	s_wait_loadcnt_dscnt 0x801
	v_mul_f64_e32 v[173:174], v[165:166], v[159:160]
	v_mul_f64_e32 v[175:176], v[167:168], v[159:160]
	scratch_load_b128 v[34:37], off, off offset:752
	v_add_f64_e32 v[171:172], v[171:172], v[161:162]
	v_add_f64_e32 v[163:164], v[169:170], v[163:164]
	s_wait_loadcnt_dscnt 0x800
	v_mul_f64_e32 v[169:170], v[2:3], v[40:41]
	v_mul_f64_e32 v[40:41], v[4:5], v[40:41]
	ds_load_b128 v[159:162], v1 offset:1504
	v_fma_f64 v[167:168], v[167:168], v[157:158], v[173:174]
	v_fma_f64 v[157:158], v[165:166], v[157:158], -v[175:176]
	v_add_f64_e32 v[171:172], v[171:172], v[179:180]
	v_add_f64_e32 v[173:174], v[163:164], v[177:178]
	scratch_load_b128 v[163:166], off, off offset:768
	v_fma_f64 v[177:178], v[4:5], v[38:39], v[169:170]
	v_fma_f64 v[179:180], v[2:3], v[38:39], -v[40:41]
	ds_load_b128 v[2:5], v1 offset:1520
	s_wait_loadcnt_dscnt 0x801
	v_mul_f64_e32 v[175:176], v[159:160], v[8:9]
	v_mul_f64_e32 v[8:9], v[161:162], v[8:9]
	scratch_load_b128 v[38:41], off, off offset:784
	v_add_f64_e32 v[157:158], v[171:172], v[157:158]
	v_add_f64_e32 v[171:172], v[173:174], v[167:168]
	s_wait_loadcnt_dscnt 0x800
	v_mul_f64_e32 v[173:174], v[2:3], v[12:13]
	v_mul_f64_e32 v[12:13], v[4:5], v[12:13]
	ds_load_b128 v[167:170], v1 offset:1536
	v_fma_f64 v[161:162], v[161:162], v[6:7], v[175:176]
	v_fma_f64 v[159:160], v[159:160], v[6:7], -v[8:9]
	scratch_load_b128 v[6:9], off, off offset:800
	v_add_f64_e32 v[157:158], v[157:158], v[179:180]
	v_add_f64_e32 v[171:172], v[171:172], v[177:178]
	v_fma_f64 v[173:174], v[4:5], v[10:11], v[173:174]
	v_fma_f64 v[177:178], v[2:3], v[10:11], -v[12:13]
	ds_load_b128 v[2:5], v1 offset:1552
	s_wait_loadcnt_dscnt 0x801
	v_mul_f64_e32 v[175:176], v[167:168], v[16:17]
	v_mul_f64_e32 v[16:17], v[169:170], v[16:17]
	scratch_load_b128 v[10:13], off, off offset:816
	v_add_f64_e32 v[179:180], v[157:158], v[159:160]
	v_add_f64_e32 v[161:162], v[171:172], v[161:162]
	s_wait_loadcnt_dscnt 0x800
	v_mul_f64_e32 v[171:172], v[2:3], v[20:21]
	v_mul_f64_e32 v[20:21], v[4:5], v[20:21]
	ds_load_b128 v[157:160], v1 offset:1568
	v_fma_f64 v[169:170], v[169:170], v[14:15], v[175:176]
	v_fma_f64 v[167:168], v[167:168], v[14:15], -v[16:17]
	scratch_load_b128 v[14:17], off, off offset:832
	v_add_f64_e32 v[175:176], v[179:180], v[177:178]
	v_add_f64_e32 v[161:162], v[161:162], v[173:174]
	v_fma_f64 v[171:172], v[4:5], v[18:19], v[171:172]
	v_fma_f64 v[177:178], v[2:3], v[18:19], -v[20:21]
	ds_load_b128 v[2:5], v1 offset:1584
	s_wait_loadcnt_dscnt 0x801
	v_mul_f64_e32 v[173:174], v[157:158], v[24:25]
	v_mul_f64_e32 v[24:25], v[159:160], v[24:25]
	scratch_load_b128 v[18:21], off, off offset:848
	s_wait_loadcnt_dscnt 0x800
	v_mul_f64_e32 v[179:180], v[2:3], v[28:29]
	v_mul_f64_e32 v[28:29], v[4:5], v[28:29]
	v_add_f64_e32 v[175:176], v[175:176], v[167:168]
	v_add_f64_e32 v[161:162], v[161:162], v[169:170]
	ds_load_b128 v[167:170], v1 offset:1600
	v_fma_f64 v[159:160], v[159:160], v[22:23], v[173:174]
	v_fma_f64 v[157:158], v[157:158], v[22:23], -v[24:25]
	scratch_load_b128 v[22:25], off, off offset:864
	v_add_f64_e32 v[173:174], v[175:176], v[177:178]
	v_add_f64_e32 v[161:162], v[161:162], v[171:172]
	v_fma_f64 v[175:176], v[4:5], v[26:27], v[179:180]
	v_fma_f64 v[177:178], v[2:3], v[26:27], -v[28:29]
	ds_load_b128 v[2:5], v1 offset:1616
	s_wait_loadcnt_dscnt 0x801
	v_mul_f64_e32 v[171:172], v[167:168], v[32:33]
	v_mul_f64_e32 v[32:33], v[169:170], v[32:33]
	scratch_load_b128 v[26:29], off, off offset:880
	s_wait_loadcnt_dscnt 0x800
	v_mul_f64_e32 v[179:180], v[2:3], v[36:37]
	v_mul_f64_e32 v[36:37], v[4:5], v[36:37]
	v_add_f64_e32 v[173:174], v[173:174], v[157:158]
	v_add_f64_e32 v[161:162], v[161:162], v[159:160]
	ds_load_b128 v[157:160], v1 offset:1632
	v_fma_f64 v[169:170], v[169:170], v[30:31], v[171:172]
	v_fma_f64 v[30:31], v[167:168], v[30:31], -v[32:33]
	v_fma_f64 v[171:172], v[4:5], v[34:35], v[179:180]
	v_fma_f64 v[34:35], v[2:3], v[34:35], -v[36:37]
	v_add_f64_e32 v[32:33], v[173:174], v[177:178]
	v_add_f64_e32 v[161:162], v[161:162], v[175:176]
	s_wait_loadcnt_dscnt 0x700
	v_mul_f64_e32 v[167:168], v[157:158], v[165:166]
	v_mul_f64_e32 v[165:166], v[159:160], v[165:166]
	s_delay_alu instid0(VALU_DEP_4) | instskip(NEXT) | instid1(VALU_DEP_4)
	v_add_f64_e32 v[36:37], v[32:33], v[30:31]
	v_add_f64_e32 v[161:162], v[161:162], v[169:170]
	ds_load_b128 v[2:5], v1 offset:1648
	ds_load_b128 v[30:33], v1 offset:1664
	v_fma_f64 v[159:160], v[159:160], v[163:164], v[167:168]
	v_fma_f64 v[157:158], v[157:158], v[163:164], -v[165:166]
	s_wait_loadcnt_dscnt 0x601
	v_mul_f64_e32 v[169:170], v[2:3], v[40:41]
	v_mul_f64_e32 v[40:41], v[4:5], v[40:41]
	v_add_f64_e32 v[34:35], v[36:37], v[34:35]
	v_add_f64_e32 v[36:37], v[161:162], v[171:172]
	s_wait_loadcnt_dscnt 0x500
	v_mul_f64_e32 v[161:162], v[30:31], v[8:9]
	v_mul_f64_e32 v[8:9], v[32:33], v[8:9]
	v_fma_f64 v[163:164], v[4:5], v[38:39], v[169:170]
	v_fma_f64 v[38:39], v[2:3], v[38:39], -v[40:41]
	v_add_f64_e32 v[40:41], v[34:35], v[157:158]
	v_add_f64_e32 v[157:158], v[36:37], v[159:160]
	ds_load_b128 v[2:5], v1 offset:1680
	ds_load_b128 v[34:37], v1 offset:1696
	v_fma_f64 v[32:33], v[32:33], v[6:7], v[161:162]
	v_fma_f64 v[6:7], v[30:31], v[6:7], -v[8:9]
	s_wait_loadcnt_dscnt 0x401
	v_mul_f64_e32 v[159:160], v[2:3], v[12:13]
	v_mul_f64_e32 v[12:13], v[4:5], v[12:13]
	v_add_f64_e32 v[8:9], v[40:41], v[38:39]
	v_add_f64_e32 v[30:31], v[157:158], v[163:164]
	s_wait_loadcnt_dscnt 0x300
	v_mul_f64_e32 v[38:39], v[34:35], v[16:17]
	v_mul_f64_e32 v[16:17], v[36:37], v[16:17]
	v_fma_f64 v[40:41], v[4:5], v[10:11], v[159:160]
	v_fma_f64 v[10:11], v[2:3], v[10:11], -v[12:13]
	v_add_f64_e32 v[12:13], v[8:9], v[6:7]
	v_add_f64_e32 v[30:31], v[30:31], v[32:33]
	ds_load_b128 v[2:5], v1 offset:1712
	ds_load_b128 v[6:9], v1 offset:1728
	v_fma_f64 v[36:37], v[36:37], v[14:15], v[38:39]
	v_fma_f64 v[14:15], v[34:35], v[14:15], -v[16:17]
	s_wait_loadcnt_dscnt 0x201
	v_mul_f64_e32 v[32:33], v[2:3], v[20:21]
	v_mul_f64_e32 v[20:21], v[4:5], v[20:21]
	s_wait_loadcnt_dscnt 0x100
	v_mul_f64_e32 v[16:17], v[6:7], v[24:25]
	v_mul_f64_e32 v[24:25], v[8:9], v[24:25]
	v_add_f64_e32 v[10:11], v[12:13], v[10:11]
	v_add_f64_e32 v[12:13], v[30:31], v[40:41]
	v_fma_f64 v[30:31], v[4:5], v[18:19], v[32:33]
	v_fma_f64 v[18:19], v[2:3], v[18:19], -v[20:21]
	ds_load_b128 v[2:5], v1 offset:1744
	v_fma_f64 v[8:9], v[8:9], v[22:23], v[16:17]
	v_fma_f64 v[6:7], v[6:7], v[22:23], -v[24:25]
	v_add_f64_e32 v[10:11], v[10:11], v[14:15]
	v_add_f64_e32 v[12:13], v[12:13], v[36:37]
	s_wait_loadcnt_dscnt 0x0
	v_mul_f64_e32 v[14:15], v[2:3], v[28:29]
	v_mul_f64_e32 v[20:21], v[4:5], v[28:29]
	s_delay_alu instid0(VALU_DEP_4) | instskip(NEXT) | instid1(VALU_DEP_4)
	v_add_f64_e32 v[10:11], v[10:11], v[18:19]
	v_add_f64_e32 v[12:13], v[12:13], v[30:31]
	s_delay_alu instid0(VALU_DEP_4) | instskip(NEXT) | instid1(VALU_DEP_4)
	v_fma_f64 v[4:5], v[4:5], v[26:27], v[14:15]
	v_fma_f64 v[2:3], v[2:3], v[26:27], -v[20:21]
	s_delay_alu instid0(VALU_DEP_4) | instskip(NEXT) | instid1(VALU_DEP_4)
	v_add_f64_e32 v[6:7], v[10:11], v[6:7]
	v_add_f64_e32 v[8:9], v[12:13], v[8:9]
	s_delay_alu instid0(VALU_DEP_2) | instskip(NEXT) | instid1(VALU_DEP_2)
	v_add_f64_e32 v[2:3], v[6:7], v[2:3]
	v_add_f64_e32 v[4:5], v[8:9], v[4:5]
	s_delay_alu instid0(VALU_DEP_2) | instskip(NEXT) | instid1(VALU_DEP_2)
	v_add_f64_e64 v[2:3], v[42:43], -v[2:3]
	v_add_f64_e64 v[4:5], v[44:45], -v[4:5]
	scratch_store_b128 off, v[2:5], off offset:128
	v_cmpx_lt_u32_e32 6, v0
	s_cbranch_execz .LBB54_331
; %bb.330:
	scratch_load_b128 v[5:8], off, s62
	v_dual_mov_b32 v2, v1 :: v_dual_mov_b32 v3, v1
	v_mov_b32_e32 v4, v1
	scratch_store_b128 off, v[1:4], off offset:112
	s_wait_loadcnt 0x0
	ds_store_b128 v156, v[5:8]
.LBB54_331:
	s_wait_alu 0xfffe
	s_or_b32 exec_lo, exec_lo, s0
	s_wait_storecnt_dscnt 0x0
	s_barrier_signal -1
	s_barrier_wait -1
	global_inv scope:SCOPE_SE
	s_clause 0x8
	scratch_load_b128 v[2:5], off, off offset:128
	scratch_load_b128 v[6:9], off, off offset:144
	;; [unrolled: 1-line block ×9, first 2 shown]
	ds_load_b128 v[42:45], v1 offset:992
	ds_load_b128 v[38:41], v1 offset:1008
	s_clause 0x1
	scratch_load_b128 v[157:160], off, off offset:112
	scratch_load_b128 v[161:164], off, off offset:272
	s_mov_b32 s0, exec_lo
	s_wait_loadcnt_dscnt 0xa01
	v_mul_f64_e32 v[165:166], v[44:45], v[4:5]
	v_mul_f64_e32 v[4:5], v[42:43], v[4:5]
	s_wait_loadcnt_dscnt 0x900
	v_mul_f64_e32 v[169:170], v[38:39], v[8:9]
	v_mul_f64_e32 v[8:9], v[40:41], v[8:9]
	s_delay_alu instid0(VALU_DEP_4) | instskip(NEXT) | instid1(VALU_DEP_4)
	v_fma_f64 v[171:172], v[42:43], v[2:3], -v[165:166]
	v_fma_f64 v[173:174], v[44:45], v[2:3], v[4:5]
	ds_load_b128 v[2:5], v1 offset:1024
	ds_load_b128 v[165:168], v1 offset:1040
	scratch_load_b128 v[42:45], off, off offset:288
	v_fma_f64 v[40:41], v[40:41], v[6:7], v[169:170]
	v_fma_f64 v[38:39], v[38:39], v[6:7], -v[8:9]
	scratch_load_b128 v[6:9], off, off offset:304
	s_wait_loadcnt_dscnt 0xa01
	v_mul_f64_e32 v[175:176], v[2:3], v[12:13]
	v_mul_f64_e32 v[12:13], v[4:5], v[12:13]
	v_add_f64_e32 v[169:170], 0, v[171:172]
	v_add_f64_e32 v[171:172], 0, v[173:174]
	s_wait_loadcnt_dscnt 0x900
	v_mul_f64_e32 v[173:174], v[165:166], v[16:17]
	v_mul_f64_e32 v[16:17], v[167:168], v[16:17]
	v_fma_f64 v[175:176], v[4:5], v[10:11], v[175:176]
	v_fma_f64 v[177:178], v[2:3], v[10:11], -v[12:13]
	ds_load_b128 v[2:5], v1 offset:1056
	scratch_load_b128 v[10:13], off, off offset:320
	v_add_f64_e32 v[169:170], v[169:170], v[38:39]
	v_add_f64_e32 v[171:172], v[171:172], v[40:41]
	ds_load_b128 v[38:41], v1 offset:1072
	v_fma_f64 v[167:168], v[167:168], v[14:15], v[173:174]
	v_fma_f64 v[165:166], v[165:166], v[14:15], -v[16:17]
	scratch_load_b128 v[14:17], off, off offset:336
	s_wait_loadcnt_dscnt 0xa01
	v_mul_f64_e32 v[179:180], v[2:3], v[20:21]
	v_mul_f64_e32 v[20:21], v[4:5], v[20:21]
	s_wait_loadcnt_dscnt 0x900
	v_mul_f64_e32 v[173:174], v[38:39], v[24:25]
	v_mul_f64_e32 v[24:25], v[40:41], v[24:25]
	v_add_f64_e32 v[169:170], v[169:170], v[177:178]
	v_add_f64_e32 v[171:172], v[171:172], v[175:176]
	v_fma_f64 v[175:176], v[4:5], v[18:19], v[179:180]
	v_fma_f64 v[177:178], v[2:3], v[18:19], -v[20:21]
	ds_load_b128 v[2:5], v1 offset:1088
	scratch_load_b128 v[18:21], off, off offset:352
	v_fma_f64 v[40:41], v[40:41], v[22:23], v[173:174]
	v_fma_f64 v[38:39], v[38:39], v[22:23], -v[24:25]
	scratch_load_b128 v[22:25], off, off offset:368
	v_add_f64_e32 v[169:170], v[169:170], v[165:166]
	v_add_f64_e32 v[171:172], v[171:172], v[167:168]
	ds_load_b128 v[165:168], v1 offset:1104
	s_wait_loadcnt_dscnt 0xa01
	v_mul_f64_e32 v[179:180], v[2:3], v[28:29]
	v_mul_f64_e32 v[28:29], v[4:5], v[28:29]
	s_wait_loadcnt_dscnt 0x900
	v_mul_f64_e32 v[173:174], v[165:166], v[32:33]
	v_mul_f64_e32 v[32:33], v[167:168], v[32:33]
	v_add_f64_e32 v[169:170], v[169:170], v[177:178]
	v_add_f64_e32 v[171:172], v[171:172], v[175:176]
	v_fma_f64 v[175:176], v[4:5], v[26:27], v[179:180]
	v_fma_f64 v[177:178], v[2:3], v[26:27], -v[28:29]
	ds_load_b128 v[2:5], v1 offset:1120
	scratch_load_b128 v[26:29], off, off offset:384
	v_fma_f64 v[167:168], v[167:168], v[30:31], v[173:174]
	v_fma_f64 v[165:166], v[165:166], v[30:31], -v[32:33]
	scratch_load_b128 v[30:33], off, off offset:400
	v_add_f64_e32 v[169:170], v[169:170], v[38:39]
	v_add_f64_e32 v[171:172], v[171:172], v[40:41]
	ds_load_b128 v[38:41], v1 offset:1136
	s_wait_loadcnt_dscnt 0xa01
	v_mul_f64_e32 v[179:180], v[2:3], v[36:37]
	v_mul_f64_e32 v[36:37], v[4:5], v[36:37]
	s_wait_loadcnt_dscnt 0x800
	v_mul_f64_e32 v[173:174], v[38:39], v[163:164]
	v_add_f64_e32 v[169:170], v[169:170], v[177:178]
	v_add_f64_e32 v[171:172], v[171:172], v[175:176]
	v_mul_f64_e32 v[175:176], v[40:41], v[163:164]
	v_fma_f64 v[177:178], v[4:5], v[34:35], v[179:180]
	v_fma_f64 v[179:180], v[2:3], v[34:35], -v[36:37]
	ds_load_b128 v[2:5], v1 offset:1152
	scratch_load_b128 v[34:37], off, off offset:416
	v_fma_f64 v[173:174], v[40:41], v[161:162], v[173:174]
	v_add_f64_e32 v[169:170], v[169:170], v[165:166]
	v_add_f64_e32 v[167:168], v[171:172], v[167:168]
	ds_load_b128 v[163:166], v1 offset:1168
	v_fma_f64 v[161:162], v[38:39], v[161:162], -v[175:176]
	scratch_load_b128 v[38:41], off, off offset:432
	s_wait_loadcnt_dscnt 0x901
	v_mul_f64_e32 v[171:172], v[2:3], v[44:45]
	v_mul_f64_e32 v[44:45], v[4:5], v[44:45]
	s_wait_loadcnt_dscnt 0x800
	v_mul_f64_e32 v[175:176], v[163:164], v[8:9]
	v_mul_f64_e32 v[8:9], v[165:166], v[8:9]
	v_add_f64_e32 v[169:170], v[169:170], v[179:180]
	v_add_f64_e32 v[167:168], v[167:168], v[177:178]
	v_fma_f64 v[171:172], v[4:5], v[42:43], v[171:172]
	v_fma_f64 v[177:178], v[2:3], v[42:43], -v[44:45]
	ds_load_b128 v[2:5], v1 offset:1184
	scratch_load_b128 v[42:45], off, off offset:448
	v_fma_f64 v[165:166], v[165:166], v[6:7], v[175:176]
	v_fma_f64 v[163:164], v[163:164], v[6:7], -v[8:9]
	scratch_load_b128 v[6:9], off, off offset:464
	v_add_f64_e32 v[161:162], v[169:170], v[161:162]
	v_add_f64_e32 v[173:174], v[167:168], v[173:174]
	ds_load_b128 v[167:170], v1 offset:1200
	s_wait_loadcnt_dscnt 0x901
	v_mul_f64_e32 v[179:180], v[2:3], v[12:13]
	v_mul_f64_e32 v[12:13], v[4:5], v[12:13]
	v_add_f64_e32 v[161:162], v[161:162], v[177:178]
	v_add_f64_e32 v[171:172], v[173:174], v[171:172]
	s_wait_loadcnt_dscnt 0x800
	v_mul_f64_e32 v[173:174], v[167:168], v[16:17]
	v_mul_f64_e32 v[16:17], v[169:170], v[16:17]
	v_fma_f64 v[175:176], v[4:5], v[10:11], v[179:180]
	v_fma_f64 v[177:178], v[2:3], v[10:11], -v[12:13]
	ds_load_b128 v[2:5], v1 offset:1216
	scratch_load_b128 v[10:13], off, off offset:480
	v_add_f64_e32 v[179:180], v[161:162], v[163:164]
	v_add_f64_e32 v[165:166], v[171:172], v[165:166]
	ds_load_b128 v[161:164], v1 offset:1232
	s_wait_loadcnt_dscnt 0x801
	v_mul_f64_e32 v[171:172], v[2:3], v[20:21]
	v_mul_f64_e32 v[20:21], v[4:5], v[20:21]
	v_fma_f64 v[169:170], v[169:170], v[14:15], v[173:174]
	v_fma_f64 v[167:168], v[167:168], v[14:15], -v[16:17]
	scratch_load_b128 v[14:17], off, off offset:496
	v_add_f64_e32 v[173:174], v[179:180], v[177:178]
	v_add_f64_e32 v[165:166], v[165:166], v[175:176]
	s_wait_loadcnt_dscnt 0x800
	v_mul_f64_e32 v[175:176], v[161:162], v[24:25]
	v_mul_f64_e32 v[24:25], v[163:164], v[24:25]
	v_fma_f64 v[171:172], v[4:5], v[18:19], v[171:172]
	v_fma_f64 v[177:178], v[2:3], v[18:19], -v[20:21]
	ds_load_b128 v[2:5], v1 offset:1248
	scratch_load_b128 v[18:21], off, off offset:512
	v_add_f64_e32 v[173:174], v[173:174], v[167:168]
	v_add_f64_e32 v[169:170], v[165:166], v[169:170]
	ds_load_b128 v[165:168], v1 offset:1264
	s_wait_loadcnt_dscnt 0x801
	v_mul_f64_e32 v[179:180], v[2:3], v[28:29]
	v_mul_f64_e32 v[28:29], v[4:5], v[28:29]
	v_fma_f64 v[163:164], v[163:164], v[22:23], v[175:176]
	v_fma_f64 v[161:162], v[161:162], v[22:23], -v[24:25]
	scratch_load_b128 v[22:25], off, off offset:528
	;; [unrolled: 18-line block ×4, first 2 shown]
	s_wait_loadcnt_dscnt 0x800
	v_mul_f64_e32 v[173:174], v[165:166], v[8:9]
	v_mul_f64_e32 v[8:9], v[167:168], v[8:9]
	v_add_f64_e32 v[171:172], v[171:172], v[177:178]
	v_add_f64_e32 v[169:170], v[169:170], v[175:176]
	v_fma_f64 v[175:176], v[4:5], v[42:43], v[179:180]
	v_fma_f64 v[177:178], v[2:3], v[42:43], -v[44:45]
	ds_load_b128 v[2:5], v1 offset:1344
	scratch_load_b128 v[42:45], off, off offset:608
	v_fma_f64 v[167:168], v[167:168], v[6:7], v[173:174]
	v_fma_f64 v[165:166], v[165:166], v[6:7], -v[8:9]
	scratch_load_b128 v[6:9], off, off offset:624
	v_add_f64_e32 v[171:172], v[171:172], v[161:162]
	v_add_f64_e32 v[169:170], v[169:170], v[163:164]
	ds_load_b128 v[161:164], v1 offset:1360
	s_wait_loadcnt_dscnt 0x901
	v_mul_f64_e32 v[179:180], v[2:3], v[12:13]
	v_mul_f64_e32 v[12:13], v[4:5], v[12:13]
	s_wait_loadcnt_dscnt 0x800
	v_mul_f64_e32 v[173:174], v[161:162], v[16:17]
	v_mul_f64_e32 v[16:17], v[163:164], v[16:17]
	v_add_f64_e32 v[171:172], v[171:172], v[177:178]
	v_add_f64_e32 v[169:170], v[169:170], v[175:176]
	v_fma_f64 v[175:176], v[4:5], v[10:11], v[179:180]
	v_fma_f64 v[177:178], v[2:3], v[10:11], -v[12:13]
	ds_load_b128 v[2:5], v1 offset:1376
	scratch_load_b128 v[10:13], off, off offset:640
	v_fma_f64 v[163:164], v[163:164], v[14:15], v[173:174]
	v_fma_f64 v[161:162], v[161:162], v[14:15], -v[16:17]
	scratch_load_b128 v[14:17], off, off offset:656
	v_add_f64_e32 v[171:172], v[171:172], v[165:166]
	v_add_f64_e32 v[169:170], v[169:170], v[167:168]
	ds_load_b128 v[165:168], v1 offset:1392
	s_wait_loadcnt_dscnt 0x901
	v_mul_f64_e32 v[179:180], v[2:3], v[20:21]
	v_mul_f64_e32 v[20:21], v[4:5], v[20:21]
	;; [unrolled: 18-line block ×9, first 2 shown]
	s_wait_loadcnt_dscnt 0x800
	v_mul_f64_e32 v[173:174], v[161:162], v[40:41]
	v_mul_f64_e32 v[40:41], v[163:164], v[40:41]
	v_add_f64_e32 v[171:172], v[171:172], v[177:178]
	v_add_f64_e32 v[169:170], v[169:170], v[175:176]
	v_fma_f64 v[175:176], v[4:5], v[34:35], v[179:180]
	v_fma_f64 v[177:178], v[2:3], v[34:35], -v[36:37]
	ds_load_b128 v[2:5], v1 offset:1632
	ds_load_b128 v[34:37], v1 offset:1648
	v_fma_f64 v[163:164], v[163:164], v[38:39], v[173:174]
	v_fma_f64 v[38:39], v[161:162], v[38:39], -v[40:41]
	v_add_f64_e32 v[165:166], v[171:172], v[165:166]
	v_add_f64_e32 v[167:168], v[169:170], v[167:168]
	s_wait_loadcnt_dscnt 0x701
	v_mul_f64_e32 v[169:170], v[2:3], v[44:45]
	v_mul_f64_e32 v[44:45], v[4:5], v[44:45]
	s_delay_alu instid0(VALU_DEP_4) | instskip(NEXT) | instid1(VALU_DEP_4)
	v_add_f64_e32 v[40:41], v[165:166], v[177:178]
	v_add_f64_e32 v[161:162], v[167:168], v[175:176]
	s_wait_loadcnt_dscnt 0x600
	v_mul_f64_e32 v[165:166], v[34:35], v[8:9]
	v_mul_f64_e32 v[8:9], v[36:37], v[8:9]
	v_fma_f64 v[167:168], v[4:5], v[42:43], v[169:170]
	v_fma_f64 v[42:43], v[2:3], v[42:43], -v[44:45]
	v_add_f64_e32 v[44:45], v[40:41], v[38:39]
	v_add_f64_e32 v[161:162], v[161:162], v[163:164]
	ds_load_b128 v[2:5], v1 offset:1664
	ds_load_b128 v[38:41], v1 offset:1680
	v_fma_f64 v[36:37], v[36:37], v[6:7], v[165:166]
	v_fma_f64 v[6:7], v[34:35], v[6:7], -v[8:9]
	s_wait_loadcnt_dscnt 0x501
	v_mul_f64_e32 v[163:164], v[2:3], v[12:13]
	v_mul_f64_e32 v[12:13], v[4:5], v[12:13]
	v_add_f64_e32 v[8:9], v[44:45], v[42:43]
	v_add_f64_e32 v[34:35], v[161:162], v[167:168]
	s_wait_loadcnt_dscnt 0x400
	v_mul_f64_e32 v[42:43], v[38:39], v[16:17]
	v_mul_f64_e32 v[16:17], v[40:41], v[16:17]
	v_fma_f64 v[44:45], v[4:5], v[10:11], v[163:164]
	v_fma_f64 v[10:11], v[2:3], v[10:11], -v[12:13]
	v_add_f64_e32 v[12:13], v[8:9], v[6:7]
	v_add_f64_e32 v[34:35], v[34:35], v[36:37]
	ds_load_b128 v[2:5], v1 offset:1696
	ds_load_b128 v[6:9], v1 offset:1712
	v_fma_f64 v[40:41], v[40:41], v[14:15], v[42:43]
	v_fma_f64 v[14:15], v[38:39], v[14:15], -v[16:17]
	s_wait_loadcnt_dscnt 0x301
	v_mul_f64_e32 v[36:37], v[2:3], v[20:21]
	v_mul_f64_e32 v[20:21], v[4:5], v[20:21]
	s_wait_loadcnt_dscnt 0x200
	v_mul_f64_e32 v[16:17], v[6:7], v[24:25]
	v_mul_f64_e32 v[24:25], v[8:9], v[24:25]
	v_add_f64_e32 v[10:11], v[12:13], v[10:11]
	v_add_f64_e32 v[12:13], v[34:35], v[44:45]
	v_fma_f64 v[34:35], v[4:5], v[18:19], v[36:37]
	v_fma_f64 v[18:19], v[2:3], v[18:19], -v[20:21]
	v_fma_f64 v[8:9], v[8:9], v[22:23], v[16:17]
	v_fma_f64 v[6:7], v[6:7], v[22:23], -v[24:25]
	v_add_f64_e32 v[14:15], v[10:11], v[14:15]
	v_add_f64_e32 v[20:21], v[12:13], v[40:41]
	ds_load_b128 v[2:5], v1 offset:1728
	ds_load_b128 v[10:13], v1 offset:1744
	s_wait_loadcnt_dscnt 0x101
	v_mul_f64_e32 v[36:37], v[2:3], v[28:29]
	v_mul_f64_e32 v[28:29], v[4:5], v[28:29]
	v_add_f64_e32 v[14:15], v[14:15], v[18:19]
	v_add_f64_e32 v[16:17], v[20:21], v[34:35]
	s_wait_loadcnt_dscnt 0x0
	v_mul_f64_e32 v[18:19], v[10:11], v[32:33]
	v_mul_f64_e32 v[20:21], v[12:13], v[32:33]
	v_fma_f64 v[4:5], v[4:5], v[26:27], v[36:37]
	v_fma_f64 v[1:2], v[2:3], v[26:27], -v[28:29]
	v_add_f64_e32 v[6:7], v[14:15], v[6:7]
	v_add_f64_e32 v[8:9], v[16:17], v[8:9]
	v_fma_f64 v[12:13], v[12:13], v[30:31], v[18:19]
	v_fma_f64 v[10:11], v[10:11], v[30:31], -v[20:21]
	s_delay_alu instid0(VALU_DEP_4) | instskip(NEXT) | instid1(VALU_DEP_4)
	v_add_f64_e32 v[1:2], v[6:7], v[1:2]
	v_add_f64_e32 v[3:4], v[8:9], v[4:5]
	s_delay_alu instid0(VALU_DEP_2) | instskip(NEXT) | instid1(VALU_DEP_2)
	v_add_f64_e32 v[1:2], v[1:2], v[10:11]
	v_add_f64_e32 v[3:4], v[3:4], v[12:13]
	s_delay_alu instid0(VALU_DEP_2) | instskip(NEXT) | instid1(VALU_DEP_2)
	v_add_f64_e64 v[1:2], v[157:158], -v[1:2]
	v_add_f64_e64 v[3:4], v[159:160], -v[3:4]
	scratch_store_b128 off, v[1:4], off offset:112
	v_cmpx_lt_u32_e32 5, v0
	s_cbranch_execz .LBB54_333
; %bb.332:
	scratch_load_b128 v[1:4], off, s63
	v_mov_b32_e32 v5, 0
	s_delay_alu instid0(VALU_DEP_1)
	v_dual_mov_b32 v6, v5 :: v_dual_mov_b32 v7, v5
	v_mov_b32_e32 v8, v5
	scratch_store_b128 off, v[5:8], off offset:96
	s_wait_loadcnt 0x0
	ds_store_b128 v156, v[1:4]
.LBB54_333:
	s_wait_alu 0xfffe
	s_or_b32 exec_lo, exec_lo, s0
	s_wait_storecnt_dscnt 0x0
	s_barrier_signal -1
	s_barrier_wait -1
	global_inv scope:SCOPE_SE
	s_clause 0x7
	scratch_load_b128 v[2:5], off, off offset:112
	scratch_load_b128 v[6:9], off, off offset:128
	;; [unrolled: 1-line block ×8, first 2 shown]
	v_mov_b32_e32 v1, 0
	s_mov_b32 s0, exec_lo
	ds_load_b128 v[38:41], v1 offset:976
	s_clause 0x1
	scratch_load_b128 v[34:37], off, off offset:240
	scratch_load_b128 v[42:45], off, off offset:96
	ds_load_b128 v[157:160], v1 offset:992
	scratch_load_b128 v[161:164], off, off offset:256
	s_wait_loadcnt_dscnt 0xa01
	v_mul_f64_e32 v[165:166], v[40:41], v[4:5]
	v_mul_f64_e32 v[4:5], v[38:39], v[4:5]
	s_delay_alu instid0(VALU_DEP_2) | instskip(NEXT) | instid1(VALU_DEP_2)
	v_fma_f64 v[171:172], v[38:39], v[2:3], -v[165:166]
	v_fma_f64 v[173:174], v[40:41], v[2:3], v[4:5]
	ds_load_b128 v[2:5], v1 offset:1008
	s_wait_loadcnt_dscnt 0x901
	v_mul_f64_e32 v[169:170], v[157:158], v[8:9]
	v_mul_f64_e32 v[8:9], v[159:160], v[8:9]
	scratch_load_b128 v[38:41], off, off offset:272
	ds_load_b128 v[165:168], v1 offset:1024
	s_wait_loadcnt_dscnt 0x901
	v_mul_f64_e32 v[175:176], v[2:3], v[12:13]
	v_mul_f64_e32 v[12:13], v[4:5], v[12:13]
	v_fma_f64 v[159:160], v[159:160], v[6:7], v[169:170]
	v_fma_f64 v[157:158], v[157:158], v[6:7], -v[8:9]
	v_add_f64_e32 v[169:170], 0, v[171:172]
	v_add_f64_e32 v[171:172], 0, v[173:174]
	scratch_load_b128 v[6:9], off, off offset:288
	v_fma_f64 v[175:176], v[4:5], v[10:11], v[175:176]
	v_fma_f64 v[177:178], v[2:3], v[10:11], -v[12:13]
	ds_load_b128 v[2:5], v1 offset:1040
	s_wait_loadcnt_dscnt 0x901
	v_mul_f64_e32 v[173:174], v[165:166], v[16:17]
	v_mul_f64_e32 v[16:17], v[167:168], v[16:17]
	scratch_load_b128 v[10:13], off, off offset:304
	v_add_f64_e32 v[169:170], v[169:170], v[157:158]
	v_add_f64_e32 v[171:172], v[171:172], v[159:160]
	s_wait_loadcnt_dscnt 0x900
	v_mul_f64_e32 v[179:180], v[2:3], v[20:21]
	v_mul_f64_e32 v[20:21], v[4:5], v[20:21]
	ds_load_b128 v[157:160], v1 offset:1056
	v_fma_f64 v[167:168], v[167:168], v[14:15], v[173:174]
	v_fma_f64 v[165:166], v[165:166], v[14:15], -v[16:17]
	scratch_load_b128 v[14:17], off, off offset:320
	v_add_f64_e32 v[169:170], v[169:170], v[177:178]
	v_add_f64_e32 v[171:172], v[171:172], v[175:176]
	v_fma_f64 v[175:176], v[4:5], v[18:19], v[179:180]
	v_fma_f64 v[177:178], v[2:3], v[18:19], -v[20:21]
	ds_load_b128 v[2:5], v1 offset:1072
	s_wait_loadcnt_dscnt 0x901
	v_mul_f64_e32 v[173:174], v[157:158], v[24:25]
	v_mul_f64_e32 v[24:25], v[159:160], v[24:25]
	scratch_load_b128 v[18:21], off, off offset:336
	s_wait_loadcnt_dscnt 0x900
	v_mul_f64_e32 v[179:180], v[2:3], v[28:29]
	v_mul_f64_e32 v[28:29], v[4:5], v[28:29]
	v_add_f64_e32 v[169:170], v[169:170], v[165:166]
	v_add_f64_e32 v[171:172], v[171:172], v[167:168]
	ds_load_b128 v[165:168], v1 offset:1088
	v_fma_f64 v[159:160], v[159:160], v[22:23], v[173:174]
	v_fma_f64 v[157:158], v[157:158], v[22:23], -v[24:25]
	scratch_load_b128 v[22:25], off, off offset:352
	v_add_f64_e32 v[169:170], v[169:170], v[177:178]
	v_add_f64_e32 v[171:172], v[171:172], v[175:176]
	v_fma_f64 v[175:176], v[4:5], v[26:27], v[179:180]
	v_fma_f64 v[177:178], v[2:3], v[26:27], -v[28:29]
	ds_load_b128 v[2:5], v1 offset:1104
	s_wait_loadcnt_dscnt 0x901
	v_mul_f64_e32 v[173:174], v[165:166], v[32:33]
	v_mul_f64_e32 v[32:33], v[167:168], v[32:33]
	scratch_load_b128 v[26:29], off, off offset:368
	s_wait_loadcnt_dscnt 0x900
	v_mul_f64_e32 v[179:180], v[2:3], v[36:37]
	v_mul_f64_e32 v[36:37], v[4:5], v[36:37]
	v_add_f64_e32 v[169:170], v[169:170], v[157:158]
	v_add_f64_e32 v[171:172], v[171:172], v[159:160]
	ds_load_b128 v[157:160], v1 offset:1120
	v_fma_f64 v[167:168], v[167:168], v[30:31], v[173:174]
	v_fma_f64 v[165:166], v[165:166], v[30:31], -v[32:33]
	scratch_load_b128 v[30:33], off, off offset:384
	v_add_f64_e32 v[169:170], v[169:170], v[177:178]
	v_add_f64_e32 v[171:172], v[171:172], v[175:176]
	v_fma_f64 v[177:178], v[4:5], v[34:35], v[179:180]
	v_fma_f64 v[179:180], v[2:3], v[34:35], -v[36:37]
	ds_load_b128 v[2:5], v1 offset:1136
	s_wait_loadcnt_dscnt 0x801
	v_mul_f64_e32 v[173:174], v[157:158], v[163:164]
	v_mul_f64_e32 v[175:176], v[159:160], v[163:164]
	scratch_load_b128 v[34:37], off, off offset:400
	v_add_f64_e32 v[169:170], v[169:170], v[165:166]
	v_add_f64_e32 v[167:168], v[171:172], v[167:168]
	ds_load_b128 v[163:166], v1 offset:1152
	v_fma_f64 v[173:174], v[159:160], v[161:162], v[173:174]
	v_fma_f64 v[161:162], v[157:158], v[161:162], -v[175:176]
	scratch_load_b128 v[157:160], off, off offset:416
	s_wait_loadcnt_dscnt 0x901
	v_mul_f64_e32 v[171:172], v[2:3], v[40:41]
	v_mul_f64_e32 v[40:41], v[4:5], v[40:41]
	v_add_f64_e32 v[169:170], v[169:170], v[179:180]
	v_add_f64_e32 v[167:168], v[167:168], v[177:178]
	s_delay_alu instid0(VALU_DEP_4) | instskip(NEXT) | instid1(VALU_DEP_4)
	v_fma_f64 v[171:172], v[4:5], v[38:39], v[171:172]
	v_fma_f64 v[177:178], v[2:3], v[38:39], -v[40:41]
	ds_load_b128 v[2:5], v1 offset:1168
	s_wait_loadcnt_dscnt 0x801
	v_mul_f64_e32 v[175:176], v[163:164], v[8:9]
	v_mul_f64_e32 v[8:9], v[165:166], v[8:9]
	scratch_load_b128 v[38:41], off, off offset:432
	s_wait_loadcnt_dscnt 0x800
	v_mul_f64_e32 v[179:180], v[2:3], v[12:13]
	v_add_f64_e32 v[161:162], v[169:170], v[161:162]
	v_add_f64_e32 v[173:174], v[167:168], v[173:174]
	v_mul_f64_e32 v[12:13], v[4:5], v[12:13]
	ds_load_b128 v[167:170], v1 offset:1184
	v_fma_f64 v[165:166], v[165:166], v[6:7], v[175:176]
	v_fma_f64 v[163:164], v[163:164], v[6:7], -v[8:9]
	scratch_load_b128 v[6:9], off, off offset:448
	v_fma_f64 v[175:176], v[4:5], v[10:11], v[179:180]
	v_add_f64_e32 v[161:162], v[161:162], v[177:178]
	v_add_f64_e32 v[171:172], v[173:174], v[171:172]
	v_fma_f64 v[177:178], v[2:3], v[10:11], -v[12:13]
	ds_load_b128 v[2:5], v1 offset:1200
	s_wait_loadcnt_dscnt 0x801
	v_mul_f64_e32 v[173:174], v[167:168], v[16:17]
	v_mul_f64_e32 v[16:17], v[169:170], v[16:17]
	scratch_load_b128 v[10:13], off, off offset:464
	v_add_f64_e32 v[179:180], v[161:162], v[163:164]
	v_add_f64_e32 v[165:166], v[171:172], v[165:166]
	s_wait_loadcnt_dscnt 0x800
	v_mul_f64_e32 v[171:172], v[2:3], v[20:21]
	v_mul_f64_e32 v[20:21], v[4:5], v[20:21]
	v_fma_f64 v[169:170], v[169:170], v[14:15], v[173:174]
	v_fma_f64 v[167:168], v[167:168], v[14:15], -v[16:17]
	ds_load_b128 v[161:164], v1 offset:1216
	scratch_load_b128 v[14:17], off, off offset:480
	v_add_f64_e32 v[173:174], v[179:180], v[177:178]
	v_add_f64_e32 v[165:166], v[165:166], v[175:176]
	v_fma_f64 v[171:172], v[4:5], v[18:19], v[171:172]
	v_fma_f64 v[177:178], v[2:3], v[18:19], -v[20:21]
	ds_load_b128 v[2:5], v1 offset:1232
	s_wait_loadcnt_dscnt 0x801
	v_mul_f64_e32 v[175:176], v[161:162], v[24:25]
	v_mul_f64_e32 v[24:25], v[163:164], v[24:25]
	scratch_load_b128 v[18:21], off, off offset:496
	s_wait_loadcnt_dscnt 0x800
	v_mul_f64_e32 v[179:180], v[2:3], v[28:29]
	v_mul_f64_e32 v[28:29], v[4:5], v[28:29]
	v_add_f64_e32 v[173:174], v[173:174], v[167:168]
	v_add_f64_e32 v[169:170], v[165:166], v[169:170]
	ds_load_b128 v[165:168], v1 offset:1248
	v_fma_f64 v[163:164], v[163:164], v[22:23], v[175:176]
	v_fma_f64 v[161:162], v[161:162], v[22:23], -v[24:25]
	scratch_load_b128 v[22:25], off, off offset:512
	v_fma_f64 v[175:176], v[4:5], v[26:27], v[179:180]
	v_add_f64_e32 v[173:174], v[173:174], v[177:178]
	v_add_f64_e32 v[169:170], v[169:170], v[171:172]
	v_fma_f64 v[177:178], v[2:3], v[26:27], -v[28:29]
	ds_load_b128 v[2:5], v1 offset:1264
	s_wait_loadcnt_dscnt 0x801
	v_mul_f64_e32 v[171:172], v[165:166], v[32:33]
	v_mul_f64_e32 v[32:33], v[167:168], v[32:33]
	scratch_load_b128 v[26:29], off, off offset:528
	s_wait_loadcnt_dscnt 0x800
	v_mul_f64_e32 v[179:180], v[2:3], v[36:37]
	v_mul_f64_e32 v[36:37], v[4:5], v[36:37]
	v_add_f64_e32 v[173:174], v[173:174], v[161:162]
	v_add_f64_e32 v[169:170], v[169:170], v[163:164]
	ds_load_b128 v[161:164], v1 offset:1280
	v_fma_f64 v[167:168], v[167:168], v[30:31], v[171:172]
	v_fma_f64 v[165:166], v[165:166], v[30:31], -v[32:33]
	scratch_load_b128 v[30:33], off, off offset:544
	v_add_f64_e32 v[171:172], v[173:174], v[177:178]
	v_add_f64_e32 v[169:170], v[169:170], v[175:176]
	v_fma_f64 v[175:176], v[4:5], v[34:35], v[179:180]
	v_fma_f64 v[177:178], v[2:3], v[34:35], -v[36:37]
	ds_load_b128 v[2:5], v1 offset:1296
	s_wait_loadcnt_dscnt 0x801
	v_mul_f64_e32 v[173:174], v[161:162], v[159:160]
	v_mul_f64_e32 v[159:160], v[163:164], v[159:160]
	scratch_load_b128 v[34:37], off, off offset:560
	s_wait_loadcnt_dscnt 0x800
	v_mul_f64_e32 v[179:180], v[2:3], v[40:41]
	v_mul_f64_e32 v[40:41], v[4:5], v[40:41]
	v_add_f64_e32 v[171:172], v[171:172], v[165:166]
	v_add_f64_e32 v[169:170], v[169:170], v[167:168]
	ds_load_b128 v[165:168], v1 offset:1312
	v_fma_f64 v[163:164], v[163:164], v[157:158], v[173:174]
	v_fma_f64 v[161:162], v[161:162], v[157:158], -v[159:160]
	scratch_load_b128 v[157:160], off, off offset:576
	v_add_f64_e32 v[171:172], v[171:172], v[177:178]
	v_add_f64_e32 v[169:170], v[169:170], v[175:176]
	v_fma_f64 v[175:176], v[4:5], v[38:39], v[179:180]
	;; [unrolled: 18-line block ×6, first 2 shown]
	v_fma_f64 v[179:180], v[2:3], v[34:35], -v[36:37]
	ds_load_b128 v[2:5], v1 offset:1456
	s_wait_loadcnt_dscnt 0x801
	v_mul_f64_e32 v[173:174], v[165:166], v[159:160]
	v_mul_f64_e32 v[175:176], v[167:168], v[159:160]
	scratch_load_b128 v[34:37], off, off offset:720
	v_add_f64_e32 v[171:172], v[171:172], v[161:162]
	v_add_f64_e32 v[163:164], v[169:170], v[163:164]
	s_wait_loadcnt_dscnt 0x800
	v_mul_f64_e32 v[169:170], v[2:3], v[40:41]
	v_mul_f64_e32 v[40:41], v[4:5], v[40:41]
	ds_load_b128 v[159:162], v1 offset:1472
	v_fma_f64 v[167:168], v[167:168], v[157:158], v[173:174]
	v_fma_f64 v[157:158], v[165:166], v[157:158], -v[175:176]
	v_add_f64_e32 v[171:172], v[171:172], v[179:180]
	v_add_f64_e32 v[173:174], v[163:164], v[177:178]
	scratch_load_b128 v[163:166], off, off offset:736
	v_fma_f64 v[177:178], v[4:5], v[38:39], v[169:170]
	v_fma_f64 v[179:180], v[2:3], v[38:39], -v[40:41]
	ds_load_b128 v[2:5], v1 offset:1488
	s_wait_loadcnt_dscnt 0x801
	v_mul_f64_e32 v[175:176], v[159:160], v[8:9]
	v_mul_f64_e32 v[8:9], v[161:162], v[8:9]
	scratch_load_b128 v[38:41], off, off offset:752
	v_add_f64_e32 v[157:158], v[171:172], v[157:158]
	v_add_f64_e32 v[171:172], v[173:174], v[167:168]
	s_wait_loadcnt_dscnt 0x800
	v_mul_f64_e32 v[173:174], v[2:3], v[12:13]
	v_mul_f64_e32 v[12:13], v[4:5], v[12:13]
	ds_load_b128 v[167:170], v1 offset:1504
	v_fma_f64 v[161:162], v[161:162], v[6:7], v[175:176]
	v_fma_f64 v[159:160], v[159:160], v[6:7], -v[8:9]
	scratch_load_b128 v[6:9], off, off offset:768
	v_add_f64_e32 v[157:158], v[157:158], v[179:180]
	v_add_f64_e32 v[171:172], v[171:172], v[177:178]
	v_fma_f64 v[173:174], v[4:5], v[10:11], v[173:174]
	v_fma_f64 v[177:178], v[2:3], v[10:11], -v[12:13]
	ds_load_b128 v[2:5], v1 offset:1520
	s_wait_loadcnt_dscnt 0x801
	v_mul_f64_e32 v[175:176], v[167:168], v[16:17]
	v_mul_f64_e32 v[16:17], v[169:170], v[16:17]
	scratch_load_b128 v[10:13], off, off offset:784
	v_add_f64_e32 v[179:180], v[157:158], v[159:160]
	v_add_f64_e32 v[161:162], v[171:172], v[161:162]
	s_wait_loadcnt_dscnt 0x800
	v_mul_f64_e32 v[171:172], v[2:3], v[20:21]
	v_mul_f64_e32 v[20:21], v[4:5], v[20:21]
	ds_load_b128 v[157:160], v1 offset:1536
	v_fma_f64 v[169:170], v[169:170], v[14:15], v[175:176]
	v_fma_f64 v[167:168], v[167:168], v[14:15], -v[16:17]
	scratch_load_b128 v[14:17], off, off offset:800
	v_add_f64_e32 v[175:176], v[179:180], v[177:178]
	v_add_f64_e32 v[161:162], v[161:162], v[173:174]
	v_fma_f64 v[171:172], v[4:5], v[18:19], v[171:172]
	v_fma_f64 v[177:178], v[2:3], v[18:19], -v[20:21]
	ds_load_b128 v[2:5], v1 offset:1552
	s_wait_loadcnt_dscnt 0x801
	v_mul_f64_e32 v[173:174], v[157:158], v[24:25]
	v_mul_f64_e32 v[24:25], v[159:160], v[24:25]
	scratch_load_b128 v[18:21], off, off offset:816
	s_wait_loadcnt_dscnt 0x800
	v_mul_f64_e32 v[179:180], v[2:3], v[28:29]
	v_mul_f64_e32 v[28:29], v[4:5], v[28:29]
	v_add_f64_e32 v[175:176], v[175:176], v[167:168]
	v_add_f64_e32 v[161:162], v[161:162], v[169:170]
	ds_load_b128 v[167:170], v1 offset:1568
	v_fma_f64 v[159:160], v[159:160], v[22:23], v[173:174]
	v_fma_f64 v[157:158], v[157:158], v[22:23], -v[24:25]
	scratch_load_b128 v[22:25], off, off offset:832
	v_add_f64_e32 v[173:174], v[175:176], v[177:178]
	v_add_f64_e32 v[161:162], v[161:162], v[171:172]
	v_fma_f64 v[175:176], v[4:5], v[26:27], v[179:180]
	v_fma_f64 v[177:178], v[2:3], v[26:27], -v[28:29]
	ds_load_b128 v[2:5], v1 offset:1584
	s_wait_loadcnt_dscnt 0x801
	v_mul_f64_e32 v[171:172], v[167:168], v[32:33]
	v_mul_f64_e32 v[32:33], v[169:170], v[32:33]
	scratch_load_b128 v[26:29], off, off offset:848
	s_wait_loadcnt_dscnt 0x800
	v_mul_f64_e32 v[179:180], v[2:3], v[36:37]
	v_mul_f64_e32 v[36:37], v[4:5], v[36:37]
	v_add_f64_e32 v[173:174], v[173:174], v[157:158]
	v_add_f64_e32 v[161:162], v[161:162], v[159:160]
	ds_load_b128 v[157:160], v1 offset:1600
	v_fma_f64 v[169:170], v[169:170], v[30:31], v[171:172]
	v_fma_f64 v[167:168], v[167:168], v[30:31], -v[32:33]
	scratch_load_b128 v[30:33], off, off offset:864
	v_add_f64_e32 v[171:172], v[173:174], v[177:178]
	v_add_f64_e32 v[161:162], v[161:162], v[175:176]
	v_fma_f64 v[177:178], v[4:5], v[34:35], v[179:180]
	v_fma_f64 v[179:180], v[2:3], v[34:35], -v[36:37]
	ds_load_b128 v[2:5], v1 offset:1616
	scratch_load_b128 v[34:37], off, off offset:880
	s_wait_loadcnt_dscnt 0x901
	v_mul_f64_e32 v[173:174], v[157:158], v[165:166]
	v_mul_f64_e32 v[175:176], v[159:160], v[165:166]
	v_add_f64_e32 v[171:172], v[171:172], v[167:168]
	v_add_f64_e32 v[161:162], v[161:162], v[169:170]
	s_wait_loadcnt_dscnt 0x800
	v_mul_f64_e32 v[169:170], v[2:3], v[40:41]
	v_mul_f64_e32 v[40:41], v[4:5], v[40:41]
	ds_load_b128 v[165:168], v1 offset:1632
	v_fma_f64 v[159:160], v[159:160], v[163:164], v[173:174]
	v_fma_f64 v[157:158], v[157:158], v[163:164], -v[175:176]
	v_add_f64_e32 v[163:164], v[171:172], v[179:180]
	v_add_f64_e32 v[161:162], v[161:162], v[177:178]
	s_wait_loadcnt_dscnt 0x700
	v_mul_f64_e32 v[171:172], v[165:166], v[8:9]
	v_mul_f64_e32 v[8:9], v[167:168], v[8:9]
	v_fma_f64 v[169:170], v[4:5], v[38:39], v[169:170]
	v_fma_f64 v[173:174], v[2:3], v[38:39], -v[40:41]
	ds_load_b128 v[2:5], v1 offset:1648
	ds_load_b128 v[38:41], v1 offset:1664
	v_add_f64_e32 v[157:158], v[163:164], v[157:158]
	v_add_f64_e32 v[159:160], v[161:162], v[159:160]
	s_wait_loadcnt_dscnt 0x601
	v_mul_f64_e32 v[161:162], v[2:3], v[12:13]
	v_mul_f64_e32 v[12:13], v[4:5], v[12:13]
	v_fma_f64 v[163:164], v[167:168], v[6:7], v[171:172]
	v_fma_f64 v[6:7], v[165:166], v[6:7], -v[8:9]
	v_add_f64_e32 v[8:9], v[157:158], v[173:174]
	v_add_f64_e32 v[157:158], v[159:160], v[169:170]
	s_wait_loadcnt_dscnt 0x500
	v_mul_f64_e32 v[159:160], v[38:39], v[16:17]
	v_mul_f64_e32 v[16:17], v[40:41], v[16:17]
	v_fma_f64 v[161:162], v[4:5], v[10:11], v[161:162]
	v_fma_f64 v[10:11], v[2:3], v[10:11], -v[12:13]
	v_add_f64_e32 v[12:13], v[8:9], v[6:7]
	v_add_f64_e32 v[157:158], v[157:158], v[163:164]
	ds_load_b128 v[2:5], v1 offset:1680
	ds_load_b128 v[6:9], v1 offset:1696
	v_fma_f64 v[40:41], v[40:41], v[14:15], v[159:160]
	v_fma_f64 v[14:15], v[38:39], v[14:15], -v[16:17]
	s_wait_loadcnt_dscnt 0x401
	v_mul_f64_e32 v[163:164], v[2:3], v[20:21]
	v_mul_f64_e32 v[20:21], v[4:5], v[20:21]
	s_wait_loadcnt_dscnt 0x300
	v_mul_f64_e32 v[16:17], v[6:7], v[24:25]
	v_mul_f64_e32 v[24:25], v[8:9], v[24:25]
	v_add_f64_e32 v[10:11], v[12:13], v[10:11]
	v_add_f64_e32 v[12:13], v[157:158], v[161:162]
	v_fma_f64 v[38:39], v[4:5], v[18:19], v[163:164]
	v_fma_f64 v[18:19], v[2:3], v[18:19], -v[20:21]
	v_fma_f64 v[8:9], v[8:9], v[22:23], v[16:17]
	v_fma_f64 v[6:7], v[6:7], v[22:23], -v[24:25]
	v_add_f64_e32 v[14:15], v[10:11], v[14:15]
	v_add_f64_e32 v[20:21], v[12:13], v[40:41]
	ds_load_b128 v[2:5], v1 offset:1712
	ds_load_b128 v[10:13], v1 offset:1728
	s_wait_loadcnt_dscnt 0x201
	v_mul_f64_e32 v[40:41], v[2:3], v[28:29]
	v_mul_f64_e32 v[28:29], v[4:5], v[28:29]
	v_add_f64_e32 v[14:15], v[14:15], v[18:19]
	v_add_f64_e32 v[16:17], v[20:21], v[38:39]
	s_wait_loadcnt_dscnt 0x100
	v_mul_f64_e32 v[18:19], v[10:11], v[32:33]
	v_mul_f64_e32 v[20:21], v[12:13], v[32:33]
	v_fma_f64 v[22:23], v[4:5], v[26:27], v[40:41]
	v_fma_f64 v[24:25], v[2:3], v[26:27], -v[28:29]
	ds_load_b128 v[2:5], v1 offset:1744
	v_add_f64_e32 v[6:7], v[14:15], v[6:7]
	v_add_f64_e32 v[8:9], v[16:17], v[8:9]
	v_fma_f64 v[12:13], v[12:13], v[30:31], v[18:19]
	v_fma_f64 v[10:11], v[10:11], v[30:31], -v[20:21]
	s_wait_loadcnt_dscnt 0x0
	v_mul_f64_e32 v[14:15], v[2:3], v[36:37]
	v_mul_f64_e32 v[16:17], v[4:5], v[36:37]
	v_add_f64_e32 v[6:7], v[6:7], v[24:25]
	v_add_f64_e32 v[8:9], v[8:9], v[22:23]
	s_delay_alu instid0(VALU_DEP_4) | instskip(NEXT) | instid1(VALU_DEP_4)
	v_fma_f64 v[4:5], v[4:5], v[34:35], v[14:15]
	v_fma_f64 v[2:3], v[2:3], v[34:35], -v[16:17]
	s_delay_alu instid0(VALU_DEP_4) | instskip(NEXT) | instid1(VALU_DEP_4)
	v_add_f64_e32 v[6:7], v[6:7], v[10:11]
	v_add_f64_e32 v[8:9], v[8:9], v[12:13]
	s_delay_alu instid0(VALU_DEP_2) | instskip(NEXT) | instid1(VALU_DEP_2)
	v_add_f64_e32 v[2:3], v[6:7], v[2:3]
	v_add_f64_e32 v[4:5], v[8:9], v[4:5]
	s_delay_alu instid0(VALU_DEP_2) | instskip(NEXT) | instid1(VALU_DEP_2)
	v_add_f64_e64 v[2:3], v[42:43], -v[2:3]
	v_add_f64_e64 v[4:5], v[44:45], -v[4:5]
	scratch_store_b128 off, v[2:5], off offset:96
	v_cmpx_lt_u32_e32 4, v0
	s_cbranch_execz .LBB54_335
; %bb.334:
	scratch_load_b128 v[5:8], off, s24
	v_dual_mov_b32 v2, v1 :: v_dual_mov_b32 v3, v1
	v_mov_b32_e32 v4, v1
	scratch_store_b128 off, v[1:4], off offset:80
	s_wait_loadcnt 0x0
	ds_store_b128 v156, v[5:8]
.LBB54_335:
	s_wait_alu 0xfffe
	s_or_b32 exec_lo, exec_lo, s0
	s_wait_storecnt_dscnt 0x0
	s_barrier_signal -1
	s_barrier_wait -1
	global_inv scope:SCOPE_SE
	s_clause 0x8
	scratch_load_b128 v[2:5], off, off offset:96
	scratch_load_b128 v[6:9], off, off offset:112
	;; [unrolled: 1-line block ×9, first 2 shown]
	ds_load_b128 v[42:45], v1 offset:960
	ds_load_b128 v[38:41], v1 offset:976
	s_clause 0x1
	scratch_load_b128 v[157:160], off, off offset:80
	scratch_load_b128 v[161:164], off, off offset:240
	s_mov_b32 s0, exec_lo
	s_wait_loadcnt_dscnt 0xa01
	v_mul_f64_e32 v[165:166], v[44:45], v[4:5]
	v_mul_f64_e32 v[4:5], v[42:43], v[4:5]
	s_wait_loadcnt_dscnt 0x900
	v_mul_f64_e32 v[169:170], v[38:39], v[8:9]
	v_mul_f64_e32 v[8:9], v[40:41], v[8:9]
	s_delay_alu instid0(VALU_DEP_4) | instskip(NEXT) | instid1(VALU_DEP_4)
	v_fma_f64 v[171:172], v[42:43], v[2:3], -v[165:166]
	v_fma_f64 v[173:174], v[44:45], v[2:3], v[4:5]
	ds_load_b128 v[2:5], v1 offset:992
	ds_load_b128 v[165:168], v1 offset:1008
	scratch_load_b128 v[42:45], off, off offset:256
	v_fma_f64 v[40:41], v[40:41], v[6:7], v[169:170]
	v_fma_f64 v[38:39], v[38:39], v[6:7], -v[8:9]
	scratch_load_b128 v[6:9], off, off offset:272
	s_wait_loadcnt_dscnt 0xa01
	v_mul_f64_e32 v[175:176], v[2:3], v[12:13]
	v_mul_f64_e32 v[12:13], v[4:5], v[12:13]
	v_add_f64_e32 v[169:170], 0, v[171:172]
	v_add_f64_e32 v[171:172], 0, v[173:174]
	s_wait_loadcnt_dscnt 0x900
	v_mul_f64_e32 v[173:174], v[165:166], v[16:17]
	v_mul_f64_e32 v[16:17], v[167:168], v[16:17]
	v_fma_f64 v[175:176], v[4:5], v[10:11], v[175:176]
	v_fma_f64 v[177:178], v[2:3], v[10:11], -v[12:13]
	ds_load_b128 v[2:5], v1 offset:1024
	scratch_load_b128 v[10:13], off, off offset:288
	v_add_f64_e32 v[169:170], v[169:170], v[38:39]
	v_add_f64_e32 v[171:172], v[171:172], v[40:41]
	ds_load_b128 v[38:41], v1 offset:1040
	v_fma_f64 v[167:168], v[167:168], v[14:15], v[173:174]
	v_fma_f64 v[165:166], v[165:166], v[14:15], -v[16:17]
	scratch_load_b128 v[14:17], off, off offset:304
	s_wait_loadcnt_dscnt 0xa01
	v_mul_f64_e32 v[179:180], v[2:3], v[20:21]
	v_mul_f64_e32 v[20:21], v[4:5], v[20:21]
	s_wait_loadcnt_dscnt 0x900
	v_mul_f64_e32 v[173:174], v[38:39], v[24:25]
	v_mul_f64_e32 v[24:25], v[40:41], v[24:25]
	v_add_f64_e32 v[169:170], v[169:170], v[177:178]
	v_add_f64_e32 v[171:172], v[171:172], v[175:176]
	v_fma_f64 v[175:176], v[4:5], v[18:19], v[179:180]
	v_fma_f64 v[177:178], v[2:3], v[18:19], -v[20:21]
	ds_load_b128 v[2:5], v1 offset:1056
	scratch_load_b128 v[18:21], off, off offset:320
	v_fma_f64 v[40:41], v[40:41], v[22:23], v[173:174]
	v_fma_f64 v[38:39], v[38:39], v[22:23], -v[24:25]
	scratch_load_b128 v[22:25], off, off offset:336
	v_add_f64_e32 v[169:170], v[169:170], v[165:166]
	v_add_f64_e32 v[171:172], v[171:172], v[167:168]
	ds_load_b128 v[165:168], v1 offset:1072
	s_wait_loadcnt_dscnt 0xa01
	v_mul_f64_e32 v[179:180], v[2:3], v[28:29]
	v_mul_f64_e32 v[28:29], v[4:5], v[28:29]
	s_wait_loadcnt_dscnt 0x900
	v_mul_f64_e32 v[173:174], v[165:166], v[32:33]
	v_mul_f64_e32 v[32:33], v[167:168], v[32:33]
	v_add_f64_e32 v[169:170], v[169:170], v[177:178]
	v_add_f64_e32 v[171:172], v[171:172], v[175:176]
	v_fma_f64 v[175:176], v[4:5], v[26:27], v[179:180]
	v_fma_f64 v[177:178], v[2:3], v[26:27], -v[28:29]
	ds_load_b128 v[2:5], v1 offset:1088
	scratch_load_b128 v[26:29], off, off offset:352
	v_fma_f64 v[167:168], v[167:168], v[30:31], v[173:174]
	v_fma_f64 v[165:166], v[165:166], v[30:31], -v[32:33]
	scratch_load_b128 v[30:33], off, off offset:368
	v_add_f64_e32 v[169:170], v[169:170], v[38:39]
	v_add_f64_e32 v[171:172], v[171:172], v[40:41]
	ds_load_b128 v[38:41], v1 offset:1104
	s_wait_loadcnt_dscnt 0xa01
	v_mul_f64_e32 v[179:180], v[2:3], v[36:37]
	v_mul_f64_e32 v[36:37], v[4:5], v[36:37]
	s_wait_loadcnt_dscnt 0x800
	v_mul_f64_e32 v[173:174], v[38:39], v[163:164]
	v_add_f64_e32 v[169:170], v[169:170], v[177:178]
	v_add_f64_e32 v[171:172], v[171:172], v[175:176]
	v_mul_f64_e32 v[175:176], v[40:41], v[163:164]
	v_fma_f64 v[177:178], v[4:5], v[34:35], v[179:180]
	v_fma_f64 v[179:180], v[2:3], v[34:35], -v[36:37]
	ds_load_b128 v[2:5], v1 offset:1120
	scratch_load_b128 v[34:37], off, off offset:384
	v_fma_f64 v[173:174], v[40:41], v[161:162], v[173:174]
	v_add_f64_e32 v[169:170], v[169:170], v[165:166]
	v_add_f64_e32 v[167:168], v[171:172], v[167:168]
	ds_load_b128 v[163:166], v1 offset:1136
	v_fma_f64 v[161:162], v[38:39], v[161:162], -v[175:176]
	scratch_load_b128 v[38:41], off, off offset:400
	s_wait_loadcnt_dscnt 0x901
	v_mul_f64_e32 v[171:172], v[2:3], v[44:45]
	v_mul_f64_e32 v[44:45], v[4:5], v[44:45]
	s_wait_loadcnt_dscnt 0x800
	v_mul_f64_e32 v[175:176], v[163:164], v[8:9]
	v_mul_f64_e32 v[8:9], v[165:166], v[8:9]
	v_add_f64_e32 v[169:170], v[169:170], v[179:180]
	v_add_f64_e32 v[167:168], v[167:168], v[177:178]
	v_fma_f64 v[171:172], v[4:5], v[42:43], v[171:172]
	v_fma_f64 v[177:178], v[2:3], v[42:43], -v[44:45]
	ds_load_b128 v[2:5], v1 offset:1152
	scratch_load_b128 v[42:45], off, off offset:416
	v_fma_f64 v[165:166], v[165:166], v[6:7], v[175:176]
	v_fma_f64 v[163:164], v[163:164], v[6:7], -v[8:9]
	scratch_load_b128 v[6:9], off, off offset:432
	v_add_f64_e32 v[161:162], v[169:170], v[161:162]
	v_add_f64_e32 v[173:174], v[167:168], v[173:174]
	ds_load_b128 v[167:170], v1 offset:1168
	s_wait_loadcnt_dscnt 0x901
	v_mul_f64_e32 v[179:180], v[2:3], v[12:13]
	v_mul_f64_e32 v[12:13], v[4:5], v[12:13]
	v_add_f64_e32 v[161:162], v[161:162], v[177:178]
	v_add_f64_e32 v[171:172], v[173:174], v[171:172]
	s_wait_loadcnt_dscnt 0x800
	v_mul_f64_e32 v[173:174], v[167:168], v[16:17]
	v_mul_f64_e32 v[16:17], v[169:170], v[16:17]
	v_fma_f64 v[175:176], v[4:5], v[10:11], v[179:180]
	v_fma_f64 v[177:178], v[2:3], v[10:11], -v[12:13]
	ds_load_b128 v[2:5], v1 offset:1184
	scratch_load_b128 v[10:13], off, off offset:448
	v_add_f64_e32 v[179:180], v[161:162], v[163:164]
	v_add_f64_e32 v[165:166], v[171:172], v[165:166]
	ds_load_b128 v[161:164], v1 offset:1200
	s_wait_loadcnt_dscnt 0x801
	v_mul_f64_e32 v[171:172], v[2:3], v[20:21]
	v_mul_f64_e32 v[20:21], v[4:5], v[20:21]
	v_fma_f64 v[169:170], v[169:170], v[14:15], v[173:174]
	v_fma_f64 v[167:168], v[167:168], v[14:15], -v[16:17]
	scratch_load_b128 v[14:17], off, off offset:464
	v_add_f64_e32 v[173:174], v[179:180], v[177:178]
	v_add_f64_e32 v[165:166], v[165:166], v[175:176]
	s_wait_loadcnt_dscnt 0x800
	v_mul_f64_e32 v[175:176], v[161:162], v[24:25]
	v_mul_f64_e32 v[24:25], v[163:164], v[24:25]
	v_fma_f64 v[171:172], v[4:5], v[18:19], v[171:172]
	v_fma_f64 v[177:178], v[2:3], v[18:19], -v[20:21]
	ds_load_b128 v[2:5], v1 offset:1216
	scratch_load_b128 v[18:21], off, off offset:480
	v_add_f64_e32 v[173:174], v[173:174], v[167:168]
	v_add_f64_e32 v[169:170], v[165:166], v[169:170]
	ds_load_b128 v[165:168], v1 offset:1232
	s_wait_loadcnt_dscnt 0x801
	v_mul_f64_e32 v[179:180], v[2:3], v[28:29]
	v_mul_f64_e32 v[28:29], v[4:5], v[28:29]
	v_fma_f64 v[163:164], v[163:164], v[22:23], v[175:176]
	v_fma_f64 v[161:162], v[161:162], v[22:23], -v[24:25]
	scratch_load_b128 v[22:25], off, off offset:496
	;; [unrolled: 18-line block ×4, first 2 shown]
	s_wait_loadcnt_dscnt 0x800
	v_mul_f64_e32 v[173:174], v[165:166], v[8:9]
	v_mul_f64_e32 v[8:9], v[167:168], v[8:9]
	v_add_f64_e32 v[171:172], v[171:172], v[177:178]
	v_add_f64_e32 v[169:170], v[169:170], v[175:176]
	v_fma_f64 v[175:176], v[4:5], v[42:43], v[179:180]
	v_fma_f64 v[177:178], v[2:3], v[42:43], -v[44:45]
	ds_load_b128 v[2:5], v1 offset:1312
	scratch_load_b128 v[42:45], off, off offset:576
	v_fma_f64 v[167:168], v[167:168], v[6:7], v[173:174]
	v_fma_f64 v[165:166], v[165:166], v[6:7], -v[8:9]
	scratch_load_b128 v[6:9], off, off offset:592
	v_add_f64_e32 v[171:172], v[171:172], v[161:162]
	v_add_f64_e32 v[169:170], v[169:170], v[163:164]
	ds_load_b128 v[161:164], v1 offset:1328
	s_wait_loadcnt_dscnt 0x901
	v_mul_f64_e32 v[179:180], v[2:3], v[12:13]
	v_mul_f64_e32 v[12:13], v[4:5], v[12:13]
	s_wait_loadcnt_dscnt 0x800
	v_mul_f64_e32 v[173:174], v[161:162], v[16:17]
	v_mul_f64_e32 v[16:17], v[163:164], v[16:17]
	v_add_f64_e32 v[171:172], v[171:172], v[177:178]
	v_add_f64_e32 v[169:170], v[169:170], v[175:176]
	v_fma_f64 v[175:176], v[4:5], v[10:11], v[179:180]
	v_fma_f64 v[177:178], v[2:3], v[10:11], -v[12:13]
	ds_load_b128 v[2:5], v1 offset:1344
	scratch_load_b128 v[10:13], off, off offset:608
	v_fma_f64 v[163:164], v[163:164], v[14:15], v[173:174]
	v_fma_f64 v[161:162], v[161:162], v[14:15], -v[16:17]
	scratch_load_b128 v[14:17], off, off offset:624
	v_add_f64_e32 v[171:172], v[171:172], v[165:166]
	v_add_f64_e32 v[169:170], v[169:170], v[167:168]
	ds_load_b128 v[165:168], v1 offset:1360
	s_wait_loadcnt_dscnt 0x901
	v_mul_f64_e32 v[179:180], v[2:3], v[20:21]
	v_mul_f64_e32 v[20:21], v[4:5], v[20:21]
	;; [unrolled: 18-line block ×10, first 2 shown]
	s_wait_loadcnt_dscnt 0x800
	v_mul_f64_e32 v[173:174], v[165:166], v[8:9]
	v_mul_f64_e32 v[8:9], v[167:168], v[8:9]
	v_add_f64_e32 v[171:172], v[171:172], v[177:178]
	v_add_f64_e32 v[169:170], v[169:170], v[175:176]
	v_fma_f64 v[175:176], v[4:5], v[42:43], v[179:180]
	v_fma_f64 v[177:178], v[2:3], v[42:43], -v[44:45]
	ds_load_b128 v[2:5], v1 offset:1632
	ds_load_b128 v[42:45], v1 offset:1648
	v_fma_f64 v[167:168], v[167:168], v[6:7], v[173:174]
	v_fma_f64 v[6:7], v[165:166], v[6:7], -v[8:9]
	v_add_f64_e32 v[161:162], v[171:172], v[161:162]
	v_add_f64_e32 v[163:164], v[169:170], v[163:164]
	s_wait_loadcnt_dscnt 0x701
	v_mul_f64_e32 v[169:170], v[2:3], v[12:13]
	v_mul_f64_e32 v[12:13], v[4:5], v[12:13]
	s_delay_alu instid0(VALU_DEP_4) | instskip(NEXT) | instid1(VALU_DEP_4)
	v_add_f64_e32 v[8:9], v[161:162], v[177:178]
	v_add_f64_e32 v[161:162], v[163:164], v[175:176]
	s_wait_loadcnt_dscnt 0x600
	v_mul_f64_e32 v[163:164], v[42:43], v[16:17]
	v_mul_f64_e32 v[16:17], v[44:45], v[16:17]
	v_fma_f64 v[165:166], v[4:5], v[10:11], v[169:170]
	v_fma_f64 v[10:11], v[2:3], v[10:11], -v[12:13]
	v_add_f64_e32 v[12:13], v[8:9], v[6:7]
	v_add_f64_e32 v[161:162], v[161:162], v[167:168]
	ds_load_b128 v[2:5], v1 offset:1664
	ds_load_b128 v[6:9], v1 offset:1680
	v_fma_f64 v[44:45], v[44:45], v[14:15], v[163:164]
	v_fma_f64 v[14:15], v[42:43], v[14:15], -v[16:17]
	s_wait_loadcnt_dscnt 0x501
	v_mul_f64_e32 v[167:168], v[2:3], v[20:21]
	v_mul_f64_e32 v[20:21], v[4:5], v[20:21]
	s_wait_loadcnt_dscnt 0x400
	v_mul_f64_e32 v[16:17], v[6:7], v[24:25]
	v_mul_f64_e32 v[24:25], v[8:9], v[24:25]
	v_add_f64_e32 v[10:11], v[12:13], v[10:11]
	v_add_f64_e32 v[12:13], v[161:162], v[165:166]
	v_fma_f64 v[42:43], v[4:5], v[18:19], v[167:168]
	v_fma_f64 v[18:19], v[2:3], v[18:19], -v[20:21]
	v_fma_f64 v[8:9], v[8:9], v[22:23], v[16:17]
	v_fma_f64 v[6:7], v[6:7], v[22:23], -v[24:25]
	v_add_f64_e32 v[14:15], v[10:11], v[14:15]
	v_add_f64_e32 v[20:21], v[12:13], v[44:45]
	ds_load_b128 v[2:5], v1 offset:1696
	ds_load_b128 v[10:13], v1 offset:1712
	s_wait_loadcnt_dscnt 0x301
	v_mul_f64_e32 v[44:45], v[2:3], v[28:29]
	v_mul_f64_e32 v[28:29], v[4:5], v[28:29]
	v_add_f64_e32 v[14:15], v[14:15], v[18:19]
	v_add_f64_e32 v[16:17], v[20:21], v[42:43]
	s_wait_loadcnt_dscnt 0x200
	v_mul_f64_e32 v[18:19], v[10:11], v[32:33]
	v_mul_f64_e32 v[20:21], v[12:13], v[32:33]
	v_fma_f64 v[22:23], v[4:5], v[26:27], v[44:45]
	v_fma_f64 v[24:25], v[2:3], v[26:27], -v[28:29]
	v_add_f64_e32 v[14:15], v[14:15], v[6:7]
	v_add_f64_e32 v[16:17], v[16:17], v[8:9]
	ds_load_b128 v[2:5], v1 offset:1728
	ds_load_b128 v[6:9], v1 offset:1744
	v_fma_f64 v[12:13], v[12:13], v[30:31], v[18:19]
	v_fma_f64 v[10:11], v[10:11], v[30:31], -v[20:21]
	s_wait_loadcnt_dscnt 0x101
	v_mul_f64_e32 v[26:27], v[2:3], v[36:37]
	v_mul_f64_e32 v[28:29], v[4:5], v[36:37]
	s_wait_loadcnt_dscnt 0x0
	v_mul_f64_e32 v[18:19], v[6:7], v[40:41]
	v_mul_f64_e32 v[20:21], v[8:9], v[40:41]
	v_add_f64_e32 v[14:15], v[14:15], v[24:25]
	v_add_f64_e32 v[16:17], v[16:17], v[22:23]
	v_fma_f64 v[4:5], v[4:5], v[34:35], v[26:27]
	v_fma_f64 v[1:2], v[2:3], v[34:35], -v[28:29]
	v_fma_f64 v[8:9], v[8:9], v[38:39], v[18:19]
	v_fma_f64 v[6:7], v[6:7], v[38:39], -v[20:21]
	v_add_f64_e32 v[10:11], v[14:15], v[10:11]
	v_add_f64_e32 v[12:13], v[16:17], v[12:13]
	s_delay_alu instid0(VALU_DEP_2) | instskip(NEXT) | instid1(VALU_DEP_2)
	v_add_f64_e32 v[1:2], v[10:11], v[1:2]
	v_add_f64_e32 v[3:4], v[12:13], v[4:5]
	s_delay_alu instid0(VALU_DEP_2) | instskip(NEXT) | instid1(VALU_DEP_2)
	;; [unrolled: 3-line block ×3, first 2 shown]
	v_add_f64_e64 v[1:2], v[157:158], -v[1:2]
	v_add_f64_e64 v[3:4], v[159:160], -v[3:4]
	scratch_store_b128 off, v[1:4], off offset:80
	v_cmpx_lt_u32_e32 3, v0
	s_cbranch_execz .LBB54_337
; %bb.336:
	scratch_load_b128 v[1:4], off, s26
	v_mov_b32_e32 v5, 0
	s_delay_alu instid0(VALU_DEP_1)
	v_dual_mov_b32 v6, v5 :: v_dual_mov_b32 v7, v5
	v_mov_b32_e32 v8, v5
	scratch_store_b128 off, v[5:8], off offset:64
	s_wait_loadcnt 0x0
	ds_store_b128 v156, v[1:4]
.LBB54_337:
	s_wait_alu 0xfffe
	s_or_b32 exec_lo, exec_lo, s0
	s_wait_storecnt_dscnt 0x0
	s_barrier_signal -1
	s_barrier_wait -1
	global_inv scope:SCOPE_SE
	s_clause 0x7
	scratch_load_b128 v[2:5], off, off offset:80
	scratch_load_b128 v[6:9], off, off offset:96
	;; [unrolled: 1-line block ×8, first 2 shown]
	v_mov_b32_e32 v1, 0
	s_mov_b32 s0, exec_lo
	ds_load_b128 v[38:41], v1 offset:944
	s_clause 0x1
	scratch_load_b128 v[34:37], off, off offset:208
	scratch_load_b128 v[42:45], off, off offset:64
	ds_load_b128 v[157:160], v1 offset:960
	scratch_load_b128 v[161:164], off, off offset:224
	s_wait_loadcnt_dscnt 0xa01
	v_mul_f64_e32 v[165:166], v[40:41], v[4:5]
	v_mul_f64_e32 v[4:5], v[38:39], v[4:5]
	s_delay_alu instid0(VALU_DEP_2) | instskip(NEXT) | instid1(VALU_DEP_2)
	v_fma_f64 v[171:172], v[38:39], v[2:3], -v[165:166]
	v_fma_f64 v[173:174], v[40:41], v[2:3], v[4:5]
	ds_load_b128 v[2:5], v1 offset:976
	s_wait_loadcnt_dscnt 0x901
	v_mul_f64_e32 v[169:170], v[157:158], v[8:9]
	v_mul_f64_e32 v[8:9], v[159:160], v[8:9]
	scratch_load_b128 v[38:41], off, off offset:240
	ds_load_b128 v[165:168], v1 offset:992
	s_wait_loadcnt_dscnt 0x901
	v_mul_f64_e32 v[175:176], v[2:3], v[12:13]
	v_mul_f64_e32 v[12:13], v[4:5], v[12:13]
	v_fma_f64 v[159:160], v[159:160], v[6:7], v[169:170]
	v_fma_f64 v[157:158], v[157:158], v[6:7], -v[8:9]
	v_add_f64_e32 v[169:170], 0, v[171:172]
	v_add_f64_e32 v[171:172], 0, v[173:174]
	scratch_load_b128 v[6:9], off, off offset:256
	v_fma_f64 v[175:176], v[4:5], v[10:11], v[175:176]
	v_fma_f64 v[177:178], v[2:3], v[10:11], -v[12:13]
	ds_load_b128 v[2:5], v1 offset:1008
	s_wait_loadcnt_dscnt 0x901
	v_mul_f64_e32 v[173:174], v[165:166], v[16:17]
	v_mul_f64_e32 v[16:17], v[167:168], v[16:17]
	scratch_load_b128 v[10:13], off, off offset:272
	v_add_f64_e32 v[169:170], v[169:170], v[157:158]
	v_add_f64_e32 v[171:172], v[171:172], v[159:160]
	s_wait_loadcnt_dscnt 0x900
	v_mul_f64_e32 v[179:180], v[2:3], v[20:21]
	v_mul_f64_e32 v[20:21], v[4:5], v[20:21]
	ds_load_b128 v[157:160], v1 offset:1024
	v_fma_f64 v[167:168], v[167:168], v[14:15], v[173:174]
	v_fma_f64 v[165:166], v[165:166], v[14:15], -v[16:17]
	scratch_load_b128 v[14:17], off, off offset:288
	v_add_f64_e32 v[169:170], v[169:170], v[177:178]
	v_add_f64_e32 v[171:172], v[171:172], v[175:176]
	v_fma_f64 v[175:176], v[4:5], v[18:19], v[179:180]
	v_fma_f64 v[177:178], v[2:3], v[18:19], -v[20:21]
	ds_load_b128 v[2:5], v1 offset:1040
	s_wait_loadcnt_dscnt 0x901
	v_mul_f64_e32 v[173:174], v[157:158], v[24:25]
	v_mul_f64_e32 v[24:25], v[159:160], v[24:25]
	scratch_load_b128 v[18:21], off, off offset:304
	s_wait_loadcnt_dscnt 0x900
	v_mul_f64_e32 v[179:180], v[2:3], v[28:29]
	v_mul_f64_e32 v[28:29], v[4:5], v[28:29]
	v_add_f64_e32 v[169:170], v[169:170], v[165:166]
	v_add_f64_e32 v[171:172], v[171:172], v[167:168]
	ds_load_b128 v[165:168], v1 offset:1056
	v_fma_f64 v[159:160], v[159:160], v[22:23], v[173:174]
	v_fma_f64 v[157:158], v[157:158], v[22:23], -v[24:25]
	scratch_load_b128 v[22:25], off, off offset:320
	v_add_f64_e32 v[169:170], v[169:170], v[177:178]
	v_add_f64_e32 v[171:172], v[171:172], v[175:176]
	v_fma_f64 v[175:176], v[4:5], v[26:27], v[179:180]
	v_fma_f64 v[177:178], v[2:3], v[26:27], -v[28:29]
	ds_load_b128 v[2:5], v1 offset:1072
	s_wait_loadcnt_dscnt 0x901
	v_mul_f64_e32 v[173:174], v[165:166], v[32:33]
	v_mul_f64_e32 v[32:33], v[167:168], v[32:33]
	scratch_load_b128 v[26:29], off, off offset:336
	s_wait_loadcnt_dscnt 0x900
	v_mul_f64_e32 v[179:180], v[2:3], v[36:37]
	v_mul_f64_e32 v[36:37], v[4:5], v[36:37]
	v_add_f64_e32 v[169:170], v[169:170], v[157:158]
	v_add_f64_e32 v[171:172], v[171:172], v[159:160]
	ds_load_b128 v[157:160], v1 offset:1088
	v_fma_f64 v[167:168], v[167:168], v[30:31], v[173:174]
	v_fma_f64 v[165:166], v[165:166], v[30:31], -v[32:33]
	scratch_load_b128 v[30:33], off, off offset:352
	v_add_f64_e32 v[169:170], v[169:170], v[177:178]
	v_add_f64_e32 v[171:172], v[171:172], v[175:176]
	v_fma_f64 v[177:178], v[4:5], v[34:35], v[179:180]
	v_fma_f64 v[179:180], v[2:3], v[34:35], -v[36:37]
	ds_load_b128 v[2:5], v1 offset:1104
	s_wait_loadcnt_dscnt 0x801
	v_mul_f64_e32 v[173:174], v[157:158], v[163:164]
	v_mul_f64_e32 v[175:176], v[159:160], v[163:164]
	scratch_load_b128 v[34:37], off, off offset:368
	v_add_f64_e32 v[169:170], v[169:170], v[165:166]
	v_add_f64_e32 v[167:168], v[171:172], v[167:168]
	ds_load_b128 v[163:166], v1 offset:1120
	v_fma_f64 v[173:174], v[159:160], v[161:162], v[173:174]
	v_fma_f64 v[161:162], v[157:158], v[161:162], -v[175:176]
	scratch_load_b128 v[157:160], off, off offset:384
	s_wait_loadcnt_dscnt 0x901
	v_mul_f64_e32 v[171:172], v[2:3], v[40:41]
	v_mul_f64_e32 v[40:41], v[4:5], v[40:41]
	v_add_f64_e32 v[169:170], v[169:170], v[179:180]
	v_add_f64_e32 v[167:168], v[167:168], v[177:178]
	s_delay_alu instid0(VALU_DEP_4) | instskip(NEXT) | instid1(VALU_DEP_4)
	v_fma_f64 v[171:172], v[4:5], v[38:39], v[171:172]
	v_fma_f64 v[177:178], v[2:3], v[38:39], -v[40:41]
	ds_load_b128 v[2:5], v1 offset:1136
	s_wait_loadcnt_dscnt 0x801
	v_mul_f64_e32 v[175:176], v[163:164], v[8:9]
	v_mul_f64_e32 v[8:9], v[165:166], v[8:9]
	scratch_load_b128 v[38:41], off, off offset:400
	s_wait_loadcnt_dscnt 0x800
	v_mul_f64_e32 v[179:180], v[2:3], v[12:13]
	v_add_f64_e32 v[161:162], v[169:170], v[161:162]
	v_add_f64_e32 v[173:174], v[167:168], v[173:174]
	v_mul_f64_e32 v[12:13], v[4:5], v[12:13]
	ds_load_b128 v[167:170], v1 offset:1152
	v_fma_f64 v[165:166], v[165:166], v[6:7], v[175:176]
	v_fma_f64 v[163:164], v[163:164], v[6:7], -v[8:9]
	scratch_load_b128 v[6:9], off, off offset:416
	v_fma_f64 v[175:176], v[4:5], v[10:11], v[179:180]
	v_add_f64_e32 v[161:162], v[161:162], v[177:178]
	v_add_f64_e32 v[171:172], v[173:174], v[171:172]
	v_fma_f64 v[177:178], v[2:3], v[10:11], -v[12:13]
	ds_load_b128 v[2:5], v1 offset:1168
	s_wait_loadcnt_dscnt 0x801
	v_mul_f64_e32 v[173:174], v[167:168], v[16:17]
	v_mul_f64_e32 v[16:17], v[169:170], v[16:17]
	scratch_load_b128 v[10:13], off, off offset:432
	v_add_f64_e32 v[179:180], v[161:162], v[163:164]
	v_add_f64_e32 v[165:166], v[171:172], v[165:166]
	s_wait_loadcnt_dscnt 0x800
	v_mul_f64_e32 v[171:172], v[2:3], v[20:21]
	v_mul_f64_e32 v[20:21], v[4:5], v[20:21]
	v_fma_f64 v[169:170], v[169:170], v[14:15], v[173:174]
	v_fma_f64 v[167:168], v[167:168], v[14:15], -v[16:17]
	ds_load_b128 v[161:164], v1 offset:1184
	scratch_load_b128 v[14:17], off, off offset:448
	v_add_f64_e32 v[173:174], v[179:180], v[177:178]
	v_add_f64_e32 v[165:166], v[165:166], v[175:176]
	v_fma_f64 v[171:172], v[4:5], v[18:19], v[171:172]
	v_fma_f64 v[177:178], v[2:3], v[18:19], -v[20:21]
	ds_load_b128 v[2:5], v1 offset:1200
	s_wait_loadcnt_dscnt 0x801
	v_mul_f64_e32 v[175:176], v[161:162], v[24:25]
	v_mul_f64_e32 v[24:25], v[163:164], v[24:25]
	scratch_load_b128 v[18:21], off, off offset:464
	s_wait_loadcnt_dscnt 0x800
	v_mul_f64_e32 v[179:180], v[2:3], v[28:29]
	v_mul_f64_e32 v[28:29], v[4:5], v[28:29]
	v_add_f64_e32 v[173:174], v[173:174], v[167:168]
	v_add_f64_e32 v[169:170], v[165:166], v[169:170]
	ds_load_b128 v[165:168], v1 offset:1216
	v_fma_f64 v[163:164], v[163:164], v[22:23], v[175:176]
	v_fma_f64 v[161:162], v[161:162], v[22:23], -v[24:25]
	scratch_load_b128 v[22:25], off, off offset:480
	v_fma_f64 v[175:176], v[4:5], v[26:27], v[179:180]
	v_add_f64_e32 v[173:174], v[173:174], v[177:178]
	v_add_f64_e32 v[169:170], v[169:170], v[171:172]
	v_fma_f64 v[177:178], v[2:3], v[26:27], -v[28:29]
	ds_load_b128 v[2:5], v1 offset:1232
	s_wait_loadcnt_dscnt 0x801
	v_mul_f64_e32 v[171:172], v[165:166], v[32:33]
	v_mul_f64_e32 v[32:33], v[167:168], v[32:33]
	scratch_load_b128 v[26:29], off, off offset:496
	s_wait_loadcnt_dscnt 0x800
	v_mul_f64_e32 v[179:180], v[2:3], v[36:37]
	v_mul_f64_e32 v[36:37], v[4:5], v[36:37]
	v_add_f64_e32 v[173:174], v[173:174], v[161:162]
	v_add_f64_e32 v[169:170], v[169:170], v[163:164]
	ds_load_b128 v[161:164], v1 offset:1248
	v_fma_f64 v[167:168], v[167:168], v[30:31], v[171:172]
	v_fma_f64 v[165:166], v[165:166], v[30:31], -v[32:33]
	scratch_load_b128 v[30:33], off, off offset:512
	v_add_f64_e32 v[171:172], v[173:174], v[177:178]
	v_add_f64_e32 v[169:170], v[169:170], v[175:176]
	v_fma_f64 v[175:176], v[4:5], v[34:35], v[179:180]
	v_fma_f64 v[177:178], v[2:3], v[34:35], -v[36:37]
	ds_load_b128 v[2:5], v1 offset:1264
	s_wait_loadcnt_dscnt 0x801
	v_mul_f64_e32 v[173:174], v[161:162], v[159:160]
	v_mul_f64_e32 v[159:160], v[163:164], v[159:160]
	scratch_load_b128 v[34:37], off, off offset:528
	s_wait_loadcnt_dscnt 0x800
	v_mul_f64_e32 v[179:180], v[2:3], v[40:41]
	v_mul_f64_e32 v[40:41], v[4:5], v[40:41]
	v_add_f64_e32 v[171:172], v[171:172], v[165:166]
	v_add_f64_e32 v[169:170], v[169:170], v[167:168]
	ds_load_b128 v[165:168], v1 offset:1280
	v_fma_f64 v[163:164], v[163:164], v[157:158], v[173:174]
	v_fma_f64 v[161:162], v[161:162], v[157:158], -v[159:160]
	scratch_load_b128 v[157:160], off, off offset:544
	v_add_f64_e32 v[171:172], v[171:172], v[177:178]
	v_add_f64_e32 v[169:170], v[169:170], v[175:176]
	v_fma_f64 v[175:176], v[4:5], v[38:39], v[179:180]
	;; [unrolled: 18-line block ×6, first 2 shown]
	v_fma_f64 v[179:180], v[2:3], v[34:35], -v[36:37]
	ds_load_b128 v[2:5], v1 offset:1424
	s_wait_loadcnt_dscnt 0x801
	v_mul_f64_e32 v[173:174], v[165:166], v[159:160]
	v_mul_f64_e32 v[175:176], v[167:168], v[159:160]
	scratch_load_b128 v[34:37], off, off offset:688
	v_add_f64_e32 v[171:172], v[171:172], v[161:162]
	v_add_f64_e32 v[163:164], v[169:170], v[163:164]
	s_wait_loadcnt_dscnt 0x800
	v_mul_f64_e32 v[169:170], v[2:3], v[40:41]
	v_mul_f64_e32 v[40:41], v[4:5], v[40:41]
	ds_load_b128 v[159:162], v1 offset:1440
	v_fma_f64 v[167:168], v[167:168], v[157:158], v[173:174]
	v_fma_f64 v[157:158], v[165:166], v[157:158], -v[175:176]
	v_add_f64_e32 v[171:172], v[171:172], v[179:180]
	v_add_f64_e32 v[173:174], v[163:164], v[177:178]
	scratch_load_b128 v[163:166], off, off offset:704
	v_fma_f64 v[177:178], v[4:5], v[38:39], v[169:170]
	v_fma_f64 v[179:180], v[2:3], v[38:39], -v[40:41]
	ds_load_b128 v[2:5], v1 offset:1456
	s_wait_loadcnt_dscnt 0x801
	v_mul_f64_e32 v[175:176], v[159:160], v[8:9]
	v_mul_f64_e32 v[8:9], v[161:162], v[8:9]
	scratch_load_b128 v[38:41], off, off offset:720
	v_add_f64_e32 v[157:158], v[171:172], v[157:158]
	v_add_f64_e32 v[171:172], v[173:174], v[167:168]
	s_wait_loadcnt_dscnt 0x800
	v_mul_f64_e32 v[173:174], v[2:3], v[12:13]
	v_mul_f64_e32 v[12:13], v[4:5], v[12:13]
	ds_load_b128 v[167:170], v1 offset:1472
	v_fma_f64 v[161:162], v[161:162], v[6:7], v[175:176]
	v_fma_f64 v[159:160], v[159:160], v[6:7], -v[8:9]
	scratch_load_b128 v[6:9], off, off offset:736
	v_add_f64_e32 v[157:158], v[157:158], v[179:180]
	v_add_f64_e32 v[171:172], v[171:172], v[177:178]
	v_fma_f64 v[173:174], v[4:5], v[10:11], v[173:174]
	v_fma_f64 v[177:178], v[2:3], v[10:11], -v[12:13]
	ds_load_b128 v[2:5], v1 offset:1488
	s_wait_loadcnt_dscnt 0x801
	v_mul_f64_e32 v[175:176], v[167:168], v[16:17]
	v_mul_f64_e32 v[16:17], v[169:170], v[16:17]
	scratch_load_b128 v[10:13], off, off offset:752
	v_add_f64_e32 v[179:180], v[157:158], v[159:160]
	v_add_f64_e32 v[161:162], v[171:172], v[161:162]
	s_wait_loadcnt_dscnt 0x800
	v_mul_f64_e32 v[171:172], v[2:3], v[20:21]
	v_mul_f64_e32 v[20:21], v[4:5], v[20:21]
	ds_load_b128 v[157:160], v1 offset:1504
	v_fma_f64 v[169:170], v[169:170], v[14:15], v[175:176]
	v_fma_f64 v[167:168], v[167:168], v[14:15], -v[16:17]
	scratch_load_b128 v[14:17], off, off offset:768
	v_add_f64_e32 v[175:176], v[179:180], v[177:178]
	v_add_f64_e32 v[161:162], v[161:162], v[173:174]
	v_fma_f64 v[171:172], v[4:5], v[18:19], v[171:172]
	v_fma_f64 v[177:178], v[2:3], v[18:19], -v[20:21]
	ds_load_b128 v[2:5], v1 offset:1520
	s_wait_loadcnt_dscnt 0x801
	v_mul_f64_e32 v[173:174], v[157:158], v[24:25]
	v_mul_f64_e32 v[24:25], v[159:160], v[24:25]
	scratch_load_b128 v[18:21], off, off offset:784
	s_wait_loadcnt_dscnt 0x800
	v_mul_f64_e32 v[179:180], v[2:3], v[28:29]
	v_mul_f64_e32 v[28:29], v[4:5], v[28:29]
	v_add_f64_e32 v[175:176], v[175:176], v[167:168]
	v_add_f64_e32 v[161:162], v[161:162], v[169:170]
	ds_load_b128 v[167:170], v1 offset:1536
	v_fma_f64 v[159:160], v[159:160], v[22:23], v[173:174]
	v_fma_f64 v[157:158], v[157:158], v[22:23], -v[24:25]
	scratch_load_b128 v[22:25], off, off offset:800
	v_add_f64_e32 v[173:174], v[175:176], v[177:178]
	v_add_f64_e32 v[161:162], v[161:162], v[171:172]
	v_fma_f64 v[175:176], v[4:5], v[26:27], v[179:180]
	v_fma_f64 v[177:178], v[2:3], v[26:27], -v[28:29]
	ds_load_b128 v[2:5], v1 offset:1552
	s_wait_loadcnt_dscnt 0x801
	v_mul_f64_e32 v[171:172], v[167:168], v[32:33]
	v_mul_f64_e32 v[32:33], v[169:170], v[32:33]
	scratch_load_b128 v[26:29], off, off offset:816
	s_wait_loadcnt_dscnt 0x800
	v_mul_f64_e32 v[179:180], v[2:3], v[36:37]
	v_mul_f64_e32 v[36:37], v[4:5], v[36:37]
	v_add_f64_e32 v[173:174], v[173:174], v[157:158]
	v_add_f64_e32 v[161:162], v[161:162], v[159:160]
	ds_load_b128 v[157:160], v1 offset:1568
	v_fma_f64 v[169:170], v[169:170], v[30:31], v[171:172]
	v_fma_f64 v[167:168], v[167:168], v[30:31], -v[32:33]
	scratch_load_b128 v[30:33], off, off offset:832
	v_add_f64_e32 v[171:172], v[173:174], v[177:178]
	v_add_f64_e32 v[161:162], v[161:162], v[175:176]
	v_fma_f64 v[177:178], v[4:5], v[34:35], v[179:180]
	v_fma_f64 v[179:180], v[2:3], v[34:35], -v[36:37]
	ds_load_b128 v[2:5], v1 offset:1584
	scratch_load_b128 v[34:37], off, off offset:848
	s_wait_loadcnt_dscnt 0x901
	v_mul_f64_e32 v[173:174], v[157:158], v[165:166]
	v_mul_f64_e32 v[175:176], v[159:160], v[165:166]
	v_add_f64_e32 v[171:172], v[171:172], v[167:168]
	v_add_f64_e32 v[161:162], v[161:162], v[169:170]
	s_wait_loadcnt_dscnt 0x800
	v_mul_f64_e32 v[169:170], v[2:3], v[40:41]
	v_mul_f64_e32 v[40:41], v[4:5], v[40:41]
	ds_load_b128 v[165:168], v1 offset:1600
	v_fma_f64 v[173:174], v[159:160], v[163:164], v[173:174]
	v_fma_f64 v[163:164], v[157:158], v[163:164], -v[175:176]
	scratch_load_b128 v[157:160], off, off offset:864
	v_add_f64_e32 v[171:172], v[171:172], v[179:180]
	v_add_f64_e32 v[161:162], v[161:162], v[177:178]
	v_fma_f64 v[169:170], v[4:5], v[38:39], v[169:170]
	v_fma_f64 v[177:178], v[2:3], v[38:39], -v[40:41]
	ds_load_b128 v[2:5], v1 offset:1616
	s_wait_loadcnt_dscnt 0x801
	v_mul_f64_e32 v[175:176], v[165:166], v[8:9]
	v_mul_f64_e32 v[8:9], v[167:168], v[8:9]
	scratch_load_b128 v[38:41], off, off offset:880
	s_wait_loadcnt_dscnt 0x800
	v_mul_f64_e32 v[179:180], v[2:3], v[12:13]
	v_mul_f64_e32 v[12:13], v[4:5], v[12:13]
	v_add_f64_e32 v[171:172], v[171:172], v[163:164]
	v_add_f64_e32 v[173:174], v[161:162], v[173:174]
	ds_load_b128 v[161:164], v1 offset:1632
	v_fma_f64 v[167:168], v[167:168], v[6:7], v[175:176]
	v_fma_f64 v[6:7], v[165:166], v[6:7], -v[8:9]
	v_add_f64_e32 v[8:9], v[171:172], v[177:178]
	v_add_f64_e32 v[165:166], v[173:174], v[169:170]
	s_wait_loadcnt_dscnt 0x700
	v_mul_f64_e32 v[169:170], v[161:162], v[16:17]
	v_mul_f64_e32 v[16:17], v[163:164], v[16:17]
	v_fma_f64 v[171:172], v[4:5], v[10:11], v[179:180]
	v_fma_f64 v[10:11], v[2:3], v[10:11], -v[12:13]
	v_add_f64_e32 v[12:13], v[8:9], v[6:7]
	v_add_f64_e32 v[165:166], v[165:166], v[167:168]
	ds_load_b128 v[2:5], v1 offset:1648
	ds_load_b128 v[6:9], v1 offset:1664
	v_fma_f64 v[163:164], v[163:164], v[14:15], v[169:170]
	v_fma_f64 v[14:15], v[161:162], v[14:15], -v[16:17]
	s_wait_loadcnt_dscnt 0x601
	v_mul_f64_e32 v[167:168], v[2:3], v[20:21]
	v_mul_f64_e32 v[20:21], v[4:5], v[20:21]
	s_wait_loadcnt_dscnt 0x500
	v_mul_f64_e32 v[16:17], v[6:7], v[24:25]
	v_mul_f64_e32 v[24:25], v[8:9], v[24:25]
	v_add_f64_e32 v[10:11], v[12:13], v[10:11]
	v_add_f64_e32 v[12:13], v[165:166], v[171:172]
	v_fma_f64 v[161:162], v[4:5], v[18:19], v[167:168]
	v_fma_f64 v[18:19], v[2:3], v[18:19], -v[20:21]
	v_fma_f64 v[8:9], v[8:9], v[22:23], v[16:17]
	v_fma_f64 v[6:7], v[6:7], v[22:23], -v[24:25]
	v_add_f64_e32 v[14:15], v[10:11], v[14:15]
	v_add_f64_e32 v[20:21], v[12:13], v[163:164]
	ds_load_b128 v[2:5], v1 offset:1680
	ds_load_b128 v[10:13], v1 offset:1696
	s_wait_loadcnt_dscnt 0x401
	v_mul_f64_e32 v[163:164], v[2:3], v[28:29]
	v_mul_f64_e32 v[28:29], v[4:5], v[28:29]
	v_add_f64_e32 v[14:15], v[14:15], v[18:19]
	v_add_f64_e32 v[16:17], v[20:21], v[161:162]
	s_wait_loadcnt_dscnt 0x300
	v_mul_f64_e32 v[18:19], v[10:11], v[32:33]
	v_mul_f64_e32 v[20:21], v[12:13], v[32:33]
	v_fma_f64 v[22:23], v[4:5], v[26:27], v[163:164]
	v_fma_f64 v[24:25], v[2:3], v[26:27], -v[28:29]
	v_add_f64_e32 v[14:15], v[14:15], v[6:7]
	v_add_f64_e32 v[16:17], v[16:17], v[8:9]
	ds_load_b128 v[2:5], v1 offset:1712
	ds_load_b128 v[6:9], v1 offset:1728
	v_fma_f64 v[12:13], v[12:13], v[30:31], v[18:19]
	v_fma_f64 v[10:11], v[10:11], v[30:31], -v[20:21]
	s_wait_loadcnt_dscnt 0x201
	v_mul_f64_e32 v[26:27], v[2:3], v[36:37]
	v_mul_f64_e32 v[28:29], v[4:5], v[36:37]
	s_wait_loadcnt_dscnt 0x100
	v_mul_f64_e32 v[18:19], v[6:7], v[159:160]
	v_mul_f64_e32 v[20:21], v[8:9], v[159:160]
	v_add_f64_e32 v[14:15], v[14:15], v[24:25]
	v_add_f64_e32 v[16:17], v[16:17], v[22:23]
	v_fma_f64 v[22:23], v[4:5], v[34:35], v[26:27]
	v_fma_f64 v[24:25], v[2:3], v[34:35], -v[28:29]
	ds_load_b128 v[2:5], v1 offset:1744
	v_fma_f64 v[8:9], v[8:9], v[157:158], v[18:19]
	v_fma_f64 v[6:7], v[6:7], v[157:158], -v[20:21]
	v_add_f64_e32 v[10:11], v[14:15], v[10:11]
	v_add_f64_e32 v[12:13], v[16:17], v[12:13]
	s_wait_loadcnt_dscnt 0x0
	v_mul_f64_e32 v[14:15], v[2:3], v[40:41]
	v_mul_f64_e32 v[16:17], v[4:5], v[40:41]
	s_delay_alu instid0(VALU_DEP_4) | instskip(NEXT) | instid1(VALU_DEP_4)
	v_add_f64_e32 v[10:11], v[10:11], v[24:25]
	v_add_f64_e32 v[12:13], v[12:13], v[22:23]
	s_delay_alu instid0(VALU_DEP_4) | instskip(NEXT) | instid1(VALU_DEP_4)
	v_fma_f64 v[4:5], v[4:5], v[38:39], v[14:15]
	v_fma_f64 v[2:3], v[2:3], v[38:39], -v[16:17]
	s_delay_alu instid0(VALU_DEP_4) | instskip(NEXT) | instid1(VALU_DEP_4)
	v_add_f64_e32 v[6:7], v[10:11], v[6:7]
	v_add_f64_e32 v[8:9], v[12:13], v[8:9]
	s_delay_alu instid0(VALU_DEP_2) | instskip(NEXT) | instid1(VALU_DEP_2)
	v_add_f64_e32 v[2:3], v[6:7], v[2:3]
	v_add_f64_e32 v[4:5], v[8:9], v[4:5]
	s_delay_alu instid0(VALU_DEP_2) | instskip(NEXT) | instid1(VALU_DEP_2)
	v_add_f64_e64 v[2:3], v[42:43], -v[2:3]
	v_add_f64_e64 v[4:5], v[44:45], -v[4:5]
	scratch_store_b128 off, v[2:5], off offset:64
	v_cmpx_lt_u32_e32 2, v0
	s_cbranch_execz .LBB54_339
; %bb.338:
	scratch_load_b128 v[5:8], off, s27
	v_dual_mov_b32 v2, v1 :: v_dual_mov_b32 v3, v1
	v_mov_b32_e32 v4, v1
	scratch_store_b128 off, v[1:4], off offset:48
	s_wait_loadcnt 0x0
	ds_store_b128 v156, v[5:8]
.LBB54_339:
	s_wait_alu 0xfffe
	s_or_b32 exec_lo, exec_lo, s0
	s_wait_storecnt_dscnt 0x0
	s_barrier_signal -1
	s_barrier_wait -1
	global_inv scope:SCOPE_SE
	s_clause 0x8
	scratch_load_b128 v[2:5], off, off offset:64
	scratch_load_b128 v[6:9], off, off offset:80
	scratch_load_b128 v[10:13], off, off offset:96
	scratch_load_b128 v[14:17], off, off offset:112
	scratch_load_b128 v[18:21], off, off offset:128
	scratch_load_b128 v[22:25], off, off offset:144
	scratch_load_b128 v[26:29], off, off offset:160
	scratch_load_b128 v[30:33], off, off offset:176
	scratch_load_b128 v[34:37], off, off offset:192
	ds_load_b128 v[42:45], v1 offset:928
	ds_load_b128 v[38:41], v1 offset:944
	s_clause 0x1
	scratch_load_b128 v[157:160], off, off offset:48
	scratch_load_b128 v[161:164], off, off offset:208
	s_mov_b32 s0, exec_lo
	s_wait_loadcnt_dscnt 0xa01
	v_mul_f64_e32 v[165:166], v[44:45], v[4:5]
	v_mul_f64_e32 v[4:5], v[42:43], v[4:5]
	s_wait_loadcnt_dscnt 0x900
	v_mul_f64_e32 v[169:170], v[38:39], v[8:9]
	v_mul_f64_e32 v[8:9], v[40:41], v[8:9]
	s_delay_alu instid0(VALU_DEP_4) | instskip(NEXT) | instid1(VALU_DEP_4)
	v_fma_f64 v[171:172], v[42:43], v[2:3], -v[165:166]
	v_fma_f64 v[173:174], v[44:45], v[2:3], v[4:5]
	ds_load_b128 v[2:5], v1 offset:960
	ds_load_b128 v[165:168], v1 offset:976
	scratch_load_b128 v[42:45], off, off offset:224
	v_fma_f64 v[40:41], v[40:41], v[6:7], v[169:170]
	v_fma_f64 v[38:39], v[38:39], v[6:7], -v[8:9]
	scratch_load_b128 v[6:9], off, off offset:240
	s_wait_loadcnt_dscnt 0xa01
	v_mul_f64_e32 v[175:176], v[2:3], v[12:13]
	v_mul_f64_e32 v[12:13], v[4:5], v[12:13]
	v_add_f64_e32 v[169:170], 0, v[171:172]
	v_add_f64_e32 v[171:172], 0, v[173:174]
	s_wait_loadcnt_dscnt 0x900
	v_mul_f64_e32 v[173:174], v[165:166], v[16:17]
	v_mul_f64_e32 v[16:17], v[167:168], v[16:17]
	v_fma_f64 v[175:176], v[4:5], v[10:11], v[175:176]
	v_fma_f64 v[177:178], v[2:3], v[10:11], -v[12:13]
	ds_load_b128 v[2:5], v1 offset:992
	scratch_load_b128 v[10:13], off, off offset:256
	v_add_f64_e32 v[169:170], v[169:170], v[38:39]
	v_add_f64_e32 v[171:172], v[171:172], v[40:41]
	ds_load_b128 v[38:41], v1 offset:1008
	v_fma_f64 v[167:168], v[167:168], v[14:15], v[173:174]
	v_fma_f64 v[165:166], v[165:166], v[14:15], -v[16:17]
	scratch_load_b128 v[14:17], off, off offset:272
	s_wait_loadcnt_dscnt 0xa01
	v_mul_f64_e32 v[179:180], v[2:3], v[20:21]
	v_mul_f64_e32 v[20:21], v[4:5], v[20:21]
	s_wait_loadcnt_dscnt 0x900
	v_mul_f64_e32 v[173:174], v[38:39], v[24:25]
	v_mul_f64_e32 v[24:25], v[40:41], v[24:25]
	v_add_f64_e32 v[169:170], v[169:170], v[177:178]
	v_add_f64_e32 v[171:172], v[171:172], v[175:176]
	v_fma_f64 v[175:176], v[4:5], v[18:19], v[179:180]
	v_fma_f64 v[177:178], v[2:3], v[18:19], -v[20:21]
	ds_load_b128 v[2:5], v1 offset:1024
	scratch_load_b128 v[18:21], off, off offset:288
	v_fma_f64 v[40:41], v[40:41], v[22:23], v[173:174]
	v_fma_f64 v[38:39], v[38:39], v[22:23], -v[24:25]
	scratch_load_b128 v[22:25], off, off offset:304
	v_add_f64_e32 v[169:170], v[169:170], v[165:166]
	v_add_f64_e32 v[171:172], v[171:172], v[167:168]
	ds_load_b128 v[165:168], v1 offset:1040
	s_wait_loadcnt_dscnt 0xa01
	v_mul_f64_e32 v[179:180], v[2:3], v[28:29]
	v_mul_f64_e32 v[28:29], v[4:5], v[28:29]
	s_wait_loadcnt_dscnt 0x900
	v_mul_f64_e32 v[173:174], v[165:166], v[32:33]
	v_mul_f64_e32 v[32:33], v[167:168], v[32:33]
	v_add_f64_e32 v[169:170], v[169:170], v[177:178]
	v_add_f64_e32 v[171:172], v[171:172], v[175:176]
	v_fma_f64 v[175:176], v[4:5], v[26:27], v[179:180]
	v_fma_f64 v[177:178], v[2:3], v[26:27], -v[28:29]
	ds_load_b128 v[2:5], v1 offset:1056
	scratch_load_b128 v[26:29], off, off offset:320
	v_fma_f64 v[167:168], v[167:168], v[30:31], v[173:174]
	v_fma_f64 v[165:166], v[165:166], v[30:31], -v[32:33]
	scratch_load_b128 v[30:33], off, off offset:336
	v_add_f64_e32 v[169:170], v[169:170], v[38:39]
	v_add_f64_e32 v[171:172], v[171:172], v[40:41]
	ds_load_b128 v[38:41], v1 offset:1072
	s_wait_loadcnt_dscnt 0xa01
	v_mul_f64_e32 v[179:180], v[2:3], v[36:37]
	v_mul_f64_e32 v[36:37], v[4:5], v[36:37]
	s_wait_loadcnt_dscnt 0x800
	v_mul_f64_e32 v[173:174], v[38:39], v[163:164]
	v_add_f64_e32 v[169:170], v[169:170], v[177:178]
	v_add_f64_e32 v[171:172], v[171:172], v[175:176]
	v_mul_f64_e32 v[175:176], v[40:41], v[163:164]
	v_fma_f64 v[177:178], v[4:5], v[34:35], v[179:180]
	v_fma_f64 v[179:180], v[2:3], v[34:35], -v[36:37]
	ds_load_b128 v[2:5], v1 offset:1088
	scratch_load_b128 v[34:37], off, off offset:352
	v_fma_f64 v[173:174], v[40:41], v[161:162], v[173:174]
	v_add_f64_e32 v[169:170], v[169:170], v[165:166]
	v_add_f64_e32 v[167:168], v[171:172], v[167:168]
	ds_load_b128 v[163:166], v1 offset:1104
	v_fma_f64 v[161:162], v[38:39], v[161:162], -v[175:176]
	scratch_load_b128 v[38:41], off, off offset:368
	s_wait_loadcnt_dscnt 0x901
	v_mul_f64_e32 v[171:172], v[2:3], v[44:45]
	v_mul_f64_e32 v[44:45], v[4:5], v[44:45]
	s_wait_loadcnt_dscnt 0x800
	v_mul_f64_e32 v[175:176], v[163:164], v[8:9]
	v_mul_f64_e32 v[8:9], v[165:166], v[8:9]
	v_add_f64_e32 v[169:170], v[169:170], v[179:180]
	v_add_f64_e32 v[167:168], v[167:168], v[177:178]
	v_fma_f64 v[171:172], v[4:5], v[42:43], v[171:172]
	v_fma_f64 v[177:178], v[2:3], v[42:43], -v[44:45]
	ds_load_b128 v[2:5], v1 offset:1120
	scratch_load_b128 v[42:45], off, off offset:384
	v_fma_f64 v[165:166], v[165:166], v[6:7], v[175:176]
	v_fma_f64 v[163:164], v[163:164], v[6:7], -v[8:9]
	scratch_load_b128 v[6:9], off, off offset:400
	v_add_f64_e32 v[161:162], v[169:170], v[161:162]
	v_add_f64_e32 v[173:174], v[167:168], v[173:174]
	ds_load_b128 v[167:170], v1 offset:1136
	s_wait_loadcnt_dscnt 0x901
	v_mul_f64_e32 v[179:180], v[2:3], v[12:13]
	v_mul_f64_e32 v[12:13], v[4:5], v[12:13]
	v_add_f64_e32 v[161:162], v[161:162], v[177:178]
	v_add_f64_e32 v[171:172], v[173:174], v[171:172]
	s_wait_loadcnt_dscnt 0x800
	v_mul_f64_e32 v[173:174], v[167:168], v[16:17]
	v_mul_f64_e32 v[16:17], v[169:170], v[16:17]
	v_fma_f64 v[175:176], v[4:5], v[10:11], v[179:180]
	v_fma_f64 v[177:178], v[2:3], v[10:11], -v[12:13]
	ds_load_b128 v[2:5], v1 offset:1152
	scratch_load_b128 v[10:13], off, off offset:416
	v_add_f64_e32 v[179:180], v[161:162], v[163:164]
	v_add_f64_e32 v[165:166], v[171:172], v[165:166]
	ds_load_b128 v[161:164], v1 offset:1168
	s_wait_loadcnt_dscnt 0x801
	v_mul_f64_e32 v[171:172], v[2:3], v[20:21]
	v_mul_f64_e32 v[20:21], v[4:5], v[20:21]
	v_fma_f64 v[169:170], v[169:170], v[14:15], v[173:174]
	v_fma_f64 v[167:168], v[167:168], v[14:15], -v[16:17]
	scratch_load_b128 v[14:17], off, off offset:432
	v_add_f64_e32 v[173:174], v[179:180], v[177:178]
	v_add_f64_e32 v[165:166], v[165:166], v[175:176]
	s_wait_loadcnt_dscnt 0x800
	v_mul_f64_e32 v[175:176], v[161:162], v[24:25]
	v_mul_f64_e32 v[24:25], v[163:164], v[24:25]
	v_fma_f64 v[171:172], v[4:5], v[18:19], v[171:172]
	v_fma_f64 v[177:178], v[2:3], v[18:19], -v[20:21]
	ds_load_b128 v[2:5], v1 offset:1184
	scratch_load_b128 v[18:21], off, off offset:448
	v_add_f64_e32 v[173:174], v[173:174], v[167:168]
	v_add_f64_e32 v[169:170], v[165:166], v[169:170]
	ds_load_b128 v[165:168], v1 offset:1200
	s_wait_loadcnt_dscnt 0x801
	v_mul_f64_e32 v[179:180], v[2:3], v[28:29]
	v_mul_f64_e32 v[28:29], v[4:5], v[28:29]
	v_fma_f64 v[163:164], v[163:164], v[22:23], v[175:176]
	v_fma_f64 v[161:162], v[161:162], v[22:23], -v[24:25]
	scratch_load_b128 v[22:25], off, off offset:464
	;; [unrolled: 18-line block ×4, first 2 shown]
	s_wait_loadcnt_dscnt 0x800
	v_mul_f64_e32 v[173:174], v[165:166], v[8:9]
	v_mul_f64_e32 v[8:9], v[167:168], v[8:9]
	v_add_f64_e32 v[171:172], v[171:172], v[177:178]
	v_add_f64_e32 v[169:170], v[169:170], v[175:176]
	v_fma_f64 v[175:176], v[4:5], v[42:43], v[179:180]
	v_fma_f64 v[177:178], v[2:3], v[42:43], -v[44:45]
	ds_load_b128 v[2:5], v1 offset:1280
	scratch_load_b128 v[42:45], off, off offset:544
	v_fma_f64 v[167:168], v[167:168], v[6:7], v[173:174]
	v_fma_f64 v[165:166], v[165:166], v[6:7], -v[8:9]
	scratch_load_b128 v[6:9], off, off offset:560
	v_add_f64_e32 v[171:172], v[171:172], v[161:162]
	v_add_f64_e32 v[169:170], v[169:170], v[163:164]
	ds_load_b128 v[161:164], v1 offset:1296
	s_wait_loadcnt_dscnt 0x901
	v_mul_f64_e32 v[179:180], v[2:3], v[12:13]
	v_mul_f64_e32 v[12:13], v[4:5], v[12:13]
	s_wait_loadcnt_dscnt 0x800
	v_mul_f64_e32 v[173:174], v[161:162], v[16:17]
	v_mul_f64_e32 v[16:17], v[163:164], v[16:17]
	v_add_f64_e32 v[171:172], v[171:172], v[177:178]
	v_add_f64_e32 v[169:170], v[169:170], v[175:176]
	v_fma_f64 v[175:176], v[4:5], v[10:11], v[179:180]
	v_fma_f64 v[177:178], v[2:3], v[10:11], -v[12:13]
	ds_load_b128 v[2:5], v1 offset:1312
	scratch_load_b128 v[10:13], off, off offset:576
	v_fma_f64 v[163:164], v[163:164], v[14:15], v[173:174]
	v_fma_f64 v[161:162], v[161:162], v[14:15], -v[16:17]
	scratch_load_b128 v[14:17], off, off offset:592
	v_add_f64_e32 v[171:172], v[171:172], v[165:166]
	v_add_f64_e32 v[169:170], v[169:170], v[167:168]
	ds_load_b128 v[165:168], v1 offset:1328
	s_wait_loadcnt_dscnt 0x901
	v_mul_f64_e32 v[179:180], v[2:3], v[20:21]
	v_mul_f64_e32 v[20:21], v[4:5], v[20:21]
	;; [unrolled: 18-line block ×11, first 2 shown]
	s_wait_loadcnt_dscnt 0x800
	v_mul_f64_e32 v[173:174], v[161:162], v[16:17]
	v_mul_f64_e32 v[16:17], v[163:164], v[16:17]
	v_add_f64_e32 v[171:172], v[171:172], v[177:178]
	v_add_f64_e32 v[169:170], v[169:170], v[175:176]
	v_fma_f64 v[175:176], v[4:5], v[10:11], v[179:180]
	v_fma_f64 v[177:178], v[2:3], v[10:11], -v[12:13]
	ds_load_b128 v[2:5], v1 offset:1632
	ds_load_b128 v[10:13], v1 offset:1648
	v_fma_f64 v[163:164], v[163:164], v[14:15], v[173:174]
	v_fma_f64 v[14:15], v[161:162], v[14:15], -v[16:17]
	v_add_f64_e32 v[165:166], v[171:172], v[165:166]
	v_add_f64_e32 v[167:168], v[169:170], v[167:168]
	s_wait_loadcnt_dscnt 0x701
	v_mul_f64_e32 v[169:170], v[2:3], v[20:21]
	v_mul_f64_e32 v[20:21], v[4:5], v[20:21]
	s_delay_alu instid0(VALU_DEP_4) | instskip(NEXT) | instid1(VALU_DEP_4)
	v_add_f64_e32 v[16:17], v[165:166], v[177:178]
	v_add_f64_e32 v[161:162], v[167:168], v[175:176]
	s_wait_loadcnt_dscnt 0x600
	v_mul_f64_e32 v[165:166], v[10:11], v[24:25]
	v_mul_f64_e32 v[24:25], v[12:13], v[24:25]
	v_fma_f64 v[167:168], v[4:5], v[18:19], v[169:170]
	v_fma_f64 v[18:19], v[2:3], v[18:19], -v[20:21]
	v_add_f64_e32 v[20:21], v[16:17], v[14:15]
	v_add_f64_e32 v[161:162], v[161:162], v[163:164]
	ds_load_b128 v[2:5], v1 offset:1664
	ds_load_b128 v[14:17], v1 offset:1680
	v_fma_f64 v[12:13], v[12:13], v[22:23], v[165:166]
	v_fma_f64 v[10:11], v[10:11], v[22:23], -v[24:25]
	s_wait_loadcnt_dscnt 0x501
	v_mul_f64_e32 v[163:164], v[2:3], v[28:29]
	v_mul_f64_e32 v[28:29], v[4:5], v[28:29]
	s_wait_loadcnt_dscnt 0x400
	v_mul_f64_e32 v[22:23], v[14:15], v[32:33]
	v_mul_f64_e32 v[24:25], v[16:17], v[32:33]
	v_add_f64_e32 v[18:19], v[20:21], v[18:19]
	v_add_f64_e32 v[20:21], v[161:162], v[167:168]
	v_fma_f64 v[32:33], v[4:5], v[26:27], v[163:164]
	v_fma_f64 v[26:27], v[2:3], v[26:27], -v[28:29]
	v_fma_f64 v[16:17], v[16:17], v[30:31], v[22:23]
	v_fma_f64 v[14:15], v[14:15], v[30:31], -v[24:25]
	v_add_f64_e32 v[18:19], v[18:19], v[10:11]
	v_add_f64_e32 v[20:21], v[20:21], v[12:13]
	ds_load_b128 v[2:5], v1 offset:1696
	ds_load_b128 v[10:13], v1 offset:1712
	s_wait_loadcnt_dscnt 0x301
	v_mul_f64_e32 v[28:29], v[2:3], v[36:37]
	v_mul_f64_e32 v[36:37], v[4:5], v[36:37]
	s_wait_loadcnt_dscnt 0x200
	v_mul_f64_e32 v[22:23], v[10:11], v[40:41]
	v_mul_f64_e32 v[24:25], v[12:13], v[40:41]
	v_add_f64_e32 v[18:19], v[18:19], v[26:27]
	v_add_f64_e32 v[20:21], v[20:21], v[32:33]
	v_fma_f64 v[26:27], v[4:5], v[34:35], v[28:29]
	v_fma_f64 v[28:29], v[2:3], v[34:35], -v[36:37]
	v_fma_f64 v[12:13], v[12:13], v[38:39], v[22:23]
	v_fma_f64 v[10:11], v[10:11], v[38:39], -v[24:25]
	v_add_f64_e32 v[18:19], v[18:19], v[14:15]
	v_add_f64_e32 v[20:21], v[20:21], v[16:17]
	ds_load_b128 v[2:5], v1 offset:1728
	ds_load_b128 v[14:17], v1 offset:1744
	s_wait_loadcnt_dscnt 0x101
	v_mul_f64_e32 v[30:31], v[2:3], v[44:45]
	v_mul_f64_e32 v[32:33], v[4:5], v[44:45]
	s_wait_loadcnt_dscnt 0x0
	v_mul_f64_e32 v[22:23], v[14:15], v[8:9]
	v_mul_f64_e32 v[8:9], v[16:17], v[8:9]
	v_add_f64_e32 v[18:19], v[18:19], v[28:29]
	v_add_f64_e32 v[20:21], v[20:21], v[26:27]
	v_fma_f64 v[4:5], v[4:5], v[42:43], v[30:31]
	v_fma_f64 v[1:2], v[2:3], v[42:43], -v[32:33]
	v_fma_f64 v[16:17], v[16:17], v[6:7], v[22:23]
	v_fma_f64 v[6:7], v[14:15], v[6:7], -v[8:9]
	v_add_f64_e32 v[10:11], v[18:19], v[10:11]
	v_add_f64_e32 v[12:13], v[20:21], v[12:13]
	s_delay_alu instid0(VALU_DEP_2) | instskip(NEXT) | instid1(VALU_DEP_2)
	v_add_f64_e32 v[1:2], v[10:11], v[1:2]
	v_add_f64_e32 v[3:4], v[12:13], v[4:5]
	s_delay_alu instid0(VALU_DEP_2) | instskip(NEXT) | instid1(VALU_DEP_2)
	;; [unrolled: 3-line block ×3, first 2 shown]
	v_add_f64_e64 v[1:2], v[157:158], -v[1:2]
	v_add_f64_e64 v[3:4], v[159:160], -v[3:4]
	scratch_store_b128 off, v[1:4], off offset:48
	v_cmpx_lt_u32_e32 1, v0
	s_cbranch_execz .LBB54_341
; %bb.340:
	scratch_load_b128 v[1:4], off, s28
	v_mov_b32_e32 v5, 0
	s_delay_alu instid0(VALU_DEP_1)
	v_dual_mov_b32 v6, v5 :: v_dual_mov_b32 v7, v5
	v_mov_b32_e32 v8, v5
	scratch_store_b128 off, v[5:8], off offset:32
	s_wait_loadcnt 0x0
	ds_store_b128 v156, v[1:4]
.LBB54_341:
	s_wait_alu 0xfffe
	s_or_b32 exec_lo, exec_lo, s0
	s_wait_storecnt_dscnt 0x0
	s_barrier_signal -1
	s_barrier_wait -1
	global_inv scope:SCOPE_SE
	s_clause 0x7
	scratch_load_b128 v[2:5], off, off offset:48
	scratch_load_b128 v[6:9], off, off offset:64
	scratch_load_b128 v[10:13], off, off offset:80
	scratch_load_b128 v[14:17], off, off offset:96
	scratch_load_b128 v[18:21], off, off offset:112
	scratch_load_b128 v[22:25], off, off offset:128
	scratch_load_b128 v[26:29], off, off offset:144
	scratch_load_b128 v[30:33], off, off offset:160
	v_mov_b32_e32 v1, 0
	s_mov_b32 s0, exec_lo
	ds_load_b128 v[38:41], v1 offset:912
	s_clause 0x1
	scratch_load_b128 v[34:37], off, off offset:176
	scratch_load_b128 v[42:45], off, off offset:32
	ds_load_b128 v[157:160], v1 offset:928
	scratch_load_b128 v[161:164], off, off offset:192
	s_wait_loadcnt_dscnt 0xa01
	v_mul_f64_e32 v[165:166], v[40:41], v[4:5]
	v_mul_f64_e32 v[4:5], v[38:39], v[4:5]
	s_delay_alu instid0(VALU_DEP_2) | instskip(NEXT) | instid1(VALU_DEP_2)
	v_fma_f64 v[171:172], v[38:39], v[2:3], -v[165:166]
	v_fma_f64 v[173:174], v[40:41], v[2:3], v[4:5]
	ds_load_b128 v[2:5], v1 offset:944
	s_wait_loadcnt_dscnt 0x901
	v_mul_f64_e32 v[169:170], v[157:158], v[8:9]
	v_mul_f64_e32 v[8:9], v[159:160], v[8:9]
	scratch_load_b128 v[38:41], off, off offset:208
	ds_load_b128 v[165:168], v1 offset:960
	s_wait_loadcnt_dscnt 0x901
	v_mul_f64_e32 v[175:176], v[2:3], v[12:13]
	v_mul_f64_e32 v[12:13], v[4:5], v[12:13]
	v_fma_f64 v[159:160], v[159:160], v[6:7], v[169:170]
	v_fma_f64 v[157:158], v[157:158], v[6:7], -v[8:9]
	v_add_f64_e32 v[169:170], 0, v[171:172]
	v_add_f64_e32 v[171:172], 0, v[173:174]
	scratch_load_b128 v[6:9], off, off offset:224
	v_fma_f64 v[175:176], v[4:5], v[10:11], v[175:176]
	v_fma_f64 v[177:178], v[2:3], v[10:11], -v[12:13]
	ds_load_b128 v[2:5], v1 offset:976
	s_wait_loadcnt_dscnt 0x901
	v_mul_f64_e32 v[173:174], v[165:166], v[16:17]
	v_mul_f64_e32 v[16:17], v[167:168], v[16:17]
	scratch_load_b128 v[10:13], off, off offset:240
	v_add_f64_e32 v[169:170], v[169:170], v[157:158]
	v_add_f64_e32 v[171:172], v[171:172], v[159:160]
	s_wait_loadcnt_dscnt 0x900
	v_mul_f64_e32 v[179:180], v[2:3], v[20:21]
	v_mul_f64_e32 v[20:21], v[4:5], v[20:21]
	ds_load_b128 v[157:160], v1 offset:992
	v_fma_f64 v[167:168], v[167:168], v[14:15], v[173:174]
	v_fma_f64 v[165:166], v[165:166], v[14:15], -v[16:17]
	scratch_load_b128 v[14:17], off, off offset:256
	v_add_f64_e32 v[169:170], v[169:170], v[177:178]
	v_add_f64_e32 v[171:172], v[171:172], v[175:176]
	v_fma_f64 v[175:176], v[4:5], v[18:19], v[179:180]
	v_fma_f64 v[177:178], v[2:3], v[18:19], -v[20:21]
	ds_load_b128 v[2:5], v1 offset:1008
	s_wait_loadcnt_dscnt 0x901
	v_mul_f64_e32 v[173:174], v[157:158], v[24:25]
	v_mul_f64_e32 v[24:25], v[159:160], v[24:25]
	scratch_load_b128 v[18:21], off, off offset:272
	s_wait_loadcnt_dscnt 0x900
	v_mul_f64_e32 v[179:180], v[2:3], v[28:29]
	v_mul_f64_e32 v[28:29], v[4:5], v[28:29]
	v_add_f64_e32 v[169:170], v[169:170], v[165:166]
	v_add_f64_e32 v[171:172], v[171:172], v[167:168]
	ds_load_b128 v[165:168], v1 offset:1024
	v_fma_f64 v[159:160], v[159:160], v[22:23], v[173:174]
	v_fma_f64 v[157:158], v[157:158], v[22:23], -v[24:25]
	scratch_load_b128 v[22:25], off, off offset:288
	v_add_f64_e32 v[169:170], v[169:170], v[177:178]
	v_add_f64_e32 v[171:172], v[171:172], v[175:176]
	v_fma_f64 v[175:176], v[4:5], v[26:27], v[179:180]
	v_fma_f64 v[177:178], v[2:3], v[26:27], -v[28:29]
	ds_load_b128 v[2:5], v1 offset:1040
	s_wait_loadcnt_dscnt 0x901
	v_mul_f64_e32 v[173:174], v[165:166], v[32:33]
	v_mul_f64_e32 v[32:33], v[167:168], v[32:33]
	scratch_load_b128 v[26:29], off, off offset:304
	s_wait_loadcnt_dscnt 0x900
	v_mul_f64_e32 v[179:180], v[2:3], v[36:37]
	v_mul_f64_e32 v[36:37], v[4:5], v[36:37]
	v_add_f64_e32 v[169:170], v[169:170], v[157:158]
	v_add_f64_e32 v[171:172], v[171:172], v[159:160]
	ds_load_b128 v[157:160], v1 offset:1056
	v_fma_f64 v[167:168], v[167:168], v[30:31], v[173:174]
	v_fma_f64 v[165:166], v[165:166], v[30:31], -v[32:33]
	scratch_load_b128 v[30:33], off, off offset:320
	v_add_f64_e32 v[169:170], v[169:170], v[177:178]
	v_add_f64_e32 v[171:172], v[171:172], v[175:176]
	v_fma_f64 v[177:178], v[4:5], v[34:35], v[179:180]
	v_fma_f64 v[179:180], v[2:3], v[34:35], -v[36:37]
	ds_load_b128 v[2:5], v1 offset:1072
	s_wait_loadcnt_dscnt 0x801
	v_mul_f64_e32 v[173:174], v[157:158], v[163:164]
	v_mul_f64_e32 v[175:176], v[159:160], v[163:164]
	scratch_load_b128 v[34:37], off, off offset:336
	v_add_f64_e32 v[169:170], v[169:170], v[165:166]
	v_add_f64_e32 v[167:168], v[171:172], v[167:168]
	ds_load_b128 v[163:166], v1 offset:1088
	v_fma_f64 v[173:174], v[159:160], v[161:162], v[173:174]
	v_fma_f64 v[161:162], v[157:158], v[161:162], -v[175:176]
	scratch_load_b128 v[157:160], off, off offset:352
	s_wait_loadcnt_dscnt 0x901
	v_mul_f64_e32 v[171:172], v[2:3], v[40:41]
	v_mul_f64_e32 v[40:41], v[4:5], v[40:41]
	v_add_f64_e32 v[169:170], v[169:170], v[179:180]
	v_add_f64_e32 v[167:168], v[167:168], v[177:178]
	s_delay_alu instid0(VALU_DEP_4) | instskip(NEXT) | instid1(VALU_DEP_4)
	v_fma_f64 v[171:172], v[4:5], v[38:39], v[171:172]
	v_fma_f64 v[177:178], v[2:3], v[38:39], -v[40:41]
	ds_load_b128 v[2:5], v1 offset:1104
	s_wait_loadcnt_dscnt 0x801
	v_mul_f64_e32 v[175:176], v[163:164], v[8:9]
	v_mul_f64_e32 v[8:9], v[165:166], v[8:9]
	scratch_load_b128 v[38:41], off, off offset:368
	s_wait_loadcnt_dscnt 0x800
	v_mul_f64_e32 v[179:180], v[2:3], v[12:13]
	v_add_f64_e32 v[161:162], v[169:170], v[161:162]
	v_add_f64_e32 v[173:174], v[167:168], v[173:174]
	v_mul_f64_e32 v[12:13], v[4:5], v[12:13]
	ds_load_b128 v[167:170], v1 offset:1120
	v_fma_f64 v[165:166], v[165:166], v[6:7], v[175:176]
	v_fma_f64 v[163:164], v[163:164], v[6:7], -v[8:9]
	scratch_load_b128 v[6:9], off, off offset:384
	v_fma_f64 v[175:176], v[4:5], v[10:11], v[179:180]
	v_add_f64_e32 v[161:162], v[161:162], v[177:178]
	v_add_f64_e32 v[171:172], v[173:174], v[171:172]
	v_fma_f64 v[177:178], v[2:3], v[10:11], -v[12:13]
	ds_load_b128 v[2:5], v1 offset:1136
	s_wait_loadcnt_dscnt 0x801
	v_mul_f64_e32 v[173:174], v[167:168], v[16:17]
	v_mul_f64_e32 v[16:17], v[169:170], v[16:17]
	scratch_load_b128 v[10:13], off, off offset:400
	v_add_f64_e32 v[179:180], v[161:162], v[163:164]
	v_add_f64_e32 v[165:166], v[171:172], v[165:166]
	s_wait_loadcnt_dscnt 0x800
	v_mul_f64_e32 v[171:172], v[2:3], v[20:21]
	v_mul_f64_e32 v[20:21], v[4:5], v[20:21]
	v_fma_f64 v[169:170], v[169:170], v[14:15], v[173:174]
	v_fma_f64 v[167:168], v[167:168], v[14:15], -v[16:17]
	ds_load_b128 v[161:164], v1 offset:1152
	scratch_load_b128 v[14:17], off, off offset:416
	v_add_f64_e32 v[173:174], v[179:180], v[177:178]
	v_add_f64_e32 v[165:166], v[165:166], v[175:176]
	v_fma_f64 v[171:172], v[4:5], v[18:19], v[171:172]
	v_fma_f64 v[177:178], v[2:3], v[18:19], -v[20:21]
	ds_load_b128 v[2:5], v1 offset:1168
	s_wait_loadcnt_dscnt 0x801
	v_mul_f64_e32 v[175:176], v[161:162], v[24:25]
	v_mul_f64_e32 v[24:25], v[163:164], v[24:25]
	scratch_load_b128 v[18:21], off, off offset:432
	s_wait_loadcnt_dscnt 0x800
	v_mul_f64_e32 v[179:180], v[2:3], v[28:29]
	v_mul_f64_e32 v[28:29], v[4:5], v[28:29]
	v_add_f64_e32 v[173:174], v[173:174], v[167:168]
	v_add_f64_e32 v[169:170], v[165:166], v[169:170]
	ds_load_b128 v[165:168], v1 offset:1184
	v_fma_f64 v[163:164], v[163:164], v[22:23], v[175:176]
	v_fma_f64 v[161:162], v[161:162], v[22:23], -v[24:25]
	scratch_load_b128 v[22:25], off, off offset:448
	v_fma_f64 v[175:176], v[4:5], v[26:27], v[179:180]
	v_add_f64_e32 v[173:174], v[173:174], v[177:178]
	v_add_f64_e32 v[169:170], v[169:170], v[171:172]
	v_fma_f64 v[177:178], v[2:3], v[26:27], -v[28:29]
	ds_load_b128 v[2:5], v1 offset:1200
	s_wait_loadcnt_dscnt 0x801
	v_mul_f64_e32 v[171:172], v[165:166], v[32:33]
	v_mul_f64_e32 v[32:33], v[167:168], v[32:33]
	scratch_load_b128 v[26:29], off, off offset:464
	s_wait_loadcnt_dscnt 0x800
	v_mul_f64_e32 v[179:180], v[2:3], v[36:37]
	v_mul_f64_e32 v[36:37], v[4:5], v[36:37]
	v_add_f64_e32 v[173:174], v[173:174], v[161:162]
	v_add_f64_e32 v[169:170], v[169:170], v[163:164]
	ds_load_b128 v[161:164], v1 offset:1216
	v_fma_f64 v[167:168], v[167:168], v[30:31], v[171:172]
	v_fma_f64 v[165:166], v[165:166], v[30:31], -v[32:33]
	scratch_load_b128 v[30:33], off, off offset:480
	v_add_f64_e32 v[171:172], v[173:174], v[177:178]
	v_add_f64_e32 v[169:170], v[169:170], v[175:176]
	v_fma_f64 v[175:176], v[4:5], v[34:35], v[179:180]
	v_fma_f64 v[177:178], v[2:3], v[34:35], -v[36:37]
	ds_load_b128 v[2:5], v1 offset:1232
	s_wait_loadcnt_dscnt 0x801
	v_mul_f64_e32 v[173:174], v[161:162], v[159:160]
	v_mul_f64_e32 v[159:160], v[163:164], v[159:160]
	scratch_load_b128 v[34:37], off, off offset:496
	s_wait_loadcnt_dscnt 0x800
	v_mul_f64_e32 v[179:180], v[2:3], v[40:41]
	v_mul_f64_e32 v[40:41], v[4:5], v[40:41]
	v_add_f64_e32 v[171:172], v[171:172], v[165:166]
	v_add_f64_e32 v[169:170], v[169:170], v[167:168]
	ds_load_b128 v[165:168], v1 offset:1248
	v_fma_f64 v[163:164], v[163:164], v[157:158], v[173:174]
	v_fma_f64 v[161:162], v[161:162], v[157:158], -v[159:160]
	scratch_load_b128 v[157:160], off, off offset:512
	v_add_f64_e32 v[171:172], v[171:172], v[177:178]
	v_add_f64_e32 v[169:170], v[169:170], v[175:176]
	v_fma_f64 v[175:176], v[4:5], v[38:39], v[179:180]
	;; [unrolled: 18-line block ×6, first 2 shown]
	v_fma_f64 v[179:180], v[2:3], v[34:35], -v[36:37]
	ds_load_b128 v[2:5], v1 offset:1392
	s_wait_loadcnt_dscnt 0x801
	v_mul_f64_e32 v[173:174], v[165:166], v[159:160]
	v_mul_f64_e32 v[175:176], v[167:168], v[159:160]
	scratch_load_b128 v[34:37], off, off offset:656
	v_add_f64_e32 v[171:172], v[171:172], v[161:162]
	v_add_f64_e32 v[163:164], v[169:170], v[163:164]
	s_wait_loadcnt_dscnt 0x800
	v_mul_f64_e32 v[169:170], v[2:3], v[40:41]
	v_mul_f64_e32 v[40:41], v[4:5], v[40:41]
	ds_load_b128 v[159:162], v1 offset:1408
	v_fma_f64 v[167:168], v[167:168], v[157:158], v[173:174]
	v_fma_f64 v[157:158], v[165:166], v[157:158], -v[175:176]
	v_add_f64_e32 v[171:172], v[171:172], v[179:180]
	v_add_f64_e32 v[173:174], v[163:164], v[177:178]
	scratch_load_b128 v[163:166], off, off offset:672
	v_fma_f64 v[177:178], v[4:5], v[38:39], v[169:170]
	v_fma_f64 v[179:180], v[2:3], v[38:39], -v[40:41]
	ds_load_b128 v[2:5], v1 offset:1424
	s_wait_loadcnt_dscnt 0x801
	v_mul_f64_e32 v[175:176], v[159:160], v[8:9]
	v_mul_f64_e32 v[8:9], v[161:162], v[8:9]
	scratch_load_b128 v[38:41], off, off offset:688
	v_add_f64_e32 v[157:158], v[171:172], v[157:158]
	v_add_f64_e32 v[171:172], v[173:174], v[167:168]
	s_wait_loadcnt_dscnt 0x800
	v_mul_f64_e32 v[173:174], v[2:3], v[12:13]
	v_mul_f64_e32 v[12:13], v[4:5], v[12:13]
	ds_load_b128 v[167:170], v1 offset:1440
	v_fma_f64 v[161:162], v[161:162], v[6:7], v[175:176]
	v_fma_f64 v[159:160], v[159:160], v[6:7], -v[8:9]
	scratch_load_b128 v[6:9], off, off offset:704
	v_add_f64_e32 v[157:158], v[157:158], v[179:180]
	v_add_f64_e32 v[171:172], v[171:172], v[177:178]
	v_fma_f64 v[173:174], v[4:5], v[10:11], v[173:174]
	v_fma_f64 v[177:178], v[2:3], v[10:11], -v[12:13]
	ds_load_b128 v[2:5], v1 offset:1456
	s_wait_loadcnt_dscnt 0x801
	v_mul_f64_e32 v[175:176], v[167:168], v[16:17]
	v_mul_f64_e32 v[16:17], v[169:170], v[16:17]
	scratch_load_b128 v[10:13], off, off offset:720
	v_add_f64_e32 v[179:180], v[157:158], v[159:160]
	v_add_f64_e32 v[161:162], v[171:172], v[161:162]
	s_wait_loadcnt_dscnt 0x800
	v_mul_f64_e32 v[171:172], v[2:3], v[20:21]
	v_mul_f64_e32 v[20:21], v[4:5], v[20:21]
	ds_load_b128 v[157:160], v1 offset:1472
	v_fma_f64 v[169:170], v[169:170], v[14:15], v[175:176]
	v_fma_f64 v[167:168], v[167:168], v[14:15], -v[16:17]
	scratch_load_b128 v[14:17], off, off offset:736
	v_add_f64_e32 v[175:176], v[179:180], v[177:178]
	v_add_f64_e32 v[161:162], v[161:162], v[173:174]
	v_fma_f64 v[171:172], v[4:5], v[18:19], v[171:172]
	v_fma_f64 v[177:178], v[2:3], v[18:19], -v[20:21]
	ds_load_b128 v[2:5], v1 offset:1488
	s_wait_loadcnt_dscnt 0x801
	v_mul_f64_e32 v[173:174], v[157:158], v[24:25]
	v_mul_f64_e32 v[24:25], v[159:160], v[24:25]
	scratch_load_b128 v[18:21], off, off offset:752
	s_wait_loadcnt_dscnt 0x800
	v_mul_f64_e32 v[179:180], v[2:3], v[28:29]
	v_mul_f64_e32 v[28:29], v[4:5], v[28:29]
	v_add_f64_e32 v[175:176], v[175:176], v[167:168]
	v_add_f64_e32 v[161:162], v[161:162], v[169:170]
	ds_load_b128 v[167:170], v1 offset:1504
	v_fma_f64 v[159:160], v[159:160], v[22:23], v[173:174]
	v_fma_f64 v[157:158], v[157:158], v[22:23], -v[24:25]
	scratch_load_b128 v[22:25], off, off offset:768
	v_add_f64_e32 v[173:174], v[175:176], v[177:178]
	v_add_f64_e32 v[161:162], v[161:162], v[171:172]
	v_fma_f64 v[175:176], v[4:5], v[26:27], v[179:180]
	v_fma_f64 v[177:178], v[2:3], v[26:27], -v[28:29]
	ds_load_b128 v[2:5], v1 offset:1520
	s_wait_loadcnt_dscnt 0x801
	v_mul_f64_e32 v[171:172], v[167:168], v[32:33]
	v_mul_f64_e32 v[32:33], v[169:170], v[32:33]
	scratch_load_b128 v[26:29], off, off offset:784
	s_wait_loadcnt_dscnt 0x800
	v_mul_f64_e32 v[179:180], v[2:3], v[36:37]
	v_mul_f64_e32 v[36:37], v[4:5], v[36:37]
	v_add_f64_e32 v[173:174], v[173:174], v[157:158]
	v_add_f64_e32 v[161:162], v[161:162], v[159:160]
	ds_load_b128 v[157:160], v1 offset:1536
	v_fma_f64 v[169:170], v[169:170], v[30:31], v[171:172]
	v_fma_f64 v[167:168], v[167:168], v[30:31], -v[32:33]
	scratch_load_b128 v[30:33], off, off offset:800
	v_add_f64_e32 v[171:172], v[173:174], v[177:178]
	v_add_f64_e32 v[161:162], v[161:162], v[175:176]
	v_fma_f64 v[177:178], v[4:5], v[34:35], v[179:180]
	v_fma_f64 v[179:180], v[2:3], v[34:35], -v[36:37]
	ds_load_b128 v[2:5], v1 offset:1552
	scratch_load_b128 v[34:37], off, off offset:816
	s_wait_loadcnt_dscnt 0x901
	v_mul_f64_e32 v[173:174], v[157:158], v[165:166]
	v_mul_f64_e32 v[175:176], v[159:160], v[165:166]
	v_add_f64_e32 v[171:172], v[171:172], v[167:168]
	v_add_f64_e32 v[161:162], v[161:162], v[169:170]
	s_wait_loadcnt_dscnt 0x800
	v_mul_f64_e32 v[169:170], v[2:3], v[40:41]
	v_mul_f64_e32 v[40:41], v[4:5], v[40:41]
	ds_load_b128 v[165:168], v1 offset:1568
	v_fma_f64 v[173:174], v[159:160], v[163:164], v[173:174]
	v_fma_f64 v[163:164], v[157:158], v[163:164], -v[175:176]
	scratch_load_b128 v[157:160], off, off offset:832
	v_add_f64_e32 v[171:172], v[171:172], v[179:180]
	v_add_f64_e32 v[161:162], v[161:162], v[177:178]
	v_fma_f64 v[169:170], v[4:5], v[38:39], v[169:170]
	v_fma_f64 v[177:178], v[2:3], v[38:39], -v[40:41]
	ds_load_b128 v[2:5], v1 offset:1584
	s_wait_loadcnt_dscnt 0x801
	v_mul_f64_e32 v[175:176], v[165:166], v[8:9]
	v_mul_f64_e32 v[8:9], v[167:168], v[8:9]
	scratch_load_b128 v[38:41], off, off offset:848
	s_wait_loadcnt_dscnt 0x800
	v_mul_f64_e32 v[179:180], v[2:3], v[12:13]
	v_mul_f64_e32 v[12:13], v[4:5], v[12:13]
	v_add_f64_e32 v[171:172], v[171:172], v[163:164]
	v_add_f64_e32 v[173:174], v[161:162], v[173:174]
	ds_load_b128 v[161:164], v1 offset:1600
	v_fma_f64 v[167:168], v[167:168], v[6:7], v[175:176]
	v_fma_f64 v[165:166], v[165:166], v[6:7], -v[8:9]
	scratch_load_b128 v[6:9], off, off offset:864
	v_fma_f64 v[175:176], v[4:5], v[10:11], v[179:180]
	v_add_f64_e32 v[171:172], v[171:172], v[177:178]
	v_add_f64_e32 v[169:170], v[173:174], v[169:170]
	v_fma_f64 v[177:178], v[2:3], v[10:11], -v[12:13]
	ds_load_b128 v[2:5], v1 offset:1616
	s_wait_loadcnt_dscnt 0x801
	v_mul_f64_e32 v[173:174], v[161:162], v[16:17]
	v_mul_f64_e32 v[16:17], v[163:164], v[16:17]
	scratch_load_b128 v[10:13], off, off offset:880
	s_wait_loadcnt_dscnt 0x800
	v_mul_f64_e32 v[179:180], v[2:3], v[20:21]
	v_mul_f64_e32 v[20:21], v[4:5], v[20:21]
	v_add_f64_e32 v[171:172], v[171:172], v[165:166]
	v_add_f64_e32 v[169:170], v[169:170], v[167:168]
	ds_load_b128 v[165:168], v1 offset:1632
	v_fma_f64 v[163:164], v[163:164], v[14:15], v[173:174]
	v_fma_f64 v[14:15], v[161:162], v[14:15], -v[16:17]
	v_add_f64_e32 v[16:17], v[171:172], v[177:178]
	v_add_f64_e32 v[161:162], v[169:170], v[175:176]
	s_wait_loadcnt_dscnt 0x700
	v_mul_f64_e32 v[169:170], v[165:166], v[24:25]
	v_mul_f64_e32 v[24:25], v[167:168], v[24:25]
	v_fma_f64 v[171:172], v[4:5], v[18:19], v[179:180]
	v_fma_f64 v[18:19], v[2:3], v[18:19], -v[20:21]
	v_add_f64_e32 v[20:21], v[16:17], v[14:15]
	v_add_f64_e32 v[161:162], v[161:162], v[163:164]
	ds_load_b128 v[2:5], v1 offset:1648
	ds_load_b128 v[14:17], v1 offset:1664
	v_fma_f64 v[167:168], v[167:168], v[22:23], v[169:170]
	v_fma_f64 v[22:23], v[165:166], v[22:23], -v[24:25]
	s_wait_loadcnt_dscnt 0x601
	v_mul_f64_e32 v[163:164], v[2:3], v[28:29]
	v_mul_f64_e32 v[28:29], v[4:5], v[28:29]
	s_wait_loadcnt_dscnt 0x500
	v_mul_f64_e32 v[24:25], v[14:15], v[32:33]
	v_mul_f64_e32 v[32:33], v[16:17], v[32:33]
	v_add_f64_e32 v[18:19], v[20:21], v[18:19]
	v_add_f64_e32 v[20:21], v[161:162], v[171:172]
	v_fma_f64 v[161:162], v[4:5], v[26:27], v[163:164]
	v_fma_f64 v[26:27], v[2:3], v[26:27], -v[28:29]
	v_fma_f64 v[16:17], v[16:17], v[30:31], v[24:25]
	v_fma_f64 v[14:15], v[14:15], v[30:31], -v[32:33]
	v_add_f64_e32 v[22:23], v[18:19], v[22:23]
	v_add_f64_e32 v[28:29], v[20:21], v[167:168]
	ds_load_b128 v[2:5], v1 offset:1680
	ds_load_b128 v[18:21], v1 offset:1696
	s_wait_loadcnt_dscnt 0x401
	v_mul_f64_e32 v[163:164], v[2:3], v[36:37]
	v_mul_f64_e32 v[36:37], v[4:5], v[36:37]
	v_add_f64_e32 v[22:23], v[22:23], v[26:27]
	v_add_f64_e32 v[24:25], v[28:29], v[161:162]
	s_wait_loadcnt_dscnt 0x300
	v_mul_f64_e32 v[26:27], v[18:19], v[159:160]
	v_mul_f64_e32 v[28:29], v[20:21], v[159:160]
	v_fma_f64 v[30:31], v[4:5], v[34:35], v[163:164]
	v_fma_f64 v[32:33], v[2:3], v[34:35], -v[36:37]
	v_add_f64_e32 v[22:23], v[22:23], v[14:15]
	v_add_f64_e32 v[24:25], v[24:25], v[16:17]
	ds_load_b128 v[2:5], v1 offset:1712
	ds_load_b128 v[14:17], v1 offset:1728
	v_fma_f64 v[20:21], v[20:21], v[157:158], v[26:27]
	v_fma_f64 v[18:19], v[18:19], v[157:158], -v[28:29]
	s_wait_loadcnt_dscnt 0x201
	v_mul_f64_e32 v[34:35], v[2:3], v[40:41]
	v_mul_f64_e32 v[36:37], v[4:5], v[40:41]
	s_wait_loadcnt_dscnt 0x100
	v_mul_f64_e32 v[26:27], v[14:15], v[8:9]
	v_mul_f64_e32 v[8:9], v[16:17], v[8:9]
	v_add_f64_e32 v[22:23], v[22:23], v[32:33]
	v_add_f64_e32 v[24:25], v[24:25], v[30:31]
	v_fma_f64 v[28:29], v[4:5], v[38:39], v[34:35]
	v_fma_f64 v[30:31], v[2:3], v[38:39], -v[36:37]
	ds_load_b128 v[2:5], v1 offset:1744
	v_fma_f64 v[16:17], v[16:17], v[6:7], v[26:27]
	v_fma_f64 v[6:7], v[14:15], v[6:7], -v[8:9]
	v_add_f64_e32 v[18:19], v[22:23], v[18:19]
	v_add_f64_e32 v[20:21], v[24:25], v[20:21]
	s_wait_loadcnt_dscnt 0x0
	v_mul_f64_e32 v[22:23], v[2:3], v[12:13]
	v_mul_f64_e32 v[12:13], v[4:5], v[12:13]
	s_delay_alu instid0(VALU_DEP_4) | instskip(NEXT) | instid1(VALU_DEP_4)
	v_add_f64_e32 v[8:9], v[18:19], v[30:31]
	v_add_f64_e32 v[14:15], v[20:21], v[28:29]
	s_delay_alu instid0(VALU_DEP_4) | instskip(NEXT) | instid1(VALU_DEP_4)
	v_fma_f64 v[4:5], v[4:5], v[10:11], v[22:23]
	v_fma_f64 v[2:3], v[2:3], v[10:11], -v[12:13]
	s_delay_alu instid0(VALU_DEP_4) | instskip(NEXT) | instid1(VALU_DEP_4)
	v_add_f64_e32 v[6:7], v[8:9], v[6:7]
	v_add_f64_e32 v[8:9], v[14:15], v[16:17]
	s_delay_alu instid0(VALU_DEP_2) | instskip(NEXT) | instid1(VALU_DEP_2)
	v_add_f64_e32 v[2:3], v[6:7], v[2:3]
	v_add_f64_e32 v[4:5], v[8:9], v[4:5]
	s_delay_alu instid0(VALU_DEP_2) | instskip(NEXT) | instid1(VALU_DEP_2)
	v_add_f64_e64 v[2:3], v[42:43], -v[2:3]
	v_add_f64_e64 v[4:5], v[44:45], -v[4:5]
	scratch_store_b128 off, v[2:5], off offset:32
	v_cmpx_ne_u32_e32 0, v0
	s_cbranch_execz .LBB54_343
; %bb.342:
	scratch_load_b128 v[5:8], off, off offset:16
	v_dual_mov_b32 v2, v1 :: v_dual_mov_b32 v3, v1
	v_mov_b32_e32 v4, v1
	scratch_store_b128 off, v[1:4], off offset:16
	s_wait_loadcnt 0x0
	ds_store_b128 v156, v[5:8]
.LBB54_343:
	s_wait_alu 0xfffe
	s_or_b32 exec_lo, exec_lo, s0
	s_wait_storecnt_dscnt 0x0
	s_barrier_signal -1
	s_barrier_wait -1
	global_inv scope:SCOPE_SE
	s_clause 0x8
	scratch_load_b128 v[2:5], off, off offset:32
	scratch_load_b128 v[6:9], off, off offset:48
	;; [unrolled: 1-line block ×9, first 2 shown]
	ds_load_b128 v[42:45], v1 offset:896
	ds_load_b128 v[38:41], v1 offset:912
	s_clause 0x1
	scratch_load_b128 v[156:159], off, off offset:16
	scratch_load_b128 v[160:163], off, off offset:176
	s_and_b32 vcc_lo, exec_lo, s18
	s_wait_loadcnt_dscnt 0xa01
	v_mul_f64_e32 v[164:165], v[44:45], v[4:5]
	v_mul_f64_e32 v[4:5], v[42:43], v[4:5]
	s_wait_loadcnt_dscnt 0x900
	v_mul_f64_e32 v[168:169], v[38:39], v[8:9]
	v_mul_f64_e32 v[8:9], v[40:41], v[8:9]
	s_delay_alu instid0(VALU_DEP_4) | instskip(NEXT) | instid1(VALU_DEP_4)
	v_fma_f64 v[170:171], v[42:43], v[2:3], -v[164:165]
	v_fma_f64 v[172:173], v[44:45], v[2:3], v[4:5]
	ds_load_b128 v[2:5], v1 offset:928
	ds_load_b128 v[164:167], v1 offset:944
	scratch_load_b128 v[42:45], off, off offset:192
	v_fma_f64 v[40:41], v[40:41], v[6:7], v[168:169]
	v_fma_f64 v[38:39], v[38:39], v[6:7], -v[8:9]
	scratch_load_b128 v[6:9], off, off offset:208
	s_wait_loadcnt_dscnt 0xa01
	v_mul_f64_e32 v[174:175], v[2:3], v[12:13]
	v_mul_f64_e32 v[12:13], v[4:5], v[12:13]
	v_add_f64_e32 v[168:169], 0, v[170:171]
	v_add_f64_e32 v[170:171], 0, v[172:173]
	s_wait_loadcnt_dscnt 0x900
	v_mul_f64_e32 v[172:173], v[164:165], v[16:17]
	v_mul_f64_e32 v[16:17], v[166:167], v[16:17]
	v_fma_f64 v[174:175], v[4:5], v[10:11], v[174:175]
	v_fma_f64 v[176:177], v[2:3], v[10:11], -v[12:13]
	ds_load_b128 v[2:5], v1 offset:960
	scratch_load_b128 v[10:13], off, off offset:224
	v_add_f64_e32 v[168:169], v[168:169], v[38:39]
	v_add_f64_e32 v[170:171], v[170:171], v[40:41]
	ds_load_b128 v[38:41], v1 offset:976
	v_fma_f64 v[166:167], v[166:167], v[14:15], v[172:173]
	v_fma_f64 v[164:165], v[164:165], v[14:15], -v[16:17]
	scratch_load_b128 v[14:17], off, off offset:240
	s_wait_loadcnt_dscnt 0xa01
	v_mul_f64_e32 v[178:179], v[2:3], v[20:21]
	v_mul_f64_e32 v[20:21], v[4:5], v[20:21]
	s_wait_loadcnt_dscnt 0x900
	v_mul_f64_e32 v[172:173], v[38:39], v[24:25]
	v_mul_f64_e32 v[24:25], v[40:41], v[24:25]
	v_add_f64_e32 v[168:169], v[168:169], v[176:177]
	v_add_f64_e32 v[170:171], v[170:171], v[174:175]
	v_fma_f64 v[174:175], v[4:5], v[18:19], v[178:179]
	v_fma_f64 v[176:177], v[2:3], v[18:19], -v[20:21]
	ds_load_b128 v[2:5], v1 offset:992
	scratch_load_b128 v[18:21], off, off offset:256
	v_fma_f64 v[40:41], v[40:41], v[22:23], v[172:173]
	v_fma_f64 v[38:39], v[38:39], v[22:23], -v[24:25]
	scratch_load_b128 v[22:25], off, off offset:272
	v_add_f64_e32 v[168:169], v[168:169], v[164:165]
	v_add_f64_e32 v[170:171], v[170:171], v[166:167]
	ds_load_b128 v[164:167], v1 offset:1008
	s_wait_loadcnt_dscnt 0xa01
	v_mul_f64_e32 v[178:179], v[2:3], v[28:29]
	v_mul_f64_e32 v[28:29], v[4:5], v[28:29]
	s_wait_loadcnt_dscnt 0x900
	v_mul_f64_e32 v[172:173], v[164:165], v[32:33]
	v_mul_f64_e32 v[32:33], v[166:167], v[32:33]
	v_add_f64_e32 v[168:169], v[168:169], v[176:177]
	v_add_f64_e32 v[170:171], v[170:171], v[174:175]
	v_fma_f64 v[174:175], v[4:5], v[26:27], v[178:179]
	v_fma_f64 v[176:177], v[2:3], v[26:27], -v[28:29]
	ds_load_b128 v[2:5], v1 offset:1024
	scratch_load_b128 v[26:29], off, off offset:288
	v_fma_f64 v[166:167], v[166:167], v[30:31], v[172:173]
	v_fma_f64 v[164:165], v[164:165], v[30:31], -v[32:33]
	scratch_load_b128 v[30:33], off, off offset:304
	v_add_f64_e32 v[168:169], v[168:169], v[38:39]
	v_add_f64_e32 v[170:171], v[170:171], v[40:41]
	ds_load_b128 v[38:41], v1 offset:1040
	s_wait_loadcnt_dscnt 0xa01
	v_mul_f64_e32 v[178:179], v[2:3], v[36:37]
	v_mul_f64_e32 v[36:37], v[4:5], v[36:37]
	s_wait_loadcnt_dscnt 0x800
	v_mul_f64_e32 v[172:173], v[38:39], v[162:163]
	v_add_f64_e32 v[168:169], v[168:169], v[176:177]
	v_add_f64_e32 v[170:171], v[170:171], v[174:175]
	v_mul_f64_e32 v[174:175], v[40:41], v[162:163]
	v_fma_f64 v[176:177], v[4:5], v[34:35], v[178:179]
	v_fma_f64 v[178:179], v[2:3], v[34:35], -v[36:37]
	ds_load_b128 v[2:5], v1 offset:1056
	scratch_load_b128 v[34:37], off, off offset:320
	v_fma_f64 v[172:173], v[40:41], v[160:161], v[172:173]
	v_add_f64_e32 v[168:169], v[168:169], v[164:165]
	v_add_f64_e32 v[166:167], v[170:171], v[166:167]
	ds_load_b128 v[162:165], v1 offset:1072
	v_fma_f64 v[160:161], v[38:39], v[160:161], -v[174:175]
	scratch_load_b128 v[38:41], off, off offset:336
	s_wait_loadcnt_dscnt 0x901
	v_mul_f64_e32 v[170:171], v[2:3], v[44:45]
	v_mul_f64_e32 v[44:45], v[4:5], v[44:45]
	s_wait_loadcnt_dscnt 0x800
	v_mul_f64_e32 v[174:175], v[162:163], v[8:9]
	v_mul_f64_e32 v[8:9], v[164:165], v[8:9]
	v_add_f64_e32 v[168:169], v[168:169], v[178:179]
	v_add_f64_e32 v[166:167], v[166:167], v[176:177]
	v_fma_f64 v[170:171], v[4:5], v[42:43], v[170:171]
	v_fma_f64 v[176:177], v[2:3], v[42:43], -v[44:45]
	ds_load_b128 v[2:5], v1 offset:1088
	scratch_load_b128 v[42:45], off, off offset:352
	v_fma_f64 v[164:165], v[164:165], v[6:7], v[174:175]
	v_fma_f64 v[162:163], v[162:163], v[6:7], -v[8:9]
	scratch_load_b128 v[6:9], off, off offset:368
	v_add_f64_e32 v[160:161], v[168:169], v[160:161]
	v_add_f64_e32 v[172:173], v[166:167], v[172:173]
	ds_load_b128 v[166:169], v1 offset:1104
	s_wait_loadcnt_dscnt 0x901
	v_mul_f64_e32 v[178:179], v[2:3], v[12:13]
	v_mul_f64_e32 v[12:13], v[4:5], v[12:13]
	v_add_f64_e32 v[160:161], v[160:161], v[176:177]
	v_add_f64_e32 v[170:171], v[172:173], v[170:171]
	s_wait_loadcnt_dscnt 0x800
	v_mul_f64_e32 v[172:173], v[166:167], v[16:17]
	v_mul_f64_e32 v[16:17], v[168:169], v[16:17]
	v_fma_f64 v[174:175], v[4:5], v[10:11], v[178:179]
	v_fma_f64 v[176:177], v[2:3], v[10:11], -v[12:13]
	ds_load_b128 v[2:5], v1 offset:1120
	scratch_load_b128 v[10:13], off, off offset:384
	v_add_f64_e32 v[178:179], v[160:161], v[162:163]
	v_add_f64_e32 v[164:165], v[170:171], v[164:165]
	ds_load_b128 v[160:163], v1 offset:1136
	s_wait_loadcnt_dscnt 0x801
	v_mul_f64_e32 v[170:171], v[2:3], v[20:21]
	v_mul_f64_e32 v[20:21], v[4:5], v[20:21]
	v_fma_f64 v[168:169], v[168:169], v[14:15], v[172:173]
	v_fma_f64 v[166:167], v[166:167], v[14:15], -v[16:17]
	scratch_load_b128 v[14:17], off, off offset:400
	v_add_f64_e32 v[172:173], v[178:179], v[176:177]
	v_add_f64_e32 v[164:165], v[164:165], v[174:175]
	s_wait_loadcnt_dscnt 0x800
	v_mul_f64_e32 v[174:175], v[160:161], v[24:25]
	v_mul_f64_e32 v[24:25], v[162:163], v[24:25]
	v_fma_f64 v[170:171], v[4:5], v[18:19], v[170:171]
	v_fma_f64 v[176:177], v[2:3], v[18:19], -v[20:21]
	ds_load_b128 v[2:5], v1 offset:1152
	scratch_load_b128 v[18:21], off, off offset:416
	v_add_f64_e32 v[172:173], v[172:173], v[166:167]
	v_add_f64_e32 v[168:169], v[164:165], v[168:169]
	ds_load_b128 v[164:167], v1 offset:1168
	s_wait_loadcnt_dscnt 0x801
	v_mul_f64_e32 v[178:179], v[2:3], v[28:29]
	v_mul_f64_e32 v[28:29], v[4:5], v[28:29]
	v_fma_f64 v[162:163], v[162:163], v[22:23], v[174:175]
	v_fma_f64 v[160:161], v[160:161], v[22:23], -v[24:25]
	scratch_load_b128 v[22:25], off, off offset:432
	;; [unrolled: 18-line block ×4, first 2 shown]
	s_wait_loadcnt_dscnt 0x800
	v_mul_f64_e32 v[172:173], v[164:165], v[8:9]
	v_mul_f64_e32 v[8:9], v[166:167], v[8:9]
	v_add_f64_e32 v[170:171], v[170:171], v[176:177]
	v_add_f64_e32 v[168:169], v[168:169], v[174:175]
	v_fma_f64 v[174:175], v[4:5], v[42:43], v[178:179]
	v_fma_f64 v[176:177], v[2:3], v[42:43], -v[44:45]
	ds_load_b128 v[2:5], v1 offset:1248
	scratch_load_b128 v[42:45], off, off offset:512
	v_fma_f64 v[166:167], v[166:167], v[6:7], v[172:173]
	v_fma_f64 v[164:165], v[164:165], v[6:7], -v[8:9]
	scratch_load_b128 v[6:9], off, off offset:528
	v_add_f64_e32 v[170:171], v[170:171], v[160:161]
	v_add_f64_e32 v[168:169], v[168:169], v[162:163]
	ds_load_b128 v[160:163], v1 offset:1264
	s_wait_loadcnt_dscnt 0x901
	v_mul_f64_e32 v[178:179], v[2:3], v[12:13]
	v_mul_f64_e32 v[12:13], v[4:5], v[12:13]
	s_wait_loadcnt_dscnt 0x800
	v_mul_f64_e32 v[172:173], v[160:161], v[16:17]
	v_mul_f64_e32 v[16:17], v[162:163], v[16:17]
	v_add_f64_e32 v[170:171], v[170:171], v[176:177]
	v_add_f64_e32 v[168:169], v[168:169], v[174:175]
	v_fma_f64 v[174:175], v[4:5], v[10:11], v[178:179]
	v_fma_f64 v[176:177], v[2:3], v[10:11], -v[12:13]
	ds_load_b128 v[2:5], v1 offset:1280
	scratch_load_b128 v[10:13], off, off offset:544
	v_fma_f64 v[162:163], v[162:163], v[14:15], v[172:173]
	v_fma_f64 v[160:161], v[160:161], v[14:15], -v[16:17]
	scratch_load_b128 v[14:17], off, off offset:560
	v_add_f64_e32 v[170:171], v[170:171], v[164:165]
	v_add_f64_e32 v[168:169], v[168:169], v[166:167]
	ds_load_b128 v[164:167], v1 offset:1296
	s_wait_loadcnt_dscnt 0x901
	v_mul_f64_e32 v[178:179], v[2:3], v[20:21]
	v_mul_f64_e32 v[20:21], v[4:5], v[20:21]
	;; [unrolled: 18-line block ×12, first 2 shown]
	s_wait_loadcnt_dscnt 0x800
	v_mul_f64_e32 v[172:173], v[164:165], v[24:25]
	v_mul_f64_e32 v[24:25], v[166:167], v[24:25]
	v_add_f64_e32 v[170:171], v[170:171], v[176:177]
	v_add_f64_e32 v[168:169], v[168:169], v[174:175]
	v_fma_f64 v[174:175], v[4:5], v[18:19], v[178:179]
	v_fma_f64 v[176:177], v[2:3], v[18:19], -v[20:21]
	ds_load_b128 v[2:5], v1 offset:1632
	ds_load_b128 v[18:21], v1 offset:1648
	v_fma_f64 v[166:167], v[166:167], v[22:23], v[172:173]
	v_fma_f64 v[22:23], v[164:165], v[22:23], -v[24:25]
	v_add_f64_e32 v[160:161], v[170:171], v[160:161]
	v_add_f64_e32 v[162:163], v[168:169], v[162:163]
	s_wait_loadcnt_dscnt 0x701
	v_mul_f64_e32 v[168:169], v[2:3], v[28:29]
	v_mul_f64_e32 v[28:29], v[4:5], v[28:29]
	s_delay_alu instid0(VALU_DEP_4) | instskip(NEXT) | instid1(VALU_DEP_4)
	v_add_f64_e32 v[24:25], v[160:161], v[176:177]
	v_add_f64_e32 v[160:161], v[162:163], v[174:175]
	s_wait_loadcnt_dscnt 0x600
	v_mul_f64_e32 v[162:163], v[18:19], v[32:33]
	v_mul_f64_e32 v[32:33], v[20:21], v[32:33]
	v_fma_f64 v[164:165], v[4:5], v[26:27], v[168:169]
	v_fma_f64 v[26:27], v[2:3], v[26:27], -v[28:29]
	v_add_f64_e32 v[28:29], v[24:25], v[22:23]
	v_add_f64_e32 v[160:161], v[160:161], v[166:167]
	ds_load_b128 v[2:5], v1 offset:1664
	ds_load_b128 v[22:25], v1 offset:1680
	v_fma_f64 v[20:21], v[20:21], v[30:31], v[162:163]
	v_fma_f64 v[18:19], v[18:19], v[30:31], -v[32:33]
	s_wait_loadcnt_dscnt 0x501
	v_mul_f64_e32 v[166:167], v[2:3], v[36:37]
	v_mul_f64_e32 v[36:37], v[4:5], v[36:37]
	s_wait_loadcnt_dscnt 0x400
	v_mul_f64_e32 v[30:31], v[22:23], v[40:41]
	v_mul_f64_e32 v[32:33], v[24:25], v[40:41]
	v_add_f64_e32 v[26:27], v[28:29], v[26:27]
	v_add_f64_e32 v[28:29], v[160:161], v[164:165]
	v_fma_f64 v[40:41], v[4:5], v[34:35], v[166:167]
	v_fma_f64 v[34:35], v[2:3], v[34:35], -v[36:37]
	v_fma_f64 v[24:25], v[24:25], v[38:39], v[30:31]
	v_fma_f64 v[22:23], v[22:23], v[38:39], -v[32:33]
	v_add_f64_e32 v[26:27], v[26:27], v[18:19]
	v_add_f64_e32 v[28:29], v[28:29], v[20:21]
	ds_load_b128 v[2:5], v1 offset:1696
	ds_load_b128 v[18:21], v1 offset:1712
	s_wait_loadcnt_dscnt 0x301
	v_mul_f64_e32 v[36:37], v[2:3], v[44:45]
	v_mul_f64_e32 v[44:45], v[4:5], v[44:45]
	s_wait_loadcnt_dscnt 0x200
	v_mul_f64_e32 v[30:31], v[18:19], v[8:9]
	v_mul_f64_e32 v[8:9], v[20:21], v[8:9]
	v_add_f64_e32 v[26:27], v[26:27], v[34:35]
	v_add_f64_e32 v[28:29], v[28:29], v[40:41]
	v_fma_f64 v[32:33], v[4:5], v[42:43], v[36:37]
	v_fma_f64 v[34:35], v[2:3], v[42:43], -v[44:45]
	v_fma_f64 v[20:21], v[20:21], v[6:7], v[30:31]
	v_fma_f64 v[6:7], v[18:19], v[6:7], -v[8:9]
	v_add_f64_e32 v[26:27], v[26:27], v[22:23]
	v_add_f64_e32 v[28:29], v[28:29], v[24:25]
	ds_load_b128 v[2:5], v1 offset:1728
	ds_load_b128 v[22:25], v1 offset:1744
	s_wait_loadcnt_dscnt 0x101
	v_mul_f64_e32 v[0:1], v[2:3], v[12:13]
	v_mul_f64_e32 v[12:13], v[4:5], v[12:13]
	v_add_f64_e32 v[8:9], v[26:27], v[34:35]
	v_add_f64_e32 v[18:19], v[28:29], v[32:33]
	s_wait_loadcnt_dscnt 0x0
	v_mul_f64_e32 v[26:27], v[22:23], v[16:17]
	v_mul_f64_e32 v[16:17], v[24:25], v[16:17]
	v_fma_f64 v[0:1], v[4:5], v[10:11], v[0:1]
	v_fma_f64 v[2:3], v[2:3], v[10:11], -v[12:13]
	v_add_f64_e32 v[4:5], v[8:9], v[6:7]
	v_add_f64_e32 v[6:7], v[18:19], v[20:21]
	v_fma_f64 v[8:9], v[24:25], v[14:15], v[26:27]
	v_fma_f64 v[10:11], v[22:23], v[14:15], -v[16:17]
	s_delay_alu instid0(VALU_DEP_4) | instskip(NEXT) | instid1(VALU_DEP_4)
	v_add_f64_e32 v[2:3], v[4:5], v[2:3]
	v_add_f64_e32 v[0:1], v[6:7], v[0:1]
	s_delay_alu instid0(VALU_DEP_2) | instskip(NEXT) | instid1(VALU_DEP_2)
	v_add_f64_e32 v[2:3], v[2:3], v[10:11]
	v_add_f64_e32 v[4:5], v[0:1], v[8:9]
	s_delay_alu instid0(VALU_DEP_2) | instskip(NEXT) | instid1(VALU_DEP_2)
	v_add_f64_e64 v[0:1], v[156:157], -v[2:3]
	v_add_f64_e64 v[2:3], v[158:159], -v[4:5]
	scratch_store_b128 off, v[0:3], off offset:16
	s_wait_alu 0xfffe
	s_cbranch_vccz .LBB54_452
; %bb.344:
	v_mov_b32_e32 v0, 0
	global_load_b32 v1, v0, s[2:3] offset:212
	s_wait_loadcnt 0x0
	v_cmp_ne_u32_e32 vcc_lo, 54, v1
	s_cbranch_vccz .LBB54_346
; %bb.345:
	v_lshlrev_b32_e32 v1, 4, v1
	s_delay_alu instid0(VALU_DEP_1)
	v_add_nc_u32_e32 v9, 16, v1
	s_clause 0x1
	scratch_load_b128 v[1:4], v9, off offset:-16
	scratch_load_b128 v[5:8], off, s19
	s_wait_loadcnt 0x1
	scratch_store_b128 off, v[1:4], s19
	s_wait_loadcnt 0x0
	scratch_store_b128 v9, v[5:8], off offset:-16
.LBB54_346:
	global_load_b32 v0, v0, s[2:3] offset:208
	s_wait_loadcnt 0x0
	v_cmp_eq_u32_e32 vcc_lo, 53, v0
	s_cbranch_vccnz .LBB54_348
; %bb.347:
	v_lshlrev_b32_e32 v0, 4, v0
	s_delay_alu instid0(VALU_DEP_1)
	v_add_nc_u32_e32 v8, 16, v0
	s_clause 0x1
	scratch_load_b128 v[0:3], v8, off offset:-16
	scratch_load_b128 v[4:7], off, s22
	s_wait_loadcnt 0x1
	scratch_store_b128 off, v[0:3], s22
	s_wait_loadcnt 0x0
	scratch_store_b128 v8, v[4:7], off offset:-16
.LBB54_348:
	v_mov_b32_e32 v0, 0
	global_load_b32 v1, v0, s[2:3] offset:204
	s_wait_loadcnt 0x0
	v_cmp_eq_u32_e32 vcc_lo, 52, v1
	s_cbranch_vccnz .LBB54_350
; %bb.349:
	v_lshlrev_b32_e32 v1, 4, v1
	s_delay_alu instid0(VALU_DEP_1)
	v_add_nc_u32_e32 v9, 16, v1
	s_clause 0x1
	scratch_load_b128 v[1:4], v9, off offset:-16
	scratch_load_b128 v[5:8], off, s4
	s_wait_loadcnt 0x1
	scratch_store_b128 off, v[1:4], s4
	s_wait_loadcnt 0x0
	scratch_store_b128 v9, v[5:8], off offset:-16
.LBB54_350:
	global_load_b32 v0, v0, s[2:3] offset:200
	s_wait_loadcnt 0x0
	v_cmp_eq_u32_e32 vcc_lo, 51, v0
	s_cbranch_vccnz .LBB54_352
; %bb.351:
	v_lshlrev_b32_e32 v0, 4, v0
	s_delay_alu instid0(VALU_DEP_1)
	v_add_nc_u32_e32 v8, 16, v0
	s_clause 0x1
	scratch_load_b128 v[0:3], v8, off offset:-16
	scratch_load_b128 v[4:7], off, s5
	s_wait_loadcnt 0x1
	scratch_store_b128 off, v[0:3], s5
	s_wait_loadcnt 0x0
	scratch_store_b128 v8, v[4:7], off offset:-16
.LBB54_352:
	v_mov_b32_e32 v0, 0
	global_load_b32 v1, v0, s[2:3] offset:196
	s_wait_loadcnt 0x0
	v_cmp_eq_u32_e32 vcc_lo, 50, v1
	s_cbranch_vccnz .LBB54_354
; %bb.353:
	v_lshlrev_b32_e32 v1, 4, v1
	s_delay_alu instid0(VALU_DEP_1)
	v_add_nc_u32_e32 v9, 16, v1
	s_clause 0x1
	scratch_load_b128 v[1:4], v9, off offset:-16
	scratch_load_b128 v[5:8], off, s8
	s_wait_loadcnt 0x1
	scratch_store_b128 off, v[1:4], s8
	s_wait_loadcnt 0x0
	scratch_store_b128 v9, v[5:8], off offset:-16
.LBB54_354:
	;; [unrolled: 33-line block ×26, first 2 shown]
	global_load_b32 v0, v0, s[2:3]
	s_wait_loadcnt 0x0
	v_cmp_eq_u32_e32 vcc_lo, 1, v0
	s_cbranch_vccnz .LBB54_452
; %bb.451:
	v_lshlrev_b32_e32 v0, 4, v0
	s_delay_alu instid0(VALU_DEP_1)
	v_add_nc_u32_e32 v8, 16, v0
	scratch_load_b128 v[0:3], v8, off offset:-16
	scratch_load_b128 v[4:7], off, off offset:16
	s_wait_loadcnt 0x1
	scratch_store_b128 off, v[0:3], off offset:16
	s_wait_loadcnt 0x0
	scratch_store_b128 v8, v[4:7], off offset:-16
.LBB54_452:
	scratch_load_b128 v[0:3], off, off offset:16
	s_clause 0x11
	scratch_load_b128 v[4:7], off, s28
	scratch_load_b128 v[8:11], off, s27
	;; [unrolled: 1-line block ×18, first 2 shown]
	s_wait_loadcnt 0x12
	global_store_b128 v[46:47], v[0:3], off
	s_clause 0x1
	scratch_load_b128 v[0:3], off, s49
	scratch_load_b128 v[44:47], off, s48
	s_wait_loadcnt 0x13
	global_store_b128 v[48:49], v[4:7], off
	s_wait_loadcnt 0x12
	global_store_b128 v[50:51], v[8:11], off
	s_clause 0x2
	scratch_load_b128 v[4:7], off, s47
	scratch_load_b128 v[8:11], off, s46
	scratch_load_b128 v[48:51], off, s45
	s_wait_loadcnt 0x14
	global_store_b128 v[52:53], v[12:15], off
	s_wait_loadcnt 0x13
	global_store_b128 v[54:55], v[16:19], off
	s_clause 0x2
	scratch_load_b128 v[12:15], off, s44
	;; [unrolled: 8-line block ×3, first 2 shown]
	scratch_load_b128 v[24:27], off, s40
	s_wait_loadcnt 0x15
	global_store_b128 v[60:61], v[28:31], off
	s_clause 0x1
	scratch_load_b128 v[28:31], off, s39
	scratch_load_b128 v[56:59], off, s38
	s_wait_loadcnt 0x16
	global_store_b128 v[62:63], v[32:35], off
	s_clause 0x1
	scratch_load_b128 v[32:35], off, s37
	scratch_load_b128 v[60:63], off, s36
	s_wait_loadcnt 0x17
	global_store_b128 v[64:65], v[36:39], off
	s_wait_loadcnt 0x16
	global_store_b128 v[66:67], v[40:43], off
	s_clause 0x1
	scratch_load_b128 v[36:39], off, s35
	scratch_load_b128 v[40:43], off, s34
	s_wait_loadcnt 0x17
	global_store_b128 v[68:69], v[156:159], off
	s_clause 0x1
	scratch_load_b128 v[64:67], off, s33
	scratch_load_b128 v[156:159], off, s31
	s_wait_loadcnt 0x18
	global_store_b128 v[72:73], v[160:163], off
	s_clause 0x1
	scratch_load_b128 v[160:163], off, s30
	scratch_load_b128 v[188:191], off, s29
	s_wait_loadcnt 0x19
	global_store_b128 v[70:71], v[164:167], off
	s_wait_loadcnt 0x18
	global_store_b128 v[78:79], v[168:171], off
	s_clause 0x1
	scratch_load_b128 v[68:71], off, s25
	;; [unrolled: 17-line block ×4, first 2 shown]
	scratch_load_b128 v[8:11], off, s22
	s_wait_loadcnt 0x1d
	global_store_b128 v[92:93], v[48:51], off
	s_clause 0x1
	scratch_load_b128 v[48:51], off, s19
	scratch_load_b128 v[88:91], off, s15
	s_wait_loadcnt 0x1e
	global_store_b128 v[94:95], v[12:15], off
	s_wait_loadcnt 0x1d
	global_store_b128 v[96:97], v[16:19], off
	;; [unrolled: 2-line block ×31, first 2 shown]
	s_nop 0
	s_sendmsg sendmsg(MSG_DEALLOC_VGPRS)
	s_endpgm
	.section	.rodata,"a",@progbits
	.p2align	6, 0x0
	.amdhsa_kernel _ZN9rocsolver6v33100L18getri_kernel_smallILi55E19rocblas_complex_numIdEPS3_EEvT1_iilPiilS6_bb
		.amdhsa_group_segment_fixed_size 1768
		.amdhsa_private_segment_fixed_size 912
		.amdhsa_kernarg_size 60
		.amdhsa_user_sgpr_count 2
		.amdhsa_user_sgpr_dispatch_ptr 0
		.amdhsa_user_sgpr_queue_ptr 0
		.amdhsa_user_sgpr_kernarg_segment_ptr 1
		.amdhsa_user_sgpr_dispatch_id 0
		.amdhsa_user_sgpr_private_segment_size 0
		.amdhsa_wavefront_size32 1
		.amdhsa_uses_dynamic_stack 0
		.amdhsa_enable_private_segment 1
		.amdhsa_system_sgpr_workgroup_id_x 1
		.amdhsa_system_sgpr_workgroup_id_y 0
		.amdhsa_system_sgpr_workgroup_id_z 0
		.amdhsa_system_sgpr_workgroup_info 0
		.amdhsa_system_vgpr_workitem_id 0
		.amdhsa_next_free_vgpr 200
		.amdhsa_next_free_sgpr 89
		.amdhsa_reserve_vcc 1
		.amdhsa_float_round_mode_32 0
		.amdhsa_float_round_mode_16_64 0
		.amdhsa_float_denorm_mode_32 3
		.amdhsa_float_denorm_mode_16_64 3
		.amdhsa_fp16_overflow 0
		.amdhsa_workgroup_processor_mode 1
		.amdhsa_memory_ordered 1
		.amdhsa_forward_progress 1
		.amdhsa_inst_pref_size 255
		.amdhsa_round_robin_scheduling 0
		.amdhsa_exception_fp_ieee_invalid_op 0
		.amdhsa_exception_fp_denorm_src 0
		.amdhsa_exception_fp_ieee_div_zero 0
		.amdhsa_exception_fp_ieee_overflow 0
		.amdhsa_exception_fp_ieee_underflow 0
		.amdhsa_exception_fp_ieee_inexact 0
		.amdhsa_exception_int_div_zero 0
	.end_amdhsa_kernel
	.section	.text._ZN9rocsolver6v33100L18getri_kernel_smallILi55E19rocblas_complex_numIdEPS3_EEvT1_iilPiilS6_bb,"axG",@progbits,_ZN9rocsolver6v33100L18getri_kernel_smallILi55E19rocblas_complex_numIdEPS3_EEvT1_iilPiilS6_bb,comdat
.Lfunc_end54:
	.size	_ZN9rocsolver6v33100L18getri_kernel_smallILi55E19rocblas_complex_numIdEPS3_EEvT1_iilPiilS6_bb, .Lfunc_end54-_ZN9rocsolver6v33100L18getri_kernel_smallILi55E19rocblas_complex_numIdEPS3_EEvT1_iilPiilS6_bb
                                        ; -- End function
	.set _ZN9rocsolver6v33100L18getri_kernel_smallILi55E19rocblas_complex_numIdEPS3_EEvT1_iilPiilS6_bb.num_vgpr, 200
	.set _ZN9rocsolver6v33100L18getri_kernel_smallILi55E19rocblas_complex_numIdEPS3_EEvT1_iilPiilS6_bb.num_agpr, 0
	.set _ZN9rocsolver6v33100L18getri_kernel_smallILi55E19rocblas_complex_numIdEPS3_EEvT1_iilPiilS6_bb.numbered_sgpr, 89
	.set _ZN9rocsolver6v33100L18getri_kernel_smallILi55E19rocblas_complex_numIdEPS3_EEvT1_iilPiilS6_bb.num_named_barrier, 0
	.set _ZN9rocsolver6v33100L18getri_kernel_smallILi55E19rocblas_complex_numIdEPS3_EEvT1_iilPiilS6_bb.private_seg_size, 912
	.set _ZN9rocsolver6v33100L18getri_kernel_smallILi55E19rocblas_complex_numIdEPS3_EEvT1_iilPiilS6_bb.uses_vcc, 1
	.set _ZN9rocsolver6v33100L18getri_kernel_smallILi55E19rocblas_complex_numIdEPS3_EEvT1_iilPiilS6_bb.uses_flat_scratch, 1
	.set _ZN9rocsolver6v33100L18getri_kernel_smallILi55E19rocblas_complex_numIdEPS3_EEvT1_iilPiilS6_bb.has_dyn_sized_stack, 0
	.set _ZN9rocsolver6v33100L18getri_kernel_smallILi55E19rocblas_complex_numIdEPS3_EEvT1_iilPiilS6_bb.has_recursion, 0
	.set _ZN9rocsolver6v33100L18getri_kernel_smallILi55E19rocblas_complex_numIdEPS3_EEvT1_iilPiilS6_bb.has_indirect_call, 0
	.section	.AMDGPU.csdata,"",@progbits
; Kernel info:
; codeLenInByte = 120060
; TotalNumSgprs: 91
; NumVgprs: 200
; ScratchSize: 912
; MemoryBound: 0
; FloatMode: 240
; IeeeMode: 1
; LDSByteSize: 1768 bytes/workgroup (compile time only)
; SGPRBlocks: 0
; VGPRBlocks: 24
; NumSGPRsForWavesPerEU: 91
; NumVGPRsForWavesPerEU: 200
; Occupancy: 7
; WaveLimiterHint : 1
; COMPUTE_PGM_RSRC2:SCRATCH_EN: 1
; COMPUTE_PGM_RSRC2:USER_SGPR: 2
; COMPUTE_PGM_RSRC2:TRAP_HANDLER: 0
; COMPUTE_PGM_RSRC2:TGID_X_EN: 1
; COMPUTE_PGM_RSRC2:TGID_Y_EN: 0
; COMPUTE_PGM_RSRC2:TGID_Z_EN: 0
; COMPUTE_PGM_RSRC2:TIDIG_COMP_CNT: 0
	.section	.text._ZN9rocsolver6v33100L18getri_kernel_smallILi56E19rocblas_complex_numIdEPS3_EEvT1_iilPiilS6_bb,"axG",@progbits,_ZN9rocsolver6v33100L18getri_kernel_smallILi56E19rocblas_complex_numIdEPS3_EEvT1_iilPiilS6_bb,comdat
	.globl	_ZN9rocsolver6v33100L18getri_kernel_smallILi56E19rocblas_complex_numIdEPS3_EEvT1_iilPiilS6_bb ; -- Begin function _ZN9rocsolver6v33100L18getri_kernel_smallILi56E19rocblas_complex_numIdEPS3_EEvT1_iilPiilS6_bb
	.p2align	8
	.type	_ZN9rocsolver6v33100L18getri_kernel_smallILi56E19rocblas_complex_numIdEPS3_EEvT1_iilPiilS6_bb,@function
_ZN9rocsolver6v33100L18getri_kernel_smallILi56E19rocblas_complex_numIdEPS3_EEvT1_iilPiilS6_bb: ; @_ZN9rocsolver6v33100L18getri_kernel_smallILi56E19rocblas_complex_numIdEPS3_EEvT1_iilPiilS6_bb
; %bb.0:
	s_mov_b32 s2, exec_lo
	v_cmpx_gt_u32_e32 56, v0
	s_cbranch_execz .LBB55_238
; %bb.1:
	s_clause 0x2
	s_load_b32 s2, s[0:1], 0x38
	s_load_b128 s[12:15], s[0:1], 0x10
	s_load_b128 s[4:7], s[0:1], 0x28
	s_mov_b32 s16, ttmp9
	s_wait_kmcnt 0x0
	s_bitcmp1_b32 s2, 8
	s_cselect_b32 s18, -1, 0
	s_bfe_u32 s2, s2, 0x10008
	s_ashr_i32 s17, ttmp9, 31
	s_cmp_eq_u32 s2, 0
                                        ; implicit-def: $sgpr2_sgpr3
	s_cbranch_scc1 .LBB55_3
; %bb.2:
	s_load_b32 s2, s[0:1], 0x20
	s_mul_u64 s[4:5], s[4:5], s[16:17]
	s_delay_alu instid0(SALU_CYCLE_1) | instskip(NEXT) | instid1(SALU_CYCLE_1)
	s_lshl_b64 s[4:5], s[4:5], 2
	s_add_nc_u64 s[4:5], s[14:15], s[4:5]
	s_wait_kmcnt 0x0
	s_ashr_i32 s3, s2, 31
	s_delay_alu instid0(SALU_CYCLE_1) | instskip(NEXT) | instid1(SALU_CYCLE_1)
	s_lshl_b64 s[2:3], s[2:3], 2
	s_add_nc_u64 s[2:3], s[4:5], s[2:3]
.LBB55_3:
	s_clause 0x1
	s_load_b128 s[8:11], s[0:1], 0x0
	s_load_b32 s65, s[0:1], 0x38
	s_mul_u64 s[0:1], s[12:13], s[16:17]
	v_lshlrev_b32_e32 v13, 4, v0
	s_lshl_b64 s[0:1], s[0:1], 4
	s_movk_i32 s12, 0xd0
	s_movk_i32 s13, 0xe0
	;; [unrolled: 1-line block ×15, first 2 shown]
	s_wait_kmcnt 0x0
	v_add3_u32 v5, s11, s11, v0
	s_ashr_i32 s5, s10, 31
	s_mov_b32 s4, s10
	s_add_nc_u64 s[0:1], s[8:9], s[0:1]
	s_lshl_b64 s[4:5], s[4:5], 4
	v_add_nc_u32_e32 v7, s11, v5
	v_ashrrev_i32_e32 v6, 31, v5
	s_add_nc_u64 s[0:1], s[0:1], s[4:5]
	s_ashr_i32 s9, s11, 31
	v_add_co_u32 v46, s4, s0, v13
	v_add_nc_u32_e32 v9, s11, v7
	s_mov_b32 s8, s11
	v_lshlrev_b64_e32 v[11:12], 4, v[5:6]
	v_add_co_ci_u32_e64 v47, null, s1, 0, s4
	s_delay_alu instid0(VALU_DEP_3) | instskip(SKIP_3) | instid1(VALU_DEP_1)
	v_add_nc_u32_e32 v16, s11, v9
	s_lshl_b64 s[8:9], s[8:9], 4
	v_ashrrev_i32_e32 v8, 31, v7
	v_add_co_u32 v48, vcc_lo, v46, s8
	v_add_co_ci_u32_e64 v49, null, s9, v47, vcc_lo
	v_add_co_u32 v50, vcc_lo, s0, v11
	v_add_nc_u32_e32 v11, s11, v16
	v_ashrrev_i32_e32 v10, 31, v9
	v_lshlrev_b64_e32 v[14:15], 4, v[7:8]
	v_ashrrev_i32_e32 v17, 31, v16
	s_wait_alu 0xfffd
	v_add_co_ci_u32_e64 v51, null, s1, v12, vcc_lo
	v_add_nc_u32_e32 v20, s11, v11
	v_lshlrev_b64_e32 v[18:19], 4, v[9:10]
	v_ashrrev_i32_e32 v12, 31, v11
	v_add_co_u32 v52, vcc_lo, s0, v14
	s_delay_alu instid0(VALU_DEP_4)
	v_add_nc_u32_e32 v24, s11, v20
	v_ashrrev_i32_e32 v21, 31, v20
	v_lshlrev_b64_e32 v[9:10], 4, v[16:17]
	s_wait_alu 0xfffd
	v_add_co_ci_u32_e64 v53, null, s1, v15, vcc_lo
	v_add_co_u32 v54, vcc_lo, s0, v18
	v_lshlrev_b64_e32 v[22:23], 4, v[11:12]
	v_ashrrev_i32_e32 v25, 31, v24
	s_wait_alu 0xfffd
	v_add_co_ci_u32_e64 v55, null, s1, v19, vcc_lo
	v_lshlrev_b64_e32 v[26:27], 4, v[20:21]
	s_clause 0x1
	global_load_b128 v[1:4], v13, s[0:1]
	global_load_b128 v[5:8], v[48:49], off
	v_add_co_u32 v56, vcc_lo, s0, v9
	global_load_b128 v[14:17], v[50:51], off
	s_wait_alu 0xfffd
	v_add_co_ci_u32_e64 v57, null, s1, v10, vcc_lo
	s_clause 0x1
	global_load_b128 v[9:12], v[52:53], off
	global_load_b128 v[18:21], v[54:55], off
	v_add_co_u32 v58, vcc_lo, s0, v22
	v_lshlrev_b64_e32 v[28:29], 4, v[24:25]
	s_wait_alu 0xfffd
	v_add_co_ci_u32_e64 v59, null, s1, v23, vcc_lo
	v_add_co_u32 v60, vcc_lo, s0, v26
	s_wait_alu 0xfffd
	v_add_co_ci_u32_e64 v61, null, s1, v27, vcc_lo
	v_add_co_u32 v62, vcc_lo, s0, v28
	v_add_nc_u32_e32 v34, s11, v24
	global_load_b128 v[22:25], v[56:57], off
	s_wait_alu 0xfffd
	v_add_co_ci_u32_e64 v63, null, s1, v29, vcc_lo
	s_clause 0x1
	global_load_b128 v[26:29], v[58:59], off
	global_load_b128 v[30:33], v[60:61], off
	v_ashrrev_i32_e32 v35, 31, v34
	v_add_nc_u32_e32 v68, s11, v34
	s_movk_i32 s4, 0x70
	s_movk_i32 s5, 0x80
	;; [unrolled: 1-line block ×3, first 2 shown]
	v_lshlrev_b64_e32 v[38:39], 4, v[34:35]
	global_load_b128 v[34:37], v[62:63], off
	v_ashrrev_i32_e32 v69, 31, v68
	s_movk_i32 s9, 0xa0
	s_movk_i32 s10, 0xb0
	;; [unrolled: 1-line block ×3, first 2 shown]
	v_add_co_u32 v66, vcc_lo, s0, v38
	v_lshlrev_b64_e32 v[40:41], 4, v[68:69]
	v_add_nc_u32_e32 v68, s11, v68
	s_wait_alu 0xfffd
	v_add_co_ci_u32_e64 v67, null, s1, v39, vcc_lo
	s_movk_i32 s34, 0x1d0
	s_movk_i32 s35, 0x1e0
	v_add_nc_u32_e32 v70, s11, v68
	v_ashrrev_i32_e32 v69, 31, v68
	v_add_co_u32 v64, vcc_lo, s0, v40
	s_wait_alu 0xfffd
	v_add_co_ci_u32_e64 v65, null, s1, v41, vcc_lo
	v_add_nc_u32_e32 v72, s11, v70
	v_ashrrev_i32_e32 v71, 31, v70
	v_lshlrev_b64_e32 v[68:69], 4, v[68:69]
	s_clause 0x1
	global_load_b128 v[38:41], v[66:67], off
	global_load_b128 v[42:45], v[64:65], off
	s_movk_i32 s38, 0x1f0
	v_add_nc_u32_e32 v74, s11, v72
	v_lshlrev_b64_e32 v[70:71], 4, v[70:71]
	v_ashrrev_i32_e32 v73, 31, v72
	v_add_co_u32 v68, vcc_lo, s0, v68
	s_delay_alu instid0(VALU_DEP_4) | instskip(SKIP_3) | instid1(VALU_DEP_3)
	v_add_nc_u32_e32 v76, s11, v74
	s_wait_alu 0xfffd
	v_add_co_ci_u32_e64 v69, null, s1, v69, vcc_lo
	v_add_co_u32 v70, vcc_lo, s0, v70
	v_add_nc_u32_e32 v78, s11, v76
	s_wait_alu 0xfffd
	v_add_co_ci_u32_e64 v71, null, s1, v71, vcc_lo
	s_clause 0x1
	global_load_b128 v[122:125], v[68:69], off
	global_load_b128 v[126:129], v[70:71], off
	v_add_nc_u32_e32 v80, s11, v78
	v_ashrrev_i32_e32 v75, 31, v74
	v_lshlrev_b64_e32 v[72:73], 4, v[72:73]
	v_ashrrev_i32_e32 v77, 31, v76
	v_ashrrev_i32_e32 v79, 31, v78
	v_add_nc_u32_e32 v82, s11, v80
	v_lshlrev_b64_e32 v[74:75], 4, v[74:75]
	v_ashrrev_i32_e32 v81, 31, v80
	v_add_co_u32 v72, vcc_lo, s0, v72
	s_delay_alu instid0(VALU_DEP_4) | instskip(SKIP_3) | instid1(VALU_DEP_3)
	v_add_nc_u32_e32 v84, s11, v82
	s_wait_alu 0xfffd
	v_add_co_ci_u32_e64 v73, null, s1, v73, vcc_lo
	v_add_co_u32 v74, vcc_lo, s0, v74
	v_add_nc_u32_e32 v86, s11, v84
	v_lshlrev_b64_e32 v[76:77], 4, v[76:77]
	s_wait_alu 0xfffd
	v_add_co_ci_u32_e64 v75, null, s1, v75, vcc_lo
	v_lshlrev_b64_e32 v[78:79], 4, v[78:79]
	v_add_nc_u32_e32 v88, s11, v86
	s_clause 0x1
	global_load_b128 v[130:133], v[72:73], off
	global_load_b128 v[134:137], v[74:75], off
	v_add_co_u32 v76, vcc_lo, s0, v76
	s_wait_alu 0xfffd
	v_add_co_ci_u32_e64 v77, null, s1, v77, vcc_lo
	v_add_nc_u32_e32 v90, s11, v88
	v_add_co_u32 v78, vcc_lo, s0, v78
	s_wait_alu 0xfffd
	v_add_co_ci_u32_e64 v79, null, s1, v79, vcc_lo
	s_delay_alu instid0(VALU_DEP_3)
	v_add_nc_u32_e32 v92, s11, v90
	s_clause 0x1
	global_load_b128 v[138:141], v[76:77], off
	global_load_b128 v[142:145], v[78:79], off
	v_ashrrev_i32_e32 v83, 31, v82
	v_lshlrev_b64_e32 v[80:81], 4, v[80:81]
	v_add_nc_u32_e32 v94, s11, v92
	v_ashrrev_i32_e32 v85, 31, v84
	v_ashrrev_i32_e32 v87, 31, v86
	v_lshlrev_b64_e32 v[82:83], 4, v[82:83]
	v_ashrrev_i32_e32 v89, 31, v88
	v_add_nc_u32_e32 v96, s11, v94
	v_add_co_u32 v80, vcc_lo, s0, v80
	v_lshlrev_b64_e32 v[84:85], 4, v[84:85]
	s_wait_alu 0xfffd
	v_add_co_ci_u32_e64 v81, null, s1, v81, vcc_lo
	v_add_nc_u32_e32 v98, s11, v96
	v_add_co_u32 v82, vcc_lo, s0, v82
	v_ashrrev_i32_e32 v91, 31, v90
	v_lshlrev_b64_e32 v[86:87], 4, v[86:87]
	s_delay_alu instid0(VALU_DEP_4)
	v_add_nc_u32_e32 v100, s11, v98
	s_wait_alu 0xfffd
	v_add_co_ci_u32_e64 v83, null, s1, v83, vcc_lo
	v_ashrrev_i32_e32 v93, 31, v92
	v_lshlrev_b64_e32 v[88:89], 4, v[88:89]
	v_add_nc_u32_e32 v102, s11, v100
	v_ashrrev_i32_e32 v95, 31, v94
	v_add_co_u32 v84, vcc_lo, s0, v84
	v_lshlrev_b64_e32 v[90:91], 4, v[90:91]
	s_delay_alu instid0(VALU_DEP_4)
	v_add_nc_u32_e32 v104, s11, v102
	s_clause 0x1
	global_load_b128 v[146:149], v[80:81], off
	global_load_b128 v[150:153], v[82:83], off
	v_ashrrev_i32_e32 v97, 31, v96
	s_wait_alu 0xfffd
	v_add_co_ci_u32_e64 v85, null, s1, v85, vcc_lo
	v_add_nc_u32_e32 v106, s11, v104
	v_add_co_u32 v86, vcc_lo, s0, v86
	v_lshlrev_b64_e32 v[92:93], 4, v[92:93]
	v_ashrrev_i32_e32 v99, 31, v98
	s_delay_alu instid0(VALU_DEP_4)
	v_add_nc_u32_e32 v108, s11, v106
	s_wait_alu 0xfffd
	v_add_co_ci_u32_e64 v87, null, s1, v87, vcc_lo
	v_add_co_u32 v88, vcc_lo, s0, v88
	v_lshlrev_b64_e32 v[94:95], 4, v[94:95]
	v_ashrrev_i32_e32 v101, 31, v100
	s_wait_alu 0xfffd
	v_add_co_ci_u32_e64 v89, null, s1, v89, vcc_lo
	v_add_co_u32 v90, vcc_lo, s0, v90
	v_lshlrev_b64_e32 v[96:97], 4, v[96:97]
	v_ashrrev_i32_e32 v103, 31, v102
	s_wait_alu 0xfffd
	v_add_co_ci_u32_e64 v91, null, s1, v91, vcc_lo
	v_add_co_u32 v92, vcc_lo, s0, v92
	v_lshlrev_b64_e32 v[98:99], 4, v[98:99]
	v_add_nc_u32_e32 v110, s11, v108
	v_ashrrev_i32_e32 v105, 31, v104
	s_wait_alu 0xfffd
	v_add_co_ci_u32_e64 v93, null, s1, v93, vcc_lo
	v_add_co_u32 v94, vcc_lo, s0, v94
	v_lshlrev_b64_e32 v[100:101], 4, v[100:101]
	v_ashrrev_i32_e32 v107, 31, v106
	s_wait_alu 0xfffd
	v_add_co_ci_u32_e64 v95, null, s1, v95, vcc_lo
	v_add_co_u32 v96, vcc_lo, s0, v96
	v_lshlrev_b64_e32 v[102:103], 4, v[102:103]
	v_ashrrev_i32_e32 v109, 31, v108
	v_add_nc_u32_e32 v112, s11, v110
	s_wait_alu 0xfffd
	v_add_co_ci_u32_e64 v97, null, s1, v97, vcc_lo
	v_add_co_u32 v98, vcc_lo, s0, v98
	v_lshlrev_b64_e32 v[104:105], 4, v[104:105]
	s_clause 0x1
	global_load_b128 v[154:157], v[84:85], off
	global_load_b128 v[158:161], v[86:87], off
	s_wait_alu 0xfffd
	v_add_co_ci_u32_e64 v99, null, s1, v99, vcc_lo
	v_add_co_u32 v100, vcc_lo, s0, v100
	v_lshlrev_b64_e32 v[106:107], 4, v[106:107]
	s_wait_alu 0xfffd
	v_add_co_ci_u32_e64 v101, null, s1, v101, vcc_lo
	v_add_co_u32 v102, vcc_lo, s0, v102
	v_lshlrev_b64_e32 v[108:109], 4, v[108:109]
	v_add_nc_u32_e32 v114, s11, v112
	v_ashrrev_i32_e32 v111, 31, v110
	s_wait_alu 0xfffd
	v_add_co_ci_u32_e64 v103, null, s1, v103, vcc_lo
	v_add_co_u32 v104, vcc_lo, s0, v104
	v_ashrrev_i32_e32 v113, 31, v112
	s_wait_alu 0xfffd
	v_add_co_ci_u32_e64 v105, null, s1, v105, vcc_lo
	v_add_co_u32 v106, vcc_lo, s0, v106
	v_ashrrev_i32_e32 v115, 31, v114
	s_wait_alu 0xfffd
	v_add_co_ci_u32_e64 v107, null, s1, v107, vcc_lo
	v_lshlrev_b64_e32 v[110:111], 4, v[110:111]
	v_add_co_u32 v108, vcc_lo, s0, v108
	s_wait_alu 0xfffd
	v_add_co_ci_u32_e64 v109, null, s1, v109, vcc_lo
	v_lshlrev_b64_e32 v[112:113], 4, v[112:113]
	s_clause 0x5
	global_load_b128 v[162:165], v[88:89], off
	global_load_b128 v[166:169], v[90:91], off
	;; [unrolled: 1-line block ×6, first 2 shown]
	v_add_nc_u32_e32 v116, s11, v114
	v_lshlrev_b64_e32 v[114:115], 4, v[114:115]
	v_add_co_u32 v110, vcc_lo, s0, v110
	s_wait_alu 0xfffd
	v_add_co_ci_u32_e64 v111, null, s1, v111, vcc_lo
	v_add_co_u32 v112, vcc_lo, s0, v112
	s_wait_alu 0xfffd
	v_add_co_ci_u32_e64 v113, null, s1, v113, vcc_lo
	v_add_co_u32 v114, vcc_lo, s0, v114
	v_ashrrev_i32_e32 v117, 31, v116
	s_wait_alu 0xfffd
	v_add_co_ci_u32_e64 v115, null, s1, v115, vcc_lo
	v_add_nc_u32_e32 v118, s11, v116
	s_movk_i32 s39, 0x200
	v_lshlrev_b64_e32 v[116:117], 4, v[116:117]
	s_movk_i32 s51, 0x210
	s_movk_i32 s66, 0x220
	v_add_nc_u32_e32 v186, s11, v118
	v_ashrrev_i32_e32 v119, 31, v118
	s_movk_i32 s67, 0x230
	v_add_co_u32 v116, vcc_lo, s0, v116
	s_wait_alu 0xfffd
	v_add_co_ci_u32_e64 v117, null, s1, v117, vcc_lo
	v_ashrrev_i32_e32 v187, 31, v186
	v_lshlrev_b64_e32 v[118:119], 4, v[118:119]
	s_movk_i32 s68, 0x240
	s_movk_i32 s69, 0x250
	;; [unrolled: 1-line block ×3, first 2 shown]
	v_lshlrev_b64_e32 v[120:121], 4, v[186:187]
	v_add_nc_u32_e32 v186, s11, v186
	v_add_co_u32 v118, vcc_lo, s0, v118
	s_wait_alu 0xfffd
	v_add_co_ci_u32_e64 v119, null, s1, v119, vcc_lo
	s_delay_alu instid0(VALU_DEP_3)
	v_ashrrev_i32_e32 v187, 31, v186
	v_add_co_u32 v120, vcc_lo, s0, v120
	s_wait_alu 0xfffd
	v_add_co_ci_u32_e64 v121, null, s1, v121, vcc_lo
	s_movk_i32 s71, 0x270
	s_movk_i32 s72, 0x280
	;; [unrolled: 1-line block ×17, first 2 shown]
	s_wait_alu 0xfffe
	s_add_co_i32 s62, s4, 16
	s_add_co_i32 s61, s5, 16
	;; [unrolled: 1-line block ×14, first 2 shown]
	s_wait_loadcnt 0x1a
	scratch_store_b128 off, v[1:4], off offset:16
	s_wait_loadcnt 0x19
	scratch_store_b128 off, v[5:8], off offset:32
	s_clause 0x1
	global_load_b128 v[1:4], v[100:101], off
	global_load_b128 v[5:8], v[102:103], off
	s_add_co_i32 s41, s24, 16
	s_add_co_i32 s42, s25, 16
	s_wait_loadcnt 0x1a
	scratch_store_b128 off, v[14:17], off offset:48
	global_load_b128 v[14:17], v[104:105], off
	s_wait_loadcnt 0x1a
	scratch_store_b128 off, v[9:12], off offset:64
	global_load_b128 v[9:12], v[106:107], off
	;; [unrolled: 3-line block ×3, first 2 shown]
	s_add_co_i32 s40, s26, 16
	s_add_co_i32 s36, s27, 16
	;; [unrolled: 1-line block ×10, first 2 shown]
	s_wait_loadcnt 0x1a
	scratch_store_b128 off, v[22:25], off offset:96
	global_load_b128 v[22:25], v[110:111], off
	s_wait_loadcnt 0x1a
	scratch_store_b128 off, v[26:29], off offset:112
	s_wait_loadcnt 0x19
	scratch_store_b128 off, v[30:33], off offset:128
	s_clause 0x1
	global_load_b128 v[26:29], v[112:113], off
	global_load_b128 v[30:33], v[114:115], off
	s_add_co_i32 s24, s66, 16
	s_add_co_i32 s21, s67, 16
	s_add_co_i32 s22, s68, 16
	s_add_co_i32 s19, s69, 16
	s_add_co_i32 s20, s70, 16
	s_wait_loadcnt 0x1a
	scratch_store_b128 off, v[34:37], off offset:144
	global_load_b128 v[34:37], v[116:117], off
	s_add_co_i32 s14, s71, 16
	s_add_co_i32 s15, s72, 16
	;; [unrolled: 1-line block ×16, first 2 shown]
	s_mov_b32 s50, 32
	s_mov_b32 s49, 48
	;; [unrolled: 1-line block ×3, first 2 shown]
	s_wait_loadcnt 0x1a
	scratch_store_b128 off, v[38:41], off offset:160
	s_wait_loadcnt 0x19
	scratch_store_b128 off, v[42:45], off offset:176
	s_clause 0x1
	global_load_b128 v[38:41], v[118:119], off
	global_load_b128 v[42:45], v[120:121], off
	s_movk_i32 s47, 0x50
	s_wait_loadcnt 0x1a
	scratch_store_b128 off, v[122:125], off offset:192
	v_add_nc_u32_e32 v122, s11, v186
	s_wait_loadcnt 0x19
	scratch_store_b128 off, v[126:129], off offset:208
	v_lshlrev_b64_e32 v[124:125], 4, v[186:187]
	v_add_nc_u32_e32 v188, s11, v122
	v_ashrrev_i32_e32 v123, 31, v122
	s_delay_alu instid0(VALU_DEP_2) | instskip(SKIP_1) | instid1(VALU_DEP_3)
	v_add_nc_u32_e32 v126, s11, v188
	v_ashrrev_i32_e32 v189, 31, v188
	v_lshlrev_b64_e32 v[186:187], 4, v[122:123]
	v_add_co_u32 v122, vcc_lo, s0, v124
	s_delay_alu instid0(VALU_DEP_4)
	v_add_nc_u32_e32 v128, s11, v126
	v_ashrrev_i32_e32 v127, 31, v126
	v_lshlrev_b64_e32 v[190:191], 4, v[188:189]
	s_wait_alu 0xfffd
	v_add_co_ci_u32_e64 v123, null, s1, v125, vcc_lo
	v_ashrrev_i32_e32 v129, 31, v128
	s_wait_loadcnt 0x18
	scratch_store_b128 off, v[130:133], off offset:224
	v_add_nc_u32_e32 v132, s11, v128
	v_lshlrev_b64_e32 v[130:131], 4, v[126:127]
	s_wait_loadcnt 0x17
	scratch_store_b128 off, v[134:137], off offset:240
	v_add_co_u32 v124, vcc_lo, s0, v186
	v_add_nc_u32_e32 v136, s11, v132
	v_lshlrev_b64_e32 v[134:135], 4, v[128:129]
	s_wait_alu 0xfffd
	v_add_co_ci_u32_e64 v125, null, s1, v187, vcc_lo
	v_add_co_u32 v126, vcc_lo, s0, v190
	global_load_b128 v[186:189], v[122:123], off
	s_wait_loadcnt 0x17
	scratch_store_b128 off, v[138:141], off offset:256
	s_wait_loadcnt 0x16
	scratch_store_b128 off, v[142:145], off offset:272
	v_ashrrev_i32_e32 v137, 31, v136
	v_add_nc_u32_e32 v138, s11, v136
	s_wait_alu 0xfffd
	v_add_co_ci_u32_e64 v127, null, s1, v191, vcc_lo
	v_add_co_u32 v128, vcc_lo, s0, v130
	s_wait_alu 0xfffd
	v_add_co_ci_u32_e64 v129, null, s1, v131, vcc_lo
	v_add_co_u32 v130, vcc_lo, s0, v134
	s_wait_alu 0xfffd
	v_add_co_ci_u32_e64 v131, null, s1, v135, vcc_lo
	v_lshlrev_b64_e32 v[134:135], 4, v[136:137]
	v_add_nc_u32_e32 v136, s11, v138
	v_ashrrev_i32_e32 v133, 31, v132
	v_ashrrev_i32_e32 v139, 31, v138
	s_clause 0x1
	global_load_b128 v[190:193], v[124:125], off
	global_load_b128 v[194:197], v[126:127], off
	v_add_nc_u32_e32 v140, s11, v136
	v_lshlrev_b64_e32 v[132:133], 4, v[132:133]
	v_ashrrev_i32_e32 v137, 31, v136
	v_lshlrev_b64_e32 v[138:139], 4, v[138:139]
	s_delay_alu instid0(VALU_DEP_4)
	v_add_nc_u32_e32 v144, s11, v140
	v_ashrrev_i32_e32 v141, 31, v140
	v_add_co_u32 v132, vcc_lo, s0, v132
	v_lshlrev_b64_e32 v[142:143], 4, v[136:137]
	s_wait_alu 0xfffd
	v_add_co_ci_u32_e64 v133, null, s1, v133, vcc_lo
	v_add_co_u32 v134, vcc_lo, s0, v134
	s_wait_loadcnt 0x17
	scratch_store_b128 off, v[146:149], off offset:288
	v_ashrrev_i32_e32 v145, 31, v144
	v_add_nc_u32_e32 v146, s11, v144
	s_wait_alu 0xfffd
	v_add_co_ci_u32_e64 v135, null, s1, v135, vcc_lo
	v_add_co_u32 v136, vcc_lo, s0, v138
	s_wait_alu 0xfffd
	v_add_co_ci_u32_e64 v137, null, s1, v139, vcc_lo
	v_add_co_u32 v138, vcc_lo, s0, v142
	s_wait_alu 0xfffd
	v_add_co_ci_u32_e64 v139, null, s1, v143, vcc_lo
	v_lshlrev_b64_e32 v[142:143], 4, v[144:145]
	v_add_nc_u32_e32 v144, s11, v146
	v_ashrrev_i32_e32 v147, 31, v146
	v_lshlrev_b64_e32 v[140:141], 4, v[140:141]
	s_wait_loadcnt 0x16
	scratch_store_b128 off, v[150:153], off offset:304
	s_wait_loadcnt 0x15
	scratch_store_b128 off, v[154:157], off offset:320
	v_add_nc_u32_e32 v148, s11, v144
	v_ashrrev_i32_e32 v145, 31, v144
	v_lshlrev_b64_e32 v[146:147], 4, v[146:147]
	v_add_co_u32 v140, vcc_lo, s0, v140
	s_delay_alu instid0(VALU_DEP_4) | instskip(NEXT) | instid1(VALU_DEP_4)
	v_add_nc_u32_e32 v152, s11, v148
	v_lshlrev_b64_e32 v[150:151], 4, v[144:145]
	s_wait_alu 0xfffd
	v_add_co_ci_u32_e64 v141, null, s1, v141, vcc_lo
	v_add_co_u32 v142, vcc_lo, s0, v142
	v_ashrrev_i32_e32 v153, 31, v152
	v_add_nc_u32_e32 v154, s11, v152
	s_wait_alu 0xfffd
	v_add_co_ci_u32_e64 v143, null, s1, v143, vcc_lo
	v_add_co_u32 v144, vcc_lo, s0, v146
	s_wait_alu 0xfffd
	v_add_co_ci_u32_e64 v145, null, s1, v147, vcc_lo
	v_add_co_u32 v146, vcc_lo, s0, v150
	s_wait_alu 0xfffd
	v_add_co_ci_u32_e64 v147, null, s1, v151, vcc_lo
	v_lshlrev_b64_e32 v[150:151], 4, v[152:153]
	v_ashrrev_i32_e32 v155, 31, v154
	v_add_nc_u32_e32 v152, s11, v154
	s_clause 0x1
	global_load_b128 v[198:201], v[128:129], off
	global_load_b128 v[202:205], v[130:131], off
	s_wait_loadcnt 0x16
	scratch_store_b128 off, v[158:161], off offset:336
	s_wait_loadcnt 0x15
	scratch_store_b128 off, v[162:165], off offset:352
	;; [unrolled: 2-line block ×3, first 2 shown]
	v_ashrrev_i32_e32 v149, 31, v148
	s_clause 0x1
	global_load_b128 v[158:161], v[132:133], off
	global_load_b128 v[162:165], v[134:135], off
	s_wait_loadcnt 0x15
	scratch_store_b128 off, v[170:173], off offset:384
	s_wait_loadcnt 0x14
	scratch_store_b128 off, v[174:177], off offset:400
	;; [unrolled: 2-line block ×3, first 2 shown]
	s_clause 0x1
	global_load_b128 v[166:169], v[136:137], off
	global_load_b128 v[170:173], v[138:139], off
	s_wait_loadcnt 0x14
	scratch_store_b128 off, v[182:185], off offset:432
	v_lshlrev_b64_e32 v[148:149], 4, v[148:149]
	v_ashrrev_i32_e32 v153, 31, v152
	s_wait_loadcnt 0x13
	scratch_store_b128 off, v[1:4], off offset:448
	s_wait_loadcnt 0x12
	scratch_store_b128 off, v[5:8], off offset:464
	s_clause 0x1
	global_load_b128 v[1:4], v[140:141], off
	global_load_b128 v[5:8], v[142:143], off
	v_add_co_u32 v148, vcc_lo, s0, v148
	s_wait_loadcnt 0x13
	scratch_store_b128 off, v[14:17], off offset:480
	s_wait_loadcnt 0x12
	scratch_store_b128 off, v[9:12], off offset:496
	;; [unrolled: 2-line block ×3, first 2 shown]
	v_lshlrev_b64_e32 v[18:19], 4, v[154:155]
	v_add_nc_u32_e32 v154, s11, v152
	v_lshlrev_b64_e32 v[156:157], 4, v[152:153]
	s_wait_alu 0xfffd
	v_add_co_ci_u32_e64 v149, null, s1, v149, vcc_lo
	s_clause 0x1
	global_load_b128 v[9:12], v[144:145], off
	global_load_b128 v[14:17], v[146:147], off
	v_ashrrev_i32_e32 v155, 31, v154
	v_add_co_u32 v150, vcc_lo, s0, v150
	s_wait_alu 0xfffd
	v_add_co_ci_u32_e64 v151, null, s1, v151, vcc_lo
	v_add_co_u32 v152, vcc_lo, s0, v18
	s_wait_loadcnt 0x12
	scratch_store_b128 off, v[22:25], off offset:528
	s_wait_loadcnt 0x11
	scratch_store_b128 off, v[26:29], off offset:544
	;; [unrolled: 2-line block ×3, first 2 shown]
	v_lshlrev_b64_e32 v[30:31], 4, v[154:155]
	s_wait_alu 0xfffd
	v_add_co_ci_u32_e64 v153, null, s1, v19, vcc_lo
	v_add_co_u32 v154, vcc_lo, s0, v156
	s_wait_alu 0xfffd
	v_add_co_ci_u32_e64 v155, null, s1, v157, vcc_lo
	v_add_co_u32 v156, vcc_lo, s0, v30
	s_wait_alu 0xfffd
	v_add_co_ci_u32_e64 v157, null, s1, v31, vcc_lo
	s_clause 0x3
	global_load_b128 v[18:21], v[148:149], off
	global_load_b128 v[22:25], v[150:151], off
	;; [unrolled: 1-line block ×4, first 2 shown]
	s_wait_loadcnt 0x13
	scratch_store_b128 off, v[34:37], off offset:576
	global_load_b128 v[34:37], v[156:157], off
	s_movk_i32 s0, 0x50
	s_movk_i32 s1, 0x60
	s_movk_i32 s11, 0xc0
	s_wait_alu 0xfffe
	s_add_co_i32 s64, s0, 16
	s_add_co_i32 s63, s1, 16
	;; [unrolled: 1-line block ×4, first 2 shown]
	s_bitcmp0_b32 s65, 0
	s_mov_b32 s1, -1
	s_wait_loadcnt 0x13
	scratch_store_b128 off, v[38:41], off offset:592
	s_wait_loadcnt 0x12
	scratch_store_b128 off, v[42:45], off offset:608
	;; [unrolled: 2-line block ×20, first 2 shown]
	s_cbranch_scc1 .LBB55_236
; %bb.4:
	v_cmp_eq_u32_e64 s0, 0, v0
	s_and_saveexec_b32 s1, s0
; %bb.5:
	v_mov_b32_e32 v1, 0
	ds_store_b32 v1, v1 offset:1792
; %bb.6:
	s_wait_alu 0xfffe
	s_or_b32 exec_lo, exec_lo, s1
	s_wait_storecnt_dscnt 0x0
	s_barrier_signal -1
	s_barrier_wait -1
	global_inv scope:SCOPE_SE
	scratch_load_b128 v[1:4], v13, off offset:16
	s_wait_loadcnt 0x0
	v_cmp_eq_f64_e32 vcc_lo, 0, v[1:2]
	v_cmp_eq_f64_e64 s1, 0, v[3:4]
	s_and_b32 s1, vcc_lo, s1
	s_wait_alu 0xfffe
	s_and_saveexec_b32 s65, s1
	s_cbranch_execz .LBB55_10
; %bb.7:
	v_mov_b32_e32 v1, 0
	s_mov_b32 s66, 0
	ds_load_b32 v2, v1 offset:1792
	s_wait_dscnt 0x0
	v_readfirstlane_b32 s1, v2
	v_add_nc_u32_e32 v2, 1, v0
	s_cmp_eq_u32 s1, 0
	s_delay_alu instid0(VALU_DEP_1) | instskip(SKIP_1) | instid1(SALU_CYCLE_1)
	v_cmp_gt_i32_e32 vcc_lo, s1, v2
	s_cselect_b32 s67, -1, 0
	s_or_b32 s67, s67, vcc_lo
	s_delay_alu instid0(SALU_CYCLE_1)
	s_and_b32 exec_lo, exec_lo, s67
	s_cbranch_execz .LBB55_10
; %bb.8:
	v_mov_b32_e32 v3, s1
.LBB55_9:                               ; =>This Inner Loop Header: Depth=1
	ds_cmpstore_rtn_b32 v3, v1, v2, v3 offset:1792
	s_wait_dscnt 0x0
	v_cmp_ne_u32_e32 vcc_lo, 0, v3
	v_cmp_le_i32_e64 s1, v3, v2
	s_and_b32 s1, vcc_lo, s1
	s_wait_alu 0xfffe
	s_and_b32 s1, exec_lo, s1
	s_wait_alu 0xfffe
	s_or_b32 s66, s1, s66
	s_delay_alu instid0(SALU_CYCLE_1)
	s_and_not1_b32 exec_lo, exec_lo, s66
	s_cbranch_execnz .LBB55_9
.LBB55_10:
	s_or_b32 exec_lo, exec_lo, s65
	v_mov_b32_e32 v1, 0
	s_barrier_signal -1
	s_barrier_wait -1
	global_inv scope:SCOPE_SE
	ds_load_b32 v2, v1 offset:1792
	s_and_saveexec_b32 s1, s0
	s_cbranch_execz .LBB55_12
; %bb.11:
	s_lshl_b64 s[66:67], s[16:17], 2
	s_delay_alu instid0(SALU_CYCLE_1)
	s_add_nc_u64 s[66:67], s[6:7], s[66:67]
	s_wait_dscnt 0x0
	global_store_b32 v1, v2, s[66:67]
.LBB55_12:
	s_wait_alu 0xfffe
	s_or_b32 exec_lo, exec_lo, s1
	s_wait_dscnt 0x0
	v_cmp_ne_u32_e32 vcc_lo, 0, v2
	s_mov_b32 s1, 0
	s_cbranch_vccnz .LBB55_236
; %bb.13:
	v_add_nc_u32_e32 v14, 16, v13
                                        ; implicit-def: $vgpr1_vgpr2
                                        ; implicit-def: $vgpr9_vgpr10
	scratch_load_b128 v[5:8], v14, off
	s_wait_loadcnt 0x0
	v_cmp_ngt_f64_e64 s1, |v[5:6]|, |v[7:8]|
	s_wait_alu 0xfffe
	s_and_saveexec_b32 s65, s1
	s_delay_alu instid0(SALU_CYCLE_1)
	s_xor_b32 s1, exec_lo, s65
	s_cbranch_execz .LBB55_15
; %bb.14:
	v_div_scale_f64 v[1:2], null, v[7:8], v[7:8], v[5:6]
	v_div_scale_f64 v[11:12], vcc_lo, v[5:6], v[7:8], v[5:6]
	s_delay_alu instid0(VALU_DEP_2) | instskip(NEXT) | instid1(TRANS32_DEP_1)
	v_rcp_f64_e32 v[3:4], v[1:2]
	v_fma_f64 v[9:10], -v[1:2], v[3:4], 1.0
	s_delay_alu instid0(VALU_DEP_1) | instskip(NEXT) | instid1(VALU_DEP_1)
	v_fma_f64 v[3:4], v[3:4], v[9:10], v[3:4]
	v_fma_f64 v[9:10], -v[1:2], v[3:4], 1.0
	s_delay_alu instid0(VALU_DEP_1) | instskip(NEXT) | instid1(VALU_DEP_1)
	v_fma_f64 v[3:4], v[3:4], v[9:10], v[3:4]
	v_mul_f64_e32 v[9:10], v[11:12], v[3:4]
	s_delay_alu instid0(VALU_DEP_1) | instskip(SKIP_1) | instid1(VALU_DEP_1)
	v_fma_f64 v[1:2], -v[1:2], v[9:10], v[11:12]
	s_wait_alu 0xfffd
	v_div_fmas_f64 v[1:2], v[1:2], v[3:4], v[9:10]
	s_delay_alu instid0(VALU_DEP_1) | instskip(NEXT) | instid1(VALU_DEP_1)
	v_div_fixup_f64 v[1:2], v[1:2], v[7:8], v[5:6]
	v_fma_f64 v[3:4], v[5:6], v[1:2], v[7:8]
	s_delay_alu instid0(VALU_DEP_1) | instskip(SKIP_1) | instid1(VALU_DEP_2)
	v_div_scale_f64 v[5:6], null, v[3:4], v[3:4], 1.0
	v_div_scale_f64 v[11:12], vcc_lo, 1.0, v[3:4], 1.0
	v_rcp_f64_e32 v[7:8], v[5:6]
	s_delay_alu instid0(TRANS32_DEP_1) | instskip(NEXT) | instid1(VALU_DEP_1)
	v_fma_f64 v[9:10], -v[5:6], v[7:8], 1.0
	v_fma_f64 v[7:8], v[7:8], v[9:10], v[7:8]
	s_delay_alu instid0(VALU_DEP_1) | instskip(NEXT) | instid1(VALU_DEP_1)
	v_fma_f64 v[9:10], -v[5:6], v[7:8], 1.0
	v_fma_f64 v[7:8], v[7:8], v[9:10], v[7:8]
	s_delay_alu instid0(VALU_DEP_1) | instskip(NEXT) | instid1(VALU_DEP_1)
	v_mul_f64_e32 v[9:10], v[11:12], v[7:8]
	v_fma_f64 v[5:6], -v[5:6], v[9:10], v[11:12]
	s_wait_alu 0xfffd
	s_delay_alu instid0(VALU_DEP_1) | instskip(NEXT) | instid1(VALU_DEP_1)
	v_div_fmas_f64 v[5:6], v[5:6], v[7:8], v[9:10]
	v_div_fixup_f64 v[3:4], v[5:6], v[3:4], 1.0
                                        ; implicit-def: $vgpr5_vgpr6
	s_delay_alu instid0(VALU_DEP_1) | instskip(SKIP_1) | instid1(VALU_DEP_2)
	v_mul_f64_e32 v[1:2], v[1:2], v[3:4]
	v_xor_b32_e32 v4, 0x80000000, v4
	v_xor_b32_e32 v10, 0x80000000, v2
	s_delay_alu instid0(VALU_DEP_3)
	v_mov_b32_e32 v9, v1
.LBB55_15:
	s_wait_alu 0xfffe
	s_and_not1_saveexec_b32 s1, s1
	s_cbranch_execz .LBB55_17
; %bb.16:
	v_div_scale_f64 v[1:2], null, v[5:6], v[5:6], v[7:8]
	v_div_scale_f64 v[11:12], vcc_lo, v[7:8], v[5:6], v[7:8]
	s_delay_alu instid0(VALU_DEP_2) | instskip(NEXT) | instid1(TRANS32_DEP_1)
	v_rcp_f64_e32 v[3:4], v[1:2]
	v_fma_f64 v[9:10], -v[1:2], v[3:4], 1.0
	s_delay_alu instid0(VALU_DEP_1) | instskip(NEXT) | instid1(VALU_DEP_1)
	v_fma_f64 v[3:4], v[3:4], v[9:10], v[3:4]
	v_fma_f64 v[9:10], -v[1:2], v[3:4], 1.0
	s_delay_alu instid0(VALU_DEP_1) | instskip(NEXT) | instid1(VALU_DEP_1)
	v_fma_f64 v[3:4], v[3:4], v[9:10], v[3:4]
	v_mul_f64_e32 v[9:10], v[11:12], v[3:4]
	s_delay_alu instid0(VALU_DEP_1) | instskip(SKIP_1) | instid1(VALU_DEP_1)
	v_fma_f64 v[1:2], -v[1:2], v[9:10], v[11:12]
	s_wait_alu 0xfffd
	v_div_fmas_f64 v[1:2], v[1:2], v[3:4], v[9:10]
	s_delay_alu instid0(VALU_DEP_1) | instskip(NEXT) | instid1(VALU_DEP_1)
	v_div_fixup_f64 v[3:4], v[1:2], v[5:6], v[7:8]
	v_fma_f64 v[1:2], v[7:8], v[3:4], v[5:6]
	s_delay_alu instid0(VALU_DEP_1) | instskip(NEXT) | instid1(VALU_DEP_1)
	v_div_scale_f64 v[5:6], null, v[1:2], v[1:2], 1.0
	v_rcp_f64_e32 v[7:8], v[5:6]
	s_delay_alu instid0(TRANS32_DEP_1) | instskip(NEXT) | instid1(VALU_DEP_1)
	v_fma_f64 v[9:10], -v[5:6], v[7:8], 1.0
	v_fma_f64 v[7:8], v[7:8], v[9:10], v[7:8]
	s_delay_alu instid0(VALU_DEP_1) | instskip(NEXT) | instid1(VALU_DEP_1)
	v_fma_f64 v[9:10], -v[5:6], v[7:8], 1.0
	v_fma_f64 v[7:8], v[7:8], v[9:10], v[7:8]
	v_div_scale_f64 v[9:10], vcc_lo, 1.0, v[1:2], 1.0
	s_delay_alu instid0(VALU_DEP_1) | instskip(NEXT) | instid1(VALU_DEP_1)
	v_mul_f64_e32 v[11:12], v[9:10], v[7:8]
	v_fma_f64 v[5:6], -v[5:6], v[11:12], v[9:10]
	s_wait_alu 0xfffd
	s_delay_alu instid0(VALU_DEP_1) | instskip(NEXT) | instid1(VALU_DEP_1)
	v_div_fmas_f64 v[5:6], v[5:6], v[7:8], v[11:12]
	v_div_fixup_f64 v[1:2], v[5:6], v[1:2], 1.0
	s_delay_alu instid0(VALU_DEP_1)
	v_mul_f64_e64 v[3:4], v[3:4], -v[1:2]
	v_xor_b32_e32 v10, 0x80000000, v2
	v_mov_b32_e32 v9, v1
.LBB55_17:
	s_wait_alu 0xfffe
	s_or_b32 exec_lo, exec_lo, s1
	scratch_store_b128 v14, v[1:4], off
	scratch_load_b128 v[15:18], off, s50
	v_xor_b32_e32 v12, 0x80000000, v4
	v_mov_b32_e32 v11, v3
	v_add_nc_u32_e32 v5, 0x380, v13
	ds_store_b128 v13, v[9:12]
	s_wait_loadcnt 0x0
	ds_store_b128 v13, v[15:18] offset:896
	s_wait_storecnt_dscnt 0x0
	s_barrier_signal -1
	s_barrier_wait -1
	global_inv scope:SCOPE_SE
	s_and_saveexec_b32 s1, s0
	s_cbranch_execz .LBB55_19
; %bb.18:
	scratch_load_b128 v[1:4], v14, off
	ds_load_b128 v[6:9], v5
	v_mov_b32_e32 v10, 0
	ds_load_b128 v[15:18], v10 offset:16
	s_wait_loadcnt_dscnt 0x1
	v_mul_f64_e32 v[10:11], v[6:7], v[3:4]
	v_mul_f64_e32 v[3:4], v[8:9], v[3:4]
	s_delay_alu instid0(VALU_DEP_2) | instskip(NEXT) | instid1(VALU_DEP_2)
	v_fma_f64 v[8:9], v[8:9], v[1:2], v[10:11]
	v_fma_f64 v[1:2], v[6:7], v[1:2], -v[3:4]
	s_delay_alu instid0(VALU_DEP_2) | instskip(NEXT) | instid1(VALU_DEP_2)
	v_add_f64_e32 v[3:4], 0, v[8:9]
	v_add_f64_e32 v[1:2], 0, v[1:2]
	s_wait_dscnt 0x0
	s_delay_alu instid0(VALU_DEP_2) | instskip(NEXT) | instid1(VALU_DEP_2)
	v_mul_f64_e32 v[6:7], v[3:4], v[17:18]
	v_mul_f64_e32 v[8:9], v[1:2], v[17:18]
	s_delay_alu instid0(VALU_DEP_2) | instskip(NEXT) | instid1(VALU_DEP_2)
	v_fma_f64 v[1:2], v[1:2], v[15:16], -v[6:7]
	v_fma_f64 v[3:4], v[3:4], v[15:16], v[8:9]
	scratch_store_b128 off, v[1:4], off offset:32
.LBB55_19:
	s_wait_alu 0xfffe
	s_or_b32 exec_lo, exec_lo, s1
	s_wait_loadcnt 0x0
	s_wait_storecnt 0x0
	s_barrier_signal -1
	s_barrier_wait -1
	global_inv scope:SCOPE_SE
	scratch_load_b128 v[1:4], off, s49
	s_mov_b32 s1, exec_lo
	s_wait_loadcnt 0x0
	ds_store_b128 v5, v[1:4]
	s_wait_dscnt 0x0
	s_barrier_signal -1
	s_barrier_wait -1
	global_inv scope:SCOPE_SE
	v_cmpx_gt_u32_e32 2, v0
	s_cbranch_execz .LBB55_23
; %bb.20:
	scratch_load_b128 v[1:4], v14, off
	ds_load_b128 v[6:9], v5
	s_wait_loadcnt_dscnt 0x0
	v_mul_f64_e32 v[10:11], v[8:9], v[3:4]
	v_mul_f64_e32 v[3:4], v[6:7], v[3:4]
	s_delay_alu instid0(VALU_DEP_2) | instskip(NEXT) | instid1(VALU_DEP_2)
	v_fma_f64 v[6:7], v[6:7], v[1:2], -v[10:11]
	v_fma_f64 v[3:4], v[8:9], v[1:2], v[3:4]
	s_delay_alu instid0(VALU_DEP_2) | instskip(NEXT) | instid1(VALU_DEP_2)
	v_add_f64_e32 v[1:2], 0, v[6:7]
	v_add_f64_e32 v[3:4], 0, v[3:4]
	s_and_saveexec_b32 s65, s0
	s_cbranch_execz .LBB55_22
; %bb.21:
	scratch_load_b128 v[6:9], off, off offset:32
	v_mov_b32_e32 v10, 0
	ds_load_b128 v[15:18], v10 offset:912
	s_wait_loadcnt_dscnt 0x0
	v_mul_f64_e32 v[10:11], v[15:16], v[8:9]
	v_mul_f64_e32 v[8:9], v[17:18], v[8:9]
	s_delay_alu instid0(VALU_DEP_2) | instskip(NEXT) | instid1(VALU_DEP_2)
	v_fma_f64 v[10:11], v[17:18], v[6:7], v[10:11]
	v_fma_f64 v[6:7], v[15:16], v[6:7], -v[8:9]
	s_delay_alu instid0(VALU_DEP_2) | instskip(NEXT) | instid1(VALU_DEP_2)
	v_add_f64_e32 v[3:4], v[3:4], v[10:11]
	v_add_f64_e32 v[1:2], v[1:2], v[6:7]
.LBB55_22:
	s_or_b32 exec_lo, exec_lo, s65
	v_mov_b32_e32 v6, 0
	ds_load_b128 v[6:9], v6 offset:32
	s_wait_dscnt 0x0
	v_mul_f64_e32 v[10:11], v[3:4], v[8:9]
	v_mul_f64_e32 v[8:9], v[1:2], v[8:9]
	s_delay_alu instid0(VALU_DEP_2) | instskip(NEXT) | instid1(VALU_DEP_2)
	v_fma_f64 v[1:2], v[1:2], v[6:7], -v[10:11]
	v_fma_f64 v[3:4], v[3:4], v[6:7], v[8:9]
	scratch_store_b128 off, v[1:4], off offset:48
.LBB55_23:
	s_wait_alu 0xfffe
	s_or_b32 exec_lo, exec_lo, s1
	s_wait_loadcnt 0x0
	s_wait_storecnt 0x0
	s_barrier_signal -1
	s_barrier_wait -1
	global_inv scope:SCOPE_SE
	scratch_load_b128 v[1:4], off, s48
	v_add_nc_u32_e32 v6, -1, v0
	s_mov_b32 s0, exec_lo
	s_wait_loadcnt 0x0
	ds_store_b128 v5, v[1:4]
	s_wait_dscnt 0x0
	s_barrier_signal -1
	s_barrier_wait -1
	global_inv scope:SCOPE_SE
	v_cmpx_gt_u32_e32 3, v0
	s_cbranch_execz .LBB55_27
; %bb.24:
	v_dual_mov_b32 v1, 0 :: v_dual_add_nc_u32 v8, 0x380, v13
	v_mov_b32_e32 v3, 0
	v_dual_mov_b32 v2, 0 :: v_dual_add_nc_u32 v7, -1, v0
	v_mov_b32_e32 v4, 0
	v_or_b32_e32 v9, 8, v14
	s_mov_b32 s1, 0
.LBB55_25:                              ; =>This Inner Loop Header: Depth=1
	scratch_load_b128 v[15:18], v9, off offset:-8
	ds_load_b128 v[19:22], v8
	v_add_nc_u32_e32 v7, 1, v7
	v_add_nc_u32_e32 v8, 16, v8
	v_add_nc_u32_e32 v9, 16, v9
	s_delay_alu instid0(VALU_DEP_3)
	v_cmp_lt_u32_e32 vcc_lo, 1, v7
	s_wait_alu 0xfffe
	s_or_b32 s1, vcc_lo, s1
	s_wait_loadcnt_dscnt 0x0
	v_mul_f64_e32 v[10:11], v[21:22], v[17:18]
	v_mul_f64_e32 v[17:18], v[19:20], v[17:18]
	s_delay_alu instid0(VALU_DEP_2) | instskip(NEXT) | instid1(VALU_DEP_2)
	v_fma_f64 v[10:11], v[19:20], v[15:16], -v[10:11]
	v_fma_f64 v[15:16], v[21:22], v[15:16], v[17:18]
	s_delay_alu instid0(VALU_DEP_2) | instskip(NEXT) | instid1(VALU_DEP_2)
	v_add_f64_e32 v[3:4], v[3:4], v[10:11]
	v_add_f64_e32 v[1:2], v[1:2], v[15:16]
	s_wait_alu 0xfffe
	s_and_not1_b32 exec_lo, exec_lo, s1
	s_cbranch_execnz .LBB55_25
; %bb.26:
	s_or_b32 exec_lo, exec_lo, s1
	v_mov_b32_e32 v7, 0
	ds_load_b128 v[7:10], v7 offset:48
	s_wait_dscnt 0x0
	v_mul_f64_e32 v[11:12], v[1:2], v[9:10]
	v_mul_f64_e32 v[15:16], v[3:4], v[9:10]
	s_delay_alu instid0(VALU_DEP_2) | instskip(NEXT) | instid1(VALU_DEP_2)
	v_fma_f64 v[9:10], v[3:4], v[7:8], -v[11:12]
	v_fma_f64 v[11:12], v[1:2], v[7:8], v[15:16]
	scratch_store_b128 off, v[9:12], off offset:64
.LBB55_27:
	s_wait_alu 0xfffe
	s_or_b32 exec_lo, exec_lo, s0
	s_wait_loadcnt 0x0
	s_wait_storecnt 0x0
	s_barrier_signal -1
	s_barrier_wait -1
	global_inv scope:SCOPE_SE
	scratch_load_b128 v[1:4], off, s47
	s_mov_b32 s0, exec_lo
	s_wait_loadcnt 0x0
	ds_store_b128 v5, v[1:4]
	s_wait_dscnt 0x0
	s_barrier_signal -1
	s_barrier_wait -1
	global_inv scope:SCOPE_SE
	v_cmpx_gt_u32_e32 4, v0
	s_cbranch_execz .LBB55_31
; %bb.28:
	v_dual_mov_b32 v1, 0 :: v_dual_add_nc_u32 v8, 0x380, v13
	v_mov_b32_e32 v3, 0
	v_dual_mov_b32 v2, 0 :: v_dual_add_nc_u32 v7, -1, v0
	v_mov_b32_e32 v4, 0
	v_or_b32_e32 v9, 8, v14
	s_mov_b32 s1, 0
.LBB55_29:                              ; =>This Inner Loop Header: Depth=1
	scratch_load_b128 v[15:18], v9, off offset:-8
	ds_load_b128 v[19:22], v8
	v_add_nc_u32_e32 v7, 1, v7
	v_add_nc_u32_e32 v8, 16, v8
	v_add_nc_u32_e32 v9, 16, v9
	s_delay_alu instid0(VALU_DEP_3)
	v_cmp_lt_u32_e32 vcc_lo, 2, v7
	s_wait_alu 0xfffe
	s_or_b32 s1, vcc_lo, s1
	s_wait_loadcnt_dscnt 0x0
	v_mul_f64_e32 v[10:11], v[21:22], v[17:18]
	v_mul_f64_e32 v[17:18], v[19:20], v[17:18]
	s_delay_alu instid0(VALU_DEP_2) | instskip(NEXT) | instid1(VALU_DEP_2)
	v_fma_f64 v[10:11], v[19:20], v[15:16], -v[10:11]
	v_fma_f64 v[15:16], v[21:22], v[15:16], v[17:18]
	s_delay_alu instid0(VALU_DEP_2) | instskip(NEXT) | instid1(VALU_DEP_2)
	v_add_f64_e32 v[3:4], v[3:4], v[10:11]
	v_add_f64_e32 v[1:2], v[1:2], v[15:16]
	s_wait_alu 0xfffe
	s_and_not1_b32 exec_lo, exec_lo, s1
	s_cbranch_execnz .LBB55_29
; %bb.30:
	s_or_b32 exec_lo, exec_lo, s1
	v_mov_b32_e32 v7, 0
	ds_load_b128 v[7:10], v7 offset:64
	s_wait_dscnt 0x0
	v_mul_f64_e32 v[11:12], v[1:2], v[9:10]
	v_mul_f64_e32 v[15:16], v[3:4], v[9:10]
	s_delay_alu instid0(VALU_DEP_2) | instskip(NEXT) | instid1(VALU_DEP_2)
	v_fma_f64 v[9:10], v[3:4], v[7:8], -v[11:12]
	v_fma_f64 v[11:12], v[1:2], v[7:8], v[15:16]
	scratch_store_b128 off, v[9:12], off offset:80
.LBB55_31:
	s_wait_alu 0xfffe
	s_or_b32 exec_lo, exec_lo, s0
	s_wait_loadcnt 0x0
	s_wait_storecnt 0x0
	s_barrier_signal -1
	s_barrier_wait -1
	global_inv scope:SCOPE_SE
	scratch_load_b128 v[1:4], off, s64
	;; [unrolled: 58-line block ×19, first 2 shown]
	s_mov_b32 s0, exec_lo
	s_wait_loadcnt 0x0
	ds_store_b128 v5, v[1:4]
	s_wait_dscnt 0x0
	s_barrier_signal -1
	s_barrier_wait -1
	global_inv scope:SCOPE_SE
	v_cmpx_gt_u32_e32 22, v0
	s_cbranch_execz .LBB55_103
; %bb.100:
	v_dual_mov_b32 v1, 0 :: v_dual_add_nc_u32 v8, 0x380, v13
	v_mov_b32_e32 v3, 0
	v_dual_mov_b32 v2, 0 :: v_dual_add_nc_u32 v7, -1, v0
	v_mov_b32_e32 v4, 0
	v_or_b32_e32 v9, 8, v14
	s_mov_b32 s1, 0
.LBB55_101:                             ; =>This Inner Loop Header: Depth=1
	scratch_load_b128 v[15:18], v9, off offset:-8
	ds_load_b128 v[19:22], v8
	v_add_nc_u32_e32 v7, 1, v7
	v_add_nc_u32_e32 v8, 16, v8
	v_add_nc_u32_e32 v9, 16, v9
	s_delay_alu instid0(VALU_DEP_3)
	v_cmp_lt_u32_e32 vcc_lo, 20, v7
	s_wait_alu 0xfffe
	s_or_b32 s1, vcc_lo, s1
	s_wait_loadcnt_dscnt 0x0
	v_mul_f64_e32 v[10:11], v[21:22], v[17:18]
	v_mul_f64_e32 v[17:18], v[19:20], v[17:18]
	s_delay_alu instid0(VALU_DEP_2) | instskip(NEXT) | instid1(VALU_DEP_2)
	v_fma_f64 v[10:11], v[19:20], v[15:16], -v[10:11]
	v_fma_f64 v[15:16], v[21:22], v[15:16], v[17:18]
	s_delay_alu instid0(VALU_DEP_2) | instskip(NEXT) | instid1(VALU_DEP_2)
	v_add_f64_e32 v[3:4], v[3:4], v[10:11]
	v_add_f64_e32 v[1:2], v[1:2], v[15:16]
	s_wait_alu 0xfffe
	s_and_not1_b32 exec_lo, exec_lo, s1
	s_cbranch_execnz .LBB55_101
; %bb.102:
	s_or_b32 exec_lo, exec_lo, s1
	v_mov_b32_e32 v7, 0
	ds_load_b128 v[7:10], v7 offset:352
	s_wait_dscnt 0x0
	v_mul_f64_e32 v[11:12], v[1:2], v[9:10]
	v_mul_f64_e32 v[15:16], v[3:4], v[9:10]
	s_delay_alu instid0(VALU_DEP_2) | instskip(NEXT) | instid1(VALU_DEP_2)
	v_fma_f64 v[9:10], v[3:4], v[7:8], -v[11:12]
	v_fma_f64 v[11:12], v[1:2], v[7:8], v[15:16]
	scratch_store_b128 off, v[9:12], off offset:368
.LBB55_103:
	s_wait_alu 0xfffe
	s_or_b32 exec_lo, exec_lo, s0
	s_wait_loadcnt 0x0
	s_wait_storecnt 0x0
	s_barrier_signal -1
	s_barrier_wait -1
	global_inv scope:SCOPE_SE
	scratch_load_b128 v[1:4], off, s42
	s_mov_b32 s0, exec_lo
	s_wait_loadcnt 0x0
	ds_store_b128 v5, v[1:4]
	s_wait_dscnt 0x0
	s_barrier_signal -1
	s_barrier_wait -1
	global_inv scope:SCOPE_SE
	v_cmpx_gt_u32_e32 23, v0
	s_cbranch_execz .LBB55_107
; %bb.104:
	v_dual_mov_b32 v1, 0 :: v_dual_add_nc_u32 v8, 0x380, v13
	v_mov_b32_e32 v3, 0
	v_dual_mov_b32 v2, 0 :: v_dual_add_nc_u32 v7, -1, v0
	v_mov_b32_e32 v4, 0
	v_or_b32_e32 v9, 8, v14
	s_mov_b32 s1, 0
.LBB55_105:                             ; =>This Inner Loop Header: Depth=1
	scratch_load_b128 v[15:18], v9, off offset:-8
	ds_load_b128 v[19:22], v8
	v_add_nc_u32_e32 v7, 1, v7
	v_add_nc_u32_e32 v8, 16, v8
	v_add_nc_u32_e32 v9, 16, v9
	s_delay_alu instid0(VALU_DEP_3)
	v_cmp_lt_u32_e32 vcc_lo, 21, v7
	s_wait_alu 0xfffe
	s_or_b32 s1, vcc_lo, s1
	s_wait_loadcnt_dscnt 0x0
	v_mul_f64_e32 v[10:11], v[21:22], v[17:18]
	v_mul_f64_e32 v[17:18], v[19:20], v[17:18]
	s_delay_alu instid0(VALU_DEP_2) | instskip(NEXT) | instid1(VALU_DEP_2)
	v_fma_f64 v[10:11], v[19:20], v[15:16], -v[10:11]
	v_fma_f64 v[15:16], v[21:22], v[15:16], v[17:18]
	s_delay_alu instid0(VALU_DEP_2) | instskip(NEXT) | instid1(VALU_DEP_2)
	v_add_f64_e32 v[3:4], v[3:4], v[10:11]
	v_add_f64_e32 v[1:2], v[1:2], v[15:16]
	s_wait_alu 0xfffe
	s_and_not1_b32 exec_lo, exec_lo, s1
	s_cbranch_execnz .LBB55_105
; %bb.106:
	s_or_b32 exec_lo, exec_lo, s1
	v_mov_b32_e32 v7, 0
	ds_load_b128 v[7:10], v7 offset:368
	s_wait_dscnt 0x0
	v_mul_f64_e32 v[11:12], v[1:2], v[9:10]
	v_mul_f64_e32 v[15:16], v[3:4], v[9:10]
	s_delay_alu instid0(VALU_DEP_2) | instskip(NEXT) | instid1(VALU_DEP_2)
	v_fma_f64 v[9:10], v[3:4], v[7:8], -v[11:12]
	v_fma_f64 v[11:12], v[1:2], v[7:8], v[15:16]
	scratch_store_b128 off, v[9:12], off offset:384
.LBB55_107:
	s_wait_alu 0xfffe
	s_or_b32 exec_lo, exec_lo, s0
	s_wait_loadcnt 0x0
	s_wait_storecnt 0x0
	s_barrier_signal -1
	s_barrier_wait -1
	global_inv scope:SCOPE_SE
	scratch_load_b128 v[1:4], off, s40
	;; [unrolled: 58-line block ×33, first 2 shown]
	s_mov_b32 s0, exec_lo
	s_wait_loadcnt 0x0
	ds_store_b128 v5, v[1:4]
	s_wait_dscnt 0x0
	s_barrier_signal -1
	s_barrier_wait -1
	global_inv scope:SCOPE_SE
	v_cmpx_ne_u32_e32 55, v0
	s_cbranch_execz .LBB55_235
; %bb.232:
	v_mov_b32_e32 v1, 0
	v_dual_mov_b32 v2, 0 :: v_dual_mov_b32 v3, 0
	v_mov_b32_e32 v4, 0
	v_or_b32_e32 v7, 8, v14
	s_mov_b32 s1, 0
.LBB55_233:                             ; =>This Inner Loop Header: Depth=1
	scratch_load_b128 v[8:11], v7, off offset:-8
	ds_load_b128 v[12:15], v5
	v_add_nc_u32_e32 v6, 1, v6
	v_add_nc_u32_e32 v5, 16, v5
	;; [unrolled: 1-line block ×3, first 2 shown]
	s_delay_alu instid0(VALU_DEP_3)
	v_cmp_lt_u32_e32 vcc_lo, 53, v6
	s_wait_alu 0xfffe
	s_or_b32 s1, vcc_lo, s1
	s_wait_loadcnt_dscnt 0x0
	v_mul_f64_e32 v[16:17], v[14:15], v[10:11]
	v_mul_f64_e32 v[10:11], v[12:13], v[10:11]
	s_delay_alu instid0(VALU_DEP_2) | instskip(NEXT) | instid1(VALU_DEP_2)
	v_fma_f64 v[12:13], v[12:13], v[8:9], -v[16:17]
	v_fma_f64 v[8:9], v[14:15], v[8:9], v[10:11]
	s_delay_alu instid0(VALU_DEP_2) | instskip(NEXT) | instid1(VALU_DEP_2)
	v_add_f64_e32 v[3:4], v[3:4], v[12:13]
	v_add_f64_e32 v[1:2], v[1:2], v[8:9]
	s_wait_alu 0xfffe
	s_and_not1_b32 exec_lo, exec_lo, s1
	s_cbranch_execnz .LBB55_233
; %bb.234:
	s_or_b32 exec_lo, exec_lo, s1
	v_mov_b32_e32 v5, 0
	ds_load_b128 v[5:8], v5 offset:880
	s_wait_dscnt 0x0
	v_mul_f64_e32 v[9:10], v[1:2], v[7:8]
	v_mul_f64_e32 v[7:8], v[3:4], v[7:8]
	s_delay_alu instid0(VALU_DEP_2) | instskip(NEXT) | instid1(VALU_DEP_2)
	v_fma_f64 v[3:4], v[3:4], v[5:6], -v[9:10]
	v_fma_f64 v[5:6], v[1:2], v[5:6], v[7:8]
	scratch_store_b128 off, v[3:6], off offset:896
.LBB55_235:
	s_wait_alu 0xfffe
	s_or_b32 exec_lo, exec_lo, s0
	s_mov_b32 s1, -1
	s_wait_loadcnt 0x0
	s_wait_storecnt 0x0
	s_barrier_signal -1
	s_barrier_wait -1
	global_inv scope:SCOPE_SE
.LBB55_236:
	s_wait_alu 0xfffe
	s_and_b32 vcc_lo, exec_lo, s1
	s_wait_alu 0xfffe
	s_cbranch_vccz .LBB55_238
; %bb.237:
	v_mov_b32_e32 v1, 0
	s_lshl_b64 s[0:1], s[16:17], 2
	s_wait_alu 0xfffe
	s_add_nc_u64 s[0:1], s[6:7], s[0:1]
	global_load_b32 v1, v1, s[0:1]
	s_wait_loadcnt 0x0
	v_cmp_ne_u32_e32 vcc_lo, 0, v1
	s_cbranch_vccz .LBB55_239
.LBB55_238:
	s_nop 0
	s_sendmsg sendmsg(MSG_DEALLOC_VGPRS)
	s_endpgm
.LBB55_239:
	v_lshl_add_u32 v158, v0, 4, 0x380
	s_mov_b32 s0, exec_lo
	v_cmpx_eq_u32_e32 55, v0
	s_cbranch_execz .LBB55_241
; %bb.240:
	scratch_load_b128 v[1:4], off, s30
	v_mov_b32_e32 v5, 0
	s_delay_alu instid0(VALU_DEP_1)
	v_dual_mov_b32 v6, v5 :: v_dual_mov_b32 v7, v5
	v_mov_b32_e32 v8, v5
	scratch_store_b128 off, v[5:8], off offset:880
	s_wait_loadcnt 0x0
	ds_store_b128 v158, v[1:4]
.LBB55_241:
	s_wait_alu 0xfffe
	s_or_b32 exec_lo, exec_lo, s0
	s_wait_storecnt_dscnt 0x0
	s_barrier_signal -1
	s_barrier_wait -1
	global_inv scope:SCOPE_SE
	s_clause 0x1
	scratch_load_b128 v[2:5], off, off offset:896
	scratch_load_b128 v[6:9], off, off offset:880
	v_mov_b32_e32 v1, 0
	s_mov_b32 s0, exec_lo
	ds_load_b128 v[10:13], v1 offset:1776
	s_wait_loadcnt_dscnt 0x100
	v_mul_f64_e32 v[14:15], v[12:13], v[4:5]
	v_mul_f64_e32 v[4:5], v[10:11], v[4:5]
	s_delay_alu instid0(VALU_DEP_2) | instskip(NEXT) | instid1(VALU_DEP_2)
	v_fma_f64 v[10:11], v[10:11], v[2:3], -v[14:15]
	v_fma_f64 v[2:3], v[12:13], v[2:3], v[4:5]
	s_delay_alu instid0(VALU_DEP_2) | instskip(NEXT) | instid1(VALU_DEP_2)
	v_add_f64_e32 v[4:5], 0, v[10:11]
	v_add_f64_e32 v[10:11], 0, v[2:3]
	s_wait_loadcnt 0x0
	s_delay_alu instid0(VALU_DEP_2) | instskip(NEXT) | instid1(VALU_DEP_2)
	v_add_f64_e64 v[2:3], v[6:7], -v[4:5]
	v_add_f64_e64 v[4:5], v[8:9], -v[10:11]
	scratch_store_b128 off, v[2:5], off offset:880
	v_cmpx_lt_u32_e32 53, v0
	s_cbranch_execz .LBB55_243
; %bb.242:
	scratch_load_b128 v[5:8], off, s29
	v_dual_mov_b32 v2, v1 :: v_dual_mov_b32 v3, v1
	v_mov_b32_e32 v4, v1
	scratch_store_b128 off, v[1:4], off offset:864
	s_wait_loadcnt 0x0
	ds_store_b128 v158, v[5:8]
.LBB55_243:
	s_wait_alu 0xfffe
	s_or_b32 exec_lo, exec_lo, s0
	s_wait_storecnt_dscnt 0x0
	s_barrier_signal -1
	s_barrier_wait -1
	global_inv scope:SCOPE_SE
	s_clause 0x2
	scratch_load_b128 v[2:5], off, off offset:880
	scratch_load_b128 v[6:9], off, off offset:896
	;; [unrolled: 1-line block ×3, first 2 shown]
	ds_load_b128 v[14:17], v1 offset:1760
	ds_load_b128 v[18:21], v1 offset:1776
	s_mov_b32 s0, exec_lo
	s_wait_loadcnt_dscnt 0x201
	v_mul_f64_e32 v[22:23], v[16:17], v[4:5]
	v_mul_f64_e32 v[4:5], v[14:15], v[4:5]
	s_wait_loadcnt_dscnt 0x100
	v_mul_f64_e32 v[24:25], v[18:19], v[8:9]
	v_mul_f64_e32 v[8:9], v[20:21], v[8:9]
	s_delay_alu instid0(VALU_DEP_4) | instskip(NEXT) | instid1(VALU_DEP_4)
	v_fma_f64 v[14:15], v[14:15], v[2:3], -v[22:23]
	v_fma_f64 v[1:2], v[16:17], v[2:3], v[4:5]
	s_delay_alu instid0(VALU_DEP_4) | instskip(NEXT) | instid1(VALU_DEP_4)
	v_fma_f64 v[3:4], v[20:21], v[6:7], v[24:25]
	v_fma_f64 v[5:6], v[18:19], v[6:7], -v[8:9]
	s_delay_alu instid0(VALU_DEP_4) | instskip(NEXT) | instid1(VALU_DEP_4)
	v_add_f64_e32 v[7:8], 0, v[14:15]
	v_add_f64_e32 v[1:2], 0, v[1:2]
	s_delay_alu instid0(VALU_DEP_2) | instskip(NEXT) | instid1(VALU_DEP_2)
	v_add_f64_e32 v[5:6], v[7:8], v[5:6]
	v_add_f64_e32 v[3:4], v[1:2], v[3:4]
	s_wait_loadcnt 0x0
	s_delay_alu instid0(VALU_DEP_2) | instskip(NEXT) | instid1(VALU_DEP_2)
	v_add_f64_e64 v[1:2], v[10:11], -v[5:6]
	v_add_f64_e64 v[3:4], v[12:13], -v[3:4]
	scratch_store_b128 off, v[1:4], off offset:864
	v_cmpx_lt_u32_e32 52, v0
	s_cbranch_execz .LBB55_245
; %bb.244:
	scratch_load_b128 v[1:4], off, s35
	v_mov_b32_e32 v5, 0
	s_delay_alu instid0(VALU_DEP_1)
	v_dual_mov_b32 v6, v5 :: v_dual_mov_b32 v7, v5
	v_mov_b32_e32 v8, v5
	scratch_store_b128 off, v[5:8], off offset:848
	s_wait_loadcnt 0x0
	ds_store_b128 v158, v[1:4]
.LBB55_245:
	s_wait_alu 0xfffe
	s_or_b32 exec_lo, exec_lo, s0
	s_wait_storecnt_dscnt 0x0
	s_barrier_signal -1
	s_barrier_wait -1
	global_inv scope:SCOPE_SE
	s_clause 0x3
	scratch_load_b128 v[2:5], off, off offset:864
	scratch_load_b128 v[6:9], off, off offset:880
	;; [unrolled: 1-line block ×4, first 2 shown]
	v_mov_b32_e32 v1, 0
	ds_load_b128 v[18:21], v1 offset:1744
	ds_load_b128 v[22:25], v1 offset:1760
	s_mov_b32 s0, exec_lo
	s_wait_loadcnt_dscnt 0x301
	v_mul_f64_e32 v[26:27], v[20:21], v[4:5]
	v_mul_f64_e32 v[4:5], v[18:19], v[4:5]
	s_wait_loadcnt_dscnt 0x200
	v_mul_f64_e32 v[28:29], v[22:23], v[8:9]
	v_mul_f64_e32 v[8:9], v[24:25], v[8:9]
	s_delay_alu instid0(VALU_DEP_4) | instskip(NEXT) | instid1(VALU_DEP_4)
	v_fma_f64 v[18:19], v[18:19], v[2:3], -v[26:27]
	v_fma_f64 v[20:21], v[20:21], v[2:3], v[4:5]
	ds_load_b128 v[2:5], v1 offset:1776
	v_fma_f64 v[24:25], v[24:25], v[6:7], v[28:29]
	v_fma_f64 v[6:7], v[22:23], v[6:7], -v[8:9]
	s_wait_loadcnt_dscnt 0x100
	v_mul_f64_e32 v[26:27], v[2:3], v[12:13]
	v_mul_f64_e32 v[12:13], v[4:5], v[12:13]
	v_add_f64_e32 v[8:9], 0, v[18:19]
	v_add_f64_e32 v[18:19], 0, v[20:21]
	s_delay_alu instid0(VALU_DEP_4) | instskip(NEXT) | instid1(VALU_DEP_4)
	v_fma_f64 v[4:5], v[4:5], v[10:11], v[26:27]
	v_fma_f64 v[2:3], v[2:3], v[10:11], -v[12:13]
	s_delay_alu instid0(VALU_DEP_4) | instskip(NEXT) | instid1(VALU_DEP_4)
	v_add_f64_e32 v[6:7], v[8:9], v[6:7]
	v_add_f64_e32 v[8:9], v[18:19], v[24:25]
	s_delay_alu instid0(VALU_DEP_2) | instskip(NEXT) | instid1(VALU_DEP_2)
	v_add_f64_e32 v[2:3], v[6:7], v[2:3]
	v_add_f64_e32 v[4:5], v[8:9], v[4:5]
	s_wait_loadcnt 0x0
	s_delay_alu instid0(VALU_DEP_2) | instskip(NEXT) | instid1(VALU_DEP_2)
	v_add_f64_e64 v[2:3], v[14:15], -v[2:3]
	v_add_f64_e64 v[4:5], v[16:17], -v[4:5]
	scratch_store_b128 off, v[2:5], off offset:848
	v_cmpx_lt_u32_e32 51, v0
	s_cbranch_execz .LBB55_247
; %bb.246:
	scratch_load_b128 v[5:8], off, s34
	v_dual_mov_b32 v2, v1 :: v_dual_mov_b32 v3, v1
	v_mov_b32_e32 v4, v1
	scratch_store_b128 off, v[1:4], off offset:832
	s_wait_loadcnt 0x0
	ds_store_b128 v158, v[5:8]
.LBB55_247:
	s_wait_alu 0xfffe
	s_or_b32 exec_lo, exec_lo, s0
	s_wait_storecnt_dscnt 0x0
	s_barrier_signal -1
	s_barrier_wait -1
	global_inv scope:SCOPE_SE
	s_clause 0x4
	scratch_load_b128 v[2:5], off, off offset:848
	scratch_load_b128 v[6:9], off, off offset:864
	;; [unrolled: 1-line block ×5, first 2 shown]
	ds_load_b128 v[22:25], v1 offset:1728
	ds_load_b128 v[26:29], v1 offset:1744
	s_mov_b32 s0, exec_lo
	s_wait_loadcnt_dscnt 0x401
	v_mul_f64_e32 v[30:31], v[24:25], v[4:5]
	v_mul_f64_e32 v[4:5], v[22:23], v[4:5]
	s_wait_loadcnt_dscnt 0x300
	v_mul_f64_e32 v[32:33], v[26:27], v[8:9]
	v_mul_f64_e32 v[8:9], v[28:29], v[8:9]
	s_delay_alu instid0(VALU_DEP_4) | instskip(NEXT) | instid1(VALU_DEP_4)
	v_fma_f64 v[30:31], v[22:23], v[2:3], -v[30:31]
	v_fma_f64 v[34:35], v[24:25], v[2:3], v[4:5]
	ds_load_b128 v[2:5], v1 offset:1760
	ds_load_b128 v[22:25], v1 offset:1776
	v_fma_f64 v[28:29], v[28:29], v[6:7], v[32:33]
	v_fma_f64 v[6:7], v[26:27], v[6:7], -v[8:9]
	s_wait_loadcnt_dscnt 0x201
	v_mul_f64_e32 v[36:37], v[2:3], v[12:13]
	v_mul_f64_e32 v[12:13], v[4:5], v[12:13]
	v_add_f64_e32 v[8:9], 0, v[30:31]
	v_add_f64_e32 v[26:27], 0, v[34:35]
	s_wait_loadcnt_dscnt 0x100
	v_mul_f64_e32 v[30:31], v[22:23], v[16:17]
	v_mul_f64_e32 v[16:17], v[24:25], v[16:17]
	v_fma_f64 v[4:5], v[4:5], v[10:11], v[36:37]
	v_fma_f64 v[1:2], v[2:3], v[10:11], -v[12:13]
	v_add_f64_e32 v[6:7], v[8:9], v[6:7]
	v_add_f64_e32 v[8:9], v[26:27], v[28:29]
	v_fma_f64 v[10:11], v[24:25], v[14:15], v[30:31]
	v_fma_f64 v[12:13], v[22:23], v[14:15], -v[16:17]
	s_delay_alu instid0(VALU_DEP_4) | instskip(NEXT) | instid1(VALU_DEP_4)
	v_add_f64_e32 v[1:2], v[6:7], v[1:2]
	v_add_f64_e32 v[3:4], v[8:9], v[4:5]
	s_delay_alu instid0(VALU_DEP_2) | instskip(NEXT) | instid1(VALU_DEP_2)
	v_add_f64_e32 v[1:2], v[1:2], v[12:13]
	v_add_f64_e32 v[3:4], v[3:4], v[10:11]
	s_wait_loadcnt 0x0
	s_delay_alu instid0(VALU_DEP_2) | instskip(NEXT) | instid1(VALU_DEP_2)
	v_add_f64_e64 v[1:2], v[18:19], -v[1:2]
	v_add_f64_e64 v[3:4], v[20:21], -v[3:4]
	scratch_store_b128 off, v[1:4], off offset:832
	v_cmpx_lt_u32_e32 50, v0
	s_cbranch_execz .LBB55_249
; %bb.248:
	scratch_load_b128 v[1:4], off, s39
	v_mov_b32_e32 v5, 0
	s_delay_alu instid0(VALU_DEP_1)
	v_dual_mov_b32 v6, v5 :: v_dual_mov_b32 v7, v5
	v_mov_b32_e32 v8, v5
	scratch_store_b128 off, v[5:8], off offset:816
	s_wait_loadcnt 0x0
	ds_store_b128 v158, v[1:4]
.LBB55_249:
	s_wait_alu 0xfffe
	s_or_b32 exec_lo, exec_lo, s0
	s_wait_storecnt_dscnt 0x0
	s_barrier_signal -1
	s_barrier_wait -1
	global_inv scope:SCOPE_SE
	s_clause 0x5
	scratch_load_b128 v[2:5], off, off offset:832
	scratch_load_b128 v[6:9], off, off offset:848
	;; [unrolled: 1-line block ×6, first 2 shown]
	v_mov_b32_e32 v1, 0
	ds_load_b128 v[26:29], v1 offset:1712
	ds_load_b128 v[30:33], v1 offset:1728
	s_mov_b32 s0, exec_lo
	s_wait_loadcnt_dscnt 0x501
	v_mul_f64_e32 v[34:35], v[28:29], v[4:5]
	v_mul_f64_e32 v[4:5], v[26:27], v[4:5]
	s_wait_loadcnt_dscnt 0x400
	v_mul_f64_e32 v[36:37], v[30:31], v[8:9]
	v_mul_f64_e32 v[8:9], v[32:33], v[8:9]
	s_delay_alu instid0(VALU_DEP_4) | instskip(NEXT) | instid1(VALU_DEP_4)
	v_fma_f64 v[34:35], v[26:27], v[2:3], -v[34:35]
	v_fma_f64 v[38:39], v[28:29], v[2:3], v[4:5]
	ds_load_b128 v[2:5], v1 offset:1744
	ds_load_b128 v[26:29], v1 offset:1760
	v_fma_f64 v[32:33], v[32:33], v[6:7], v[36:37]
	v_fma_f64 v[6:7], v[30:31], v[6:7], -v[8:9]
	s_wait_loadcnt_dscnt 0x301
	v_mul_f64_e32 v[40:41], v[2:3], v[12:13]
	v_mul_f64_e32 v[12:13], v[4:5], v[12:13]
	v_add_f64_e32 v[8:9], 0, v[34:35]
	v_add_f64_e32 v[30:31], 0, v[38:39]
	s_wait_loadcnt_dscnt 0x200
	v_mul_f64_e32 v[34:35], v[26:27], v[16:17]
	v_mul_f64_e32 v[16:17], v[28:29], v[16:17]
	v_fma_f64 v[36:37], v[4:5], v[10:11], v[40:41]
	v_fma_f64 v[10:11], v[2:3], v[10:11], -v[12:13]
	ds_load_b128 v[2:5], v1 offset:1776
	v_add_f64_e32 v[6:7], v[8:9], v[6:7]
	v_add_f64_e32 v[8:9], v[30:31], v[32:33]
	v_fma_f64 v[28:29], v[28:29], v[14:15], v[34:35]
	v_fma_f64 v[14:15], v[26:27], v[14:15], -v[16:17]
	s_wait_loadcnt_dscnt 0x100
	v_mul_f64_e32 v[12:13], v[2:3], v[20:21]
	v_mul_f64_e32 v[20:21], v[4:5], v[20:21]
	v_add_f64_e32 v[6:7], v[6:7], v[10:11]
	v_add_f64_e32 v[8:9], v[8:9], v[36:37]
	s_delay_alu instid0(VALU_DEP_4) | instskip(NEXT) | instid1(VALU_DEP_4)
	v_fma_f64 v[4:5], v[4:5], v[18:19], v[12:13]
	v_fma_f64 v[2:3], v[2:3], v[18:19], -v[20:21]
	s_delay_alu instid0(VALU_DEP_4) | instskip(NEXT) | instid1(VALU_DEP_4)
	v_add_f64_e32 v[6:7], v[6:7], v[14:15]
	v_add_f64_e32 v[8:9], v[8:9], v[28:29]
	s_delay_alu instid0(VALU_DEP_2) | instskip(NEXT) | instid1(VALU_DEP_2)
	v_add_f64_e32 v[2:3], v[6:7], v[2:3]
	v_add_f64_e32 v[4:5], v[8:9], v[4:5]
	s_wait_loadcnt 0x0
	s_delay_alu instid0(VALU_DEP_2) | instskip(NEXT) | instid1(VALU_DEP_2)
	v_add_f64_e64 v[2:3], v[22:23], -v[2:3]
	v_add_f64_e64 v[4:5], v[24:25], -v[4:5]
	scratch_store_b128 off, v[2:5], off offset:816
	v_cmpx_lt_u32_e32 49, v0
	s_cbranch_execz .LBB55_251
; %bb.250:
	scratch_load_b128 v[5:8], off, s38
	v_dual_mov_b32 v2, v1 :: v_dual_mov_b32 v3, v1
	v_mov_b32_e32 v4, v1
	scratch_store_b128 off, v[1:4], off offset:800
	s_wait_loadcnt 0x0
	ds_store_b128 v158, v[5:8]
.LBB55_251:
	s_wait_alu 0xfffe
	s_or_b32 exec_lo, exec_lo, s0
	s_wait_storecnt_dscnt 0x0
	s_barrier_signal -1
	s_barrier_wait -1
	global_inv scope:SCOPE_SE
	s_clause 0x5
	scratch_load_b128 v[2:5], off, off offset:816
	scratch_load_b128 v[6:9], off, off offset:832
	;; [unrolled: 1-line block ×6, first 2 shown]
	ds_load_b128 v[26:29], v1 offset:1696
	ds_load_b128 v[34:37], v1 offset:1712
	scratch_load_b128 v[30:33], off, off offset:800
	s_mov_b32 s0, exec_lo
	s_wait_loadcnt_dscnt 0x601
	v_mul_f64_e32 v[38:39], v[28:29], v[4:5]
	v_mul_f64_e32 v[4:5], v[26:27], v[4:5]
	s_wait_loadcnt_dscnt 0x500
	v_mul_f64_e32 v[40:41], v[34:35], v[8:9]
	v_mul_f64_e32 v[8:9], v[36:37], v[8:9]
	s_delay_alu instid0(VALU_DEP_4) | instskip(NEXT) | instid1(VALU_DEP_4)
	v_fma_f64 v[38:39], v[26:27], v[2:3], -v[38:39]
	v_fma_f64 v[42:43], v[28:29], v[2:3], v[4:5]
	ds_load_b128 v[2:5], v1 offset:1728
	ds_load_b128 v[26:29], v1 offset:1744
	v_fma_f64 v[36:37], v[36:37], v[6:7], v[40:41]
	v_fma_f64 v[6:7], v[34:35], v[6:7], -v[8:9]
	s_wait_loadcnt_dscnt 0x401
	v_mul_f64_e32 v[44:45], v[2:3], v[12:13]
	v_mul_f64_e32 v[12:13], v[4:5], v[12:13]
	v_add_f64_e32 v[8:9], 0, v[38:39]
	v_add_f64_e32 v[34:35], 0, v[42:43]
	s_wait_loadcnt_dscnt 0x300
	v_mul_f64_e32 v[38:39], v[26:27], v[16:17]
	v_mul_f64_e32 v[16:17], v[28:29], v[16:17]
	v_fma_f64 v[40:41], v[4:5], v[10:11], v[44:45]
	v_fma_f64 v[10:11], v[2:3], v[10:11], -v[12:13]
	v_add_f64_e32 v[12:13], v[8:9], v[6:7]
	v_add_f64_e32 v[34:35], v[34:35], v[36:37]
	ds_load_b128 v[2:5], v1 offset:1760
	ds_load_b128 v[6:9], v1 offset:1776
	v_fma_f64 v[28:29], v[28:29], v[14:15], v[38:39]
	v_fma_f64 v[14:15], v[26:27], v[14:15], -v[16:17]
	s_wait_loadcnt_dscnt 0x201
	v_mul_f64_e32 v[36:37], v[2:3], v[20:21]
	v_mul_f64_e32 v[20:21], v[4:5], v[20:21]
	s_wait_loadcnt_dscnt 0x100
	v_mul_f64_e32 v[16:17], v[6:7], v[24:25]
	v_mul_f64_e32 v[24:25], v[8:9], v[24:25]
	v_add_f64_e32 v[10:11], v[12:13], v[10:11]
	v_add_f64_e32 v[12:13], v[34:35], v[40:41]
	v_fma_f64 v[4:5], v[4:5], v[18:19], v[36:37]
	v_fma_f64 v[1:2], v[2:3], v[18:19], -v[20:21]
	v_fma_f64 v[8:9], v[8:9], v[22:23], v[16:17]
	v_fma_f64 v[6:7], v[6:7], v[22:23], -v[24:25]
	v_add_f64_e32 v[10:11], v[10:11], v[14:15]
	v_add_f64_e32 v[12:13], v[12:13], v[28:29]
	s_delay_alu instid0(VALU_DEP_2) | instskip(NEXT) | instid1(VALU_DEP_2)
	v_add_f64_e32 v[1:2], v[10:11], v[1:2]
	v_add_f64_e32 v[3:4], v[12:13], v[4:5]
	s_delay_alu instid0(VALU_DEP_2) | instskip(NEXT) | instid1(VALU_DEP_2)
	v_add_f64_e32 v[1:2], v[1:2], v[6:7]
	v_add_f64_e32 v[3:4], v[3:4], v[8:9]
	s_wait_loadcnt 0x0
	s_delay_alu instid0(VALU_DEP_2) | instskip(NEXT) | instid1(VALU_DEP_2)
	v_add_f64_e64 v[1:2], v[30:31], -v[1:2]
	v_add_f64_e64 v[3:4], v[32:33], -v[3:4]
	scratch_store_b128 off, v[1:4], off offset:800
	v_cmpx_lt_u32_e32 48, v0
	s_cbranch_execz .LBB55_253
; %bb.252:
	scratch_load_b128 v[1:4], off, s5
	v_mov_b32_e32 v5, 0
	s_delay_alu instid0(VALU_DEP_1)
	v_dual_mov_b32 v6, v5 :: v_dual_mov_b32 v7, v5
	v_mov_b32_e32 v8, v5
	scratch_store_b128 off, v[5:8], off offset:784
	s_wait_loadcnt 0x0
	ds_store_b128 v158, v[1:4]
.LBB55_253:
	s_wait_alu 0xfffe
	s_or_b32 exec_lo, exec_lo, s0
	s_wait_storecnt_dscnt 0x0
	s_barrier_signal -1
	s_barrier_wait -1
	global_inv scope:SCOPE_SE
	s_clause 0x6
	scratch_load_b128 v[2:5], off, off offset:800
	scratch_load_b128 v[6:9], off, off offset:816
	;; [unrolled: 1-line block ×7, first 2 shown]
	v_mov_b32_e32 v1, 0
	scratch_load_b128 v[34:37], off, off offset:784
	s_mov_b32 s0, exec_lo
	ds_load_b128 v[30:33], v1 offset:1680
	ds_load_b128 v[38:41], v1 offset:1696
	s_wait_loadcnt_dscnt 0x701
	v_mul_f64_e32 v[42:43], v[32:33], v[4:5]
	v_mul_f64_e32 v[4:5], v[30:31], v[4:5]
	s_wait_loadcnt_dscnt 0x600
	v_mul_f64_e32 v[44:45], v[38:39], v[8:9]
	v_mul_f64_e32 v[8:9], v[40:41], v[8:9]
	s_delay_alu instid0(VALU_DEP_4) | instskip(NEXT) | instid1(VALU_DEP_4)
	v_fma_f64 v[42:43], v[30:31], v[2:3], -v[42:43]
	v_fma_f64 v[159:160], v[32:33], v[2:3], v[4:5]
	ds_load_b128 v[2:5], v1 offset:1712
	ds_load_b128 v[30:33], v1 offset:1728
	v_fma_f64 v[40:41], v[40:41], v[6:7], v[44:45]
	v_fma_f64 v[6:7], v[38:39], v[6:7], -v[8:9]
	s_wait_loadcnt_dscnt 0x501
	v_mul_f64_e32 v[161:162], v[2:3], v[12:13]
	v_mul_f64_e32 v[12:13], v[4:5], v[12:13]
	v_add_f64_e32 v[8:9], 0, v[42:43]
	v_add_f64_e32 v[38:39], 0, v[159:160]
	s_wait_loadcnt_dscnt 0x400
	v_mul_f64_e32 v[42:43], v[30:31], v[16:17]
	v_mul_f64_e32 v[16:17], v[32:33], v[16:17]
	v_fma_f64 v[44:45], v[4:5], v[10:11], v[161:162]
	v_fma_f64 v[10:11], v[2:3], v[10:11], -v[12:13]
	v_add_f64_e32 v[12:13], v[8:9], v[6:7]
	v_add_f64_e32 v[38:39], v[38:39], v[40:41]
	ds_load_b128 v[2:5], v1 offset:1744
	ds_load_b128 v[6:9], v1 offset:1760
	v_fma_f64 v[32:33], v[32:33], v[14:15], v[42:43]
	v_fma_f64 v[14:15], v[30:31], v[14:15], -v[16:17]
	s_wait_loadcnt_dscnt 0x301
	v_mul_f64_e32 v[40:41], v[2:3], v[20:21]
	v_mul_f64_e32 v[20:21], v[4:5], v[20:21]
	s_wait_loadcnt_dscnt 0x200
	v_mul_f64_e32 v[16:17], v[6:7], v[24:25]
	v_mul_f64_e32 v[24:25], v[8:9], v[24:25]
	v_add_f64_e32 v[10:11], v[12:13], v[10:11]
	v_add_f64_e32 v[12:13], v[38:39], v[44:45]
	v_fma_f64 v[30:31], v[4:5], v[18:19], v[40:41]
	v_fma_f64 v[18:19], v[2:3], v[18:19], -v[20:21]
	ds_load_b128 v[2:5], v1 offset:1776
	v_fma_f64 v[8:9], v[8:9], v[22:23], v[16:17]
	v_fma_f64 v[6:7], v[6:7], v[22:23], -v[24:25]
	v_add_f64_e32 v[10:11], v[10:11], v[14:15]
	v_add_f64_e32 v[12:13], v[12:13], v[32:33]
	s_wait_loadcnt_dscnt 0x100
	v_mul_f64_e32 v[14:15], v[2:3], v[28:29]
	v_mul_f64_e32 v[20:21], v[4:5], v[28:29]
	s_delay_alu instid0(VALU_DEP_4) | instskip(NEXT) | instid1(VALU_DEP_4)
	v_add_f64_e32 v[10:11], v[10:11], v[18:19]
	v_add_f64_e32 v[12:13], v[12:13], v[30:31]
	s_delay_alu instid0(VALU_DEP_4) | instskip(NEXT) | instid1(VALU_DEP_4)
	v_fma_f64 v[4:5], v[4:5], v[26:27], v[14:15]
	v_fma_f64 v[2:3], v[2:3], v[26:27], -v[20:21]
	s_delay_alu instid0(VALU_DEP_4) | instskip(NEXT) | instid1(VALU_DEP_4)
	v_add_f64_e32 v[6:7], v[10:11], v[6:7]
	v_add_f64_e32 v[8:9], v[12:13], v[8:9]
	s_delay_alu instid0(VALU_DEP_2) | instskip(NEXT) | instid1(VALU_DEP_2)
	v_add_f64_e32 v[2:3], v[6:7], v[2:3]
	v_add_f64_e32 v[4:5], v[8:9], v[4:5]
	s_wait_loadcnt 0x0
	s_delay_alu instid0(VALU_DEP_2) | instskip(NEXT) | instid1(VALU_DEP_2)
	v_add_f64_e64 v[2:3], v[34:35], -v[2:3]
	v_add_f64_e64 v[4:5], v[36:37], -v[4:5]
	scratch_store_b128 off, v[2:5], off offset:784
	v_cmpx_lt_u32_e32 47, v0
	s_cbranch_execz .LBB55_255
; %bb.254:
	scratch_load_b128 v[5:8], off, s4
	v_dual_mov_b32 v2, v1 :: v_dual_mov_b32 v3, v1
	v_mov_b32_e32 v4, v1
	scratch_store_b128 off, v[1:4], off offset:768
	s_wait_loadcnt 0x0
	ds_store_b128 v158, v[5:8]
.LBB55_255:
	s_wait_alu 0xfffe
	s_or_b32 exec_lo, exec_lo, s0
	s_wait_storecnt_dscnt 0x0
	s_barrier_signal -1
	s_barrier_wait -1
	global_inv scope:SCOPE_SE
	s_clause 0x7
	scratch_load_b128 v[2:5], off, off offset:784
	scratch_load_b128 v[6:9], off, off offset:800
	;; [unrolled: 1-line block ×8, first 2 shown]
	ds_load_b128 v[34:37], v1 offset:1664
	ds_load_b128 v[38:41], v1 offset:1680
	s_mov_b32 s0, exec_lo
	s_wait_loadcnt_dscnt 0x701
	v_mul_f64_e32 v[42:43], v[36:37], v[4:5]
	v_mul_f64_e32 v[4:5], v[34:35], v[4:5]
	s_wait_loadcnt_dscnt 0x600
	v_mul_f64_e32 v[44:45], v[38:39], v[8:9]
	v_mul_f64_e32 v[8:9], v[40:41], v[8:9]
	s_delay_alu instid0(VALU_DEP_4) | instskip(NEXT) | instid1(VALU_DEP_4)
	v_fma_f64 v[42:43], v[34:35], v[2:3], -v[42:43]
	v_fma_f64 v[159:160], v[36:37], v[2:3], v[4:5]
	ds_load_b128 v[2:5], v1 offset:1696
	scratch_load_b128 v[34:37], off, off offset:768
	v_fma_f64 v[40:41], v[40:41], v[6:7], v[44:45]
	v_fma_f64 v[38:39], v[38:39], v[6:7], -v[8:9]
	ds_load_b128 v[6:9], v1 offset:1712
	s_wait_loadcnt_dscnt 0x601
	v_mul_f64_e32 v[161:162], v[2:3], v[12:13]
	v_mul_f64_e32 v[12:13], v[4:5], v[12:13]
	v_add_f64_e32 v[42:43], 0, v[42:43]
	v_add_f64_e32 v[44:45], 0, v[159:160]
	s_wait_loadcnt_dscnt 0x500
	v_mul_f64_e32 v[159:160], v[6:7], v[16:17]
	v_mul_f64_e32 v[16:17], v[8:9], v[16:17]
	v_fma_f64 v[161:162], v[4:5], v[10:11], v[161:162]
	v_fma_f64 v[10:11], v[2:3], v[10:11], -v[12:13]
	ds_load_b128 v[2:5], v1 offset:1728
	v_add_f64_e32 v[12:13], v[42:43], v[38:39]
	v_add_f64_e32 v[38:39], v[44:45], v[40:41]
	v_fma_f64 v[42:43], v[8:9], v[14:15], v[159:160]
	v_fma_f64 v[14:15], v[6:7], v[14:15], -v[16:17]
	ds_load_b128 v[6:9], v1 offset:1744
	s_wait_loadcnt_dscnt 0x401
	v_mul_f64_e32 v[40:41], v[2:3], v[20:21]
	v_mul_f64_e32 v[20:21], v[4:5], v[20:21]
	s_wait_loadcnt_dscnt 0x300
	v_mul_f64_e32 v[16:17], v[6:7], v[24:25]
	v_mul_f64_e32 v[24:25], v[8:9], v[24:25]
	v_add_f64_e32 v[10:11], v[12:13], v[10:11]
	v_add_f64_e32 v[12:13], v[38:39], v[161:162]
	v_fma_f64 v[38:39], v[4:5], v[18:19], v[40:41]
	v_fma_f64 v[18:19], v[2:3], v[18:19], -v[20:21]
	ds_load_b128 v[2:5], v1 offset:1760
	v_fma_f64 v[16:17], v[8:9], v[22:23], v[16:17]
	v_fma_f64 v[22:23], v[6:7], v[22:23], -v[24:25]
	ds_load_b128 v[6:9], v1 offset:1776
	s_wait_loadcnt_dscnt 0x201
	v_mul_f64_e32 v[20:21], v[4:5], v[28:29]
	v_add_f64_e32 v[10:11], v[10:11], v[14:15]
	v_add_f64_e32 v[12:13], v[12:13], v[42:43]
	v_mul_f64_e32 v[14:15], v[2:3], v[28:29]
	s_wait_loadcnt_dscnt 0x100
	v_mul_f64_e32 v[24:25], v[8:9], v[32:33]
	v_fma_f64 v[1:2], v[2:3], v[26:27], -v[20:21]
	v_add_f64_e32 v[10:11], v[10:11], v[18:19]
	v_add_f64_e32 v[12:13], v[12:13], v[38:39]
	v_mul_f64_e32 v[18:19], v[6:7], v[32:33]
	v_fma_f64 v[4:5], v[4:5], v[26:27], v[14:15]
	v_fma_f64 v[6:7], v[6:7], v[30:31], -v[24:25]
	v_add_f64_e32 v[10:11], v[10:11], v[22:23]
	v_add_f64_e32 v[12:13], v[12:13], v[16:17]
	v_fma_f64 v[8:9], v[8:9], v[30:31], v[18:19]
	s_delay_alu instid0(VALU_DEP_3) | instskip(NEXT) | instid1(VALU_DEP_3)
	v_add_f64_e32 v[1:2], v[10:11], v[1:2]
	v_add_f64_e32 v[3:4], v[12:13], v[4:5]
	s_delay_alu instid0(VALU_DEP_2) | instskip(NEXT) | instid1(VALU_DEP_2)
	v_add_f64_e32 v[1:2], v[1:2], v[6:7]
	v_add_f64_e32 v[3:4], v[3:4], v[8:9]
	s_wait_loadcnt 0x0
	s_delay_alu instid0(VALU_DEP_2) | instskip(NEXT) | instid1(VALU_DEP_2)
	v_add_f64_e64 v[1:2], v[34:35], -v[1:2]
	v_add_f64_e64 v[3:4], v[36:37], -v[3:4]
	scratch_store_b128 off, v[1:4], off offset:768
	v_cmpx_lt_u32_e32 46, v0
	s_cbranch_execz .LBB55_257
; %bb.256:
	scratch_load_b128 v[1:4], off, s9
	v_mov_b32_e32 v5, 0
	s_delay_alu instid0(VALU_DEP_1)
	v_dual_mov_b32 v6, v5 :: v_dual_mov_b32 v7, v5
	v_mov_b32_e32 v8, v5
	scratch_store_b128 off, v[5:8], off offset:752
	s_wait_loadcnt 0x0
	ds_store_b128 v158, v[1:4]
.LBB55_257:
	s_wait_alu 0xfffe
	s_or_b32 exec_lo, exec_lo, s0
	s_wait_storecnt_dscnt 0x0
	s_barrier_signal -1
	s_barrier_wait -1
	global_inv scope:SCOPE_SE
	s_clause 0x7
	scratch_load_b128 v[2:5], off, off offset:768
	scratch_load_b128 v[6:9], off, off offset:784
	;; [unrolled: 1-line block ×8, first 2 shown]
	v_mov_b32_e32 v1, 0
	scratch_load_b128 v[38:41], off, off offset:896
	s_mov_b32 s0, exec_lo
	ds_load_b128 v[34:37], v1 offset:1648
	ds_load_b128 v[42:45], v1 offset:1664
	s_wait_loadcnt_dscnt 0x801
	v_mul_f64_e32 v[159:160], v[36:37], v[4:5]
	v_mul_f64_e32 v[4:5], v[34:35], v[4:5]
	s_wait_loadcnt_dscnt 0x700
	v_mul_f64_e32 v[161:162], v[42:43], v[8:9]
	v_mul_f64_e32 v[8:9], v[44:45], v[8:9]
	s_delay_alu instid0(VALU_DEP_4) | instskip(NEXT) | instid1(VALU_DEP_4)
	v_fma_f64 v[34:35], v[34:35], v[2:3], -v[159:160]
	v_fma_f64 v[36:37], v[36:37], v[2:3], v[4:5]
	ds_load_b128 v[2:5], v1 offset:1680
	v_fma_f64 v[44:45], v[44:45], v[6:7], v[161:162]
	v_fma_f64 v[42:43], v[42:43], v[6:7], -v[8:9]
	ds_load_b128 v[6:9], v1 offset:1696
	s_wait_loadcnt_dscnt 0x601
	v_mul_f64_e32 v[159:160], v[2:3], v[12:13]
	v_mul_f64_e32 v[12:13], v[4:5], v[12:13]
	s_wait_loadcnt_dscnt 0x500
	v_mul_f64_e32 v[165:166], v[6:7], v[16:17]
	v_mul_f64_e32 v[16:17], v[8:9], v[16:17]
	v_add_f64_e32 v[161:162], 0, v[34:35]
	v_add_f64_e32 v[163:164], 0, v[36:37]
	scratch_load_b128 v[34:37], off, off offset:752
	v_fma_f64 v[159:160], v[4:5], v[10:11], v[159:160]
	v_fma_f64 v[10:11], v[2:3], v[10:11], -v[12:13]
	ds_load_b128 v[2:5], v1 offset:1712
	v_add_f64_e32 v[12:13], v[161:162], v[42:43]
	v_add_f64_e32 v[42:43], v[163:164], v[44:45]
	v_fma_f64 v[161:162], v[8:9], v[14:15], v[165:166]
	v_fma_f64 v[14:15], v[6:7], v[14:15], -v[16:17]
	ds_load_b128 v[6:9], v1 offset:1728
	s_wait_loadcnt_dscnt 0x501
	v_mul_f64_e32 v[44:45], v[2:3], v[20:21]
	v_mul_f64_e32 v[20:21], v[4:5], v[20:21]
	s_wait_loadcnt_dscnt 0x400
	v_mul_f64_e32 v[16:17], v[6:7], v[24:25]
	v_mul_f64_e32 v[24:25], v[8:9], v[24:25]
	v_add_f64_e32 v[10:11], v[12:13], v[10:11]
	v_add_f64_e32 v[12:13], v[42:43], v[159:160]
	v_fma_f64 v[42:43], v[4:5], v[18:19], v[44:45]
	v_fma_f64 v[18:19], v[2:3], v[18:19], -v[20:21]
	ds_load_b128 v[2:5], v1 offset:1744
	v_fma_f64 v[16:17], v[8:9], v[22:23], v[16:17]
	v_fma_f64 v[22:23], v[6:7], v[22:23], -v[24:25]
	ds_load_b128 v[6:9], v1 offset:1760
	s_wait_loadcnt_dscnt 0x301
	v_mul_f64_e32 v[20:21], v[4:5], v[28:29]
	v_add_f64_e32 v[10:11], v[10:11], v[14:15]
	v_add_f64_e32 v[12:13], v[12:13], v[161:162]
	v_mul_f64_e32 v[14:15], v[2:3], v[28:29]
	s_wait_loadcnt_dscnt 0x200
	v_mul_f64_e32 v[24:25], v[8:9], v[32:33]
	v_fma_f64 v[20:21], v[2:3], v[26:27], -v[20:21]
	v_add_f64_e32 v[10:11], v[10:11], v[18:19]
	v_add_f64_e32 v[12:13], v[12:13], v[42:43]
	v_mul_f64_e32 v[18:19], v[6:7], v[32:33]
	v_fma_f64 v[14:15], v[4:5], v[26:27], v[14:15]
	ds_load_b128 v[2:5], v1 offset:1776
	v_fma_f64 v[6:7], v[6:7], v[30:31], -v[24:25]
	v_add_f64_e32 v[10:11], v[10:11], v[22:23]
	v_add_f64_e32 v[12:13], v[12:13], v[16:17]
	s_wait_loadcnt_dscnt 0x100
	v_mul_f64_e32 v[16:17], v[2:3], v[40:41]
	v_mul_f64_e32 v[22:23], v[4:5], v[40:41]
	v_fma_f64 v[8:9], v[8:9], v[30:31], v[18:19]
	v_add_f64_e32 v[10:11], v[10:11], v[20:21]
	v_add_f64_e32 v[12:13], v[12:13], v[14:15]
	v_fma_f64 v[4:5], v[4:5], v[38:39], v[16:17]
	v_fma_f64 v[2:3], v[2:3], v[38:39], -v[22:23]
	s_delay_alu instid0(VALU_DEP_4) | instskip(NEXT) | instid1(VALU_DEP_4)
	v_add_f64_e32 v[6:7], v[10:11], v[6:7]
	v_add_f64_e32 v[8:9], v[12:13], v[8:9]
	s_delay_alu instid0(VALU_DEP_2) | instskip(NEXT) | instid1(VALU_DEP_2)
	v_add_f64_e32 v[2:3], v[6:7], v[2:3]
	v_add_f64_e32 v[4:5], v[8:9], v[4:5]
	s_wait_loadcnt 0x0
	s_delay_alu instid0(VALU_DEP_2) | instskip(NEXT) | instid1(VALU_DEP_2)
	v_add_f64_e64 v[2:3], v[34:35], -v[2:3]
	v_add_f64_e64 v[4:5], v[36:37], -v[4:5]
	scratch_store_b128 off, v[2:5], off offset:752
	v_cmpx_lt_u32_e32 45, v0
	s_cbranch_execz .LBB55_259
; %bb.258:
	scratch_load_b128 v[5:8], off, s8
	v_dual_mov_b32 v2, v1 :: v_dual_mov_b32 v3, v1
	v_mov_b32_e32 v4, v1
	scratch_store_b128 off, v[1:4], off offset:736
	s_wait_loadcnt 0x0
	ds_store_b128 v158, v[5:8]
.LBB55_259:
	s_wait_alu 0xfffe
	s_or_b32 exec_lo, exec_lo, s0
	s_wait_storecnt_dscnt 0x0
	s_barrier_signal -1
	s_barrier_wait -1
	global_inv scope:SCOPE_SE
	s_clause 0x8
	scratch_load_b128 v[2:5], off, off offset:752
	scratch_load_b128 v[6:9], off, off offset:768
	;; [unrolled: 1-line block ×9, first 2 shown]
	ds_load_b128 v[38:41], v1 offset:1632
	ds_load_b128 v[42:45], v1 offset:1648
	s_clause 0x1
	scratch_load_b128 v[159:162], off, off offset:736
	scratch_load_b128 v[163:166], off, off offset:896
	s_mov_b32 s0, exec_lo
	s_wait_loadcnt_dscnt 0xa01
	v_mul_f64_e32 v[167:168], v[40:41], v[4:5]
	v_mul_f64_e32 v[4:5], v[38:39], v[4:5]
	s_wait_loadcnt_dscnt 0x900
	v_mul_f64_e32 v[169:170], v[42:43], v[8:9]
	v_mul_f64_e32 v[8:9], v[44:45], v[8:9]
	s_delay_alu instid0(VALU_DEP_4) | instskip(NEXT) | instid1(VALU_DEP_4)
	v_fma_f64 v[167:168], v[38:39], v[2:3], -v[167:168]
	v_fma_f64 v[171:172], v[40:41], v[2:3], v[4:5]
	ds_load_b128 v[2:5], v1 offset:1664
	ds_load_b128 v[38:41], v1 offset:1680
	v_fma_f64 v[44:45], v[44:45], v[6:7], v[169:170]
	v_fma_f64 v[6:7], v[42:43], v[6:7], -v[8:9]
	s_wait_loadcnt_dscnt 0x801
	v_mul_f64_e32 v[173:174], v[2:3], v[12:13]
	v_mul_f64_e32 v[12:13], v[4:5], v[12:13]
	v_add_f64_e32 v[8:9], 0, v[167:168]
	v_add_f64_e32 v[42:43], 0, v[171:172]
	s_wait_loadcnt_dscnt 0x700
	v_mul_f64_e32 v[167:168], v[38:39], v[16:17]
	v_mul_f64_e32 v[16:17], v[40:41], v[16:17]
	v_fma_f64 v[169:170], v[4:5], v[10:11], v[173:174]
	v_fma_f64 v[10:11], v[2:3], v[10:11], -v[12:13]
	v_add_f64_e32 v[12:13], v[8:9], v[6:7]
	v_add_f64_e32 v[42:43], v[42:43], v[44:45]
	ds_load_b128 v[2:5], v1 offset:1696
	ds_load_b128 v[6:9], v1 offset:1712
	v_fma_f64 v[40:41], v[40:41], v[14:15], v[167:168]
	v_fma_f64 v[14:15], v[38:39], v[14:15], -v[16:17]
	s_wait_loadcnt_dscnt 0x601
	v_mul_f64_e32 v[44:45], v[2:3], v[20:21]
	v_mul_f64_e32 v[20:21], v[4:5], v[20:21]
	s_wait_loadcnt_dscnt 0x500
	v_mul_f64_e32 v[16:17], v[6:7], v[24:25]
	v_mul_f64_e32 v[24:25], v[8:9], v[24:25]
	v_add_f64_e32 v[10:11], v[12:13], v[10:11]
	v_add_f64_e32 v[12:13], v[42:43], v[169:170]
	v_fma_f64 v[38:39], v[4:5], v[18:19], v[44:45]
	v_fma_f64 v[18:19], v[2:3], v[18:19], -v[20:21]
	v_fma_f64 v[8:9], v[8:9], v[22:23], v[16:17]
	v_fma_f64 v[6:7], v[6:7], v[22:23], -v[24:25]
	v_add_f64_e32 v[14:15], v[10:11], v[14:15]
	v_add_f64_e32 v[20:21], v[12:13], v[40:41]
	ds_load_b128 v[2:5], v1 offset:1728
	ds_load_b128 v[10:13], v1 offset:1744
	s_wait_loadcnt_dscnt 0x401
	v_mul_f64_e32 v[40:41], v[2:3], v[28:29]
	v_mul_f64_e32 v[28:29], v[4:5], v[28:29]
	v_add_f64_e32 v[14:15], v[14:15], v[18:19]
	v_add_f64_e32 v[16:17], v[20:21], v[38:39]
	s_wait_loadcnt_dscnt 0x300
	v_mul_f64_e32 v[18:19], v[10:11], v[32:33]
	v_mul_f64_e32 v[20:21], v[12:13], v[32:33]
	v_fma_f64 v[22:23], v[4:5], v[26:27], v[40:41]
	v_fma_f64 v[24:25], v[2:3], v[26:27], -v[28:29]
	v_add_f64_e32 v[14:15], v[14:15], v[6:7]
	v_add_f64_e32 v[16:17], v[16:17], v[8:9]
	ds_load_b128 v[2:5], v1 offset:1760
	ds_load_b128 v[6:9], v1 offset:1776
	v_fma_f64 v[12:13], v[12:13], v[30:31], v[18:19]
	v_fma_f64 v[10:11], v[10:11], v[30:31], -v[20:21]
	s_wait_loadcnt_dscnt 0x201
	v_mul_f64_e32 v[26:27], v[2:3], v[36:37]
	v_mul_f64_e32 v[28:29], v[4:5], v[36:37]
	s_wait_loadcnt_dscnt 0x0
	v_mul_f64_e32 v[18:19], v[6:7], v[165:166]
	v_mul_f64_e32 v[20:21], v[8:9], v[165:166]
	v_add_f64_e32 v[14:15], v[14:15], v[24:25]
	v_add_f64_e32 v[16:17], v[16:17], v[22:23]
	v_fma_f64 v[4:5], v[4:5], v[34:35], v[26:27]
	v_fma_f64 v[1:2], v[2:3], v[34:35], -v[28:29]
	v_fma_f64 v[8:9], v[8:9], v[163:164], v[18:19]
	v_fma_f64 v[6:7], v[6:7], v[163:164], -v[20:21]
	v_add_f64_e32 v[10:11], v[14:15], v[10:11]
	v_add_f64_e32 v[12:13], v[16:17], v[12:13]
	s_delay_alu instid0(VALU_DEP_2) | instskip(NEXT) | instid1(VALU_DEP_2)
	v_add_f64_e32 v[1:2], v[10:11], v[1:2]
	v_add_f64_e32 v[3:4], v[12:13], v[4:5]
	s_delay_alu instid0(VALU_DEP_2) | instskip(NEXT) | instid1(VALU_DEP_2)
	;; [unrolled: 3-line block ×3, first 2 shown]
	v_add_f64_e64 v[1:2], v[159:160], -v[1:2]
	v_add_f64_e64 v[3:4], v[161:162], -v[3:4]
	scratch_store_b128 off, v[1:4], off offset:736
	v_cmpx_lt_u32_e32 44, v0
	s_cbranch_execz .LBB55_261
; %bb.260:
	scratch_load_b128 v[1:4], off, s11
	v_mov_b32_e32 v5, 0
	s_delay_alu instid0(VALU_DEP_1)
	v_dual_mov_b32 v6, v5 :: v_dual_mov_b32 v7, v5
	v_mov_b32_e32 v8, v5
	scratch_store_b128 off, v[5:8], off offset:720
	s_wait_loadcnt 0x0
	ds_store_b128 v158, v[1:4]
.LBB55_261:
	s_wait_alu 0xfffe
	s_or_b32 exec_lo, exec_lo, s0
	s_wait_storecnt_dscnt 0x0
	s_barrier_signal -1
	s_barrier_wait -1
	global_inv scope:SCOPE_SE
	s_clause 0x7
	scratch_load_b128 v[2:5], off, off offset:736
	scratch_load_b128 v[6:9], off, off offset:752
	;; [unrolled: 1-line block ×8, first 2 shown]
	v_mov_b32_e32 v1, 0
	s_mov_b32 s0, exec_lo
	ds_load_b128 v[34:37], v1 offset:1616
	s_clause 0x1
	scratch_load_b128 v[38:41], off, off offset:864
	scratch_load_b128 v[42:45], off, off offset:720
	ds_load_b128 v[159:162], v1 offset:1632
	scratch_load_b128 v[163:166], off, off offset:880
	s_wait_loadcnt_dscnt 0xa01
	v_mul_f64_e32 v[167:168], v[36:37], v[4:5]
	v_mul_f64_e32 v[4:5], v[34:35], v[4:5]
	s_delay_alu instid0(VALU_DEP_2) | instskip(NEXT) | instid1(VALU_DEP_2)
	v_fma_f64 v[173:174], v[34:35], v[2:3], -v[167:168]
	v_fma_f64 v[175:176], v[36:37], v[2:3], v[4:5]
	ds_load_b128 v[2:5], v1 offset:1648
	s_wait_loadcnt_dscnt 0x901
	v_mul_f64_e32 v[171:172], v[159:160], v[8:9]
	v_mul_f64_e32 v[8:9], v[161:162], v[8:9]
	scratch_load_b128 v[34:37], off, off offset:896
	ds_load_b128 v[167:170], v1 offset:1664
	s_wait_loadcnt_dscnt 0x901
	v_mul_f64_e32 v[177:178], v[2:3], v[12:13]
	v_mul_f64_e32 v[12:13], v[4:5], v[12:13]
	v_fma_f64 v[161:162], v[161:162], v[6:7], v[171:172]
	v_fma_f64 v[6:7], v[159:160], v[6:7], -v[8:9]
	v_add_f64_e32 v[8:9], 0, v[173:174]
	v_add_f64_e32 v[159:160], 0, v[175:176]
	s_wait_loadcnt_dscnt 0x800
	v_mul_f64_e32 v[171:172], v[167:168], v[16:17]
	v_mul_f64_e32 v[16:17], v[169:170], v[16:17]
	v_fma_f64 v[173:174], v[4:5], v[10:11], v[177:178]
	v_fma_f64 v[10:11], v[2:3], v[10:11], -v[12:13]
	v_add_f64_e32 v[12:13], v[8:9], v[6:7]
	v_add_f64_e32 v[159:160], v[159:160], v[161:162]
	ds_load_b128 v[2:5], v1 offset:1680
	ds_load_b128 v[6:9], v1 offset:1696
	v_fma_f64 v[169:170], v[169:170], v[14:15], v[171:172]
	v_fma_f64 v[14:15], v[167:168], v[14:15], -v[16:17]
	s_wait_loadcnt_dscnt 0x701
	v_mul_f64_e32 v[161:162], v[2:3], v[20:21]
	v_mul_f64_e32 v[20:21], v[4:5], v[20:21]
	s_wait_loadcnt_dscnt 0x600
	v_mul_f64_e32 v[16:17], v[6:7], v[24:25]
	v_mul_f64_e32 v[24:25], v[8:9], v[24:25]
	v_add_f64_e32 v[10:11], v[12:13], v[10:11]
	v_add_f64_e32 v[12:13], v[159:160], v[173:174]
	v_fma_f64 v[159:160], v[4:5], v[18:19], v[161:162]
	v_fma_f64 v[18:19], v[2:3], v[18:19], -v[20:21]
	v_fma_f64 v[8:9], v[8:9], v[22:23], v[16:17]
	v_fma_f64 v[6:7], v[6:7], v[22:23], -v[24:25]
	v_add_f64_e32 v[14:15], v[10:11], v[14:15]
	v_add_f64_e32 v[20:21], v[12:13], v[169:170]
	ds_load_b128 v[2:5], v1 offset:1712
	ds_load_b128 v[10:13], v1 offset:1728
	s_wait_loadcnt_dscnt 0x501
	v_mul_f64_e32 v[161:162], v[2:3], v[28:29]
	v_mul_f64_e32 v[28:29], v[4:5], v[28:29]
	v_add_f64_e32 v[14:15], v[14:15], v[18:19]
	v_add_f64_e32 v[16:17], v[20:21], v[159:160]
	s_wait_loadcnt_dscnt 0x400
	v_mul_f64_e32 v[18:19], v[10:11], v[32:33]
	v_mul_f64_e32 v[20:21], v[12:13], v[32:33]
	v_fma_f64 v[22:23], v[4:5], v[26:27], v[161:162]
	v_fma_f64 v[24:25], v[2:3], v[26:27], -v[28:29]
	v_add_f64_e32 v[14:15], v[14:15], v[6:7]
	v_add_f64_e32 v[16:17], v[16:17], v[8:9]
	ds_load_b128 v[2:5], v1 offset:1744
	ds_load_b128 v[6:9], v1 offset:1760
	v_fma_f64 v[12:13], v[12:13], v[30:31], v[18:19]
	v_fma_f64 v[10:11], v[10:11], v[30:31], -v[20:21]
	s_wait_loadcnt_dscnt 0x301
	v_mul_f64_e32 v[26:27], v[2:3], v[40:41]
	v_mul_f64_e32 v[28:29], v[4:5], v[40:41]
	s_wait_loadcnt_dscnt 0x100
	v_mul_f64_e32 v[18:19], v[6:7], v[165:166]
	v_mul_f64_e32 v[20:21], v[8:9], v[165:166]
	v_add_f64_e32 v[14:15], v[14:15], v[24:25]
	v_add_f64_e32 v[16:17], v[16:17], v[22:23]
	v_fma_f64 v[22:23], v[4:5], v[38:39], v[26:27]
	v_fma_f64 v[24:25], v[2:3], v[38:39], -v[28:29]
	ds_load_b128 v[2:5], v1 offset:1776
	v_fma_f64 v[8:9], v[8:9], v[163:164], v[18:19]
	v_fma_f64 v[6:7], v[6:7], v[163:164], -v[20:21]
	v_add_f64_e32 v[10:11], v[14:15], v[10:11]
	v_add_f64_e32 v[12:13], v[16:17], v[12:13]
	s_wait_loadcnt_dscnt 0x0
	v_mul_f64_e32 v[14:15], v[2:3], v[36:37]
	v_mul_f64_e32 v[16:17], v[4:5], v[36:37]
	s_delay_alu instid0(VALU_DEP_4) | instskip(NEXT) | instid1(VALU_DEP_4)
	v_add_f64_e32 v[10:11], v[10:11], v[24:25]
	v_add_f64_e32 v[12:13], v[12:13], v[22:23]
	s_delay_alu instid0(VALU_DEP_4) | instskip(NEXT) | instid1(VALU_DEP_4)
	v_fma_f64 v[4:5], v[4:5], v[34:35], v[14:15]
	v_fma_f64 v[2:3], v[2:3], v[34:35], -v[16:17]
	s_delay_alu instid0(VALU_DEP_4) | instskip(NEXT) | instid1(VALU_DEP_4)
	v_add_f64_e32 v[6:7], v[10:11], v[6:7]
	v_add_f64_e32 v[8:9], v[12:13], v[8:9]
	s_delay_alu instid0(VALU_DEP_2) | instskip(NEXT) | instid1(VALU_DEP_2)
	v_add_f64_e32 v[2:3], v[6:7], v[2:3]
	v_add_f64_e32 v[4:5], v[8:9], v[4:5]
	s_delay_alu instid0(VALU_DEP_2) | instskip(NEXT) | instid1(VALU_DEP_2)
	v_add_f64_e64 v[2:3], v[42:43], -v[2:3]
	v_add_f64_e64 v[4:5], v[44:45], -v[4:5]
	scratch_store_b128 off, v[2:5], off offset:720
	v_cmpx_lt_u32_e32 43, v0
	s_cbranch_execz .LBB55_263
; %bb.262:
	scratch_load_b128 v[5:8], off, s10
	v_dual_mov_b32 v2, v1 :: v_dual_mov_b32 v3, v1
	v_mov_b32_e32 v4, v1
	scratch_store_b128 off, v[1:4], off offset:704
	s_wait_loadcnt 0x0
	ds_store_b128 v158, v[5:8]
.LBB55_263:
	s_wait_alu 0xfffe
	s_or_b32 exec_lo, exec_lo, s0
	s_wait_storecnt_dscnt 0x0
	s_barrier_signal -1
	s_barrier_wait -1
	global_inv scope:SCOPE_SE
	s_clause 0x8
	scratch_load_b128 v[2:5], off, off offset:720
	scratch_load_b128 v[6:9], off, off offset:736
	;; [unrolled: 1-line block ×9, first 2 shown]
	ds_load_b128 v[38:41], v1 offset:1600
	ds_load_b128 v[42:45], v1 offset:1616
	s_clause 0x1
	scratch_load_b128 v[159:162], off, off offset:704
	scratch_load_b128 v[163:166], off, off offset:864
	s_mov_b32 s0, exec_lo
	s_wait_loadcnt_dscnt 0xa01
	v_mul_f64_e32 v[167:168], v[40:41], v[4:5]
	v_mul_f64_e32 v[4:5], v[38:39], v[4:5]
	s_wait_loadcnt_dscnt 0x900
	v_mul_f64_e32 v[171:172], v[42:43], v[8:9]
	v_mul_f64_e32 v[8:9], v[44:45], v[8:9]
	s_delay_alu instid0(VALU_DEP_4) | instskip(NEXT) | instid1(VALU_DEP_4)
	v_fma_f64 v[173:174], v[38:39], v[2:3], -v[167:168]
	v_fma_f64 v[175:176], v[40:41], v[2:3], v[4:5]
	ds_load_b128 v[2:5], v1 offset:1632
	ds_load_b128 v[167:170], v1 offset:1648
	scratch_load_b128 v[38:41], off, off offset:880
	v_fma_f64 v[44:45], v[44:45], v[6:7], v[171:172]
	v_fma_f64 v[42:43], v[42:43], v[6:7], -v[8:9]
	scratch_load_b128 v[6:9], off, off offset:896
	s_wait_loadcnt_dscnt 0xa01
	v_mul_f64_e32 v[177:178], v[2:3], v[12:13]
	v_mul_f64_e32 v[12:13], v[4:5], v[12:13]
	v_add_f64_e32 v[171:172], 0, v[173:174]
	v_add_f64_e32 v[173:174], 0, v[175:176]
	s_wait_loadcnt_dscnt 0x900
	v_mul_f64_e32 v[175:176], v[167:168], v[16:17]
	v_mul_f64_e32 v[16:17], v[169:170], v[16:17]
	v_fma_f64 v[177:178], v[4:5], v[10:11], v[177:178]
	v_fma_f64 v[179:180], v[2:3], v[10:11], -v[12:13]
	ds_load_b128 v[2:5], v1 offset:1664
	ds_load_b128 v[10:13], v1 offset:1680
	v_add_f64_e32 v[42:43], v[171:172], v[42:43]
	v_add_f64_e32 v[44:45], v[173:174], v[44:45]
	v_fma_f64 v[169:170], v[169:170], v[14:15], v[175:176]
	v_fma_f64 v[14:15], v[167:168], v[14:15], -v[16:17]
	s_wait_loadcnt_dscnt 0x801
	v_mul_f64_e32 v[171:172], v[2:3], v[20:21]
	v_mul_f64_e32 v[20:21], v[4:5], v[20:21]
	v_add_f64_e32 v[16:17], v[42:43], v[179:180]
	v_add_f64_e32 v[42:43], v[44:45], v[177:178]
	s_wait_loadcnt_dscnt 0x700
	v_mul_f64_e32 v[44:45], v[10:11], v[24:25]
	v_mul_f64_e32 v[24:25], v[12:13], v[24:25]
	v_fma_f64 v[167:168], v[4:5], v[18:19], v[171:172]
	v_fma_f64 v[18:19], v[2:3], v[18:19], -v[20:21]
	v_add_f64_e32 v[20:21], v[16:17], v[14:15]
	v_add_f64_e32 v[42:43], v[42:43], v[169:170]
	ds_load_b128 v[2:5], v1 offset:1696
	ds_load_b128 v[14:17], v1 offset:1712
	v_fma_f64 v[12:13], v[12:13], v[22:23], v[44:45]
	v_fma_f64 v[10:11], v[10:11], v[22:23], -v[24:25]
	s_wait_loadcnt_dscnt 0x601
	v_mul_f64_e32 v[169:170], v[2:3], v[28:29]
	v_mul_f64_e32 v[28:29], v[4:5], v[28:29]
	s_wait_loadcnt_dscnt 0x500
	v_mul_f64_e32 v[22:23], v[14:15], v[32:33]
	v_mul_f64_e32 v[24:25], v[16:17], v[32:33]
	v_add_f64_e32 v[18:19], v[20:21], v[18:19]
	v_add_f64_e32 v[20:21], v[42:43], v[167:168]
	v_fma_f64 v[32:33], v[4:5], v[26:27], v[169:170]
	v_fma_f64 v[26:27], v[2:3], v[26:27], -v[28:29]
	v_fma_f64 v[16:17], v[16:17], v[30:31], v[22:23]
	v_fma_f64 v[14:15], v[14:15], v[30:31], -v[24:25]
	v_add_f64_e32 v[18:19], v[18:19], v[10:11]
	v_add_f64_e32 v[20:21], v[20:21], v[12:13]
	ds_load_b128 v[2:5], v1 offset:1728
	ds_load_b128 v[10:13], v1 offset:1744
	s_wait_loadcnt_dscnt 0x401
	v_mul_f64_e32 v[28:29], v[2:3], v[36:37]
	v_mul_f64_e32 v[36:37], v[4:5], v[36:37]
	s_wait_loadcnt_dscnt 0x200
	v_mul_f64_e32 v[22:23], v[10:11], v[165:166]
	v_mul_f64_e32 v[24:25], v[12:13], v[165:166]
	v_add_f64_e32 v[18:19], v[18:19], v[26:27]
	v_add_f64_e32 v[20:21], v[20:21], v[32:33]
	v_fma_f64 v[26:27], v[4:5], v[34:35], v[28:29]
	v_fma_f64 v[28:29], v[2:3], v[34:35], -v[36:37]
	v_fma_f64 v[12:13], v[12:13], v[163:164], v[22:23]
	v_fma_f64 v[10:11], v[10:11], v[163:164], -v[24:25]
	v_add_f64_e32 v[18:19], v[18:19], v[14:15]
	v_add_f64_e32 v[20:21], v[20:21], v[16:17]
	ds_load_b128 v[2:5], v1 offset:1760
	ds_load_b128 v[14:17], v1 offset:1776
	s_wait_loadcnt_dscnt 0x101
	v_mul_f64_e32 v[30:31], v[2:3], v[40:41]
	v_mul_f64_e32 v[32:33], v[4:5], v[40:41]
	s_wait_loadcnt_dscnt 0x0
	v_mul_f64_e32 v[22:23], v[14:15], v[8:9]
	v_mul_f64_e32 v[8:9], v[16:17], v[8:9]
	v_add_f64_e32 v[18:19], v[18:19], v[28:29]
	v_add_f64_e32 v[20:21], v[20:21], v[26:27]
	v_fma_f64 v[4:5], v[4:5], v[38:39], v[30:31]
	v_fma_f64 v[1:2], v[2:3], v[38:39], -v[32:33]
	v_fma_f64 v[16:17], v[16:17], v[6:7], v[22:23]
	v_fma_f64 v[6:7], v[14:15], v[6:7], -v[8:9]
	v_add_f64_e32 v[10:11], v[18:19], v[10:11]
	v_add_f64_e32 v[12:13], v[20:21], v[12:13]
	s_delay_alu instid0(VALU_DEP_2) | instskip(NEXT) | instid1(VALU_DEP_2)
	v_add_f64_e32 v[1:2], v[10:11], v[1:2]
	v_add_f64_e32 v[3:4], v[12:13], v[4:5]
	s_delay_alu instid0(VALU_DEP_2) | instskip(NEXT) | instid1(VALU_DEP_2)
	v_add_f64_e32 v[1:2], v[1:2], v[6:7]
	v_add_f64_e32 v[3:4], v[3:4], v[16:17]
	s_delay_alu instid0(VALU_DEP_2) | instskip(NEXT) | instid1(VALU_DEP_2)
	v_add_f64_e64 v[1:2], v[159:160], -v[1:2]
	v_add_f64_e64 v[3:4], v[161:162], -v[3:4]
	scratch_store_b128 off, v[1:4], off offset:704
	v_cmpx_lt_u32_e32 42, v0
	s_cbranch_execz .LBB55_265
; %bb.264:
	scratch_load_b128 v[1:4], off, s13
	v_mov_b32_e32 v5, 0
	s_delay_alu instid0(VALU_DEP_1)
	v_dual_mov_b32 v6, v5 :: v_dual_mov_b32 v7, v5
	v_mov_b32_e32 v8, v5
	scratch_store_b128 off, v[5:8], off offset:688
	s_wait_loadcnt 0x0
	ds_store_b128 v158, v[1:4]
.LBB55_265:
	s_wait_alu 0xfffe
	s_or_b32 exec_lo, exec_lo, s0
	s_wait_storecnt_dscnt 0x0
	s_barrier_signal -1
	s_barrier_wait -1
	global_inv scope:SCOPE_SE
	s_clause 0x7
	scratch_load_b128 v[2:5], off, off offset:704
	scratch_load_b128 v[6:9], off, off offset:720
	;; [unrolled: 1-line block ×8, first 2 shown]
	v_mov_b32_e32 v1, 0
	s_mov_b32 s0, exec_lo
	ds_load_b128 v[34:37], v1 offset:1584
	s_clause 0x1
	scratch_load_b128 v[38:41], off, off offset:832
	scratch_load_b128 v[42:45], off, off offset:688
	ds_load_b128 v[159:162], v1 offset:1600
	scratch_load_b128 v[163:166], off, off offset:848
	s_wait_loadcnt_dscnt 0xa01
	v_mul_f64_e32 v[167:168], v[36:37], v[4:5]
	v_mul_f64_e32 v[4:5], v[34:35], v[4:5]
	s_delay_alu instid0(VALU_DEP_2) | instskip(NEXT) | instid1(VALU_DEP_2)
	v_fma_f64 v[173:174], v[34:35], v[2:3], -v[167:168]
	v_fma_f64 v[175:176], v[36:37], v[2:3], v[4:5]
	ds_load_b128 v[2:5], v1 offset:1616
	s_wait_loadcnt_dscnt 0x901
	v_mul_f64_e32 v[171:172], v[159:160], v[8:9]
	v_mul_f64_e32 v[8:9], v[161:162], v[8:9]
	scratch_load_b128 v[34:37], off, off offset:864
	ds_load_b128 v[167:170], v1 offset:1632
	s_wait_loadcnt_dscnt 0x901
	v_mul_f64_e32 v[177:178], v[2:3], v[12:13]
	v_mul_f64_e32 v[12:13], v[4:5], v[12:13]
	v_fma_f64 v[161:162], v[161:162], v[6:7], v[171:172]
	v_fma_f64 v[159:160], v[159:160], v[6:7], -v[8:9]
	v_add_f64_e32 v[171:172], 0, v[173:174]
	v_add_f64_e32 v[173:174], 0, v[175:176]
	scratch_load_b128 v[6:9], off, off offset:880
	v_fma_f64 v[177:178], v[4:5], v[10:11], v[177:178]
	v_fma_f64 v[179:180], v[2:3], v[10:11], -v[12:13]
	ds_load_b128 v[2:5], v1 offset:1648
	s_wait_loadcnt_dscnt 0x901
	v_mul_f64_e32 v[175:176], v[167:168], v[16:17]
	v_mul_f64_e32 v[16:17], v[169:170], v[16:17]
	scratch_load_b128 v[10:13], off, off offset:896
	v_add_f64_e32 v[171:172], v[171:172], v[159:160]
	v_add_f64_e32 v[173:174], v[173:174], v[161:162]
	s_wait_loadcnt_dscnt 0x900
	v_mul_f64_e32 v[181:182], v[2:3], v[20:21]
	v_mul_f64_e32 v[20:21], v[4:5], v[20:21]
	ds_load_b128 v[159:162], v1 offset:1664
	v_fma_f64 v[169:170], v[169:170], v[14:15], v[175:176]
	v_fma_f64 v[14:15], v[167:168], v[14:15], -v[16:17]
	v_add_f64_e32 v[16:17], v[171:172], v[179:180]
	v_add_f64_e32 v[167:168], v[173:174], v[177:178]
	s_wait_loadcnt_dscnt 0x800
	v_mul_f64_e32 v[171:172], v[159:160], v[24:25]
	v_mul_f64_e32 v[24:25], v[161:162], v[24:25]
	v_fma_f64 v[173:174], v[4:5], v[18:19], v[181:182]
	v_fma_f64 v[18:19], v[2:3], v[18:19], -v[20:21]
	v_add_f64_e32 v[20:21], v[16:17], v[14:15]
	v_add_f64_e32 v[167:168], v[167:168], v[169:170]
	ds_load_b128 v[2:5], v1 offset:1680
	ds_load_b128 v[14:17], v1 offset:1696
	v_fma_f64 v[161:162], v[161:162], v[22:23], v[171:172]
	v_fma_f64 v[22:23], v[159:160], v[22:23], -v[24:25]
	s_wait_loadcnt_dscnt 0x701
	v_mul_f64_e32 v[169:170], v[2:3], v[28:29]
	v_mul_f64_e32 v[28:29], v[4:5], v[28:29]
	s_wait_loadcnt_dscnt 0x600
	v_mul_f64_e32 v[24:25], v[14:15], v[32:33]
	v_mul_f64_e32 v[32:33], v[16:17], v[32:33]
	v_add_f64_e32 v[18:19], v[20:21], v[18:19]
	v_add_f64_e32 v[20:21], v[167:168], v[173:174]
	v_fma_f64 v[159:160], v[4:5], v[26:27], v[169:170]
	v_fma_f64 v[26:27], v[2:3], v[26:27], -v[28:29]
	v_fma_f64 v[16:17], v[16:17], v[30:31], v[24:25]
	v_fma_f64 v[14:15], v[14:15], v[30:31], -v[32:33]
	v_add_f64_e32 v[22:23], v[18:19], v[22:23]
	v_add_f64_e32 v[28:29], v[20:21], v[161:162]
	ds_load_b128 v[2:5], v1 offset:1712
	ds_load_b128 v[18:21], v1 offset:1728
	s_wait_loadcnt_dscnt 0x501
	v_mul_f64_e32 v[161:162], v[2:3], v[40:41]
	v_mul_f64_e32 v[40:41], v[4:5], v[40:41]
	v_add_f64_e32 v[22:23], v[22:23], v[26:27]
	v_add_f64_e32 v[24:25], v[28:29], v[159:160]
	s_wait_loadcnt_dscnt 0x300
	v_mul_f64_e32 v[26:27], v[18:19], v[165:166]
	v_mul_f64_e32 v[28:29], v[20:21], v[165:166]
	v_fma_f64 v[30:31], v[4:5], v[38:39], v[161:162]
	v_fma_f64 v[32:33], v[2:3], v[38:39], -v[40:41]
	v_add_f64_e32 v[22:23], v[22:23], v[14:15]
	v_add_f64_e32 v[24:25], v[24:25], v[16:17]
	ds_load_b128 v[2:5], v1 offset:1744
	ds_load_b128 v[14:17], v1 offset:1760
	v_fma_f64 v[20:21], v[20:21], v[163:164], v[26:27]
	v_fma_f64 v[18:19], v[18:19], v[163:164], -v[28:29]
	s_wait_loadcnt_dscnt 0x201
	v_mul_f64_e32 v[38:39], v[2:3], v[36:37]
	v_mul_f64_e32 v[36:37], v[4:5], v[36:37]
	v_add_f64_e32 v[22:23], v[22:23], v[32:33]
	v_add_f64_e32 v[24:25], v[24:25], v[30:31]
	s_wait_loadcnt_dscnt 0x100
	v_mul_f64_e32 v[26:27], v[14:15], v[8:9]
	v_mul_f64_e32 v[8:9], v[16:17], v[8:9]
	v_fma_f64 v[28:29], v[4:5], v[34:35], v[38:39]
	v_fma_f64 v[30:31], v[2:3], v[34:35], -v[36:37]
	ds_load_b128 v[2:5], v1 offset:1776
	v_add_f64_e32 v[18:19], v[22:23], v[18:19]
	v_add_f64_e32 v[20:21], v[24:25], v[20:21]
	s_wait_loadcnt_dscnt 0x0
	v_mul_f64_e32 v[22:23], v[2:3], v[12:13]
	v_mul_f64_e32 v[12:13], v[4:5], v[12:13]
	v_fma_f64 v[16:17], v[16:17], v[6:7], v[26:27]
	v_fma_f64 v[6:7], v[14:15], v[6:7], -v[8:9]
	v_add_f64_e32 v[8:9], v[18:19], v[30:31]
	v_add_f64_e32 v[14:15], v[20:21], v[28:29]
	v_fma_f64 v[4:5], v[4:5], v[10:11], v[22:23]
	v_fma_f64 v[2:3], v[2:3], v[10:11], -v[12:13]
	s_delay_alu instid0(VALU_DEP_4) | instskip(NEXT) | instid1(VALU_DEP_4)
	v_add_f64_e32 v[6:7], v[8:9], v[6:7]
	v_add_f64_e32 v[8:9], v[14:15], v[16:17]
	s_delay_alu instid0(VALU_DEP_2) | instskip(NEXT) | instid1(VALU_DEP_2)
	v_add_f64_e32 v[2:3], v[6:7], v[2:3]
	v_add_f64_e32 v[4:5], v[8:9], v[4:5]
	s_delay_alu instid0(VALU_DEP_2) | instskip(NEXT) | instid1(VALU_DEP_2)
	v_add_f64_e64 v[2:3], v[42:43], -v[2:3]
	v_add_f64_e64 v[4:5], v[44:45], -v[4:5]
	scratch_store_b128 off, v[2:5], off offset:688
	v_cmpx_lt_u32_e32 41, v0
	s_cbranch_execz .LBB55_267
; %bb.266:
	scratch_load_b128 v[5:8], off, s12
	v_dual_mov_b32 v2, v1 :: v_dual_mov_b32 v3, v1
	v_mov_b32_e32 v4, v1
	scratch_store_b128 off, v[1:4], off offset:672
	s_wait_loadcnt 0x0
	ds_store_b128 v158, v[5:8]
.LBB55_267:
	s_wait_alu 0xfffe
	s_or_b32 exec_lo, exec_lo, s0
	s_wait_storecnt_dscnt 0x0
	s_barrier_signal -1
	s_barrier_wait -1
	global_inv scope:SCOPE_SE
	s_clause 0x8
	scratch_load_b128 v[2:5], off, off offset:688
	scratch_load_b128 v[6:9], off, off offset:704
	;; [unrolled: 1-line block ×9, first 2 shown]
	ds_load_b128 v[38:41], v1 offset:1568
	ds_load_b128 v[42:45], v1 offset:1584
	s_clause 0x1
	scratch_load_b128 v[159:162], off, off offset:672
	scratch_load_b128 v[163:166], off, off offset:832
	s_mov_b32 s0, exec_lo
	s_wait_loadcnt_dscnt 0xa01
	v_mul_f64_e32 v[167:168], v[40:41], v[4:5]
	v_mul_f64_e32 v[4:5], v[38:39], v[4:5]
	s_wait_loadcnt_dscnt 0x900
	v_mul_f64_e32 v[171:172], v[42:43], v[8:9]
	v_mul_f64_e32 v[8:9], v[44:45], v[8:9]
	s_delay_alu instid0(VALU_DEP_4) | instskip(NEXT) | instid1(VALU_DEP_4)
	v_fma_f64 v[173:174], v[38:39], v[2:3], -v[167:168]
	v_fma_f64 v[175:176], v[40:41], v[2:3], v[4:5]
	ds_load_b128 v[2:5], v1 offset:1600
	ds_load_b128 v[167:170], v1 offset:1616
	scratch_load_b128 v[38:41], off, off offset:848
	v_fma_f64 v[44:45], v[44:45], v[6:7], v[171:172]
	v_fma_f64 v[42:43], v[42:43], v[6:7], -v[8:9]
	scratch_load_b128 v[6:9], off, off offset:864
	s_wait_loadcnt_dscnt 0xa01
	v_mul_f64_e32 v[177:178], v[2:3], v[12:13]
	v_mul_f64_e32 v[12:13], v[4:5], v[12:13]
	v_add_f64_e32 v[171:172], 0, v[173:174]
	v_add_f64_e32 v[173:174], 0, v[175:176]
	s_wait_loadcnt_dscnt 0x900
	v_mul_f64_e32 v[175:176], v[167:168], v[16:17]
	v_mul_f64_e32 v[16:17], v[169:170], v[16:17]
	v_fma_f64 v[177:178], v[4:5], v[10:11], v[177:178]
	v_fma_f64 v[179:180], v[2:3], v[10:11], -v[12:13]
	ds_load_b128 v[2:5], v1 offset:1632
	scratch_load_b128 v[10:13], off, off offset:880
	v_add_f64_e32 v[171:172], v[171:172], v[42:43]
	v_add_f64_e32 v[173:174], v[173:174], v[44:45]
	ds_load_b128 v[42:45], v1 offset:1648
	v_fma_f64 v[169:170], v[169:170], v[14:15], v[175:176]
	v_fma_f64 v[167:168], v[167:168], v[14:15], -v[16:17]
	scratch_load_b128 v[14:17], off, off offset:896
	s_wait_loadcnt_dscnt 0xa01
	v_mul_f64_e32 v[181:182], v[2:3], v[20:21]
	v_mul_f64_e32 v[20:21], v[4:5], v[20:21]
	s_wait_loadcnt_dscnt 0x900
	v_mul_f64_e32 v[175:176], v[42:43], v[24:25]
	v_mul_f64_e32 v[24:25], v[44:45], v[24:25]
	v_add_f64_e32 v[171:172], v[171:172], v[179:180]
	v_add_f64_e32 v[173:174], v[173:174], v[177:178]
	v_fma_f64 v[177:178], v[4:5], v[18:19], v[181:182]
	v_fma_f64 v[179:180], v[2:3], v[18:19], -v[20:21]
	ds_load_b128 v[2:5], v1 offset:1664
	ds_load_b128 v[18:21], v1 offset:1680
	v_fma_f64 v[44:45], v[44:45], v[22:23], v[175:176]
	v_fma_f64 v[22:23], v[42:43], v[22:23], -v[24:25]
	v_add_f64_e32 v[167:168], v[171:172], v[167:168]
	v_add_f64_e32 v[169:170], v[173:174], v[169:170]
	s_wait_loadcnt_dscnt 0x801
	v_mul_f64_e32 v[171:172], v[2:3], v[28:29]
	v_mul_f64_e32 v[28:29], v[4:5], v[28:29]
	s_delay_alu instid0(VALU_DEP_4) | instskip(NEXT) | instid1(VALU_DEP_4)
	v_add_f64_e32 v[24:25], v[167:168], v[179:180]
	v_add_f64_e32 v[42:43], v[169:170], v[177:178]
	s_wait_loadcnt_dscnt 0x700
	v_mul_f64_e32 v[167:168], v[18:19], v[32:33]
	v_mul_f64_e32 v[32:33], v[20:21], v[32:33]
	v_fma_f64 v[169:170], v[4:5], v[26:27], v[171:172]
	v_fma_f64 v[26:27], v[2:3], v[26:27], -v[28:29]
	v_add_f64_e32 v[28:29], v[24:25], v[22:23]
	v_add_f64_e32 v[42:43], v[42:43], v[44:45]
	ds_load_b128 v[2:5], v1 offset:1696
	ds_load_b128 v[22:25], v1 offset:1712
	v_fma_f64 v[20:21], v[20:21], v[30:31], v[167:168]
	v_fma_f64 v[18:19], v[18:19], v[30:31], -v[32:33]
	s_wait_loadcnt_dscnt 0x601
	v_mul_f64_e32 v[44:45], v[2:3], v[36:37]
	v_mul_f64_e32 v[36:37], v[4:5], v[36:37]
	s_wait_loadcnt_dscnt 0x400
	v_mul_f64_e32 v[30:31], v[22:23], v[165:166]
	v_mul_f64_e32 v[32:33], v[24:25], v[165:166]
	v_add_f64_e32 v[26:27], v[28:29], v[26:27]
	v_add_f64_e32 v[28:29], v[42:43], v[169:170]
	v_fma_f64 v[42:43], v[4:5], v[34:35], v[44:45]
	v_fma_f64 v[34:35], v[2:3], v[34:35], -v[36:37]
	v_fma_f64 v[24:25], v[24:25], v[163:164], v[30:31]
	v_fma_f64 v[22:23], v[22:23], v[163:164], -v[32:33]
	v_add_f64_e32 v[26:27], v[26:27], v[18:19]
	v_add_f64_e32 v[28:29], v[28:29], v[20:21]
	ds_load_b128 v[2:5], v1 offset:1728
	ds_load_b128 v[18:21], v1 offset:1744
	s_wait_loadcnt_dscnt 0x301
	v_mul_f64_e32 v[36:37], v[2:3], v[40:41]
	v_mul_f64_e32 v[40:41], v[4:5], v[40:41]
	s_wait_loadcnt_dscnt 0x200
	v_mul_f64_e32 v[30:31], v[18:19], v[8:9]
	v_mul_f64_e32 v[8:9], v[20:21], v[8:9]
	v_add_f64_e32 v[26:27], v[26:27], v[34:35]
	v_add_f64_e32 v[28:29], v[28:29], v[42:43]
	v_fma_f64 v[32:33], v[4:5], v[38:39], v[36:37]
	v_fma_f64 v[34:35], v[2:3], v[38:39], -v[40:41]
	v_fma_f64 v[20:21], v[20:21], v[6:7], v[30:31]
	v_fma_f64 v[6:7], v[18:19], v[6:7], -v[8:9]
	v_add_f64_e32 v[26:27], v[26:27], v[22:23]
	v_add_f64_e32 v[28:29], v[28:29], v[24:25]
	ds_load_b128 v[2:5], v1 offset:1760
	ds_load_b128 v[22:25], v1 offset:1776
	s_wait_loadcnt_dscnt 0x101
	v_mul_f64_e32 v[36:37], v[2:3], v[12:13]
	v_mul_f64_e32 v[12:13], v[4:5], v[12:13]
	v_add_f64_e32 v[8:9], v[26:27], v[34:35]
	v_add_f64_e32 v[18:19], v[28:29], v[32:33]
	s_wait_loadcnt_dscnt 0x0
	v_mul_f64_e32 v[26:27], v[22:23], v[16:17]
	v_mul_f64_e32 v[16:17], v[24:25], v[16:17]
	v_fma_f64 v[4:5], v[4:5], v[10:11], v[36:37]
	v_fma_f64 v[1:2], v[2:3], v[10:11], -v[12:13]
	v_add_f64_e32 v[6:7], v[8:9], v[6:7]
	v_add_f64_e32 v[8:9], v[18:19], v[20:21]
	v_fma_f64 v[10:11], v[24:25], v[14:15], v[26:27]
	v_fma_f64 v[12:13], v[22:23], v[14:15], -v[16:17]
	s_delay_alu instid0(VALU_DEP_4) | instskip(NEXT) | instid1(VALU_DEP_4)
	v_add_f64_e32 v[1:2], v[6:7], v[1:2]
	v_add_f64_e32 v[3:4], v[8:9], v[4:5]
	s_delay_alu instid0(VALU_DEP_2) | instskip(NEXT) | instid1(VALU_DEP_2)
	v_add_f64_e32 v[1:2], v[1:2], v[12:13]
	v_add_f64_e32 v[3:4], v[3:4], v[10:11]
	s_delay_alu instid0(VALU_DEP_2) | instskip(NEXT) | instid1(VALU_DEP_2)
	v_add_f64_e64 v[1:2], v[159:160], -v[1:2]
	v_add_f64_e64 v[3:4], v[161:162], -v[3:4]
	scratch_store_b128 off, v[1:4], off offset:672
	v_cmpx_lt_u32_e32 40, v0
	s_cbranch_execz .LBB55_269
; %bb.268:
	scratch_load_b128 v[1:4], off, s15
	v_mov_b32_e32 v5, 0
	s_delay_alu instid0(VALU_DEP_1)
	v_dual_mov_b32 v6, v5 :: v_dual_mov_b32 v7, v5
	v_mov_b32_e32 v8, v5
	scratch_store_b128 off, v[5:8], off offset:656
	s_wait_loadcnt 0x0
	ds_store_b128 v158, v[1:4]
.LBB55_269:
	s_wait_alu 0xfffe
	s_or_b32 exec_lo, exec_lo, s0
	s_wait_storecnt_dscnt 0x0
	s_barrier_signal -1
	s_barrier_wait -1
	global_inv scope:SCOPE_SE
	s_clause 0x7
	scratch_load_b128 v[2:5], off, off offset:672
	scratch_load_b128 v[6:9], off, off offset:688
	;; [unrolled: 1-line block ×8, first 2 shown]
	v_mov_b32_e32 v1, 0
	s_mov_b32 s0, exec_lo
	ds_load_b128 v[34:37], v1 offset:1552
	s_clause 0x1
	scratch_load_b128 v[38:41], off, off offset:800
	scratch_load_b128 v[42:45], off, off offset:656
	ds_load_b128 v[159:162], v1 offset:1568
	scratch_load_b128 v[163:166], off, off offset:816
	s_wait_loadcnt_dscnt 0xa01
	v_mul_f64_e32 v[167:168], v[36:37], v[4:5]
	v_mul_f64_e32 v[4:5], v[34:35], v[4:5]
	s_delay_alu instid0(VALU_DEP_2) | instskip(NEXT) | instid1(VALU_DEP_2)
	v_fma_f64 v[173:174], v[34:35], v[2:3], -v[167:168]
	v_fma_f64 v[175:176], v[36:37], v[2:3], v[4:5]
	ds_load_b128 v[2:5], v1 offset:1584
	s_wait_loadcnt_dscnt 0x901
	v_mul_f64_e32 v[171:172], v[159:160], v[8:9]
	v_mul_f64_e32 v[8:9], v[161:162], v[8:9]
	scratch_load_b128 v[34:37], off, off offset:832
	ds_load_b128 v[167:170], v1 offset:1600
	s_wait_loadcnt_dscnt 0x901
	v_mul_f64_e32 v[177:178], v[2:3], v[12:13]
	v_mul_f64_e32 v[12:13], v[4:5], v[12:13]
	v_fma_f64 v[161:162], v[161:162], v[6:7], v[171:172]
	v_fma_f64 v[159:160], v[159:160], v[6:7], -v[8:9]
	v_add_f64_e32 v[171:172], 0, v[173:174]
	v_add_f64_e32 v[173:174], 0, v[175:176]
	scratch_load_b128 v[6:9], off, off offset:848
	v_fma_f64 v[177:178], v[4:5], v[10:11], v[177:178]
	v_fma_f64 v[179:180], v[2:3], v[10:11], -v[12:13]
	ds_load_b128 v[2:5], v1 offset:1616
	s_wait_loadcnt_dscnt 0x901
	v_mul_f64_e32 v[175:176], v[167:168], v[16:17]
	v_mul_f64_e32 v[16:17], v[169:170], v[16:17]
	scratch_load_b128 v[10:13], off, off offset:864
	v_add_f64_e32 v[171:172], v[171:172], v[159:160]
	v_add_f64_e32 v[173:174], v[173:174], v[161:162]
	s_wait_loadcnt_dscnt 0x900
	v_mul_f64_e32 v[181:182], v[2:3], v[20:21]
	v_mul_f64_e32 v[20:21], v[4:5], v[20:21]
	ds_load_b128 v[159:162], v1 offset:1632
	v_fma_f64 v[169:170], v[169:170], v[14:15], v[175:176]
	v_fma_f64 v[167:168], v[167:168], v[14:15], -v[16:17]
	scratch_load_b128 v[14:17], off, off offset:880
	v_add_f64_e32 v[171:172], v[171:172], v[179:180]
	v_add_f64_e32 v[173:174], v[173:174], v[177:178]
	v_fma_f64 v[177:178], v[4:5], v[18:19], v[181:182]
	v_fma_f64 v[179:180], v[2:3], v[18:19], -v[20:21]
	ds_load_b128 v[2:5], v1 offset:1648
	s_wait_loadcnt_dscnt 0x901
	v_mul_f64_e32 v[175:176], v[159:160], v[24:25]
	v_mul_f64_e32 v[24:25], v[161:162], v[24:25]
	scratch_load_b128 v[18:21], off, off offset:896
	s_wait_loadcnt_dscnt 0x900
	v_mul_f64_e32 v[181:182], v[2:3], v[28:29]
	v_mul_f64_e32 v[28:29], v[4:5], v[28:29]
	v_add_f64_e32 v[171:172], v[171:172], v[167:168]
	v_add_f64_e32 v[173:174], v[173:174], v[169:170]
	ds_load_b128 v[167:170], v1 offset:1664
	v_fma_f64 v[161:162], v[161:162], v[22:23], v[175:176]
	v_fma_f64 v[22:23], v[159:160], v[22:23], -v[24:25]
	v_add_f64_e32 v[24:25], v[171:172], v[179:180]
	v_add_f64_e32 v[159:160], v[173:174], v[177:178]
	s_wait_loadcnt_dscnt 0x800
	v_mul_f64_e32 v[171:172], v[167:168], v[32:33]
	v_mul_f64_e32 v[32:33], v[169:170], v[32:33]
	v_fma_f64 v[173:174], v[4:5], v[26:27], v[181:182]
	v_fma_f64 v[26:27], v[2:3], v[26:27], -v[28:29]
	v_add_f64_e32 v[28:29], v[24:25], v[22:23]
	v_add_f64_e32 v[159:160], v[159:160], v[161:162]
	ds_load_b128 v[2:5], v1 offset:1680
	ds_load_b128 v[22:25], v1 offset:1696
	v_fma_f64 v[169:170], v[169:170], v[30:31], v[171:172]
	v_fma_f64 v[30:31], v[167:168], v[30:31], -v[32:33]
	s_wait_loadcnt_dscnt 0x701
	v_mul_f64_e32 v[161:162], v[2:3], v[40:41]
	v_mul_f64_e32 v[40:41], v[4:5], v[40:41]
	s_wait_loadcnt_dscnt 0x500
	v_mul_f64_e32 v[32:33], v[22:23], v[165:166]
	v_add_f64_e32 v[26:27], v[28:29], v[26:27]
	v_add_f64_e32 v[28:29], v[159:160], v[173:174]
	v_mul_f64_e32 v[159:160], v[24:25], v[165:166]
	v_fma_f64 v[161:162], v[4:5], v[38:39], v[161:162]
	v_fma_f64 v[38:39], v[2:3], v[38:39], -v[40:41]
	v_fma_f64 v[24:25], v[24:25], v[163:164], v[32:33]
	v_add_f64_e32 v[30:31], v[26:27], v[30:31]
	v_add_f64_e32 v[40:41], v[28:29], v[169:170]
	ds_load_b128 v[2:5], v1 offset:1712
	ds_load_b128 v[26:29], v1 offset:1728
	v_fma_f64 v[22:23], v[22:23], v[163:164], -v[159:160]
	s_wait_loadcnt_dscnt 0x401
	v_mul_f64_e32 v[165:166], v[2:3], v[36:37]
	v_mul_f64_e32 v[36:37], v[4:5], v[36:37]
	v_add_f64_e32 v[30:31], v[30:31], v[38:39]
	v_add_f64_e32 v[32:33], v[40:41], v[161:162]
	s_wait_loadcnt_dscnt 0x300
	v_mul_f64_e32 v[38:39], v[26:27], v[8:9]
	v_mul_f64_e32 v[8:9], v[28:29], v[8:9]
	v_fma_f64 v[40:41], v[4:5], v[34:35], v[165:166]
	v_fma_f64 v[34:35], v[2:3], v[34:35], -v[36:37]
	v_add_f64_e32 v[30:31], v[30:31], v[22:23]
	v_add_f64_e32 v[32:33], v[32:33], v[24:25]
	ds_load_b128 v[2:5], v1 offset:1744
	ds_load_b128 v[22:25], v1 offset:1760
	v_fma_f64 v[28:29], v[28:29], v[6:7], v[38:39]
	v_fma_f64 v[6:7], v[26:27], v[6:7], -v[8:9]
	s_wait_loadcnt_dscnt 0x201
	v_mul_f64_e32 v[36:37], v[2:3], v[12:13]
	v_mul_f64_e32 v[12:13], v[4:5], v[12:13]
	v_add_f64_e32 v[8:9], v[30:31], v[34:35]
	v_add_f64_e32 v[26:27], v[32:33], v[40:41]
	s_wait_loadcnt_dscnt 0x100
	v_mul_f64_e32 v[30:31], v[22:23], v[16:17]
	v_mul_f64_e32 v[16:17], v[24:25], v[16:17]
	v_fma_f64 v[32:33], v[4:5], v[10:11], v[36:37]
	v_fma_f64 v[10:11], v[2:3], v[10:11], -v[12:13]
	ds_load_b128 v[2:5], v1 offset:1776
	v_add_f64_e32 v[6:7], v[8:9], v[6:7]
	v_add_f64_e32 v[8:9], v[26:27], v[28:29]
	v_fma_f64 v[24:25], v[24:25], v[14:15], v[30:31]
	v_fma_f64 v[14:15], v[22:23], v[14:15], -v[16:17]
	s_wait_loadcnt_dscnt 0x0
	v_mul_f64_e32 v[12:13], v[2:3], v[20:21]
	v_mul_f64_e32 v[20:21], v[4:5], v[20:21]
	v_add_f64_e32 v[6:7], v[6:7], v[10:11]
	v_add_f64_e32 v[8:9], v[8:9], v[32:33]
	s_delay_alu instid0(VALU_DEP_4) | instskip(NEXT) | instid1(VALU_DEP_4)
	v_fma_f64 v[4:5], v[4:5], v[18:19], v[12:13]
	v_fma_f64 v[2:3], v[2:3], v[18:19], -v[20:21]
	s_delay_alu instid0(VALU_DEP_4) | instskip(NEXT) | instid1(VALU_DEP_4)
	v_add_f64_e32 v[6:7], v[6:7], v[14:15]
	v_add_f64_e32 v[8:9], v[8:9], v[24:25]
	s_delay_alu instid0(VALU_DEP_2) | instskip(NEXT) | instid1(VALU_DEP_2)
	v_add_f64_e32 v[2:3], v[6:7], v[2:3]
	v_add_f64_e32 v[4:5], v[8:9], v[4:5]
	s_delay_alu instid0(VALU_DEP_2) | instskip(NEXT) | instid1(VALU_DEP_2)
	v_add_f64_e64 v[2:3], v[42:43], -v[2:3]
	v_add_f64_e64 v[4:5], v[44:45], -v[4:5]
	scratch_store_b128 off, v[2:5], off offset:656
	v_cmpx_lt_u32_e32 39, v0
	s_cbranch_execz .LBB55_271
; %bb.270:
	scratch_load_b128 v[5:8], off, s14
	v_dual_mov_b32 v2, v1 :: v_dual_mov_b32 v3, v1
	v_mov_b32_e32 v4, v1
	scratch_store_b128 off, v[1:4], off offset:640
	s_wait_loadcnt 0x0
	ds_store_b128 v158, v[5:8]
.LBB55_271:
	s_wait_alu 0xfffe
	s_or_b32 exec_lo, exec_lo, s0
	s_wait_storecnt_dscnt 0x0
	s_barrier_signal -1
	s_barrier_wait -1
	global_inv scope:SCOPE_SE
	s_clause 0x8
	scratch_load_b128 v[2:5], off, off offset:656
	scratch_load_b128 v[6:9], off, off offset:672
	;; [unrolled: 1-line block ×9, first 2 shown]
	ds_load_b128 v[38:41], v1 offset:1536
	ds_load_b128 v[42:45], v1 offset:1552
	s_clause 0x1
	scratch_load_b128 v[159:162], off, off offset:640
	scratch_load_b128 v[163:166], off, off offset:800
	s_mov_b32 s0, exec_lo
	s_wait_loadcnt_dscnt 0xa01
	v_mul_f64_e32 v[167:168], v[40:41], v[4:5]
	v_mul_f64_e32 v[4:5], v[38:39], v[4:5]
	s_wait_loadcnt_dscnt 0x900
	v_mul_f64_e32 v[171:172], v[42:43], v[8:9]
	v_mul_f64_e32 v[8:9], v[44:45], v[8:9]
	s_delay_alu instid0(VALU_DEP_4) | instskip(NEXT) | instid1(VALU_DEP_4)
	v_fma_f64 v[173:174], v[38:39], v[2:3], -v[167:168]
	v_fma_f64 v[175:176], v[40:41], v[2:3], v[4:5]
	ds_load_b128 v[2:5], v1 offset:1568
	ds_load_b128 v[167:170], v1 offset:1584
	scratch_load_b128 v[38:41], off, off offset:816
	v_fma_f64 v[44:45], v[44:45], v[6:7], v[171:172]
	v_fma_f64 v[42:43], v[42:43], v[6:7], -v[8:9]
	scratch_load_b128 v[6:9], off, off offset:832
	s_wait_loadcnt_dscnt 0xa01
	v_mul_f64_e32 v[177:178], v[2:3], v[12:13]
	v_mul_f64_e32 v[12:13], v[4:5], v[12:13]
	v_add_f64_e32 v[171:172], 0, v[173:174]
	v_add_f64_e32 v[173:174], 0, v[175:176]
	s_wait_loadcnt_dscnt 0x900
	v_mul_f64_e32 v[175:176], v[167:168], v[16:17]
	v_mul_f64_e32 v[16:17], v[169:170], v[16:17]
	v_fma_f64 v[177:178], v[4:5], v[10:11], v[177:178]
	v_fma_f64 v[179:180], v[2:3], v[10:11], -v[12:13]
	ds_load_b128 v[2:5], v1 offset:1600
	scratch_load_b128 v[10:13], off, off offset:848
	v_add_f64_e32 v[171:172], v[171:172], v[42:43]
	v_add_f64_e32 v[173:174], v[173:174], v[44:45]
	ds_load_b128 v[42:45], v1 offset:1616
	v_fma_f64 v[169:170], v[169:170], v[14:15], v[175:176]
	v_fma_f64 v[167:168], v[167:168], v[14:15], -v[16:17]
	scratch_load_b128 v[14:17], off, off offset:864
	s_wait_loadcnt_dscnt 0xa01
	v_mul_f64_e32 v[181:182], v[2:3], v[20:21]
	v_mul_f64_e32 v[20:21], v[4:5], v[20:21]
	s_wait_loadcnt_dscnt 0x900
	v_mul_f64_e32 v[175:176], v[42:43], v[24:25]
	v_mul_f64_e32 v[24:25], v[44:45], v[24:25]
	v_add_f64_e32 v[171:172], v[171:172], v[179:180]
	v_add_f64_e32 v[173:174], v[173:174], v[177:178]
	v_fma_f64 v[177:178], v[4:5], v[18:19], v[181:182]
	v_fma_f64 v[179:180], v[2:3], v[18:19], -v[20:21]
	ds_load_b128 v[2:5], v1 offset:1632
	scratch_load_b128 v[18:21], off, off offset:880
	v_fma_f64 v[44:45], v[44:45], v[22:23], v[175:176]
	v_fma_f64 v[42:43], v[42:43], v[22:23], -v[24:25]
	scratch_load_b128 v[22:25], off, off offset:896
	v_add_f64_e32 v[171:172], v[171:172], v[167:168]
	v_add_f64_e32 v[173:174], v[173:174], v[169:170]
	ds_load_b128 v[167:170], v1 offset:1648
	s_wait_loadcnt_dscnt 0xa01
	v_mul_f64_e32 v[181:182], v[2:3], v[28:29]
	v_mul_f64_e32 v[28:29], v[4:5], v[28:29]
	s_wait_loadcnt_dscnt 0x900
	v_mul_f64_e32 v[175:176], v[167:168], v[32:33]
	v_mul_f64_e32 v[32:33], v[169:170], v[32:33]
	v_add_f64_e32 v[171:172], v[171:172], v[179:180]
	v_add_f64_e32 v[173:174], v[173:174], v[177:178]
	v_fma_f64 v[177:178], v[4:5], v[26:27], v[181:182]
	v_fma_f64 v[179:180], v[2:3], v[26:27], -v[28:29]
	ds_load_b128 v[2:5], v1 offset:1664
	ds_load_b128 v[26:29], v1 offset:1680
	v_fma_f64 v[169:170], v[169:170], v[30:31], v[175:176]
	v_fma_f64 v[30:31], v[167:168], v[30:31], -v[32:33]
	v_add_f64_e32 v[42:43], v[171:172], v[42:43]
	v_add_f64_e32 v[44:45], v[173:174], v[44:45]
	s_wait_loadcnt_dscnt 0x801
	v_mul_f64_e32 v[171:172], v[2:3], v[36:37]
	v_mul_f64_e32 v[36:37], v[4:5], v[36:37]
	s_delay_alu instid0(VALU_DEP_4) | instskip(NEXT) | instid1(VALU_DEP_4)
	v_add_f64_e32 v[32:33], v[42:43], v[179:180]
	v_add_f64_e32 v[42:43], v[44:45], v[177:178]
	s_wait_loadcnt_dscnt 0x600
	v_mul_f64_e32 v[44:45], v[26:27], v[165:166]
	v_mul_f64_e32 v[165:166], v[28:29], v[165:166]
	v_fma_f64 v[167:168], v[4:5], v[34:35], v[171:172]
	v_fma_f64 v[34:35], v[2:3], v[34:35], -v[36:37]
	v_add_f64_e32 v[36:37], v[32:33], v[30:31]
	v_add_f64_e32 v[42:43], v[42:43], v[169:170]
	ds_load_b128 v[2:5], v1 offset:1696
	ds_load_b128 v[30:33], v1 offset:1712
	v_fma_f64 v[28:29], v[28:29], v[163:164], v[44:45]
	v_fma_f64 v[26:27], v[26:27], v[163:164], -v[165:166]
	s_wait_loadcnt_dscnt 0x501
	v_mul_f64_e32 v[169:170], v[2:3], v[40:41]
	v_mul_f64_e32 v[40:41], v[4:5], v[40:41]
	v_add_f64_e32 v[34:35], v[36:37], v[34:35]
	v_add_f64_e32 v[36:37], v[42:43], v[167:168]
	s_wait_loadcnt_dscnt 0x400
	v_mul_f64_e32 v[42:43], v[30:31], v[8:9]
	v_mul_f64_e32 v[8:9], v[32:33], v[8:9]
	v_fma_f64 v[44:45], v[4:5], v[38:39], v[169:170]
	v_fma_f64 v[38:39], v[2:3], v[38:39], -v[40:41]
	v_add_f64_e32 v[34:35], v[34:35], v[26:27]
	v_add_f64_e32 v[36:37], v[36:37], v[28:29]
	ds_load_b128 v[2:5], v1 offset:1728
	ds_load_b128 v[26:29], v1 offset:1744
	v_fma_f64 v[32:33], v[32:33], v[6:7], v[42:43]
	v_fma_f64 v[6:7], v[30:31], v[6:7], -v[8:9]
	s_wait_loadcnt_dscnt 0x301
	v_mul_f64_e32 v[40:41], v[2:3], v[12:13]
	v_mul_f64_e32 v[12:13], v[4:5], v[12:13]
	;; [unrolled: 16-line block ×3, first 2 shown]
	s_wait_loadcnt_dscnt 0x0
	v_mul_f64_e32 v[16:17], v[6:7], v[24:25]
	v_mul_f64_e32 v[24:25], v[8:9], v[24:25]
	v_add_f64_e32 v[10:11], v[12:13], v[10:11]
	v_add_f64_e32 v[12:13], v[30:31], v[36:37]
	v_fma_f64 v[4:5], v[4:5], v[18:19], v[32:33]
	v_fma_f64 v[1:2], v[2:3], v[18:19], -v[20:21]
	v_fma_f64 v[8:9], v[8:9], v[22:23], v[16:17]
	v_fma_f64 v[6:7], v[6:7], v[22:23], -v[24:25]
	v_add_f64_e32 v[10:11], v[10:11], v[14:15]
	v_add_f64_e32 v[12:13], v[12:13], v[28:29]
	s_delay_alu instid0(VALU_DEP_2) | instskip(NEXT) | instid1(VALU_DEP_2)
	v_add_f64_e32 v[1:2], v[10:11], v[1:2]
	v_add_f64_e32 v[3:4], v[12:13], v[4:5]
	s_delay_alu instid0(VALU_DEP_2) | instskip(NEXT) | instid1(VALU_DEP_2)
	;; [unrolled: 3-line block ×3, first 2 shown]
	v_add_f64_e64 v[1:2], v[159:160], -v[1:2]
	v_add_f64_e64 v[3:4], v[161:162], -v[3:4]
	scratch_store_b128 off, v[1:4], off offset:640
	v_cmpx_lt_u32_e32 38, v0
	s_cbranch_execz .LBB55_273
; %bb.272:
	scratch_load_b128 v[1:4], off, s20
	v_mov_b32_e32 v5, 0
	s_delay_alu instid0(VALU_DEP_1)
	v_dual_mov_b32 v6, v5 :: v_dual_mov_b32 v7, v5
	v_mov_b32_e32 v8, v5
	scratch_store_b128 off, v[5:8], off offset:624
	s_wait_loadcnt 0x0
	ds_store_b128 v158, v[1:4]
.LBB55_273:
	s_wait_alu 0xfffe
	s_or_b32 exec_lo, exec_lo, s0
	s_wait_storecnt_dscnt 0x0
	s_barrier_signal -1
	s_barrier_wait -1
	global_inv scope:SCOPE_SE
	s_clause 0x7
	scratch_load_b128 v[2:5], off, off offset:640
	scratch_load_b128 v[6:9], off, off offset:656
	;; [unrolled: 1-line block ×8, first 2 shown]
	v_mov_b32_e32 v1, 0
	s_mov_b32 s0, exec_lo
	ds_load_b128 v[34:37], v1 offset:1520
	s_clause 0x1
	scratch_load_b128 v[38:41], off, off offset:768
	scratch_load_b128 v[42:45], off, off offset:624
	ds_load_b128 v[159:162], v1 offset:1536
	scratch_load_b128 v[163:166], off, off offset:784
	s_wait_loadcnt_dscnt 0xa01
	v_mul_f64_e32 v[167:168], v[36:37], v[4:5]
	v_mul_f64_e32 v[4:5], v[34:35], v[4:5]
	s_delay_alu instid0(VALU_DEP_2) | instskip(NEXT) | instid1(VALU_DEP_2)
	v_fma_f64 v[173:174], v[34:35], v[2:3], -v[167:168]
	v_fma_f64 v[175:176], v[36:37], v[2:3], v[4:5]
	ds_load_b128 v[2:5], v1 offset:1552
	s_wait_loadcnt_dscnt 0x901
	v_mul_f64_e32 v[171:172], v[159:160], v[8:9]
	v_mul_f64_e32 v[8:9], v[161:162], v[8:9]
	scratch_load_b128 v[34:37], off, off offset:800
	ds_load_b128 v[167:170], v1 offset:1568
	s_wait_loadcnt_dscnt 0x901
	v_mul_f64_e32 v[177:178], v[2:3], v[12:13]
	v_mul_f64_e32 v[12:13], v[4:5], v[12:13]
	v_fma_f64 v[161:162], v[161:162], v[6:7], v[171:172]
	v_fma_f64 v[159:160], v[159:160], v[6:7], -v[8:9]
	v_add_f64_e32 v[171:172], 0, v[173:174]
	v_add_f64_e32 v[173:174], 0, v[175:176]
	scratch_load_b128 v[6:9], off, off offset:816
	v_fma_f64 v[177:178], v[4:5], v[10:11], v[177:178]
	v_fma_f64 v[179:180], v[2:3], v[10:11], -v[12:13]
	ds_load_b128 v[2:5], v1 offset:1584
	s_wait_loadcnt_dscnt 0x901
	v_mul_f64_e32 v[175:176], v[167:168], v[16:17]
	v_mul_f64_e32 v[16:17], v[169:170], v[16:17]
	scratch_load_b128 v[10:13], off, off offset:832
	v_add_f64_e32 v[171:172], v[171:172], v[159:160]
	v_add_f64_e32 v[173:174], v[173:174], v[161:162]
	s_wait_loadcnt_dscnt 0x900
	v_mul_f64_e32 v[181:182], v[2:3], v[20:21]
	v_mul_f64_e32 v[20:21], v[4:5], v[20:21]
	ds_load_b128 v[159:162], v1 offset:1600
	v_fma_f64 v[169:170], v[169:170], v[14:15], v[175:176]
	v_fma_f64 v[167:168], v[167:168], v[14:15], -v[16:17]
	scratch_load_b128 v[14:17], off, off offset:848
	v_add_f64_e32 v[171:172], v[171:172], v[179:180]
	v_add_f64_e32 v[173:174], v[173:174], v[177:178]
	v_fma_f64 v[177:178], v[4:5], v[18:19], v[181:182]
	v_fma_f64 v[179:180], v[2:3], v[18:19], -v[20:21]
	ds_load_b128 v[2:5], v1 offset:1616
	s_wait_loadcnt_dscnt 0x901
	v_mul_f64_e32 v[175:176], v[159:160], v[24:25]
	v_mul_f64_e32 v[24:25], v[161:162], v[24:25]
	scratch_load_b128 v[18:21], off, off offset:864
	s_wait_loadcnt_dscnt 0x900
	v_mul_f64_e32 v[181:182], v[2:3], v[28:29]
	v_mul_f64_e32 v[28:29], v[4:5], v[28:29]
	v_add_f64_e32 v[171:172], v[171:172], v[167:168]
	v_add_f64_e32 v[173:174], v[173:174], v[169:170]
	ds_load_b128 v[167:170], v1 offset:1632
	v_fma_f64 v[161:162], v[161:162], v[22:23], v[175:176]
	v_fma_f64 v[159:160], v[159:160], v[22:23], -v[24:25]
	scratch_load_b128 v[22:25], off, off offset:880
	v_add_f64_e32 v[171:172], v[171:172], v[179:180]
	v_add_f64_e32 v[173:174], v[173:174], v[177:178]
	v_fma_f64 v[177:178], v[4:5], v[26:27], v[181:182]
	v_fma_f64 v[179:180], v[2:3], v[26:27], -v[28:29]
	ds_load_b128 v[2:5], v1 offset:1648
	s_wait_loadcnt_dscnt 0x901
	v_mul_f64_e32 v[175:176], v[167:168], v[32:33]
	v_mul_f64_e32 v[32:33], v[169:170], v[32:33]
	scratch_load_b128 v[26:29], off, off offset:896
	s_wait_loadcnt_dscnt 0x900
	v_mul_f64_e32 v[181:182], v[2:3], v[40:41]
	v_mul_f64_e32 v[40:41], v[4:5], v[40:41]
	v_add_f64_e32 v[171:172], v[171:172], v[159:160]
	v_add_f64_e32 v[173:174], v[173:174], v[161:162]
	ds_load_b128 v[159:162], v1 offset:1664
	v_fma_f64 v[169:170], v[169:170], v[30:31], v[175:176]
	v_fma_f64 v[30:31], v[167:168], v[30:31], -v[32:33]
	v_add_f64_e32 v[32:33], v[171:172], v[179:180]
	v_add_f64_e32 v[167:168], v[173:174], v[177:178]
	s_wait_loadcnt_dscnt 0x700
	v_mul_f64_e32 v[171:172], v[159:160], v[165:166]
	v_mul_f64_e32 v[165:166], v[161:162], v[165:166]
	v_fma_f64 v[173:174], v[4:5], v[38:39], v[181:182]
	v_fma_f64 v[38:39], v[2:3], v[38:39], -v[40:41]
	v_add_f64_e32 v[40:41], v[32:33], v[30:31]
	v_add_f64_e32 v[167:168], v[167:168], v[169:170]
	ds_load_b128 v[2:5], v1 offset:1680
	ds_load_b128 v[30:33], v1 offset:1696
	v_fma_f64 v[161:162], v[161:162], v[163:164], v[171:172]
	v_fma_f64 v[159:160], v[159:160], v[163:164], -v[165:166]
	s_wait_loadcnt_dscnt 0x601
	v_mul_f64_e32 v[169:170], v[2:3], v[36:37]
	v_mul_f64_e32 v[36:37], v[4:5], v[36:37]
	v_add_f64_e32 v[38:39], v[40:41], v[38:39]
	v_add_f64_e32 v[40:41], v[167:168], v[173:174]
	s_wait_loadcnt_dscnt 0x500
	v_mul_f64_e32 v[163:164], v[30:31], v[8:9]
	v_mul_f64_e32 v[8:9], v[32:33], v[8:9]
	v_fma_f64 v[165:166], v[4:5], v[34:35], v[169:170]
	v_fma_f64 v[167:168], v[2:3], v[34:35], -v[36:37]
	ds_load_b128 v[2:5], v1 offset:1712
	ds_load_b128 v[34:37], v1 offset:1728
	v_add_f64_e32 v[38:39], v[38:39], v[159:160]
	v_add_f64_e32 v[40:41], v[40:41], v[161:162]
	s_wait_loadcnt_dscnt 0x401
	v_mul_f64_e32 v[159:160], v[2:3], v[12:13]
	v_mul_f64_e32 v[12:13], v[4:5], v[12:13]
	v_fma_f64 v[32:33], v[32:33], v[6:7], v[163:164]
	v_fma_f64 v[6:7], v[30:31], v[6:7], -v[8:9]
	v_add_f64_e32 v[8:9], v[38:39], v[167:168]
	v_add_f64_e32 v[30:31], v[40:41], v[165:166]
	s_wait_loadcnt_dscnt 0x300
	v_mul_f64_e32 v[38:39], v[34:35], v[16:17]
	v_mul_f64_e32 v[16:17], v[36:37], v[16:17]
	v_fma_f64 v[40:41], v[4:5], v[10:11], v[159:160]
	v_fma_f64 v[10:11], v[2:3], v[10:11], -v[12:13]
	v_add_f64_e32 v[12:13], v[8:9], v[6:7]
	v_add_f64_e32 v[30:31], v[30:31], v[32:33]
	ds_load_b128 v[2:5], v1 offset:1744
	ds_load_b128 v[6:9], v1 offset:1760
	v_fma_f64 v[36:37], v[36:37], v[14:15], v[38:39]
	v_fma_f64 v[14:15], v[34:35], v[14:15], -v[16:17]
	s_wait_loadcnt_dscnt 0x201
	v_mul_f64_e32 v[32:33], v[2:3], v[20:21]
	v_mul_f64_e32 v[20:21], v[4:5], v[20:21]
	s_wait_loadcnt_dscnt 0x100
	v_mul_f64_e32 v[16:17], v[6:7], v[24:25]
	v_mul_f64_e32 v[24:25], v[8:9], v[24:25]
	v_add_f64_e32 v[10:11], v[12:13], v[10:11]
	v_add_f64_e32 v[12:13], v[30:31], v[40:41]
	v_fma_f64 v[30:31], v[4:5], v[18:19], v[32:33]
	v_fma_f64 v[18:19], v[2:3], v[18:19], -v[20:21]
	ds_load_b128 v[2:5], v1 offset:1776
	v_fma_f64 v[8:9], v[8:9], v[22:23], v[16:17]
	v_fma_f64 v[6:7], v[6:7], v[22:23], -v[24:25]
	v_add_f64_e32 v[10:11], v[10:11], v[14:15]
	v_add_f64_e32 v[12:13], v[12:13], v[36:37]
	s_wait_loadcnt_dscnt 0x0
	v_mul_f64_e32 v[14:15], v[2:3], v[28:29]
	v_mul_f64_e32 v[20:21], v[4:5], v[28:29]
	s_delay_alu instid0(VALU_DEP_4) | instskip(NEXT) | instid1(VALU_DEP_4)
	v_add_f64_e32 v[10:11], v[10:11], v[18:19]
	v_add_f64_e32 v[12:13], v[12:13], v[30:31]
	s_delay_alu instid0(VALU_DEP_4) | instskip(NEXT) | instid1(VALU_DEP_4)
	v_fma_f64 v[4:5], v[4:5], v[26:27], v[14:15]
	v_fma_f64 v[2:3], v[2:3], v[26:27], -v[20:21]
	s_delay_alu instid0(VALU_DEP_4) | instskip(NEXT) | instid1(VALU_DEP_4)
	v_add_f64_e32 v[6:7], v[10:11], v[6:7]
	v_add_f64_e32 v[8:9], v[12:13], v[8:9]
	s_delay_alu instid0(VALU_DEP_2) | instskip(NEXT) | instid1(VALU_DEP_2)
	v_add_f64_e32 v[2:3], v[6:7], v[2:3]
	v_add_f64_e32 v[4:5], v[8:9], v[4:5]
	s_delay_alu instid0(VALU_DEP_2) | instskip(NEXT) | instid1(VALU_DEP_2)
	v_add_f64_e64 v[2:3], v[42:43], -v[2:3]
	v_add_f64_e64 v[4:5], v[44:45], -v[4:5]
	scratch_store_b128 off, v[2:5], off offset:624
	v_cmpx_lt_u32_e32 37, v0
	s_cbranch_execz .LBB55_275
; %bb.274:
	scratch_load_b128 v[5:8], off, s19
	v_dual_mov_b32 v2, v1 :: v_dual_mov_b32 v3, v1
	v_mov_b32_e32 v4, v1
	scratch_store_b128 off, v[1:4], off offset:608
	s_wait_loadcnt 0x0
	ds_store_b128 v158, v[5:8]
.LBB55_275:
	s_wait_alu 0xfffe
	s_or_b32 exec_lo, exec_lo, s0
	s_wait_storecnt_dscnt 0x0
	s_barrier_signal -1
	s_barrier_wait -1
	global_inv scope:SCOPE_SE
	s_clause 0x8
	scratch_load_b128 v[2:5], off, off offset:624
	scratch_load_b128 v[6:9], off, off offset:640
	;; [unrolled: 1-line block ×9, first 2 shown]
	ds_load_b128 v[38:41], v1 offset:1504
	ds_load_b128 v[42:45], v1 offset:1520
	s_clause 0x1
	scratch_load_b128 v[159:162], off, off offset:608
	scratch_load_b128 v[163:166], off, off offset:768
	s_mov_b32 s0, exec_lo
	s_wait_loadcnt_dscnt 0xa01
	v_mul_f64_e32 v[167:168], v[40:41], v[4:5]
	v_mul_f64_e32 v[4:5], v[38:39], v[4:5]
	s_wait_loadcnt_dscnt 0x900
	v_mul_f64_e32 v[171:172], v[42:43], v[8:9]
	v_mul_f64_e32 v[8:9], v[44:45], v[8:9]
	s_delay_alu instid0(VALU_DEP_4) | instskip(NEXT) | instid1(VALU_DEP_4)
	v_fma_f64 v[173:174], v[38:39], v[2:3], -v[167:168]
	v_fma_f64 v[175:176], v[40:41], v[2:3], v[4:5]
	ds_load_b128 v[2:5], v1 offset:1536
	ds_load_b128 v[167:170], v1 offset:1552
	scratch_load_b128 v[38:41], off, off offset:784
	v_fma_f64 v[44:45], v[44:45], v[6:7], v[171:172]
	v_fma_f64 v[42:43], v[42:43], v[6:7], -v[8:9]
	scratch_load_b128 v[6:9], off, off offset:800
	s_wait_loadcnt_dscnt 0xa01
	v_mul_f64_e32 v[177:178], v[2:3], v[12:13]
	v_mul_f64_e32 v[12:13], v[4:5], v[12:13]
	v_add_f64_e32 v[171:172], 0, v[173:174]
	v_add_f64_e32 v[173:174], 0, v[175:176]
	s_wait_loadcnt_dscnt 0x900
	v_mul_f64_e32 v[175:176], v[167:168], v[16:17]
	v_mul_f64_e32 v[16:17], v[169:170], v[16:17]
	v_fma_f64 v[177:178], v[4:5], v[10:11], v[177:178]
	v_fma_f64 v[179:180], v[2:3], v[10:11], -v[12:13]
	ds_load_b128 v[2:5], v1 offset:1568
	scratch_load_b128 v[10:13], off, off offset:816
	v_add_f64_e32 v[171:172], v[171:172], v[42:43]
	v_add_f64_e32 v[173:174], v[173:174], v[44:45]
	ds_load_b128 v[42:45], v1 offset:1584
	v_fma_f64 v[169:170], v[169:170], v[14:15], v[175:176]
	v_fma_f64 v[167:168], v[167:168], v[14:15], -v[16:17]
	scratch_load_b128 v[14:17], off, off offset:832
	s_wait_loadcnt_dscnt 0xa01
	v_mul_f64_e32 v[181:182], v[2:3], v[20:21]
	v_mul_f64_e32 v[20:21], v[4:5], v[20:21]
	s_wait_loadcnt_dscnt 0x900
	v_mul_f64_e32 v[175:176], v[42:43], v[24:25]
	v_mul_f64_e32 v[24:25], v[44:45], v[24:25]
	v_add_f64_e32 v[171:172], v[171:172], v[179:180]
	v_add_f64_e32 v[173:174], v[173:174], v[177:178]
	v_fma_f64 v[177:178], v[4:5], v[18:19], v[181:182]
	v_fma_f64 v[179:180], v[2:3], v[18:19], -v[20:21]
	ds_load_b128 v[2:5], v1 offset:1600
	scratch_load_b128 v[18:21], off, off offset:848
	v_fma_f64 v[44:45], v[44:45], v[22:23], v[175:176]
	v_fma_f64 v[42:43], v[42:43], v[22:23], -v[24:25]
	scratch_load_b128 v[22:25], off, off offset:864
	v_add_f64_e32 v[171:172], v[171:172], v[167:168]
	v_add_f64_e32 v[173:174], v[173:174], v[169:170]
	ds_load_b128 v[167:170], v1 offset:1616
	s_wait_loadcnt_dscnt 0xa01
	v_mul_f64_e32 v[181:182], v[2:3], v[28:29]
	v_mul_f64_e32 v[28:29], v[4:5], v[28:29]
	s_wait_loadcnt_dscnt 0x900
	v_mul_f64_e32 v[175:176], v[167:168], v[32:33]
	v_mul_f64_e32 v[32:33], v[169:170], v[32:33]
	v_add_f64_e32 v[171:172], v[171:172], v[179:180]
	v_add_f64_e32 v[173:174], v[173:174], v[177:178]
	v_fma_f64 v[177:178], v[4:5], v[26:27], v[181:182]
	v_fma_f64 v[179:180], v[2:3], v[26:27], -v[28:29]
	ds_load_b128 v[2:5], v1 offset:1632
	scratch_load_b128 v[26:29], off, off offset:880
	v_fma_f64 v[169:170], v[169:170], v[30:31], v[175:176]
	v_fma_f64 v[167:168], v[167:168], v[30:31], -v[32:33]
	scratch_load_b128 v[30:33], off, off offset:896
	v_add_f64_e32 v[171:172], v[171:172], v[42:43]
	v_add_f64_e32 v[173:174], v[173:174], v[44:45]
	ds_load_b128 v[42:45], v1 offset:1648
	s_wait_loadcnt_dscnt 0xa01
	v_mul_f64_e32 v[181:182], v[2:3], v[36:37]
	v_mul_f64_e32 v[36:37], v[4:5], v[36:37]
	s_wait_loadcnt_dscnt 0x800
	v_mul_f64_e32 v[175:176], v[42:43], v[165:166]
	v_mul_f64_e32 v[165:166], v[44:45], v[165:166]
	v_add_f64_e32 v[171:172], v[171:172], v[179:180]
	v_add_f64_e32 v[173:174], v[173:174], v[177:178]
	v_fma_f64 v[177:178], v[4:5], v[34:35], v[181:182]
	v_fma_f64 v[179:180], v[2:3], v[34:35], -v[36:37]
	ds_load_b128 v[2:5], v1 offset:1664
	ds_load_b128 v[34:37], v1 offset:1680
	v_fma_f64 v[44:45], v[44:45], v[163:164], v[175:176]
	v_fma_f64 v[42:43], v[42:43], v[163:164], -v[165:166]
	v_add_f64_e32 v[167:168], v[171:172], v[167:168]
	v_add_f64_e32 v[169:170], v[173:174], v[169:170]
	s_wait_loadcnt_dscnt 0x701
	v_mul_f64_e32 v[171:172], v[2:3], v[40:41]
	v_mul_f64_e32 v[40:41], v[4:5], v[40:41]
	s_delay_alu instid0(VALU_DEP_4) | instskip(NEXT) | instid1(VALU_DEP_4)
	v_add_f64_e32 v[163:164], v[167:168], v[179:180]
	v_add_f64_e32 v[165:166], v[169:170], v[177:178]
	s_wait_loadcnt_dscnt 0x600
	v_mul_f64_e32 v[167:168], v[34:35], v[8:9]
	v_mul_f64_e32 v[8:9], v[36:37], v[8:9]
	v_fma_f64 v[169:170], v[4:5], v[38:39], v[171:172]
	v_fma_f64 v[171:172], v[2:3], v[38:39], -v[40:41]
	ds_load_b128 v[2:5], v1 offset:1696
	ds_load_b128 v[38:41], v1 offset:1712
	v_add_f64_e32 v[42:43], v[163:164], v[42:43]
	v_add_f64_e32 v[44:45], v[165:166], v[44:45]
	v_fma_f64 v[36:37], v[36:37], v[6:7], v[167:168]
	s_wait_loadcnt_dscnt 0x501
	v_mul_f64_e32 v[163:164], v[2:3], v[12:13]
	v_mul_f64_e32 v[12:13], v[4:5], v[12:13]
	v_fma_f64 v[6:7], v[34:35], v[6:7], -v[8:9]
	v_add_f64_e32 v[8:9], v[42:43], v[171:172]
	v_add_f64_e32 v[34:35], v[44:45], v[169:170]
	s_wait_loadcnt_dscnt 0x400
	v_mul_f64_e32 v[42:43], v[38:39], v[16:17]
	v_mul_f64_e32 v[16:17], v[40:41], v[16:17]
	v_fma_f64 v[44:45], v[4:5], v[10:11], v[163:164]
	v_fma_f64 v[10:11], v[2:3], v[10:11], -v[12:13]
	v_add_f64_e32 v[12:13], v[8:9], v[6:7]
	v_add_f64_e32 v[34:35], v[34:35], v[36:37]
	ds_load_b128 v[2:5], v1 offset:1728
	ds_load_b128 v[6:9], v1 offset:1744
	v_fma_f64 v[40:41], v[40:41], v[14:15], v[42:43]
	v_fma_f64 v[14:15], v[38:39], v[14:15], -v[16:17]
	s_wait_loadcnt_dscnt 0x301
	v_mul_f64_e32 v[36:37], v[2:3], v[20:21]
	v_mul_f64_e32 v[20:21], v[4:5], v[20:21]
	s_wait_loadcnt_dscnt 0x200
	v_mul_f64_e32 v[16:17], v[6:7], v[24:25]
	v_mul_f64_e32 v[24:25], v[8:9], v[24:25]
	v_add_f64_e32 v[10:11], v[12:13], v[10:11]
	v_add_f64_e32 v[12:13], v[34:35], v[44:45]
	v_fma_f64 v[34:35], v[4:5], v[18:19], v[36:37]
	v_fma_f64 v[18:19], v[2:3], v[18:19], -v[20:21]
	v_fma_f64 v[8:9], v[8:9], v[22:23], v[16:17]
	v_fma_f64 v[6:7], v[6:7], v[22:23], -v[24:25]
	v_add_f64_e32 v[14:15], v[10:11], v[14:15]
	v_add_f64_e32 v[20:21], v[12:13], v[40:41]
	ds_load_b128 v[2:5], v1 offset:1760
	ds_load_b128 v[10:13], v1 offset:1776
	s_wait_loadcnt_dscnt 0x101
	v_mul_f64_e32 v[36:37], v[2:3], v[28:29]
	v_mul_f64_e32 v[28:29], v[4:5], v[28:29]
	v_add_f64_e32 v[14:15], v[14:15], v[18:19]
	v_add_f64_e32 v[16:17], v[20:21], v[34:35]
	s_wait_loadcnt_dscnt 0x0
	v_mul_f64_e32 v[18:19], v[10:11], v[32:33]
	v_mul_f64_e32 v[20:21], v[12:13], v[32:33]
	v_fma_f64 v[4:5], v[4:5], v[26:27], v[36:37]
	v_fma_f64 v[1:2], v[2:3], v[26:27], -v[28:29]
	v_add_f64_e32 v[6:7], v[14:15], v[6:7]
	v_add_f64_e32 v[8:9], v[16:17], v[8:9]
	v_fma_f64 v[12:13], v[12:13], v[30:31], v[18:19]
	v_fma_f64 v[10:11], v[10:11], v[30:31], -v[20:21]
	s_delay_alu instid0(VALU_DEP_4) | instskip(NEXT) | instid1(VALU_DEP_4)
	v_add_f64_e32 v[1:2], v[6:7], v[1:2]
	v_add_f64_e32 v[3:4], v[8:9], v[4:5]
	s_delay_alu instid0(VALU_DEP_2) | instskip(NEXT) | instid1(VALU_DEP_2)
	v_add_f64_e32 v[1:2], v[1:2], v[10:11]
	v_add_f64_e32 v[3:4], v[3:4], v[12:13]
	s_delay_alu instid0(VALU_DEP_2) | instskip(NEXT) | instid1(VALU_DEP_2)
	v_add_f64_e64 v[1:2], v[159:160], -v[1:2]
	v_add_f64_e64 v[3:4], v[161:162], -v[3:4]
	scratch_store_b128 off, v[1:4], off offset:608
	v_cmpx_lt_u32_e32 36, v0
	s_cbranch_execz .LBB55_277
; %bb.276:
	scratch_load_b128 v[1:4], off, s22
	v_mov_b32_e32 v5, 0
	s_delay_alu instid0(VALU_DEP_1)
	v_dual_mov_b32 v6, v5 :: v_dual_mov_b32 v7, v5
	v_mov_b32_e32 v8, v5
	scratch_store_b128 off, v[5:8], off offset:592
	s_wait_loadcnt 0x0
	ds_store_b128 v158, v[1:4]
.LBB55_277:
	s_wait_alu 0xfffe
	s_or_b32 exec_lo, exec_lo, s0
	s_wait_storecnt_dscnt 0x0
	s_barrier_signal -1
	s_barrier_wait -1
	global_inv scope:SCOPE_SE
	s_clause 0x7
	scratch_load_b128 v[2:5], off, off offset:608
	scratch_load_b128 v[6:9], off, off offset:624
	scratch_load_b128 v[10:13], off, off offset:640
	scratch_load_b128 v[14:17], off, off offset:656
	scratch_load_b128 v[18:21], off, off offset:672
	scratch_load_b128 v[22:25], off, off offset:688
	scratch_load_b128 v[26:29], off, off offset:704
	scratch_load_b128 v[30:33], off, off offset:720
	v_mov_b32_e32 v1, 0
	s_mov_b32 s0, exec_lo
	ds_load_b128 v[34:37], v1 offset:1488
	s_clause 0x1
	scratch_load_b128 v[38:41], off, off offset:736
	scratch_load_b128 v[42:45], off, off offset:592
	ds_load_b128 v[159:162], v1 offset:1504
	scratch_load_b128 v[163:166], off, off offset:752
	s_wait_loadcnt_dscnt 0xa01
	v_mul_f64_e32 v[167:168], v[36:37], v[4:5]
	v_mul_f64_e32 v[4:5], v[34:35], v[4:5]
	s_delay_alu instid0(VALU_DEP_2) | instskip(NEXT) | instid1(VALU_DEP_2)
	v_fma_f64 v[173:174], v[34:35], v[2:3], -v[167:168]
	v_fma_f64 v[175:176], v[36:37], v[2:3], v[4:5]
	ds_load_b128 v[2:5], v1 offset:1520
	s_wait_loadcnt_dscnt 0x901
	v_mul_f64_e32 v[171:172], v[159:160], v[8:9]
	v_mul_f64_e32 v[8:9], v[161:162], v[8:9]
	scratch_load_b128 v[34:37], off, off offset:768
	ds_load_b128 v[167:170], v1 offset:1536
	s_wait_loadcnt_dscnt 0x901
	v_mul_f64_e32 v[177:178], v[2:3], v[12:13]
	v_mul_f64_e32 v[12:13], v[4:5], v[12:13]
	v_fma_f64 v[161:162], v[161:162], v[6:7], v[171:172]
	v_fma_f64 v[159:160], v[159:160], v[6:7], -v[8:9]
	v_add_f64_e32 v[171:172], 0, v[173:174]
	v_add_f64_e32 v[173:174], 0, v[175:176]
	scratch_load_b128 v[6:9], off, off offset:784
	v_fma_f64 v[177:178], v[4:5], v[10:11], v[177:178]
	v_fma_f64 v[179:180], v[2:3], v[10:11], -v[12:13]
	ds_load_b128 v[2:5], v1 offset:1552
	s_wait_loadcnt_dscnt 0x901
	v_mul_f64_e32 v[175:176], v[167:168], v[16:17]
	v_mul_f64_e32 v[16:17], v[169:170], v[16:17]
	scratch_load_b128 v[10:13], off, off offset:800
	v_add_f64_e32 v[171:172], v[171:172], v[159:160]
	v_add_f64_e32 v[173:174], v[173:174], v[161:162]
	s_wait_loadcnt_dscnt 0x900
	v_mul_f64_e32 v[181:182], v[2:3], v[20:21]
	v_mul_f64_e32 v[20:21], v[4:5], v[20:21]
	ds_load_b128 v[159:162], v1 offset:1568
	v_fma_f64 v[169:170], v[169:170], v[14:15], v[175:176]
	v_fma_f64 v[167:168], v[167:168], v[14:15], -v[16:17]
	scratch_load_b128 v[14:17], off, off offset:816
	v_add_f64_e32 v[171:172], v[171:172], v[179:180]
	v_add_f64_e32 v[173:174], v[173:174], v[177:178]
	v_fma_f64 v[177:178], v[4:5], v[18:19], v[181:182]
	v_fma_f64 v[179:180], v[2:3], v[18:19], -v[20:21]
	ds_load_b128 v[2:5], v1 offset:1584
	s_wait_loadcnt_dscnt 0x901
	v_mul_f64_e32 v[175:176], v[159:160], v[24:25]
	v_mul_f64_e32 v[24:25], v[161:162], v[24:25]
	scratch_load_b128 v[18:21], off, off offset:832
	s_wait_loadcnt_dscnt 0x900
	v_mul_f64_e32 v[181:182], v[2:3], v[28:29]
	v_mul_f64_e32 v[28:29], v[4:5], v[28:29]
	v_add_f64_e32 v[171:172], v[171:172], v[167:168]
	v_add_f64_e32 v[173:174], v[173:174], v[169:170]
	ds_load_b128 v[167:170], v1 offset:1600
	v_fma_f64 v[161:162], v[161:162], v[22:23], v[175:176]
	v_fma_f64 v[159:160], v[159:160], v[22:23], -v[24:25]
	scratch_load_b128 v[22:25], off, off offset:848
	v_add_f64_e32 v[171:172], v[171:172], v[179:180]
	v_add_f64_e32 v[173:174], v[173:174], v[177:178]
	v_fma_f64 v[177:178], v[4:5], v[26:27], v[181:182]
	v_fma_f64 v[179:180], v[2:3], v[26:27], -v[28:29]
	ds_load_b128 v[2:5], v1 offset:1616
	s_wait_loadcnt_dscnt 0x901
	v_mul_f64_e32 v[175:176], v[167:168], v[32:33]
	v_mul_f64_e32 v[32:33], v[169:170], v[32:33]
	scratch_load_b128 v[26:29], off, off offset:864
	s_wait_loadcnt_dscnt 0x900
	v_mul_f64_e32 v[181:182], v[2:3], v[40:41]
	v_mul_f64_e32 v[40:41], v[4:5], v[40:41]
	v_add_f64_e32 v[171:172], v[171:172], v[159:160]
	v_add_f64_e32 v[173:174], v[173:174], v[161:162]
	ds_load_b128 v[159:162], v1 offset:1632
	v_fma_f64 v[169:170], v[169:170], v[30:31], v[175:176]
	v_fma_f64 v[167:168], v[167:168], v[30:31], -v[32:33]
	scratch_load_b128 v[30:33], off, off offset:880
	v_add_f64_e32 v[171:172], v[171:172], v[179:180]
	v_add_f64_e32 v[173:174], v[173:174], v[177:178]
	v_fma_f64 v[179:180], v[4:5], v[38:39], v[181:182]
	v_fma_f64 v[181:182], v[2:3], v[38:39], -v[40:41]
	ds_load_b128 v[2:5], v1 offset:1648
	s_wait_loadcnt_dscnt 0x801
	v_mul_f64_e32 v[175:176], v[159:160], v[165:166]
	v_mul_f64_e32 v[177:178], v[161:162], v[165:166]
	scratch_load_b128 v[38:41], off, off offset:896
	v_add_f64_e32 v[171:172], v[171:172], v[167:168]
	v_add_f64_e32 v[169:170], v[173:174], v[169:170]
	ds_load_b128 v[165:168], v1 offset:1664
	v_fma_f64 v[161:162], v[161:162], v[163:164], v[175:176]
	v_fma_f64 v[159:160], v[159:160], v[163:164], -v[177:178]
	s_wait_loadcnt_dscnt 0x801
	v_mul_f64_e32 v[173:174], v[2:3], v[36:37]
	v_mul_f64_e32 v[36:37], v[4:5], v[36:37]
	v_add_f64_e32 v[163:164], v[171:172], v[181:182]
	v_add_f64_e32 v[169:170], v[169:170], v[179:180]
	s_delay_alu instid0(VALU_DEP_4) | instskip(NEXT) | instid1(VALU_DEP_4)
	v_fma_f64 v[173:174], v[4:5], v[34:35], v[173:174]
	v_fma_f64 v[175:176], v[2:3], v[34:35], -v[36:37]
	s_wait_loadcnt_dscnt 0x700
	v_mul_f64_e32 v[171:172], v[165:166], v[8:9]
	v_mul_f64_e32 v[8:9], v[167:168], v[8:9]
	ds_load_b128 v[2:5], v1 offset:1680
	ds_load_b128 v[34:37], v1 offset:1696
	v_add_f64_e32 v[159:160], v[163:164], v[159:160]
	v_add_f64_e32 v[161:162], v[169:170], v[161:162]
	s_wait_loadcnt_dscnt 0x601
	v_mul_f64_e32 v[163:164], v[2:3], v[12:13]
	v_mul_f64_e32 v[12:13], v[4:5], v[12:13]
	v_fma_f64 v[167:168], v[167:168], v[6:7], v[171:172]
	v_fma_f64 v[6:7], v[165:166], v[6:7], -v[8:9]
	v_add_f64_e32 v[8:9], v[159:160], v[175:176]
	v_add_f64_e32 v[159:160], v[161:162], v[173:174]
	s_wait_loadcnt_dscnt 0x500
	v_mul_f64_e32 v[161:162], v[34:35], v[16:17]
	v_mul_f64_e32 v[16:17], v[36:37], v[16:17]
	v_fma_f64 v[163:164], v[4:5], v[10:11], v[163:164]
	v_fma_f64 v[10:11], v[2:3], v[10:11], -v[12:13]
	v_add_f64_e32 v[12:13], v[8:9], v[6:7]
	v_add_f64_e32 v[159:160], v[159:160], v[167:168]
	ds_load_b128 v[2:5], v1 offset:1712
	ds_load_b128 v[6:9], v1 offset:1728
	v_fma_f64 v[36:37], v[36:37], v[14:15], v[161:162]
	v_fma_f64 v[14:15], v[34:35], v[14:15], -v[16:17]
	s_wait_loadcnt_dscnt 0x401
	v_mul_f64_e32 v[165:166], v[2:3], v[20:21]
	v_mul_f64_e32 v[20:21], v[4:5], v[20:21]
	s_wait_loadcnt_dscnt 0x300
	v_mul_f64_e32 v[16:17], v[6:7], v[24:25]
	v_mul_f64_e32 v[24:25], v[8:9], v[24:25]
	v_add_f64_e32 v[10:11], v[12:13], v[10:11]
	v_add_f64_e32 v[12:13], v[159:160], v[163:164]
	v_fma_f64 v[34:35], v[4:5], v[18:19], v[165:166]
	v_fma_f64 v[18:19], v[2:3], v[18:19], -v[20:21]
	v_fma_f64 v[8:9], v[8:9], v[22:23], v[16:17]
	v_fma_f64 v[6:7], v[6:7], v[22:23], -v[24:25]
	v_add_f64_e32 v[14:15], v[10:11], v[14:15]
	v_add_f64_e32 v[20:21], v[12:13], v[36:37]
	ds_load_b128 v[2:5], v1 offset:1744
	ds_load_b128 v[10:13], v1 offset:1760
	s_wait_loadcnt_dscnt 0x201
	v_mul_f64_e32 v[36:37], v[2:3], v[28:29]
	v_mul_f64_e32 v[28:29], v[4:5], v[28:29]
	v_add_f64_e32 v[14:15], v[14:15], v[18:19]
	v_add_f64_e32 v[16:17], v[20:21], v[34:35]
	s_wait_loadcnt_dscnt 0x100
	v_mul_f64_e32 v[18:19], v[10:11], v[32:33]
	v_mul_f64_e32 v[20:21], v[12:13], v[32:33]
	v_fma_f64 v[22:23], v[4:5], v[26:27], v[36:37]
	v_fma_f64 v[24:25], v[2:3], v[26:27], -v[28:29]
	ds_load_b128 v[2:5], v1 offset:1776
	v_add_f64_e32 v[6:7], v[14:15], v[6:7]
	v_add_f64_e32 v[8:9], v[16:17], v[8:9]
	v_fma_f64 v[12:13], v[12:13], v[30:31], v[18:19]
	v_fma_f64 v[10:11], v[10:11], v[30:31], -v[20:21]
	s_wait_loadcnt_dscnt 0x0
	v_mul_f64_e32 v[14:15], v[2:3], v[40:41]
	v_mul_f64_e32 v[16:17], v[4:5], v[40:41]
	v_add_f64_e32 v[6:7], v[6:7], v[24:25]
	v_add_f64_e32 v[8:9], v[8:9], v[22:23]
	s_delay_alu instid0(VALU_DEP_4) | instskip(NEXT) | instid1(VALU_DEP_4)
	v_fma_f64 v[4:5], v[4:5], v[38:39], v[14:15]
	v_fma_f64 v[2:3], v[2:3], v[38:39], -v[16:17]
	s_delay_alu instid0(VALU_DEP_4) | instskip(NEXT) | instid1(VALU_DEP_4)
	v_add_f64_e32 v[6:7], v[6:7], v[10:11]
	v_add_f64_e32 v[8:9], v[8:9], v[12:13]
	s_delay_alu instid0(VALU_DEP_2) | instskip(NEXT) | instid1(VALU_DEP_2)
	v_add_f64_e32 v[2:3], v[6:7], v[2:3]
	v_add_f64_e32 v[4:5], v[8:9], v[4:5]
	s_delay_alu instid0(VALU_DEP_2) | instskip(NEXT) | instid1(VALU_DEP_2)
	v_add_f64_e64 v[2:3], v[42:43], -v[2:3]
	v_add_f64_e64 v[4:5], v[44:45], -v[4:5]
	scratch_store_b128 off, v[2:5], off offset:592
	v_cmpx_lt_u32_e32 35, v0
	s_cbranch_execz .LBB55_279
; %bb.278:
	scratch_load_b128 v[5:8], off, s21
	v_dual_mov_b32 v2, v1 :: v_dual_mov_b32 v3, v1
	v_mov_b32_e32 v4, v1
	scratch_store_b128 off, v[1:4], off offset:576
	s_wait_loadcnt 0x0
	ds_store_b128 v158, v[5:8]
.LBB55_279:
	s_wait_alu 0xfffe
	s_or_b32 exec_lo, exec_lo, s0
	s_wait_storecnt_dscnt 0x0
	s_barrier_signal -1
	s_barrier_wait -1
	global_inv scope:SCOPE_SE
	s_clause 0x8
	scratch_load_b128 v[2:5], off, off offset:592
	scratch_load_b128 v[6:9], off, off offset:608
	;; [unrolled: 1-line block ×9, first 2 shown]
	ds_load_b128 v[38:41], v1 offset:1472
	ds_load_b128 v[42:45], v1 offset:1488
	s_clause 0x1
	scratch_load_b128 v[159:162], off, off offset:576
	scratch_load_b128 v[163:166], off, off offset:736
	s_mov_b32 s0, exec_lo
	s_wait_loadcnt_dscnt 0xa01
	v_mul_f64_e32 v[167:168], v[40:41], v[4:5]
	v_mul_f64_e32 v[4:5], v[38:39], v[4:5]
	s_wait_loadcnt_dscnt 0x900
	v_mul_f64_e32 v[171:172], v[42:43], v[8:9]
	v_mul_f64_e32 v[8:9], v[44:45], v[8:9]
	s_delay_alu instid0(VALU_DEP_4) | instskip(NEXT) | instid1(VALU_DEP_4)
	v_fma_f64 v[173:174], v[38:39], v[2:3], -v[167:168]
	v_fma_f64 v[175:176], v[40:41], v[2:3], v[4:5]
	ds_load_b128 v[2:5], v1 offset:1504
	ds_load_b128 v[167:170], v1 offset:1520
	scratch_load_b128 v[38:41], off, off offset:752
	v_fma_f64 v[44:45], v[44:45], v[6:7], v[171:172]
	v_fma_f64 v[42:43], v[42:43], v[6:7], -v[8:9]
	scratch_load_b128 v[6:9], off, off offset:768
	s_wait_loadcnt_dscnt 0xa01
	v_mul_f64_e32 v[177:178], v[2:3], v[12:13]
	v_mul_f64_e32 v[12:13], v[4:5], v[12:13]
	v_add_f64_e32 v[171:172], 0, v[173:174]
	v_add_f64_e32 v[173:174], 0, v[175:176]
	s_wait_loadcnt_dscnt 0x900
	v_mul_f64_e32 v[175:176], v[167:168], v[16:17]
	v_mul_f64_e32 v[16:17], v[169:170], v[16:17]
	v_fma_f64 v[177:178], v[4:5], v[10:11], v[177:178]
	v_fma_f64 v[179:180], v[2:3], v[10:11], -v[12:13]
	ds_load_b128 v[2:5], v1 offset:1536
	scratch_load_b128 v[10:13], off, off offset:784
	v_add_f64_e32 v[171:172], v[171:172], v[42:43]
	v_add_f64_e32 v[173:174], v[173:174], v[44:45]
	ds_load_b128 v[42:45], v1 offset:1552
	v_fma_f64 v[169:170], v[169:170], v[14:15], v[175:176]
	v_fma_f64 v[167:168], v[167:168], v[14:15], -v[16:17]
	scratch_load_b128 v[14:17], off, off offset:800
	s_wait_loadcnt_dscnt 0xa01
	v_mul_f64_e32 v[181:182], v[2:3], v[20:21]
	v_mul_f64_e32 v[20:21], v[4:5], v[20:21]
	s_wait_loadcnt_dscnt 0x900
	v_mul_f64_e32 v[175:176], v[42:43], v[24:25]
	v_mul_f64_e32 v[24:25], v[44:45], v[24:25]
	v_add_f64_e32 v[171:172], v[171:172], v[179:180]
	v_add_f64_e32 v[173:174], v[173:174], v[177:178]
	v_fma_f64 v[177:178], v[4:5], v[18:19], v[181:182]
	v_fma_f64 v[179:180], v[2:3], v[18:19], -v[20:21]
	ds_load_b128 v[2:5], v1 offset:1568
	scratch_load_b128 v[18:21], off, off offset:816
	v_fma_f64 v[44:45], v[44:45], v[22:23], v[175:176]
	v_fma_f64 v[42:43], v[42:43], v[22:23], -v[24:25]
	scratch_load_b128 v[22:25], off, off offset:832
	v_add_f64_e32 v[171:172], v[171:172], v[167:168]
	v_add_f64_e32 v[173:174], v[173:174], v[169:170]
	ds_load_b128 v[167:170], v1 offset:1584
	s_wait_loadcnt_dscnt 0xa01
	v_mul_f64_e32 v[181:182], v[2:3], v[28:29]
	v_mul_f64_e32 v[28:29], v[4:5], v[28:29]
	s_wait_loadcnt_dscnt 0x900
	v_mul_f64_e32 v[175:176], v[167:168], v[32:33]
	v_mul_f64_e32 v[32:33], v[169:170], v[32:33]
	v_add_f64_e32 v[171:172], v[171:172], v[179:180]
	v_add_f64_e32 v[173:174], v[173:174], v[177:178]
	v_fma_f64 v[177:178], v[4:5], v[26:27], v[181:182]
	v_fma_f64 v[179:180], v[2:3], v[26:27], -v[28:29]
	ds_load_b128 v[2:5], v1 offset:1600
	scratch_load_b128 v[26:29], off, off offset:848
	v_fma_f64 v[169:170], v[169:170], v[30:31], v[175:176]
	v_fma_f64 v[167:168], v[167:168], v[30:31], -v[32:33]
	scratch_load_b128 v[30:33], off, off offset:864
	v_add_f64_e32 v[171:172], v[171:172], v[42:43]
	v_add_f64_e32 v[173:174], v[173:174], v[44:45]
	ds_load_b128 v[42:45], v1 offset:1616
	s_wait_loadcnt_dscnt 0xa01
	v_mul_f64_e32 v[181:182], v[2:3], v[36:37]
	v_mul_f64_e32 v[36:37], v[4:5], v[36:37]
	s_wait_loadcnt_dscnt 0x800
	v_mul_f64_e32 v[175:176], v[42:43], v[165:166]
	v_add_f64_e32 v[171:172], v[171:172], v[179:180]
	v_add_f64_e32 v[173:174], v[173:174], v[177:178]
	v_mul_f64_e32 v[177:178], v[44:45], v[165:166]
	v_fma_f64 v[179:180], v[4:5], v[34:35], v[181:182]
	v_fma_f64 v[181:182], v[2:3], v[34:35], -v[36:37]
	ds_load_b128 v[2:5], v1 offset:1632
	scratch_load_b128 v[34:37], off, off offset:880
	v_fma_f64 v[44:45], v[44:45], v[163:164], v[175:176]
	v_add_f64_e32 v[171:172], v[171:172], v[167:168]
	v_add_f64_e32 v[169:170], v[173:174], v[169:170]
	ds_load_b128 v[165:168], v1 offset:1648
	v_fma_f64 v[163:164], v[42:43], v[163:164], -v[177:178]
	s_wait_loadcnt_dscnt 0x801
	v_mul_f64_e32 v[173:174], v[2:3], v[40:41]
	v_mul_f64_e32 v[183:184], v[4:5], v[40:41]
	scratch_load_b128 v[40:43], off, off offset:896
	s_wait_loadcnt_dscnt 0x800
	v_mul_f64_e32 v[175:176], v[165:166], v[8:9]
	v_mul_f64_e32 v[8:9], v[167:168], v[8:9]
	v_add_f64_e32 v[171:172], v[171:172], v[181:182]
	v_add_f64_e32 v[169:170], v[169:170], v[179:180]
	v_fma_f64 v[173:174], v[4:5], v[38:39], v[173:174]
	v_fma_f64 v[38:39], v[2:3], v[38:39], -v[183:184]
	v_fma_f64 v[167:168], v[167:168], v[6:7], v[175:176]
	v_fma_f64 v[6:7], v[165:166], v[6:7], -v[8:9]
	v_add_f64_e32 v[163:164], v[171:172], v[163:164]
	v_add_f64_e32 v[44:45], v[169:170], v[44:45]
	ds_load_b128 v[2:5], v1 offset:1664
	ds_load_b128 v[169:172], v1 offset:1680
	s_wait_loadcnt_dscnt 0x701
	v_mul_f64_e32 v[177:178], v[2:3], v[12:13]
	v_mul_f64_e32 v[12:13], v[4:5], v[12:13]
	v_add_f64_e32 v[8:9], v[163:164], v[38:39]
	v_add_f64_e32 v[38:39], v[44:45], v[173:174]
	s_wait_loadcnt_dscnt 0x600
	v_mul_f64_e32 v[44:45], v[169:170], v[16:17]
	v_mul_f64_e32 v[16:17], v[171:172], v[16:17]
	v_fma_f64 v[163:164], v[4:5], v[10:11], v[177:178]
	v_fma_f64 v[10:11], v[2:3], v[10:11], -v[12:13]
	v_add_f64_e32 v[12:13], v[8:9], v[6:7]
	v_add_f64_e32 v[38:39], v[38:39], v[167:168]
	ds_load_b128 v[2:5], v1 offset:1696
	ds_load_b128 v[6:9], v1 offset:1712
	v_fma_f64 v[44:45], v[171:172], v[14:15], v[44:45]
	v_fma_f64 v[14:15], v[169:170], v[14:15], -v[16:17]
	s_wait_loadcnt_dscnt 0x501
	v_mul_f64_e32 v[165:166], v[2:3], v[20:21]
	v_mul_f64_e32 v[20:21], v[4:5], v[20:21]
	s_wait_loadcnt_dscnt 0x400
	v_mul_f64_e32 v[16:17], v[6:7], v[24:25]
	v_mul_f64_e32 v[24:25], v[8:9], v[24:25]
	v_add_f64_e32 v[10:11], v[12:13], v[10:11]
	v_add_f64_e32 v[12:13], v[38:39], v[163:164]
	v_fma_f64 v[38:39], v[4:5], v[18:19], v[165:166]
	v_fma_f64 v[18:19], v[2:3], v[18:19], -v[20:21]
	v_fma_f64 v[8:9], v[8:9], v[22:23], v[16:17]
	v_fma_f64 v[6:7], v[6:7], v[22:23], -v[24:25]
	v_add_f64_e32 v[14:15], v[10:11], v[14:15]
	v_add_f64_e32 v[20:21], v[12:13], v[44:45]
	ds_load_b128 v[2:5], v1 offset:1728
	ds_load_b128 v[10:13], v1 offset:1744
	s_wait_loadcnt_dscnt 0x301
	v_mul_f64_e32 v[44:45], v[2:3], v[28:29]
	v_mul_f64_e32 v[28:29], v[4:5], v[28:29]
	v_add_f64_e32 v[14:15], v[14:15], v[18:19]
	v_add_f64_e32 v[16:17], v[20:21], v[38:39]
	s_wait_loadcnt_dscnt 0x200
	v_mul_f64_e32 v[18:19], v[10:11], v[32:33]
	v_mul_f64_e32 v[20:21], v[12:13], v[32:33]
	v_fma_f64 v[22:23], v[4:5], v[26:27], v[44:45]
	v_fma_f64 v[24:25], v[2:3], v[26:27], -v[28:29]
	v_add_f64_e32 v[14:15], v[14:15], v[6:7]
	v_add_f64_e32 v[16:17], v[16:17], v[8:9]
	ds_load_b128 v[2:5], v1 offset:1760
	ds_load_b128 v[6:9], v1 offset:1776
	v_fma_f64 v[12:13], v[12:13], v[30:31], v[18:19]
	v_fma_f64 v[10:11], v[10:11], v[30:31], -v[20:21]
	s_wait_loadcnt_dscnt 0x101
	v_mul_f64_e32 v[26:27], v[2:3], v[36:37]
	v_mul_f64_e32 v[28:29], v[4:5], v[36:37]
	s_wait_loadcnt_dscnt 0x0
	v_mul_f64_e32 v[18:19], v[6:7], v[42:43]
	v_add_f64_e32 v[14:15], v[14:15], v[24:25]
	v_add_f64_e32 v[16:17], v[16:17], v[22:23]
	v_mul_f64_e32 v[20:21], v[8:9], v[42:43]
	v_fma_f64 v[4:5], v[4:5], v[34:35], v[26:27]
	v_fma_f64 v[1:2], v[2:3], v[34:35], -v[28:29]
	v_fma_f64 v[8:9], v[8:9], v[40:41], v[18:19]
	v_add_f64_e32 v[10:11], v[14:15], v[10:11]
	v_add_f64_e32 v[12:13], v[16:17], v[12:13]
	v_fma_f64 v[6:7], v[6:7], v[40:41], -v[20:21]
	s_delay_alu instid0(VALU_DEP_3) | instskip(NEXT) | instid1(VALU_DEP_3)
	v_add_f64_e32 v[1:2], v[10:11], v[1:2]
	v_add_f64_e32 v[3:4], v[12:13], v[4:5]
	s_delay_alu instid0(VALU_DEP_2) | instskip(NEXT) | instid1(VALU_DEP_2)
	v_add_f64_e32 v[1:2], v[1:2], v[6:7]
	v_add_f64_e32 v[3:4], v[3:4], v[8:9]
	s_delay_alu instid0(VALU_DEP_2) | instskip(NEXT) | instid1(VALU_DEP_2)
	v_add_f64_e64 v[1:2], v[159:160], -v[1:2]
	v_add_f64_e64 v[3:4], v[161:162], -v[3:4]
	scratch_store_b128 off, v[1:4], off offset:576
	v_cmpx_lt_u32_e32 34, v0
	s_cbranch_execz .LBB55_281
; %bb.280:
	scratch_load_b128 v[1:4], off, s24
	v_mov_b32_e32 v5, 0
	s_delay_alu instid0(VALU_DEP_1)
	v_dual_mov_b32 v6, v5 :: v_dual_mov_b32 v7, v5
	v_mov_b32_e32 v8, v5
	scratch_store_b128 off, v[5:8], off offset:560
	s_wait_loadcnt 0x0
	ds_store_b128 v158, v[1:4]
.LBB55_281:
	s_wait_alu 0xfffe
	s_or_b32 exec_lo, exec_lo, s0
	s_wait_storecnt_dscnt 0x0
	s_barrier_signal -1
	s_barrier_wait -1
	global_inv scope:SCOPE_SE
	s_clause 0x7
	scratch_load_b128 v[2:5], off, off offset:576
	scratch_load_b128 v[6:9], off, off offset:592
	;; [unrolled: 1-line block ×8, first 2 shown]
	v_mov_b32_e32 v1, 0
	s_mov_b32 s0, exec_lo
	ds_load_b128 v[34:37], v1 offset:1456
	s_clause 0x1
	scratch_load_b128 v[38:41], off, off offset:704
	scratch_load_b128 v[42:45], off, off offset:560
	ds_load_b128 v[159:162], v1 offset:1472
	scratch_load_b128 v[163:166], off, off offset:720
	s_wait_loadcnt_dscnt 0xa01
	v_mul_f64_e32 v[167:168], v[36:37], v[4:5]
	v_mul_f64_e32 v[4:5], v[34:35], v[4:5]
	s_delay_alu instid0(VALU_DEP_2) | instskip(NEXT) | instid1(VALU_DEP_2)
	v_fma_f64 v[173:174], v[34:35], v[2:3], -v[167:168]
	v_fma_f64 v[175:176], v[36:37], v[2:3], v[4:5]
	ds_load_b128 v[2:5], v1 offset:1488
	s_wait_loadcnt_dscnt 0x901
	v_mul_f64_e32 v[171:172], v[159:160], v[8:9]
	v_mul_f64_e32 v[8:9], v[161:162], v[8:9]
	scratch_load_b128 v[34:37], off, off offset:736
	ds_load_b128 v[167:170], v1 offset:1504
	s_wait_loadcnt_dscnt 0x901
	v_mul_f64_e32 v[177:178], v[2:3], v[12:13]
	v_mul_f64_e32 v[12:13], v[4:5], v[12:13]
	v_fma_f64 v[161:162], v[161:162], v[6:7], v[171:172]
	v_fma_f64 v[159:160], v[159:160], v[6:7], -v[8:9]
	v_add_f64_e32 v[171:172], 0, v[173:174]
	v_add_f64_e32 v[173:174], 0, v[175:176]
	scratch_load_b128 v[6:9], off, off offset:752
	v_fma_f64 v[177:178], v[4:5], v[10:11], v[177:178]
	v_fma_f64 v[179:180], v[2:3], v[10:11], -v[12:13]
	ds_load_b128 v[2:5], v1 offset:1520
	s_wait_loadcnt_dscnt 0x901
	v_mul_f64_e32 v[175:176], v[167:168], v[16:17]
	v_mul_f64_e32 v[16:17], v[169:170], v[16:17]
	scratch_load_b128 v[10:13], off, off offset:768
	v_add_f64_e32 v[171:172], v[171:172], v[159:160]
	v_add_f64_e32 v[173:174], v[173:174], v[161:162]
	s_wait_loadcnt_dscnt 0x900
	v_mul_f64_e32 v[181:182], v[2:3], v[20:21]
	v_mul_f64_e32 v[20:21], v[4:5], v[20:21]
	ds_load_b128 v[159:162], v1 offset:1536
	v_fma_f64 v[169:170], v[169:170], v[14:15], v[175:176]
	v_fma_f64 v[167:168], v[167:168], v[14:15], -v[16:17]
	scratch_load_b128 v[14:17], off, off offset:784
	v_add_f64_e32 v[171:172], v[171:172], v[179:180]
	v_add_f64_e32 v[173:174], v[173:174], v[177:178]
	v_fma_f64 v[177:178], v[4:5], v[18:19], v[181:182]
	v_fma_f64 v[179:180], v[2:3], v[18:19], -v[20:21]
	ds_load_b128 v[2:5], v1 offset:1552
	s_wait_loadcnt_dscnt 0x901
	v_mul_f64_e32 v[175:176], v[159:160], v[24:25]
	v_mul_f64_e32 v[24:25], v[161:162], v[24:25]
	scratch_load_b128 v[18:21], off, off offset:800
	s_wait_loadcnt_dscnt 0x900
	v_mul_f64_e32 v[181:182], v[2:3], v[28:29]
	v_mul_f64_e32 v[28:29], v[4:5], v[28:29]
	v_add_f64_e32 v[171:172], v[171:172], v[167:168]
	v_add_f64_e32 v[173:174], v[173:174], v[169:170]
	ds_load_b128 v[167:170], v1 offset:1568
	v_fma_f64 v[161:162], v[161:162], v[22:23], v[175:176]
	v_fma_f64 v[159:160], v[159:160], v[22:23], -v[24:25]
	scratch_load_b128 v[22:25], off, off offset:816
	v_add_f64_e32 v[171:172], v[171:172], v[179:180]
	v_add_f64_e32 v[173:174], v[173:174], v[177:178]
	v_fma_f64 v[177:178], v[4:5], v[26:27], v[181:182]
	v_fma_f64 v[179:180], v[2:3], v[26:27], -v[28:29]
	ds_load_b128 v[2:5], v1 offset:1584
	s_wait_loadcnt_dscnt 0x901
	v_mul_f64_e32 v[175:176], v[167:168], v[32:33]
	v_mul_f64_e32 v[32:33], v[169:170], v[32:33]
	scratch_load_b128 v[26:29], off, off offset:832
	s_wait_loadcnt_dscnt 0x900
	v_mul_f64_e32 v[181:182], v[2:3], v[40:41]
	v_mul_f64_e32 v[40:41], v[4:5], v[40:41]
	v_add_f64_e32 v[171:172], v[171:172], v[159:160]
	v_add_f64_e32 v[173:174], v[173:174], v[161:162]
	ds_load_b128 v[159:162], v1 offset:1600
	v_fma_f64 v[169:170], v[169:170], v[30:31], v[175:176]
	v_fma_f64 v[167:168], v[167:168], v[30:31], -v[32:33]
	scratch_load_b128 v[30:33], off, off offset:848
	v_add_f64_e32 v[171:172], v[171:172], v[179:180]
	v_add_f64_e32 v[173:174], v[173:174], v[177:178]
	v_fma_f64 v[179:180], v[4:5], v[38:39], v[181:182]
	v_fma_f64 v[181:182], v[2:3], v[38:39], -v[40:41]
	ds_load_b128 v[2:5], v1 offset:1616
	s_wait_loadcnt_dscnt 0x801
	v_mul_f64_e32 v[175:176], v[159:160], v[165:166]
	v_mul_f64_e32 v[177:178], v[161:162], v[165:166]
	scratch_load_b128 v[38:41], off, off offset:864
	v_add_f64_e32 v[171:172], v[171:172], v[167:168]
	v_add_f64_e32 v[169:170], v[173:174], v[169:170]
	ds_load_b128 v[165:168], v1 offset:1632
	v_fma_f64 v[175:176], v[161:162], v[163:164], v[175:176]
	v_fma_f64 v[163:164], v[159:160], v[163:164], -v[177:178]
	scratch_load_b128 v[159:162], off, off offset:880
	s_wait_loadcnt_dscnt 0x901
	v_mul_f64_e32 v[173:174], v[2:3], v[36:37]
	v_mul_f64_e32 v[36:37], v[4:5], v[36:37]
	v_add_f64_e32 v[171:172], v[171:172], v[181:182]
	v_add_f64_e32 v[169:170], v[169:170], v[179:180]
	s_delay_alu instid0(VALU_DEP_4) | instskip(NEXT) | instid1(VALU_DEP_4)
	v_fma_f64 v[173:174], v[4:5], v[34:35], v[173:174]
	v_fma_f64 v[179:180], v[2:3], v[34:35], -v[36:37]
	ds_load_b128 v[2:5], v1 offset:1648
	s_wait_loadcnt_dscnt 0x801
	v_mul_f64_e32 v[177:178], v[165:166], v[8:9]
	v_mul_f64_e32 v[8:9], v[167:168], v[8:9]
	scratch_load_b128 v[34:37], off, off offset:896
	s_wait_loadcnt_dscnt 0x800
	v_mul_f64_e32 v[181:182], v[2:3], v[12:13]
	v_add_f64_e32 v[163:164], v[171:172], v[163:164]
	v_add_f64_e32 v[175:176], v[169:170], v[175:176]
	v_mul_f64_e32 v[12:13], v[4:5], v[12:13]
	ds_load_b128 v[169:172], v1 offset:1664
	v_fma_f64 v[167:168], v[167:168], v[6:7], v[177:178]
	v_fma_f64 v[6:7], v[165:166], v[6:7], -v[8:9]
	s_wait_loadcnt_dscnt 0x700
	v_mul_f64_e32 v[165:166], v[169:170], v[16:17]
	v_add_f64_e32 v[8:9], v[163:164], v[179:180]
	v_add_f64_e32 v[163:164], v[175:176], v[173:174]
	v_mul_f64_e32 v[16:17], v[171:172], v[16:17]
	v_fma_f64 v[173:174], v[4:5], v[10:11], v[181:182]
	v_fma_f64 v[10:11], v[2:3], v[10:11], -v[12:13]
	v_fma_f64 v[165:166], v[171:172], v[14:15], v[165:166]
	v_add_f64_e32 v[12:13], v[8:9], v[6:7]
	v_add_f64_e32 v[163:164], v[163:164], v[167:168]
	ds_load_b128 v[2:5], v1 offset:1680
	ds_load_b128 v[6:9], v1 offset:1696
	v_fma_f64 v[14:15], v[169:170], v[14:15], -v[16:17]
	s_wait_loadcnt_dscnt 0x601
	v_mul_f64_e32 v[167:168], v[2:3], v[20:21]
	v_mul_f64_e32 v[20:21], v[4:5], v[20:21]
	s_wait_loadcnt_dscnt 0x500
	v_mul_f64_e32 v[16:17], v[6:7], v[24:25]
	v_mul_f64_e32 v[24:25], v[8:9], v[24:25]
	v_add_f64_e32 v[10:11], v[12:13], v[10:11]
	v_add_f64_e32 v[12:13], v[163:164], v[173:174]
	v_fma_f64 v[163:164], v[4:5], v[18:19], v[167:168]
	v_fma_f64 v[18:19], v[2:3], v[18:19], -v[20:21]
	v_fma_f64 v[8:9], v[8:9], v[22:23], v[16:17]
	v_fma_f64 v[6:7], v[6:7], v[22:23], -v[24:25]
	v_add_f64_e32 v[14:15], v[10:11], v[14:15]
	v_add_f64_e32 v[20:21], v[12:13], v[165:166]
	ds_load_b128 v[2:5], v1 offset:1712
	ds_load_b128 v[10:13], v1 offset:1728
	s_wait_loadcnt_dscnt 0x401
	v_mul_f64_e32 v[165:166], v[2:3], v[28:29]
	v_mul_f64_e32 v[28:29], v[4:5], v[28:29]
	v_add_f64_e32 v[14:15], v[14:15], v[18:19]
	v_add_f64_e32 v[16:17], v[20:21], v[163:164]
	s_wait_loadcnt_dscnt 0x300
	v_mul_f64_e32 v[18:19], v[10:11], v[32:33]
	v_mul_f64_e32 v[20:21], v[12:13], v[32:33]
	v_fma_f64 v[22:23], v[4:5], v[26:27], v[165:166]
	v_fma_f64 v[24:25], v[2:3], v[26:27], -v[28:29]
	v_add_f64_e32 v[14:15], v[14:15], v[6:7]
	v_add_f64_e32 v[16:17], v[16:17], v[8:9]
	ds_load_b128 v[2:5], v1 offset:1744
	ds_load_b128 v[6:9], v1 offset:1760
	v_fma_f64 v[12:13], v[12:13], v[30:31], v[18:19]
	v_fma_f64 v[10:11], v[10:11], v[30:31], -v[20:21]
	s_wait_loadcnt_dscnt 0x201
	v_mul_f64_e32 v[26:27], v[2:3], v[40:41]
	v_mul_f64_e32 v[28:29], v[4:5], v[40:41]
	s_wait_loadcnt_dscnt 0x100
	v_mul_f64_e32 v[18:19], v[6:7], v[161:162]
	v_mul_f64_e32 v[20:21], v[8:9], v[161:162]
	v_add_f64_e32 v[14:15], v[14:15], v[24:25]
	v_add_f64_e32 v[16:17], v[16:17], v[22:23]
	v_fma_f64 v[22:23], v[4:5], v[38:39], v[26:27]
	v_fma_f64 v[24:25], v[2:3], v[38:39], -v[28:29]
	ds_load_b128 v[2:5], v1 offset:1776
	v_fma_f64 v[8:9], v[8:9], v[159:160], v[18:19]
	v_fma_f64 v[6:7], v[6:7], v[159:160], -v[20:21]
	v_add_f64_e32 v[10:11], v[14:15], v[10:11]
	v_add_f64_e32 v[12:13], v[16:17], v[12:13]
	s_wait_loadcnt_dscnt 0x0
	v_mul_f64_e32 v[14:15], v[2:3], v[36:37]
	v_mul_f64_e32 v[16:17], v[4:5], v[36:37]
	s_delay_alu instid0(VALU_DEP_4) | instskip(NEXT) | instid1(VALU_DEP_4)
	v_add_f64_e32 v[10:11], v[10:11], v[24:25]
	v_add_f64_e32 v[12:13], v[12:13], v[22:23]
	s_delay_alu instid0(VALU_DEP_4) | instskip(NEXT) | instid1(VALU_DEP_4)
	v_fma_f64 v[4:5], v[4:5], v[34:35], v[14:15]
	v_fma_f64 v[2:3], v[2:3], v[34:35], -v[16:17]
	s_delay_alu instid0(VALU_DEP_4) | instskip(NEXT) | instid1(VALU_DEP_4)
	v_add_f64_e32 v[6:7], v[10:11], v[6:7]
	v_add_f64_e32 v[8:9], v[12:13], v[8:9]
	s_delay_alu instid0(VALU_DEP_2) | instskip(NEXT) | instid1(VALU_DEP_2)
	v_add_f64_e32 v[2:3], v[6:7], v[2:3]
	v_add_f64_e32 v[4:5], v[8:9], v[4:5]
	s_delay_alu instid0(VALU_DEP_2) | instskip(NEXT) | instid1(VALU_DEP_2)
	v_add_f64_e64 v[2:3], v[42:43], -v[2:3]
	v_add_f64_e64 v[4:5], v[44:45], -v[4:5]
	scratch_store_b128 off, v[2:5], off offset:560
	v_cmpx_lt_u32_e32 33, v0
	s_cbranch_execz .LBB55_283
; %bb.282:
	scratch_load_b128 v[5:8], off, s23
	v_dual_mov_b32 v2, v1 :: v_dual_mov_b32 v3, v1
	v_mov_b32_e32 v4, v1
	scratch_store_b128 off, v[1:4], off offset:544
	s_wait_loadcnt 0x0
	ds_store_b128 v158, v[5:8]
.LBB55_283:
	s_wait_alu 0xfffe
	s_or_b32 exec_lo, exec_lo, s0
	s_wait_storecnt_dscnt 0x0
	s_barrier_signal -1
	s_barrier_wait -1
	global_inv scope:SCOPE_SE
	s_clause 0x8
	scratch_load_b128 v[2:5], off, off offset:560
	scratch_load_b128 v[6:9], off, off offset:576
	;; [unrolled: 1-line block ×9, first 2 shown]
	ds_load_b128 v[38:41], v1 offset:1440
	ds_load_b128 v[42:45], v1 offset:1456
	s_clause 0x1
	scratch_load_b128 v[159:162], off, off offset:544
	scratch_load_b128 v[163:166], off, off offset:704
	s_mov_b32 s0, exec_lo
	s_wait_loadcnt_dscnt 0xa01
	v_mul_f64_e32 v[167:168], v[40:41], v[4:5]
	v_mul_f64_e32 v[4:5], v[38:39], v[4:5]
	s_wait_loadcnt_dscnt 0x900
	v_mul_f64_e32 v[171:172], v[42:43], v[8:9]
	v_mul_f64_e32 v[8:9], v[44:45], v[8:9]
	s_delay_alu instid0(VALU_DEP_4) | instskip(NEXT) | instid1(VALU_DEP_4)
	v_fma_f64 v[173:174], v[38:39], v[2:3], -v[167:168]
	v_fma_f64 v[175:176], v[40:41], v[2:3], v[4:5]
	ds_load_b128 v[2:5], v1 offset:1472
	ds_load_b128 v[167:170], v1 offset:1488
	scratch_load_b128 v[38:41], off, off offset:720
	v_fma_f64 v[44:45], v[44:45], v[6:7], v[171:172]
	v_fma_f64 v[42:43], v[42:43], v[6:7], -v[8:9]
	scratch_load_b128 v[6:9], off, off offset:736
	s_wait_loadcnt_dscnt 0xa01
	v_mul_f64_e32 v[177:178], v[2:3], v[12:13]
	v_mul_f64_e32 v[12:13], v[4:5], v[12:13]
	v_add_f64_e32 v[171:172], 0, v[173:174]
	v_add_f64_e32 v[173:174], 0, v[175:176]
	s_wait_loadcnt_dscnt 0x900
	v_mul_f64_e32 v[175:176], v[167:168], v[16:17]
	v_mul_f64_e32 v[16:17], v[169:170], v[16:17]
	v_fma_f64 v[177:178], v[4:5], v[10:11], v[177:178]
	v_fma_f64 v[179:180], v[2:3], v[10:11], -v[12:13]
	ds_load_b128 v[2:5], v1 offset:1504
	scratch_load_b128 v[10:13], off, off offset:752
	v_add_f64_e32 v[171:172], v[171:172], v[42:43]
	v_add_f64_e32 v[173:174], v[173:174], v[44:45]
	ds_load_b128 v[42:45], v1 offset:1520
	v_fma_f64 v[169:170], v[169:170], v[14:15], v[175:176]
	v_fma_f64 v[167:168], v[167:168], v[14:15], -v[16:17]
	scratch_load_b128 v[14:17], off, off offset:768
	s_wait_loadcnt_dscnt 0xa01
	v_mul_f64_e32 v[181:182], v[2:3], v[20:21]
	v_mul_f64_e32 v[20:21], v[4:5], v[20:21]
	s_wait_loadcnt_dscnt 0x900
	v_mul_f64_e32 v[175:176], v[42:43], v[24:25]
	v_mul_f64_e32 v[24:25], v[44:45], v[24:25]
	v_add_f64_e32 v[171:172], v[171:172], v[179:180]
	v_add_f64_e32 v[173:174], v[173:174], v[177:178]
	v_fma_f64 v[177:178], v[4:5], v[18:19], v[181:182]
	v_fma_f64 v[179:180], v[2:3], v[18:19], -v[20:21]
	ds_load_b128 v[2:5], v1 offset:1536
	scratch_load_b128 v[18:21], off, off offset:784
	v_fma_f64 v[44:45], v[44:45], v[22:23], v[175:176]
	v_fma_f64 v[42:43], v[42:43], v[22:23], -v[24:25]
	scratch_load_b128 v[22:25], off, off offset:800
	v_add_f64_e32 v[171:172], v[171:172], v[167:168]
	v_add_f64_e32 v[173:174], v[173:174], v[169:170]
	ds_load_b128 v[167:170], v1 offset:1552
	s_wait_loadcnt_dscnt 0xa01
	v_mul_f64_e32 v[181:182], v[2:3], v[28:29]
	v_mul_f64_e32 v[28:29], v[4:5], v[28:29]
	s_wait_loadcnt_dscnt 0x900
	v_mul_f64_e32 v[175:176], v[167:168], v[32:33]
	v_mul_f64_e32 v[32:33], v[169:170], v[32:33]
	v_add_f64_e32 v[171:172], v[171:172], v[179:180]
	v_add_f64_e32 v[173:174], v[173:174], v[177:178]
	v_fma_f64 v[177:178], v[4:5], v[26:27], v[181:182]
	v_fma_f64 v[179:180], v[2:3], v[26:27], -v[28:29]
	ds_load_b128 v[2:5], v1 offset:1568
	scratch_load_b128 v[26:29], off, off offset:816
	v_fma_f64 v[169:170], v[169:170], v[30:31], v[175:176]
	v_fma_f64 v[167:168], v[167:168], v[30:31], -v[32:33]
	scratch_load_b128 v[30:33], off, off offset:832
	v_add_f64_e32 v[171:172], v[171:172], v[42:43]
	v_add_f64_e32 v[173:174], v[173:174], v[44:45]
	ds_load_b128 v[42:45], v1 offset:1584
	s_wait_loadcnt_dscnt 0xa01
	v_mul_f64_e32 v[181:182], v[2:3], v[36:37]
	v_mul_f64_e32 v[36:37], v[4:5], v[36:37]
	s_wait_loadcnt_dscnt 0x800
	v_mul_f64_e32 v[175:176], v[42:43], v[165:166]
	v_add_f64_e32 v[171:172], v[171:172], v[179:180]
	v_add_f64_e32 v[173:174], v[173:174], v[177:178]
	v_mul_f64_e32 v[177:178], v[44:45], v[165:166]
	v_fma_f64 v[179:180], v[4:5], v[34:35], v[181:182]
	v_fma_f64 v[181:182], v[2:3], v[34:35], -v[36:37]
	ds_load_b128 v[2:5], v1 offset:1600
	scratch_load_b128 v[34:37], off, off offset:848
	v_fma_f64 v[44:45], v[44:45], v[163:164], v[175:176]
	v_add_f64_e32 v[171:172], v[171:172], v[167:168]
	v_add_f64_e32 v[169:170], v[173:174], v[169:170]
	ds_load_b128 v[165:168], v1 offset:1616
	v_fma_f64 v[163:164], v[42:43], v[163:164], -v[177:178]
	s_wait_loadcnt_dscnt 0x801
	v_mul_f64_e32 v[173:174], v[2:3], v[40:41]
	v_mul_f64_e32 v[183:184], v[4:5], v[40:41]
	scratch_load_b128 v[40:43], off, off offset:864
	s_wait_loadcnt_dscnt 0x800
	v_mul_f64_e32 v[177:178], v[165:166], v[8:9]
	v_mul_f64_e32 v[8:9], v[167:168], v[8:9]
	v_add_f64_e32 v[171:172], v[171:172], v[181:182]
	v_add_f64_e32 v[169:170], v[169:170], v[179:180]
	v_fma_f64 v[179:180], v[4:5], v[38:39], v[173:174]
	v_fma_f64 v[38:39], v[2:3], v[38:39], -v[183:184]
	ds_load_b128 v[2:5], v1 offset:1632
	ds_load_b128 v[173:176], v1 offset:1648
	v_fma_f64 v[167:168], v[167:168], v[6:7], v[177:178]
	v_fma_f64 v[165:166], v[165:166], v[6:7], -v[8:9]
	scratch_load_b128 v[6:9], off, off offset:896
	v_add_f64_e32 v[163:164], v[171:172], v[163:164]
	v_add_f64_e32 v[44:45], v[169:170], v[44:45]
	scratch_load_b128 v[169:172], off, off offset:880
	s_wait_loadcnt_dscnt 0x901
	v_mul_f64_e32 v[181:182], v[2:3], v[12:13]
	v_mul_f64_e32 v[12:13], v[4:5], v[12:13]
	v_add_f64_e32 v[38:39], v[163:164], v[38:39]
	v_add_f64_e32 v[44:45], v[44:45], v[179:180]
	s_wait_loadcnt_dscnt 0x800
	v_mul_f64_e32 v[163:164], v[173:174], v[16:17]
	v_mul_f64_e32 v[16:17], v[175:176], v[16:17]
	v_fma_f64 v[177:178], v[4:5], v[10:11], v[181:182]
	v_fma_f64 v[179:180], v[2:3], v[10:11], -v[12:13]
	ds_load_b128 v[2:5], v1 offset:1664
	ds_load_b128 v[10:13], v1 offset:1680
	v_add_f64_e32 v[38:39], v[38:39], v[165:166]
	v_add_f64_e32 v[44:45], v[44:45], v[167:168]
	s_wait_loadcnt_dscnt 0x701
	v_mul_f64_e32 v[165:166], v[2:3], v[20:21]
	v_mul_f64_e32 v[20:21], v[4:5], v[20:21]
	v_fma_f64 v[163:164], v[175:176], v[14:15], v[163:164]
	v_fma_f64 v[14:15], v[173:174], v[14:15], -v[16:17]
	v_add_f64_e32 v[16:17], v[38:39], v[179:180]
	v_add_f64_e32 v[38:39], v[44:45], v[177:178]
	s_wait_loadcnt_dscnt 0x600
	v_mul_f64_e32 v[44:45], v[10:11], v[24:25]
	v_mul_f64_e32 v[24:25], v[12:13], v[24:25]
	v_fma_f64 v[165:166], v[4:5], v[18:19], v[165:166]
	v_fma_f64 v[18:19], v[2:3], v[18:19], -v[20:21]
	v_add_f64_e32 v[20:21], v[16:17], v[14:15]
	v_add_f64_e32 v[38:39], v[38:39], v[163:164]
	ds_load_b128 v[2:5], v1 offset:1696
	ds_load_b128 v[14:17], v1 offset:1712
	v_fma_f64 v[12:13], v[12:13], v[22:23], v[44:45]
	v_fma_f64 v[10:11], v[10:11], v[22:23], -v[24:25]
	s_wait_loadcnt_dscnt 0x501
	v_mul_f64_e32 v[163:164], v[2:3], v[28:29]
	v_mul_f64_e32 v[28:29], v[4:5], v[28:29]
	s_wait_loadcnt_dscnt 0x400
	v_mul_f64_e32 v[22:23], v[14:15], v[32:33]
	v_mul_f64_e32 v[24:25], v[16:17], v[32:33]
	v_add_f64_e32 v[18:19], v[20:21], v[18:19]
	v_add_f64_e32 v[20:21], v[38:39], v[165:166]
	v_fma_f64 v[32:33], v[4:5], v[26:27], v[163:164]
	v_fma_f64 v[26:27], v[2:3], v[26:27], -v[28:29]
	v_fma_f64 v[16:17], v[16:17], v[30:31], v[22:23]
	v_fma_f64 v[14:15], v[14:15], v[30:31], -v[24:25]
	v_add_f64_e32 v[18:19], v[18:19], v[10:11]
	v_add_f64_e32 v[20:21], v[20:21], v[12:13]
	ds_load_b128 v[2:5], v1 offset:1728
	ds_load_b128 v[10:13], v1 offset:1744
	s_wait_loadcnt_dscnt 0x301
	v_mul_f64_e32 v[28:29], v[2:3], v[36:37]
	v_mul_f64_e32 v[36:37], v[4:5], v[36:37]
	s_wait_loadcnt_dscnt 0x200
	v_mul_f64_e32 v[22:23], v[10:11], v[42:43]
	v_add_f64_e32 v[18:19], v[18:19], v[26:27]
	v_add_f64_e32 v[20:21], v[20:21], v[32:33]
	v_mul_f64_e32 v[24:25], v[12:13], v[42:43]
	v_fma_f64 v[26:27], v[4:5], v[34:35], v[28:29]
	v_fma_f64 v[28:29], v[2:3], v[34:35], -v[36:37]
	v_fma_f64 v[12:13], v[12:13], v[40:41], v[22:23]
	v_add_f64_e32 v[18:19], v[18:19], v[14:15]
	v_add_f64_e32 v[20:21], v[20:21], v[16:17]
	ds_load_b128 v[2:5], v1 offset:1760
	ds_load_b128 v[14:17], v1 offset:1776
	v_fma_f64 v[10:11], v[10:11], v[40:41], -v[24:25]
	s_wait_loadcnt_dscnt 0x1
	v_mul_f64_e32 v[30:31], v[2:3], v[171:172]
	v_mul_f64_e32 v[32:33], v[4:5], v[171:172]
	s_wait_dscnt 0x0
	v_mul_f64_e32 v[22:23], v[14:15], v[8:9]
	v_mul_f64_e32 v[8:9], v[16:17], v[8:9]
	v_add_f64_e32 v[18:19], v[18:19], v[28:29]
	v_add_f64_e32 v[20:21], v[20:21], v[26:27]
	v_fma_f64 v[4:5], v[4:5], v[169:170], v[30:31]
	v_fma_f64 v[1:2], v[2:3], v[169:170], -v[32:33]
	v_fma_f64 v[16:17], v[16:17], v[6:7], v[22:23]
	v_fma_f64 v[6:7], v[14:15], v[6:7], -v[8:9]
	v_add_f64_e32 v[10:11], v[18:19], v[10:11]
	v_add_f64_e32 v[12:13], v[20:21], v[12:13]
	s_delay_alu instid0(VALU_DEP_2) | instskip(NEXT) | instid1(VALU_DEP_2)
	v_add_f64_e32 v[1:2], v[10:11], v[1:2]
	v_add_f64_e32 v[3:4], v[12:13], v[4:5]
	s_delay_alu instid0(VALU_DEP_2) | instskip(NEXT) | instid1(VALU_DEP_2)
	;; [unrolled: 3-line block ×3, first 2 shown]
	v_add_f64_e64 v[1:2], v[159:160], -v[1:2]
	v_add_f64_e64 v[3:4], v[161:162], -v[3:4]
	scratch_store_b128 off, v[1:4], off offset:544
	v_cmpx_lt_u32_e32 32, v0
	s_cbranch_execz .LBB55_285
; %bb.284:
	scratch_load_b128 v[1:4], off, s26
	v_mov_b32_e32 v5, 0
	s_delay_alu instid0(VALU_DEP_1)
	v_dual_mov_b32 v6, v5 :: v_dual_mov_b32 v7, v5
	v_mov_b32_e32 v8, v5
	scratch_store_b128 off, v[5:8], off offset:528
	s_wait_loadcnt 0x0
	ds_store_b128 v158, v[1:4]
.LBB55_285:
	s_wait_alu 0xfffe
	s_or_b32 exec_lo, exec_lo, s0
	s_wait_storecnt_dscnt 0x0
	s_barrier_signal -1
	s_barrier_wait -1
	global_inv scope:SCOPE_SE
	s_clause 0x7
	scratch_load_b128 v[2:5], off, off offset:544
	scratch_load_b128 v[6:9], off, off offset:560
	;; [unrolled: 1-line block ×8, first 2 shown]
	v_mov_b32_e32 v1, 0
	s_mov_b32 s0, exec_lo
	ds_load_b128 v[34:37], v1 offset:1424
	s_clause 0x1
	scratch_load_b128 v[38:41], off, off offset:672
	scratch_load_b128 v[42:45], off, off offset:528
	ds_load_b128 v[159:162], v1 offset:1440
	scratch_load_b128 v[163:166], off, off offset:688
	s_wait_loadcnt_dscnt 0xa01
	v_mul_f64_e32 v[167:168], v[36:37], v[4:5]
	v_mul_f64_e32 v[4:5], v[34:35], v[4:5]
	s_delay_alu instid0(VALU_DEP_2) | instskip(NEXT) | instid1(VALU_DEP_2)
	v_fma_f64 v[173:174], v[34:35], v[2:3], -v[167:168]
	v_fma_f64 v[175:176], v[36:37], v[2:3], v[4:5]
	ds_load_b128 v[2:5], v1 offset:1456
	s_wait_loadcnt_dscnt 0x901
	v_mul_f64_e32 v[171:172], v[159:160], v[8:9]
	v_mul_f64_e32 v[8:9], v[161:162], v[8:9]
	scratch_load_b128 v[34:37], off, off offset:704
	ds_load_b128 v[167:170], v1 offset:1472
	s_wait_loadcnt_dscnt 0x901
	v_mul_f64_e32 v[177:178], v[2:3], v[12:13]
	v_mul_f64_e32 v[12:13], v[4:5], v[12:13]
	v_fma_f64 v[161:162], v[161:162], v[6:7], v[171:172]
	v_fma_f64 v[159:160], v[159:160], v[6:7], -v[8:9]
	v_add_f64_e32 v[171:172], 0, v[173:174]
	v_add_f64_e32 v[173:174], 0, v[175:176]
	scratch_load_b128 v[6:9], off, off offset:720
	v_fma_f64 v[177:178], v[4:5], v[10:11], v[177:178]
	v_fma_f64 v[179:180], v[2:3], v[10:11], -v[12:13]
	ds_load_b128 v[2:5], v1 offset:1488
	s_wait_loadcnt_dscnt 0x901
	v_mul_f64_e32 v[175:176], v[167:168], v[16:17]
	v_mul_f64_e32 v[16:17], v[169:170], v[16:17]
	scratch_load_b128 v[10:13], off, off offset:736
	v_add_f64_e32 v[171:172], v[171:172], v[159:160]
	v_add_f64_e32 v[173:174], v[173:174], v[161:162]
	s_wait_loadcnt_dscnt 0x900
	v_mul_f64_e32 v[181:182], v[2:3], v[20:21]
	v_mul_f64_e32 v[20:21], v[4:5], v[20:21]
	ds_load_b128 v[159:162], v1 offset:1504
	v_fma_f64 v[169:170], v[169:170], v[14:15], v[175:176]
	v_fma_f64 v[167:168], v[167:168], v[14:15], -v[16:17]
	scratch_load_b128 v[14:17], off, off offset:752
	v_add_f64_e32 v[171:172], v[171:172], v[179:180]
	v_add_f64_e32 v[173:174], v[173:174], v[177:178]
	v_fma_f64 v[177:178], v[4:5], v[18:19], v[181:182]
	v_fma_f64 v[179:180], v[2:3], v[18:19], -v[20:21]
	ds_load_b128 v[2:5], v1 offset:1520
	s_wait_loadcnt_dscnt 0x901
	v_mul_f64_e32 v[175:176], v[159:160], v[24:25]
	v_mul_f64_e32 v[24:25], v[161:162], v[24:25]
	scratch_load_b128 v[18:21], off, off offset:768
	s_wait_loadcnt_dscnt 0x900
	v_mul_f64_e32 v[181:182], v[2:3], v[28:29]
	v_mul_f64_e32 v[28:29], v[4:5], v[28:29]
	v_add_f64_e32 v[171:172], v[171:172], v[167:168]
	v_add_f64_e32 v[173:174], v[173:174], v[169:170]
	ds_load_b128 v[167:170], v1 offset:1536
	v_fma_f64 v[161:162], v[161:162], v[22:23], v[175:176]
	v_fma_f64 v[159:160], v[159:160], v[22:23], -v[24:25]
	scratch_load_b128 v[22:25], off, off offset:784
	v_add_f64_e32 v[171:172], v[171:172], v[179:180]
	v_add_f64_e32 v[173:174], v[173:174], v[177:178]
	v_fma_f64 v[177:178], v[4:5], v[26:27], v[181:182]
	v_fma_f64 v[179:180], v[2:3], v[26:27], -v[28:29]
	ds_load_b128 v[2:5], v1 offset:1552
	s_wait_loadcnt_dscnt 0x901
	v_mul_f64_e32 v[175:176], v[167:168], v[32:33]
	v_mul_f64_e32 v[32:33], v[169:170], v[32:33]
	scratch_load_b128 v[26:29], off, off offset:800
	s_wait_loadcnt_dscnt 0x900
	v_mul_f64_e32 v[181:182], v[2:3], v[40:41]
	v_mul_f64_e32 v[40:41], v[4:5], v[40:41]
	v_add_f64_e32 v[171:172], v[171:172], v[159:160]
	v_add_f64_e32 v[173:174], v[173:174], v[161:162]
	ds_load_b128 v[159:162], v1 offset:1568
	v_fma_f64 v[169:170], v[169:170], v[30:31], v[175:176]
	v_fma_f64 v[167:168], v[167:168], v[30:31], -v[32:33]
	scratch_load_b128 v[30:33], off, off offset:816
	v_add_f64_e32 v[171:172], v[171:172], v[179:180]
	v_add_f64_e32 v[173:174], v[173:174], v[177:178]
	v_fma_f64 v[179:180], v[4:5], v[38:39], v[181:182]
	v_fma_f64 v[181:182], v[2:3], v[38:39], -v[40:41]
	ds_load_b128 v[2:5], v1 offset:1584
	s_wait_loadcnt_dscnt 0x801
	v_mul_f64_e32 v[175:176], v[159:160], v[165:166]
	v_mul_f64_e32 v[177:178], v[161:162], v[165:166]
	scratch_load_b128 v[38:41], off, off offset:832
	v_add_f64_e32 v[171:172], v[171:172], v[167:168]
	v_add_f64_e32 v[169:170], v[173:174], v[169:170]
	ds_load_b128 v[165:168], v1 offset:1600
	v_fma_f64 v[175:176], v[161:162], v[163:164], v[175:176]
	v_fma_f64 v[163:164], v[159:160], v[163:164], -v[177:178]
	scratch_load_b128 v[159:162], off, off offset:848
	s_wait_loadcnt_dscnt 0x901
	v_mul_f64_e32 v[173:174], v[2:3], v[36:37]
	v_mul_f64_e32 v[36:37], v[4:5], v[36:37]
	v_add_f64_e32 v[171:172], v[171:172], v[181:182]
	v_add_f64_e32 v[169:170], v[169:170], v[179:180]
	s_delay_alu instid0(VALU_DEP_4) | instskip(NEXT) | instid1(VALU_DEP_4)
	v_fma_f64 v[173:174], v[4:5], v[34:35], v[173:174]
	v_fma_f64 v[179:180], v[2:3], v[34:35], -v[36:37]
	ds_load_b128 v[2:5], v1 offset:1616
	s_wait_loadcnt_dscnt 0x801
	v_mul_f64_e32 v[177:178], v[165:166], v[8:9]
	v_mul_f64_e32 v[8:9], v[167:168], v[8:9]
	scratch_load_b128 v[34:37], off, off offset:864
	s_wait_loadcnt_dscnt 0x800
	v_mul_f64_e32 v[181:182], v[2:3], v[12:13]
	v_add_f64_e32 v[163:164], v[171:172], v[163:164]
	v_add_f64_e32 v[175:176], v[169:170], v[175:176]
	v_mul_f64_e32 v[12:13], v[4:5], v[12:13]
	ds_load_b128 v[169:172], v1 offset:1632
	v_fma_f64 v[167:168], v[167:168], v[6:7], v[177:178]
	v_fma_f64 v[165:166], v[165:166], v[6:7], -v[8:9]
	scratch_load_b128 v[6:9], off, off offset:880
	v_fma_f64 v[177:178], v[4:5], v[10:11], v[181:182]
	v_add_f64_e32 v[163:164], v[163:164], v[179:180]
	v_add_f64_e32 v[173:174], v[175:176], v[173:174]
	v_fma_f64 v[179:180], v[2:3], v[10:11], -v[12:13]
	ds_load_b128 v[2:5], v1 offset:1648
	s_wait_loadcnt_dscnt 0x801
	v_mul_f64_e32 v[175:176], v[169:170], v[16:17]
	v_mul_f64_e32 v[16:17], v[171:172], v[16:17]
	scratch_load_b128 v[10:13], off, off offset:896
	v_add_f64_e32 v[181:182], v[163:164], v[165:166]
	v_add_f64_e32 v[167:168], v[173:174], v[167:168]
	s_wait_loadcnt_dscnt 0x800
	v_mul_f64_e32 v[173:174], v[2:3], v[20:21]
	v_mul_f64_e32 v[20:21], v[4:5], v[20:21]
	v_fma_f64 v[171:172], v[171:172], v[14:15], v[175:176]
	v_fma_f64 v[14:15], v[169:170], v[14:15], -v[16:17]
	ds_load_b128 v[163:166], v1 offset:1664
	s_wait_loadcnt_dscnt 0x700
	v_mul_f64_e32 v[169:170], v[163:164], v[24:25]
	v_mul_f64_e32 v[24:25], v[165:166], v[24:25]
	v_add_f64_e32 v[16:17], v[181:182], v[179:180]
	v_add_f64_e32 v[167:168], v[167:168], v[177:178]
	v_fma_f64 v[173:174], v[4:5], v[18:19], v[173:174]
	v_fma_f64 v[18:19], v[2:3], v[18:19], -v[20:21]
	v_fma_f64 v[165:166], v[165:166], v[22:23], v[169:170]
	v_fma_f64 v[22:23], v[163:164], v[22:23], -v[24:25]
	v_add_f64_e32 v[20:21], v[16:17], v[14:15]
	v_add_f64_e32 v[167:168], v[167:168], v[171:172]
	ds_load_b128 v[2:5], v1 offset:1680
	ds_load_b128 v[14:17], v1 offset:1696
	s_wait_loadcnt_dscnt 0x601
	v_mul_f64_e32 v[171:172], v[2:3], v[28:29]
	v_mul_f64_e32 v[28:29], v[4:5], v[28:29]
	s_wait_loadcnt_dscnt 0x500
	v_mul_f64_e32 v[24:25], v[14:15], v[32:33]
	v_mul_f64_e32 v[32:33], v[16:17], v[32:33]
	v_add_f64_e32 v[18:19], v[20:21], v[18:19]
	v_add_f64_e32 v[20:21], v[167:168], v[173:174]
	v_fma_f64 v[163:164], v[4:5], v[26:27], v[171:172]
	v_fma_f64 v[26:27], v[2:3], v[26:27], -v[28:29]
	v_fma_f64 v[16:17], v[16:17], v[30:31], v[24:25]
	v_fma_f64 v[14:15], v[14:15], v[30:31], -v[32:33]
	v_add_f64_e32 v[22:23], v[18:19], v[22:23]
	v_add_f64_e32 v[28:29], v[20:21], v[165:166]
	ds_load_b128 v[2:5], v1 offset:1712
	ds_load_b128 v[18:21], v1 offset:1728
	s_wait_loadcnt_dscnt 0x401
	v_mul_f64_e32 v[165:166], v[2:3], v[40:41]
	v_mul_f64_e32 v[40:41], v[4:5], v[40:41]
	v_add_f64_e32 v[22:23], v[22:23], v[26:27]
	v_add_f64_e32 v[24:25], v[28:29], v[163:164]
	s_wait_loadcnt_dscnt 0x300
	v_mul_f64_e32 v[26:27], v[18:19], v[161:162]
	v_mul_f64_e32 v[28:29], v[20:21], v[161:162]
	v_fma_f64 v[30:31], v[4:5], v[38:39], v[165:166]
	v_fma_f64 v[32:33], v[2:3], v[38:39], -v[40:41]
	v_add_f64_e32 v[22:23], v[22:23], v[14:15]
	v_add_f64_e32 v[24:25], v[24:25], v[16:17]
	ds_load_b128 v[2:5], v1 offset:1744
	ds_load_b128 v[14:17], v1 offset:1760
	v_fma_f64 v[20:21], v[20:21], v[159:160], v[26:27]
	v_fma_f64 v[18:19], v[18:19], v[159:160], -v[28:29]
	s_wait_loadcnt_dscnt 0x201
	v_mul_f64_e32 v[38:39], v[2:3], v[36:37]
	v_mul_f64_e32 v[36:37], v[4:5], v[36:37]
	s_wait_loadcnt_dscnt 0x100
	v_mul_f64_e32 v[26:27], v[14:15], v[8:9]
	v_mul_f64_e32 v[8:9], v[16:17], v[8:9]
	v_add_f64_e32 v[22:23], v[22:23], v[32:33]
	v_add_f64_e32 v[24:25], v[24:25], v[30:31]
	v_fma_f64 v[28:29], v[4:5], v[34:35], v[38:39]
	v_fma_f64 v[30:31], v[2:3], v[34:35], -v[36:37]
	ds_load_b128 v[2:5], v1 offset:1776
	v_fma_f64 v[16:17], v[16:17], v[6:7], v[26:27]
	v_fma_f64 v[6:7], v[14:15], v[6:7], -v[8:9]
	v_add_f64_e32 v[18:19], v[22:23], v[18:19]
	v_add_f64_e32 v[20:21], v[24:25], v[20:21]
	s_wait_loadcnt_dscnt 0x0
	v_mul_f64_e32 v[22:23], v[2:3], v[12:13]
	v_mul_f64_e32 v[12:13], v[4:5], v[12:13]
	s_delay_alu instid0(VALU_DEP_4) | instskip(NEXT) | instid1(VALU_DEP_4)
	v_add_f64_e32 v[8:9], v[18:19], v[30:31]
	v_add_f64_e32 v[14:15], v[20:21], v[28:29]
	s_delay_alu instid0(VALU_DEP_4) | instskip(NEXT) | instid1(VALU_DEP_4)
	v_fma_f64 v[4:5], v[4:5], v[10:11], v[22:23]
	v_fma_f64 v[2:3], v[2:3], v[10:11], -v[12:13]
	s_delay_alu instid0(VALU_DEP_4) | instskip(NEXT) | instid1(VALU_DEP_4)
	v_add_f64_e32 v[6:7], v[8:9], v[6:7]
	v_add_f64_e32 v[8:9], v[14:15], v[16:17]
	s_delay_alu instid0(VALU_DEP_2) | instskip(NEXT) | instid1(VALU_DEP_2)
	v_add_f64_e32 v[2:3], v[6:7], v[2:3]
	v_add_f64_e32 v[4:5], v[8:9], v[4:5]
	s_delay_alu instid0(VALU_DEP_2) | instskip(NEXT) | instid1(VALU_DEP_2)
	v_add_f64_e64 v[2:3], v[42:43], -v[2:3]
	v_add_f64_e64 v[4:5], v[44:45], -v[4:5]
	scratch_store_b128 off, v[2:5], off offset:528
	v_cmpx_lt_u32_e32 31, v0
	s_cbranch_execz .LBB55_287
; %bb.286:
	scratch_load_b128 v[5:8], off, s25
	v_dual_mov_b32 v2, v1 :: v_dual_mov_b32 v3, v1
	v_mov_b32_e32 v4, v1
	scratch_store_b128 off, v[1:4], off offset:512
	s_wait_loadcnt 0x0
	ds_store_b128 v158, v[5:8]
.LBB55_287:
	s_wait_alu 0xfffe
	s_or_b32 exec_lo, exec_lo, s0
	s_wait_storecnt_dscnt 0x0
	s_barrier_signal -1
	s_barrier_wait -1
	global_inv scope:SCOPE_SE
	s_clause 0x8
	scratch_load_b128 v[2:5], off, off offset:528
	scratch_load_b128 v[6:9], off, off offset:544
	;; [unrolled: 1-line block ×9, first 2 shown]
	ds_load_b128 v[38:41], v1 offset:1408
	ds_load_b128 v[42:45], v1 offset:1424
	s_clause 0x1
	scratch_load_b128 v[159:162], off, off offset:512
	scratch_load_b128 v[163:166], off, off offset:672
	s_mov_b32 s0, exec_lo
	s_wait_loadcnt_dscnt 0xa01
	v_mul_f64_e32 v[167:168], v[40:41], v[4:5]
	v_mul_f64_e32 v[4:5], v[38:39], v[4:5]
	s_wait_loadcnt_dscnt 0x900
	v_mul_f64_e32 v[171:172], v[42:43], v[8:9]
	v_mul_f64_e32 v[8:9], v[44:45], v[8:9]
	s_delay_alu instid0(VALU_DEP_4) | instskip(NEXT) | instid1(VALU_DEP_4)
	v_fma_f64 v[173:174], v[38:39], v[2:3], -v[167:168]
	v_fma_f64 v[175:176], v[40:41], v[2:3], v[4:5]
	ds_load_b128 v[2:5], v1 offset:1440
	ds_load_b128 v[167:170], v1 offset:1456
	scratch_load_b128 v[38:41], off, off offset:688
	v_fma_f64 v[44:45], v[44:45], v[6:7], v[171:172]
	v_fma_f64 v[42:43], v[42:43], v[6:7], -v[8:9]
	scratch_load_b128 v[6:9], off, off offset:704
	s_wait_loadcnt_dscnt 0xa01
	v_mul_f64_e32 v[177:178], v[2:3], v[12:13]
	v_mul_f64_e32 v[12:13], v[4:5], v[12:13]
	v_add_f64_e32 v[171:172], 0, v[173:174]
	v_add_f64_e32 v[173:174], 0, v[175:176]
	s_wait_loadcnt_dscnt 0x900
	v_mul_f64_e32 v[175:176], v[167:168], v[16:17]
	v_mul_f64_e32 v[16:17], v[169:170], v[16:17]
	v_fma_f64 v[177:178], v[4:5], v[10:11], v[177:178]
	v_fma_f64 v[179:180], v[2:3], v[10:11], -v[12:13]
	ds_load_b128 v[2:5], v1 offset:1472
	scratch_load_b128 v[10:13], off, off offset:720
	v_add_f64_e32 v[171:172], v[171:172], v[42:43]
	v_add_f64_e32 v[173:174], v[173:174], v[44:45]
	ds_load_b128 v[42:45], v1 offset:1488
	v_fma_f64 v[169:170], v[169:170], v[14:15], v[175:176]
	v_fma_f64 v[167:168], v[167:168], v[14:15], -v[16:17]
	scratch_load_b128 v[14:17], off, off offset:736
	s_wait_loadcnt_dscnt 0xa01
	v_mul_f64_e32 v[181:182], v[2:3], v[20:21]
	v_mul_f64_e32 v[20:21], v[4:5], v[20:21]
	s_wait_loadcnt_dscnt 0x900
	v_mul_f64_e32 v[175:176], v[42:43], v[24:25]
	v_mul_f64_e32 v[24:25], v[44:45], v[24:25]
	v_add_f64_e32 v[171:172], v[171:172], v[179:180]
	v_add_f64_e32 v[173:174], v[173:174], v[177:178]
	v_fma_f64 v[177:178], v[4:5], v[18:19], v[181:182]
	v_fma_f64 v[179:180], v[2:3], v[18:19], -v[20:21]
	ds_load_b128 v[2:5], v1 offset:1504
	scratch_load_b128 v[18:21], off, off offset:752
	v_fma_f64 v[44:45], v[44:45], v[22:23], v[175:176]
	v_fma_f64 v[42:43], v[42:43], v[22:23], -v[24:25]
	scratch_load_b128 v[22:25], off, off offset:768
	v_add_f64_e32 v[171:172], v[171:172], v[167:168]
	v_add_f64_e32 v[173:174], v[173:174], v[169:170]
	ds_load_b128 v[167:170], v1 offset:1520
	s_wait_loadcnt_dscnt 0xa01
	v_mul_f64_e32 v[181:182], v[2:3], v[28:29]
	v_mul_f64_e32 v[28:29], v[4:5], v[28:29]
	s_wait_loadcnt_dscnt 0x900
	v_mul_f64_e32 v[175:176], v[167:168], v[32:33]
	v_mul_f64_e32 v[32:33], v[169:170], v[32:33]
	v_add_f64_e32 v[171:172], v[171:172], v[179:180]
	v_add_f64_e32 v[173:174], v[173:174], v[177:178]
	v_fma_f64 v[177:178], v[4:5], v[26:27], v[181:182]
	v_fma_f64 v[179:180], v[2:3], v[26:27], -v[28:29]
	ds_load_b128 v[2:5], v1 offset:1536
	scratch_load_b128 v[26:29], off, off offset:784
	v_fma_f64 v[169:170], v[169:170], v[30:31], v[175:176]
	v_fma_f64 v[167:168], v[167:168], v[30:31], -v[32:33]
	scratch_load_b128 v[30:33], off, off offset:800
	v_add_f64_e32 v[171:172], v[171:172], v[42:43]
	v_add_f64_e32 v[173:174], v[173:174], v[44:45]
	ds_load_b128 v[42:45], v1 offset:1552
	s_wait_loadcnt_dscnt 0xa01
	v_mul_f64_e32 v[181:182], v[2:3], v[36:37]
	v_mul_f64_e32 v[36:37], v[4:5], v[36:37]
	s_wait_loadcnt_dscnt 0x800
	v_mul_f64_e32 v[175:176], v[42:43], v[165:166]
	v_add_f64_e32 v[171:172], v[171:172], v[179:180]
	v_add_f64_e32 v[173:174], v[173:174], v[177:178]
	v_mul_f64_e32 v[177:178], v[44:45], v[165:166]
	v_fma_f64 v[179:180], v[4:5], v[34:35], v[181:182]
	v_fma_f64 v[181:182], v[2:3], v[34:35], -v[36:37]
	ds_load_b128 v[2:5], v1 offset:1568
	scratch_load_b128 v[34:37], off, off offset:816
	v_fma_f64 v[44:45], v[44:45], v[163:164], v[175:176]
	v_add_f64_e32 v[171:172], v[171:172], v[167:168]
	v_add_f64_e32 v[169:170], v[173:174], v[169:170]
	ds_load_b128 v[165:168], v1 offset:1584
	v_fma_f64 v[163:164], v[42:43], v[163:164], -v[177:178]
	s_wait_loadcnt_dscnt 0x801
	v_mul_f64_e32 v[173:174], v[2:3], v[40:41]
	v_mul_f64_e32 v[183:184], v[4:5], v[40:41]
	scratch_load_b128 v[40:43], off, off offset:832
	s_wait_loadcnt_dscnt 0x800
	v_mul_f64_e32 v[177:178], v[165:166], v[8:9]
	v_mul_f64_e32 v[8:9], v[167:168], v[8:9]
	v_add_f64_e32 v[171:172], v[171:172], v[181:182]
	v_add_f64_e32 v[169:170], v[169:170], v[179:180]
	v_fma_f64 v[179:180], v[4:5], v[38:39], v[173:174]
	v_fma_f64 v[38:39], v[2:3], v[38:39], -v[183:184]
	ds_load_b128 v[2:5], v1 offset:1600
	ds_load_b128 v[173:176], v1 offset:1616
	v_fma_f64 v[167:168], v[167:168], v[6:7], v[177:178]
	v_fma_f64 v[165:166], v[165:166], v[6:7], -v[8:9]
	scratch_load_b128 v[6:9], off, off offset:864
	v_add_f64_e32 v[163:164], v[171:172], v[163:164]
	v_add_f64_e32 v[44:45], v[169:170], v[44:45]
	scratch_load_b128 v[169:172], off, off offset:848
	s_wait_loadcnt_dscnt 0x901
	v_mul_f64_e32 v[181:182], v[2:3], v[12:13]
	v_mul_f64_e32 v[12:13], v[4:5], v[12:13]
	s_wait_loadcnt_dscnt 0x800
	v_mul_f64_e32 v[177:178], v[173:174], v[16:17]
	v_mul_f64_e32 v[16:17], v[175:176], v[16:17]
	v_add_f64_e32 v[38:39], v[163:164], v[38:39]
	v_add_f64_e32 v[44:45], v[44:45], v[179:180]
	v_fma_f64 v[179:180], v[4:5], v[10:11], v[181:182]
	v_fma_f64 v[181:182], v[2:3], v[10:11], -v[12:13]
	ds_load_b128 v[2:5], v1 offset:1632
	scratch_load_b128 v[10:13], off, off offset:880
	v_fma_f64 v[175:176], v[175:176], v[14:15], v[177:178]
	v_fma_f64 v[173:174], v[173:174], v[14:15], -v[16:17]
	scratch_load_b128 v[14:17], off, off offset:896
	v_add_f64_e32 v[38:39], v[38:39], v[165:166]
	v_add_f64_e32 v[44:45], v[44:45], v[167:168]
	ds_load_b128 v[163:166], v1 offset:1648
	s_wait_loadcnt_dscnt 0x901
	v_mul_f64_e32 v[167:168], v[2:3], v[20:21]
	v_mul_f64_e32 v[20:21], v[4:5], v[20:21]
	s_wait_loadcnt_dscnt 0x800
	v_mul_f64_e32 v[177:178], v[163:164], v[24:25]
	v_mul_f64_e32 v[24:25], v[165:166], v[24:25]
	v_add_f64_e32 v[38:39], v[38:39], v[181:182]
	v_add_f64_e32 v[44:45], v[44:45], v[179:180]
	v_fma_f64 v[167:168], v[4:5], v[18:19], v[167:168]
	v_fma_f64 v[179:180], v[2:3], v[18:19], -v[20:21]
	ds_load_b128 v[2:5], v1 offset:1664
	ds_load_b128 v[18:21], v1 offset:1680
	v_fma_f64 v[165:166], v[165:166], v[22:23], v[177:178]
	v_fma_f64 v[22:23], v[163:164], v[22:23], -v[24:25]
	v_add_f64_e32 v[38:39], v[38:39], v[173:174]
	v_add_f64_e32 v[44:45], v[44:45], v[175:176]
	s_wait_loadcnt_dscnt 0x701
	v_mul_f64_e32 v[173:174], v[2:3], v[28:29]
	v_mul_f64_e32 v[28:29], v[4:5], v[28:29]
	s_delay_alu instid0(VALU_DEP_4) | instskip(NEXT) | instid1(VALU_DEP_4)
	v_add_f64_e32 v[24:25], v[38:39], v[179:180]
	v_add_f64_e32 v[38:39], v[44:45], v[167:168]
	s_wait_loadcnt_dscnt 0x600
	v_mul_f64_e32 v[44:45], v[18:19], v[32:33]
	v_mul_f64_e32 v[32:33], v[20:21], v[32:33]
	v_fma_f64 v[163:164], v[4:5], v[26:27], v[173:174]
	v_fma_f64 v[26:27], v[2:3], v[26:27], -v[28:29]
	v_add_f64_e32 v[28:29], v[24:25], v[22:23]
	v_add_f64_e32 v[38:39], v[38:39], v[165:166]
	ds_load_b128 v[2:5], v1 offset:1696
	ds_load_b128 v[22:25], v1 offset:1712
	v_fma_f64 v[20:21], v[20:21], v[30:31], v[44:45]
	v_fma_f64 v[18:19], v[18:19], v[30:31], -v[32:33]
	s_wait_loadcnt_dscnt 0x501
	v_mul_f64_e32 v[165:166], v[2:3], v[36:37]
	v_mul_f64_e32 v[36:37], v[4:5], v[36:37]
	s_wait_loadcnt_dscnt 0x400
	v_mul_f64_e32 v[30:31], v[22:23], v[42:43]
	v_add_f64_e32 v[26:27], v[28:29], v[26:27]
	v_add_f64_e32 v[28:29], v[38:39], v[163:164]
	v_mul_f64_e32 v[32:33], v[24:25], v[42:43]
	v_fma_f64 v[38:39], v[4:5], v[34:35], v[165:166]
	v_fma_f64 v[34:35], v[2:3], v[34:35], -v[36:37]
	v_fma_f64 v[24:25], v[24:25], v[40:41], v[30:31]
	v_add_f64_e32 v[26:27], v[26:27], v[18:19]
	v_add_f64_e32 v[28:29], v[28:29], v[20:21]
	ds_load_b128 v[2:5], v1 offset:1728
	ds_load_b128 v[18:21], v1 offset:1744
	v_fma_f64 v[22:23], v[22:23], v[40:41], -v[32:33]
	s_wait_loadcnt_dscnt 0x201
	v_mul_f64_e32 v[36:37], v[2:3], v[171:172]
	v_mul_f64_e32 v[42:43], v[4:5], v[171:172]
	s_wait_dscnt 0x0
	v_mul_f64_e32 v[30:31], v[18:19], v[8:9]
	v_mul_f64_e32 v[8:9], v[20:21], v[8:9]
	v_add_f64_e32 v[26:27], v[26:27], v[34:35]
	v_add_f64_e32 v[28:29], v[28:29], v[38:39]
	v_fma_f64 v[32:33], v[4:5], v[169:170], v[36:37]
	v_fma_f64 v[34:35], v[2:3], v[169:170], -v[42:43]
	v_fma_f64 v[20:21], v[20:21], v[6:7], v[30:31]
	v_fma_f64 v[6:7], v[18:19], v[6:7], -v[8:9]
	v_add_f64_e32 v[26:27], v[26:27], v[22:23]
	v_add_f64_e32 v[28:29], v[28:29], v[24:25]
	ds_load_b128 v[2:5], v1 offset:1760
	ds_load_b128 v[22:25], v1 offset:1776
	s_wait_loadcnt_dscnt 0x101
	v_mul_f64_e32 v[36:37], v[2:3], v[12:13]
	v_mul_f64_e32 v[12:13], v[4:5], v[12:13]
	v_add_f64_e32 v[8:9], v[26:27], v[34:35]
	v_add_f64_e32 v[18:19], v[28:29], v[32:33]
	s_wait_loadcnt_dscnt 0x0
	v_mul_f64_e32 v[26:27], v[22:23], v[16:17]
	v_mul_f64_e32 v[16:17], v[24:25], v[16:17]
	v_fma_f64 v[4:5], v[4:5], v[10:11], v[36:37]
	v_fma_f64 v[1:2], v[2:3], v[10:11], -v[12:13]
	v_add_f64_e32 v[6:7], v[8:9], v[6:7]
	v_add_f64_e32 v[8:9], v[18:19], v[20:21]
	v_fma_f64 v[10:11], v[24:25], v[14:15], v[26:27]
	v_fma_f64 v[12:13], v[22:23], v[14:15], -v[16:17]
	s_delay_alu instid0(VALU_DEP_4) | instskip(NEXT) | instid1(VALU_DEP_4)
	v_add_f64_e32 v[1:2], v[6:7], v[1:2]
	v_add_f64_e32 v[3:4], v[8:9], v[4:5]
	s_delay_alu instid0(VALU_DEP_2) | instskip(NEXT) | instid1(VALU_DEP_2)
	v_add_f64_e32 v[1:2], v[1:2], v[12:13]
	v_add_f64_e32 v[3:4], v[3:4], v[10:11]
	s_delay_alu instid0(VALU_DEP_2) | instskip(NEXT) | instid1(VALU_DEP_2)
	v_add_f64_e64 v[1:2], v[159:160], -v[1:2]
	v_add_f64_e64 v[3:4], v[161:162], -v[3:4]
	scratch_store_b128 off, v[1:4], off offset:512
	v_cmpx_lt_u32_e32 30, v0
	s_cbranch_execz .LBB55_289
; %bb.288:
	scratch_load_b128 v[1:4], off, s28
	v_mov_b32_e32 v5, 0
	s_delay_alu instid0(VALU_DEP_1)
	v_dual_mov_b32 v6, v5 :: v_dual_mov_b32 v7, v5
	v_mov_b32_e32 v8, v5
	scratch_store_b128 off, v[5:8], off offset:496
	s_wait_loadcnt 0x0
	ds_store_b128 v158, v[1:4]
.LBB55_289:
	s_wait_alu 0xfffe
	s_or_b32 exec_lo, exec_lo, s0
	s_wait_storecnt_dscnt 0x0
	s_barrier_signal -1
	s_barrier_wait -1
	global_inv scope:SCOPE_SE
	s_clause 0x7
	scratch_load_b128 v[2:5], off, off offset:512
	scratch_load_b128 v[6:9], off, off offset:528
	;; [unrolled: 1-line block ×8, first 2 shown]
	v_mov_b32_e32 v1, 0
	s_mov_b32 s0, exec_lo
	ds_load_b128 v[34:37], v1 offset:1392
	s_clause 0x1
	scratch_load_b128 v[38:41], off, off offset:640
	scratch_load_b128 v[42:45], off, off offset:496
	ds_load_b128 v[159:162], v1 offset:1408
	scratch_load_b128 v[163:166], off, off offset:656
	s_wait_loadcnt_dscnt 0xa01
	v_mul_f64_e32 v[167:168], v[36:37], v[4:5]
	v_mul_f64_e32 v[4:5], v[34:35], v[4:5]
	s_delay_alu instid0(VALU_DEP_2) | instskip(NEXT) | instid1(VALU_DEP_2)
	v_fma_f64 v[173:174], v[34:35], v[2:3], -v[167:168]
	v_fma_f64 v[175:176], v[36:37], v[2:3], v[4:5]
	ds_load_b128 v[2:5], v1 offset:1424
	s_wait_loadcnt_dscnt 0x901
	v_mul_f64_e32 v[171:172], v[159:160], v[8:9]
	v_mul_f64_e32 v[8:9], v[161:162], v[8:9]
	scratch_load_b128 v[34:37], off, off offset:672
	ds_load_b128 v[167:170], v1 offset:1440
	s_wait_loadcnt_dscnt 0x901
	v_mul_f64_e32 v[177:178], v[2:3], v[12:13]
	v_mul_f64_e32 v[12:13], v[4:5], v[12:13]
	v_fma_f64 v[161:162], v[161:162], v[6:7], v[171:172]
	v_fma_f64 v[159:160], v[159:160], v[6:7], -v[8:9]
	v_add_f64_e32 v[171:172], 0, v[173:174]
	v_add_f64_e32 v[173:174], 0, v[175:176]
	scratch_load_b128 v[6:9], off, off offset:688
	v_fma_f64 v[177:178], v[4:5], v[10:11], v[177:178]
	v_fma_f64 v[179:180], v[2:3], v[10:11], -v[12:13]
	ds_load_b128 v[2:5], v1 offset:1456
	s_wait_loadcnt_dscnt 0x901
	v_mul_f64_e32 v[175:176], v[167:168], v[16:17]
	v_mul_f64_e32 v[16:17], v[169:170], v[16:17]
	scratch_load_b128 v[10:13], off, off offset:704
	v_add_f64_e32 v[171:172], v[171:172], v[159:160]
	v_add_f64_e32 v[173:174], v[173:174], v[161:162]
	s_wait_loadcnt_dscnt 0x900
	v_mul_f64_e32 v[181:182], v[2:3], v[20:21]
	v_mul_f64_e32 v[20:21], v[4:5], v[20:21]
	ds_load_b128 v[159:162], v1 offset:1472
	v_fma_f64 v[169:170], v[169:170], v[14:15], v[175:176]
	v_fma_f64 v[167:168], v[167:168], v[14:15], -v[16:17]
	scratch_load_b128 v[14:17], off, off offset:720
	v_add_f64_e32 v[171:172], v[171:172], v[179:180]
	v_add_f64_e32 v[173:174], v[173:174], v[177:178]
	v_fma_f64 v[177:178], v[4:5], v[18:19], v[181:182]
	v_fma_f64 v[179:180], v[2:3], v[18:19], -v[20:21]
	ds_load_b128 v[2:5], v1 offset:1488
	s_wait_loadcnt_dscnt 0x901
	v_mul_f64_e32 v[175:176], v[159:160], v[24:25]
	v_mul_f64_e32 v[24:25], v[161:162], v[24:25]
	scratch_load_b128 v[18:21], off, off offset:736
	s_wait_loadcnt_dscnt 0x900
	v_mul_f64_e32 v[181:182], v[2:3], v[28:29]
	v_mul_f64_e32 v[28:29], v[4:5], v[28:29]
	v_add_f64_e32 v[171:172], v[171:172], v[167:168]
	v_add_f64_e32 v[173:174], v[173:174], v[169:170]
	ds_load_b128 v[167:170], v1 offset:1504
	v_fma_f64 v[161:162], v[161:162], v[22:23], v[175:176]
	v_fma_f64 v[159:160], v[159:160], v[22:23], -v[24:25]
	scratch_load_b128 v[22:25], off, off offset:752
	v_add_f64_e32 v[171:172], v[171:172], v[179:180]
	v_add_f64_e32 v[173:174], v[173:174], v[177:178]
	v_fma_f64 v[177:178], v[4:5], v[26:27], v[181:182]
	v_fma_f64 v[179:180], v[2:3], v[26:27], -v[28:29]
	ds_load_b128 v[2:5], v1 offset:1520
	s_wait_loadcnt_dscnt 0x901
	v_mul_f64_e32 v[175:176], v[167:168], v[32:33]
	v_mul_f64_e32 v[32:33], v[169:170], v[32:33]
	scratch_load_b128 v[26:29], off, off offset:768
	s_wait_loadcnt_dscnt 0x900
	v_mul_f64_e32 v[181:182], v[2:3], v[40:41]
	v_mul_f64_e32 v[40:41], v[4:5], v[40:41]
	v_add_f64_e32 v[171:172], v[171:172], v[159:160]
	v_add_f64_e32 v[173:174], v[173:174], v[161:162]
	ds_load_b128 v[159:162], v1 offset:1536
	v_fma_f64 v[169:170], v[169:170], v[30:31], v[175:176]
	v_fma_f64 v[167:168], v[167:168], v[30:31], -v[32:33]
	scratch_load_b128 v[30:33], off, off offset:784
	v_add_f64_e32 v[171:172], v[171:172], v[179:180]
	v_add_f64_e32 v[173:174], v[173:174], v[177:178]
	v_fma_f64 v[179:180], v[4:5], v[38:39], v[181:182]
	v_fma_f64 v[181:182], v[2:3], v[38:39], -v[40:41]
	ds_load_b128 v[2:5], v1 offset:1552
	s_wait_loadcnt_dscnt 0x801
	v_mul_f64_e32 v[175:176], v[159:160], v[165:166]
	v_mul_f64_e32 v[177:178], v[161:162], v[165:166]
	scratch_load_b128 v[38:41], off, off offset:800
	v_add_f64_e32 v[171:172], v[171:172], v[167:168]
	v_add_f64_e32 v[169:170], v[173:174], v[169:170]
	ds_load_b128 v[165:168], v1 offset:1568
	v_fma_f64 v[175:176], v[161:162], v[163:164], v[175:176]
	v_fma_f64 v[163:164], v[159:160], v[163:164], -v[177:178]
	scratch_load_b128 v[159:162], off, off offset:816
	s_wait_loadcnt_dscnt 0x901
	v_mul_f64_e32 v[173:174], v[2:3], v[36:37]
	v_mul_f64_e32 v[36:37], v[4:5], v[36:37]
	v_add_f64_e32 v[171:172], v[171:172], v[181:182]
	v_add_f64_e32 v[169:170], v[169:170], v[179:180]
	s_delay_alu instid0(VALU_DEP_4) | instskip(NEXT) | instid1(VALU_DEP_4)
	v_fma_f64 v[173:174], v[4:5], v[34:35], v[173:174]
	v_fma_f64 v[179:180], v[2:3], v[34:35], -v[36:37]
	ds_load_b128 v[2:5], v1 offset:1584
	s_wait_loadcnt_dscnt 0x801
	v_mul_f64_e32 v[177:178], v[165:166], v[8:9]
	v_mul_f64_e32 v[8:9], v[167:168], v[8:9]
	scratch_load_b128 v[34:37], off, off offset:832
	s_wait_loadcnt_dscnt 0x800
	v_mul_f64_e32 v[181:182], v[2:3], v[12:13]
	v_add_f64_e32 v[163:164], v[171:172], v[163:164]
	v_add_f64_e32 v[175:176], v[169:170], v[175:176]
	v_mul_f64_e32 v[12:13], v[4:5], v[12:13]
	ds_load_b128 v[169:172], v1 offset:1600
	v_fma_f64 v[167:168], v[167:168], v[6:7], v[177:178]
	v_fma_f64 v[165:166], v[165:166], v[6:7], -v[8:9]
	scratch_load_b128 v[6:9], off, off offset:848
	v_fma_f64 v[177:178], v[4:5], v[10:11], v[181:182]
	v_add_f64_e32 v[163:164], v[163:164], v[179:180]
	v_add_f64_e32 v[173:174], v[175:176], v[173:174]
	v_fma_f64 v[179:180], v[2:3], v[10:11], -v[12:13]
	ds_load_b128 v[2:5], v1 offset:1616
	s_wait_loadcnt_dscnt 0x801
	v_mul_f64_e32 v[175:176], v[169:170], v[16:17]
	v_mul_f64_e32 v[16:17], v[171:172], v[16:17]
	scratch_load_b128 v[10:13], off, off offset:864
	v_add_f64_e32 v[181:182], v[163:164], v[165:166]
	v_add_f64_e32 v[167:168], v[173:174], v[167:168]
	s_wait_loadcnt_dscnt 0x800
	v_mul_f64_e32 v[173:174], v[2:3], v[20:21]
	v_mul_f64_e32 v[20:21], v[4:5], v[20:21]
	v_fma_f64 v[171:172], v[171:172], v[14:15], v[175:176]
	v_fma_f64 v[169:170], v[169:170], v[14:15], -v[16:17]
	ds_load_b128 v[163:166], v1 offset:1632
	scratch_load_b128 v[14:17], off, off offset:880
	v_add_f64_e32 v[175:176], v[181:182], v[179:180]
	v_add_f64_e32 v[167:168], v[167:168], v[177:178]
	v_fma_f64 v[173:174], v[4:5], v[18:19], v[173:174]
	v_fma_f64 v[179:180], v[2:3], v[18:19], -v[20:21]
	ds_load_b128 v[2:5], v1 offset:1648
	s_wait_loadcnt_dscnt 0x801
	v_mul_f64_e32 v[177:178], v[163:164], v[24:25]
	v_mul_f64_e32 v[24:25], v[165:166], v[24:25]
	scratch_load_b128 v[18:21], off, off offset:896
	s_wait_loadcnt_dscnt 0x800
	v_mul_f64_e32 v[181:182], v[2:3], v[28:29]
	v_mul_f64_e32 v[28:29], v[4:5], v[28:29]
	v_add_f64_e32 v[175:176], v[175:176], v[169:170]
	v_add_f64_e32 v[171:172], v[167:168], v[171:172]
	ds_load_b128 v[167:170], v1 offset:1664
	v_fma_f64 v[165:166], v[165:166], v[22:23], v[177:178]
	v_fma_f64 v[22:23], v[163:164], v[22:23], -v[24:25]
	v_add_f64_e32 v[24:25], v[175:176], v[179:180]
	v_add_f64_e32 v[163:164], v[171:172], v[173:174]
	s_wait_loadcnt_dscnt 0x700
	v_mul_f64_e32 v[171:172], v[167:168], v[32:33]
	v_mul_f64_e32 v[32:33], v[169:170], v[32:33]
	v_fma_f64 v[173:174], v[4:5], v[26:27], v[181:182]
	v_fma_f64 v[26:27], v[2:3], v[26:27], -v[28:29]
	v_add_f64_e32 v[28:29], v[24:25], v[22:23]
	v_add_f64_e32 v[163:164], v[163:164], v[165:166]
	ds_load_b128 v[2:5], v1 offset:1680
	ds_load_b128 v[22:25], v1 offset:1696
	v_fma_f64 v[169:170], v[169:170], v[30:31], v[171:172]
	v_fma_f64 v[30:31], v[167:168], v[30:31], -v[32:33]
	s_wait_loadcnt_dscnt 0x601
	v_mul_f64_e32 v[165:166], v[2:3], v[40:41]
	v_mul_f64_e32 v[40:41], v[4:5], v[40:41]
	s_wait_loadcnt_dscnt 0x500
	v_mul_f64_e32 v[32:33], v[22:23], v[161:162]
	v_mul_f64_e32 v[161:162], v[24:25], v[161:162]
	v_add_f64_e32 v[26:27], v[28:29], v[26:27]
	v_add_f64_e32 v[28:29], v[163:164], v[173:174]
	v_fma_f64 v[163:164], v[4:5], v[38:39], v[165:166]
	v_fma_f64 v[38:39], v[2:3], v[38:39], -v[40:41]
	v_fma_f64 v[24:25], v[24:25], v[159:160], v[32:33]
	v_fma_f64 v[22:23], v[22:23], v[159:160], -v[161:162]
	v_add_f64_e32 v[30:31], v[26:27], v[30:31]
	v_add_f64_e32 v[40:41], v[28:29], v[169:170]
	ds_load_b128 v[2:5], v1 offset:1712
	ds_load_b128 v[26:29], v1 offset:1728
	s_wait_loadcnt_dscnt 0x401
	v_mul_f64_e32 v[165:166], v[2:3], v[36:37]
	v_mul_f64_e32 v[36:37], v[4:5], v[36:37]
	v_add_f64_e32 v[30:31], v[30:31], v[38:39]
	v_add_f64_e32 v[32:33], v[40:41], v[163:164]
	s_wait_loadcnt_dscnt 0x300
	v_mul_f64_e32 v[38:39], v[26:27], v[8:9]
	v_mul_f64_e32 v[8:9], v[28:29], v[8:9]
	v_fma_f64 v[40:41], v[4:5], v[34:35], v[165:166]
	v_fma_f64 v[34:35], v[2:3], v[34:35], -v[36:37]
	v_add_f64_e32 v[30:31], v[30:31], v[22:23]
	v_add_f64_e32 v[32:33], v[32:33], v[24:25]
	ds_load_b128 v[2:5], v1 offset:1744
	ds_load_b128 v[22:25], v1 offset:1760
	v_fma_f64 v[28:29], v[28:29], v[6:7], v[38:39]
	v_fma_f64 v[6:7], v[26:27], v[6:7], -v[8:9]
	s_wait_loadcnt_dscnt 0x201
	v_mul_f64_e32 v[36:37], v[2:3], v[12:13]
	v_mul_f64_e32 v[12:13], v[4:5], v[12:13]
	v_add_f64_e32 v[8:9], v[30:31], v[34:35]
	v_add_f64_e32 v[26:27], v[32:33], v[40:41]
	s_wait_loadcnt_dscnt 0x100
	v_mul_f64_e32 v[30:31], v[22:23], v[16:17]
	v_mul_f64_e32 v[16:17], v[24:25], v[16:17]
	v_fma_f64 v[32:33], v[4:5], v[10:11], v[36:37]
	v_fma_f64 v[10:11], v[2:3], v[10:11], -v[12:13]
	ds_load_b128 v[2:5], v1 offset:1776
	v_add_f64_e32 v[6:7], v[8:9], v[6:7]
	v_add_f64_e32 v[8:9], v[26:27], v[28:29]
	v_fma_f64 v[24:25], v[24:25], v[14:15], v[30:31]
	v_fma_f64 v[14:15], v[22:23], v[14:15], -v[16:17]
	s_wait_loadcnt_dscnt 0x0
	v_mul_f64_e32 v[12:13], v[2:3], v[20:21]
	v_mul_f64_e32 v[20:21], v[4:5], v[20:21]
	v_add_f64_e32 v[6:7], v[6:7], v[10:11]
	v_add_f64_e32 v[8:9], v[8:9], v[32:33]
	s_delay_alu instid0(VALU_DEP_4) | instskip(NEXT) | instid1(VALU_DEP_4)
	v_fma_f64 v[4:5], v[4:5], v[18:19], v[12:13]
	v_fma_f64 v[2:3], v[2:3], v[18:19], -v[20:21]
	s_delay_alu instid0(VALU_DEP_4) | instskip(NEXT) | instid1(VALU_DEP_4)
	v_add_f64_e32 v[6:7], v[6:7], v[14:15]
	v_add_f64_e32 v[8:9], v[8:9], v[24:25]
	s_delay_alu instid0(VALU_DEP_2) | instskip(NEXT) | instid1(VALU_DEP_2)
	v_add_f64_e32 v[2:3], v[6:7], v[2:3]
	v_add_f64_e32 v[4:5], v[8:9], v[4:5]
	s_delay_alu instid0(VALU_DEP_2) | instskip(NEXT) | instid1(VALU_DEP_2)
	v_add_f64_e64 v[2:3], v[42:43], -v[2:3]
	v_add_f64_e64 v[4:5], v[44:45], -v[4:5]
	scratch_store_b128 off, v[2:5], off offset:496
	v_cmpx_lt_u32_e32 29, v0
	s_cbranch_execz .LBB55_291
; %bb.290:
	scratch_load_b128 v[5:8], off, s27
	v_dual_mov_b32 v2, v1 :: v_dual_mov_b32 v3, v1
	v_mov_b32_e32 v4, v1
	scratch_store_b128 off, v[1:4], off offset:480
	s_wait_loadcnt 0x0
	ds_store_b128 v158, v[5:8]
.LBB55_291:
	s_wait_alu 0xfffe
	s_or_b32 exec_lo, exec_lo, s0
	s_wait_storecnt_dscnt 0x0
	s_barrier_signal -1
	s_barrier_wait -1
	global_inv scope:SCOPE_SE
	s_clause 0x8
	scratch_load_b128 v[2:5], off, off offset:496
	scratch_load_b128 v[6:9], off, off offset:512
	;; [unrolled: 1-line block ×9, first 2 shown]
	ds_load_b128 v[38:41], v1 offset:1376
	ds_load_b128 v[42:45], v1 offset:1392
	s_clause 0x1
	scratch_load_b128 v[159:162], off, off offset:480
	scratch_load_b128 v[163:166], off, off offset:640
	s_mov_b32 s0, exec_lo
	s_wait_loadcnt_dscnt 0xa01
	v_mul_f64_e32 v[167:168], v[40:41], v[4:5]
	v_mul_f64_e32 v[4:5], v[38:39], v[4:5]
	s_wait_loadcnt_dscnt 0x900
	v_mul_f64_e32 v[171:172], v[42:43], v[8:9]
	v_mul_f64_e32 v[8:9], v[44:45], v[8:9]
	s_delay_alu instid0(VALU_DEP_4) | instskip(NEXT) | instid1(VALU_DEP_4)
	v_fma_f64 v[173:174], v[38:39], v[2:3], -v[167:168]
	v_fma_f64 v[175:176], v[40:41], v[2:3], v[4:5]
	ds_load_b128 v[2:5], v1 offset:1408
	ds_load_b128 v[167:170], v1 offset:1424
	scratch_load_b128 v[38:41], off, off offset:656
	v_fma_f64 v[44:45], v[44:45], v[6:7], v[171:172]
	v_fma_f64 v[42:43], v[42:43], v[6:7], -v[8:9]
	scratch_load_b128 v[6:9], off, off offset:672
	s_wait_loadcnt_dscnt 0xa01
	v_mul_f64_e32 v[177:178], v[2:3], v[12:13]
	v_mul_f64_e32 v[12:13], v[4:5], v[12:13]
	v_add_f64_e32 v[171:172], 0, v[173:174]
	v_add_f64_e32 v[173:174], 0, v[175:176]
	s_wait_loadcnt_dscnt 0x900
	v_mul_f64_e32 v[175:176], v[167:168], v[16:17]
	v_mul_f64_e32 v[16:17], v[169:170], v[16:17]
	v_fma_f64 v[177:178], v[4:5], v[10:11], v[177:178]
	v_fma_f64 v[179:180], v[2:3], v[10:11], -v[12:13]
	ds_load_b128 v[2:5], v1 offset:1440
	scratch_load_b128 v[10:13], off, off offset:688
	v_add_f64_e32 v[171:172], v[171:172], v[42:43]
	v_add_f64_e32 v[173:174], v[173:174], v[44:45]
	ds_load_b128 v[42:45], v1 offset:1456
	v_fma_f64 v[169:170], v[169:170], v[14:15], v[175:176]
	v_fma_f64 v[167:168], v[167:168], v[14:15], -v[16:17]
	scratch_load_b128 v[14:17], off, off offset:704
	s_wait_loadcnt_dscnt 0xa01
	v_mul_f64_e32 v[181:182], v[2:3], v[20:21]
	v_mul_f64_e32 v[20:21], v[4:5], v[20:21]
	s_wait_loadcnt_dscnt 0x900
	v_mul_f64_e32 v[175:176], v[42:43], v[24:25]
	v_mul_f64_e32 v[24:25], v[44:45], v[24:25]
	v_add_f64_e32 v[171:172], v[171:172], v[179:180]
	v_add_f64_e32 v[173:174], v[173:174], v[177:178]
	v_fma_f64 v[177:178], v[4:5], v[18:19], v[181:182]
	v_fma_f64 v[179:180], v[2:3], v[18:19], -v[20:21]
	ds_load_b128 v[2:5], v1 offset:1472
	scratch_load_b128 v[18:21], off, off offset:720
	v_fma_f64 v[44:45], v[44:45], v[22:23], v[175:176]
	v_fma_f64 v[42:43], v[42:43], v[22:23], -v[24:25]
	scratch_load_b128 v[22:25], off, off offset:736
	v_add_f64_e32 v[171:172], v[171:172], v[167:168]
	v_add_f64_e32 v[173:174], v[173:174], v[169:170]
	ds_load_b128 v[167:170], v1 offset:1488
	s_wait_loadcnt_dscnt 0xa01
	v_mul_f64_e32 v[181:182], v[2:3], v[28:29]
	v_mul_f64_e32 v[28:29], v[4:5], v[28:29]
	s_wait_loadcnt_dscnt 0x900
	v_mul_f64_e32 v[175:176], v[167:168], v[32:33]
	v_mul_f64_e32 v[32:33], v[169:170], v[32:33]
	v_add_f64_e32 v[171:172], v[171:172], v[179:180]
	v_add_f64_e32 v[173:174], v[173:174], v[177:178]
	v_fma_f64 v[177:178], v[4:5], v[26:27], v[181:182]
	v_fma_f64 v[179:180], v[2:3], v[26:27], -v[28:29]
	ds_load_b128 v[2:5], v1 offset:1504
	scratch_load_b128 v[26:29], off, off offset:752
	v_fma_f64 v[169:170], v[169:170], v[30:31], v[175:176]
	v_fma_f64 v[167:168], v[167:168], v[30:31], -v[32:33]
	scratch_load_b128 v[30:33], off, off offset:768
	v_add_f64_e32 v[171:172], v[171:172], v[42:43]
	v_add_f64_e32 v[173:174], v[173:174], v[44:45]
	ds_load_b128 v[42:45], v1 offset:1520
	s_wait_loadcnt_dscnt 0xa01
	v_mul_f64_e32 v[181:182], v[2:3], v[36:37]
	v_mul_f64_e32 v[36:37], v[4:5], v[36:37]
	s_wait_loadcnt_dscnt 0x800
	v_mul_f64_e32 v[175:176], v[42:43], v[165:166]
	v_add_f64_e32 v[171:172], v[171:172], v[179:180]
	v_add_f64_e32 v[173:174], v[173:174], v[177:178]
	v_mul_f64_e32 v[177:178], v[44:45], v[165:166]
	v_fma_f64 v[179:180], v[4:5], v[34:35], v[181:182]
	v_fma_f64 v[181:182], v[2:3], v[34:35], -v[36:37]
	ds_load_b128 v[2:5], v1 offset:1536
	scratch_load_b128 v[34:37], off, off offset:784
	v_fma_f64 v[44:45], v[44:45], v[163:164], v[175:176]
	v_add_f64_e32 v[171:172], v[171:172], v[167:168]
	v_add_f64_e32 v[169:170], v[173:174], v[169:170]
	ds_load_b128 v[165:168], v1 offset:1552
	v_fma_f64 v[163:164], v[42:43], v[163:164], -v[177:178]
	s_wait_loadcnt_dscnt 0x801
	v_mul_f64_e32 v[173:174], v[2:3], v[40:41]
	v_mul_f64_e32 v[183:184], v[4:5], v[40:41]
	scratch_load_b128 v[40:43], off, off offset:800
	s_wait_loadcnt_dscnt 0x800
	v_mul_f64_e32 v[177:178], v[165:166], v[8:9]
	v_mul_f64_e32 v[8:9], v[167:168], v[8:9]
	v_add_f64_e32 v[171:172], v[171:172], v[181:182]
	v_add_f64_e32 v[169:170], v[169:170], v[179:180]
	v_fma_f64 v[179:180], v[4:5], v[38:39], v[173:174]
	v_fma_f64 v[38:39], v[2:3], v[38:39], -v[183:184]
	ds_load_b128 v[2:5], v1 offset:1568
	ds_load_b128 v[173:176], v1 offset:1584
	v_fma_f64 v[167:168], v[167:168], v[6:7], v[177:178]
	v_fma_f64 v[165:166], v[165:166], v[6:7], -v[8:9]
	scratch_load_b128 v[6:9], off, off offset:832
	v_add_f64_e32 v[163:164], v[171:172], v[163:164]
	v_add_f64_e32 v[44:45], v[169:170], v[44:45]
	scratch_load_b128 v[169:172], off, off offset:816
	s_wait_loadcnt_dscnt 0x901
	v_mul_f64_e32 v[181:182], v[2:3], v[12:13]
	v_mul_f64_e32 v[12:13], v[4:5], v[12:13]
	s_wait_loadcnt_dscnt 0x800
	v_mul_f64_e32 v[177:178], v[173:174], v[16:17]
	v_mul_f64_e32 v[16:17], v[175:176], v[16:17]
	v_add_f64_e32 v[38:39], v[163:164], v[38:39]
	v_add_f64_e32 v[44:45], v[44:45], v[179:180]
	v_fma_f64 v[179:180], v[4:5], v[10:11], v[181:182]
	v_fma_f64 v[181:182], v[2:3], v[10:11], -v[12:13]
	ds_load_b128 v[2:5], v1 offset:1600
	scratch_load_b128 v[10:13], off, off offset:848
	v_fma_f64 v[175:176], v[175:176], v[14:15], v[177:178]
	v_fma_f64 v[173:174], v[173:174], v[14:15], -v[16:17]
	scratch_load_b128 v[14:17], off, off offset:864
	v_add_f64_e32 v[38:39], v[38:39], v[165:166]
	v_add_f64_e32 v[44:45], v[44:45], v[167:168]
	ds_load_b128 v[163:166], v1 offset:1616
	s_wait_loadcnt_dscnt 0x901
	v_mul_f64_e32 v[167:168], v[2:3], v[20:21]
	v_mul_f64_e32 v[20:21], v[4:5], v[20:21]
	s_wait_loadcnt_dscnt 0x800
	v_mul_f64_e32 v[177:178], v[163:164], v[24:25]
	v_mul_f64_e32 v[24:25], v[165:166], v[24:25]
	v_add_f64_e32 v[38:39], v[38:39], v[181:182]
	v_add_f64_e32 v[44:45], v[44:45], v[179:180]
	v_fma_f64 v[167:168], v[4:5], v[18:19], v[167:168]
	v_fma_f64 v[179:180], v[2:3], v[18:19], -v[20:21]
	ds_load_b128 v[2:5], v1 offset:1632
	scratch_load_b128 v[18:21], off, off offset:880
	v_fma_f64 v[165:166], v[165:166], v[22:23], v[177:178]
	v_fma_f64 v[163:164], v[163:164], v[22:23], -v[24:25]
	scratch_load_b128 v[22:25], off, off offset:896
	v_add_f64_e32 v[38:39], v[38:39], v[173:174]
	v_add_f64_e32 v[44:45], v[44:45], v[175:176]
	ds_load_b128 v[173:176], v1 offset:1648
	s_wait_loadcnt_dscnt 0x901
	v_mul_f64_e32 v[181:182], v[2:3], v[28:29]
	v_mul_f64_e32 v[28:29], v[4:5], v[28:29]
	v_add_f64_e32 v[38:39], v[38:39], v[179:180]
	v_add_f64_e32 v[44:45], v[44:45], v[167:168]
	s_wait_loadcnt_dscnt 0x800
	v_mul_f64_e32 v[167:168], v[173:174], v[32:33]
	v_mul_f64_e32 v[32:33], v[175:176], v[32:33]
	v_fma_f64 v[177:178], v[4:5], v[26:27], v[181:182]
	v_fma_f64 v[179:180], v[2:3], v[26:27], -v[28:29]
	ds_load_b128 v[2:5], v1 offset:1664
	ds_load_b128 v[26:29], v1 offset:1680
	v_add_f64_e32 v[38:39], v[38:39], v[163:164]
	v_add_f64_e32 v[44:45], v[44:45], v[165:166]
	s_wait_loadcnt_dscnt 0x701
	v_mul_f64_e32 v[163:164], v[2:3], v[36:37]
	v_mul_f64_e32 v[36:37], v[4:5], v[36:37]
	v_fma_f64 v[165:166], v[175:176], v[30:31], v[167:168]
	v_fma_f64 v[30:31], v[173:174], v[30:31], -v[32:33]
	v_add_f64_e32 v[32:33], v[38:39], v[179:180]
	v_add_f64_e32 v[38:39], v[44:45], v[177:178]
	s_wait_loadcnt_dscnt 0x600
	v_mul_f64_e32 v[44:45], v[26:27], v[42:43]
	v_mul_f64_e32 v[42:43], v[28:29], v[42:43]
	v_fma_f64 v[163:164], v[4:5], v[34:35], v[163:164]
	v_fma_f64 v[34:35], v[2:3], v[34:35], -v[36:37]
	v_add_f64_e32 v[36:37], v[32:33], v[30:31]
	v_add_f64_e32 v[38:39], v[38:39], v[165:166]
	ds_load_b128 v[2:5], v1 offset:1696
	ds_load_b128 v[30:33], v1 offset:1712
	v_fma_f64 v[28:29], v[28:29], v[40:41], v[44:45]
	v_fma_f64 v[26:27], v[26:27], v[40:41], -v[42:43]
	s_wait_loadcnt_dscnt 0x401
	v_mul_f64_e32 v[165:166], v[2:3], v[171:172]
	v_mul_f64_e32 v[167:168], v[4:5], v[171:172]
	v_add_f64_e32 v[34:35], v[36:37], v[34:35]
	v_add_f64_e32 v[36:37], v[38:39], v[163:164]
	s_wait_dscnt 0x0
	v_mul_f64_e32 v[38:39], v[30:31], v[8:9]
	v_mul_f64_e32 v[8:9], v[32:33], v[8:9]
	v_fma_f64 v[40:41], v[4:5], v[169:170], v[165:166]
	v_fma_f64 v[42:43], v[2:3], v[169:170], -v[167:168]
	v_add_f64_e32 v[34:35], v[34:35], v[26:27]
	v_add_f64_e32 v[36:37], v[36:37], v[28:29]
	ds_load_b128 v[2:5], v1 offset:1728
	ds_load_b128 v[26:29], v1 offset:1744
	v_fma_f64 v[32:33], v[32:33], v[6:7], v[38:39]
	v_fma_f64 v[6:7], v[30:31], v[6:7], -v[8:9]
	s_wait_loadcnt_dscnt 0x301
	v_mul_f64_e32 v[44:45], v[2:3], v[12:13]
	v_mul_f64_e32 v[12:13], v[4:5], v[12:13]
	v_add_f64_e32 v[8:9], v[34:35], v[42:43]
	v_add_f64_e32 v[30:31], v[36:37], v[40:41]
	s_wait_loadcnt_dscnt 0x200
	v_mul_f64_e32 v[34:35], v[26:27], v[16:17]
	v_mul_f64_e32 v[16:17], v[28:29], v[16:17]
	v_fma_f64 v[36:37], v[4:5], v[10:11], v[44:45]
	v_fma_f64 v[10:11], v[2:3], v[10:11], -v[12:13]
	v_add_f64_e32 v[12:13], v[8:9], v[6:7]
	v_add_f64_e32 v[30:31], v[30:31], v[32:33]
	ds_load_b128 v[2:5], v1 offset:1760
	ds_load_b128 v[6:9], v1 offset:1776
	v_fma_f64 v[28:29], v[28:29], v[14:15], v[34:35]
	v_fma_f64 v[14:15], v[26:27], v[14:15], -v[16:17]
	s_wait_loadcnt_dscnt 0x101
	v_mul_f64_e32 v[32:33], v[2:3], v[20:21]
	v_mul_f64_e32 v[20:21], v[4:5], v[20:21]
	s_wait_loadcnt_dscnt 0x0
	v_mul_f64_e32 v[16:17], v[6:7], v[24:25]
	v_mul_f64_e32 v[24:25], v[8:9], v[24:25]
	v_add_f64_e32 v[10:11], v[12:13], v[10:11]
	v_add_f64_e32 v[12:13], v[30:31], v[36:37]
	v_fma_f64 v[4:5], v[4:5], v[18:19], v[32:33]
	v_fma_f64 v[1:2], v[2:3], v[18:19], -v[20:21]
	v_fma_f64 v[8:9], v[8:9], v[22:23], v[16:17]
	v_fma_f64 v[6:7], v[6:7], v[22:23], -v[24:25]
	v_add_f64_e32 v[10:11], v[10:11], v[14:15]
	v_add_f64_e32 v[12:13], v[12:13], v[28:29]
	s_delay_alu instid0(VALU_DEP_2) | instskip(NEXT) | instid1(VALU_DEP_2)
	v_add_f64_e32 v[1:2], v[10:11], v[1:2]
	v_add_f64_e32 v[3:4], v[12:13], v[4:5]
	s_delay_alu instid0(VALU_DEP_2) | instskip(NEXT) | instid1(VALU_DEP_2)
	;; [unrolled: 3-line block ×3, first 2 shown]
	v_add_f64_e64 v[1:2], v[159:160], -v[1:2]
	v_add_f64_e64 v[3:4], v[161:162], -v[3:4]
	scratch_store_b128 off, v[1:4], off offset:480
	v_cmpx_lt_u32_e32 28, v0
	s_cbranch_execz .LBB55_293
; %bb.292:
	scratch_load_b128 v[1:4], off, s33
	v_mov_b32_e32 v5, 0
	s_delay_alu instid0(VALU_DEP_1)
	v_dual_mov_b32 v6, v5 :: v_dual_mov_b32 v7, v5
	v_mov_b32_e32 v8, v5
	scratch_store_b128 off, v[5:8], off offset:464
	s_wait_loadcnt 0x0
	ds_store_b128 v158, v[1:4]
.LBB55_293:
	s_wait_alu 0xfffe
	s_or_b32 exec_lo, exec_lo, s0
	s_wait_storecnt_dscnt 0x0
	s_barrier_signal -1
	s_barrier_wait -1
	global_inv scope:SCOPE_SE
	s_clause 0x7
	scratch_load_b128 v[2:5], off, off offset:480
	scratch_load_b128 v[6:9], off, off offset:496
	;; [unrolled: 1-line block ×8, first 2 shown]
	v_mov_b32_e32 v1, 0
	s_mov_b32 s0, exec_lo
	ds_load_b128 v[34:37], v1 offset:1360
	s_clause 0x1
	scratch_load_b128 v[38:41], off, off offset:608
	scratch_load_b128 v[42:45], off, off offset:464
	ds_load_b128 v[159:162], v1 offset:1376
	scratch_load_b128 v[163:166], off, off offset:624
	s_wait_loadcnt_dscnt 0xa01
	v_mul_f64_e32 v[167:168], v[36:37], v[4:5]
	v_mul_f64_e32 v[4:5], v[34:35], v[4:5]
	s_delay_alu instid0(VALU_DEP_2) | instskip(NEXT) | instid1(VALU_DEP_2)
	v_fma_f64 v[173:174], v[34:35], v[2:3], -v[167:168]
	v_fma_f64 v[175:176], v[36:37], v[2:3], v[4:5]
	ds_load_b128 v[2:5], v1 offset:1392
	s_wait_loadcnt_dscnt 0x901
	v_mul_f64_e32 v[171:172], v[159:160], v[8:9]
	v_mul_f64_e32 v[8:9], v[161:162], v[8:9]
	scratch_load_b128 v[34:37], off, off offset:640
	ds_load_b128 v[167:170], v1 offset:1408
	s_wait_loadcnt_dscnt 0x901
	v_mul_f64_e32 v[177:178], v[2:3], v[12:13]
	v_mul_f64_e32 v[12:13], v[4:5], v[12:13]
	v_fma_f64 v[161:162], v[161:162], v[6:7], v[171:172]
	v_fma_f64 v[159:160], v[159:160], v[6:7], -v[8:9]
	v_add_f64_e32 v[171:172], 0, v[173:174]
	v_add_f64_e32 v[173:174], 0, v[175:176]
	scratch_load_b128 v[6:9], off, off offset:656
	v_fma_f64 v[177:178], v[4:5], v[10:11], v[177:178]
	v_fma_f64 v[179:180], v[2:3], v[10:11], -v[12:13]
	ds_load_b128 v[2:5], v1 offset:1424
	s_wait_loadcnt_dscnt 0x901
	v_mul_f64_e32 v[175:176], v[167:168], v[16:17]
	v_mul_f64_e32 v[16:17], v[169:170], v[16:17]
	scratch_load_b128 v[10:13], off, off offset:672
	v_add_f64_e32 v[171:172], v[171:172], v[159:160]
	v_add_f64_e32 v[173:174], v[173:174], v[161:162]
	s_wait_loadcnt_dscnt 0x900
	v_mul_f64_e32 v[181:182], v[2:3], v[20:21]
	v_mul_f64_e32 v[20:21], v[4:5], v[20:21]
	ds_load_b128 v[159:162], v1 offset:1440
	v_fma_f64 v[169:170], v[169:170], v[14:15], v[175:176]
	v_fma_f64 v[167:168], v[167:168], v[14:15], -v[16:17]
	scratch_load_b128 v[14:17], off, off offset:688
	v_add_f64_e32 v[171:172], v[171:172], v[179:180]
	v_add_f64_e32 v[173:174], v[173:174], v[177:178]
	v_fma_f64 v[177:178], v[4:5], v[18:19], v[181:182]
	v_fma_f64 v[179:180], v[2:3], v[18:19], -v[20:21]
	ds_load_b128 v[2:5], v1 offset:1456
	s_wait_loadcnt_dscnt 0x901
	v_mul_f64_e32 v[175:176], v[159:160], v[24:25]
	v_mul_f64_e32 v[24:25], v[161:162], v[24:25]
	scratch_load_b128 v[18:21], off, off offset:704
	s_wait_loadcnt_dscnt 0x900
	v_mul_f64_e32 v[181:182], v[2:3], v[28:29]
	v_mul_f64_e32 v[28:29], v[4:5], v[28:29]
	v_add_f64_e32 v[171:172], v[171:172], v[167:168]
	v_add_f64_e32 v[173:174], v[173:174], v[169:170]
	ds_load_b128 v[167:170], v1 offset:1472
	v_fma_f64 v[161:162], v[161:162], v[22:23], v[175:176]
	v_fma_f64 v[159:160], v[159:160], v[22:23], -v[24:25]
	scratch_load_b128 v[22:25], off, off offset:720
	v_add_f64_e32 v[171:172], v[171:172], v[179:180]
	v_add_f64_e32 v[173:174], v[173:174], v[177:178]
	v_fma_f64 v[177:178], v[4:5], v[26:27], v[181:182]
	v_fma_f64 v[179:180], v[2:3], v[26:27], -v[28:29]
	ds_load_b128 v[2:5], v1 offset:1488
	s_wait_loadcnt_dscnt 0x901
	v_mul_f64_e32 v[175:176], v[167:168], v[32:33]
	v_mul_f64_e32 v[32:33], v[169:170], v[32:33]
	scratch_load_b128 v[26:29], off, off offset:736
	s_wait_loadcnt_dscnt 0x900
	v_mul_f64_e32 v[181:182], v[2:3], v[40:41]
	v_mul_f64_e32 v[40:41], v[4:5], v[40:41]
	v_add_f64_e32 v[171:172], v[171:172], v[159:160]
	v_add_f64_e32 v[173:174], v[173:174], v[161:162]
	ds_load_b128 v[159:162], v1 offset:1504
	v_fma_f64 v[169:170], v[169:170], v[30:31], v[175:176]
	v_fma_f64 v[167:168], v[167:168], v[30:31], -v[32:33]
	scratch_load_b128 v[30:33], off, off offset:752
	v_add_f64_e32 v[171:172], v[171:172], v[179:180]
	v_add_f64_e32 v[173:174], v[173:174], v[177:178]
	v_fma_f64 v[179:180], v[4:5], v[38:39], v[181:182]
	v_fma_f64 v[181:182], v[2:3], v[38:39], -v[40:41]
	ds_load_b128 v[2:5], v1 offset:1520
	s_wait_loadcnt_dscnt 0x801
	v_mul_f64_e32 v[175:176], v[159:160], v[165:166]
	v_mul_f64_e32 v[177:178], v[161:162], v[165:166]
	scratch_load_b128 v[38:41], off, off offset:768
	v_add_f64_e32 v[171:172], v[171:172], v[167:168]
	v_add_f64_e32 v[169:170], v[173:174], v[169:170]
	ds_load_b128 v[165:168], v1 offset:1536
	v_fma_f64 v[175:176], v[161:162], v[163:164], v[175:176]
	v_fma_f64 v[163:164], v[159:160], v[163:164], -v[177:178]
	scratch_load_b128 v[159:162], off, off offset:784
	s_wait_loadcnt_dscnt 0x901
	v_mul_f64_e32 v[173:174], v[2:3], v[36:37]
	v_mul_f64_e32 v[36:37], v[4:5], v[36:37]
	v_add_f64_e32 v[171:172], v[171:172], v[181:182]
	v_add_f64_e32 v[169:170], v[169:170], v[179:180]
	s_delay_alu instid0(VALU_DEP_4) | instskip(NEXT) | instid1(VALU_DEP_4)
	v_fma_f64 v[173:174], v[4:5], v[34:35], v[173:174]
	v_fma_f64 v[179:180], v[2:3], v[34:35], -v[36:37]
	ds_load_b128 v[2:5], v1 offset:1552
	s_wait_loadcnt_dscnt 0x801
	v_mul_f64_e32 v[177:178], v[165:166], v[8:9]
	v_mul_f64_e32 v[8:9], v[167:168], v[8:9]
	scratch_load_b128 v[34:37], off, off offset:800
	s_wait_loadcnt_dscnt 0x800
	v_mul_f64_e32 v[181:182], v[2:3], v[12:13]
	v_add_f64_e32 v[163:164], v[171:172], v[163:164]
	v_add_f64_e32 v[175:176], v[169:170], v[175:176]
	v_mul_f64_e32 v[12:13], v[4:5], v[12:13]
	ds_load_b128 v[169:172], v1 offset:1568
	v_fma_f64 v[167:168], v[167:168], v[6:7], v[177:178]
	v_fma_f64 v[165:166], v[165:166], v[6:7], -v[8:9]
	scratch_load_b128 v[6:9], off, off offset:816
	v_fma_f64 v[177:178], v[4:5], v[10:11], v[181:182]
	v_add_f64_e32 v[163:164], v[163:164], v[179:180]
	v_add_f64_e32 v[173:174], v[175:176], v[173:174]
	v_fma_f64 v[179:180], v[2:3], v[10:11], -v[12:13]
	ds_load_b128 v[2:5], v1 offset:1584
	s_wait_loadcnt_dscnt 0x801
	v_mul_f64_e32 v[175:176], v[169:170], v[16:17]
	v_mul_f64_e32 v[16:17], v[171:172], v[16:17]
	scratch_load_b128 v[10:13], off, off offset:832
	v_add_f64_e32 v[181:182], v[163:164], v[165:166]
	v_add_f64_e32 v[167:168], v[173:174], v[167:168]
	s_wait_loadcnt_dscnt 0x800
	v_mul_f64_e32 v[173:174], v[2:3], v[20:21]
	v_mul_f64_e32 v[20:21], v[4:5], v[20:21]
	v_fma_f64 v[171:172], v[171:172], v[14:15], v[175:176]
	v_fma_f64 v[169:170], v[169:170], v[14:15], -v[16:17]
	ds_load_b128 v[163:166], v1 offset:1600
	scratch_load_b128 v[14:17], off, off offset:848
	v_add_f64_e32 v[175:176], v[181:182], v[179:180]
	v_add_f64_e32 v[167:168], v[167:168], v[177:178]
	v_fma_f64 v[173:174], v[4:5], v[18:19], v[173:174]
	v_fma_f64 v[179:180], v[2:3], v[18:19], -v[20:21]
	ds_load_b128 v[2:5], v1 offset:1616
	s_wait_loadcnt_dscnt 0x801
	v_mul_f64_e32 v[177:178], v[163:164], v[24:25]
	v_mul_f64_e32 v[24:25], v[165:166], v[24:25]
	scratch_load_b128 v[18:21], off, off offset:864
	s_wait_loadcnt_dscnt 0x800
	v_mul_f64_e32 v[181:182], v[2:3], v[28:29]
	v_mul_f64_e32 v[28:29], v[4:5], v[28:29]
	v_add_f64_e32 v[175:176], v[175:176], v[169:170]
	v_add_f64_e32 v[171:172], v[167:168], v[171:172]
	ds_load_b128 v[167:170], v1 offset:1632
	v_fma_f64 v[165:166], v[165:166], v[22:23], v[177:178]
	v_fma_f64 v[163:164], v[163:164], v[22:23], -v[24:25]
	scratch_load_b128 v[22:25], off, off offset:880
	v_fma_f64 v[177:178], v[4:5], v[26:27], v[181:182]
	v_add_f64_e32 v[175:176], v[175:176], v[179:180]
	v_add_f64_e32 v[171:172], v[171:172], v[173:174]
	v_fma_f64 v[179:180], v[2:3], v[26:27], -v[28:29]
	ds_load_b128 v[2:5], v1 offset:1648
	s_wait_loadcnt_dscnt 0x801
	v_mul_f64_e32 v[173:174], v[167:168], v[32:33]
	v_mul_f64_e32 v[32:33], v[169:170], v[32:33]
	scratch_load_b128 v[26:29], off, off offset:896
	s_wait_loadcnt_dscnt 0x800
	v_mul_f64_e32 v[181:182], v[2:3], v[40:41]
	v_mul_f64_e32 v[40:41], v[4:5], v[40:41]
	v_add_f64_e32 v[175:176], v[175:176], v[163:164]
	v_add_f64_e32 v[171:172], v[171:172], v[165:166]
	ds_load_b128 v[163:166], v1 offset:1664
	v_fma_f64 v[169:170], v[169:170], v[30:31], v[173:174]
	v_fma_f64 v[30:31], v[167:168], v[30:31], -v[32:33]
	v_fma_f64 v[173:174], v[4:5], v[38:39], v[181:182]
	v_fma_f64 v[38:39], v[2:3], v[38:39], -v[40:41]
	v_add_f64_e32 v[32:33], v[175:176], v[179:180]
	v_add_f64_e32 v[167:168], v[171:172], v[177:178]
	s_wait_loadcnt_dscnt 0x700
	v_mul_f64_e32 v[171:172], v[163:164], v[161:162]
	v_mul_f64_e32 v[161:162], v[165:166], v[161:162]
	s_delay_alu instid0(VALU_DEP_4) | instskip(NEXT) | instid1(VALU_DEP_4)
	v_add_f64_e32 v[40:41], v[32:33], v[30:31]
	v_add_f64_e32 v[167:168], v[167:168], v[169:170]
	ds_load_b128 v[2:5], v1 offset:1680
	ds_load_b128 v[30:33], v1 offset:1696
	v_fma_f64 v[165:166], v[165:166], v[159:160], v[171:172]
	v_fma_f64 v[159:160], v[163:164], v[159:160], -v[161:162]
	s_wait_loadcnt_dscnt 0x601
	v_mul_f64_e32 v[169:170], v[2:3], v[36:37]
	v_mul_f64_e32 v[36:37], v[4:5], v[36:37]
	s_wait_loadcnt_dscnt 0x500
	v_mul_f64_e32 v[161:162], v[30:31], v[8:9]
	v_mul_f64_e32 v[8:9], v[32:33], v[8:9]
	v_add_f64_e32 v[38:39], v[40:41], v[38:39]
	v_add_f64_e32 v[40:41], v[167:168], v[173:174]
	v_fma_f64 v[163:164], v[4:5], v[34:35], v[169:170]
	v_fma_f64 v[167:168], v[2:3], v[34:35], -v[36:37]
	ds_load_b128 v[2:5], v1 offset:1712
	ds_load_b128 v[34:37], v1 offset:1728
	v_fma_f64 v[32:33], v[32:33], v[6:7], v[161:162]
	v_fma_f64 v[6:7], v[30:31], v[6:7], -v[8:9]
	v_add_f64_e32 v[38:39], v[38:39], v[159:160]
	v_add_f64_e32 v[40:41], v[40:41], v[165:166]
	s_wait_loadcnt_dscnt 0x401
	v_mul_f64_e32 v[159:160], v[2:3], v[12:13]
	v_mul_f64_e32 v[12:13], v[4:5], v[12:13]
	s_delay_alu instid0(VALU_DEP_4) | instskip(NEXT) | instid1(VALU_DEP_4)
	v_add_f64_e32 v[8:9], v[38:39], v[167:168]
	v_add_f64_e32 v[30:31], v[40:41], v[163:164]
	s_wait_loadcnt_dscnt 0x300
	v_mul_f64_e32 v[38:39], v[34:35], v[16:17]
	v_mul_f64_e32 v[16:17], v[36:37], v[16:17]
	v_fma_f64 v[40:41], v[4:5], v[10:11], v[159:160]
	v_fma_f64 v[10:11], v[2:3], v[10:11], -v[12:13]
	v_add_f64_e32 v[12:13], v[8:9], v[6:7]
	v_add_f64_e32 v[30:31], v[30:31], v[32:33]
	ds_load_b128 v[2:5], v1 offset:1744
	ds_load_b128 v[6:9], v1 offset:1760
	v_fma_f64 v[36:37], v[36:37], v[14:15], v[38:39]
	v_fma_f64 v[14:15], v[34:35], v[14:15], -v[16:17]
	s_wait_loadcnt_dscnt 0x201
	v_mul_f64_e32 v[32:33], v[2:3], v[20:21]
	v_mul_f64_e32 v[20:21], v[4:5], v[20:21]
	s_wait_loadcnt_dscnt 0x100
	v_mul_f64_e32 v[16:17], v[6:7], v[24:25]
	v_mul_f64_e32 v[24:25], v[8:9], v[24:25]
	v_add_f64_e32 v[10:11], v[12:13], v[10:11]
	v_add_f64_e32 v[12:13], v[30:31], v[40:41]
	v_fma_f64 v[30:31], v[4:5], v[18:19], v[32:33]
	v_fma_f64 v[18:19], v[2:3], v[18:19], -v[20:21]
	ds_load_b128 v[2:5], v1 offset:1776
	v_fma_f64 v[8:9], v[8:9], v[22:23], v[16:17]
	v_fma_f64 v[6:7], v[6:7], v[22:23], -v[24:25]
	v_add_f64_e32 v[10:11], v[10:11], v[14:15]
	v_add_f64_e32 v[12:13], v[12:13], v[36:37]
	s_wait_loadcnt_dscnt 0x0
	v_mul_f64_e32 v[14:15], v[2:3], v[28:29]
	v_mul_f64_e32 v[20:21], v[4:5], v[28:29]
	s_delay_alu instid0(VALU_DEP_4) | instskip(NEXT) | instid1(VALU_DEP_4)
	v_add_f64_e32 v[10:11], v[10:11], v[18:19]
	v_add_f64_e32 v[12:13], v[12:13], v[30:31]
	s_delay_alu instid0(VALU_DEP_4) | instskip(NEXT) | instid1(VALU_DEP_4)
	v_fma_f64 v[4:5], v[4:5], v[26:27], v[14:15]
	v_fma_f64 v[2:3], v[2:3], v[26:27], -v[20:21]
	s_delay_alu instid0(VALU_DEP_4) | instskip(NEXT) | instid1(VALU_DEP_4)
	v_add_f64_e32 v[6:7], v[10:11], v[6:7]
	v_add_f64_e32 v[8:9], v[12:13], v[8:9]
	s_delay_alu instid0(VALU_DEP_2) | instskip(NEXT) | instid1(VALU_DEP_2)
	v_add_f64_e32 v[2:3], v[6:7], v[2:3]
	v_add_f64_e32 v[4:5], v[8:9], v[4:5]
	s_delay_alu instid0(VALU_DEP_2) | instskip(NEXT) | instid1(VALU_DEP_2)
	v_add_f64_e64 v[2:3], v[42:43], -v[2:3]
	v_add_f64_e64 v[4:5], v[44:45], -v[4:5]
	scratch_store_b128 off, v[2:5], off offset:464
	v_cmpx_lt_u32_e32 27, v0
	s_cbranch_execz .LBB55_295
; %bb.294:
	scratch_load_b128 v[5:8], off, s31
	v_dual_mov_b32 v2, v1 :: v_dual_mov_b32 v3, v1
	v_mov_b32_e32 v4, v1
	scratch_store_b128 off, v[1:4], off offset:448
	s_wait_loadcnt 0x0
	ds_store_b128 v158, v[5:8]
.LBB55_295:
	s_wait_alu 0xfffe
	s_or_b32 exec_lo, exec_lo, s0
	s_wait_storecnt_dscnt 0x0
	s_barrier_signal -1
	s_barrier_wait -1
	global_inv scope:SCOPE_SE
	s_clause 0x8
	scratch_load_b128 v[2:5], off, off offset:464
	scratch_load_b128 v[6:9], off, off offset:480
	scratch_load_b128 v[10:13], off, off offset:496
	scratch_load_b128 v[14:17], off, off offset:512
	scratch_load_b128 v[18:21], off, off offset:528
	scratch_load_b128 v[22:25], off, off offset:544
	scratch_load_b128 v[26:29], off, off offset:560
	scratch_load_b128 v[30:33], off, off offset:576
	scratch_load_b128 v[34:37], off, off offset:592
	ds_load_b128 v[38:41], v1 offset:1344
	ds_load_b128 v[42:45], v1 offset:1360
	s_clause 0x1
	scratch_load_b128 v[159:162], off, off offset:448
	scratch_load_b128 v[163:166], off, off offset:608
	s_mov_b32 s0, exec_lo
	s_wait_loadcnt_dscnt 0xa01
	v_mul_f64_e32 v[167:168], v[40:41], v[4:5]
	v_mul_f64_e32 v[4:5], v[38:39], v[4:5]
	s_wait_loadcnt_dscnt 0x900
	v_mul_f64_e32 v[171:172], v[42:43], v[8:9]
	v_mul_f64_e32 v[8:9], v[44:45], v[8:9]
	s_delay_alu instid0(VALU_DEP_4) | instskip(NEXT) | instid1(VALU_DEP_4)
	v_fma_f64 v[173:174], v[38:39], v[2:3], -v[167:168]
	v_fma_f64 v[175:176], v[40:41], v[2:3], v[4:5]
	ds_load_b128 v[2:5], v1 offset:1376
	ds_load_b128 v[167:170], v1 offset:1392
	scratch_load_b128 v[38:41], off, off offset:624
	v_fma_f64 v[44:45], v[44:45], v[6:7], v[171:172]
	v_fma_f64 v[42:43], v[42:43], v[6:7], -v[8:9]
	scratch_load_b128 v[6:9], off, off offset:640
	s_wait_loadcnt_dscnt 0xa01
	v_mul_f64_e32 v[177:178], v[2:3], v[12:13]
	v_mul_f64_e32 v[12:13], v[4:5], v[12:13]
	v_add_f64_e32 v[171:172], 0, v[173:174]
	v_add_f64_e32 v[173:174], 0, v[175:176]
	s_wait_loadcnt_dscnt 0x900
	v_mul_f64_e32 v[175:176], v[167:168], v[16:17]
	v_mul_f64_e32 v[16:17], v[169:170], v[16:17]
	v_fma_f64 v[177:178], v[4:5], v[10:11], v[177:178]
	v_fma_f64 v[179:180], v[2:3], v[10:11], -v[12:13]
	ds_load_b128 v[2:5], v1 offset:1408
	scratch_load_b128 v[10:13], off, off offset:656
	v_add_f64_e32 v[171:172], v[171:172], v[42:43]
	v_add_f64_e32 v[173:174], v[173:174], v[44:45]
	ds_load_b128 v[42:45], v1 offset:1424
	v_fma_f64 v[169:170], v[169:170], v[14:15], v[175:176]
	v_fma_f64 v[167:168], v[167:168], v[14:15], -v[16:17]
	scratch_load_b128 v[14:17], off, off offset:672
	s_wait_loadcnt_dscnt 0xa01
	v_mul_f64_e32 v[181:182], v[2:3], v[20:21]
	v_mul_f64_e32 v[20:21], v[4:5], v[20:21]
	s_wait_loadcnt_dscnt 0x900
	v_mul_f64_e32 v[175:176], v[42:43], v[24:25]
	v_mul_f64_e32 v[24:25], v[44:45], v[24:25]
	v_add_f64_e32 v[171:172], v[171:172], v[179:180]
	v_add_f64_e32 v[173:174], v[173:174], v[177:178]
	v_fma_f64 v[177:178], v[4:5], v[18:19], v[181:182]
	v_fma_f64 v[179:180], v[2:3], v[18:19], -v[20:21]
	ds_load_b128 v[2:5], v1 offset:1440
	scratch_load_b128 v[18:21], off, off offset:688
	v_fma_f64 v[44:45], v[44:45], v[22:23], v[175:176]
	v_fma_f64 v[42:43], v[42:43], v[22:23], -v[24:25]
	scratch_load_b128 v[22:25], off, off offset:704
	v_add_f64_e32 v[171:172], v[171:172], v[167:168]
	v_add_f64_e32 v[173:174], v[173:174], v[169:170]
	ds_load_b128 v[167:170], v1 offset:1456
	s_wait_loadcnt_dscnt 0xa01
	v_mul_f64_e32 v[181:182], v[2:3], v[28:29]
	v_mul_f64_e32 v[28:29], v[4:5], v[28:29]
	s_wait_loadcnt_dscnt 0x900
	v_mul_f64_e32 v[175:176], v[167:168], v[32:33]
	v_mul_f64_e32 v[32:33], v[169:170], v[32:33]
	v_add_f64_e32 v[171:172], v[171:172], v[179:180]
	v_add_f64_e32 v[173:174], v[173:174], v[177:178]
	v_fma_f64 v[177:178], v[4:5], v[26:27], v[181:182]
	v_fma_f64 v[179:180], v[2:3], v[26:27], -v[28:29]
	ds_load_b128 v[2:5], v1 offset:1472
	scratch_load_b128 v[26:29], off, off offset:720
	v_fma_f64 v[169:170], v[169:170], v[30:31], v[175:176]
	v_fma_f64 v[167:168], v[167:168], v[30:31], -v[32:33]
	scratch_load_b128 v[30:33], off, off offset:736
	v_add_f64_e32 v[171:172], v[171:172], v[42:43]
	v_add_f64_e32 v[173:174], v[173:174], v[44:45]
	ds_load_b128 v[42:45], v1 offset:1488
	s_wait_loadcnt_dscnt 0xa01
	v_mul_f64_e32 v[181:182], v[2:3], v[36:37]
	v_mul_f64_e32 v[36:37], v[4:5], v[36:37]
	s_wait_loadcnt_dscnt 0x800
	v_mul_f64_e32 v[175:176], v[42:43], v[165:166]
	v_add_f64_e32 v[171:172], v[171:172], v[179:180]
	v_add_f64_e32 v[173:174], v[173:174], v[177:178]
	v_mul_f64_e32 v[177:178], v[44:45], v[165:166]
	v_fma_f64 v[179:180], v[4:5], v[34:35], v[181:182]
	v_fma_f64 v[181:182], v[2:3], v[34:35], -v[36:37]
	ds_load_b128 v[2:5], v1 offset:1504
	scratch_load_b128 v[34:37], off, off offset:752
	v_fma_f64 v[44:45], v[44:45], v[163:164], v[175:176]
	v_add_f64_e32 v[171:172], v[171:172], v[167:168]
	v_add_f64_e32 v[169:170], v[173:174], v[169:170]
	ds_load_b128 v[165:168], v1 offset:1520
	v_fma_f64 v[163:164], v[42:43], v[163:164], -v[177:178]
	s_wait_loadcnt_dscnt 0x801
	v_mul_f64_e32 v[173:174], v[2:3], v[40:41]
	v_mul_f64_e32 v[183:184], v[4:5], v[40:41]
	scratch_load_b128 v[40:43], off, off offset:768
	s_wait_loadcnt_dscnt 0x800
	v_mul_f64_e32 v[177:178], v[165:166], v[8:9]
	v_mul_f64_e32 v[8:9], v[167:168], v[8:9]
	v_add_f64_e32 v[171:172], v[171:172], v[181:182]
	v_add_f64_e32 v[169:170], v[169:170], v[179:180]
	v_fma_f64 v[179:180], v[4:5], v[38:39], v[173:174]
	v_fma_f64 v[38:39], v[2:3], v[38:39], -v[183:184]
	ds_load_b128 v[2:5], v1 offset:1536
	ds_load_b128 v[173:176], v1 offset:1552
	v_fma_f64 v[167:168], v[167:168], v[6:7], v[177:178]
	v_fma_f64 v[165:166], v[165:166], v[6:7], -v[8:9]
	scratch_load_b128 v[6:9], off, off offset:800
	v_add_f64_e32 v[163:164], v[171:172], v[163:164]
	v_add_f64_e32 v[44:45], v[169:170], v[44:45]
	scratch_load_b128 v[169:172], off, off offset:784
	s_wait_loadcnt_dscnt 0x901
	v_mul_f64_e32 v[181:182], v[2:3], v[12:13]
	v_mul_f64_e32 v[12:13], v[4:5], v[12:13]
	s_wait_loadcnt_dscnt 0x800
	v_mul_f64_e32 v[177:178], v[173:174], v[16:17]
	v_mul_f64_e32 v[16:17], v[175:176], v[16:17]
	v_add_f64_e32 v[38:39], v[163:164], v[38:39]
	v_add_f64_e32 v[44:45], v[44:45], v[179:180]
	v_fma_f64 v[179:180], v[4:5], v[10:11], v[181:182]
	v_fma_f64 v[181:182], v[2:3], v[10:11], -v[12:13]
	ds_load_b128 v[2:5], v1 offset:1568
	scratch_load_b128 v[10:13], off, off offset:816
	v_fma_f64 v[175:176], v[175:176], v[14:15], v[177:178]
	v_fma_f64 v[173:174], v[173:174], v[14:15], -v[16:17]
	scratch_load_b128 v[14:17], off, off offset:832
	v_add_f64_e32 v[38:39], v[38:39], v[165:166]
	v_add_f64_e32 v[44:45], v[44:45], v[167:168]
	ds_load_b128 v[163:166], v1 offset:1584
	s_wait_loadcnt_dscnt 0x901
	v_mul_f64_e32 v[167:168], v[2:3], v[20:21]
	v_mul_f64_e32 v[20:21], v[4:5], v[20:21]
	s_wait_loadcnt_dscnt 0x800
	v_mul_f64_e32 v[177:178], v[163:164], v[24:25]
	v_mul_f64_e32 v[24:25], v[165:166], v[24:25]
	v_add_f64_e32 v[38:39], v[38:39], v[181:182]
	v_add_f64_e32 v[44:45], v[44:45], v[179:180]
	v_fma_f64 v[167:168], v[4:5], v[18:19], v[167:168]
	v_fma_f64 v[179:180], v[2:3], v[18:19], -v[20:21]
	ds_load_b128 v[2:5], v1 offset:1600
	scratch_load_b128 v[18:21], off, off offset:848
	v_fma_f64 v[165:166], v[165:166], v[22:23], v[177:178]
	v_fma_f64 v[163:164], v[163:164], v[22:23], -v[24:25]
	scratch_load_b128 v[22:25], off, off offset:864
	v_add_f64_e32 v[38:39], v[38:39], v[173:174]
	v_add_f64_e32 v[44:45], v[44:45], v[175:176]
	ds_load_b128 v[173:176], v1 offset:1616
	s_wait_loadcnt_dscnt 0x901
	v_mul_f64_e32 v[181:182], v[2:3], v[28:29]
	v_mul_f64_e32 v[28:29], v[4:5], v[28:29]
	v_add_f64_e32 v[38:39], v[38:39], v[179:180]
	v_add_f64_e32 v[44:45], v[44:45], v[167:168]
	s_wait_loadcnt_dscnt 0x800
	v_mul_f64_e32 v[167:168], v[173:174], v[32:33]
	v_mul_f64_e32 v[32:33], v[175:176], v[32:33]
	v_fma_f64 v[177:178], v[4:5], v[26:27], v[181:182]
	v_fma_f64 v[179:180], v[2:3], v[26:27], -v[28:29]
	ds_load_b128 v[2:5], v1 offset:1632
	scratch_load_b128 v[26:29], off, off offset:880
	v_add_f64_e32 v[38:39], v[38:39], v[163:164]
	v_add_f64_e32 v[44:45], v[44:45], v[165:166]
	ds_load_b128 v[163:166], v1 offset:1648
	s_wait_loadcnt_dscnt 0x801
	v_mul_f64_e32 v[181:182], v[2:3], v[36:37]
	v_mul_f64_e32 v[36:37], v[4:5], v[36:37]
	v_fma_f64 v[167:168], v[175:176], v[30:31], v[167:168]
	v_fma_f64 v[173:174], v[173:174], v[30:31], -v[32:33]
	scratch_load_b128 v[30:33], off, off offset:896
	s_wait_loadcnt_dscnt 0x800
	v_mul_f64_e32 v[175:176], v[163:164], v[42:43]
	v_add_f64_e32 v[38:39], v[38:39], v[179:180]
	v_add_f64_e32 v[44:45], v[44:45], v[177:178]
	v_mul_f64_e32 v[42:43], v[165:166], v[42:43]
	v_fma_f64 v[177:178], v[4:5], v[34:35], v[181:182]
	v_fma_f64 v[179:180], v[2:3], v[34:35], -v[36:37]
	ds_load_b128 v[2:5], v1 offset:1664
	ds_load_b128 v[34:37], v1 offset:1680
	v_fma_f64 v[165:166], v[165:166], v[40:41], v[175:176]
	v_add_f64_e32 v[38:39], v[38:39], v[173:174]
	v_add_f64_e32 v[44:45], v[44:45], v[167:168]
	v_fma_f64 v[40:41], v[163:164], v[40:41], -v[42:43]
	s_wait_loadcnt_dscnt 0x601
	v_mul_f64_e32 v[167:168], v[2:3], v[171:172]
	v_mul_f64_e32 v[171:172], v[4:5], v[171:172]
	v_add_f64_e32 v[38:39], v[38:39], v[179:180]
	v_add_f64_e32 v[42:43], v[44:45], v[177:178]
	s_wait_dscnt 0x0
	v_mul_f64_e32 v[44:45], v[34:35], v[8:9]
	v_mul_f64_e32 v[8:9], v[36:37], v[8:9]
	v_fma_f64 v[163:164], v[4:5], v[169:170], v[167:168]
	v_fma_f64 v[167:168], v[2:3], v[169:170], -v[171:172]
	v_add_f64_e32 v[169:170], v[38:39], v[40:41]
	v_add_f64_e32 v[42:43], v[42:43], v[165:166]
	ds_load_b128 v[2:5], v1 offset:1696
	ds_load_b128 v[38:41], v1 offset:1712
	v_fma_f64 v[36:37], v[36:37], v[6:7], v[44:45]
	v_fma_f64 v[6:7], v[34:35], v[6:7], -v[8:9]
	s_wait_loadcnt_dscnt 0x501
	v_mul_f64_e32 v[165:166], v[2:3], v[12:13]
	v_mul_f64_e32 v[12:13], v[4:5], v[12:13]
	v_add_f64_e32 v[8:9], v[169:170], v[167:168]
	v_add_f64_e32 v[34:35], v[42:43], v[163:164]
	s_wait_loadcnt_dscnt 0x400
	v_mul_f64_e32 v[42:43], v[38:39], v[16:17]
	v_mul_f64_e32 v[16:17], v[40:41], v[16:17]
	v_fma_f64 v[44:45], v[4:5], v[10:11], v[165:166]
	v_fma_f64 v[10:11], v[2:3], v[10:11], -v[12:13]
	v_add_f64_e32 v[12:13], v[8:9], v[6:7]
	v_add_f64_e32 v[34:35], v[34:35], v[36:37]
	ds_load_b128 v[2:5], v1 offset:1728
	ds_load_b128 v[6:9], v1 offset:1744
	v_fma_f64 v[40:41], v[40:41], v[14:15], v[42:43]
	v_fma_f64 v[14:15], v[38:39], v[14:15], -v[16:17]
	s_wait_loadcnt_dscnt 0x301
	v_mul_f64_e32 v[36:37], v[2:3], v[20:21]
	v_mul_f64_e32 v[20:21], v[4:5], v[20:21]
	s_wait_loadcnt_dscnt 0x200
	v_mul_f64_e32 v[16:17], v[6:7], v[24:25]
	v_mul_f64_e32 v[24:25], v[8:9], v[24:25]
	v_add_f64_e32 v[10:11], v[12:13], v[10:11]
	v_add_f64_e32 v[12:13], v[34:35], v[44:45]
	v_fma_f64 v[34:35], v[4:5], v[18:19], v[36:37]
	v_fma_f64 v[18:19], v[2:3], v[18:19], -v[20:21]
	v_fma_f64 v[8:9], v[8:9], v[22:23], v[16:17]
	v_fma_f64 v[6:7], v[6:7], v[22:23], -v[24:25]
	v_add_f64_e32 v[14:15], v[10:11], v[14:15]
	v_add_f64_e32 v[20:21], v[12:13], v[40:41]
	ds_load_b128 v[2:5], v1 offset:1760
	ds_load_b128 v[10:13], v1 offset:1776
	s_wait_loadcnt_dscnt 0x101
	v_mul_f64_e32 v[36:37], v[2:3], v[28:29]
	v_mul_f64_e32 v[28:29], v[4:5], v[28:29]
	v_add_f64_e32 v[14:15], v[14:15], v[18:19]
	v_add_f64_e32 v[16:17], v[20:21], v[34:35]
	s_wait_loadcnt_dscnt 0x0
	v_mul_f64_e32 v[18:19], v[10:11], v[32:33]
	v_mul_f64_e32 v[20:21], v[12:13], v[32:33]
	v_fma_f64 v[4:5], v[4:5], v[26:27], v[36:37]
	v_fma_f64 v[1:2], v[2:3], v[26:27], -v[28:29]
	v_add_f64_e32 v[6:7], v[14:15], v[6:7]
	v_add_f64_e32 v[8:9], v[16:17], v[8:9]
	v_fma_f64 v[12:13], v[12:13], v[30:31], v[18:19]
	v_fma_f64 v[10:11], v[10:11], v[30:31], -v[20:21]
	s_delay_alu instid0(VALU_DEP_4) | instskip(NEXT) | instid1(VALU_DEP_4)
	v_add_f64_e32 v[1:2], v[6:7], v[1:2]
	v_add_f64_e32 v[3:4], v[8:9], v[4:5]
	s_delay_alu instid0(VALU_DEP_2) | instskip(NEXT) | instid1(VALU_DEP_2)
	v_add_f64_e32 v[1:2], v[1:2], v[10:11]
	v_add_f64_e32 v[3:4], v[3:4], v[12:13]
	s_delay_alu instid0(VALU_DEP_2) | instskip(NEXT) | instid1(VALU_DEP_2)
	v_add_f64_e64 v[1:2], v[159:160], -v[1:2]
	v_add_f64_e64 v[3:4], v[161:162], -v[3:4]
	scratch_store_b128 off, v[1:4], off offset:448
	v_cmpx_lt_u32_e32 26, v0
	s_cbranch_execz .LBB55_297
; %bb.296:
	scratch_load_b128 v[1:4], off, s37
	v_mov_b32_e32 v5, 0
	s_delay_alu instid0(VALU_DEP_1)
	v_dual_mov_b32 v6, v5 :: v_dual_mov_b32 v7, v5
	v_mov_b32_e32 v8, v5
	scratch_store_b128 off, v[5:8], off offset:432
	s_wait_loadcnt 0x0
	ds_store_b128 v158, v[1:4]
.LBB55_297:
	s_wait_alu 0xfffe
	s_or_b32 exec_lo, exec_lo, s0
	s_wait_storecnt_dscnt 0x0
	s_barrier_signal -1
	s_barrier_wait -1
	global_inv scope:SCOPE_SE
	s_clause 0x7
	scratch_load_b128 v[2:5], off, off offset:448
	scratch_load_b128 v[6:9], off, off offset:464
	;; [unrolled: 1-line block ×8, first 2 shown]
	v_mov_b32_e32 v1, 0
	s_mov_b32 s0, exec_lo
	ds_load_b128 v[34:37], v1 offset:1328
	s_clause 0x1
	scratch_load_b128 v[38:41], off, off offset:576
	scratch_load_b128 v[42:45], off, off offset:432
	ds_load_b128 v[159:162], v1 offset:1344
	scratch_load_b128 v[163:166], off, off offset:592
	s_wait_loadcnt_dscnt 0xa01
	v_mul_f64_e32 v[167:168], v[36:37], v[4:5]
	v_mul_f64_e32 v[4:5], v[34:35], v[4:5]
	s_delay_alu instid0(VALU_DEP_2) | instskip(NEXT) | instid1(VALU_DEP_2)
	v_fma_f64 v[173:174], v[34:35], v[2:3], -v[167:168]
	v_fma_f64 v[175:176], v[36:37], v[2:3], v[4:5]
	ds_load_b128 v[2:5], v1 offset:1360
	s_wait_loadcnt_dscnt 0x901
	v_mul_f64_e32 v[171:172], v[159:160], v[8:9]
	v_mul_f64_e32 v[8:9], v[161:162], v[8:9]
	scratch_load_b128 v[34:37], off, off offset:608
	ds_load_b128 v[167:170], v1 offset:1376
	s_wait_loadcnt_dscnt 0x901
	v_mul_f64_e32 v[177:178], v[2:3], v[12:13]
	v_mul_f64_e32 v[12:13], v[4:5], v[12:13]
	v_fma_f64 v[161:162], v[161:162], v[6:7], v[171:172]
	v_fma_f64 v[159:160], v[159:160], v[6:7], -v[8:9]
	v_add_f64_e32 v[171:172], 0, v[173:174]
	v_add_f64_e32 v[173:174], 0, v[175:176]
	scratch_load_b128 v[6:9], off, off offset:624
	v_fma_f64 v[177:178], v[4:5], v[10:11], v[177:178]
	v_fma_f64 v[179:180], v[2:3], v[10:11], -v[12:13]
	ds_load_b128 v[2:5], v1 offset:1392
	s_wait_loadcnt_dscnt 0x901
	v_mul_f64_e32 v[175:176], v[167:168], v[16:17]
	v_mul_f64_e32 v[16:17], v[169:170], v[16:17]
	scratch_load_b128 v[10:13], off, off offset:640
	v_add_f64_e32 v[171:172], v[171:172], v[159:160]
	v_add_f64_e32 v[173:174], v[173:174], v[161:162]
	s_wait_loadcnt_dscnt 0x900
	v_mul_f64_e32 v[181:182], v[2:3], v[20:21]
	v_mul_f64_e32 v[20:21], v[4:5], v[20:21]
	ds_load_b128 v[159:162], v1 offset:1408
	v_fma_f64 v[169:170], v[169:170], v[14:15], v[175:176]
	v_fma_f64 v[167:168], v[167:168], v[14:15], -v[16:17]
	scratch_load_b128 v[14:17], off, off offset:656
	v_add_f64_e32 v[171:172], v[171:172], v[179:180]
	v_add_f64_e32 v[173:174], v[173:174], v[177:178]
	v_fma_f64 v[177:178], v[4:5], v[18:19], v[181:182]
	v_fma_f64 v[179:180], v[2:3], v[18:19], -v[20:21]
	ds_load_b128 v[2:5], v1 offset:1424
	s_wait_loadcnt_dscnt 0x901
	v_mul_f64_e32 v[175:176], v[159:160], v[24:25]
	v_mul_f64_e32 v[24:25], v[161:162], v[24:25]
	scratch_load_b128 v[18:21], off, off offset:672
	s_wait_loadcnt_dscnt 0x900
	v_mul_f64_e32 v[181:182], v[2:3], v[28:29]
	v_mul_f64_e32 v[28:29], v[4:5], v[28:29]
	v_add_f64_e32 v[171:172], v[171:172], v[167:168]
	v_add_f64_e32 v[173:174], v[173:174], v[169:170]
	ds_load_b128 v[167:170], v1 offset:1440
	v_fma_f64 v[161:162], v[161:162], v[22:23], v[175:176]
	v_fma_f64 v[159:160], v[159:160], v[22:23], -v[24:25]
	scratch_load_b128 v[22:25], off, off offset:688
	v_add_f64_e32 v[171:172], v[171:172], v[179:180]
	v_add_f64_e32 v[173:174], v[173:174], v[177:178]
	v_fma_f64 v[177:178], v[4:5], v[26:27], v[181:182]
	v_fma_f64 v[179:180], v[2:3], v[26:27], -v[28:29]
	ds_load_b128 v[2:5], v1 offset:1456
	s_wait_loadcnt_dscnt 0x901
	v_mul_f64_e32 v[175:176], v[167:168], v[32:33]
	v_mul_f64_e32 v[32:33], v[169:170], v[32:33]
	scratch_load_b128 v[26:29], off, off offset:704
	s_wait_loadcnt_dscnt 0x900
	v_mul_f64_e32 v[181:182], v[2:3], v[40:41]
	v_mul_f64_e32 v[40:41], v[4:5], v[40:41]
	v_add_f64_e32 v[171:172], v[171:172], v[159:160]
	v_add_f64_e32 v[173:174], v[173:174], v[161:162]
	ds_load_b128 v[159:162], v1 offset:1472
	v_fma_f64 v[169:170], v[169:170], v[30:31], v[175:176]
	v_fma_f64 v[167:168], v[167:168], v[30:31], -v[32:33]
	scratch_load_b128 v[30:33], off, off offset:720
	v_add_f64_e32 v[171:172], v[171:172], v[179:180]
	v_add_f64_e32 v[173:174], v[173:174], v[177:178]
	v_fma_f64 v[179:180], v[4:5], v[38:39], v[181:182]
	v_fma_f64 v[181:182], v[2:3], v[38:39], -v[40:41]
	ds_load_b128 v[2:5], v1 offset:1488
	s_wait_loadcnt_dscnt 0x801
	v_mul_f64_e32 v[175:176], v[159:160], v[165:166]
	v_mul_f64_e32 v[177:178], v[161:162], v[165:166]
	scratch_load_b128 v[38:41], off, off offset:736
	v_add_f64_e32 v[171:172], v[171:172], v[167:168]
	v_add_f64_e32 v[169:170], v[173:174], v[169:170]
	ds_load_b128 v[165:168], v1 offset:1504
	v_fma_f64 v[175:176], v[161:162], v[163:164], v[175:176]
	v_fma_f64 v[163:164], v[159:160], v[163:164], -v[177:178]
	scratch_load_b128 v[159:162], off, off offset:752
	s_wait_loadcnt_dscnt 0x901
	v_mul_f64_e32 v[173:174], v[2:3], v[36:37]
	v_mul_f64_e32 v[36:37], v[4:5], v[36:37]
	v_add_f64_e32 v[171:172], v[171:172], v[181:182]
	v_add_f64_e32 v[169:170], v[169:170], v[179:180]
	s_delay_alu instid0(VALU_DEP_4) | instskip(NEXT) | instid1(VALU_DEP_4)
	v_fma_f64 v[173:174], v[4:5], v[34:35], v[173:174]
	v_fma_f64 v[179:180], v[2:3], v[34:35], -v[36:37]
	ds_load_b128 v[2:5], v1 offset:1520
	s_wait_loadcnt_dscnt 0x801
	v_mul_f64_e32 v[177:178], v[165:166], v[8:9]
	v_mul_f64_e32 v[8:9], v[167:168], v[8:9]
	scratch_load_b128 v[34:37], off, off offset:768
	s_wait_loadcnt_dscnt 0x800
	v_mul_f64_e32 v[181:182], v[2:3], v[12:13]
	v_add_f64_e32 v[163:164], v[171:172], v[163:164]
	v_add_f64_e32 v[175:176], v[169:170], v[175:176]
	v_mul_f64_e32 v[12:13], v[4:5], v[12:13]
	ds_load_b128 v[169:172], v1 offset:1536
	v_fma_f64 v[167:168], v[167:168], v[6:7], v[177:178]
	v_fma_f64 v[165:166], v[165:166], v[6:7], -v[8:9]
	scratch_load_b128 v[6:9], off, off offset:784
	v_fma_f64 v[177:178], v[4:5], v[10:11], v[181:182]
	v_add_f64_e32 v[163:164], v[163:164], v[179:180]
	v_add_f64_e32 v[173:174], v[175:176], v[173:174]
	v_fma_f64 v[179:180], v[2:3], v[10:11], -v[12:13]
	ds_load_b128 v[2:5], v1 offset:1552
	s_wait_loadcnt_dscnt 0x801
	v_mul_f64_e32 v[175:176], v[169:170], v[16:17]
	v_mul_f64_e32 v[16:17], v[171:172], v[16:17]
	scratch_load_b128 v[10:13], off, off offset:800
	v_add_f64_e32 v[181:182], v[163:164], v[165:166]
	v_add_f64_e32 v[167:168], v[173:174], v[167:168]
	s_wait_loadcnt_dscnt 0x800
	v_mul_f64_e32 v[173:174], v[2:3], v[20:21]
	v_mul_f64_e32 v[20:21], v[4:5], v[20:21]
	v_fma_f64 v[171:172], v[171:172], v[14:15], v[175:176]
	v_fma_f64 v[169:170], v[169:170], v[14:15], -v[16:17]
	ds_load_b128 v[163:166], v1 offset:1568
	scratch_load_b128 v[14:17], off, off offset:816
	v_add_f64_e32 v[175:176], v[181:182], v[179:180]
	v_add_f64_e32 v[167:168], v[167:168], v[177:178]
	v_fma_f64 v[173:174], v[4:5], v[18:19], v[173:174]
	v_fma_f64 v[179:180], v[2:3], v[18:19], -v[20:21]
	ds_load_b128 v[2:5], v1 offset:1584
	s_wait_loadcnt_dscnt 0x801
	v_mul_f64_e32 v[177:178], v[163:164], v[24:25]
	v_mul_f64_e32 v[24:25], v[165:166], v[24:25]
	scratch_load_b128 v[18:21], off, off offset:832
	s_wait_loadcnt_dscnt 0x800
	v_mul_f64_e32 v[181:182], v[2:3], v[28:29]
	v_mul_f64_e32 v[28:29], v[4:5], v[28:29]
	v_add_f64_e32 v[175:176], v[175:176], v[169:170]
	v_add_f64_e32 v[171:172], v[167:168], v[171:172]
	ds_load_b128 v[167:170], v1 offset:1600
	v_fma_f64 v[165:166], v[165:166], v[22:23], v[177:178]
	v_fma_f64 v[163:164], v[163:164], v[22:23], -v[24:25]
	scratch_load_b128 v[22:25], off, off offset:848
	v_fma_f64 v[177:178], v[4:5], v[26:27], v[181:182]
	v_add_f64_e32 v[175:176], v[175:176], v[179:180]
	v_add_f64_e32 v[171:172], v[171:172], v[173:174]
	v_fma_f64 v[179:180], v[2:3], v[26:27], -v[28:29]
	ds_load_b128 v[2:5], v1 offset:1616
	s_wait_loadcnt_dscnt 0x801
	v_mul_f64_e32 v[173:174], v[167:168], v[32:33]
	v_mul_f64_e32 v[32:33], v[169:170], v[32:33]
	scratch_load_b128 v[26:29], off, off offset:864
	s_wait_loadcnt_dscnt 0x800
	v_mul_f64_e32 v[181:182], v[2:3], v[40:41]
	v_mul_f64_e32 v[40:41], v[4:5], v[40:41]
	v_add_f64_e32 v[175:176], v[175:176], v[163:164]
	v_add_f64_e32 v[171:172], v[171:172], v[165:166]
	ds_load_b128 v[163:166], v1 offset:1632
	v_fma_f64 v[169:170], v[169:170], v[30:31], v[173:174]
	v_fma_f64 v[167:168], v[167:168], v[30:31], -v[32:33]
	scratch_load_b128 v[30:33], off, off offset:880
	v_add_f64_e32 v[173:174], v[175:176], v[179:180]
	v_add_f64_e32 v[171:172], v[171:172], v[177:178]
	v_fma_f64 v[177:178], v[4:5], v[38:39], v[181:182]
	v_fma_f64 v[179:180], v[2:3], v[38:39], -v[40:41]
	ds_load_b128 v[2:5], v1 offset:1648
	s_wait_loadcnt_dscnt 0x801
	v_mul_f64_e32 v[175:176], v[163:164], v[161:162]
	v_mul_f64_e32 v[161:162], v[165:166], v[161:162]
	scratch_load_b128 v[38:41], off, off offset:896
	s_wait_loadcnt_dscnt 0x800
	v_mul_f64_e32 v[181:182], v[2:3], v[36:37]
	v_mul_f64_e32 v[36:37], v[4:5], v[36:37]
	v_add_f64_e32 v[173:174], v[173:174], v[167:168]
	v_add_f64_e32 v[171:172], v[171:172], v[169:170]
	ds_load_b128 v[167:170], v1 offset:1664
	v_fma_f64 v[165:166], v[165:166], v[159:160], v[175:176]
	v_fma_f64 v[159:160], v[163:164], v[159:160], -v[161:162]
	v_fma_f64 v[175:176], v[2:3], v[34:35], -v[36:37]
	v_add_f64_e32 v[161:162], v[173:174], v[179:180]
	v_add_f64_e32 v[163:164], v[171:172], v[177:178]
	s_wait_loadcnt_dscnt 0x700
	v_mul_f64_e32 v[171:172], v[167:168], v[8:9]
	v_mul_f64_e32 v[8:9], v[169:170], v[8:9]
	v_fma_f64 v[173:174], v[4:5], v[34:35], v[181:182]
	ds_load_b128 v[2:5], v1 offset:1680
	ds_load_b128 v[34:37], v1 offset:1696
	v_add_f64_e32 v[159:160], v[161:162], v[159:160]
	v_add_f64_e32 v[161:162], v[163:164], v[165:166]
	s_wait_loadcnt_dscnt 0x601
	v_mul_f64_e32 v[163:164], v[2:3], v[12:13]
	v_mul_f64_e32 v[12:13], v[4:5], v[12:13]
	v_fma_f64 v[165:166], v[169:170], v[6:7], v[171:172]
	v_fma_f64 v[6:7], v[167:168], v[6:7], -v[8:9]
	v_add_f64_e32 v[8:9], v[159:160], v[175:176]
	v_add_f64_e32 v[159:160], v[161:162], v[173:174]
	s_wait_loadcnt_dscnt 0x500
	v_mul_f64_e32 v[161:162], v[34:35], v[16:17]
	v_mul_f64_e32 v[16:17], v[36:37], v[16:17]
	v_fma_f64 v[163:164], v[4:5], v[10:11], v[163:164]
	v_fma_f64 v[10:11], v[2:3], v[10:11], -v[12:13]
	v_add_f64_e32 v[12:13], v[8:9], v[6:7]
	v_add_f64_e32 v[159:160], v[159:160], v[165:166]
	ds_load_b128 v[2:5], v1 offset:1712
	ds_load_b128 v[6:9], v1 offset:1728
	v_fma_f64 v[36:37], v[36:37], v[14:15], v[161:162]
	v_fma_f64 v[14:15], v[34:35], v[14:15], -v[16:17]
	s_wait_loadcnt_dscnt 0x401
	v_mul_f64_e32 v[165:166], v[2:3], v[20:21]
	v_mul_f64_e32 v[20:21], v[4:5], v[20:21]
	s_wait_loadcnt_dscnt 0x300
	v_mul_f64_e32 v[16:17], v[6:7], v[24:25]
	v_mul_f64_e32 v[24:25], v[8:9], v[24:25]
	v_add_f64_e32 v[10:11], v[12:13], v[10:11]
	v_add_f64_e32 v[12:13], v[159:160], v[163:164]
	v_fma_f64 v[34:35], v[4:5], v[18:19], v[165:166]
	v_fma_f64 v[18:19], v[2:3], v[18:19], -v[20:21]
	v_fma_f64 v[8:9], v[8:9], v[22:23], v[16:17]
	v_fma_f64 v[6:7], v[6:7], v[22:23], -v[24:25]
	v_add_f64_e32 v[14:15], v[10:11], v[14:15]
	v_add_f64_e32 v[20:21], v[12:13], v[36:37]
	ds_load_b128 v[2:5], v1 offset:1744
	ds_load_b128 v[10:13], v1 offset:1760
	s_wait_loadcnt_dscnt 0x201
	v_mul_f64_e32 v[36:37], v[2:3], v[28:29]
	v_mul_f64_e32 v[28:29], v[4:5], v[28:29]
	v_add_f64_e32 v[14:15], v[14:15], v[18:19]
	v_add_f64_e32 v[16:17], v[20:21], v[34:35]
	s_wait_loadcnt_dscnt 0x100
	v_mul_f64_e32 v[18:19], v[10:11], v[32:33]
	v_mul_f64_e32 v[20:21], v[12:13], v[32:33]
	v_fma_f64 v[22:23], v[4:5], v[26:27], v[36:37]
	v_fma_f64 v[24:25], v[2:3], v[26:27], -v[28:29]
	ds_load_b128 v[2:5], v1 offset:1776
	v_add_f64_e32 v[6:7], v[14:15], v[6:7]
	v_add_f64_e32 v[8:9], v[16:17], v[8:9]
	v_fma_f64 v[12:13], v[12:13], v[30:31], v[18:19]
	v_fma_f64 v[10:11], v[10:11], v[30:31], -v[20:21]
	s_wait_loadcnt_dscnt 0x0
	v_mul_f64_e32 v[14:15], v[2:3], v[40:41]
	v_mul_f64_e32 v[16:17], v[4:5], v[40:41]
	v_add_f64_e32 v[6:7], v[6:7], v[24:25]
	v_add_f64_e32 v[8:9], v[8:9], v[22:23]
	s_delay_alu instid0(VALU_DEP_4) | instskip(NEXT) | instid1(VALU_DEP_4)
	v_fma_f64 v[4:5], v[4:5], v[38:39], v[14:15]
	v_fma_f64 v[2:3], v[2:3], v[38:39], -v[16:17]
	s_delay_alu instid0(VALU_DEP_4) | instskip(NEXT) | instid1(VALU_DEP_4)
	v_add_f64_e32 v[6:7], v[6:7], v[10:11]
	v_add_f64_e32 v[8:9], v[8:9], v[12:13]
	s_delay_alu instid0(VALU_DEP_2) | instskip(NEXT) | instid1(VALU_DEP_2)
	v_add_f64_e32 v[2:3], v[6:7], v[2:3]
	v_add_f64_e32 v[4:5], v[8:9], v[4:5]
	s_delay_alu instid0(VALU_DEP_2) | instskip(NEXT) | instid1(VALU_DEP_2)
	v_add_f64_e64 v[2:3], v[42:43], -v[2:3]
	v_add_f64_e64 v[4:5], v[44:45], -v[4:5]
	scratch_store_b128 off, v[2:5], off offset:432
	v_cmpx_lt_u32_e32 25, v0
	s_cbranch_execz .LBB55_299
; %bb.298:
	scratch_load_b128 v[5:8], off, s36
	v_dual_mov_b32 v2, v1 :: v_dual_mov_b32 v3, v1
	v_mov_b32_e32 v4, v1
	scratch_store_b128 off, v[1:4], off offset:416
	s_wait_loadcnt 0x0
	ds_store_b128 v158, v[5:8]
.LBB55_299:
	s_wait_alu 0xfffe
	s_or_b32 exec_lo, exec_lo, s0
	s_wait_storecnt_dscnt 0x0
	s_barrier_signal -1
	s_barrier_wait -1
	global_inv scope:SCOPE_SE
	s_clause 0x8
	scratch_load_b128 v[2:5], off, off offset:432
	scratch_load_b128 v[6:9], off, off offset:448
	;; [unrolled: 1-line block ×9, first 2 shown]
	ds_load_b128 v[38:41], v1 offset:1312
	ds_load_b128 v[42:45], v1 offset:1328
	s_clause 0x1
	scratch_load_b128 v[159:162], off, off offset:416
	scratch_load_b128 v[163:166], off, off offset:576
	s_mov_b32 s0, exec_lo
	s_wait_loadcnt_dscnt 0xa01
	v_mul_f64_e32 v[167:168], v[40:41], v[4:5]
	v_mul_f64_e32 v[4:5], v[38:39], v[4:5]
	s_wait_loadcnt_dscnt 0x900
	v_mul_f64_e32 v[171:172], v[42:43], v[8:9]
	v_mul_f64_e32 v[8:9], v[44:45], v[8:9]
	s_delay_alu instid0(VALU_DEP_4) | instskip(NEXT) | instid1(VALU_DEP_4)
	v_fma_f64 v[173:174], v[38:39], v[2:3], -v[167:168]
	v_fma_f64 v[175:176], v[40:41], v[2:3], v[4:5]
	ds_load_b128 v[2:5], v1 offset:1344
	ds_load_b128 v[167:170], v1 offset:1360
	scratch_load_b128 v[38:41], off, off offset:592
	v_fma_f64 v[44:45], v[44:45], v[6:7], v[171:172]
	v_fma_f64 v[42:43], v[42:43], v[6:7], -v[8:9]
	scratch_load_b128 v[6:9], off, off offset:608
	s_wait_loadcnt_dscnt 0xa01
	v_mul_f64_e32 v[177:178], v[2:3], v[12:13]
	v_mul_f64_e32 v[12:13], v[4:5], v[12:13]
	v_add_f64_e32 v[171:172], 0, v[173:174]
	v_add_f64_e32 v[173:174], 0, v[175:176]
	s_wait_loadcnt_dscnt 0x900
	v_mul_f64_e32 v[175:176], v[167:168], v[16:17]
	v_mul_f64_e32 v[16:17], v[169:170], v[16:17]
	v_fma_f64 v[177:178], v[4:5], v[10:11], v[177:178]
	v_fma_f64 v[179:180], v[2:3], v[10:11], -v[12:13]
	ds_load_b128 v[2:5], v1 offset:1376
	scratch_load_b128 v[10:13], off, off offset:624
	v_add_f64_e32 v[171:172], v[171:172], v[42:43]
	v_add_f64_e32 v[173:174], v[173:174], v[44:45]
	ds_load_b128 v[42:45], v1 offset:1392
	v_fma_f64 v[169:170], v[169:170], v[14:15], v[175:176]
	v_fma_f64 v[167:168], v[167:168], v[14:15], -v[16:17]
	scratch_load_b128 v[14:17], off, off offset:640
	s_wait_loadcnt_dscnt 0xa01
	v_mul_f64_e32 v[181:182], v[2:3], v[20:21]
	v_mul_f64_e32 v[20:21], v[4:5], v[20:21]
	s_wait_loadcnt_dscnt 0x900
	v_mul_f64_e32 v[175:176], v[42:43], v[24:25]
	v_mul_f64_e32 v[24:25], v[44:45], v[24:25]
	v_add_f64_e32 v[171:172], v[171:172], v[179:180]
	v_add_f64_e32 v[173:174], v[173:174], v[177:178]
	v_fma_f64 v[177:178], v[4:5], v[18:19], v[181:182]
	v_fma_f64 v[179:180], v[2:3], v[18:19], -v[20:21]
	ds_load_b128 v[2:5], v1 offset:1408
	scratch_load_b128 v[18:21], off, off offset:656
	v_fma_f64 v[44:45], v[44:45], v[22:23], v[175:176]
	v_fma_f64 v[42:43], v[42:43], v[22:23], -v[24:25]
	scratch_load_b128 v[22:25], off, off offset:672
	v_add_f64_e32 v[171:172], v[171:172], v[167:168]
	v_add_f64_e32 v[173:174], v[173:174], v[169:170]
	ds_load_b128 v[167:170], v1 offset:1424
	s_wait_loadcnt_dscnt 0xa01
	v_mul_f64_e32 v[181:182], v[2:3], v[28:29]
	v_mul_f64_e32 v[28:29], v[4:5], v[28:29]
	s_wait_loadcnt_dscnt 0x900
	v_mul_f64_e32 v[175:176], v[167:168], v[32:33]
	v_mul_f64_e32 v[32:33], v[169:170], v[32:33]
	v_add_f64_e32 v[171:172], v[171:172], v[179:180]
	v_add_f64_e32 v[173:174], v[173:174], v[177:178]
	v_fma_f64 v[177:178], v[4:5], v[26:27], v[181:182]
	v_fma_f64 v[179:180], v[2:3], v[26:27], -v[28:29]
	ds_load_b128 v[2:5], v1 offset:1440
	scratch_load_b128 v[26:29], off, off offset:688
	v_fma_f64 v[169:170], v[169:170], v[30:31], v[175:176]
	v_fma_f64 v[167:168], v[167:168], v[30:31], -v[32:33]
	scratch_load_b128 v[30:33], off, off offset:704
	v_add_f64_e32 v[171:172], v[171:172], v[42:43]
	v_add_f64_e32 v[173:174], v[173:174], v[44:45]
	ds_load_b128 v[42:45], v1 offset:1456
	s_wait_loadcnt_dscnt 0xa01
	v_mul_f64_e32 v[181:182], v[2:3], v[36:37]
	v_mul_f64_e32 v[36:37], v[4:5], v[36:37]
	s_wait_loadcnt_dscnt 0x800
	v_mul_f64_e32 v[175:176], v[42:43], v[165:166]
	v_add_f64_e32 v[171:172], v[171:172], v[179:180]
	v_add_f64_e32 v[173:174], v[173:174], v[177:178]
	v_mul_f64_e32 v[177:178], v[44:45], v[165:166]
	v_fma_f64 v[179:180], v[4:5], v[34:35], v[181:182]
	v_fma_f64 v[181:182], v[2:3], v[34:35], -v[36:37]
	ds_load_b128 v[2:5], v1 offset:1472
	scratch_load_b128 v[34:37], off, off offset:720
	v_fma_f64 v[44:45], v[44:45], v[163:164], v[175:176]
	v_add_f64_e32 v[171:172], v[171:172], v[167:168]
	v_add_f64_e32 v[169:170], v[173:174], v[169:170]
	ds_load_b128 v[165:168], v1 offset:1488
	v_fma_f64 v[163:164], v[42:43], v[163:164], -v[177:178]
	s_wait_loadcnt_dscnt 0x801
	v_mul_f64_e32 v[173:174], v[2:3], v[40:41]
	v_mul_f64_e32 v[183:184], v[4:5], v[40:41]
	scratch_load_b128 v[40:43], off, off offset:736
	s_wait_loadcnt_dscnt 0x800
	v_mul_f64_e32 v[177:178], v[165:166], v[8:9]
	v_mul_f64_e32 v[8:9], v[167:168], v[8:9]
	v_add_f64_e32 v[171:172], v[171:172], v[181:182]
	v_add_f64_e32 v[169:170], v[169:170], v[179:180]
	v_fma_f64 v[179:180], v[4:5], v[38:39], v[173:174]
	v_fma_f64 v[38:39], v[2:3], v[38:39], -v[183:184]
	ds_load_b128 v[2:5], v1 offset:1504
	ds_load_b128 v[173:176], v1 offset:1520
	v_fma_f64 v[167:168], v[167:168], v[6:7], v[177:178]
	v_fma_f64 v[165:166], v[165:166], v[6:7], -v[8:9]
	scratch_load_b128 v[6:9], off, off offset:768
	v_add_f64_e32 v[163:164], v[171:172], v[163:164]
	v_add_f64_e32 v[44:45], v[169:170], v[44:45]
	scratch_load_b128 v[169:172], off, off offset:752
	s_wait_loadcnt_dscnt 0x901
	v_mul_f64_e32 v[181:182], v[2:3], v[12:13]
	v_mul_f64_e32 v[12:13], v[4:5], v[12:13]
	s_wait_loadcnt_dscnt 0x800
	v_mul_f64_e32 v[177:178], v[173:174], v[16:17]
	v_mul_f64_e32 v[16:17], v[175:176], v[16:17]
	v_add_f64_e32 v[38:39], v[163:164], v[38:39]
	v_add_f64_e32 v[44:45], v[44:45], v[179:180]
	v_fma_f64 v[179:180], v[4:5], v[10:11], v[181:182]
	v_fma_f64 v[181:182], v[2:3], v[10:11], -v[12:13]
	ds_load_b128 v[2:5], v1 offset:1536
	scratch_load_b128 v[10:13], off, off offset:784
	v_fma_f64 v[175:176], v[175:176], v[14:15], v[177:178]
	v_fma_f64 v[173:174], v[173:174], v[14:15], -v[16:17]
	scratch_load_b128 v[14:17], off, off offset:800
	v_add_f64_e32 v[38:39], v[38:39], v[165:166]
	v_add_f64_e32 v[44:45], v[44:45], v[167:168]
	ds_load_b128 v[163:166], v1 offset:1552
	s_wait_loadcnt_dscnt 0x901
	v_mul_f64_e32 v[167:168], v[2:3], v[20:21]
	v_mul_f64_e32 v[20:21], v[4:5], v[20:21]
	s_wait_loadcnt_dscnt 0x800
	v_mul_f64_e32 v[177:178], v[163:164], v[24:25]
	v_mul_f64_e32 v[24:25], v[165:166], v[24:25]
	v_add_f64_e32 v[38:39], v[38:39], v[181:182]
	v_add_f64_e32 v[44:45], v[44:45], v[179:180]
	v_fma_f64 v[167:168], v[4:5], v[18:19], v[167:168]
	v_fma_f64 v[179:180], v[2:3], v[18:19], -v[20:21]
	ds_load_b128 v[2:5], v1 offset:1568
	scratch_load_b128 v[18:21], off, off offset:816
	v_fma_f64 v[165:166], v[165:166], v[22:23], v[177:178]
	v_fma_f64 v[163:164], v[163:164], v[22:23], -v[24:25]
	scratch_load_b128 v[22:25], off, off offset:832
	v_add_f64_e32 v[38:39], v[38:39], v[173:174]
	v_add_f64_e32 v[44:45], v[44:45], v[175:176]
	ds_load_b128 v[173:176], v1 offset:1584
	s_wait_loadcnt_dscnt 0x901
	v_mul_f64_e32 v[181:182], v[2:3], v[28:29]
	v_mul_f64_e32 v[28:29], v[4:5], v[28:29]
	v_add_f64_e32 v[38:39], v[38:39], v[179:180]
	v_add_f64_e32 v[44:45], v[44:45], v[167:168]
	s_wait_loadcnt_dscnt 0x800
	v_mul_f64_e32 v[167:168], v[173:174], v[32:33]
	v_mul_f64_e32 v[32:33], v[175:176], v[32:33]
	v_fma_f64 v[177:178], v[4:5], v[26:27], v[181:182]
	v_fma_f64 v[179:180], v[2:3], v[26:27], -v[28:29]
	ds_load_b128 v[2:5], v1 offset:1600
	scratch_load_b128 v[26:29], off, off offset:848
	v_add_f64_e32 v[38:39], v[38:39], v[163:164]
	v_add_f64_e32 v[44:45], v[44:45], v[165:166]
	ds_load_b128 v[163:166], v1 offset:1616
	s_wait_loadcnt_dscnt 0x801
	v_mul_f64_e32 v[181:182], v[2:3], v[36:37]
	v_mul_f64_e32 v[36:37], v[4:5], v[36:37]
	v_fma_f64 v[167:168], v[175:176], v[30:31], v[167:168]
	v_fma_f64 v[173:174], v[173:174], v[30:31], -v[32:33]
	scratch_load_b128 v[30:33], off, off offset:864
	s_wait_loadcnt_dscnt 0x800
	v_mul_f64_e32 v[175:176], v[163:164], v[42:43]
	v_add_f64_e32 v[38:39], v[38:39], v[179:180]
	v_add_f64_e32 v[44:45], v[44:45], v[177:178]
	v_mul_f64_e32 v[177:178], v[165:166], v[42:43]
	v_fma_f64 v[179:180], v[4:5], v[34:35], v[181:182]
	v_fma_f64 v[181:182], v[2:3], v[34:35], -v[36:37]
	ds_load_b128 v[2:5], v1 offset:1632
	scratch_load_b128 v[34:37], off, off offset:880
	v_fma_f64 v[165:166], v[165:166], v[40:41], v[175:176]
	v_add_f64_e32 v[38:39], v[38:39], v[173:174]
	v_add_f64_e32 v[167:168], v[44:45], v[167:168]
	ds_load_b128 v[42:45], v1 offset:1648
	v_fma_f64 v[163:164], v[163:164], v[40:41], -v[177:178]
	s_wait_loadcnt_dscnt 0x701
	v_mul_f64_e32 v[173:174], v[2:3], v[171:172]
	v_mul_f64_e32 v[171:172], v[4:5], v[171:172]
	s_wait_dscnt 0x0
	v_mul_f64_e32 v[177:178], v[42:43], v[8:9]
	v_mul_f64_e32 v[8:9], v[44:45], v[8:9]
	v_add_f64_e32 v[175:176], v[38:39], v[181:182]
	v_add_f64_e32 v[167:168], v[167:168], v[179:180]
	scratch_load_b128 v[38:41], off, off offset:896
	v_fma_f64 v[173:174], v[4:5], v[169:170], v[173:174]
	v_fma_f64 v[169:170], v[2:3], v[169:170], -v[171:172]
	v_fma_f64 v[44:45], v[44:45], v[6:7], v[177:178]
	v_fma_f64 v[6:7], v[42:43], v[6:7], -v[8:9]
	v_add_f64_e32 v[171:172], v[175:176], v[163:164]
	v_add_f64_e32 v[167:168], v[167:168], v[165:166]
	ds_load_b128 v[2:5], v1 offset:1664
	ds_load_b128 v[163:166], v1 offset:1680
	s_wait_loadcnt_dscnt 0x701
	v_mul_f64_e32 v[175:176], v[2:3], v[12:13]
	v_mul_f64_e32 v[12:13], v[4:5], v[12:13]
	v_add_f64_e32 v[8:9], v[171:172], v[169:170]
	v_add_f64_e32 v[42:43], v[167:168], v[173:174]
	s_wait_loadcnt_dscnt 0x600
	v_mul_f64_e32 v[167:168], v[163:164], v[16:17]
	v_mul_f64_e32 v[16:17], v[165:166], v[16:17]
	v_fma_f64 v[169:170], v[4:5], v[10:11], v[175:176]
	v_fma_f64 v[10:11], v[2:3], v[10:11], -v[12:13]
	v_add_f64_e32 v[12:13], v[8:9], v[6:7]
	v_add_f64_e32 v[42:43], v[42:43], v[44:45]
	ds_load_b128 v[2:5], v1 offset:1696
	ds_load_b128 v[6:9], v1 offset:1712
	v_fma_f64 v[165:166], v[165:166], v[14:15], v[167:168]
	v_fma_f64 v[14:15], v[163:164], v[14:15], -v[16:17]
	s_wait_loadcnt_dscnt 0x501
	v_mul_f64_e32 v[44:45], v[2:3], v[20:21]
	v_mul_f64_e32 v[20:21], v[4:5], v[20:21]
	s_wait_loadcnt_dscnt 0x400
	v_mul_f64_e32 v[16:17], v[6:7], v[24:25]
	v_mul_f64_e32 v[24:25], v[8:9], v[24:25]
	v_add_f64_e32 v[10:11], v[12:13], v[10:11]
	v_add_f64_e32 v[12:13], v[42:43], v[169:170]
	v_fma_f64 v[42:43], v[4:5], v[18:19], v[44:45]
	v_fma_f64 v[18:19], v[2:3], v[18:19], -v[20:21]
	v_fma_f64 v[8:9], v[8:9], v[22:23], v[16:17]
	v_fma_f64 v[6:7], v[6:7], v[22:23], -v[24:25]
	v_add_f64_e32 v[14:15], v[10:11], v[14:15]
	v_add_f64_e32 v[20:21], v[12:13], v[165:166]
	ds_load_b128 v[2:5], v1 offset:1728
	ds_load_b128 v[10:13], v1 offset:1744
	s_wait_loadcnt_dscnt 0x301
	v_mul_f64_e32 v[44:45], v[2:3], v[28:29]
	v_mul_f64_e32 v[28:29], v[4:5], v[28:29]
	v_add_f64_e32 v[14:15], v[14:15], v[18:19]
	v_add_f64_e32 v[16:17], v[20:21], v[42:43]
	s_wait_loadcnt_dscnt 0x200
	v_mul_f64_e32 v[18:19], v[10:11], v[32:33]
	v_mul_f64_e32 v[20:21], v[12:13], v[32:33]
	v_fma_f64 v[22:23], v[4:5], v[26:27], v[44:45]
	v_fma_f64 v[24:25], v[2:3], v[26:27], -v[28:29]
	v_add_f64_e32 v[14:15], v[14:15], v[6:7]
	v_add_f64_e32 v[16:17], v[16:17], v[8:9]
	ds_load_b128 v[2:5], v1 offset:1760
	ds_load_b128 v[6:9], v1 offset:1776
	v_fma_f64 v[12:13], v[12:13], v[30:31], v[18:19]
	v_fma_f64 v[10:11], v[10:11], v[30:31], -v[20:21]
	s_wait_loadcnt_dscnt 0x101
	v_mul_f64_e32 v[26:27], v[2:3], v[36:37]
	v_mul_f64_e32 v[28:29], v[4:5], v[36:37]
	v_add_f64_e32 v[14:15], v[14:15], v[24:25]
	v_add_f64_e32 v[16:17], v[16:17], v[22:23]
	s_wait_loadcnt_dscnt 0x0
	v_mul_f64_e32 v[18:19], v[6:7], v[40:41]
	v_mul_f64_e32 v[20:21], v[8:9], v[40:41]
	v_fma_f64 v[4:5], v[4:5], v[34:35], v[26:27]
	v_fma_f64 v[1:2], v[2:3], v[34:35], -v[28:29]
	v_add_f64_e32 v[10:11], v[14:15], v[10:11]
	v_add_f64_e32 v[12:13], v[16:17], v[12:13]
	v_fma_f64 v[8:9], v[8:9], v[38:39], v[18:19]
	v_fma_f64 v[6:7], v[6:7], v[38:39], -v[20:21]
	s_delay_alu instid0(VALU_DEP_4) | instskip(NEXT) | instid1(VALU_DEP_4)
	v_add_f64_e32 v[1:2], v[10:11], v[1:2]
	v_add_f64_e32 v[3:4], v[12:13], v[4:5]
	s_delay_alu instid0(VALU_DEP_2) | instskip(NEXT) | instid1(VALU_DEP_2)
	v_add_f64_e32 v[1:2], v[1:2], v[6:7]
	v_add_f64_e32 v[3:4], v[3:4], v[8:9]
	s_delay_alu instid0(VALU_DEP_2) | instskip(NEXT) | instid1(VALU_DEP_2)
	v_add_f64_e64 v[1:2], v[159:160], -v[1:2]
	v_add_f64_e64 v[3:4], v[161:162], -v[3:4]
	scratch_store_b128 off, v[1:4], off offset:416
	v_cmpx_lt_u32_e32 24, v0
	s_cbranch_execz .LBB55_301
; %bb.300:
	scratch_load_b128 v[1:4], off, s40
	v_mov_b32_e32 v5, 0
	s_delay_alu instid0(VALU_DEP_1)
	v_dual_mov_b32 v6, v5 :: v_dual_mov_b32 v7, v5
	v_mov_b32_e32 v8, v5
	scratch_store_b128 off, v[5:8], off offset:400
	s_wait_loadcnt 0x0
	ds_store_b128 v158, v[1:4]
.LBB55_301:
	s_wait_alu 0xfffe
	s_or_b32 exec_lo, exec_lo, s0
	s_wait_storecnt_dscnt 0x0
	s_barrier_signal -1
	s_barrier_wait -1
	global_inv scope:SCOPE_SE
	s_clause 0x7
	scratch_load_b128 v[2:5], off, off offset:416
	scratch_load_b128 v[6:9], off, off offset:432
	scratch_load_b128 v[10:13], off, off offset:448
	scratch_load_b128 v[14:17], off, off offset:464
	scratch_load_b128 v[18:21], off, off offset:480
	scratch_load_b128 v[22:25], off, off offset:496
	scratch_load_b128 v[26:29], off, off offset:512
	scratch_load_b128 v[30:33], off, off offset:528
	v_mov_b32_e32 v1, 0
	s_mov_b32 s0, exec_lo
	ds_load_b128 v[34:37], v1 offset:1296
	s_clause 0x1
	scratch_load_b128 v[38:41], off, off offset:544
	scratch_load_b128 v[42:45], off, off offset:400
	ds_load_b128 v[159:162], v1 offset:1312
	scratch_load_b128 v[163:166], off, off offset:560
	s_wait_loadcnt_dscnt 0xa01
	v_mul_f64_e32 v[167:168], v[36:37], v[4:5]
	v_mul_f64_e32 v[4:5], v[34:35], v[4:5]
	s_delay_alu instid0(VALU_DEP_2) | instskip(NEXT) | instid1(VALU_DEP_2)
	v_fma_f64 v[173:174], v[34:35], v[2:3], -v[167:168]
	v_fma_f64 v[175:176], v[36:37], v[2:3], v[4:5]
	ds_load_b128 v[2:5], v1 offset:1328
	s_wait_loadcnt_dscnt 0x901
	v_mul_f64_e32 v[171:172], v[159:160], v[8:9]
	v_mul_f64_e32 v[8:9], v[161:162], v[8:9]
	scratch_load_b128 v[34:37], off, off offset:576
	ds_load_b128 v[167:170], v1 offset:1344
	s_wait_loadcnt_dscnt 0x901
	v_mul_f64_e32 v[177:178], v[2:3], v[12:13]
	v_mul_f64_e32 v[12:13], v[4:5], v[12:13]
	v_fma_f64 v[161:162], v[161:162], v[6:7], v[171:172]
	v_fma_f64 v[159:160], v[159:160], v[6:7], -v[8:9]
	v_add_f64_e32 v[171:172], 0, v[173:174]
	v_add_f64_e32 v[173:174], 0, v[175:176]
	scratch_load_b128 v[6:9], off, off offset:592
	v_fma_f64 v[177:178], v[4:5], v[10:11], v[177:178]
	v_fma_f64 v[179:180], v[2:3], v[10:11], -v[12:13]
	ds_load_b128 v[2:5], v1 offset:1360
	s_wait_loadcnt_dscnt 0x901
	v_mul_f64_e32 v[175:176], v[167:168], v[16:17]
	v_mul_f64_e32 v[16:17], v[169:170], v[16:17]
	scratch_load_b128 v[10:13], off, off offset:608
	v_add_f64_e32 v[171:172], v[171:172], v[159:160]
	v_add_f64_e32 v[173:174], v[173:174], v[161:162]
	s_wait_loadcnt_dscnt 0x900
	v_mul_f64_e32 v[181:182], v[2:3], v[20:21]
	v_mul_f64_e32 v[20:21], v[4:5], v[20:21]
	ds_load_b128 v[159:162], v1 offset:1376
	v_fma_f64 v[169:170], v[169:170], v[14:15], v[175:176]
	v_fma_f64 v[167:168], v[167:168], v[14:15], -v[16:17]
	scratch_load_b128 v[14:17], off, off offset:624
	v_add_f64_e32 v[171:172], v[171:172], v[179:180]
	v_add_f64_e32 v[173:174], v[173:174], v[177:178]
	v_fma_f64 v[177:178], v[4:5], v[18:19], v[181:182]
	v_fma_f64 v[179:180], v[2:3], v[18:19], -v[20:21]
	ds_load_b128 v[2:5], v1 offset:1392
	s_wait_loadcnt_dscnt 0x901
	v_mul_f64_e32 v[175:176], v[159:160], v[24:25]
	v_mul_f64_e32 v[24:25], v[161:162], v[24:25]
	scratch_load_b128 v[18:21], off, off offset:640
	s_wait_loadcnt_dscnt 0x900
	v_mul_f64_e32 v[181:182], v[2:3], v[28:29]
	v_mul_f64_e32 v[28:29], v[4:5], v[28:29]
	v_add_f64_e32 v[171:172], v[171:172], v[167:168]
	v_add_f64_e32 v[173:174], v[173:174], v[169:170]
	ds_load_b128 v[167:170], v1 offset:1408
	v_fma_f64 v[161:162], v[161:162], v[22:23], v[175:176]
	v_fma_f64 v[159:160], v[159:160], v[22:23], -v[24:25]
	scratch_load_b128 v[22:25], off, off offset:656
	v_add_f64_e32 v[171:172], v[171:172], v[179:180]
	v_add_f64_e32 v[173:174], v[173:174], v[177:178]
	v_fma_f64 v[177:178], v[4:5], v[26:27], v[181:182]
	v_fma_f64 v[179:180], v[2:3], v[26:27], -v[28:29]
	ds_load_b128 v[2:5], v1 offset:1424
	s_wait_loadcnt_dscnt 0x901
	v_mul_f64_e32 v[175:176], v[167:168], v[32:33]
	v_mul_f64_e32 v[32:33], v[169:170], v[32:33]
	scratch_load_b128 v[26:29], off, off offset:672
	s_wait_loadcnt_dscnt 0x900
	v_mul_f64_e32 v[181:182], v[2:3], v[40:41]
	v_mul_f64_e32 v[40:41], v[4:5], v[40:41]
	v_add_f64_e32 v[171:172], v[171:172], v[159:160]
	v_add_f64_e32 v[173:174], v[173:174], v[161:162]
	ds_load_b128 v[159:162], v1 offset:1440
	v_fma_f64 v[169:170], v[169:170], v[30:31], v[175:176]
	v_fma_f64 v[167:168], v[167:168], v[30:31], -v[32:33]
	scratch_load_b128 v[30:33], off, off offset:688
	v_add_f64_e32 v[171:172], v[171:172], v[179:180]
	v_add_f64_e32 v[173:174], v[173:174], v[177:178]
	v_fma_f64 v[179:180], v[4:5], v[38:39], v[181:182]
	v_fma_f64 v[181:182], v[2:3], v[38:39], -v[40:41]
	ds_load_b128 v[2:5], v1 offset:1456
	s_wait_loadcnt_dscnt 0x801
	v_mul_f64_e32 v[175:176], v[159:160], v[165:166]
	v_mul_f64_e32 v[177:178], v[161:162], v[165:166]
	scratch_load_b128 v[38:41], off, off offset:704
	v_add_f64_e32 v[171:172], v[171:172], v[167:168]
	v_add_f64_e32 v[169:170], v[173:174], v[169:170]
	ds_load_b128 v[165:168], v1 offset:1472
	v_fma_f64 v[175:176], v[161:162], v[163:164], v[175:176]
	v_fma_f64 v[163:164], v[159:160], v[163:164], -v[177:178]
	scratch_load_b128 v[159:162], off, off offset:720
	s_wait_loadcnt_dscnt 0x901
	v_mul_f64_e32 v[173:174], v[2:3], v[36:37]
	v_mul_f64_e32 v[36:37], v[4:5], v[36:37]
	v_add_f64_e32 v[171:172], v[171:172], v[181:182]
	v_add_f64_e32 v[169:170], v[169:170], v[179:180]
	s_delay_alu instid0(VALU_DEP_4) | instskip(NEXT) | instid1(VALU_DEP_4)
	v_fma_f64 v[173:174], v[4:5], v[34:35], v[173:174]
	v_fma_f64 v[179:180], v[2:3], v[34:35], -v[36:37]
	ds_load_b128 v[2:5], v1 offset:1488
	s_wait_loadcnt_dscnt 0x801
	v_mul_f64_e32 v[177:178], v[165:166], v[8:9]
	v_mul_f64_e32 v[8:9], v[167:168], v[8:9]
	scratch_load_b128 v[34:37], off, off offset:736
	s_wait_loadcnt_dscnt 0x800
	v_mul_f64_e32 v[181:182], v[2:3], v[12:13]
	v_add_f64_e32 v[163:164], v[171:172], v[163:164]
	v_add_f64_e32 v[175:176], v[169:170], v[175:176]
	v_mul_f64_e32 v[12:13], v[4:5], v[12:13]
	ds_load_b128 v[169:172], v1 offset:1504
	v_fma_f64 v[167:168], v[167:168], v[6:7], v[177:178]
	v_fma_f64 v[165:166], v[165:166], v[6:7], -v[8:9]
	scratch_load_b128 v[6:9], off, off offset:752
	v_fma_f64 v[177:178], v[4:5], v[10:11], v[181:182]
	v_add_f64_e32 v[163:164], v[163:164], v[179:180]
	v_add_f64_e32 v[173:174], v[175:176], v[173:174]
	v_fma_f64 v[179:180], v[2:3], v[10:11], -v[12:13]
	ds_load_b128 v[2:5], v1 offset:1520
	s_wait_loadcnt_dscnt 0x801
	v_mul_f64_e32 v[175:176], v[169:170], v[16:17]
	v_mul_f64_e32 v[16:17], v[171:172], v[16:17]
	scratch_load_b128 v[10:13], off, off offset:768
	v_add_f64_e32 v[181:182], v[163:164], v[165:166]
	v_add_f64_e32 v[167:168], v[173:174], v[167:168]
	s_wait_loadcnt_dscnt 0x800
	v_mul_f64_e32 v[173:174], v[2:3], v[20:21]
	v_mul_f64_e32 v[20:21], v[4:5], v[20:21]
	v_fma_f64 v[171:172], v[171:172], v[14:15], v[175:176]
	v_fma_f64 v[169:170], v[169:170], v[14:15], -v[16:17]
	ds_load_b128 v[163:166], v1 offset:1536
	scratch_load_b128 v[14:17], off, off offset:784
	v_add_f64_e32 v[175:176], v[181:182], v[179:180]
	v_add_f64_e32 v[167:168], v[167:168], v[177:178]
	v_fma_f64 v[173:174], v[4:5], v[18:19], v[173:174]
	v_fma_f64 v[179:180], v[2:3], v[18:19], -v[20:21]
	ds_load_b128 v[2:5], v1 offset:1552
	s_wait_loadcnt_dscnt 0x801
	v_mul_f64_e32 v[177:178], v[163:164], v[24:25]
	v_mul_f64_e32 v[24:25], v[165:166], v[24:25]
	scratch_load_b128 v[18:21], off, off offset:800
	s_wait_loadcnt_dscnt 0x800
	v_mul_f64_e32 v[181:182], v[2:3], v[28:29]
	v_mul_f64_e32 v[28:29], v[4:5], v[28:29]
	v_add_f64_e32 v[175:176], v[175:176], v[169:170]
	v_add_f64_e32 v[171:172], v[167:168], v[171:172]
	ds_load_b128 v[167:170], v1 offset:1568
	v_fma_f64 v[165:166], v[165:166], v[22:23], v[177:178]
	v_fma_f64 v[163:164], v[163:164], v[22:23], -v[24:25]
	scratch_load_b128 v[22:25], off, off offset:816
	v_fma_f64 v[177:178], v[4:5], v[26:27], v[181:182]
	v_add_f64_e32 v[175:176], v[175:176], v[179:180]
	v_add_f64_e32 v[171:172], v[171:172], v[173:174]
	v_fma_f64 v[179:180], v[2:3], v[26:27], -v[28:29]
	ds_load_b128 v[2:5], v1 offset:1584
	s_wait_loadcnt_dscnt 0x801
	v_mul_f64_e32 v[173:174], v[167:168], v[32:33]
	v_mul_f64_e32 v[32:33], v[169:170], v[32:33]
	scratch_load_b128 v[26:29], off, off offset:832
	s_wait_loadcnt_dscnt 0x800
	v_mul_f64_e32 v[181:182], v[2:3], v[40:41]
	v_mul_f64_e32 v[40:41], v[4:5], v[40:41]
	v_add_f64_e32 v[175:176], v[175:176], v[163:164]
	v_add_f64_e32 v[171:172], v[171:172], v[165:166]
	ds_load_b128 v[163:166], v1 offset:1600
	v_fma_f64 v[169:170], v[169:170], v[30:31], v[173:174]
	v_fma_f64 v[167:168], v[167:168], v[30:31], -v[32:33]
	scratch_load_b128 v[30:33], off, off offset:848
	v_add_f64_e32 v[173:174], v[175:176], v[179:180]
	v_add_f64_e32 v[171:172], v[171:172], v[177:178]
	v_fma_f64 v[177:178], v[4:5], v[38:39], v[181:182]
	v_fma_f64 v[179:180], v[2:3], v[38:39], -v[40:41]
	ds_load_b128 v[2:5], v1 offset:1616
	s_wait_loadcnt_dscnt 0x801
	v_mul_f64_e32 v[175:176], v[163:164], v[161:162]
	v_mul_f64_e32 v[161:162], v[165:166], v[161:162]
	scratch_load_b128 v[38:41], off, off offset:864
	s_wait_loadcnt_dscnt 0x800
	v_mul_f64_e32 v[181:182], v[2:3], v[36:37]
	v_mul_f64_e32 v[36:37], v[4:5], v[36:37]
	v_add_f64_e32 v[173:174], v[173:174], v[167:168]
	v_add_f64_e32 v[171:172], v[171:172], v[169:170]
	ds_load_b128 v[167:170], v1 offset:1632
	v_fma_f64 v[165:166], v[165:166], v[159:160], v[175:176]
	v_fma_f64 v[163:164], v[163:164], v[159:160], -v[161:162]
	scratch_load_b128 v[159:162], off, off offset:880
	v_add_f64_e32 v[173:174], v[173:174], v[179:180]
	v_add_f64_e32 v[171:172], v[171:172], v[177:178]
	v_fma_f64 v[177:178], v[4:5], v[34:35], v[181:182]
	v_fma_f64 v[179:180], v[2:3], v[34:35], -v[36:37]
	ds_load_b128 v[2:5], v1 offset:1648
	s_wait_loadcnt_dscnt 0x801
	v_mul_f64_e32 v[175:176], v[167:168], v[8:9]
	v_mul_f64_e32 v[8:9], v[169:170], v[8:9]
	scratch_load_b128 v[34:37], off, off offset:896
	s_wait_loadcnt_dscnt 0x800
	v_mul_f64_e32 v[181:182], v[2:3], v[12:13]
	v_mul_f64_e32 v[12:13], v[4:5], v[12:13]
	v_add_f64_e32 v[173:174], v[173:174], v[163:164]
	v_add_f64_e32 v[171:172], v[171:172], v[165:166]
	ds_load_b128 v[163:166], v1 offset:1664
	v_fma_f64 v[169:170], v[169:170], v[6:7], v[175:176]
	v_fma_f64 v[6:7], v[167:168], v[6:7], -v[8:9]
	v_add_f64_e32 v[8:9], v[173:174], v[179:180]
	v_add_f64_e32 v[167:168], v[171:172], v[177:178]
	s_wait_loadcnt_dscnt 0x700
	v_mul_f64_e32 v[171:172], v[163:164], v[16:17]
	v_mul_f64_e32 v[16:17], v[165:166], v[16:17]
	v_fma_f64 v[173:174], v[4:5], v[10:11], v[181:182]
	v_fma_f64 v[10:11], v[2:3], v[10:11], -v[12:13]
	v_add_f64_e32 v[12:13], v[8:9], v[6:7]
	v_add_f64_e32 v[167:168], v[167:168], v[169:170]
	ds_load_b128 v[2:5], v1 offset:1680
	ds_load_b128 v[6:9], v1 offset:1696
	v_fma_f64 v[165:166], v[165:166], v[14:15], v[171:172]
	v_fma_f64 v[14:15], v[163:164], v[14:15], -v[16:17]
	s_wait_loadcnt_dscnt 0x601
	v_mul_f64_e32 v[169:170], v[2:3], v[20:21]
	v_mul_f64_e32 v[20:21], v[4:5], v[20:21]
	s_wait_loadcnt_dscnt 0x500
	v_mul_f64_e32 v[16:17], v[6:7], v[24:25]
	v_mul_f64_e32 v[24:25], v[8:9], v[24:25]
	v_add_f64_e32 v[10:11], v[12:13], v[10:11]
	v_add_f64_e32 v[12:13], v[167:168], v[173:174]
	v_fma_f64 v[163:164], v[4:5], v[18:19], v[169:170]
	v_fma_f64 v[18:19], v[2:3], v[18:19], -v[20:21]
	v_fma_f64 v[8:9], v[8:9], v[22:23], v[16:17]
	v_fma_f64 v[6:7], v[6:7], v[22:23], -v[24:25]
	v_add_f64_e32 v[14:15], v[10:11], v[14:15]
	v_add_f64_e32 v[20:21], v[12:13], v[165:166]
	ds_load_b128 v[2:5], v1 offset:1712
	ds_load_b128 v[10:13], v1 offset:1728
	s_wait_loadcnt_dscnt 0x401
	v_mul_f64_e32 v[165:166], v[2:3], v[28:29]
	v_mul_f64_e32 v[28:29], v[4:5], v[28:29]
	v_add_f64_e32 v[14:15], v[14:15], v[18:19]
	v_add_f64_e32 v[16:17], v[20:21], v[163:164]
	s_wait_loadcnt_dscnt 0x300
	v_mul_f64_e32 v[18:19], v[10:11], v[32:33]
	v_mul_f64_e32 v[20:21], v[12:13], v[32:33]
	v_fma_f64 v[22:23], v[4:5], v[26:27], v[165:166]
	v_fma_f64 v[24:25], v[2:3], v[26:27], -v[28:29]
	v_add_f64_e32 v[14:15], v[14:15], v[6:7]
	v_add_f64_e32 v[16:17], v[16:17], v[8:9]
	ds_load_b128 v[2:5], v1 offset:1744
	ds_load_b128 v[6:9], v1 offset:1760
	v_fma_f64 v[12:13], v[12:13], v[30:31], v[18:19]
	v_fma_f64 v[10:11], v[10:11], v[30:31], -v[20:21]
	s_wait_loadcnt_dscnt 0x201
	v_mul_f64_e32 v[26:27], v[2:3], v[40:41]
	v_mul_f64_e32 v[28:29], v[4:5], v[40:41]
	s_wait_loadcnt_dscnt 0x100
	v_mul_f64_e32 v[18:19], v[6:7], v[161:162]
	v_mul_f64_e32 v[20:21], v[8:9], v[161:162]
	v_add_f64_e32 v[14:15], v[14:15], v[24:25]
	v_add_f64_e32 v[16:17], v[16:17], v[22:23]
	v_fma_f64 v[22:23], v[4:5], v[38:39], v[26:27]
	v_fma_f64 v[24:25], v[2:3], v[38:39], -v[28:29]
	ds_load_b128 v[2:5], v1 offset:1776
	v_fma_f64 v[8:9], v[8:9], v[159:160], v[18:19]
	v_fma_f64 v[6:7], v[6:7], v[159:160], -v[20:21]
	v_add_f64_e32 v[10:11], v[14:15], v[10:11]
	v_add_f64_e32 v[12:13], v[16:17], v[12:13]
	s_wait_loadcnt_dscnt 0x0
	v_mul_f64_e32 v[14:15], v[2:3], v[36:37]
	v_mul_f64_e32 v[16:17], v[4:5], v[36:37]
	s_delay_alu instid0(VALU_DEP_4) | instskip(NEXT) | instid1(VALU_DEP_4)
	v_add_f64_e32 v[10:11], v[10:11], v[24:25]
	v_add_f64_e32 v[12:13], v[12:13], v[22:23]
	s_delay_alu instid0(VALU_DEP_4) | instskip(NEXT) | instid1(VALU_DEP_4)
	v_fma_f64 v[4:5], v[4:5], v[34:35], v[14:15]
	v_fma_f64 v[2:3], v[2:3], v[34:35], -v[16:17]
	s_delay_alu instid0(VALU_DEP_4) | instskip(NEXT) | instid1(VALU_DEP_4)
	v_add_f64_e32 v[6:7], v[10:11], v[6:7]
	v_add_f64_e32 v[8:9], v[12:13], v[8:9]
	s_delay_alu instid0(VALU_DEP_2) | instskip(NEXT) | instid1(VALU_DEP_2)
	v_add_f64_e32 v[2:3], v[6:7], v[2:3]
	v_add_f64_e32 v[4:5], v[8:9], v[4:5]
	s_delay_alu instid0(VALU_DEP_2) | instskip(NEXT) | instid1(VALU_DEP_2)
	v_add_f64_e64 v[2:3], v[42:43], -v[2:3]
	v_add_f64_e64 v[4:5], v[44:45], -v[4:5]
	scratch_store_b128 off, v[2:5], off offset:400
	v_cmpx_lt_u32_e32 23, v0
	s_cbranch_execz .LBB55_303
; %bb.302:
	scratch_load_b128 v[5:8], off, s42
	v_dual_mov_b32 v2, v1 :: v_dual_mov_b32 v3, v1
	v_mov_b32_e32 v4, v1
	scratch_store_b128 off, v[1:4], off offset:384
	s_wait_loadcnt 0x0
	ds_store_b128 v158, v[5:8]
.LBB55_303:
	s_wait_alu 0xfffe
	s_or_b32 exec_lo, exec_lo, s0
	s_wait_storecnt_dscnt 0x0
	s_barrier_signal -1
	s_barrier_wait -1
	global_inv scope:SCOPE_SE
	s_clause 0x8
	scratch_load_b128 v[2:5], off, off offset:400
	scratch_load_b128 v[6:9], off, off offset:416
	;; [unrolled: 1-line block ×9, first 2 shown]
	ds_load_b128 v[38:41], v1 offset:1280
	ds_load_b128 v[42:45], v1 offset:1296
	s_clause 0x1
	scratch_load_b128 v[159:162], off, off offset:384
	scratch_load_b128 v[163:166], off, off offset:544
	s_mov_b32 s0, exec_lo
	s_wait_loadcnt_dscnt 0xa01
	v_mul_f64_e32 v[167:168], v[40:41], v[4:5]
	v_mul_f64_e32 v[4:5], v[38:39], v[4:5]
	s_wait_loadcnt_dscnt 0x900
	v_mul_f64_e32 v[171:172], v[42:43], v[8:9]
	v_mul_f64_e32 v[8:9], v[44:45], v[8:9]
	s_delay_alu instid0(VALU_DEP_4) | instskip(NEXT) | instid1(VALU_DEP_4)
	v_fma_f64 v[173:174], v[38:39], v[2:3], -v[167:168]
	v_fma_f64 v[175:176], v[40:41], v[2:3], v[4:5]
	ds_load_b128 v[2:5], v1 offset:1312
	ds_load_b128 v[167:170], v1 offset:1328
	scratch_load_b128 v[38:41], off, off offset:560
	v_fma_f64 v[44:45], v[44:45], v[6:7], v[171:172]
	v_fma_f64 v[42:43], v[42:43], v[6:7], -v[8:9]
	scratch_load_b128 v[6:9], off, off offset:576
	s_wait_loadcnt_dscnt 0xa01
	v_mul_f64_e32 v[177:178], v[2:3], v[12:13]
	v_mul_f64_e32 v[12:13], v[4:5], v[12:13]
	v_add_f64_e32 v[171:172], 0, v[173:174]
	v_add_f64_e32 v[173:174], 0, v[175:176]
	s_wait_loadcnt_dscnt 0x900
	v_mul_f64_e32 v[175:176], v[167:168], v[16:17]
	v_mul_f64_e32 v[16:17], v[169:170], v[16:17]
	v_fma_f64 v[177:178], v[4:5], v[10:11], v[177:178]
	v_fma_f64 v[179:180], v[2:3], v[10:11], -v[12:13]
	ds_load_b128 v[2:5], v1 offset:1344
	scratch_load_b128 v[10:13], off, off offset:592
	v_add_f64_e32 v[171:172], v[171:172], v[42:43]
	v_add_f64_e32 v[173:174], v[173:174], v[44:45]
	ds_load_b128 v[42:45], v1 offset:1360
	v_fma_f64 v[169:170], v[169:170], v[14:15], v[175:176]
	v_fma_f64 v[167:168], v[167:168], v[14:15], -v[16:17]
	scratch_load_b128 v[14:17], off, off offset:608
	s_wait_loadcnt_dscnt 0xa01
	v_mul_f64_e32 v[181:182], v[2:3], v[20:21]
	v_mul_f64_e32 v[20:21], v[4:5], v[20:21]
	s_wait_loadcnt_dscnt 0x900
	v_mul_f64_e32 v[175:176], v[42:43], v[24:25]
	v_mul_f64_e32 v[24:25], v[44:45], v[24:25]
	v_add_f64_e32 v[171:172], v[171:172], v[179:180]
	v_add_f64_e32 v[173:174], v[173:174], v[177:178]
	v_fma_f64 v[177:178], v[4:5], v[18:19], v[181:182]
	v_fma_f64 v[179:180], v[2:3], v[18:19], -v[20:21]
	ds_load_b128 v[2:5], v1 offset:1376
	scratch_load_b128 v[18:21], off, off offset:624
	v_fma_f64 v[44:45], v[44:45], v[22:23], v[175:176]
	v_fma_f64 v[42:43], v[42:43], v[22:23], -v[24:25]
	scratch_load_b128 v[22:25], off, off offset:640
	v_add_f64_e32 v[171:172], v[171:172], v[167:168]
	v_add_f64_e32 v[173:174], v[173:174], v[169:170]
	ds_load_b128 v[167:170], v1 offset:1392
	s_wait_loadcnt_dscnt 0xa01
	v_mul_f64_e32 v[181:182], v[2:3], v[28:29]
	v_mul_f64_e32 v[28:29], v[4:5], v[28:29]
	s_wait_loadcnt_dscnt 0x900
	v_mul_f64_e32 v[175:176], v[167:168], v[32:33]
	v_mul_f64_e32 v[32:33], v[169:170], v[32:33]
	v_add_f64_e32 v[171:172], v[171:172], v[179:180]
	v_add_f64_e32 v[173:174], v[173:174], v[177:178]
	v_fma_f64 v[177:178], v[4:5], v[26:27], v[181:182]
	v_fma_f64 v[179:180], v[2:3], v[26:27], -v[28:29]
	ds_load_b128 v[2:5], v1 offset:1408
	scratch_load_b128 v[26:29], off, off offset:656
	v_fma_f64 v[169:170], v[169:170], v[30:31], v[175:176]
	v_fma_f64 v[167:168], v[167:168], v[30:31], -v[32:33]
	scratch_load_b128 v[30:33], off, off offset:672
	v_add_f64_e32 v[171:172], v[171:172], v[42:43]
	v_add_f64_e32 v[173:174], v[173:174], v[44:45]
	ds_load_b128 v[42:45], v1 offset:1424
	s_wait_loadcnt_dscnt 0xa01
	v_mul_f64_e32 v[181:182], v[2:3], v[36:37]
	v_mul_f64_e32 v[36:37], v[4:5], v[36:37]
	s_wait_loadcnt_dscnt 0x800
	v_mul_f64_e32 v[175:176], v[42:43], v[165:166]
	v_add_f64_e32 v[171:172], v[171:172], v[179:180]
	v_add_f64_e32 v[173:174], v[173:174], v[177:178]
	v_mul_f64_e32 v[177:178], v[44:45], v[165:166]
	v_fma_f64 v[179:180], v[4:5], v[34:35], v[181:182]
	v_fma_f64 v[181:182], v[2:3], v[34:35], -v[36:37]
	ds_load_b128 v[2:5], v1 offset:1440
	scratch_load_b128 v[34:37], off, off offset:688
	v_fma_f64 v[44:45], v[44:45], v[163:164], v[175:176]
	v_add_f64_e32 v[171:172], v[171:172], v[167:168]
	v_add_f64_e32 v[169:170], v[173:174], v[169:170]
	ds_load_b128 v[165:168], v1 offset:1456
	v_fma_f64 v[163:164], v[42:43], v[163:164], -v[177:178]
	s_wait_loadcnt_dscnt 0x801
	v_mul_f64_e32 v[173:174], v[2:3], v[40:41]
	v_mul_f64_e32 v[183:184], v[4:5], v[40:41]
	scratch_load_b128 v[40:43], off, off offset:704
	s_wait_loadcnt_dscnt 0x800
	v_mul_f64_e32 v[177:178], v[165:166], v[8:9]
	v_mul_f64_e32 v[8:9], v[167:168], v[8:9]
	v_add_f64_e32 v[171:172], v[171:172], v[181:182]
	v_add_f64_e32 v[169:170], v[169:170], v[179:180]
	v_fma_f64 v[179:180], v[4:5], v[38:39], v[173:174]
	v_fma_f64 v[38:39], v[2:3], v[38:39], -v[183:184]
	ds_load_b128 v[2:5], v1 offset:1472
	ds_load_b128 v[173:176], v1 offset:1488
	v_fma_f64 v[167:168], v[167:168], v[6:7], v[177:178]
	v_fma_f64 v[165:166], v[165:166], v[6:7], -v[8:9]
	scratch_load_b128 v[6:9], off, off offset:736
	v_add_f64_e32 v[163:164], v[171:172], v[163:164]
	v_add_f64_e32 v[44:45], v[169:170], v[44:45]
	scratch_load_b128 v[169:172], off, off offset:720
	s_wait_loadcnt_dscnt 0x901
	v_mul_f64_e32 v[181:182], v[2:3], v[12:13]
	v_mul_f64_e32 v[12:13], v[4:5], v[12:13]
	s_wait_loadcnt_dscnt 0x800
	v_mul_f64_e32 v[177:178], v[173:174], v[16:17]
	v_mul_f64_e32 v[16:17], v[175:176], v[16:17]
	v_add_f64_e32 v[38:39], v[163:164], v[38:39]
	v_add_f64_e32 v[44:45], v[44:45], v[179:180]
	v_fma_f64 v[179:180], v[4:5], v[10:11], v[181:182]
	v_fma_f64 v[181:182], v[2:3], v[10:11], -v[12:13]
	ds_load_b128 v[2:5], v1 offset:1504
	scratch_load_b128 v[10:13], off, off offset:752
	v_fma_f64 v[175:176], v[175:176], v[14:15], v[177:178]
	v_fma_f64 v[173:174], v[173:174], v[14:15], -v[16:17]
	scratch_load_b128 v[14:17], off, off offset:768
	v_add_f64_e32 v[38:39], v[38:39], v[165:166]
	v_add_f64_e32 v[44:45], v[44:45], v[167:168]
	ds_load_b128 v[163:166], v1 offset:1520
	s_wait_loadcnt_dscnt 0x901
	v_mul_f64_e32 v[167:168], v[2:3], v[20:21]
	v_mul_f64_e32 v[20:21], v[4:5], v[20:21]
	s_wait_loadcnt_dscnt 0x800
	v_mul_f64_e32 v[177:178], v[163:164], v[24:25]
	v_mul_f64_e32 v[24:25], v[165:166], v[24:25]
	v_add_f64_e32 v[38:39], v[38:39], v[181:182]
	v_add_f64_e32 v[44:45], v[44:45], v[179:180]
	v_fma_f64 v[167:168], v[4:5], v[18:19], v[167:168]
	v_fma_f64 v[179:180], v[2:3], v[18:19], -v[20:21]
	ds_load_b128 v[2:5], v1 offset:1536
	scratch_load_b128 v[18:21], off, off offset:784
	v_fma_f64 v[165:166], v[165:166], v[22:23], v[177:178]
	v_fma_f64 v[163:164], v[163:164], v[22:23], -v[24:25]
	scratch_load_b128 v[22:25], off, off offset:800
	v_add_f64_e32 v[38:39], v[38:39], v[173:174]
	v_add_f64_e32 v[44:45], v[44:45], v[175:176]
	ds_load_b128 v[173:176], v1 offset:1552
	s_wait_loadcnt_dscnt 0x901
	v_mul_f64_e32 v[181:182], v[2:3], v[28:29]
	v_mul_f64_e32 v[28:29], v[4:5], v[28:29]
	v_add_f64_e32 v[38:39], v[38:39], v[179:180]
	v_add_f64_e32 v[44:45], v[44:45], v[167:168]
	s_wait_loadcnt_dscnt 0x800
	v_mul_f64_e32 v[167:168], v[173:174], v[32:33]
	v_mul_f64_e32 v[32:33], v[175:176], v[32:33]
	v_fma_f64 v[177:178], v[4:5], v[26:27], v[181:182]
	v_fma_f64 v[179:180], v[2:3], v[26:27], -v[28:29]
	ds_load_b128 v[2:5], v1 offset:1568
	scratch_load_b128 v[26:29], off, off offset:816
	v_add_f64_e32 v[38:39], v[38:39], v[163:164]
	v_add_f64_e32 v[44:45], v[44:45], v[165:166]
	ds_load_b128 v[163:166], v1 offset:1584
	s_wait_loadcnt_dscnt 0x801
	v_mul_f64_e32 v[181:182], v[2:3], v[36:37]
	v_mul_f64_e32 v[36:37], v[4:5], v[36:37]
	v_fma_f64 v[167:168], v[175:176], v[30:31], v[167:168]
	v_fma_f64 v[173:174], v[173:174], v[30:31], -v[32:33]
	scratch_load_b128 v[30:33], off, off offset:832
	s_wait_loadcnt_dscnt 0x800
	v_mul_f64_e32 v[175:176], v[163:164], v[42:43]
	v_add_f64_e32 v[38:39], v[38:39], v[179:180]
	v_add_f64_e32 v[44:45], v[44:45], v[177:178]
	v_mul_f64_e32 v[177:178], v[165:166], v[42:43]
	v_fma_f64 v[179:180], v[4:5], v[34:35], v[181:182]
	v_fma_f64 v[181:182], v[2:3], v[34:35], -v[36:37]
	ds_load_b128 v[2:5], v1 offset:1600
	scratch_load_b128 v[34:37], off, off offset:848
	v_fma_f64 v[165:166], v[165:166], v[40:41], v[175:176]
	v_add_f64_e32 v[38:39], v[38:39], v[173:174]
	v_add_f64_e32 v[167:168], v[44:45], v[167:168]
	ds_load_b128 v[42:45], v1 offset:1616
	v_fma_f64 v[163:164], v[163:164], v[40:41], -v[177:178]
	s_wait_loadcnt_dscnt 0x701
	v_mul_f64_e32 v[173:174], v[2:3], v[171:172]
	v_mul_f64_e32 v[171:172], v[4:5], v[171:172]
	s_wait_dscnt 0x0
	v_mul_f64_e32 v[177:178], v[42:43], v[8:9]
	v_mul_f64_e32 v[8:9], v[44:45], v[8:9]
	v_add_f64_e32 v[175:176], v[38:39], v[181:182]
	v_add_f64_e32 v[167:168], v[167:168], v[179:180]
	scratch_load_b128 v[38:41], off, off offset:864
	v_fma_f64 v[173:174], v[4:5], v[169:170], v[173:174]
	v_fma_f64 v[171:172], v[2:3], v[169:170], -v[171:172]
	ds_load_b128 v[2:5], v1 offset:1632
	v_fma_f64 v[44:45], v[44:45], v[6:7], v[177:178]
	v_fma_f64 v[42:43], v[42:43], v[6:7], -v[8:9]
	scratch_load_b128 v[6:9], off, off offset:896
	v_add_f64_e32 v[175:176], v[175:176], v[163:164]
	v_add_f64_e32 v[179:180], v[167:168], v[165:166]
	scratch_load_b128 v[163:166], off, off offset:880
	ds_load_b128 v[167:170], v1 offset:1648
	s_wait_loadcnt_dscnt 0x901
	v_mul_f64_e32 v[181:182], v[2:3], v[12:13]
	v_mul_f64_e32 v[12:13], v[4:5], v[12:13]
	v_add_f64_e32 v[171:172], v[175:176], v[171:172]
	v_add_f64_e32 v[173:174], v[179:180], v[173:174]
	s_wait_loadcnt_dscnt 0x800
	v_mul_f64_e32 v[175:176], v[167:168], v[16:17]
	v_mul_f64_e32 v[16:17], v[169:170], v[16:17]
	v_fma_f64 v[177:178], v[4:5], v[10:11], v[181:182]
	v_fma_f64 v[179:180], v[2:3], v[10:11], -v[12:13]
	ds_load_b128 v[2:5], v1 offset:1664
	ds_load_b128 v[10:13], v1 offset:1680
	v_add_f64_e32 v[42:43], v[171:172], v[42:43]
	v_add_f64_e32 v[44:45], v[173:174], v[44:45]
	s_wait_loadcnt_dscnt 0x701
	v_mul_f64_e32 v[171:172], v[2:3], v[20:21]
	v_mul_f64_e32 v[20:21], v[4:5], v[20:21]
	v_fma_f64 v[169:170], v[169:170], v[14:15], v[175:176]
	v_fma_f64 v[14:15], v[167:168], v[14:15], -v[16:17]
	v_add_f64_e32 v[16:17], v[42:43], v[179:180]
	v_add_f64_e32 v[42:43], v[44:45], v[177:178]
	s_wait_loadcnt_dscnt 0x600
	v_mul_f64_e32 v[44:45], v[10:11], v[24:25]
	v_mul_f64_e32 v[24:25], v[12:13], v[24:25]
	v_fma_f64 v[167:168], v[4:5], v[18:19], v[171:172]
	v_fma_f64 v[18:19], v[2:3], v[18:19], -v[20:21]
	v_add_f64_e32 v[20:21], v[16:17], v[14:15]
	v_add_f64_e32 v[42:43], v[42:43], v[169:170]
	ds_load_b128 v[2:5], v1 offset:1696
	ds_load_b128 v[14:17], v1 offset:1712
	v_fma_f64 v[12:13], v[12:13], v[22:23], v[44:45]
	v_fma_f64 v[10:11], v[10:11], v[22:23], -v[24:25]
	s_wait_loadcnt_dscnt 0x501
	v_mul_f64_e32 v[169:170], v[2:3], v[28:29]
	v_mul_f64_e32 v[28:29], v[4:5], v[28:29]
	s_wait_loadcnt_dscnt 0x400
	v_mul_f64_e32 v[22:23], v[14:15], v[32:33]
	v_mul_f64_e32 v[24:25], v[16:17], v[32:33]
	v_add_f64_e32 v[18:19], v[20:21], v[18:19]
	v_add_f64_e32 v[20:21], v[42:43], v[167:168]
	v_fma_f64 v[32:33], v[4:5], v[26:27], v[169:170]
	v_fma_f64 v[26:27], v[2:3], v[26:27], -v[28:29]
	v_fma_f64 v[16:17], v[16:17], v[30:31], v[22:23]
	v_fma_f64 v[14:15], v[14:15], v[30:31], -v[24:25]
	v_add_f64_e32 v[18:19], v[18:19], v[10:11]
	v_add_f64_e32 v[20:21], v[20:21], v[12:13]
	ds_load_b128 v[2:5], v1 offset:1728
	ds_load_b128 v[10:13], v1 offset:1744
	s_wait_loadcnt_dscnt 0x301
	v_mul_f64_e32 v[28:29], v[2:3], v[36:37]
	v_mul_f64_e32 v[36:37], v[4:5], v[36:37]
	v_add_f64_e32 v[18:19], v[18:19], v[26:27]
	v_add_f64_e32 v[20:21], v[20:21], v[32:33]
	s_wait_loadcnt_dscnt 0x200
	v_mul_f64_e32 v[22:23], v[10:11], v[40:41]
	v_mul_f64_e32 v[24:25], v[12:13], v[40:41]
	v_fma_f64 v[26:27], v[4:5], v[34:35], v[28:29]
	v_fma_f64 v[28:29], v[2:3], v[34:35], -v[36:37]
	v_add_f64_e32 v[18:19], v[18:19], v[14:15]
	v_add_f64_e32 v[20:21], v[20:21], v[16:17]
	ds_load_b128 v[2:5], v1 offset:1760
	ds_load_b128 v[14:17], v1 offset:1776
	v_fma_f64 v[12:13], v[12:13], v[38:39], v[22:23]
	v_fma_f64 v[10:11], v[10:11], v[38:39], -v[24:25]
	s_wait_loadcnt_dscnt 0x1
	v_mul_f64_e32 v[30:31], v[2:3], v[165:166]
	v_mul_f64_e32 v[32:33], v[4:5], v[165:166]
	s_wait_dscnt 0x0
	v_mul_f64_e32 v[22:23], v[14:15], v[8:9]
	v_mul_f64_e32 v[8:9], v[16:17], v[8:9]
	v_add_f64_e32 v[18:19], v[18:19], v[28:29]
	v_add_f64_e32 v[20:21], v[20:21], v[26:27]
	v_fma_f64 v[4:5], v[4:5], v[163:164], v[30:31]
	v_fma_f64 v[1:2], v[2:3], v[163:164], -v[32:33]
	v_fma_f64 v[16:17], v[16:17], v[6:7], v[22:23]
	v_fma_f64 v[6:7], v[14:15], v[6:7], -v[8:9]
	v_add_f64_e32 v[10:11], v[18:19], v[10:11]
	v_add_f64_e32 v[12:13], v[20:21], v[12:13]
	s_delay_alu instid0(VALU_DEP_2) | instskip(NEXT) | instid1(VALU_DEP_2)
	v_add_f64_e32 v[1:2], v[10:11], v[1:2]
	v_add_f64_e32 v[3:4], v[12:13], v[4:5]
	s_delay_alu instid0(VALU_DEP_2) | instskip(NEXT) | instid1(VALU_DEP_2)
	;; [unrolled: 3-line block ×3, first 2 shown]
	v_add_f64_e64 v[1:2], v[159:160], -v[1:2]
	v_add_f64_e64 v[3:4], v[161:162], -v[3:4]
	scratch_store_b128 off, v[1:4], off offset:384
	v_cmpx_lt_u32_e32 22, v0
	s_cbranch_execz .LBB55_305
; %bb.304:
	scratch_load_b128 v[1:4], off, s41
	v_mov_b32_e32 v5, 0
	s_delay_alu instid0(VALU_DEP_1)
	v_dual_mov_b32 v6, v5 :: v_dual_mov_b32 v7, v5
	v_mov_b32_e32 v8, v5
	scratch_store_b128 off, v[5:8], off offset:368
	s_wait_loadcnt 0x0
	ds_store_b128 v158, v[1:4]
.LBB55_305:
	s_wait_alu 0xfffe
	s_or_b32 exec_lo, exec_lo, s0
	s_wait_storecnt_dscnt 0x0
	s_barrier_signal -1
	s_barrier_wait -1
	global_inv scope:SCOPE_SE
	s_clause 0x7
	scratch_load_b128 v[2:5], off, off offset:384
	scratch_load_b128 v[6:9], off, off offset:400
	;; [unrolled: 1-line block ×8, first 2 shown]
	v_mov_b32_e32 v1, 0
	s_mov_b32 s0, exec_lo
	ds_load_b128 v[34:37], v1 offset:1264
	s_clause 0x1
	scratch_load_b128 v[38:41], off, off offset:512
	scratch_load_b128 v[42:45], off, off offset:368
	ds_load_b128 v[159:162], v1 offset:1280
	scratch_load_b128 v[163:166], off, off offset:528
	s_wait_loadcnt_dscnt 0xa01
	v_mul_f64_e32 v[167:168], v[36:37], v[4:5]
	v_mul_f64_e32 v[4:5], v[34:35], v[4:5]
	s_delay_alu instid0(VALU_DEP_2) | instskip(NEXT) | instid1(VALU_DEP_2)
	v_fma_f64 v[173:174], v[34:35], v[2:3], -v[167:168]
	v_fma_f64 v[175:176], v[36:37], v[2:3], v[4:5]
	ds_load_b128 v[2:5], v1 offset:1296
	s_wait_loadcnt_dscnt 0x901
	v_mul_f64_e32 v[171:172], v[159:160], v[8:9]
	v_mul_f64_e32 v[8:9], v[161:162], v[8:9]
	scratch_load_b128 v[34:37], off, off offset:544
	ds_load_b128 v[167:170], v1 offset:1312
	s_wait_loadcnt_dscnt 0x901
	v_mul_f64_e32 v[177:178], v[2:3], v[12:13]
	v_mul_f64_e32 v[12:13], v[4:5], v[12:13]
	v_fma_f64 v[161:162], v[161:162], v[6:7], v[171:172]
	v_fma_f64 v[159:160], v[159:160], v[6:7], -v[8:9]
	v_add_f64_e32 v[171:172], 0, v[173:174]
	v_add_f64_e32 v[173:174], 0, v[175:176]
	scratch_load_b128 v[6:9], off, off offset:560
	v_fma_f64 v[177:178], v[4:5], v[10:11], v[177:178]
	v_fma_f64 v[179:180], v[2:3], v[10:11], -v[12:13]
	ds_load_b128 v[2:5], v1 offset:1328
	s_wait_loadcnt_dscnt 0x901
	v_mul_f64_e32 v[175:176], v[167:168], v[16:17]
	v_mul_f64_e32 v[16:17], v[169:170], v[16:17]
	scratch_load_b128 v[10:13], off, off offset:576
	v_add_f64_e32 v[171:172], v[171:172], v[159:160]
	v_add_f64_e32 v[173:174], v[173:174], v[161:162]
	s_wait_loadcnt_dscnt 0x900
	v_mul_f64_e32 v[181:182], v[2:3], v[20:21]
	v_mul_f64_e32 v[20:21], v[4:5], v[20:21]
	ds_load_b128 v[159:162], v1 offset:1344
	v_fma_f64 v[169:170], v[169:170], v[14:15], v[175:176]
	v_fma_f64 v[167:168], v[167:168], v[14:15], -v[16:17]
	scratch_load_b128 v[14:17], off, off offset:592
	v_add_f64_e32 v[171:172], v[171:172], v[179:180]
	v_add_f64_e32 v[173:174], v[173:174], v[177:178]
	v_fma_f64 v[177:178], v[4:5], v[18:19], v[181:182]
	v_fma_f64 v[179:180], v[2:3], v[18:19], -v[20:21]
	ds_load_b128 v[2:5], v1 offset:1360
	s_wait_loadcnt_dscnt 0x901
	v_mul_f64_e32 v[175:176], v[159:160], v[24:25]
	v_mul_f64_e32 v[24:25], v[161:162], v[24:25]
	scratch_load_b128 v[18:21], off, off offset:608
	s_wait_loadcnt_dscnt 0x900
	v_mul_f64_e32 v[181:182], v[2:3], v[28:29]
	v_mul_f64_e32 v[28:29], v[4:5], v[28:29]
	v_add_f64_e32 v[171:172], v[171:172], v[167:168]
	v_add_f64_e32 v[173:174], v[173:174], v[169:170]
	ds_load_b128 v[167:170], v1 offset:1376
	v_fma_f64 v[161:162], v[161:162], v[22:23], v[175:176]
	v_fma_f64 v[159:160], v[159:160], v[22:23], -v[24:25]
	scratch_load_b128 v[22:25], off, off offset:624
	v_add_f64_e32 v[171:172], v[171:172], v[179:180]
	v_add_f64_e32 v[173:174], v[173:174], v[177:178]
	v_fma_f64 v[177:178], v[4:5], v[26:27], v[181:182]
	v_fma_f64 v[179:180], v[2:3], v[26:27], -v[28:29]
	ds_load_b128 v[2:5], v1 offset:1392
	s_wait_loadcnt_dscnt 0x901
	v_mul_f64_e32 v[175:176], v[167:168], v[32:33]
	v_mul_f64_e32 v[32:33], v[169:170], v[32:33]
	scratch_load_b128 v[26:29], off, off offset:640
	s_wait_loadcnt_dscnt 0x900
	v_mul_f64_e32 v[181:182], v[2:3], v[40:41]
	v_mul_f64_e32 v[40:41], v[4:5], v[40:41]
	v_add_f64_e32 v[171:172], v[171:172], v[159:160]
	v_add_f64_e32 v[173:174], v[173:174], v[161:162]
	ds_load_b128 v[159:162], v1 offset:1408
	v_fma_f64 v[169:170], v[169:170], v[30:31], v[175:176]
	v_fma_f64 v[167:168], v[167:168], v[30:31], -v[32:33]
	scratch_load_b128 v[30:33], off, off offset:656
	v_add_f64_e32 v[171:172], v[171:172], v[179:180]
	v_add_f64_e32 v[173:174], v[173:174], v[177:178]
	v_fma_f64 v[179:180], v[4:5], v[38:39], v[181:182]
	v_fma_f64 v[181:182], v[2:3], v[38:39], -v[40:41]
	ds_load_b128 v[2:5], v1 offset:1424
	s_wait_loadcnt_dscnt 0x801
	v_mul_f64_e32 v[175:176], v[159:160], v[165:166]
	v_mul_f64_e32 v[177:178], v[161:162], v[165:166]
	scratch_load_b128 v[38:41], off, off offset:672
	v_add_f64_e32 v[171:172], v[171:172], v[167:168]
	v_add_f64_e32 v[169:170], v[173:174], v[169:170]
	ds_load_b128 v[165:168], v1 offset:1440
	v_fma_f64 v[175:176], v[161:162], v[163:164], v[175:176]
	v_fma_f64 v[163:164], v[159:160], v[163:164], -v[177:178]
	scratch_load_b128 v[159:162], off, off offset:688
	s_wait_loadcnt_dscnt 0x901
	v_mul_f64_e32 v[173:174], v[2:3], v[36:37]
	v_mul_f64_e32 v[36:37], v[4:5], v[36:37]
	v_add_f64_e32 v[171:172], v[171:172], v[181:182]
	v_add_f64_e32 v[169:170], v[169:170], v[179:180]
	s_delay_alu instid0(VALU_DEP_4) | instskip(NEXT) | instid1(VALU_DEP_4)
	v_fma_f64 v[173:174], v[4:5], v[34:35], v[173:174]
	v_fma_f64 v[179:180], v[2:3], v[34:35], -v[36:37]
	ds_load_b128 v[2:5], v1 offset:1456
	s_wait_loadcnt_dscnt 0x801
	v_mul_f64_e32 v[177:178], v[165:166], v[8:9]
	v_mul_f64_e32 v[8:9], v[167:168], v[8:9]
	scratch_load_b128 v[34:37], off, off offset:704
	s_wait_loadcnt_dscnt 0x800
	v_mul_f64_e32 v[181:182], v[2:3], v[12:13]
	v_add_f64_e32 v[163:164], v[171:172], v[163:164]
	v_add_f64_e32 v[175:176], v[169:170], v[175:176]
	v_mul_f64_e32 v[12:13], v[4:5], v[12:13]
	ds_load_b128 v[169:172], v1 offset:1472
	v_fma_f64 v[167:168], v[167:168], v[6:7], v[177:178]
	v_fma_f64 v[165:166], v[165:166], v[6:7], -v[8:9]
	scratch_load_b128 v[6:9], off, off offset:720
	v_fma_f64 v[177:178], v[4:5], v[10:11], v[181:182]
	v_add_f64_e32 v[163:164], v[163:164], v[179:180]
	v_add_f64_e32 v[173:174], v[175:176], v[173:174]
	v_fma_f64 v[179:180], v[2:3], v[10:11], -v[12:13]
	ds_load_b128 v[2:5], v1 offset:1488
	s_wait_loadcnt_dscnt 0x801
	v_mul_f64_e32 v[175:176], v[169:170], v[16:17]
	v_mul_f64_e32 v[16:17], v[171:172], v[16:17]
	scratch_load_b128 v[10:13], off, off offset:736
	v_add_f64_e32 v[181:182], v[163:164], v[165:166]
	v_add_f64_e32 v[167:168], v[173:174], v[167:168]
	s_wait_loadcnt_dscnt 0x800
	v_mul_f64_e32 v[173:174], v[2:3], v[20:21]
	v_mul_f64_e32 v[20:21], v[4:5], v[20:21]
	v_fma_f64 v[171:172], v[171:172], v[14:15], v[175:176]
	v_fma_f64 v[169:170], v[169:170], v[14:15], -v[16:17]
	ds_load_b128 v[163:166], v1 offset:1504
	scratch_load_b128 v[14:17], off, off offset:752
	v_add_f64_e32 v[175:176], v[181:182], v[179:180]
	v_add_f64_e32 v[167:168], v[167:168], v[177:178]
	v_fma_f64 v[173:174], v[4:5], v[18:19], v[173:174]
	v_fma_f64 v[179:180], v[2:3], v[18:19], -v[20:21]
	ds_load_b128 v[2:5], v1 offset:1520
	s_wait_loadcnt_dscnt 0x801
	v_mul_f64_e32 v[177:178], v[163:164], v[24:25]
	v_mul_f64_e32 v[24:25], v[165:166], v[24:25]
	scratch_load_b128 v[18:21], off, off offset:768
	s_wait_loadcnt_dscnt 0x800
	v_mul_f64_e32 v[181:182], v[2:3], v[28:29]
	v_mul_f64_e32 v[28:29], v[4:5], v[28:29]
	v_add_f64_e32 v[175:176], v[175:176], v[169:170]
	v_add_f64_e32 v[171:172], v[167:168], v[171:172]
	ds_load_b128 v[167:170], v1 offset:1536
	v_fma_f64 v[165:166], v[165:166], v[22:23], v[177:178]
	v_fma_f64 v[163:164], v[163:164], v[22:23], -v[24:25]
	scratch_load_b128 v[22:25], off, off offset:784
	v_fma_f64 v[177:178], v[4:5], v[26:27], v[181:182]
	v_add_f64_e32 v[175:176], v[175:176], v[179:180]
	v_add_f64_e32 v[171:172], v[171:172], v[173:174]
	v_fma_f64 v[179:180], v[2:3], v[26:27], -v[28:29]
	ds_load_b128 v[2:5], v1 offset:1552
	s_wait_loadcnt_dscnt 0x801
	v_mul_f64_e32 v[173:174], v[167:168], v[32:33]
	v_mul_f64_e32 v[32:33], v[169:170], v[32:33]
	scratch_load_b128 v[26:29], off, off offset:800
	s_wait_loadcnt_dscnt 0x800
	v_mul_f64_e32 v[181:182], v[2:3], v[40:41]
	v_mul_f64_e32 v[40:41], v[4:5], v[40:41]
	v_add_f64_e32 v[175:176], v[175:176], v[163:164]
	v_add_f64_e32 v[171:172], v[171:172], v[165:166]
	ds_load_b128 v[163:166], v1 offset:1568
	v_fma_f64 v[169:170], v[169:170], v[30:31], v[173:174]
	v_fma_f64 v[167:168], v[167:168], v[30:31], -v[32:33]
	scratch_load_b128 v[30:33], off, off offset:816
	v_add_f64_e32 v[173:174], v[175:176], v[179:180]
	v_add_f64_e32 v[171:172], v[171:172], v[177:178]
	v_fma_f64 v[177:178], v[4:5], v[38:39], v[181:182]
	v_fma_f64 v[179:180], v[2:3], v[38:39], -v[40:41]
	ds_load_b128 v[2:5], v1 offset:1584
	s_wait_loadcnt_dscnt 0x801
	v_mul_f64_e32 v[175:176], v[163:164], v[161:162]
	v_mul_f64_e32 v[161:162], v[165:166], v[161:162]
	scratch_load_b128 v[38:41], off, off offset:832
	s_wait_loadcnt_dscnt 0x800
	v_mul_f64_e32 v[181:182], v[2:3], v[36:37]
	v_mul_f64_e32 v[36:37], v[4:5], v[36:37]
	v_add_f64_e32 v[173:174], v[173:174], v[167:168]
	v_add_f64_e32 v[171:172], v[171:172], v[169:170]
	ds_load_b128 v[167:170], v1 offset:1600
	v_fma_f64 v[165:166], v[165:166], v[159:160], v[175:176]
	v_fma_f64 v[163:164], v[163:164], v[159:160], -v[161:162]
	scratch_load_b128 v[159:162], off, off offset:848
	v_add_f64_e32 v[173:174], v[173:174], v[179:180]
	v_add_f64_e32 v[171:172], v[171:172], v[177:178]
	v_fma_f64 v[177:178], v[4:5], v[34:35], v[181:182]
	;; [unrolled: 18-line block ×3, first 2 shown]
	v_fma_f64 v[179:180], v[2:3], v[10:11], -v[12:13]
	ds_load_b128 v[2:5], v1 offset:1648
	s_wait_loadcnt_dscnt 0x801
	v_mul_f64_e32 v[175:176], v[163:164], v[16:17]
	v_mul_f64_e32 v[16:17], v[165:166], v[16:17]
	scratch_load_b128 v[10:13], off, off offset:896
	s_wait_loadcnt_dscnt 0x800
	v_mul_f64_e32 v[181:182], v[2:3], v[20:21]
	v_mul_f64_e32 v[20:21], v[4:5], v[20:21]
	v_add_f64_e32 v[173:174], v[173:174], v[167:168]
	v_add_f64_e32 v[171:172], v[171:172], v[169:170]
	ds_load_b128 v[167:170], v1 offset:1664
	v_fma_f64 v[165:166], v[165:166], v[14:15], v[175:176]
	v_fma_f64 v[14:15], v[163:164], v[14:15], -v[16:17]
	v_add_f64_e32 v[16:17], v[173:174], v[179:180]
	v_add_f64_e32 v[163:164], v[171:172], v[177:178]
	s_wait_loadcnt_dscnt 0x700
	v_mul_f64_e32 v[171:172], v[167:168], v[24:25]
	v_mul_f64_e32 v[24:25], v[169:170], v[24:25]
	v_fma_f64 v[173:174], v[4:5], v[18:19], v[181:182]
	v_fma_f64 v[18:19], v[2:3], v[18:19], -v[20:21]
	v_add_f64_e32 v[20:21], v[16:17], v[14:15]
	v_add_f64_e32 v[163:164], v[163:164], v[165:166]
	ds_load_b128 v[2:5], v1 offset:1680
	ds_load_b128 v[14:17], v1 offset:1696
	v_fma_f64 v[169:170], v[169:170], v[22:23], v[171:172]
	v_fma_f64 v[22:23], v[167:168], v[22:23], -v[24:25]
	s_wait_loadcnt_dscnt 0x601
	v_mul_f64_e32 v[165:166], v[2:3], v[28:29]
	v_mul_f64_e32 v[28:29], v[4:5], v[28:29]
	s_wait_loadcnt_dscnt 0x500
	v_mul_f64_e32 v[24:25], v[14:15], v[32:33]
	v_mul_f64_e32 v[32:33], v[16:17], v[32:33]
	v_add_f64_e32 v[18:19], v[20:21], v[18:19]
	v_add_f64_e32 v[20:21], v[163:164], v[173:174]
	v_fma_f64 v[163:164], v[4:5], v[26:27], v[165:166]
	v_fma_f64 v[26:27], v[2:3], v[26:27], -v[28:29]
	v_fma_f64 v[16:17], v[16:17], v[30:31], v[24:25]
	v_fma_f64 v[14:15], v[14:15], v[30:31], -v[32:33]
	v_add_f64_e32 v[22:23], v[18:19], v[22:23]
	v_add_f64_e32 v[28:29], v[20:21], v[169:170]
	ds_load_b128 v[2:5], v1 offset:1712
	ds_load_b128 v[18:21], v1 offset:1728
	s_wait_loadcnt_dscnt 0x401
	v_mul_f64_e32 v[165:166], v[2:3], v[40:41]
	v_mul_f64_e32 v[40:41], v[4:5], v[40:41]
	v_add_f64_e32 v[22:23], v[22:23], v[26:27]
	v_add_f64_e32 v[24:25], v[28:29], v[163:164]
	s_wait_loadcnt_dscnt 0x300
	v_mul_f64_e32 v[26:27], v[18:19], v[161:162]
	v_mul_f64_e32 v[28:29], v[20:21], v[161:162]
	v_fma_f64 v[30:31], v[4:5], v[38:39], v[165:166]
	v_fma_f64 v[32:33], v[2:3], v[38:39], -v[40:41]
	v_add_f64_e32 v[22:23], v[22:23], v[14:15]
	v_add_f64_e32 v[24:25], v[24:25], v[16:17]
	ds_load_b128 v[2:5], v1 offset:1744
	ds_load_b128 v[14:17], v1 offset:1760
	v_fma_f64 v[20:21], v[20:21], v[159:160], v[26:27]
	v_fma_f64 v[18:19], v[18:19], v[159:160], -v[28:29]
	s_wait_loadcnt_dscnt 0x201
	v_mul_f64_e32 v[38:39], v[2:3], v[36:37]
	v_mul_f64_e32 v[36:37], v[4:5], v[36:37]
	s_wait_loadcnt_dscnt 0x100
	v_mul_f64_e32 v[26:27], v[14:15], v[8:9]
	v_mul_f64_e32 v[8:9], v[16:17], v[8:9]
	v_add_f64_e32 v[22:23], v[22:23], v[32:33]
	v_add_f64_e32 v[24:25], v[24:25], v[30:31]
	v_fma_f64 v[28:29], v[4:5], v[34:35], v[38:39]
	v_fma_f64 v[30:31], v[2:3], v[34:35], -v[36:37]
	ds_load_b128 v[2:5], v1 offset:1776
	v_fma_f64 v[16:17], v[16:17], v[6:7], v[26:27]
	v_fma_f64 v[6:7], v[14:15], v[6:7], -v[8:9]
	v_add_f64_e32 v[18:19], v[22:23], v[18:19]
	v_add_f64_e32 v[20:21], v[24:25], v[20:21]
	s_wait_loadcnt_dscnt 0x0
	v_mul_f64_e32 v[22:23], v[2:3], v[12:13]
	v_mul_f64_e32 v[12:13], v[4:5], v[12:13]
	s_delay_alu instid0(VALU_DEP_4) | instskip(NEXT) | instid1(VALU_DEP_4)
	v_add_f64_e32 v[8:9], v[18:19], v[30:31]
	v_add_f64_e32 v[14:15], v[20:21], v[28:29]
	s_delay_alu instid0(VALU_DEP_4) | instskip(NEXT) | instid1(VALU_DEP_4)
	v_fma_f64 v[4:5], v[4:5], v[10:11], v[22:23]
	v_fma_f64 v[2:3], v[2:3], v[10:11], -v[12:13]
	s_delay_alu instid0(VALU_DEP_4) | instskip(NEXT) | instid1(VALU_DEP_4)
	v_add_f64_e32 v[6:7], v[8:9], v[6:7]
	v_add_f64_e32 v[8:9], v[14:15], v[16:17]
	s_delay_alu instid0(VALU_DEP_2) | instskip(NEXT) | instid1(VALU_DEP_2)
	v_add_f64_e32 v[2:3], v[6:7], v[2:3]
	v_add_f64_e32 v[4:5], v[8:9], v[4:5]
	s_delay_alu instid0(VALU_DEP_2) | instskip(NEXT) | instid1(VALU_DEP_2)
	v_add_f64_e64 v[2:3], v[42:43], -v[2:3]
	v_add_f64_e64 v[4:5], v[44:45], -v[4:5]
	scratch_store_b128 off, v[2:5], off offset:368
	v_cmpx_lt_u32_e32 21, v0
	s_cbranch_execz .LBB55_307
; %bb.306:
	scratch_load_b128 v[5:8], off, s43
	v_dual_mov_b32 v2, v1 :: v_dual_mov_b32 v3, v1
	v_mov_b32_e32 v4, v1
	scratch_store_b128 off, v[1:4], off offset:352
	s_wait_loadcnt 0x0
	ds_store_b128 v158, v[5:8]
.LBB55_307:
	s_wait_alu 0xfffe
	s_or_b32 exec_lo, exec_lo, s0
	s_wait_storecnt_dscnt 0x0
	s_barrier_signal -1
	s_barrier_wait -1
	global_inv scope:SCOPE_SE
	s_clause 0x8
	scratch_load_b128 v[2:5], off, off offset:368
	scratch_load_b128 v[6:9], off, off offset:384
	;; [unrolled: 1-line block ×9, first 2 shown]
	ds_load_b128 v[38:41], v1 offset:1248
	ds_load_b128 v[42:45], v1 offset:1264
	s_clause 0x1
	scratch_load_b128 v[159:162], off, off offset:352
	scratch_load_b128 v[163:166], off, off offset:512
	s_mov_b32 s0, exec_lo
	s_wait_loadcnt_dscnt 0xa01
	v_mul_f64_e32 v[167:168], v[40:41], v[4:5]
	v_mul_f64_e32 v[4:5], v[38:39], v[4:5]
	s_wait_loadcnt_dscnt 0x900
	v_mul_f64_e32 v[171:172], v[42:43], v[8:9]
	v_mul_f64_e32 v[8:9], v[44:45], v[8:9]
	s_delay_alu instid0(VALU_DEP_4) | instskip(NEXT) | instid1(VALU_DEP_4)
	v_fma_f64 v[173:174], v[38:39], v[2:3], -v[167:168]
	v_fma_f64 v[175:176], v[40:41], v[2:3], v[4:5]
	ds_load_b128 v[2:5], v1 offset:1280
	ds_load_b128 v[167:170], v1 offset:1296
	scratch_load_b128 v[38:41], off, off offset:528
	v_fma_f64 v[44:45], v[44:45], v[6:7], v[171:172]
	v_fma_f64 v[42:43], v[42:43], v[6:7], -v[8:9]
	scratch_load_b128 v[6:9], off, off offset:544
	s_wait_loadcnt_dscnt 0xa01
	v_mul_f64_e32 v[177:178], v[2:3], v[12:13]
	v_mul_f64_e32 v[12:13], v[4:5], v[12:13]
	v_add_f64_e32 v[171:172], 0, v[173:174]
	v_add_f64_e32 v[173:174], 0, v[175:176]
	s_wait_loadcnt_dscnt 0x900
	v_mul_f64_e32 v[175:176], v[167:168], v[16:17]
	v_mul_f64_e32 v[16:17], v[169:170], v[16:17]
	v_fma_f64 v[177:178], v[4:5], v[10:11], v[177:178]
	v_fma_f64 v[179:180], v[2:3], v[10:11], -v[12:13]
	ds_load_b128 v[2:5], v1 offset:1312
	scratch_load_b128 v[10:13], off, off offset:560
	v_add_f64_e32 v[171:172], v[171:172], v[42:43]
	v_add_f64_e32 v[173:174], v[173:174], v[44:45]
	ds_load_b128 v[42:45], v1 offset:1328
	v_fma_f64 v[169:170], v[169:170], v[14:15], v[175:176]
	v_fma_f64 v[167:168], v[167:168], v[14:15], -v[16:17]
	scratch_load_b128 v[14:17], off, off offset:576
	s_wait_loadcnt_dscnt 0xa01
	v_mul_f64_e32 v[181:182], v[2:3], v[20:21]
	v_mul_f64_e32 v[20:21], v[4:5], v[20:21]
	s_wait_loadcnt_dscnt 0x900
	v_mul_f64_e32 v[175:176], v[42:43], v[24:25]
	v_mul_f64_e32 v[24:25], v[44:45], v[24:25]
	v_add_f64_e32 v[171:172], v[171:172], v[179:180]
	v_add_f64_e32 v[173:174], v[173:174], v[177:178]
	v_fma_f64 v[177:178], v[4:5], v[18:19], v[181:182]
	v_fma_f64 v[179:180], v[2:3], v[18:19], -v[20:21]
	ds_load_b128 v[2:5], v1 offset:1344
	scratch_load_b128 v[18:21], off, off offset:592
	v_fma_f64 v[44:45], v[44:45], v[22:23], v[175:176]
	v_fma_f64 v[42:43], v[42:43], v[22:23], -v[24:25]
	scratch_load_b128 v[22:25], off, off offset:608
	v_add_f64_e32 v[171:172], v[171:172], v[167:168]
	v_add_f64_e32 v[173:174], v[173:174], v[169:170]
	ds_load_b128 v[167:170], v1 offset:1360
	s_wait_loadcnt_dscnt 0xa01
	v_mul_f64_e32 v[181:182], v[2:3], v[28:29]
	v_mul_f64_e32 v[28:29], v[4:5], v[28:29]
	s_wait_loadcnt_dscnt 0x900
	v_mul_f64_e32 v[175:176], v[167:168], v[32:33]
	v_mul_f64_e32 v[32:33], v[169:170], v[32:33]
	v_add_f64_e32 v[171:172], v[171:172], v[179:180]
	v_add_f64_e32 v[173:174], v[173:174], v[177:178]
	v_fma_f64 v[177:178], v[4:5], v[26:27], v[181:182]
	v_fma_f64 v[179:180], v[2:3], v[26:27], -v[28:29]
	ds_load_b128 v[2:5], v1 offset:1376
	scratch_load_b128 v[26:29], off, off offset:624
	v_fma_f64 v[169:170], v[169:170], v[30:31], v[175:176]
	v_fma_f64 v[167:168], v[167:168], v[30:31], -v[32:33]
	scratch_load_b128 v[30:33], off, off offset:640
	v_add_f64_e32 v[171:172], v[171:172], v[42:43]
	v_add_f64_e32 v[173:174], v[173:174], v[44:45]
	ds_load_b128 v[42:45], v1 offset:1392
	s_wait_loadcnt_dscnt 0xa01
	v_mul_f64_e32 v[181:182], v[2:3], v[36:37]
	v_mul_f64_e32 v[36:37], v[4:5], v[36:37]
	s_wait_loadcnt_dscnt 0x800
	v_mul_f64_e32 v[175:176], v[42:43], v[165:166]
	v_add_f64_e32 v[171:172], v[171:172], v[179:180]
	v_add_f64_e32 v[173:174], v[173:174], v[177:178]
	v_mul_f64_e32 v[177:178], v[44:45], v[165:166]
	v_fma_f64 v[179:180], v[4:5], v[34:35], v[181:182]
	v_fma_f64 v[181:182], v[2:3], v[34:35], -v[36:37]
	ds_load_b128 v[2:5], v1 offset:1408
	scratch_load_b128 v[34:37], off, off offset:656
	v_fma_f64 v[44:45], v[44:45], v[163:164], v[175:176]
	v_add_f64_e32 v[171:172], v[171:172], v[167:168]
	v_add_f64_e32 v[169:170], v[173:174], v[169:170]
	ds_load_b128 v[165:168], v1 offset:1424
	v_fma_f64 v[163:164], v[42:43], v[163:164], -v[177:178]
	s_wait_loadcnt_dscnt 0x801
	v_mul_f64_e32 v[173:174], v[2:3], v[40:41]
	v_mul_f64_e32 v[183:184], v[4:5], v[40:41]
	scratch_load_b128 v[40:43], off, off offset:672
	s_wait_loadcnt_dscnt 0x800
	v_mul_f64_e32 v[177:178], v[165:166], v[8:9]
	v_mul_f64_e32 v[8:9], v[167:168], v[8:9]
	v_add_f64_e32 v[171:172], v[171:172], v[181:182]
	v_add_f64_e32 v[169:170], v[169:170], v[179:180]
	v_fma_f64 v[179:180], v[4:5], v[38:39], v[173:174]
	v_fma_f64 v[38:39], v[2:3], v[38:39], -v[183:184]
	ds_load_b128 v[2:5], v1 offset:1440
	ds_load_b128 v[173:176], v1 offset:1456
	v_fma_f64 v[167:168], v[167:168], v[6:7], v[177:178]
	v_fma_f64 v[165:166], v[165:166], v[6:7], -v[8:9]
	scratch_load_b128 v[6:9], off, off offset:704
	v_add_f64_e32 v[163:164], v[171:172], v[163:164]
	v_add_f64_e32 v[44:45], v[169:170], v[44:45]
	scratch_load_b128 v[169:172], off, off offset:688
	s_wait_loadcnt_dscnt 0x901
	v_mul_f64_e32 v[181:182], v[2:3], v[12:13]
	v_mul_f64_e32 v[12:13], v[4:5], v[12:13]
	s_wait_loadcnt_dscnt 0x800
	v_mul_f64_e32 v[177:178], v[173:174], v[16:17]
	v_mul_f64_e32 v[16:17], v[175:176], v[16:17]
	v_add_f64_e32 v[38:39], v[163:164], v[38:39]
	v_add_f64_e32 v[44:45], v[44:45], v[179:180]
	v_fma_f64 v[179:180], v[4:5], v[10:11], v[181:182]
	v_fma_f64 v[181:182], v[2:3], v[10:11], -v[12:13]
	ds_load_b128 v[2:5], v1 offset:1472
	scratch_load_b128 v[10:13], off, off offset:720
	v_fma_f64 v[175:176], v[175:176], v[14:15], v[177:178]
	v_fma_f64 v[173:174], v[173:174], v[14:15], -v[16:17]
	scratch_load_b128 v[14:17], off, off offset:736
	v_add_f64_e32 v[38:39], v[38:39], v[165:166]
	v_add_f64_e32 v[44:45], v[44:45], v[167:168]
	ds_load_b128 v[163:166], v1 offset:1488
	s_wait_loadcnt_dscnt 0x901
	v_mul_f64_e32 v[167:168], v[2:3], v[20:21]
	v_mul_f64_e32 v[20:21], v[4:5], v[20:21]
	s_wait_loadcnt_dscnt 0x800
	v_mul_f64_e32 v[177:178], v[163:164], v[24:25]
	v_mul_f64_e32 v[24:25], v[165:166], v[24:25]
	v_add_f64_e32 v[38:39], v[38:39], v[181:182]
	v_add_f64_e32 v[44:45], v[44:45], v[179:180]
	v_fma_f64 v[167:168], v[4:5], v[18:19], v[167:168]
	v_fma_f64 v[179:180], v[2:3], v[18:19], -v[20:21]
	ds_load_b128 v[2:5], v1 offset:1504
	scratch_load_b128 v[18:21], off, off offset:752
	v_fma_f64 v[165:166], v[165:166], v[22:23], v[177:178]
	v_fma_f64 v[163:164], v[163:164], v[22:23], -v[24:25]
	scratch_load_b128 v[22:25], off, off offset:768
	v_add_f64_e32 v[38:39], v[38:39], v[173:174]
	v_add_f64_e32 v[44:45], v[44:45], v[175:176]
	ds_load_b128 v[173:176], v1 offset:1520
	s_wait_loadcnt_dscnt 0x901
	v_mul_f64_e32 v[181:182], v[2:3], v[28:29]
	v_mul_f64_e32 v[28:29], v[4:5], v[28:29]
	v_add_f64_e32 v[38:39], v[38:39], v[179:180]
	v_add_f64_e32 v[44:45], v[44:45], v[167:168]
	s_wait_loadcnt_dscnt 0x800
	v_mul_f64_e32 v[167:168], v[173:174], v[32:33]
	v_mul_f64_e32 v[32:33], v[175:176], v[32:33]
	v_fma_f64 v[177:178], v[4:5], v[26:27], v[181:182]
	v_fma_f64 v[179:180], v[2:3], v[26:27], -v[28:29]
	ds_load_b128 v[2:5], v1 offset:1536
	scratch_load_b128 v[26:29], off, off offset:784
	v_add_f64_e32 v[38:39], v[38:39], v[163:164]
	v_add_f64_e32 v[44:45], v[44:45], v[165:166]
	ds_load_b128 v[163:166], v1 offset:1552
	s_wait_loadcnt_dscnt 0x801
	v_mul_f64_e32 v[181:182], v[2:3], v[36:37]
	v_mul_f64_e32 v[36:37], v[4:5], v[36:37]
	v_fma_f64 v[167:168], v[175:176], v[30:31], v[167:168]
	v_fma_f64 v[173:174], v[173:174], v[30:31], -v[32:33]
	scratch_load_b128 v[30:33], off, off offset:800
	s_wait_loadcnt_dscnt 0x800
	v_mul_f64_e32 v[175:176], v[163:164], v[42:43]
	v_add_f64_e32 v[38:39], v[38:39], v[179:180]
	v_add_f64_e32 v[44:45], v[44:45], v[177:178]
	v_mul_f64_e32 v[177:178], v[165:166], v[42:43]
	v_fma_f64 v[179:180], v[4:5], v[34:35], v[181:182]
	v_fma_f64 v[181:182], v[2:3], v[34:35], -v[36:37]
	ds_load_b128 v[2:5], v1 offset:1568
	scratch_load_b128 v[34:37], off, off offset:816
	v_fma_f64 v[165:166], v[165:166], v[40:41], v[175:176]
	v_add_f64_e32 v[38:39], v[38:39], v[173:174]
	v_add_f64_e32 v[167:168], v[44:45], v[167:168]
	ds_load_b128 v[42:45], v1 offset:1584
	v_fma_f64 v[163:164], v[163:164], v[40:41], -v[177:178]
	s_wait_loadcnt_dscnt 0x701
	v_mul_f64_e32 v[173:174], v[2:3], v[171:172]
	v_mul_f64_e32 v[171:172], v[4:5], v[171:172]
	s_wait_dscnt 0x0
	v_mul_f64_e32 v[177:178], v[42:43], v[8:9]
	v_mul_f64_e32 v[8:9], v[44:45], v[8:9]
	v_add_f64_e32 v[175:176], v[38:39], v[181:182]
	v_add_f64_e32 v[167:168], v[167:168], v[179:180]
	scratch_load_b128 v[38:41], off, off offset:832
	v_fma_f64 v[173:174], v[4:5], v[169:170], v[173:174]
	v_fma_f64 v[171:172], v[2:3], v[169:170], -v[171:172]
	ds_load_b128 v[2:5], v1 offset:1600
	v_fma_f64 v[44:45], v[44:45], v[6:7], v[177:178]
	v_fma_f64 v[42:43], v[42:43], v[6:7], -v[8:9]
	scratch_load_b128 v[6:9], off, off offset:864
	v_add_f64_e32 v[175:176], v[175:176], v[163:164]
	v_add_f64_e32 v[179:180], v[167:168], v[165:166]
	scratch_load_b128 v[163:166], off, off offset:848
	ds_load_b128 v[167:170], v1 offset:1616
	s_wait_loadcnt_dscnt 0x901
	v_mul_f64_e32 v[181:182], v[2:3], v[12:13]
	v_mul_f64_e32 v[12:13], v[4:5], v[12:13]
	v_add_f64_e32 v[171:172], v[175:176], v[171:172]
	v_add_f64_e32 v[173:174], v[179:180], v[173:174]
	s_wait_loadcnt_dscnt 0x800
	v_mul_f64_e32 v[175:176], v[167:168], v[16:17]
	v_mul_f64_e32 v[16:17], v[169:170], v[16:17]
	v_fma_f64 v[177:178], v[4:5], v[10:11], v[181:182]
	v_fma_f64 v[179:180], v[2:3], v[10:11], -v[12:13]
	ds_load_b128 v[2:5], v1 offset:1632
	scratch_load_b128 v[10:13], off, off offset:880
	v_add_f64_e32 v[171:172], v[171:172], v[42:43]
	v_add_f64_e32 v[173:174], v[173:174], v[44:45]
	ds_load_b128 v[42:45], v1 offset:1648
	s_wait_loadcnt_dscnt 0x801
	v_mul_f64_e32 v[181:182], v[2:3], v[20:21]
	v_mul_f64_e32 v[20:21], v[4:5], v[20:21]
	v_fma_f64 v[169:170], v[169:170], v[14:15], v[175:176]
	v_fma_f64 v[167:168], v[167:168], v[14:15], -v[16:17]
	scratch_load_b128 v[14:17], off, off offset:896
	s_wait_loadcnt_dscnt 0x800
	v_mul_f64_e32 v[175:176], v[42:43], v[24:25]
	v_mul_f64_e32 v[24:25], v[44:45], v[24:25]
	v_add_f64_e32 v[171:172], v[171:172], v[179:180]
	v_add_f64_e32 v[173:174], v[173:174], v[177:178]
	v_fma_f64 v[177:178], v[4:5], v[18:19], v[181:182]
	v_fma_f64 v[179:180], v[2:3], v[18:19], -v[20:21]
	ds_load_b128 v[2:5], v1 offset:1664
	ds_load_b128 v[18:21], v1 offset:1680
	v_fma_f64 v[44:45], v[44:45], v[22:23], v[175:176]
	v_fma_f64 v[22:23], v[42:43], v[22:23], -v[24:25]
	v_add_f64_e32 v[167:168], v[171:172], v[167:168]
	v_add_f64_e32 v[169:170], v[173:174], v[169:170]
	s_wait_loadcnt_dscnt 0x701
	v_mul_f64_e32 v[171:172], v[2:3], v[28:29]
	v_mul_f64_e32 v[28:29], v[4:5], v[28:29]
	s_delay_alu instid0(VALU_DEP_4) | instskip(NEXT) | instid1(VALU_DEP_4)
	v_add_f64_e32 v[24:25], v[167:168], v[179:180]
	v_add_f64_e32 v[42:43], v[169:170], v[177:178]
	s_wait_loadcnt_dscnt 0x600
	v_mul_f64_e32 v[167:168], v[18:19], v[32:33]
	v_mul_f64_e32 v[32:33], v[20:21], v[32:33]
	v_fma_f64 v[169:170], v[4:5], v[26:27], v[171:172]
	v_fma_f64 v[26:27], v[2:3], v[26:27], -v[28:29]
	v_add_f64_e32 v[28:29], v[24:25], v[22:23]
	v_add_f64_e32 v[42:43], v[42:43], v[44:45]
	ds_load_b128 v[2:5], v1 offset:1696
	ds_load_b128 v[22:25], v1 offset:1712
	v_fma_f64 v[20:21], v[20:21], v[30:31], v[167:168]
	v_fma_f64 v[18:19], v[18:19], v[30:31], -v[32:33]
	s_wait_loadcnt_dscnt 0x501
	v_mul_f64_e32 v[44:45], v[2:3], v[36:37]
	v_mul_f64_e32 v[36:37], v[4:5], v[36:37]
	v_add_f64_e32 v[26:27], v[28:29], v[26:27]
	v_add_f64_e32 v[28:29], v[42:43], v[169:170]
	s_wait_loadcnt_dscnt 0x400
	v_mul_f64_e32 v[30:31], v[22:23], v[40:41]
	v_mul_f64_e32 v[32:33], v[24:25], v[40:41]
	v_fma_f64 v[40:41], v[4:5], v[34:35], v[44:45]
	v_fma_f64 v[34:35], v[2:3], v[34:35], -v[36:37]
	v_add_f64_e32 v[26:27], v[26:27], v[18:19]
	v_add_f64_e32 v[28:29], v[28:29], v[20:21]
	ds_load_b128 v[2:5], v1 offset:1728
	ds_load_b128 v[18:21], v1 offset:1744
	v_fma_f64 v[24:25], v[24:25], v[38:39], v[30:31]
	v_fma_f64 v[22:23], v[22:23], v[38:39], -v[32:33]
	s_wait_loadcnt_dscnt 0x201
	v_mul_f64_e32 v[36:37], v[2:3], v[165:166]
	v_mul_f64_e32 v[42:43], v[4:5], v[165:166]
	s_wait_dscnt 0x0
	v_mul_f64_e32 v[30:31], v[18:19], v[8:9]
	v_mul_f64_e32 v[8:9], v[20:21], v[8:9]
	v_add_f64_e32 v[26:27], v[26:27], v[34:35]
	v_add_f64_e32 v[28:29], v[28:29], v[40:41]
	v_fma_f64 v[32:33], v[4:5], v[163:164], v[36:37]
	v_fma_f64 v[34:35], v[2:3], v[163:164], -v[42:43]
	v_fma_f64 v[20:21], v[20:21], v[6:7], v[30:31]
	v_fma_f64 v[6:7], v[18:19], v[6:7], -v[8:9]
	v_add_f64_e32 v[26:27], v[26:27], v[22:23]
	v_add_f64_e32 v[28:29], v[28:29], v[24:25]
	ds_load_b128 v[2:5], v1 offset:1760
	ds_load_b128 v[22:25], v1 offset:1776
	s_wait_loadcnt_dscnt 0x101
	v_mul_f64_e32 v[36:37], v[2:3], v[12:13]
	v_mul_f64_e32 v[12:13], v[4:5], v[12:13]
	v_add_f64_e32 v[8:9], v[26:27], v[34:35]
	v_add_f64_e32 v[18:19], v[28:29], v[32:33]
	s_wait_loadcnt_dscnt 0x0
	v_mul_f64_e32 v[26:27], v[22:23], v[16:17]
	v_mul_f64_e32 v[16:17], v[24:25], v[16:17]
	v_fma_f64 v[4:5], v[4:5], v[10:11], v[36:37]
	v_fma_f64 v[1:2], v[2:3], v[10:11], -v[12:13]
	v_add_f64_e32 v[6:7], v[8:9], v[6:7]
	v_add_f64_e32 v[8:9], v[18:19], v[20:21]
	v_fma_f64 v[10:11], v[24:25], v[14:15], v[26:27]
	v_fma_f64 v[12:13], v[22:23], v[14:15], -v[16:17]
	s_delay_alu instid0(VALU_DEP_4) | instskip(NEXT) | instid1(VALU_DEP_4)
	v_add_f64_e32 v[1:2], v[6:7], v[1:2]
	v_add_f64_e32 v[3:4], v[8:9], v[4:5]
	s_delay_alu instid0(VALU_DEP_2) | instskip(NEXT) | instid1(VALU_DEP_2)
	v_add_f64_e32 v[1:2], v[1:2], v[12:13]
	v_add_f64_e32 v[3:4], v[3:4], v[10:11]
	s_delay_alu instid0(VALU_DEP_2) | instskip(NEXT) | instid1(VALU_DEP_2)
	v_add_f64_e64 v[1:2], v[159:160], -v[1:2]
	v_add_f64_e64 v[3:4], v[161:162], -v[3:4]
	scratch_store_b128 off, v[1:4], off offset:352
	v_cmpx_lt_u32_e32 20, v0
	s_cbranch_execz .LBB55_309
; %bb.308:
	scratch_load_b128 v[1:4], off, s45
	v_mov_b32_e32 v5, 0
	s_delay_alu instid0(VALU_DEP_1)
	v_dual_mov_b32 v6, v5 :: v_dual_mov_b32 v7, v5
	v_mov_b32_e32 v8, v5
	scratch_store_b128 off, v[5:8], off offset:336
	s_wait_loadcnt 0x0
	ds_store_b128 v158, v[1:4]
.LBB55_309:
	s_wait_alu 0xfffe
	s_or_b32 exec_lo, exec_lo, s0
	s_wait_storecnt_dscnt 0x0
	s_barrier_signal -1
	s_barrier_wait -1
	global_inv scope:SCOPE_SE
	s_clause 0x7
	scratch_load_b128 v[2:5], off, off offset:352
	scratch_load_b128 v[6:9], off, off offset:368
	;; [unrolled: 1-line block ×8, first 2 shown]
	v_mov_b32_e32 v1, 0
	s_mov_b32 s0, exec_lo
	ds_load_b128 v[38:41], v1 offset:1232
	s_clause 0x1
	scratch_load_b128 v[34:37], off, off offset:480
	scratch_load_b128 v[42:45], off, off offset:336
	ds_load_b128 v[159:162], v1 offset:1248
	scratch_load_b128 v[163:166], off, off offset:496
	s_wait_loadcnt_dscnt 0xa01
	v_mul_f64_e32 v[167:168], v[40:41], v[4:5]
	v_mul_f64_e32 v[4:5], v[38:39], v[4:5]
	s_delay_alu instid0(VALU_DEP_2) | instskip(NEXT) | instid1(VALU_DEP_2)
	v_fma_f64 v[173:174], v[38:39], v[2:3], -v[167:168]
	v_fma_f64 v[175:176], v[40:41], v[2:3], v[4:5]
	ds_load_b128 v[2:5], v1 offset:1264
	s_wait_loadcnt_dscnt 0x901
	v_mul_f64_e32 v[171:172], v[159:160], v[8:9]
	v_mul_f64_e32 v[8:9], v[161:162], v[8:9]
	scratch_load_b128 v[38:41], off, off offset:512
	ds_load_b128 v[167:170], v1 offset:1280
	s_wait_loadcnt_dscnt 0x901
	v_mul_f64_e32 v[177:178], v[2:3], v[12:13]
	v_mul_f64_e32 v[12:13], v[4:5], v[12:13]
	v_fma_f64 v[161:162], v[161:162], v[6:7], v[171:172]
	v_fma_f64 v[159:160], v[159:160], v[6:7], -v[8:9]
	v_add_f64_e32 v[171:172], 0, v[173:174]
	v_add_f64_e32 v[173:174], 0, v[175:176]
	scratch_load_b128 v[6:9], off, off offset:528
	v_fma_f64 v[177:178], v[4:5], v[10:11], v[177:178]
	v_fma_f64 v[179:180], v[2:3], v[10:11], -v[12:13]
	ds_load_b128 v[2:5], v1 offset:1296
	s_wait_loadcnt_dscnt 0x901
	v_mul_f64_e32 v[175:176], v[167:168], v[16:17]
	v_mul_f64_e32 v[16:17], v[169:170], v[16:17]
	scratch_load_b128 v[10:13], off, off offset:544
	v_add_f64_e32 v[171:172], v[171:172], v[159:160]
	v_add_f64_e32 v[173:174], v[173:174], v[161:162]
	s_wait_loadcnt_dscnt 0x900
	v_mul_f64_e32 v[181:182], v[2:3], v[20:21]
	v_mul_f64_e32 v[20:21], v[4:5], v[20:21]
	ds_load_b128 v[159:162], v1 offset:1312
	v_fma_f64 v[169:170], v[169:170], v[14:15], v[175:176]
	v_fma_f64 v[167:168], v[167:168], v[14:15], -v[16:17]
	scratch_load_b128 v[14:17], off, off offset:560
	v_add_f64_e32 v[171:172], v[171:172], v[179:180]
	v_add_f64_e32 v[173:174], v[173:174], v[177:178]
	v_fma_f64 v[177:178], v[4:5], v[18:19], v[181:182]
	v_fma_f64 v[179:180], v[2:3], v[18:19], -v[20:21]
	ds_load_b128 v[2:5], v1 offset:1328
	s_wait_loadcnt_dscnt 0x901
	v_mul_f64_e32 v[175:176], v[159:160], v[24:25]
	v_mul_f64_e32 v[24:25], v[161:162], v[24:25]
	scratch_load_b128 v[18:21], off, off offset:576
	s_wait_loadcnt_dscnt 0x900
	v_mul_f64_e32 v[181:182], v[2:3], v[28:29]
	v_mul_f64_e32 v[28:29], v[4:5], v[28:29]
	v_add_f64_e32 v[171:172], v[171:172], v[167:168]
	v_add_f64_e32 v[173:174], v[173:174], v[169:170]
	ds_load_b128 v[167:170], v1 offset:1344
	v_fma_f64 v[161:162], v[161:162], v[22:23], v[175:176]
	v_fma_f64 v[159:160], v[159:160], v[22:23], -v[24:25]
	scratch_load_b128 v[22:25], off, off offset:592
	v_add_f64_e32 v[171:172], v[171:172], v[179:180]
	v_add_f64_e32 v[173:174], v[173:174], v[177:178]
	v_fma_f64 v[177:178], v[4:5], v[26:27], v[181:182]
	v_fma_f64 v[179:180], v[2:3], v[26:27], -v[28:29]
	ds_load_b128 v[2:5], v1 offset:1360
	s_wait_loadcnt_dscnt 0x901
	v_mul_f64_e32 v[175:176], v[167:168], v[32:33]
	v_mul_f64_e32 v[32:33], v[169:170], v[32:33]
	scratch_load_b128 v[26:29], off, off offset:608
	s_wait_loadcnt_dscnt 0x900
	v_mul_f64_e32 v[181:182], v[2:3], v[36:37]
	v_mul_f64_e32 v[36:37], v[4:5], v[36:37]
	v_add_f64_e32 v[171:172], v[171:172], v[159:160]
	v_add_f64_e32 v[173:174], v[173:174], v[161:162]
	ds_load_b128 v[159:162], v1 offset:1376
	v_fma_f64 v[169:170], v[169:170], v[30:31], v[175:176]
	v_fma_f64 v[167:168], v[167:168], v[30:31], -v[32:33]
	scratch_load_b128 v[30:33], off, off offset:624
	v_add_f64_e32 v[171:172], v[171:172], v[179:180]
	v_add_f64_e32 v[173:174], v[173:174], v[177:178]
	v_fma_f64 v[179:180], v[4:5], v[34:35], v[181:182]
	v_fma_f64 v[181:182], v[2:3], v[34:35], -v[36:37]
	ds_load_b128 v[2:5], v1 offset:1392
	s_wait_loadcnt_dscnt 0x801
	v_mul_f64_e32 v[175:176], v[159:160], v[165:166]
	v_mul_f64_e32 v[177:178], v[161:162], v[165:166]
	scratch_load_b128 v[34:37], off, off offset:640
	v_add_f64_e32 v[171:172], v[171:172], v[167:168]
	v_add_f64_e32 v[169:170], v[173:174], v[169:170]
	ds_load_b128 v[165:168], v1 offset:1408
	v_fma_f64 v[175:176], v[161:162], v[163:164], v[175:176]
	v_fma_f64 v[163:164], v[159:160], v[163:164], -v[177:178]
	scratch_load_b128 v[159:162], off, off offset:656
	s_wait_loadcnt_dscnt 0x901
	v_mul_f64_e32 v[173:174], v[2:3], v[40:41]
	v_mul_f64_e32 v[40:41], v[4:5], v[40:41]
	v_add_f64_e32 v[171:172], v[171:172], v[181:182]
	v_add_f64_e32 v[169:170], v[169:170], v[179:180]
	s_delay_alu instid0(VALU_DEP_4) | instskip(NEXT) | instid1(VALU_DEP_4)
	v_fma_f64 v[173:174], v[4:5], v[38:39], v[173:174]
	v_fma_f64 v[179:180], v[2:3], v[38:39], -v[40:41]
	ds_load_b128 v[2:5], v1 offset:1424
	s_wait_loadcnt_dscnt 0x801
	v_mul_f64_e32 v[177:178], v[165:166], v[8:9]
	v_mul_f64_e32 v[8:9], v[167:168], v[8:9]
	scratch_load_b128 v[38:41], off, off offset:672
	s_wait_loadcnt_dscnt 0x800
	v_mul_f64_e32 v[181:182], v[2:3], v[12:13]
	v_add_f64_e32 v[163:164], v[171:172], v[163:164]
	v_add_f64_e32 v[175:176], v[169:170], v[175:176]
	v_mul_f64_e32 v[12:13], v[4:5], v[12:13]
	ds_load_b128 v[169:172], v1 offset:1440
	v_fma_f64 v[167:168], v[167:168], v[6:7], v[177:178]
	v_fma_f64 v[165:166], v[165:166], v[6:7], -v[8:9]
	scratch_load_b128 v[6:9], off, off offset:688
	v_fma_f64 v[177:178], v[4:5], v[10:11], v[181:182]
	v_add_f64_e32 v[163:164], v[163:164], v[179:180]
	v_add_f64_e32 v[173:174], v[175:176], v[173:174]
	v_fma_f64 v[179:180], v[2:3], v[10:11], -v[12:13]
	ds_load_b128 v[2:5], v1 offset:1456
	s_wait_loadcnt_dscnt 0x801
	v_mul_f64_e32 v[175:176], v[169:170], v[16:17]
	v_mul_f64_e32 v[16:17], v[171:172], v[16:17]
	scratch_load_b128 v[10:13], off, off offset:704
	v_add_f64_e32 v[181:182], v[163:164], v[165:166]
	v_add_f64_e32 v[167:168], v[173:174], v[167:168]
	s_wait_loadcnt_dscnt 0x800
	v_mul_f64_e32 v[173:174], v[2:3], v[20:21]
	v_mul_f64_e32 v[20:21], v[4:5], v[20:21]
	v_fma_f64 v[171:172], v[171:172], v[14:15], v[175:176]
	v_fma_f64 v[169:170], v[169:170], v[14:15], -v[16:17]
	ds_load_b128 v[163:166], v1 offset:1472
	scratch_load_b128 v[14:17], off, off offset:720
	v_add_f64_e32 v[175:176], v[181:182], v[179:180]
	v_add_f64_e32 v[167:168], v[167:168], v[177:178]
	v_fma_f64 v[173:174], v[4:5], v[18:19], v[173:174]
	v_fma_f64 v[179:180], v[2:3], v[18:19], -v[20:21]
	ds_load_b128 v[2:5], v1 offset:1488
	s_wait_loadcnt_dscnt 0x801
	v_mul_f64_e32 v[177:178], v[163:164], v[24:25]
	v_mul_f64_e32 v[24:25], v[165:166], v[24:25]
	scratch_load_b128 v[18:21], off, off offset:736
	s_wait_loadcnt_dscnt 0x800
	v_mul_f64_e32 v[181:182], v[2:3], v[28:29]
	v_mul_f64_e32 v[28:29], v[4:5], v[28:29]
	v_add_f64_e32 v[175:176], v[175:176], v[169:170]
	v_add_f64_e32 v[171:172], v[167:168], v[171:172]
	ds_load_b128 v[167:170], v1 offset:1504
	v_fma_f64 v[165:166], v[165:166], v[22:23], v[177:178]
	v_fma_f64 v[163:164], v[163:164], v[22:23], -v[24:25]
	scratch_load_b128 v[22:25], off, off offset:752
	v_fma_f64 v[177:178], v[4:5], v[26:27], v[181:182]
	v_add_f64_e32 v[175:176], v[175:176], v[179:180]
	v_add_f64_e32 v[171:172], v[171:172], v[173:174]
	v_fma_f64 v[179:180], v[2:3], v[26:27], -v[28:29]
	ds_load_b128 v[2:5], v1 offset:1520
	s_wait_loadcnt_dscnt 0x801
	v_mul_f64_e32 v[173:174], v[167:168], v[32:33]
	v_mul_f64_e32 v[32:33], v[169:170], v[32:33]
	scratch_load_b128 v[26:29], off, off offset:768
	s_wait_loadcnt_dscnt 0x800
	v_mul_f64_e32 v[181:182], v[2:3], v[36:37]
	v_mul_f64_e32 v[36:37], v[4:5], v[36:37]
	v_add_f64_e32 v[175:176], v[175:176], v[163:164]
	v_add_f64_e32 v[171:172], v[171:172], v[165:166]
	ds_load_b128 v[163:166], v1 offset:1536
	v_fma_f64 v[169:170], v[169:170], v[30:31], v[173:174]
	v_fma_f64 v[167:168], v[167:168], v[30:31], -v[32:33]
	scratch_load_b128 v[30:33], off, off offset:784
	v_add_f64_e32 v[173:174], v[175:176], v[179:180]
	v_add_f64_e32 v[171:172], v[171:172], v[177:178]
	v_fma_f64 v[177:178], v[4:5], v[34:35], v[181:182]
	v_fma_f64 v[179:180], v[2:3], v[34:35], -v[36:37]
	ds_load_b128 v[2:5], v1 offset:1552
	s_wait_loadcnt_dscnt 0x801
	v_mul_f64_e32 v[175:176], v[163:164], v[161:162]
	v_mul_f64_e32 v[161:162], v[165:166], v[161:162]
	scratch_load_b128 v[34:37], off, off offset:800
	s_wait_loadcnt_dscnt 0x800
	v_mul_f64_e32 v[181:182], v[2:3], v[40:41]
	v_mul_f64_e32 v[40:41], v[4:5], v[40:41]
	v_add_f64_e32 v[173:174], v[173:174], v[167:168]
	v_add_f64_e32 v[171:172], v[171:172], v[169:170]
	ds_load_b128 v[167:170], v1 offset:1568
	v_fma_f64 v[165:166], v[165:166], v[159:160], v[175:176]
	v_fma_f64 v[163:164], v[163:164], v[159:160], -v[161:162]
	scratch_load_b128 v[159:162], off, off offset:816
	v_add_f64_e32 v[173:174], v[173:174], v[179:180]
	v_add_f64_e32 v[171:172], v[171:172], v[177:178]
	v_fma_f64 v[177:178], v[4:5], v[38:39], v[181:182]
	;; [unrolled: 18-line block ×4, first 2 shown]
	v_fma_f64 v[179:180], v[2:3], v[18:19], -v[20:21]
	ds_load_b128 v[2:5], v1 offset:1648
	s_wait_loadcnt_dscnt 0x801
	v_mul_f64_e32 v[175:176], v[167:168], v[24:25]
	v_mul_f64_e32 v[24:25], v[169:170], v[24:25]
	scratch_load_b128 v[18:21], off, off offset:896
	s_wait_loadcnt_dscnt 0x800
	v_mul_f64_e32 v[181:182], v[2:3], v[28:29]
	v_mul_f64_e32 v[28:29], v[4:5], v[28:29]
	v_add_f64_e32 v[173:174], v[173:174], v[163:164]
	v_add_f64_e32 v[171:172], v[171:172], v[165:166]
	ds_load_b128 v[163:166], v1 offset:1664
	v_fma_f64 v[169:170], v[169:170], v[22:23], v[175:176]
	v_fma_f64 v[22:23], v[167:168], v[22:23], -v[24:25]
	v_add_f64_e32 v[24:25], v[173:174], v[179:180]
	v_add_f64_e32 v[167:168], v[171:172], v[177:178]
	s_wait_loadcnt_dscnt 0x700
	v_mul_f64_e32 v[171:172], v[163:164], v[32:33]
	v_mul_f64_e32 v[32:33], v[165:166], v[32:33]
	v_fma_f64 v[173:174], v[4:5], v[26:27], v[181:182]
	v_fma_f64 v[26:27], v[2:3], v[26:27], -v[28:29]
	v_add_f64_e32 v[28:29], v[24:25], v[22:23]
	v_add_f64_e32 v[167:168], v[167:168], v[169:170]
	ds_load_b128 v[2:5], v1 offset:1680
	ds_load_b128 v[22:25], v1 offset:1696
	v_fma_f64 v[165:166], v[165:166], v[30:31], v[171:172]
	v_fma_f64 v[30:31], v[163:164], v[30:31], -v[32:33]
	s_wait_loadcnt_dscnt 0x601
	v_mul_f64_e32 v[169:170], v[2:3], v[36:37]
	v_mul_f64_e32 v[36:37], v[4:5], v[36:37]
	s_wait_loadcnt_dscnt 0x500
	v_mul_f64_e32 v[32:33], v[22:23], v[161:162]
	v_mul_f64_e32 v[161:162], v[24:25], v[161:162]
	v_add_f64_e32 v[26:27], v[28:29], v[26:27]
	v_add_f64_e32 v[28:29], v[167:168], v[173:174]
	v_fma_f64 v[163:164], v[4:5], v[34:35], v[169:170]
	v_fma_f64 v[34:35], v[2:3], v[34:35], -v[36:37]
	v_fma_f64 v[24:25], v[24:25], v[159:160], v[32:33]
	v_fma_f64 v[22:23], v[22:23], v[159:160], -v[161:162]
	v_add_f64_e32 v[30:31], v[26:27], v[30:31]
	v_add_f64_e32 v[36:37], v[28:29], v[165:166]
	ds_load_b128 v[2:5], v1 offset:1712
	ds_load_b128 v[26:29], v1 offset:1728
	s_wait_loadcnt_dscnt 0x401
	v_mul_f64_e32 v[165:166], v[2:3], v[40:41]
	v_mul_f64_e32 v[40:41], v[4:5], v[40:41]
	v_add_f64_e32 v[30:31], v[30:31], v[34:35]
	v_add_f64_e32 v[32:33], v[36:37], v[163:164]
	s_wait_loadcnt_dscnt 0x300
	v_mul_f64_e32 v[34:35], v[26:27], v[8:9]
	v_mul_f64_e32 v[8:9], v[28:29], v[8:9]
	v_fma_f64 v[36:37], v[4:5], v[38:39], v[165:166]
	v_fma_f64 v[38:39], v[2:3], v[38:39], -v[40:41]
	v_add_f64_e32 v[30:31], v[30:31], v[22:23]
	v_add_f64_e32 v[32:33], v[32:33], v[24:25]
	ds_load_b128 v[2:5], v1 offset:1744
	ds_load_b128 v[22:25], v1 offset:1760
	v_fma_f64 v[28:29], v[28:29], v[6:7], v[34:35]
	v_fma_f64 v[6:7], v[26:27], v[6:7], -v[8:9]
	s_wait_loadcnt_dscnt 0x201
	v_mul_f64_e32 v[40:41], v[2:3], v[12:13]
	v_mul_f64_e32 v[12:13], v[4:5], v[12:13]
	v_add_f64_e32 v[8:9], v[30:31], v[38:39]
	v_add_f64_e32 v[26:27], v[32:33], v[36:37]
	s_wait_loadcnt_dscnt 0x100
	v_mul_f64_e32 v[30:31], v[22:23], v[16:17]
	v_mul_f64_e32 v[16:17], v[24:25], v[16:17]
	v_fma_f64 v[32:33], v[4:5], v[10:11], v[40:41]
	v_fma_f64 v[10:11], v[2:3], v[10:11], -v[12:13]
	ds_load_b128 v[2:5], v1 offset:1776
	v_add_f64_e32 v[6:7], v[8:9], v[6:7]
	v_add_f64_e32 v[8:9], v[26:27], v[28:29]
	v_fma_f64 v[24:25], v[24:25], v[14:15], v[30:31]
	v_fma_f64 v[14:15], v[22:23], v[14:15], -v[16:17]
	s_wait_loadcnt_dscnt 0x0
	v_mul_f64_e32 v[12:13], v[2:3], v[20:21]
	v_mul_f64_e32 v[20:21], v[4:5], v[20:21]
	v_add_f64_e32 v[6:7], v[6:7], v[10:11]
	v_add_f64_e32 v[8:9], v[8:9], v[32:33]
	s_delay_alu instid0(VALU_DEP_4) | instskip(NEXT) | instid1(VALU_DEP_4)
	v_fma_f64 v[4:5], v[4:5], v[18:19], v[12:13]
	v_fma_f64 v[2:3], v[2:3], v[18:19], -v[20:21]
	s_delay_alu instid0(VALU_DEP_4) | instskip(NEXT) | instid1(VALU_DEP_4)
	v_add_f64_e32 v[6:7], v[6:7], v[14:15]
	v_add_f64_e32 v[8:9], v[8:9], v[24:25]
	s_delay_alu instid0(VALU_DEP_2) | instskip(NEXT) | instid1(VALU_DEP_2)
	v_add_f64_e32 v[2:3], v[6:7], v[2:3]
	v_add_f64_e32 v[4:5], v[8:9], v[4:5]
	s_delay_alu instid0(VALU_DEP_2) | instskip(NEXT) | instid1(VALU_DEP_2)
	v_add_f64_e64 v[2:3], v[42:43], -v[2:3]
	v_add_f64_e64 v[4:5], v[44:45], -v[4:5]
	scratch_store_b128 off, v[2:5], off offset:336
	v_cmpx_lt_u32_e32 19, v0
	s_cbranch_execz .LBB55_311
; %bb.310:
	scratch_load_b128 v[5:8], off, s44
	v_dual_mov_b32 v2, v1 :: v_dual_mov_b32 v3, v1
	v_mov_b32_e32 v4, v1
	scratch_store_b128 off, v[1:4], off offset:320
	s_wait_loadcnt 0x0
	ds_store_b128 v158, v[5:8]
.LBB55_311:
	s_wait_alu 0xfffe
	s_or_b32 exec_lo, exec_lo, s0
	s_wait_storecnt_dscnt 0x0
	s_barrier_signal -1
	s_barrier_wait -1
	global_inv scope:SCOPE_SE
	s_clause 0x8
	scratch_load_b128 v[2:5], off, off offset:336
	scratch_load_b128 v[6:9], off, off offset:352
	;; [unrolled: 1-line block ×9, first 2 shown]
	ds_load_b128 v[38:41], v1 offset:1216
	ds_load_b128 v[42:45], v1 offset:1232
	s_clause 0x1
	scratch_load_b128 v[159:162], off, off offset:320
	scratch_load_b128 v[163:166], off, off offset:480
	s_mov_b32 s0, exec_lo
	s_wait_loadcnt_dscnt 0xa01
	v_mul_f64_e32 v[167:168], v[40:41], v[4:5]
	v_mul_f64_e32 v[4:5], v[38:39], v[4:5]
	s_wait_loadcnt_dscnt 0x900
	v_mul_f64_e32 v[171:172], v[42:43], v[8:9]
	v_mul_f64_e32 v[8:9], v[44:45], v[8:9]
	s_delay_alu instid0(VALU_DEP_4) | instskip(NEXT) | instid1(VALU_DEP_4)
	v_fma_f64 v[173:174], v[38:39], v[2:3], -v[167:168]
	v_fma_f64 v[175:176], v[40:41], v[2:3], v[4:5]
	ds_load_b128 v[2:5], v1 offset:1248
	ds_load_b128 v[167:170], v1 offset:1264
	scratch_load_b128 v[38:41], off, off offset:496
	v_fma_f64 v[44:45], v[44:45], v[6:7], v[171:172]
	v_fma_f64 v[42:43], v[42:43], v[6:7], -v[8:9]
	scratch_load_b128 v[6:9], off, off offset:512
	s_wait_loadcnt_dscnt 0xa01
	v_mul_f64_e32 v[177:178], v[2:3], v[12:13]
	v_mul_f64_e32 v[12:13], v[4:5], v[12:13]
	v_add_f64_e32 v[171:172], 0, v[173:174]
	v_add_f64_e32 v[173:174], 0, v[175:176]
	s_wait_loadcnt_dscnt 0x900
	v_mul_f64_e32 v[175:176], v[167:168], v[16:17]
	v_mul_f64_e32 v[16:17], v[169:170], v[16:17]
	v_fma_f64 v[177:178], v[4:5], v[10:11], v[177:178]
	v_fma_f64 v[179:180], v[2:3], v[10:11], -v[12:13]
	ds_load_b128 v[2:5], v1 offset:1280
	scratch_load_b128 v[10:13], off, off offset:528
	v_add_f64_e32 v[171:172], v[171:172], v[42:43]
	v_add_f64_e32 v[173:174], v[173:174], v[44:45]
	ds_load_b128 v[42:45], v1 offset:1296
	v_fma_f64 v[169:170], v[169:170], v[14:15], v[175:176]
	v_fma_f64 v[167:168], v[167:168], v[14:15], -v[16:17]
	scratch_load_b128 v[14:17], off, off offset:544
	s_wait_loadcnt_dscnt 0xa01
	v_mul_f64_e32 v[181:182], v[2:3], v[20:21]
	v_mul_f64_e32 v[20:21], v[4:5], v[20:21]
	s_wait_loadcnt_dscnt 0x900
	v_mul_f64_e32 v[175:176], v[42:43], v[24:25]
	v_mul_f64_e32 v[24:25], v[44:45], v[24:25]
	v_add_f64_e32 v[171:172], v[171:172], v[179:180]
	v_add_f64_e32 v[173:174], v[173:174], v[177:178]
	v_fma_f64 v[177:178], v[4:5], v[18:19], v[181:182]
	v_fma_f64 v[179:180], v[2:3], v[18:19], -v[20:21]
	ds_load_b128 v[2:5], v1 offset:1312
	scratch_load_b128 v[18:21], off, off offset:560
	v_fma_f64 v[44:45], v[44:45], v[22:23], v[175:176]
	v_fma_f64 v[42:43], v[42:43], v[22:23], -v[24:25]
	scratch_load_b128 v[22:25], off, off offset:576
	v_add_f64_e32 v[171:172], v[171:172], v[167:168]
	v_add_f64_e32 v[173:174], v[173:174], v[169:170]
	ds_load_b128 v[167:170], v1 offset:1328
	s_wait_loadcnt_dscnt 0xa01
	v_mul_f64_e32 v[181:182], v[2:3], v[28:29]
	v_mul_f64_e32 v[28:29], v[4:5], v[28:29]
	s_wait_loadcnt_dscnt 0x900
	v_mul_f64_e32 v[175:176], v[167:168], v[32:33]
	v_mul_f64_e32 v[32:33], v[169:170], v[32:33]
	v_add_f64_e32 v[171:172], v[171:172], v[179:180]
	v_add_f64_e32 v[173:174], v[173:174], v[177:178]
	v_fma_f64 v[177:178], v[4:5], v[26:27], v[181:182]
	v_fma_f64 v[179:180], v[2:3], v[26:27], -v[28:29]
	ds_load_b128 v[2:5], v1 offset:1344
	scratch_load_b128 v[26:29], off, off offset:592
	v_fma_f64 v[169:170], v[169:170], v[30:31], v[175:176]
	v_fma_f64 v[167:168], v[167:168], v[30:31], -v[32:33]
	scratch_load_b128 v[30:33], off, off offset:608
	v_add_f64_e32 v[171:172], v[171:172], v[42:43]
	v_add_f64_e32 v[173:174], v[173:174], v[44:45]
	ds_load_b128 v[42:45], v1 offset:1360
	s_wait_loadcnt_dscnt 0xa01
	v_mul_f64_e32 v[181:182], v[2:3], v[36:37]
	v_mul_f64_e32 v[36:37], v[4:5], v[36:37]
	s_wait_loadcnt_dscnt 0x800
	v_mul_f64_e32 v[175:176], v[42:43], v[165:166]
	v_add_f64_e32 v[171:172], v[171:172], v[179:180]
	v_add_f64_e32 v[173:174], v[173:174], v[177:178]
	v_mul_f64_e32 v[177:178], v[44:45], v[165:166]
	v_fma_f64 v[179:180], v[4:5], v[34:35], v[181:182]
	v_fma_f64 v[181:182], v[2:3], v[34:35], -v[36:37]
	ds_load_b128 v[2:5], v1 offset:1376
	scratch_load_b128 v[34:37], off, off offset:624
	v_fma_f64 v[44:45], v[44:45], v[163:164], v[175:176]
	v_add_f64_e32 v[171:172], v[171:172], v[167:168]
	v_add_f64_e32 v[169:170], v[173:174], v[169:170]
	ds_load_b128 v[165:168], v1 offset:1392
	v_fma_f64 v[163:164], v[42:43], v[163:164], -v[177:178]
	s_wait_loadcnt_dscnt 0x801
	v_mul_f64_e32 v[173:174], v[2:3], v[40:41]
	v_mul_f64_e32 v[183:184], v[4:5], v[40:41]
	scratch_load_b128 v[40:43], off, off offset:640
	s_wait_loadcnt_dscnt 0x800
	v_mul_f64_e32 v[177:178], v[165:166], v[8:9]
	v_mul_f64_e32 v[8:9], v[167:168], v[8:9]
	v_add_f64_e32 v[171:172], v[171:172], v[181:182]
	v_add_f64_e32 v[169:170], v[169:170], v[179:180]
	v_fma_f64 v[179:180], v[4:5], v[38:39], v[173:174]
	v_fma_f64 v[38:39], v[2:3], v[38:39], -v[183:184]
	ds_load_b128 v[2:5], v1 offset:1408
	ds_load_b128 v[173:176], v1 offset:1424
	v_fma_f64 v[167:168], v[167:168], v[6:7], v[177:178]
	v_fma_f64 v[165:166], v[165:166], v[6:7], -v[8:9]
	scratch_load_b128 v[6:9], off, off offset:672
	v_add_f64_e32 v[163:164], v[171:172], v[163:164]
	v_add_f64_e32 v[44:45], v[169:170], v[44:45]
	scratch_load_b128 v[169:172], off, off offset:656
	s_wait_loadcnt_dscnt 0x901
	v_mul_f64_e32 v[181:182], v[2:3], v[12:13]
	v_mul_f64_e32 v[12:13], v[4:5], v[12:13]
	s_wait_loadcnt_dscnt 0x800
	v_mul_f64_e32 v[177:178], v[173:174], v[16:17]
	v_mul_f64_e32 v[16:17], v[175:176], v[16:17]
	v_add_f64_e32 v[38:39], v[163:164], v[38:39]
	v_add_f64_e32 v[44:45], v[44:45], v[179:180]
	v_fma_f64 v[179:180], v[4:5], v[10:11], v[181:182]
	v_fma_f64 v[181:182], v[2:3], v[10:11], -v[12:13]
	ds_load_b128 v[2:5], v1 offset:1440
	scratch_load_b128 v[10:13], off, off offset:688
	v_fma_f64 v[175:176], v[175:176], v[14:15], v[177:178]
	v_fma_f64 v[173:174], v[173:174], v[14:15], -v[16:17]
	scratch_load_b128 v[14:17], off, off offset:704
	v_add_f64_e32 v[38:39], v[38:39], v[165:166]
	v_add_f64_e32 v[44:45], v[44:45], v[167:168]
	ds_load_b128 v[163:166], v1 offset:1456
	s_wait_loadcnt_dscnt 0x901
	v_mul_f64_e32 v[167:168], v[2:3], v[20:21]
	v_mul_f64_e32 v[20:21], v[4:5], v[20:21]
	s_wait_loadcnt_dscnt 0x800
	v_mul_f64_e32 v[177:178], v[163:164], v[24:25]
	v_mul_f64_e32 v[24:25], v[165:166], v[24:25]
	v_add_f64_e32 v[38:39], v[38:39], v[181:182]
	v_add_f64_e32 v[44:45], v[44:45], v[179:180]
	v_fma_f64 v[167:168], v[4:5], v[18:19], v[167:168]
	v_fma_f64 v[179:180], v[2:3], v[18:19], -v[20:21]
	ds_load_b128 v[2:5], v1 offset:1472
	scratch_load_b128 v[18:21], off, off offset:720
	v_fma_f64 v[165:166], v[165:166], v[22:23], v[177:178]
	v_fma_f64 v[163:164], v[163:164], v[22:23], -v[24:25]
	scratch_load_b128 v[22:25], off, off offset:736
	v_add_f64_e32 v[38:39], v[38:39], v[173:174]
	v_add_f64_e32 v[44:45], v[44:45], v[175:176]
	ds_load_b128 v[173:176], v1 offset:1488
	s_wait_loadcnt_dscnt 0x901
	v_mul_f64_e32 v[181:182], v[2:3], v[28:29]
	v_mul_f64_e32 v[28:29], v[4:5], v[28:29]
	v_add_f64_e32 v[38:39], v[38:39], v[179:180]
	v_add_f64_e32 v[44:45], v[44:45], v[167:168]
	s_wait_loadcnt_dscnt 0x800
	v_mul_f64_e32 v[167:168], v[173:174], v[32:33]
	v_mul_f64_e32 v[32:33], v[175:176], v[32:33]
	v_fma_f64 v[177:178], v[4:5], v[26:27], v[181:182]
	v_fma_f64 v[179:180], v[2:3], v[26:27], -v[28:29]
	ds_load_b128 v[2:5], v1 offset:1504
	scratch_load_b128 v[26:29], off, off offset:752
	v_add_f64_e32 v[38:39], v[38:39], v[163:164]
	v_add_f64_e32 v[44:45], v[44:45], v[165:166]
	ds_load_b128 v[163:166], v1 offset:1520
	s_wait_loadcnt_dscnt 0x801
	v_mul_f64_e32 v[181:182], v[2:3], v[36:37]
	v_mul_f64_e32 v[36:37], v[4:5], v[36:37]
	v_fma_f64 v[167:168], v[175:176], v[30:31], v[167:168]
	v_fma_f64 v[173:174], v[173:174], v[30:31], -v[32:33]
	scratch_load_b128 v[30:33], off, off offset:768
	s_wait_loadcnt_dscnt 0x800
	v_mul_f64_e32 v[175:176], v[163:164], v[42:43]
	v_add_f64_e32 v[38:39], v[38:39], v[179:180]
	v_add_f64_e32 v[44:45], v[44:45], v[177:178]
	v_mul_f64_e32 v[177:178], v[165:166], v[42:43]
	v_fma_f64 v[179:180], v[4:5], v[34:35], v[181:182]
	v_fma_f64 v[181:182], v[2:3], v[34:35], -v[36:37]
	ds_load_b128 v[2:5], v1 offset:1536
	scratch_load_b128 v[34:37], off, off offset:784
	v_fma_f64 v[165:166], v[165:166], v[40:41], v[175:176]
	v_add_f64_e32 v[38:39], v[38:39], v[173:174]
	v_add_f64_e32 v[167:168], v[44:45], v[167:168]
	ds_load_b128 v[42:45], v1 offset:1552
	v_fma_f64 v[163:164], v[163:164], v[40:41], -v[177:178]
	s_wait_loadcnt_dscnt 0x701
	v_mul_f64_e32 v[173:174], v[2:3], v[171:172]
	v_mul_f64_e32 v[171:172], v[4:5], v[171:172]
	s_wait_dscnt 0x0
	v_mul_f64_e32 v[177:178], v[42:43], v[8:9]
	v_mul_f64_e32 v[8:9], v[44:45], v[8:9]
	v_add_f64_e32 v[175:176], v[38:39], v[181:182]
	v_add_f64_e32 v[167:168], v[167:168], v[179:180]
	scratch_load_b128 v[38:41], off, off offset:800
	v_fma_f64 v[173:174], v[4:5], v[169:170], v[173:174]
	v_fma_f64 v[171:172], v[2:3], v[169:170], -v[171:172]
	ds_load_b128 v[2:5], v1 offset:1568
	v_fma_f64 v[44:45], v[44:45], v[6:7], v[177:178]
	v_fma_f64 v[42:43], v[42:43], v[6:7], -v[8:9]
	scratch_load_b128 v[6:9], off, off offset:832
	v_add_f64_e32 v[175:176], v[175:176], v[163:164]
	v_add_f64_e32 v[179:180], v[167:168], v[165:166]
	scratch_load_b128 v[163:166], off, off offset:816
	ds_load_b128 v[167:170], v1 offset:1584
	s_wait_loadcnt_dscnt 0x901
	v_mul_f64_e32 v[181:182], v[2:3], v[12:13]
	v_mul_f64_e32 v[12:13], v[4:5], v[12:13]
	v_add_f64_e32 v[171:172], v[175:176], v[171:172]
	v_add_f64_e32 v[173:174], v[179:180], v[173:174]
	s_wait_loadcnt_dscnt 0x800
	v_mul_f64_e32 v[175:176], v[167:168], v[16:17]
	v_mul_f64_e32 v[16:17], v[169:170], v[16:17]
	v_fma_f64 v[177:178], v[4:5], v[10:11], v[181:182]
	v_fma_f64 v[179:180], v[2:3], v[10:11], -v[12:13]
	ds_load_b128 v[2:5], v1 offset:1600
	scratch_load_b128 v[10:13], off, off offset:848
	v_add_f64_e32 v[171:172], v[171:172], v[42:43]
	v_add_f64_e32 v[173:174], v[173:174], v[44:45]
	ds_load_b128 v[42:45], v1 offset:1616
	s_wait_loadcnt_dscnt 0x801
	v_mul_f64_e32 v[181:182], v[2:3], v[20:21]
	v_mul_f64_e32 v[20:21], v[4:5], v[20:21]
	v_fma_f64 v[169:170], v[169:170], v[14:15], v[175:176]
	v_fma_f64 v[167:168], v[167:168], v[14:15], -v[16:17]
	scratch_load_b128 v[14:17], off, off offset:864
	s_wait_loadcnt_dscnt 0x800
	v_mul_f64_e32 v[175:176], v[42:43], v[24:25]
	v_mul_f64_e32 v[24:25], v[44:45], v[24:25]
	v_add_f64_e32 v[171:172], v[171:172], v[179:180]
	v_add_f64_e32 v[173:174], v[173:174], v[177:178]
	v_fma_f64 v[177:178], v[4:5], v[18:19], v[181:182]
	v_fma_f64 v[179:180], v[2:3], v[18:19], -v[20:21]
	ds_load_b128 v[2:5], v1 offset:1632
	scratch_load_b128 v[18:21], off, off offset:880
	v_fma_f64 v[44:45], v[44:45], v[22:23], v[175:176]
	v_fma_f64 v[42:43], v[42:43], v[22:23], -v[24:25]
	scratch_load_b128 v[22:25], off, off offset:896
	v_add_f64_e32 v[171:172], v[171:172], v[167:168]
	v_add_f64_e32 v[173:174], v[173:174], v[169:170]
	ds_load_b128 v[167:170], v1 offset:1648
	s_wait_loadcnt_dscnt 0x901
	v_mul_f64_e32 v[181:182], v[2:3], v[28:29]
	v_mul_f64_e32 v[28:29], v[4:5], v[28:29]
	s_wait_loadcnt_dscnt 0x800
	v_mul_f64_e32 v[175:176], v[167:168], v[32:33]
	v_mul_f64_e32 v[32:33], v[169:170], v[32:33]
	v_add_f64_e32 v[171:172], v[171:172], v[179:180]
	v_add_f64_e32 v[173:174], v[173:174], v[177:178]
	v_fma_f64 v[177:178], v[4:5], v[26:27], v[181:182]
	v_fma_f64 v[179:180], v[2:3], v[26:27], -v[28:29]
	ds_load_b128 v[2:5], v1 offset:1664
	ds_load_b128 v[26:29], v1 offset:1680
	v_fma_f64 v[169:170], v[169:170], v[30:31], v[175:176]
	v_fma_f64 v[30:31], v[167:168], v[30:31], -v[32:33]
	v_add_f64_e32 v[42:43], v[171:172], v[42:43]
	v_add_f64_e32 v[44:45], v[173:174], v[44:45]
	s_wait_loadcnt_dscnt 0x701
	v_mul_f64_e32 v[171:172], v[2:3], v[36:37]
	v_mul_f64_e32 v[36:37], v[4:5], v[36:37]
	s_delay_alu instid0(VALU_DEP_4) | instskip(NEXT) | instid1(VALU_DEP_4)
	v_add_f64_e32 v[32:33], v[42:43], v[179:180]
	v_add_f64_e32 v[42:43], v[44:45], v[177:178]
	s_delay_alu instid0(VALU_DEP_4) | instskip(NEXT) | instid1(VALU_DEP_4)
	v_fma_f64 v[167:168], v[4:5], v[34:35], v[171:172]
	v_fma_f64 v[34:35], v[2:3], v[34:35], -v[36:37]
	s_wait_loadcnt_dscnt 0x600
	v_mul_f64_e32 v[44:45], v[26:27], v[40:41]
	v_mul_f64_e32 v[40:41], v[28:29], v[40:41]
	v_add_f64_e32 v[36:37], v[32:33], v[30:31]
	v_add_f64_e32 v[42:43], v[42:43], v[169:170]
	ds_load_b128 v[2:5], v1 offset:1696
	ds_load_b128 v[30:33], v1 offset:1712
	v_fma_f64 v[28:29], v[28:29], v[38:39], v[44:45]
	v_fma_f64 v[26:27], v[26:27], v[38:39], -v[40:41]
	s_wait_loadcnt_dscnt 0x401
	v_mul_f64_e32 v[169:170], v[2:3], v[165:166]
	v_mul_f64_e32 v[165:166], v[4:5], v[165:166]
	s_wait_dscnt 0x0
	v_mul_f64_e32 v[38:39], v[30:31], v[8:9]
	v_mul_f64_e32 v[8:9], v[32:33], v[8:9]
	v_add_f64_e32 v[34:35], v[36:37], v[34:35]
	v_add_f64_e32 v[36:37], v[42:43], v[167:168]
	v_fma_f64 v[40:41], v[4:5], v[163:164], v[169:170]
	v_fma_f64 v[42:43], v[2:3], v[163:164], -v[165:166]
	v_fma_f64 v[32:33], v[32:33], v[6:7], v[38:39]
	v_fma_f64 v[6:7], v[30:31], v[6:7], -v[8:9]
	v_add_f64_e32 v[34:35], v[34:35], v[26:27]
	v_add_f64_e32 v[36:37], v[36:37], v[28:29]
	ds_load_b128 v[2:5], v1 offset:1728
	ds_load_b128 v[26:29], v1 offset:1744
	s_wait_loadcnt_dscnt 0x301
	v_mul_f64_e32 v[44:45], v[2:3], v[12:13]
	v_mul_f64_e32 v[12:13], v[4:5], v[12:13]
	v_add_f64_e32 v[8:9], v[34:35], v[42:43]
	v_add_f64_e32 v[30:31], v[36:37], v[40:41]
	s_wait_loadcnt_dscnt 0x200
	v_mul_f64_e32 v[34:35], v[26:27], v[16:17]
	v_mul_f64_e32 v[16:17], v[28:29], v[16:17]
	v_fma_f64 v[36:37], v[4:5], v[10:11], v[44:45]
	v_fma_f64 v[10:11], v[2:3], v[10:11], -v[12:13]
	v_add_f64_e32 v[12:13], v[8:9], v[6:7]
	v_add_f64_e32 v[30:31], v[30:31], v[32:33]
	ds_load_b128 v[2:5], v1 offset:1760
	ds_load_b128 v[6:9], v1 offset:1776
	v_fma_f64 v[28:29], v[28:29], v[14:15], v[34:35]
	v_fma_f64 v[14:15], v[26:27], v[14:15], -v[16:17]
	s_wait_loadcnt_dscnt 0x101
	v_mul_f64_e32 v[32:33], v[2:3], v[20:21]
	v_mul_f64_e32 v[20:21], v[4:5], v[20:21]
	s_wait_loadcnt_dscnt 0x0
	v_mul_f64_e32 v[16:17], v[6:7], v[24:25]
	v_mul_f64_e32 v[24:25], v[8:9], v[24:25]
	v_add_f64_e32 v[10:11], v[12:13], v[10:11]
	v_add_f64_e32 v[12:13], v[30:31], v[36:37]
	v_fma_f64 v[4:5], v[4:5], v[18:19], v[32:33]
	v_fma_f64 v[1:2], v[2:3], v[18:19], -v[20:21]
	v_fma_f64 v[8:9], v[8:9], v[22:23], v[16:17]
	v_fma_f64 v[6:7], v[6:7], v[22:23], -v[24:25]
	v_add_f64_e32 v[10:11], v[10:11], v[14:15]
	v_add_f64_e32 v[12:13], v[12:13], v[28:29]
	s_delay_alu instid0(VALU_DEP_2) | instskip(NEXT) | instid1(VALU_DEP_2)
	v_add_f64_e32 v[1:2], v[10:11], v[1:2]
	v_add_f64_e32 v[3:4], v[12:13], v[4:5]
	s_delay_alu instid0(VALU_DEP_2) | instskip(NEXT) | instid1(VALU_DEP_2)
	;; [unrolled: 3-line block ×3, first 2 shown]
	v_add_f64_e64 v[1:2], v[159:160], -v[1:2]
	v_add_f64_e64 v[3:4], v[161:162], -v[3:4]
	scratch_store_b128 off, v[1:4], off offset:320
	v_cmpx_lt_u32_e32 18, v0
	s_cbranch_execz .LBB55_313
; %bb.312:
	scratch_load_b128 v[1:4], off, s46
	v_mov_b32_e32 v5, 0
	s_delay_alu instid0(VALU_DEP_1)
	v_dual_mov_b32 v6, v5 :: v_dual_mov_b32 v7, v5
	v_mov_b32_e32 v8, v5
	scratch_store_b128 off, v[5:8], off offset:304
	s_wait_loadcnt 0x0
	ds_store_b128 v158, v[1:4]
.LBB55_313:
	s_wait_alu 0xfffe
	s_or_b32 exec_lo, exec_lo, s0
	s_wait_storecnt_dscnt 0x0
	s_barrier_signal -1
	s_barrier_wait -1
	global_inv scope:SCOPE_SE
	s_clause 0x7
	scratch_load_b128 v[2:5], off, off offset:320
	scratch_load_b128 v[6:9], off, off offset:336
	;; [unrolled: 1-line block ×8, first 2 shown]
	v_mov_b32_e32 v1, 0
	s_mov_b32 s0, exec_lo
	ds_load_b128 v[38:41], v1 offset:1200
	s_clause 0x1
	scratch_load_b128 v[34:37], off, off offset:448
	scratch_load_b128 v[42:45], off, off offset:304
	ds_load_b128 v[159:162], v1 offset:1216
	scratch_load_b128 v[163:166], off, off offset:464
	s_wait_loadcnt_dscnt 0xa01
	v_mul_f64_e32 v[167:168], v[40:41], v[4:5]
	v_mul_f64_e32 v[4:5], v[38:39], v[4:5]
	s_delay_alu instid0(VALU_DEP_2) | instskip(NEXT) | instid1(VALU_DEP_2)
	v_fma_f64 v[173:174], v[38:39], v[2:3], -v[167:168]
	v_fma_f64 v[175:176], v[40:41], v[2:3], v[4:5]
	ds_load_b128 v[2:5], v1 offset:1232
	s_wait_loadcnt_dscnt 0x901
	v_mul_f64_e32 v[171:172], v[159:160], v[8:9]
	v_mul_f64_e32 v[8:9], v[161:162], v[8:9]
	scratch_load_b128 v[38:41], off, off offset:480
	ds_load_b128 v[167:170], v1 offset:1248
	s_wait_loadcnt_dscnt 0x901
	v_mul_f64_e32 v[177:178], v[2:3], v[12:13]
	v_mul_f64_e32 v[12:13], v[4:5], v[12:13]
	v_fma_f64 v[161:162], v[161:162], v[6:7], v[171:172]
	v_fma_f64 v[159:160], v[159:160], v[6:7], -v[8:9]
	v_add_f64_e32 v[171:172], 0, v[173:174]
	v_add_f64_e32 v[173:174], 0, v[175:176]
	scratch_load_b128 v[6:9], off, off offset:496
	v_fma_f64 v[177:178], v[4:5], v[10:11], v[177:178]
	v_fma_f64 v[179:180], v[2:3], v[10:11], -v[12:13]
	ds_load_b128 v[2:5], v1 offset:1264
	s_wait_loadcnt_dscnt 0x901
	v_mul_f64_e32 v[175:176], v[167:168], v[16:17]
	v_mul_f64_e32 v[16:17], v[169:170], v[16:17]
	scratch_load_b128 v[10:13], off, off offset:512
	v_add_f64_e32 v[171:172], v[171:172], v[159:160]
	v_add_f64_e32 v[173:174], v[173:174], v[161:162]
	s_wait_loadcnt_dscnt 0x900
	v_mul_f64_e32 v[181:182], v[2:3], v[20:21]
	v_mul_f64_e32 v[20:21], v[4:5], v[20:21]
	ds_load_b128 v[159:162], v1 offset:1280
	v_fma_f64 v[169:170], v[169:170], v[14:15], v[175:176]
	v_fma_f64 v[167:168], v[167:168], v[14:15], -v[16:17]
	scratch_load_b128 v[14:17], off, off offset:528
	v_add_f64_e32 v[171:172], v[171:172], v[179:180]
	v_add_f64_e32 v[173:174], v[173:174], v[177:178]
	v_fma_f64 v[177:178], v[4:5], v[18:19], v[181:182]
	v_fma_f64 v[179:180], v[2:3], v[18:19], -v[20:21]
	ds_load_b128 v[2:5], v1 offset:1296
	s_wait_loadcnt_dscnt 0x901
	v_mul_f64_e32 v[175:176], v[159:160], v[24:25]
	v_mul_f64_e32 v[24:25], v[161:162], v[24:25]
	scratch_load_b128 v[18:21], off, off offset:544
	s_wait_loadcnt_dscnt 0x900
	v_mul_f64_e32 v[181:182], v[2:3], v[28:29]
	v_mul_f64_e32 v[28:29], v[4:5], v[28:29]
	v_add_f64_e32 v[171:172], v[171:172], v[167:168]
	v_add_f64_e32 v[173:174], v[173:174], v[169:170]
	ds_load_b128 v[167:170], v1 offset:1312
	v_fma_f64 v[161:162], v[161:162], v[22:23], v[175:176]
	v_fma_f64 v[159:160], v[159:160], v[22:23], -v[24:25]
	scratch_load_b128 v[22:25], off, off offset:560
	v_add_f64_e32 v[171:172], v[171:172], v[179:180]
	v_add_f64_e32 v[173:174], v[173:174], v[177:178]
	v_fma_f64 v[177:178], v[4:5], v[26:27], v[181:182]
	v_fma_f64 v[179:180], v[2:3], v[26:27], -v[28:29]
	ds_load_b128 v[2:5], v1 offset:1328
	s_wait_loadcnt_dscnt 0x901
	v_mul_f64_e32 v[175:176], v[167:168], v[32:33]
	v_mul_f64_e32 v[32:33], v[169:170], v[32:33]
	scratch_load_b128 v[26:29], off, off offset:576
	s_wait_loadcnt_dscnt 0x900
	v_mul_f64_e32 v[181:182], v[2:3], v[36:37]
	v_mul_f64_e32 v[36:37], v[4:5], v[36:37]
	v_add_f64_e32 v[171:172], v[171:172], v[159:160]
	v_add_f64_e32 v[173:174], v[173:174], v[161:162]
	ds_load_b128 v[159:162], v1 offset:1344
	v_fma_f64 v[169:170], v[169:170], v[30:31], v[175:176]
	v_fma_f64 v[167:168], v[167:168], v[30:31], -v[32:33]
	scratch_load_b128 v[30:33], off, off offset:592
	v_add_f64_e32 v[171:172], v[171:172], v[179:180]
	v_add_f64_e32 v[173:174], v[173:174], v[177:178]
	v_fma_f64 v[179:180], v[4:5], v[34:35], v[181:182]
	v_fma_f64 v[181:182], v[2:3], v[34:35], -v[36:37]
	ds_load_b128 v[2:5], v1 offset:1360
	s_wait_loadcnt_dscnt 0x801
	v_mul_f64_e32 v[175:176], v[159:160], v[165:166]
	v_mul_f64_e32 v[177:178], v[161:162], v[165:166]
	scratch_load_b128 v[34:37], off, off offset:608
	v_add_f64_e32 v[171:172], v[171:172], v[167:168]
	v_add_f64_e32 v[169:170], v[173:174], v[169:170]
	ds_load_b128 v[165:168], v1 offset:1376
	v_fma_f64 v[175:176], v[161:162], v[163:164], v[175:176]
	v_fma_f64 v[163:164], v[159:160], v[163:164], -v[177:178]
	scratch_load_b128 v[159:162], off, off offset:624
	s_wait_loadcnt_dscnt 0x901
	v_mul_f64_e32 v[173:174], v[2:3], v[40:41]
	v_mul_f64_e32 v[40:41], v[4:5], v[40:41]
	v_add_f64_e32 v[171:172], v[171:172], v[181:182]
	v_add_f64_e32 v[169:170], v[169:170], v[179:180]
	s_delay_alu instid0(VALU_DEP_4) | instskip(NEXT) | instid1(VALU_DEP_4)
	v_fma_f64 v[173:174], v[4:5], v[38:39], v[173:174]
	v_fma_f64 v[179:180], v[2:3], v[38:39], -v[40:41]
	ds_load_b128 v[2:5], v1 offset:1392
	s_wait_loadcnt_dscnt 0x801
	v_mul_f64_e32 v[177:178], v[165:166], v[8:9]
	v_mul_f64_e32 v[8:9], v[167:168], v[8:9]
	scratch_load_b128 v[38:41], off, off offset:640
	s_wait_loadcnt_dscnt 0x800
	v_mul_f64_e32 v[181:182], v[2:3], v[12:13]
	v_add_f64_e32 v[163:164], v[171:172], v[163:164]
	v_add_f64_e32 v[175:176], v[169:170], v[175:176]
	v_mul_f64_e32 v[12:13], v[4:5], v[12:13]
	ds_load_b128 v[169:172], v1 offset:1408
	v_fma_f64 v[167:168], v[167:168], v[6:7], v[177:178]
	v_fma_f64 v[165:166], v[165:166], v[6:7], -v[8:9]
	scratch_load_b128 v[6:9], off, off offset:656
	v_fma_f64 v[177:178], v[4:5], v[10:11], v[181:182]
	v_add_f64_e32 v[163:164], v[163:164], v[179:180]
	v_add_f64_e32 v[173:174], v[175:176], v[173:174]
	v_fma_f64 v[179:180], v[2:3], v[10:11], -v[12:13]
	ds_load_b128 v[2:5], v1 offset:1424
	s_wait_loadcnt_dscnt 0x801
	v_mul_f64_e32 v[175:176], v[169:170], v[16:17]
	v_mul_f64_e32 v[16:17], v[171:172], v[16:17]
	scratch_load_b128 v[10:13], off, off offset:672
	v_add_f64_e32 v[181:182], v[163:164], v[165:166]
	v_add_f64_e32 v[167:168], v[173:174], v[167:168]
	s_wait_loadcnt_dscnt 0x800
	v_mul_f64_e32 v[173:174], v[2:3], v[20:21]
	v_mul_f64_e32 v[20:21], v[4:5], v[20:21]
	v_fma_f64 v[171:172], v[171:172], v[14:15], v[175:176]
	v_fma_f64 v[169:170], v[169:170], v[14:15], -v[16:17]
	ds_load_b128 v[163:166], v1 offset:1440
	scratch_load_b128 v[14:17], off, off offset:688
	v_add_f64_e32 v[175:176], v[181:182], v[179:180]
	v_add_f64_e32 v[167:168], v[167:168], v[177:178]
	v_fma_f64 v[173:174], v[4:5], v[18:19], v[173:174]
	v_fma_f64 v[179:180], v[2:3], v[18:19], -v[20:21]
	ds_load_b128 v[2:5], v1 offset:1456
	s_wait_loadcnt_dscnt 0x801
	v_mul_f64_e32 v[177:178], v[163:164], v[24:25]
	v_mul_f64_e32 v[24:25], v[165:166], v[24:25]
	scratch_load_b128 v[18:21], off, off offset:704
	s_wait_loadcnt_dscnt 0x800
	v_mul_f64_e32 v[181:182], v[2:3], v[28:29]
	v_mul_f64_e32 v[28:29], v[4:5], v[28:29]
	v_add_f64_e32 v[175:176], v[175:176], v[169:170]
	v_add_f64_e32 v[171:172], v[167:168], v[171:172]
	ds_load_b128 v[167:170], v1 offset:1472
	v_fma_f64 v[165:166], v[165:166], v[22:23], v[177:178]
	v_fma_f64 v[163:164], v[163:164], v[22:23], -v[24:25]
	scratch_load_b128 v[22:25], off, off offset:720
	v_fma_f64 v[177:178], v[4:5], v[26:27], v[181:182]
	v_add_f64_e32 v[175:176], v[175:176], v[179:180]
	v_add_f64_e32 v[171:172], v[171:172], v[173:174]
	v_fma_f64 v[179:180], v[2:3], v[26:27], -v[28:29]
	ds_load_b128 v[2:5], v1 offset:1488
	s_wait_loadcnt_dscnt 0x801
	v_mul_f64_e32 v[173:174], v[167:168], v[32:33]
	v_mul_f64_e32 v[32:33], v[169:170], v[32:33]
	scratch_load_b128 v[26:29], off, off offset:736
	s_wait_loadcnt_dscnt 0x800
	v_mul_f64_e32 v[181:182], v[2:3], v[36:37]
	v_mul_f64_e32 v[36:37], v[4:5], v[36:37]
	v_add_f64_e32 v[175:176], v[175:176], v[163:164]
	v_add_f64_e32 v[171:172], v[171:172], v[165:166]
	ds_load_b128 v[163:166], v1 offset:1504
	v_fma_f64 v[169:170], v[169:170], v[30:31], v[173:174]
	v_fma_f64 v[167:168], v[167:168], v[30:31], -v[32:33]
	scratch_load_b128 v[30:33], off, off offset:752
	v_add_f64_e32 v[173:174], v[175:176], v[179:180]
	v_add_f64_e32 v[171:172], v[171:172], v[177:178]
	v_fma_f64 v[177:178], v[4:5], v[34:35], v[181:182]
	v_fma_f64 v[179:180], v[2:3], v[34:35], -v[36:37]
	ds_load_b128 v[2:5], v1 offset:1520
	s_wait_loadcnt_dscnt 0x801
	v_mul_f64_e32 v[175:176], v[163:164], v[161:162]
	v_mul_f64_e32 v[161:162], v[165:166], v[161:162]
	scratch_load_b128 v[34:37], off, off offset:768
	s_wait_loadcnt_dscnt 0x800
	v_mul_f64_e32 v[181:182], v[2:3], v[40:41]
	v_mul_f64_e32 v[40:41], v[4:5], v[40:41]
	v_add_f64_e32 v[173:174], v[173:174], v[167:168]
	v_add_f64_e32 v[171:172], v[171:172], v[169:170]
	ds_load_b128 v[167:170], v1 offset:1536
	v_fma_f64 v[165:166], v[165:166], v[159:160], v[175:176]
	v_fma_f64 v[163:164], v[163:164], v[159:160], -v[161:162]
	scratch_load_b128 v[159:162], off, off offset:784
	v_add_f64_e32 v[173:174], v[173:174], v[179:180]
	v_add_f64_e32 v[171:172], v[171:172], v[177:178]
	v_fma_f64 v[177:178], v[4:5], v[38:39], v[181:182]
	;; [unrolled: 18-line block ×5, first 2 shown]
	v_fma_f64 v[179:180], v[2:3], v[26:27], -v[28:29]
	ds_load_b128 v[2:5], v1 offset:1648
	s_wait_loadcnt_dscnt 0x801
	v_mul_f64_e32 v[175:176], v[163:164], v[32:33]
	v_mul_f64_e32 v[32:33], v[165:166], v[32:33]
	scratch_load_b128 v[26:29], off, off offset:896
	s_wait_loadcnt_dscnt 0x800
	v_mul_f64_e32 v[181:182], v[2:3], v[36:37]
	v_mul_f64_e32 v[36:37], v[4:5], v[36:37]
	v_add_f64_e32 v[173:174], v[173:174], v[167:168]
	v_add_f64_e32 v[171:172], v[171:172], v[169:170]
	ds_load_b128 v[167:170], v1 offset:1664
	v_fma_f64 v[165:166], v[165:166], v[30:31], v[175:176]
	v_fma_f64 v[30:31], v[163:164], v[30:31], -v[32:33]
	v_add_f64_e32 v[32:33], v[173:174], v[179:180]
	v_add_f64_e32 v[163:164], v[171:172], v[177:178]
	s_wait_loadcnt_dscnt 0x700
	v_mul_f64_e32 v[171:172], v[167:168], v[161:162]
	v_mul_f64_e32 v[161:162], v[169:170], v[161:162]
	v_fma_f64 v[173:174], v[4:5], v[34:35], v[181:182]
	v_fma_f64 v[34:35], v[2:3], v[34:35], -v[36:37]
	v_add_f64_e32 v[36:37], v[32:33], v[30:31]
	v_add_f64_e32 v[163:164], v[163:164], v[165:166]
	ds_load_b128 v[2:5], v1 offset:1680
	ds_load_b128 v[30:33], v1 offset:1696
	v_fma_f64 v[169:170], v[169:170], v[159:160], v[171:172]
	v_fma_f64 v[159:160], v[167:168], v[159:160], -v[161:162]
	s_wait_loadcnt_dscnt 0x601
	v_mul_f64_e32 v[165:166], v[2:3], v[40:41]
	v_mul_f64_e32 v[40:41], v[4:5], v[40:41]
	s_wait_loadcnt_dscnt 0x500
	v_mul_f64_e32 v[161:162], v[30:31], v[8:9]
	v_mul_f64_e32 v[8:9], v[32:33], v[8:9]
	v_add_f64_e32 v[34:35], v[36:37], v[34:35]
	v_add_f64_e32 v[36:37], v[163:164], v[173:174]
	v_fma_f64 v[163:164], v[4:5], v[38:39], v[165:166]
	v_fma_f64 v[38:39], v[2:3], v[38:39], -v[40:41]
	v_fma_f64 v[32:33], v[32:33], v[6:7], v[161:162]
	v_fma_f64 v[6:7], v[30:31], v[6:7], -v[8:9]
	v_add_f64_e32 v[40:41], v[34:35], v[159:160]
	v_add_f64_e32 v[159:160], v[36:37], v[169:170]
	ds_load_b128 v[2:5], v1 offset:1712
	ds_load_b128 v[34:37], v1 offset:1728
	s_wait_loadcnt_dscnt 0x401
	v_mul_f64_e32 v[165:166], v[2:3], v[12:13]
	v_mul_f64_e32 v[12:13], v[4:5], v[12:13]
	v_add_f64_e32 v[8:9], v[40:41], v[38:39]
	v_add_f64_e32 v[30:31], v[159:160], v[163:164]
	s_wait_loadcnt_dscnt 0x300
	v_mul_f64_e32 v[38:39], v[34:35], v[16:17]
	v_mul_f64_e32 v[16:17], v[36:37], v[16:17]
	v_fma_f64 v[40:41], v[4:5], v[10:11], v[165:166]
	v_fma_f64 v[10:11], v[2:3], v[10:11], -v[12:13]
	v_add_f64_e32 v[12:13], v[8:9], v[6:7]
	v_add_f64_e32 v[30:31], v[30:31], v[32:33]
	ds_load_b128 v[2:5], v1 offset:1744
	ds_load_b128 v[6:9], v1 offset:1760
	v_fma_f64 v[36:37], v[36:37], v[14:15], v[38:39]
	v_fma_f64 v[14:15], v[34:35], v[14:15], -v[16:17]
	s_wait_loadcnt_dscnt 0x201
	v_mul_f64_e32 v[32:33], v[2:3], v[20:21]
	v_mul_f64_e32 v[20:21], v[4:5], v[20:21]
	s_wait_loadcnt_dscnt 0x100
	v_mul_f64_e32 v[16:17], v[6:7], v[24:25]
	v_mul_f64_e32 v[24:25], v[8:9], v[24:25]
	v_add_f64_e32 v[10:11], v[12:13], v[10:11]
	v_add_f64_e32 v[12:13], v[30:31], v[40:41]
	v_fma_f64 v[30:31], v[4:5], v[18:19], v[32:33]
	v_fma_f64 v[18:19], v[2:3], v[18:19], -v[20:21]
	ds_load_b128 v[2:5], v1 offset:1776
	v_fma_f64 v[8:9], v[8:9], v[22:23], v[16:17]
	v_fma_f64 v[6:7], v[6:7], v[22:23], -v[24:25]
	v_add_f64_e32 v[10:11], v[10:11], v[14:15]
	v_add_f64_e32 v[12:13], v[12:13], v[36:37]
	s_wait_loadcnt_dscnt 0x0
	v_mul_f64_e32 v[14:15], v[2:3], v[28:29]
	v_mul_f64_e32 v[20:21], v[4:5], v[28:29]
	s_delay_alu instid0(VALU_DEP_4) | instskip(NEXT) | instid1(VALU_DEP_4)
	v_add_f64_e32 v[10:11], v[10:11], v[18:19]
	v_add_f64_e32 v[12:13], v[12:13], v[30:31]
	s_delay_alu instid0(VALU_DEP_4) | instskip(NEXT) | instid1(VALU_DEP_4)
	v_fma_f64 v[4:5], v[4:5], v[26:27], v[14:15]
	v_fma_f64 v[2:3], v[2:3], v[26:27], -v[20:21]
	s_delay_alu instid0(VALU_DEP_4) | instskip(NEXT) | instid1(VALU_DEP_4)
	v_add_f64_e32 v[6:7], v[10:11], v[6:7]
	v_add_f64_e32 v[8:9], v[12:13], v[8:9]
	s_delay_alu instid0(VALU_DEP_2) | instskip(NEXT) | instid1(VALU_DEP_2)
	v_add_f64_e32 v[2:3], v[6:7], v[2:3]
	v_add_f64_e32 v[4:5], v[8:9], v[4:5]
	s_delay_alu instid0(VALU_DEP_2) | instskip(NEXT) | instid1(VALU_DEP_2)
	v_add_f64_e64 v[2:3], v[42:43], -v[2:3]
	v_add_f64_e64 v[4:5], v[44:45], -v[4:5]
	scratch_store_b128 off, v[2:5], off offset:304
	v_cmpx_lt_u32_e32 17, v0
	s_cbranch_execz .LBB55_315
; %bb.314:
	scratch_load_b128 v[5:8], off, s52
	v_dual_mov_b32 v2, v1 :: v_dual_mov_b32 v3, v1
	v_mov_b32_e32 v4, v1
	scratch_store_b128 off, v[1:4], off offset:288
	s_wait_loadcnt 0x0
	ds_store_b128 v158, v[5:8]
.LBB55_315:
	s_wait_alu 0xfffe
	s_or_b32 exec_lo, exec_lo, s0
	s_wait_storecnt_dscnt 0x0
	s_barrier_signal -1
	s_barrier_wait -1
	global_inv scope:SCOPE_SE
	s_clause 0x8
	scratch_load_b128 v[2:5], off, off offset:304
	scratch_load_b128 v[6:9], off, off offset:320
	;; [unrolled: 1-line block ×9, first 2 shown]
	ds_load_b128 v[42:45], v1 offset:1184
	ds_load_b128 v[38:41], v1 offset:1200
	s_clause 0x1
	scratch_load_b128 v[159:162], off, off offset:288
	scratch_load_b128 v[163:166], off, off offset:448
	s_mov_b32 s0, exec_lo
	s_wait_loadcnt_dscnt 0xa01
	v_mul_f64_e32 v[167:168], v[44:45], v[4:5]
	v_mul_f64_e32 v[4:5], v[42:43], v[4:5]
	s_wait_loadcnt_dscnt 0x900
	v_mul_f64_e32 v[171:172], v[38:39], v[8:9]
	v_mul_f64_e32 v[8:9], v[40:41], v[8:9]
	s_delay_alu instid0(VALU_DEP_4) | instskip(NEXT) | instid1(VALU_DEP_4)
	v_fma_f64 v[173:174], v[42:43], v[2:3], -v[167:168]
	v_fma_f64 v[175:176], v[44:45], v[2:3], v[4:5]
	ds_load_b128 v[2:5], v1 offset:1216
	ds_load_b128 v[167:170], v1 offset:1232
	scratch_load_b128 v[42:45], off, off offset:464
	v_fma_f64 v[40:41], v[40:41], v[6:7], v[171:172]
	v_fma_f64 v[38:39], v[38:39], v[6:7], -v[8:9]
	scratch_load_b128 v[6:9], off, off offset:480
	s_wait_loadcnt_dscnt 0xa01
	v_mul_f64_e32 v[177:178], v[2:3], v[12:13]
	v_mul_f64_e32 v[12:13], v[4:5], v[12:13]
	v_add_f64_e32 v[171:172], 0, v[173:174]
	v_add_f64_e32 v[173:174], 0, v[175:176]
	s_wait_loadcnt_dscnt 0x900
	v_mul_f64_e32 v[175:176], v[167:168], v[16:17]
	v_mul_f64_e32 v[16:17], v[169:170], v[16:17]
	v_fma_f64 v[177:178], v[4:5], v[10:11], v[177:178]
	v_fma_f64 v[179:180], v[2:3], v[10:11], -v[12:13]
	ds_load_b128 v[2:5], v1 offset:1248
	scratch_load_b128 v[10:13], off, off offset:496
	v_add_f64_e32 v[171:172], v[171:172], v[38:39]
	v_add_f64_e32 v[173:174], v[173:174], v[40:41]
	ds_load_b128 v[38:41], v1 offset:1264
	v_fma_f64 v[169:170], v[169:170], v[14:15], v[175:176]
	v_fma_f64 v[167:168], v[167:168], v[14:15], -v[16:17]
	scratch_load_b128 v[14:17], off, off offset:512
	s_wait_loadcnt_dscnt 0xa01
	v_mul_f64_e32 v[181:182], v[2:3], v[20:21]
	v_mul_f64_e32 v[20:21], v[4:5], v[20:21]
	s_wait_loadcnt_dscnt 0x900
	v_mul_f64_e32 v[175:176], v[38:39], v[24:25]
	v_mul_f64_e32 v[24:25], v[40:41], v[24:25]
	v_add_f64_e32 v[171:172], v[171:172], v[179:180]
	v_add_f64_e32 v[173:174], v[173:174], v[177:178]
	v_fma_f64 v[177:178], v[4:5], v[18:19], v[181:182]
	v_fma_f64 v[179:180], v[2:3], v[18:19], -v[20:21]
	ds_load_b128 v[2:5], v1 offset:1280
	scratch_load_b128 v[18:21], off, off offset:528
	v_fma_f64 v[40:41], v[40:41], v[22:23], v[175:176]
	v_fma_f64 v[38:39], v[38:39], v[22:23], -v[24:25]
	scratch_load_b128 v[22:25], off, off offset:544
	v_add_f64_e32 v[171:172], v[171:172], v[167:168]
	v_add_f64_e32 v[173:174], v[173:174], v[169:170]
	ds_load_b128 v[167:170], v1 offset:1296
	s_wait_loadcnt_dscnt 0xa01
	v_mul_f64_e32 v[181:182], v[2:3], v[28:29]
	v_mul_f64_e32 v[28:29], v[4:5], v[28:29]
	s_wait_loadcnt_dscnt 0x900
	v_mul_f64_e32 v[175:176], v[167:168], v[32:33]
	v_mul_f64_e32 v[32:33], v[169:170], v[32:33]
	v_add_f64_e32 v[171:172], v[171:172], v[179:180]
	v_add_f64_e32 v[173:174], v[173:174], v[177:178]
	v_fma_f64 v[177:178], v[4:5], v[26:27], v[181:182]
	v_fma_f64 v[179:180], v[2:3], v[26:27], -v[28:29]
	ds_load_b128 v[2:5], v1 offset:1312
	scratch_load_b128 v[26:29], off, off offset:560
	v_fma_f64 v[169:170], v[169:170], v[30:31], v[175:176]
	v_fma_f64 v[167:168], v[167:168], v[30:31], -v[32:33]
	scratch_load_b128 v[30:33], off, off offset:576
	v_add_f64_e32 v[171:172], v[171:172], v[38:39]
	v_add_f64_e32 v[173:174], v[173:174], v[40:41]
	ds_load_b128 v[38:41], v1 offset:1328
	s_wait_loadcnt_dscnt 0xa01
	v_mul_f64_e32 v[181:182], v[2:3], v[36:37]
	v_mul_f64_e32 v[36:37], v[4:5], v[36:37]
	s_wait_loadcnt_dscnt 0x800
	v_mul_f64_e32 v[175:176], v[38:39], v[165:166]
	v_add_f64_e32 v[171:172], v[171:172], v[179:180]
	v_add_f64_e32 v[173:174], v[173:174], v[177:178]
	v_mul_f64_e32 v[177:178], v[40:41], v[165:166]
	v_fma_f64 v[179:180], v[4:5], v[34:35], v[181:182]
	v_fma_f64 v[181:182], v[2:3], v[34:35], -v[36:37]
	ds_load_b128 v[2:5], v1 offset:1344
	scratch_load_b128 v[34:37], off, off offset:592
	v_fma_f64 v[175:176], v[40:41], v[163:164], v[175:176]
	v_add_f64_e32 v[171:172], v[171:172], v[167:168]
	v_add_f64_e32 v[169:170], v[173:174], v[169:170]
	ds_load_b128 v[165:168], v1 offset:1360
	v_fma_f64 v[163:164], v[38:39], v[163:164], -v[177:178]
	scratch_load_b128 v[38:41], off, off offset:608
	s_wait_loadcnt_dscnt 0x901
	v_mul_f64_e32 v[173:174], v[2:3], v[44:45]
	v_mul_f64_e32 v[44:45], v[4:5], v[44:45]
	s_wait_loadcnt_dscnt 0x800
	v_mul_f64_e32 v[177:178], v[165:166], v[8:9]
	v_mul_f64_e32 v[8:9], v[167:168], v[8:9]
	v_add_f64_e32 v[171:172], v[171:172], v[181:182]
	v_add_f64_e32 v[169:170], v[169:170], v[179:180]
	v_fma_f64 v[173:174], v[4:5], v[42:43], v[173:174]
	v_fma_f64 v[179:180], v[2:3], v[42:43], -v[44:45]
	ds_load_b128 v[2:5], v1 offset:1376
	scratch_load_b128 v[42:45], off, off offset:624
	v_fma_f64 v[167:168], v[167:168], v[6:7], v[177:178]
	v_fma_f64 v[165:166], v[165:166], v[6:7], -v[8:9]
	scratch_load_b128 v[6:9], off, off offset:640
	v_add_f64_e32 v[163:164], v[171:172], v[163:164]
	v_add_f64_e32 v[175:176], v[169:170], v[175:176]
	ds_load_b128 v[169:172], v1 offset:1392
	s_wait_loadcnt_dscnt 0x901
	v_mul_f64_e32 v[181:182], v[2:3], v[12:13]
	v_mul_f64_e32 v[12:13], v[4:5], v[12:13]
	v_add_f64_e32 v[163:164], v[163:164], v[179:180]
	v_add_f64_e32 v[173:174], v[175:176], v[173:174]
	s_wait_loadcnt_dscnt 0x800
	v_mul_f64_e32 v[175:176], v[169:170], v[16:17]
	v_mul_f64_e32 v[16:17], v[171:172], v[16:17]
	v_fma_f64 v[177:178], v[4:5], v[10:11], v[181:182]
	v_fma_f64 v[179:180], v[2:3], v[10:11], -v[12:13]
	ds_load_b128 v[2:5], v1 offset:1408
	scratch_load_b128 v[10:13], off, off offset:656
	v_add_f64_e32 v[181:182], v[163:164], v[165:166]
	v_add_f64_e32 v[167:168], v[173:174], v[167:168]
	ds_load_b128 v[163:166], v1 offset:1424
	s_wait_loadcnt_dscnt 0x801
	v_mul_f64_e32 v[173:174], v[2:3], v[20:21]
	v_mul_f64_e32 v[20:21], v[4:5], v[20:21]
	v_fma_f64 v[171:172], v[171:172], v[14:15], v[175:176]
	v_fma_f64 v[169:170], v[169:170], v[14:15], -v[16:17]
	scratch_load_b128 v[14:17], off, off offset:672
	v_add_f64_e32 v[175:176], v[181:182], v[179:180]
	v_add_f64_e32 v[167:168], v[167:168], v[177:178]
	s_wait_loadcnt_dscnt 0x800
	v_mul_f64_e32 v[177:178], v[163:164], v[24:25]
	v_mul_f64_e32 v[24:25], v[165:166], v[24:25]
	v_fma_f64 v[173:174], v[4:5], v[18:19], v[173:174]
	v_fma_f64 v[179:180], v[2:3], v[18:19], -v[20:21]
	ds_load_b128 v[2:5], v1 offset:1440
	scratch_load_b128 v[18:21], off, off offset:688
	v_add_f64_e32 v[175:176], v[175:176], v[169:170]
	v_add_f64_e32 v[171:172], v[167:168], v[171:172]
	ds_load_b128 v[167:170], v1 offset:1456
	s_wait_loadcnt_dscnt 0x801
	v_mul_f64_e32 v[181:182], v[2:3], v[28:29]
	v_mul_f64_e32 v[28:29], v[4:5], v[28:29]
	v_fma_f64 v[165:166], v[165:166], v[22:23], v[177:178]
	v_fma_f64 v[163:164], v[163:164], v[22:23], -v[24:25]
	scratch_load_b128 v[22:25], off, off offset:704
	;; [unrolled: 18-line block ×4, first 2 shown]
	s_wait_loadcnt_dscnt 0x800
	v_mul_f64_e32 v[175:176], v[167:168], v[8:9]
	v_mul_f64_e32 v[8:9], v[169:170], v[8:9]
	v_add_f64_e32 v[173:174], v[173:174], v[179:180]
	v_add_f64_e32 v[171:172], v[171:172], v[177:178]
	v_fma_f64 v[177:178], v[4:5], v[42:43], v[181:182]
	v_fma_f64 v[179:180], v[2:3], v[42:43], -v[44:45]
	ds_load_b128 v[2:5], v1 offset:1536
	scratch_load_b128 v[42:45], off, off offset:784
	v_fma_f64 v[169:170], v[169:170], v[6:7], v[175:176]
	v_fma_f64 v[167:168], v[167:168], v[6:7], -v[8:9]
	scratch_load_b128 v[6:9], off, off offset:800
	v_add_f64_e32 v[173:174], v[173:174], v[163:164]
	v_add_f64_e32 v[171:172], v[171:172], v[165:166]
	ds_load_b128 v[163:166], v1 offset:1552
	s_wait_loadcnt_dscnt 0x901
	v_mul_f64_e32 v[181:182], v[2:3], v[12:13]
	v_mul_f64_e32 v[12:13], v[4:5], v[12:13]
	s_wait_loadcnt_dscnt 0x800
	v_mul_f64_e32 v[175:176], v[163:164], v[16:17]
	v_mul_f64_e32 v[16:17], v[165:166], v[16:17]
	v_add_f64_e32 v[173:174], v[173:174], v[179:180]
	v_add_f64_e32 v[171:172], v[171:172], v[177:178]
	v_fma_f64 v[177:178], v[4:5], v[10:11], v[181:182]
	v_fma_f64 v[179:180], v[2:3], v[10:11], -v[12:13]
	ds_load_b128 v[2:5], v1 offset:1568
	scratch_load_b128 v[10:13], off, off offset:816
	v_fma_f64 v[165:166], v[165:166], v[14:15], v[175:176]
	v_fma_f64 v[163:164], v[163:164], v[14:15], -v[16:17]
	scratch_load_b128 v[14:17], off, off offset:832
	v_add_f64_e32 v[173:174], v[173:174], v[167:168]
	v_add_f64_e32 v[171:172], v[171:172], v[169:170]
	ds_load_b128 v[167:170], v1 offset:1584
	s_wait_loadcnt_dscnt 0x901
	v_mul_f64_e32 v[181:182], v[2:3], v[20:21]
	v_mul_f64_e32 v[20:21], v[4:5], v[20:21]
	;; [unrolled: 18-line block ×4, first 2 shown]
	s_wait_loadcnt_dscnt 0x800
	v_mul_f64_e32 v[175:176], v[167:168], v[40:41]
	v_mul_f64_e32 v[40:41], v[169:170], v[40:41]
	v_add_f64_e32 v[173:174], v[173:174], v[179:180]
	v_add_f64_e32 v[171:172], v[171:172], v[177:178]
	v_fma_f64 v[177:178], v[4:5], v[34:35], v[181:182]
	v_fma_f64 v[179:180], v[2:3], v[34:35], -v[36:37]
	ds_load_b128 v[2:5], v1 offset:1664
	ds_load_b128 v[34:37], v1 offset:1680
	v_fma_f64 v[169:170], v[169:170], v[38:39], v[175:176]
	v_fma_f64 v[38:39], v[167:168], v[38:39], -v[40:41]
	v_add_f64_e32 v[163:164], v[173:174], v[163:164]
	v_add_f64_e32 v[165:166], v[171:172], v[165:166]
	s_wait_loadcnt_dscnt 0x701
	v_mul_f64_e32 v[171:172], v[2:3], v[44:45]
	v_mul_f64_e32 v[44:45], v[4:5], v[44:45]
	s_delay_alu instid0(VALU_DEP_4) | instskip(NEXT) | instid1(VALU_DEP_4)
	v_add_f64_e32 v[40:41], v[163:164], v[179:180]
	v_add_f64_e32 v[163:164], v[165:166], v[177:178]
	s_wait_loadcnt_dscnt 0x600
	v_mul_f64_e32 v[165:166], v[34:35], v[8:9]
	v_mul_f64_e32 v[8:9], v[36:37], v[8:9]
	v_fma_f64 v[167:168], v[4:5], v[42:43], v[171:172]
	v_fma_f64 v[42:43], v[2:3], v[42:43], -v[44:45]
	v_add_f64_e32 v[44:45], v[40:41], v[38:39]
	v_add_f64_e32 v[163:164], v[163:164], v[169:170]
	ds_load_b128 v[2:5], v1 offset:1696
	ds_load_b128 v[38:41], v1 offset:1712
	v_fma_f64 v[36:37], v[36:37], v[6:7], v[165:166]
	v_fma_f64 v[6:7], v[34:35], v[6:7], -v[8:9]
	s_wait_loadcnt_dscnt 0x501
	v_mul_f64_e32 v[169:170], v[2:3], v[12:13]
	v_mul_f64_e32 v[12:13], v[4:5], v[12:13]
	v_add_f64_e32 v[8:9], v[44:45], v[42:43]
	v_add_f64_e32 v[34:35], v[163:164], v[167:168]
	s_wait_loadcnt_dscnt 0x400
	v_mul_f64_e32 v[42:43], v[38:39], v[16:17]
	v_mul_f64_e32 v[16:17], v[40:41], v[16:17]
	v_fma_f64 v[44:45], v[4:5], v[10:11], v[169:170]
	v_fma_f64 v[10:11], v[2:3], v[10:11], -v[12:13]
	v_add_f64_e32 v[12:13], v[8:9], v[6:7]
	v_add_f64_e32 v[34:35], v[34:35], v[36:37]
	ds_load_b128 v[2:5], v1 offset:1728
	ds_load_b128 v[6:9], v1 offset:1744
	v_fma_f64 v[40:41], v[40:41], v[14:15], v[42:43]
	v_fma_f64 v[14:15], v[38:39], v[14:15], -v[16:17]
	s_wait_loadcnt_dscnt 0x301
	v_mul_f64_e32 v[36:37], v[2:3], v[20:21]
	v_mul_f64_e32 v[20:21], v[4:5], v[20:21]
	s_wait_loadcnt_dscnt 0x200
	v_mul_f64_e32 v[16:17], v[6:7], v[24:25]
	v_mul_f64_e32 v[24:25], v[8:9], v[24:25]
	v_add_f64_e32 v[10:11], v[12:13], v[10:11]
	v_add_f64_e32 v[12:13], v[34:35], v[44:45]
	v_fma_f64 v[34:35], v[4:5], v[18:19], v[36:37]
	v_fma_f64 v[18:19], v[2:3], v[18:19], -v[20:21]
	v_fma_f64 v[8:9], v[8:9], v[22:23], v[16:17]
	v_fma_f64 v[6:7], v[6:7], v[22:23], -v[24:25]
	v_add_f64_e32 v[14:15], v[10:11], v[14:15]
	v_add_f64_e32 v[20:21], v[12:13], v[40:41]
	ds_load_b128 v[2:5], v1 offset:1760
	ds_load_b128 v[10:13], v1 offset:1776
	s_wait_loadcnt_dscnt 0x101
	v_mul_f64_e32 v[36:37], v[2:3], v[28:29]
	v_mul_f64_e32 v[28:29], v[4:5], v[28:29]
	v_add_f64_e32 v[14:15], v[14:15], v[18:19]
	v_add_f64_e32 v[16:17], v[20:21], v[34:35]
	s_wait_loadcnt_dscnt 0x0
	v_mul_f64_e32 v[18:19], v[10:11], v[32:33]
	v_mul_f64_e32 v[20:21], v[12:13], v[32:33]
	v_fma_f64 v[4:5], v[4:5], v[26:27], v[36:37]
	v_fma_f64 v[1:2], v[2:3], v[26:27], -v[28:29]
	v_add_f64_e32 v[6:7], v[14:15], v[6:7]
	v_add_f64_e32 v[8:9], v[16:17], v[8:9]
	v_fma_f64 v[12:13], v[12:13], v[30:31], v[18:19]
	v_fma_f64 v[10:11], v[10:11], v[30:31], -v[20:21]
	s_delay_alu instid0(VALU_DEP_4) | instskip(NEXT) | instid1(VALU_DEP_4)
	v_add_f64_e32 v[1:2], v[6:7], v[1:2]
	v_add_f64_e32 v[3:4], v[8:9], v[4:5]
	s_delay_alu instid0(VALU_DEP_2) | instskip(NEXT) | instid1(VALU_DEP_2)
	v_add_f64_e32 v[1:2], v[1:2], v[10:11]
	v_add_f64_e32 v[3:4], v[3:4], v[12:13]
	s_delay_alu instid0(VALU_DEP_2) | instskip(NEXT) | instid1(VALU_DEP_2)
	v_add_f64_e64 v[1:2], v[159:160], -v[1:2]
	v_add_f64_e64 v[3:4], v[161:162], -v[3:4]
	scratch_store_b128 off, v[1:4], off offset:288
	v_cmpx_lt_u32_e32 16, v0
	s_cbranch_execz .LBB55_317
; %bb.316:
	scratch_load_b128 v[1:4], off, s53
	v_mov_b32_e32 v5, 0
	s_delay_alu instid0(VALU_DEP_1)
	v_dual_mov_b32 v6, v5 :: v_dual_mov_b32 v7, v5
	v_mov_b32_e32 v8, v5
	scratch_store_b128 off, v[5:8], off offset:272
	s_wait_loadcnt 0x0
	ds_store_b128 v158, v[1:4]
.LBB55_317:
	s_wait_alu 0xfffe
	s_or_b32 exec_lo, exec_lo, s0
	s_wait_storecnt_dscnt 0x0
	s_barrier_signal -1
	s_barrier_wait -1
	global_inv scope:SCOPE_SE
	s_clause 0x7
	scratch_load_b128 v[2:5], off, off offset:288
	scratch_load_b128 v[6:9], off, off offset:304
	;; [unrolled: 1-line block ×8, first 2 shown]
	v_mov_b32_e32 v1, 0
	s_mov_b32 s0, exec_lo
	ds_load_b128 v[38:41], v1 offset:1168
	s_clause 0x1
	scratch_load_b128 v[34:37], off, off offset:416
	scratch_load_b128 v[42:45], off, off offset:272
	ds_load_b128 v[159:162], v1 offset:1184
	scratch_load_b128 v[163:166], off, off offset:432
	s_wait_loadcnt_dscnt 0xa01
	v_mul_f64_e32 v[167:168], v[40:41], v[4:5]
	v_mul_f64_e32 v[4:5], v[38:39], v[4:5]
	s_delay_alu instid0(VALU_DEP_2) | instskip(NEXT) | instid1(VALU_DEP_2)
	v_fma_f64 v[173:174], v[38:39], v[2:3], -v[167:168]
	v_fma_f64 v[175:176], v[40:41], v[2:3], v[4:5]
	ds_load_b128 v[2:5], v1 offset:1200
	s_wait_loadcnt_dscnt 0x901
	v_mul_f64_e32 v[171:172], v[159:160], v[8:9]
	v_mul_f64_e32 v[8:9], v[161:162], v[8:9]
	scratch_load_b128 v[38:41], off, off offset:448
	ds_load_b128 v[167:170], v1 offset:1216
	s_wait_loadcnt_dscnt 0x901
	v_mul_f64_e32 v[177:178], v[2:3], v[12:13]
	v_mul_f64_e32 v[12:13], v[4:5], v[12:13]
	v_fma_f64 v[161:162], v[161:162], v[6:7], v[171:172]
	v_fma_f64 v[159:160], v[159:160], v[6:7], -v[8:9]
	v_add_f64_e32 v[171:172], 0, v[173:174]
	v_add_f64_e32 v[173:174], 0, v[175:176]
	scratch_load_b128 v[6:9], off, off offset:464
	v_fma_f64 v[177:178], v[4:5], v[10:11], v[177:178]
	v_fma_f64 v[179:180], v[2:3], v[10:11], -v[12:13]
	ds_load_b128 v[2:5], v1 offset:1232
	s_wait_loadcnt_dscnt 0x901
	v_mul_f64_e32 v[175:176], v[167:168], v[16:17]
	v_mul_f64_e32 v[16:17], v[169:170], v[16:17]
	scratch_load_b128 v[10:13], off, off offset:480
	v_add_f64_e32 v[171:172], v[171:172], v[159:160]
	v_add_f64_e32 v[173:174], v[173:174], v[161:162]
	s_wait_loadcnt_dscnt 0x900
	v_mul_f64_e32 v[181:182], v[2:3], v[20:21]
	v_mul_f64_e32 v[20:21], v[4:5], v[20:21]
	ds_load_b128 v[159:162], v1 offset:1248
	v_fma_f64 v[169:170], v[169:170], v[14:15], v[175:176]
	v_fma_f64 v[167:168], v[167:168], v[14:15], -v[16:17]
	scratch_load_b128 v[14:17], off, off offset:496
	v_add_f64_e32 v[171:172], v[171:172], v[179:180]
	v_add_f64_e32 v[173:174], v[173:174], v[177:178]
	v_fma_f64 v[177:178], v[4:5], v[18:19], v[181:182]
	v_fma_f64 v[179:180], v[2:3], v[18:19], -v[20:21]
	ds_load_b128 v[2:5], v1 offset:1264
	s_wait_loadcnt_dscnt 0x901
	v_mul_f64_e32 v[175:176], v[159:160], v[24:25]
	v_mul_f64_e32 v[24:25], v[161:162], v[24:25]
	scratch_load_b128 v[18:21], off, off offset:512
	s_wait_loadcnt_dscnt 0x900
	v_mul_f64_e32 v[181:182], v[2:3], v[28:29]
	v_mul_f64_e32 v[28:29], v[4:5], v[28:29]
	v_add_f64_e32 v[171:172], v[171:172], v[167:168]
	v_add_f64_e32 v[173:174], v[173:174], v[169:170]
	ds_load_b128 v[167:170], v1 offset:1280
	v_fma_f64 v[161:162], v[161:162], v[22:23], v[175:176]
	v_fma_f64 v[159:160], v[159:160], v[22:23], -v[24:25]
	scratch_load_b128 v[22:25], off, off offset:528
	v_add_f64_e32 v[171:172], v[171:172], v[179:180]
	v_add_f64_e32 v[173:174], v[173:174], v[177:178]
	v_fma_f64 v[177:178], v[4:5], v[26:27], v[181:182]
	v_fma_f64 v[179:180], v[2:3], v[26:27], -v[28:29]
	ds_load_b128 v[2:5], v1 offset:1296
	s_wait_loadcnt_dscnt 0x901
	v_mul_f64_e32 v[175:176], v[167:168], v[32:33]
	v_mul_f64_e32 v[32:33], v[169:170], v[32:33]
	scratch_load_b128 v[26:29], off, off offset:544
	s_wait_loadcnt_dscnt 0x900
	v_mul_f64_e32 v[181:182], v[2:3], v[36:37]
	v_mul_f64_e32 v[36:37], v[4:5], v[36:37]
	v_add_f64_e32 v[171:172], v[171:172], v[159:160]
	v_add_f64_e32 v[173:174], v[173:174], v[161:162]
	ds_load_b128 v[159:162], v1 offset:1312
	v_fma_f64 v[169:170], v[169:170], v[30:31], v[175:176]
	v_fma_f64 v[167:168], v[167:168], v[30:31], -v[32:33]
	scratch_load_b128 v[30:33], off, off offset:560
	v_add_f64_e32 v[171:172], v[171:172], v[179:180]
	v_add_f64_e32 v[173:174], v[173:174], v[177:178]
	v_fma_f64 v[179:180], v[4:5], v[34:35], v[181:182]
	v_fma_f64 v[181:182], v[2:3], v[34:35], -v[36:37]
	ds_load_b128 v[2:5], v1 offset:1328
	s_wait_loadcnt_dscnt 0x801
	v_mul_f64_e32 v[175:176], v[159:160], v[165:166]
	v_mul_f64_e32 v[177:178], v[161:162], v[165:166]
	scratch_load_b128 v[34:37], off, off offset:576
	v_add_f64_e32 v[171:172], v[171:172], v[167:168]
	v_add_f64_e32 v[169:170], v[173:174], v[169:170]
	ds_load_b128 v[165:168], v1 offset:1344
	v_fma_f64 v[175:176], v[161:162], v[163:164], v[175:176]
	v_fma_f64 v[163:164], v[159:160], v[163:164], -v[177:178]
	scratch_load_b128 v[159:162], off, off offset:592
	s_wait_loadcnt_dscnt 0x901
	v_mul_f64_e32 v[173:174], v[2:3], v[40:41]
	v_mul_f64_e32 v[40:41], v[4:5], v[40:41]
	v_add_f64_e32 v[171:172], v[171:172], v[181:182]
	v_add_f64_e32 v[169:170], v[169:170], v[179:180]
	s_delay_alu instid0(VALU_DEP_4) | instskip(NEXT) | instid1(VALU_DEP_4)
	v_fma_f64 v[173:174], v[4:5], v[38:39], v[173:174]
	v_fma_f64 v[179:180], v[2:3], v[38:39], -v[40:41]
	ds_load_b128 v[2:5], v1 offset:1360
	s_wait_loadcnt_dscnt 0x801
	v_mul_f64_e32 v[177:178], v[165:166], v[8:9]
	v_mul_f64_e32 v[8:9], v[167:168], v[8:9]
	scratch_load_b128 v[38:41], off, off offset:608
	s_wait_loadcnt_dscnt 0x800
	v_mul_f64_e32 v[181:182], v[2:3], v[12:13]
	v_add_f64_e32 v[163:164], v[171:172], v[163:164]
	v_add_f64_e32 v[175:176], v[169:170], v[175:176]
	v_mul_f64_e32 v[12:13], v[4:5], v[12:13]
	ds_load_b128 v[169:172], v1 offset:1376
	v_fma_f64 v[167:168], v[167:168], v[6:7], v[177:178]
	v_fma_f64 v[165:166], v[165:166], v[6:7], -v[8:9]
	scratch_load_b128 v[6:9], off, off offset:624
	v_fma_f64 v[177:178], v[4:5], v[10:11], v[181:182]
	v_add_f64_e32 v[163:164], v[163:164], v[179:180]
	v_add_f64_e32 v[173:174], v[175:176], v[173:174]
	v_fma_f64 v[179:180], v[2:3], v[10:11], -v[12:13]
	ds_load_b128 v[2:5], v1 offset:1392
	s_wait_loadcnt_dscnt 0x801
	v_mul_f64_e32 v[175:176], v[169:170], v[16:17]
	v_mul_f64_e32 v[16:17], v[171:172], v[16:17]
	scratch_load_b128 v[10:13], off, off offset:640
	v_add_f64_e32 v[181:182], v[163:164], v[165:166]
	v_add_f64_e32 v[167:168], v[173:174], v[167:168]
	s_wait_loadcnt_dscnt 0x800
	v_mul_f64_e32 v[173:174], v[2:3], v[20:21]
	v_mul_f64_e32 v[20:21], v[4:5], v[20:21]
	v_fma_f64 v[171:172], v[171:172], v[14:15], v[175:176]
	v_fma_f64 v[169:170], v[169:170], v[14:15], -v[16:17]
	ds_load_b128 v[163:166], v1 offset:1408
	scratch_load_b128 v[14:17], off, off offset:656
	v_add_f64_e32 v[175:176], v[181:182], v[179:180]
	v_add_f64_e32 v[167:168], v[167:168], v[177:178]
	v_fma_f64 v[173:174], v[4:5], v[18:19], v[173:174]
	v_fma_f64 v[179:180], v[2:3], v[18:19], -v[20:21]
	ds_load_b128 v[2:5], v1 offset:1424
	s_wait_loadcnt_dscnt 0x801
	v_mul_f64_e32 v[177:178], v[163:164], v[24:25]
	v_mul_f64_e32 v[24:25], v[165:166], v[24:25]
	scratch_load_b128 v[18:21], off, off offset:672
	s_wait_loadcnt_dscnt 0x800
	v_mul_f64_e32 v[181:182], v[2:3], v[28:29]
	v_mul_f64_e32 v[28:29], v[4:5], v[28:29]
	v_add_f64_e32 v[175:176], v[175:176], v[169:170]
	v_add_f64_e32 v[171:172], v[167:168], v[171:172]
	ds_load_b128 v[167:170], v1 offset:1440
	v_fma_f64 v[165:166], v[165:166], v[22:23], v[177:178]
	v_fma_f64 v[163:164], v[163:164], v[22:23], -v[24:25]
	scratch_load_b128 v[22:25], off, off offset:688
	v_fma_f64 v[177:178], v[4:5], v[26:27], v[181:182]
	v_add_f64_e32 v[175:176], v[175:176], v[179:180]
	v_add_f64_e32 v[171:172], v[171:172], v[173:174]
	v_fma_f64 v[179:180], v[2:3], v[26:27], -v[28:29]
	ds_load_b128 v[2:5], v1 offset:1456
	s_wait_loadcnt_dscnt 0x801
	v_mul_f64_e32 v[173:174], v[167:168], v[32:33]
	v_mul_f64_e32 v[32:33], v[169:170], v[32:33]
	scratch_load_b128 v[26:29], off, off offset:704
	s_wait_loadcnt_dscnt 0x800
	v_mul_f64_e32 v[181:182], v[2:3], v[36:37]
	v_mul_f64_e32 v[36:37], v[4:5], v[36:37]
	v_add_f64_e32 v[175:176], v[175:176], v[163:164]
	v_add_f64_e32 v[171:172], v[171:172], v[165:166]
	ds_load_b128 v[163:166], v1 offset:1472
	v_fma_f64 v[169:170], v[169:170], v[30:31], v[173:174]
	v_fma_f64 v[167:168], v[167:168], v[30:31], -v[32:33]
	scratch_load_b128 v[30:33], off, off offset:720
	v_add_f64_e32 v[173:174], v[175:176], v[179:180]
	v_add_f64_e32 v[171:172], v[171:172], v[177:178]
	v_fma_f64 v[177:178], v[4:5], v[34:35], v[181:182]
	v_fma_f64 v[179:180], v[2:3], v[34:35], -v[36:37]
	ds_load_b128 v[2:5], v1 offset:1488
	s_wait_loadcnt_dscnt 0x801
	v_mul_f64_e32 v[175:176], v[163:164], v[161:162]
	v_mul_f64_e32 v[161:162], v[165:166], v[161:162]
	scratch_load_b128 v[34:37], off, off offset:736
	s_wait_loadcnt_dscnt 0x800
	v_mul_f64_e32 v[181:182], v[2:3], v[40:41]
	v_mul_f64_e32 v[40:41], v[4:5], v[40:41]
	v_add_f64_e32 v[173:174], v[173:174], v[167:168]
	v_add_f64_e32 v[171:172], v[171:172], v[169:170]
	ds_load_b128 v[167:170], v1 offset:1504
	v_fma_f64 v[165:166], v[165:166], v[159:160], v[175:176]
	v_fma_f64 v[163:164], v[163:164], v[159:160], -v[161:162]
	scratch_load_b128 v[159:162], off, off offset:752
	v_add_f64_e32 v[173:174], v[173:174], v[179:180]
	v_add_f64_e32 v[171:172], v[171:172], v[177:178]
	v_fma_f64 v[177:178], v[4:5], v[38:39], v[181:182]
	;; [unrolled: 18-line block ×6, first 2 shown]
	v_fma_f64 v[181:182], v[2:3], v[34:35], -v[36:37]
	ds_load_b128 v[2:5], v1 offset:1648
	s_wait_loadcnt_dscnt 0x801
	v_mul_f64_e32 v[175:176], v[167:168], v[161:162]
	v_mul_f64_e32 v[177:178], v[169:170], v[161:162]
	scratch_load_b128 v[34:37], off, off offset:896
	v_add_f64_e32 v[173:174], v[173:174], v[163:164]
	v_add_f64_e32 v[165:166], v[171:172], v[165:166]
	s_wait_loadcnt_dscnt 0x800
	v_mul_f64_e32 v[171:172], v[2:3], v[40:41]
	v_mul_f64_e32 v[40:41], v[4:5], v[40:41]
	ds_load_b128 v[161:164], v1 offset:1664
	v_fma_f64 v[169:170], v[169:170], v[159:160], v[175:176]
	v_fma_f64 v[159:160], v[167:168], v[159:160], -v[177:178]
	v_add_f64_e32 v[167:168], v[173:174], v[181:182]
	v_add_f64_e32 v[165:166], v[165:166], v[179:180]
	s_wait_loadcnt_dscnt 0x700
	v_mul_f64_e32 v[173:174], v[161:162], v[8:9]
	v_mul_f64_e32 v[8:9], v[163:164], v[8:9]
	v_fma_f64 v[171:172], v[4:5], v[38:39], v[171:172]
	v_fma_f64 v[175:176], v[2:3], v[38:39], -v[40:41]
	ds_load_b128 v[2:5], v1 offset:1680
	ds_load_b128 v[38:41], v1 offset:1696
	v_add_f64_e32 v[159:160], v[167:168], v[159:160]
	v_add_f64_e32 v[165:166], v[165:166], v[169:170]
	s_wait_loadcnt_dscnt 0x601
	v_mul_f64_e32 v[167:168], v[2:3], v[12:13]
	v_mul_f64_e32 v[12:13], v[4:5], v[12:13]
	v_fma_f64 v[163:164], v[163:164], v[6:7], v[173:174]
	v_fma_f64 v[6:7], v[161:162], v[6:7], -v[8:9]
	s_wait_loadcnt_dscnt 0x500
	v_mul_f64_e32 v[161:162], v[38:39], v[16:17]
	v_mul_f64_e32 v[16:17], v[40:41], v[16:17]
	v_add_f64_e32 v[8:9], v[159:160], v[175:176]
	v_add_f64_e32 v[159:160], v[165:166], v[171:172]
	v_fma_f64 v[165:166], v[4:5], v[10:11], v[167:168]
	v_fma_f64 v[10:11], v[2:3], v[10:11], -v[12:13]
	v_fma_f64 v[40:41], v[40:41], v[14:15], v[161:162]
	v_fma_f64 v[14:15], v[38:39], v[14:15], -v[16:17]
	v_add_f64_e32 v[12:13], v[8:9], v[6:7]
	v_add_f64_e32 v[159:160], v[159:160], v[163:164]
	ds_load_b128 v[2:5], v1 offset:1712
	ds_load_b128 v[6:9], v1 offset:1728
	s_wait_loadcnt_dscnt 0x401
	v_mul_f64_e32 v[163:164], v[2:3], v[20:21]
	v_mul_f64_e32 v[20:21], v[4:5], v[20:21]
	s_wait_loadcnt_dscnt 0x300
	v_mul_f64_e32 v[16:17], v[6:7], v[24:25]
	v_mul_f64_e32 v[24:25], v[8:9], v[24:25]
	v_add_f64_e32 v[10:11], v[12:13], v[10:11]
	v_add_f64_e32 v[12:13], v[159:160], v[165:166]
	v_fma_f64 v[38:39], v[4:5], v[18:19], v[163:164]
	v_fma_f64 v[18:19], v[2:3], v[18:19], -v[20:21]
	v_fma_f64 v[8:9], v[8:9], v[22:23], v[16:17]
	v_fma_f64 v[6:7], v[6:7], v[22:23], -v[24:25]
	v_add_f64_e32 v[14:15], v[10:11], v[14:15]
	v_add_f64_e32 v[20:21], v[12:13], v[40:41]
	ds_load_b128 v[2:5], v1 offset:1744
	ds_load_b128 v[10:13], v1 offset:1760
	s_wait_loadcnt_dscnt 0x201
	v_mul_f64_e32 v[40:41], v[2:3], v[28:29]
	v_mul_f64_e32 v[28:29], v[4:5], v[28:29]
	v_add_f64_e32 v[14:15], v[14:15], v[18:19]
	v_add_f64_e32 v[16:17], v[20:21], v[38:39]
	s_wait_loadcnt_dscnt 0x100
	v_mul_f64_e32 v[18:19], v[10:11], v[32:33]
	v_mul_f64_e32 v[20:21], v[12:13], v[32:33]
	v_fma_f64 v[22:23], v[4:5], v[26:27], v[40:41]
	v_fma_f64 v[24:25], v[2:3], v[26:27], -v[28:29]
	ds_load_b128 v[2:5], v1 offset:1776
	v_add_f64_e32 v[6:7], v[14:15], v[6:7]
	v_add_f64_e32 v[8:9], v[16:17], v[8:9]
	v_fma_f64 v[12:13], v[12:13], v[30:31], v[18:19]
	v_fma_f64 v[10:11], v[10:11], v[30:31], -v[20:21]
	s_wait_loadcnt_dscnt 0x0
	v_mul_f64_e32 v[14:15], v[2:3], v[36:37]
	v_mul_f64_e32 v[16:17], v[4:5], v[36:37]
	v_add_f64_e32 v[6:7], v[6:7], v[24:25]
	v_add_f64_e32 v[8:9], v[8:9], v[22:23]
	s_delay_alu instid0(VALU_DEP_4) | instskip(NEXT) | instid1(VALU_DEP_4)
	v_fma_f64 v[4:5], v[4:5], v[34:35], v[14:15]
	v_fma_f64 v[2:3], v[2:3], v[34:35], -v[16:17]
	s_delay_alu instid0(VALU_DEP_4) | instskip(NEXT) | instid1(VALU_DEP_4)
	v_add_f64_e32 v[6:7], v[6:7], v[10:11]
	v_add_f64_e32 v[8:9], v[8:9], v[12:13]
	s_delay_alu instid0(VALU_DEP_2) | instskip(NEXT) | instid1(VALU_DEP_2)
	v_add_f64_e32 v[2:3], v[6:7], v[2:3]
	v_add_f64_e32 v[4:5], v[8:9], v[4:5]
	s_delay_alu instid0(VALU_DEP_2) | instskip(NEXT) | instid1(VALU_DEP_2)
	v_add_f64_e64 v[2:3], v[42:43], -v[2:3]
	v_add_f64_e64 v[4:5], v[44:45], -v[4:5]
	scratch_store_b128 off, v[2:5], off offset:272
	v_cmpx_lt_u32_e32 15, v0
	s_cbranch_execz .LBB55_319
; %bb.318:
	scratch_load_b128 v[5:8], off, s54
	v_dual_mov_b32 v2, v1 :: v_dual_mov_b32 v3, v1
	v_mov_b32_e32 v4, v1
	scratch_store_b128 off, v[1:4], off offset:256
	s_wait_loadcnt 0x0
	ds_store_b128 v158, v[5:8]
.LBB55_319:
	s_wait_alu 0xfffe
	s_or_b32 exec_lo, exec_lo, s0
	s_wait_storecnt_dscnt 0x0
	s_barrier_signal -1
	s_barrier_wait -1
	global_inv scope:SCOPE_SE
	s_clause 0x8
	scratch_load_b128 v[2:5], off, off offset:272
	scratch_load_b128 v[6:9], off, off offset:288
	;; [unrolled: 1-line block ×9, first 2 shown]
	ds_load_b128 v[42:45], v1 offset:1152
	ds_load_b128 v[38:41], v1 offset:1168
	s_clause 0x1
	scratch_load_b128 v[159:162], off, off offset:256
	scratch_load_b128 v[163:166], off, off offset:416
	s_mov_b32 s0, exec_lo
	s_wait_loadcnt_dscnt 0xa01
	v_mul_f64_e32 v[167:168], v[44:45], v[4:5]
	v_mul_f64_e32 v[4:5], v[42:43], v[4:5]
	s_wait_loadcnt_dscnt 0x900
	v_mul_f64_e32 v[171:172], v[38:39], v[8:9]
	v_mul_f64_e32 v[8:9], v[40:41], v[8:9]
	s_delay_alu instid0(VALU_DEP_4) | instskip(NEXT) | instid1(VALU_DEP_4)
	v_fma_f64 v[173:174], v[42:43], v[2:3], -v[167:168]
	v_fma_f64 v[175:176], v[44:45], v[2:3], v[4:5]
	ds_load_b128 v[2:5], v1 offset:1184
	ds_load_b128 v[167:170], v1 offset:1200
	scratch_load_b128 v[42:45], off, off offset:432
	v_fma_f64 v[40:41], v[40:41], v[6:7], v[171:172]
	v_fma_f64 v[38:39], v[38:39], v[6:7], -v[8:9]
	scratch_load_b128 v[6:9], off, off offset:448
	s_wait_loadcnt_dscnt 0xa01
	v_mul_f64_e32 v[177:178], v[2:3], v[12:13]
	v_mul_f64_e32 v[12:13], v[4:5], v[12:13]
	v_add_f64_e32 v[171:172], 0, v[173:174]
	v_add_f64_e32 v[173:174], 0, v[175:176]
	s_wait_loadcnt_dscnt 0x900
	v_mul_f64_e32 v[175:176], v[167:168], v[16:17]
	v_mul_f64_e32 v[16:17], v[169:170], v[16:17]
	v_fma_f64 v[177:178], v[4:5], v[10:11], v[177:178]
	v_fma_f64 v[179:180], v[2:3], v[10:11], -v[12:13]
	ds_load_b128 v[2:5], v1 offset:1216
	scratch_load_b128 v[10:13], off, off offset:464
	v_add_f64_e32 v[171:172], v[171:172], v[38:39]
	v_add_f64_e32 v[173:174], v[173:174], v[40:41]
	ds_load_b128 v[38:41], v1 offset:1232
	v_fma_f64 v[169:170], v[169:170], v[14:15], v[175:176]
	v_fma_f64 v[167:168], v[167:168], v[14:15], -v[16:17]
	scratch_load_b128 v[14:17], off, off offset:480
	s_wait_loadcnt_dscnt 0xa01
	v_mul_f64_e32 v[181:182], v[2:3], v[20:21]
	v_mul_f64_e32 v[20:21], v[4:5], v[20:21]
	s_wait_loadcnt_dscnt 0x900
	v_mul_f64_e32 v[175:176], v[38:39], v[24:25]
	v_mul_f64_e32 v[24:25], v[40:41], v[24:25]
	v_add_f64_e32 v[171:172], v[171:172], v[179:180]
	v_add_f64_e32 v[173:174], v[173:174], v[177:178]
	v_fma_f64 v[177:178], v[4:5], v[18:19], v[181:182]
	v_fma_f64 v[179:180], v[2:3], v[18:19], -v[20:21]
	ds_load_b128 v[2:5], v1 offset:1248
	scratch_load_b128 v[18:21], off, off offset:496
	v_fma_f64 v[40:41], v[40:41], v[22:23], v[175:176]
	v_fma_f64 v[38:39], v[38:39], v[22:23], -v[24:25]
	scratch_load_b128 v[22:25], off, off offset:512
	v_add_f64_e32 v[171:172], v[171:172], v[167:168]
	v_add_f64_e32 v[173:174], v[173:174], v[169:170]
	ds_load_b128 v[167:170], v1 offset:1264
	s_wait_loadcnt_dscnt 0xa01
	v_mul_f64_e32 v[181:182], v[2:3], v[28:29]
	v_mul_f64_e32 v[28:29], v[4:5], v[28:29]
	s_wait_loadcnt_dscnt 0x900
	v_mul_f64_e32 v[175:176], v[167:168], v[32:33]
	v_mul_f64_e32 v[32:33], v[169:170], v[32:33]
	v_add_f64_e32 v[171:172], v[171:172], v[179:180]
	v_add_f64_e32 v[173:174], v[173:174], v[177:178]
	v_fma_f64 v[177:178], v[4:5], v[26:27], v[181:182]
	v_fma_f64 v[179:180], v[2:3], v[26:27], -v[28:29]
	ds_load_b128 v[2:5], v1 offset:1280
	scratch_load_b128 v[26:29], off, off offset:528
	v_fma_f64 v[169:170], v[169:170], v[30:31], v[175:176]
	v_fma_f64 v[167:168], v[167:168], v[30:31], -v[32:33]
	scratch_load_b128 v[30:33], off, off offset:544
	v_add_f64_e32 v[171:172], v[171:172], v[38:39]
	v_add_f64_e32 v[173:174], v[173:174], v[40:41]
	ds_load_b128 v[38:41], v1 offset:1296
	s_wait_loadcnt_dscnt 0xa01
	v_mul_f64_e32 v[181:182], v[2:3], v[36:37]
	v_mul_f64_e32 v[36:37], v[4:5], v[36:37]
	s_wait_loadcnt_dscnt 0x800
	v_mul_f64_e32 v[175:176], v[38:39], v[165:166]
	v_add_f64_e32 v[171:172], v[171:172], v[179:180]
	v_add_f64_e32 v[173:174], v[173:174], v[177:178]
	v_mul_f64_e32 v[177:178], v[40:41], v[165:166]
	v_fma_f64 v[179:180], v[4:5], v[34:35], v[181:182]
	v_fma_f64 v[181:182], v[2:3], v[34:35], -v[36:37]
	ds_load_b128 v[2:5], v1 offset:1312
	scratch_load_b128 v[34:37], off, off offset:560
	v_fma_f64 v[175:176], v[40:41], v[163:164], v[175:176]
	v_add_f64_e32 v[171:172], v[171:172], v[167:168]
	v_add_f64_e32 v[169:170], v[173:174], v[169:170]
	ds_load_b128 v[165:168], v1 offset:1328
	v_fma_f64 v[163:164], v[38:39], v[163:164], -v[177:178]
	scratch_load_b128 v[38:41], off, off offset:576
	s_wait_loadcnt_dscnt 0x901
	v_mul_f64_e32 v[173:174], v[2:3], v[44:45]
	v_mul_f64_e32 v[44:45], v[4:5], v[44:45]
	s_wait_loadcnt_dscnt 0x800
	v_mul_f64_e32 v[177:178], v[165:166], v[8:9]
	v_mul_f64_e32 v[8:9], v[167:168], v[8:9]
	v_add_f64_e32 v[171:172], v[171:172], v[181:182]
	v_add_f64_e32 v[169:170], v[169:170], v[179:180]
	v_fma_f64 v[173:174], v[4:5], v[42:43], v[173:174]
	v_fma_f64 v[179:180], v[2:3], v[42:43], -v[44:45]
	ds_load_b128 v[2:5], v1 offset:1344
	scratch_load_b128 v[42:45], off, off offset:592
	v_fma_f64 v[167:168], v[167:168], v[6:7], v[177:178]
	v_fma_f64 v[165:166], v[165:166], v[6:7], -v[8:9]
	scratch_load_b128 v[6:9], off, off offset:608
	v_add_f64_e32 v[163:164], v[171:172], v[163:164]
	v_add_f64_e32 v[175:176], v[169:170], v[175:176]
	ds_load_b128 v[169:172], v1 offset:1360
	s_wait_loadcnt_dscnt 0x901
	v_mul_f64_e32 v[181:182], v[2:3], v[12:13]
	v_mul_f64_e32 v[12:13], v[4:5], v[12:13]
	v_add_f64_e32 v[163:164], v[163:164], v[179:180]
	v_add_f64_e32 v[173:174], v[175:176], v[173:174]
	s_wait_loadcnt_dscnt 0x800
	v_mul_f64_e32 v[175:176], v[169:170], v[16:17]
	v_mul_f64_e32 v[16:17], v[171:172], v[16:17]
	v_fma_f64 v[177:178], v[4:5], v[10:11], v[181:182]
	v_fma_f64 v[179:180], v[2:3], v[10:11], -v[12:13]
	ds_load_b128 v[2:5], v1 offset:1376
	scratch_load_b128 v[10:13], off, off offset:624
	v_add_f64_e32 v[181:182], v[163:164], v[165:166]
	v_add_f64_e32 v[167:168], v[173:174], v[167:168]
	ds_load_b128 v[163:166], v1 offset:1392
	s_wait_loadcnt_dscnt 0x801
	v_mul_f64_e32 v[173:174], v[2:3], v[20:21]
	v_mul_f64_e32 v[20:21], v[4:5], v[20:21]
	v_fma_f64 v[171:172], v[171:172], v[14:15], v[175:176]
	v_fma_f64 v[169:170], v[169:170], v[14:15], -v[16:17]
	scratch_load_b128 v[14:17], off, off offset:640
	v_add_f64_e32 v[175:176], v[181:182], v[179:180]
	v_add_f64_e32 v[167:168], v[167:168], v[177:178]
	s_wait_loadcnt_dscnt 0x800
	v_mul_f64_e32 v[177:178], v[163:164], v[24:25]
	v_mul_f64_e32 v[24:25], v[165:166], v[24:25]
	v_fma_f64 v[173:174], v[4:5], v[18:19], v[173:174]
	v_fma_f64 v[179:180], v[2:3], v[18:19], -v[20:21]
	ds_load_b128 v[2:5], v1 offset:1408
	scratch_load_b128 v[18:21], off, off offset:656
	v_add_f64_e32 v[175:176], v[175:176], v[169:170]
	v_add_f64_e32 v[171:172], v[167:168], v[171:172]
	ds_load_b128 v[167:170], v1 offset:1424
	s_wait_loadcnt_dscnt 0x801
	v_mul_f64_e32 v[181:182], v[2:3], v[28:29]
	v_mul_f64_e32 v[28:29], v[4:5], v[28:29]
	v_fma_f64 v[165:166], v[165:166], v[22:23], v[177:178]
	v_fma_f64 v[163:164], v[163:164], v[22:23], -v[24:25]
	scratch_load_b128 v[22:25], off, off offset:672
	;; [unrolled: 18-line block ×4, first 2 shown]
	s_wait_loadcnt_dscnt 0x800
	v_mul_f64_e32 v[175:176], v[167:168], v[8:9]
	v_mul_f64_e32 v[8:9], v[169:170], v[8:9]
	v_add_f64_e32 v[173:174], v[173:174], v[179:180]
	v_add_f64_e32 v[171:172], v[171:172], v[177:178]
	v_fma_f64 v[177:178], v[4:5], v[42:43], v[181:182]
	v_fma_f64 v[179:180], v[2:3], v[42:43], -v[44:45]
	ds_load_b128 v[2:5], v1 offset:1504
	scratch_load_b128 v[42:45], off, off offset:752
	v_fma_f64 v[169:170], v[169:170], v[6:7], v[175:176]
	v_fma_f64 v[167:168], v[167:168], v[6:7], -v[8:9]
	scratch_load_b128 v[6:9], off, off offset:768
	v_add_f64_e32 v[173:174], v[173:174], v[163:164]
	v_add_f64_e32 v[171:172], v[171:172], v[165:166]
	ds_load_b128 v[163:166], v1 offset:1520
	s_wait_loadcnt_dscnt 0x901
	v_mul_f64_e32 v[181:182], v[2:3], v[12:13]
	v_mul_f64_e32 v[12:13], v[4:5], v[12:13]
	s_wait_loadcnt_dscnt 0x800
	v_mul_f64_e32 v[175:176], v[163:164], v[16:17]
	v_mul_f64_e32 v[16:17], v[165:166], v[16:17]
	v_add_f64_e32 v[173:174], v[173:174], v[179:180]
	v_add_f64_e32 v[171:172], v[171:172], v[177:178]
	v_fma_f64 v[177:178], v[4:5], v[10:11], v[181:182]
	v_fma_f64 v[179:180], v[2:3], v[10:11], -v[12:13]
	ds_load_b128 v[2:5], v1 offset:1536
	scratch_load_b128 v[10:13], off, off offset:784
	v_fma_f64 v[165:166], v[165:166], v[14:15], v[175:176]
	v_fma_f64 v[163:164], v[163:164], v[14:15], -v[16:17]
	scratch_load_b128 v[14:17], off, off offset:800
	v_add_f64_e32 v[173:174], v[173:174], v[167:168]
	v_add_f64_e32 v[171:172], v[171:172], v[169:170]
	ds_load_b128 v[167:170], v1 offset:1552
	s_wait_loadcnt_dscnt 0x901
	v_mul_f64_e32 v[181:182], v[2:3], v[20:21]
	v_mul_f64_e32 v[20:21], v[4:5], v[20:21]
	;; [unrolled: 18-line block ×5, first 2 shown]
	s_wait_loadcnt_dscnt 0x800
	v_mul_f64_e32 v[175:176], v[163:164], v[8:9]
	v_mul_f64_e32 v[8:9], v[165:166], v[8:9]
	v_add_f64_e32 v[173:174], v[173:174], v[179:180]
	v_add_f64_e32 v[171:172], v[171:172], v[177:178]
	v_fma_f64 v[177:178], v[4:5], v[42:43], v[181:182]
	v_fma_f64 v[179:180], v[2:3], v[42:43], -v[44:45]
	ds_load_b128 v[2:5], v1 offset:1664
	ds_load_b128 v[42:45], v1 offset:1680
	v_fma_f64 v[165:166], v[165:166], v[6:7], v[175:176]
	v_fma_f64 v[6:7], v[163:164], v[6:7], -v[8:9]
	v_add_f64_e32 v[167:168], v[173:174], v[167:168]
	v_add_f64_e32 v[169:170], v[171:172], v[169:170]
	s_wait_loadcnt_dscnt 0x701
	v_mul_f64_e32 v[171:172], v[2:3], v[12:13]
	v_mul_f64_e32 v[12:13], v[4:5], v[12:13]
	s_delay_alu instid0(VALU_DEP_4) | instskip(NEXT) | instid1(VALU_DEP_4)
	v_add_f64_e32 v[8:9], v[167:168], v[179:180]
	v_add_f64_e32 v[163:164], v[169:170], v[177:178]
	s_wait_loadcnt_dscnt 0x600
	v_mul_f64_e32 v[167:168], v[42:43], v[16:17]
	v_mul_f64_e32 v[16:17], v[44:45], v[16:17]
	v_fma_f64 v[169:170], v[4:5], v[10:11], v[171:172]
	v_fma_f64 v[10:11], v[2:3], v[10:11], -v[12:13]
	v_add_f64_e32 v[12:13], v[8:9], v[6:7]
	v_add_f64_e32 v[163:164], v[163:164], v[165:166]
	ds_load_b128 v[2:5], v1 offset:1696
	ds_load_b128 v[6:9], v1 offset:1712
	v_fma_f64 v[44:45], v[44:45], v[14:15], v[167:168]
	v_fma_f64 v[14:15], v[42:43], v[14:15], -v[16:17]
	s_wait_loadcnt_dscnt 0x501
	v_mul_f64_e32 v[165:166], v[2:3], v[20:21]
	v_mul_f64_e32 v[20:21], v[4:5], v[20:21]
	s_wait_loadcnt_dscnt 0x400
	v_mul_f64_e32 v[16:17], v[6:7], v[24:25]
	v_mul_f64_e32 v[24:25], v[8:9], v[24:25]
	v_add_f64_e32 v[10:11], v[12:13], v[10:11]
	v_add_f64_e32 v[12:13], v[163:164], v[169:170]
	v_fma_f64 v[42:43], v[4:5], v[18:19], v[165:166]
	v_fma_f64 v[18:19], v[2:3], v[18:19], -v[20:21]
	v_fma_f64 v[8:9], v[8:9], v[22:23], v[16:17]
	v_fma_f64 v[6:7], v[6:7], v[22:23], -v[24:25]
	v_add_f64_e32 v[14:15], v[10:11], v[14:15]
	v_add_f64_e32 v[20:21], v[12:13], v[44:45]
	ds_load_b128 v[2:5], v1 offset:1728
	ds_load_b128 v[10:13], v1 offset:1744
	s_wait_loadcnt_dscnt 0x301
	v_mul_f64_e32 v[44:45], v[2:3], v[28:29]
	v_mul_f64_e32 v[28:29], v[4:5], v[28:29]
	v_add_f64_e32 v[14:15], v[14:15], v[18:19]
	v_add_f64_e32 v[16:17], v[20:21], v[42:43]
	s_wait_loadcnt_dscnt 0x200
	v_mul_f64_e32 v[18:19], v[10:11], v[32:33]
	v_mul_f64_e32 v[20:21], v[12:13], v[32:33]
	v_fma_f64 v[22:23], v[4:5], v[26:27], v[44:45]
	v_fma_f64 v[24:25], v[2:3], v[26:27], -v[28:29]
	v_add_f64_e32 v[14:15], v[14:15], v[6:7]
	v_add_f64_e32 v[16:17], v[16:17], v[8:9]
	ds_load_b128 v[2:5], v1 offset:1760
	ds_load_b128 v[6:9], v1 offset:1776
	v_fma_f64 v[12:13], v[12:13], v[30:31], v[18:19]
	v_fma_f64 v[10:11], v[10:11], v[30:31], -v[20:21]
	s_wait_loadcnt_dscnt 0x101
	v_mul_f64_e32 v[26:27], v[2:3], v[36:37]
	v_mul_f64_e32 v[28:29], v[4:5], v[36:37]
	s_wait_loadcnt_dscnt 0x0
	v_mul_f64_e32 v[18:19], v[6:7], v[40:41]
	v_mul_f64_e32 v[20:21], v[8:9], v[40:41]
	v_add_f64_e32 v[14:15], v[14:15], v[24:25]
	v_add_f64_e32 v[16:17], v[16:17], v[22:23]
	v_fma_f64 v[4:5], v[4:5], v[34:35], v[26:27]
	v_fma_f64 v[1:2], v[2:3], v[34:35], -v[28:29]
	v_fma_f64 v[8:9], v[8:9], v[38:39], v[18:19]
	v_fma_f64 v[6:7], v[6:7], v[38:39], -v[20:21]
	v_add_f64_e32 v[10:11], v[14:15], v[10:11]
	v_add_f64_e32 v[12:13], v[16:17], v[12:13]
	s_delay_alu instid0(VALU_DEP_2) | instskip(NEXT) | instid1(VALU_DEP_2)
	v_add_f64_e32 v[1:2], v[10:11], v[1:2]
	v_add_f64_e32 v[3:4], v[12:13], v[4:5]
	s_delay_alu instid0(VALU_DEP_2) | instskip(NEXT) | instid1(VALU_DEP_2)
	;; [unrolled: 3-line block ×3, first 2 shown]
	v_add_f64_e64 v[1:2], v[159:160], -v[1:2]
	v_add_f64_e64 v[3:4], v[161:162], -v[3:4]
	scratch_store_b128 off, v[1:4], off offset:256
	v_cmpx_lt_u32_e32 14, v0
	s_cbranch_execz .LBB55_321
; %bb.320:
	scratch_load_b128 v[1:4], off, s55
	v_mov_b32_e32 v5, 0
	s_delay_alu instid0(VALU_DEP_1)
	v_dual_mov_b32 v6, v5 :: v_dual_mov_b32 v7, v5
	v_mov_b32_e32 v8, v5
	scratch_store_b128 off, v[5:8], off offset:240
	s_wait_loadcnt 0x0
	ds_store_b128 v158, v[1:4]
.LBB55_321:
	s_wait_alu 0xfffe
	s_or_b32 exec_lo, exec_lo, s0
	s_wait_storecnt_dscnt 0x0
	s_barrier_signal -1
	s_barrier_wait -1
	global_inv scope:SCOPE_SE
	s_clause 0x7
	scratch_load_b128 v[2:5], off, off offset:256
	scratch_load_b128 v[6:9], off, off offset:272
	;; [unrolled: 1-line block ×8, first 2 shown]
	v_mov_b32_e32 v1, 0
	s_mov_b32 s0, exec_lo
	ds_load_b128 v[38:41], v1 offset:1136
	s_clause 0x1
	scratch_load_b128 v[34:37], off, off offset:384
	scratch_load_b128 v[42:45], off, off offset:240
	ds_load_b128 v[159:162], v1 offset:1152
	scratch_load_b128 v[163:166], off, off offset:400
	s_wait_loadcnt_dscnt 0xa01
	v_mul_f64_e32 v[167:168], v[40:41], v[4:5]
	v_mul_f64_e32 v[4:5], v[38:39], v[4:5]
	s_delay_alu instid0(VALU_DEP_2) | instskip(NEXT) | instid1(VALU_DEP_2)
	v_fma_f64 v[173:174], v[38:39], v[2:3], -v[167:168]
	v_fma_f64 v[175:176], v[40:41], v[2:3], v[4:5]
	ds_load_b128 v[2:5], v1 offset:1168
	s_wait_loadcnt_dscnt 0x901
	v_mul_f64_e32 v[171:172], v[159:160], v[8:9]
	v_mul_f64_e32 v[8:9], v[161:162], v[8:9]
	scratch_load_b128 v[38:41], off, off offset:416
	ds_load_b128 v[167:170], v1 offset:1184
	s_wait_loadcnt_dscnt 0x901
	v_mul_f64_e32 v[177:178], v[2:3], v[12:13]
	v_mul_f64_e32 v[12:13], v[4:5], v[12:13]
	v_fma_f64 v[161:162], v[161:162], v[6:7], v[171:172]
	v_fma_f64 v[159:160], v[159:160], v[6:7], -v[8:9]
	v_add_f64_e32 v[171:172], 0, v[173:174]
	v_add_f64_e32 v[173:174], 0, v[175:176]
	scratch_load_b128 v[6:9], off, off offset:432
	v_fma_f64 v[177:178], v[4:5], v[10:11], v[177:178]
	v_fma_f64 v[179:180], v[2:3], v[10:11], -v[12:13]
	ds_load_b128 v[2:5], v1 offset:1200
	s_wait_loadcnt_dscnt 0x901
	v_mul_f64_e32 v[175:176], v[167:168], v[16:17]
	v_mul_f64_e32 v[16:17], v[169:170], v[16:17]
	scratch_load_b128 v[10:13], off, off offset:448
	v_add_f64_e32 v[171:172], v[171:172], v[159:160]
	v_add_f64_e32 v[173:174], v[173:174], v[161:162]
	s_wait_loadcnt_dscnt 0x900
	v_mul_f64_e32 v[181:182], v[2:3], v[20:21]
	v_mul_f64_e32 v[20:21], v[4:5], v[20:21]
	ds_load_b128 v[159:162], v1 offset:1216
	v_fma_f64 v[169:170], v[169:170], v[14:15], v[175:176]
	v_fma_f64 v[167:168], v[167:168], v[14:15], -v[16:17]
	scratch_load_b128 v[14:17], off, off offset:464
	v_add_f64_e32 v[171:172], v[171:172], v[179:180]
	v_add_f64_e32 v[173:174], v[173:174], v[177:178]
	v_fma_f64 v[177:178], v[4:5], v[18:19], v[181:182]
	v_fma_f64 v[179:180], v[2:3], v[18:19], -v[20:21]
	ds_load_b128 v[2:5], v1 offset:1232
	s_wait_loadcnt_dscnt 0x901
	v_mul_f64_e32 v[175:176], v[159:160], v[24:25]
	v_mul_f64_e32 v[24:25], v[161:162], v[24:25]
	scratch_load_b128 v[18:21], off, off offset:480
	s_wait_loadcnt_dscnt 0x900
	v_mul_f64_e32 v[181:182], v[2:3], v[28:29]
	v_mul_f64_e32 v[28:29], v[4:5], v[28:29]
	v_add_f64_e32 v[171:172], v[171:172], v[167:168]
	v_add_f64_e32 v[173:174], v[173:174], v[169:170]
	ds_load_b128 v[167:170], v1 offset:1248
	v_fma_f64 v[161:162], v[161:162], v[22:23], v[175:176]
	v_fma_f64 v[159:160], v[159:160], v[22:23], -v[24:25]
	scratch_load_b128 v[22:25], off, off offset:496
	v_add_f64_e32 v[171:172], v[171:172], v[179:180]
	v_add_f64_e32 v[173:174], v[173:174], v[177:178]
	v_fma_f64 v[177:178], v[4:5], v[26:27], v[181:182]
	v_fma_f64 v[179:180], v[2:3], v[26:27], -v[28:29]
	ds_load_b128 v[2:5], v1 offset:1264
	s_wait_loadcnt_dscnt 0x901
	v_mul_f64_e32 v[175:176], v[167:168], v[32:33]
	v_mul_f64_e32 v[32:33], v[169:170], v[32:33]
	scratch_load_b128 v[26:29], off, off offset:512
	s_wait_loadcnt_dscnt 0x900
	v_mul_f64_e32 v[181:182], v[2:3], v[36:37]
	v_mul_f64_e32 v[36:37], v[4:5], v[36:37]
	v_add_f64_e32 v[171:172], v[171:172], v[159:160]
	v_add_f64_e32 v[173:174], v[173:174], v[161:162]
	ds_load_b128 v[159:162], v1 offset:1280
	v_fma_f64 v[169:170], v[169:170], v[30:31], v[175:176]
	v_fma_f64 v[167:168], v[167:168], v[30:31], -v[32:33]
	scratch_load_b128 v[30:33], off, off offset:528
	v_add_f64_e32 v[171:172], v[171:172], v[179:180]
	v_add_f64_e32 v[173:174], v[173:174], v[177:178]
	v_fma_f64 v[179:180], v[4:5], v[34:35], v[181:182]
	v_fma_f64 v[181:182], v[2:3], v[34:35], -v[36:37]
	ds_load_b128 v[2:5], v1 offset:1296
	s_wait_loadcnt_dscnt 0x801
	v_mul_f64_e32 v[175:176], v[159:160], v[165:166]
	v_mul_f64_e32 v[177:178], v[161:162], v[165:166]
	scratch_load_b128 v[34:37], off, off offset:544
	v_add_f64_e32 v[171:172], v[171:172], v[167:168]
	v_add_f64_e32 v[169:170], v[173:174], v[169:170]
	ds_load_b128 v[165:168], v1 offset:1312
	v_fma_f64 v[175:176], v[161:162], v[163:164], v[175:176]
	v_fma_f64 v[163:164], v[159:160], v[163:164], -v[177:178]
	scratch_load_b128 v[159:162], off, off offset:560
	s_wait_loadcnt_dscnt 0x901
	v_mul_f64_e32 v[173:174], v[2:3], v[40:41]
	v_mul_f64_e32 v[40:41], v[4:5], v[40:41]
	v_add_f64_e32 v[171:172], v[171:172], v[181:182]
	v_add_f64_e32 v[169:170], v[169:170], v[179:180]
	s_delay_alu instid0(VALU_DEP_4) | instskip(NEXT) | instid1(VALU_DEP_4)
	v_fma_f64 v[173:174], v[4:5], v[38:39], v[173:174]
	v_fma_f64 v[179:180], v[2:3], v[38:39], -v[40:41]
	ds_load_b128 v[2:5], v1 offset:1328
	s_wait_loadcnt_dscnt 0x801
	v_mul_f64_e32 v[177:178], v[165:166], v[8:9]
	v_mul_f64_e32 v[8:9], v[167:168], v[8:9]
	scratch_load_b128 v[38:41], off, off offset:576
	s_wait_loadcnt_dscnt 0x800
	v_mul_f64_e32 v[181:182], v[2:3], v[12:13]
	v_add_f64_e32 v[163:164], v[171:172], v[163:164]
	v_add_f64_e32 v[175:176], v[169:170], v[175:176]
	v_mul_f64_e32 v[12:13], v[4:5], v[12:13]
	ds_load_b128 v[169:172], v1 offset:1344
	v_fma_f64 v[167:168], v[167:168], v[6:7], v[177:178]
	v_fma_f64 v[165:166], v[165:166], v[6:7], -v[8:9]
	scratch_load_b128 v[6:9], off, off offset:592
	v_fma_f64 v[177:178], v[4:5], v[10:11], v[181:182]
	v_add_f64_e32 v[163:164], v[163:164], v[179:180]
	v_add_f64_e32 v[173:174], v[175:176], v[173:174]
	v_fma_f64 v[179:180], v[2:3], v[10:11], -v[12:13]
	ds_load_b128 v[2:5], v1 offset:1360
	s_wait_loadcnt_dscnt 0x801
	v_mul_f64_e32 v[175:176], v[169:170], v[16:17]
	v_mul_f64_e32 v[16:17], v[171:172], v[16:17]
	scratch_load_b128 v[10:13], off, off offset:608
	v_add_f64_e32 v[181:182], v[163:164], v[165:166]
	v_add_f64_e32 v[167:168], v[173:174], v[167:168]
	s_wait_loadcnt_dscnt 0x800
	v_mul_f64_e32 v[173:174], v[2:3], v[20:21]
	v_mul_f64_e32 v[20:21], v[4:5], v[20:21]
	v_fma_f64 v[171:172], v[171:172], v[14:15], v[175:176]
	v_fma_f64 v[169:170], v[169:170], v[14:15], -v[16:17]
	ds_load_b128 v[163:166], v1 offset:1376
	scratch_load_b128 v[14:17], off, off offset:624
	v_add_f64_e32 v[175:176], v[181:182], v[179:180]
	v_add_f64_e32 v[167:168], v[167:168], v[177:178]
	v_fma_f64 v[173:174], v[4:5], v[18:19], v[173:174]
	v_fma_f64 v[179:180], v[2:3], v[18:19], -v[20:21]
	ds_load_b128 v[2:5], v1 offset:1392
	s_wait_loadcnt_dscnt 0x801
	v_mul_f64_e32 v[177:178], v[163:164], v[24:25]
	v_mul_f64_e32 v[24:25], v[165:166], v[24:25]
	scratch_load_b128 v[18:21], off, off offset:640
	s_wait_loadcnt_dscnt 0x800
	v_mul_f64_e32 v[181:182], v[2:3], v[28:29]
	v_mul_f64_e32 v[28:29], v[4:5], v[28:29]
	v_add_f64_e32 v[175:176], v[175:176], v[169:170]
	v_add_f64_e32 v[171:172], v[167:168], v[171:172]
	ds_load_b128 v[167:170], v1 offset:1408
	v_fma_f64 v[165:166], v[165:166], v[22:23], v[177:178]
	v_fma_f64 v[163:164], v[163:164], v[22:23], -v[24:25]
	scratch_load_b128 v[22:25], off, off offset:656
	v_fma_f64 v[177:178], v[4:5], v[26:27], v[181:182]
	v_add_f64_e32 v[175:176], v[175:176], v[179:180]
	v_add_f64_e32 v[171:172], v[171:172], v[173:174]
	v_fma_f64 v[179:180], v[2:3], v[26:27], -v[28:29]
	ds_load_b128 v[2:5], v1 offset:1424
	s_wait_loadcnt_dscnt 0x801
	v_mul_f64_e32 v[173:174], v[167:168], v[32:33]
	v_mul_f64_e32 v[32:33], v[169:170], v[32:33]
	scratch_load_b128 v[26:29], off, off offset:672
	s_wait_loadcnt_dscnt 0x800
	v_mul_f64_e32 v[181:182], v[2:3], v[36:37]
	v_mul_f64_e32 v[36:37], v[4:5], v[36:37]
	v_add_f64_e32 v[175:176], v[175:176], v[163:164]
	v_add_f64_e32 v[171:172], v[171:172], v[165:166]
	ds_load_b128 v[163:166], v1 offset:1440
	v_fma_f64 v[169:170], v[169:170], v[30:31], v[173:174]
	v_fma_f64 v[167:168], v[167:168], v[30:31], -v[32:33]
	scratch_load_b128 v[30:33], off, off offset:688
	v_add_f64_e32 v[173:174], v[175:176], v[179:180]
	v_add_f64_e32 v[171:172], v[171:172], v[177:178]
	v_fma_f64 v[177:178], v[4:5], v[34:35], v[181:182]
	v_fma_f64 v[179:180], v[2:3], v[34:35], -v[36:37]
	ds_load_b128 v[2:5], v1 offset:1456
	s_wait_loadcnt_dscnt 0x801
	v_mul_f64_e32 v[175:176], v[163:164], v[161:162]
	v_mul_f64_e32 v[161:162], v[165:166], v[161:162]
	scratch_load_b128 v[34:37], off, off offset:704
	s_wait_loadcnt_dscnt 0x800
	v_mul_f64_e32 v[181:182], v[2:3], v[40:41]
	v_mul_f64_e32 v[40:41], v[4:5], v[40:41]
	v_add_f64_e32 v[173:174], v[173:174], v[167:168]
	v_add_f64_e32 v[171:172], v[171:172], v[169:170]
	ds_load_b128 v[167:170], v1 offset:1472
	v_fma_f64 v[165:166], v[165:166], v[159:160], v[175:176]
	v_fma_f64 v[163:164], v[163:164], v[159:160], -v[161:162]
	scratch_load_b128 v[159:162], off, off offset:720
	v_add_f64_e32 v[173:174], v[173:174], v[179:180]
	v_add_f64_e32 v[171:172], v[171:172], v[177:178]
	v_fma_f64 v[177:178], v[4:5], v[38:39], v[181:182]
	;; [unrolled: 18-line block ×6, first 2 shown]
	v_fma_f64 v[181:182], v[2:3], v[34:35], -v[36:37]
	ds_load_b128 v[2:5], v1 offset:1616
	s_wait_loadcnt_dscnt 0x801
	v_mul_f64_e32 v[175:176], v[167:168], v[161:162]
	v_mul_f64_e32 v[177:178], v[169:170], v[161:162]
	scratch_load_b128 v[34:37], off, off offset:864
	v_add_f64_e32 v[173:174], v[173:174], v[163:164]
	v_add_f64_e32 v[165:166], v[171:172], v[165:166]
	s_wait_loadcnt_dscnt 0x800
	v_mul_f64_e32 v[171:172], v[2:3], v[40:41]
	v_mul_f64_e32 v[40:41], v[4:5], v[40:41]
	ds_load_b128 v[161:164], v1 offset:1632
	v_fma_f64 v[169:170], v[169:170], v[159:160], v[175:176]
	v_fma_f64 v[159:160], v[167:168], v[159:160], -v[177:178]
	v_add_f64_e32 v[173:174], v[173:174], v[181:182]
	v_add_f64_e32 v[175:176], v[165:166], v[179:180]
	scratch_load_b128 v[165:168], off, off offset:880
	v_fma_f64 v[179:180], v[4:5], v[38:39], v[171:172]
	v_fma_f64 v[181:182], v[2:3], v[38:39], -v[40:41]
	ds_load_b128 v[2:5], v1 offset:1648
	s_wait_loadcnt_dscnt 0x801
	v_mul_f64_e32 v[177:178], v[161:162], v[8:9]
	v_mul_f64_e32 v[8:9], v[163:164], v[8:9]
	scratch_load_b128 v[38:41], off, off offset:896
	v_add_f64_e32 v[159:160], v[173:174], v[159:160]
	v_add_f64_e32 v[173:174], v[175:176], v[169:170]
	s_wait_loadcnt_dscnt 0x800
	v_mul_f64_e32 v[175:176], v[2:3], v[12:13]
	v_mul_f64_e32 v[12:13], v[4:5], v[12:13]
	ds_load_b128 v[169:172], v1 offset:1664
	v_fma_f64 v[163:164], v[163:164], v[6:7], v[177:178]
	v_fma_f64 v[6:7], v[161:162], v[6:7], -v[8:9]
	s_wait_loadcnt_dscnt 0x700
	v_mul_f64_e32 v[161:162], v[169:170], v[16:17]
	v_mul_f64_e32 v[16:17], v[171:172], v[16:17]
	v_add_f64_e32 v[8:9], v[159:160], v[181:182]
	v_add_f64_e32 v[159:160], v[173:174], v[179:180]
	v_fma_f64 v[173:174], v[4:5], v[10:11], v[175:176]
	v_fma_f64 v[10:11], v[2:3], v[10:11], -v[12:13]
	v_fma_f64 v[161:162], v[171:172], v[14:15], v[161:162]
	v_fma_f64 v[14:15], v[169:170], v[14:15], -v[16:17]
	v_add_f64_e32 v[12:13], v[8:9], v[6:7]
	v_add_f64_e32 v[159:160], v[159:160], v[163:164]
	ds_load_b128 v[2:5], v1 offset:1680
	ds_load_b128 v[6:9], v1 offset:1696
	s_wait_loadcnt_dscnt 0x601
	v_mul_f64_e32 v[163:164], v[2:3], v[20:21]
	v_mul_f64_e32 v[20:21], v[4:5], v[20:21]
	s_wait_loadcnt_dscnt 0x500
	v_mul_f64_e32 v[16:17], v[6:7], v[24:25]
	v_mul_f64_e32 v[24:25], v[8:9], v[24:25]
	v_add_f64_e32 v[10:11], v[12:13], v[10:11]
	v_add_f64_e32 v[12:13], v[159:160], v[173:174]
	v_fma_f64 v[159:160], v[4:5], v[18:19], v[163:164]
	v_fma_f64 v[18:19], v[2:3], v[18:19], -v[20:21]
	v_fma_f64 v[8:9], v[8:9], v[22:23], v[16:17]
	v_fma_f64 v[6:7], v[6:7], v[22:23], -v[24:25]
	v_add_f64_e32 v[14:15], v[10:11], v[14:15]
	v_add_f64_e32 v[20:21], v[12:13], v[161:162]
	ds_load_b128 v[2:5], v1 offset:1712
	ds_load_b128 v[10:13], v1 offset:1728
	s_wait_loadcnt_dscnt 0x401
	v_mul_f64_e32 v[161:162], v[2:3], v[28:29]
	v_mul_f64_e32 v[28:29], v[4:5], v[28:29]
	v_add_f64_e32 v[14:15], v[14:15], v[18:19]
	v_add_f64_e32 v[16:17], v[20:21], v[159:160]
	s_wait_loadcnt_dscnt 0x300
	v_mul_f64_e32 v[18:19], v[10:11], v[32:33]
	v_mul_f64_e32 v[20:21], v[12:13], v[32:33]
	v_fma_f64 v[22:23], v[4:5], v[26:27], v[161:162]
	v_fma_f64 v[24:25], v[2:3], v[26:27], -v[28:29]
	v_add_f64_e32 v[14:15], v[14:15], v[6:7]
	v_add_f64_e32 v[16:17], v[16:17], v[8:9]
	ds_load_b128 v[2:5], v1 offset:1744
	ds_load_b128 v[6:9], v1 offset:1760
	v_fma_f64 v[12:13], v[12:13], v[30:31], v[18:19]
	v_fma_f64 v[10:11], v[10:11], v[30:31], -v[20:21]
	s_wait_loadcnt_dscnt 0x201
	v_mul_f64_e32 v[26:27], v[2:3], v[36:37]
	v_mul_f64_e32 v[28:29], v[4:5], v[36:37]
	v_add_f64_e32 v[14:15], v[14:15], v[24:25]
	v_add_f64_e32 v[16:17], v[16:17], v[22:23]
	s_wait_loadcnt_dscnt 0x100
	v_mul_f64_e32 v[18:19], v[6:7], v[167:168]
	v_mul_f64_e32 v[20:21], v[8:9], v[167:168]
	v_fma_f64 v[22:23], v[4:5], v[34:35], v[26:27]
	v_fma_f64 v[24:25], v[2:3], v[34:35], -v[28:29]
	ds_load_b128 v[2:5], v1 offset:1776
	v_add_f64_e32 v[10:11], v[14:15], v[10:11]
	v_add_f64_e32 v[12:13], v[16:17], v[12:13]
	s_wait_loadcnt_dscnt 0x0
	v_mul_f64_e32 v[14:15], v[2:3], v[40:41]
	v_mul_f64_e32 v[16:17], v[4:5], v[40:41]
	v_fma_f64 v[8:9], v[8:9], v[165:166], v[18:19]
	v_fma_f64 v[6:7], v[6:7], v[165:166], -v[20:21]
	v_add_f64_e32 v[10:11], v[10:11], v[24:25]
	v_add_f64_e32 v[12:13], v[12:13], v[22:23]
	v_fma_f64 v[4:5], v[4:5], v[38:39], v[14:15]
	v_fma_f64 v[2:3], v[2:3], v[38:39], -v[16:17]
	s_delay_alu instid0(VALU_DEP_4) | instskip(NEXT) | instid1(VALU_DEP_4)
	v_add_f64_e32 v[6:7], v[10:11], v[6:7]
	v_add_f64_e32 v[8:9], v[12:13], v[8:9]
	s_delay_alu instid0(VALU_DEP_2) | instskip(NEXT) | instid1(VALU_DEP_2)
	v_add_f64_e32 v[2:3], v[6:7], v[2:3]
	v_add_f64_e32 v[4:5], v[8:9], v[4:5]
	s_delay_alu instid0(VALU_DEP_2) | instskip(NEXT) | instid1(VALU_DEP_2)
	v_add_f64_e64 v[2:3], v[42:43], -v[2:3]
	v_add_f64_e64 v[4:5], v[44:45], -v[4:5]
	scratch_store_b128 off, v[2:5], off offset:240
	v_cmpx_lt_u32_e32 13, v0
	s_cbranch_execz .LBB55_323
; %bb.322:
	scratch_load_b128 v[5:8], off, s56
	v_dual_mov_b32 v2, v1 :: v_dual_mov_b32 v3, v1
	v_mov_b32_e32 v4, v1
	scratch_store_b128 off, v[1:4], off offset:224
	s_wait_loadcnt 0x0
	ds_store_b128 v158, v[5:8]
.LBB55_323:
	s_wait_alu 0xfffe
	s_or_b32 exec_lo, exec_lo, s0
	s_wait_storecnt_dscnt 0x0
	s_barrier_signal -1
	s_barrier_wait -1
	global_inv scope:SCOPE_SE
	s_clause 0x8
	scratch_load_b128 v[2:5], off, off offset:240
	scratch_load_b128 v[6:9], off, off offset:256
	;; [unrolled: 1-line block ×9, first 2 shown]
	ds_load_b128 v[42:45], v1 offset:1120
	ds_load_b128 v[38:41], v1 offset:1136
	s_clause 0x1
	scratch_load_b128 v[159:162], off, off offset:224
	scratch_load_b128 v[163:166], off, off offset:384
	s_mov_b32 s0, exec_lo
	s_wait_loadcnt_dscnt 0xa01
	v_mul_f64_e32 v[167:168], v[44:45], v[4:5]
	v_mul_f64_e32 v[4:5], v[42:43], v[4:5]
	s_wait_loadcnt_dscnt 0x900
	v_mul_f64_e32 v[171:172], v[38:39], v[8:9]
	v_mul_f64_e32 v[8:9], v[40:41], v[8:9]
	s_delay_alu instid0(VALU_DEP_4) | instskip(NEXT) | instid1(VALU_DEP_4)
	v_fma_f64 v[173:174], v[42:43], v[2:3], -v[167:168]
	v_fma_f64 v[175:176], v[44:45], v[2:3], v[4:5]
	ds_load_b128 v[2:5], v1 offset:1152
	ds_load_b128 v[167:170], v1 offset:1168
	scratch_load_b128 v[42:45], off, off offset:400
	v_fma_f64 v[40:41], v[40:41], v[6:7], v[171:172]
	v_fma_f64 v[38:39], v[38:39], v[6:7], -v[8:9]
	scratch_load_b128 v[6:9], off, off offset:416
	s_wait_loadcnt_dscnt 0xa01
	v_mul_f64_e32 v[177:178], v[2:3], v[12:13]
	v_mul_f64_e32 v[12:13], v[4:5], v[12:13]
	v_add_f64_e32 v[171:172], 0, v[173:174]
	v_add_f64_e32 v[173:174], 0, v[175:176]
	s_wait_loadcnt_dscnt 0x900
	v_mul_f64_e32 v[175:176], v[167:168], v[16:17]
	v_mul_f64_e32 v[16:17], v[169:170], v[16:17]
	v_fma_f64 v[177:178], v[4:5], v[10:11], v[177:178]
	v_fma_f64 v[179:180], v[2:3], v[10:11], -v[12:13]
	ds_load_b128 v[2:5], v1 offset:1184
	scratch_load_b128 v[10:13], off, off offset:432
	v_add_f64_e32 v[171:172], v[171:172], v[38:39]
	v_add_f64_e32 v[173:174], v[173:174], v[40:41]
	ds_load_b128 v[38:41], v1 offset:1200
	v_fma_f64 v[169:170], v[169:170], v[14:15], v[175:176]
	v_fma_f64 v[167:168], v[167:168], v[14:15], -v[16:17]
	scratch_load_b128 v[14:17], off, off offset:448
	s_wait_loadcnt_dscnt 0xa01
	v_mul_f64_e32 v[181:182], v[2:3], v[20:21]
	v_mul_f64_e32 v[20:21], v[4:5], v[20:21]
	s_wait_loadcnt_dscnt 0x900
	v_mul_f64_e32 v[175:176], v[38:39], v[24:25]
	v_mul_f64_e32 v[24:25], v[40:41], v[24:25]
	v_add_f64_e32 v[171:172], v[171:172], v[179:180]
	v_add_f64_e32 v[173:174], v[173:174], v[177:178]
	v_fma_f64 v[177:178], v[4:5], v[18:19], v[181:182]
	v_fma_f64 v[179:180], v[2:3], v[18:19], -v[20:21]
	ds_load_b128 v[2:5], v1 offset:1216
	scratch_load_b128 v[18:21], off, off offset:464
	v_fma_f64 v[40:41], v[40:41], v[22:23], v[175:176]
	v_fma_f64 v[38:39], v[38:39], v[22:23], -v[24:25]
	scratch_load_b128 v[22:25], off, off offset:480
	v_add_f64_e32 v[171:172], v[171:172], v[167:168]
	v_add_f64_e32 v[173:174], v[173:174], v[169:170]
	ds_load_b128 v[167:170], v1 offset:1232
	s_wait_loadcnt_dscnt 0xa01
	v_mul_f64_e32 v[181:182], v[2:3], v[28:29]
	v_mul_f64_e32 v[28:29], v[4:5], v[28:29]
	s_wait_loadcnt_dscnt 0x900
	v_mul_f64_e32 v[175:176], v[167:168], v[32:33]
	v_mul_f64_e32 v[32:33], v[169:170], v[32:33]
	v_add_f64_e32 v[171:172], v[171:172], v[179:180]
	v_add_f64_e32 v[173:174], v[173:174], v[177:178]
	v_fma_f64 v[177:178], v[4:5], v[26:27], v[181:182]
	v_fma_f64 v[179:180], v[2:3], v[26:27], -v[28:29]
	ds_load_b128 v[2:5], v1 offset:1248
	scratch_load_b128 v[26:29], off, off offset:496
	v_fma_f64 v[169:170], v[169:170], v[30:31], v[175:176]
	v_fma_f64 v[167:168], v[167:168], v[30:31], -v[32:33]
	scratch_load_b128 v[30:33], off, off offset:512
	v_add_f64_e32 v[171:172], v[171:172], v[38:39]
	v_add_f64_e32 v[173:174], v[173:174], v[40:41]
	ds_load_b128 v[38:41], v1 offset:1264
	s_wait_loadcnt_dscnt 0xa01
	v_mul_f64_e32 v[181:182], v[2:3], v[36:37]
	v_mul_f64_e32 v[36:37], v[4:5], v[36:37]
	s_wait_loadcnt_dscnt 0x800
	v_mul_f64_e32 v[175:176], v[38:39], v[165:166]
	v_add_f64_e32 v[171:172], v[171:172], v[179:180]
	v_add_f64_e32 v[173:174], v[173:174], v[177:178]
	v_mul_f64_e32 v[177:178], v[40:41], v[165:166]
	v_fma_f64 v[179:180], v[4:5], v[34:35], v[181:182]
	v_fma_f64 v[181:182], v[2:3], v[34:35], -v[36:37]
	ds_load_b128 v[2:5], v1 offset:1280
	scratch_load_b128 v[34:37], off, off offset:528
	v_fma_f64 v[175:176], v[40:41], v[163:164], v[175:176]
	v_add_f64_e32 v[171:172], v[171:172], v[167:168]
	v_add_f64_e32 v[169:170], v[173:174], v[169:170]
	ds_load_b128 v[165:168], v1 offset:1296
	v_fma_f64 v[163:164], v[38:39], v[163:164], -v[177:178]
	scratch_load_b128 v[38:41], off, off offset:544
	s_wait_loadcnt_dscnt 0x901
	v_mul_f64_e32 v[173:174], v[2:3], v[44:45]
	v_mul_f64_e32 v[44:45], v[4:5], v[44:45]
	s_wait_loadcnt_dscnt 0x800
	v_mul_f64_e32 v[177:178], v[165:166], v[8:9]
	v_mul_f64_e32 v[8:9], v[167:168], v[8:9]
	v_add_f64_e32 v[171:172], v[171:172], v[181:182]
	v_add_f64_e32 v[169:170], v[169:170], v[179:180]
	v_fma_f64 v[173:174], v[4:5], v[42:43], v[173:174]
	v_fma_f64 v[179:180], v[2:3], v[42:43], -v[44:45]
	ds_load_b128 v[2:5], v1 offset:1312
	scratch_load_b128 v[42:45], off, off offset:560
	v_fma_f64 v[167:168], v[167:168], v[6:7], v[177:178]
	v_fma_f64 v[165:166], v[165:166], v[6:7], -v[8:9]
	scratch_load_b128 v[6:9], off, off offset:576
	v_add_f64_e32 v[163:164], v[171:172], v[163:164]
	v_add_f64_e32 v[175:176], v[169:170], v[175:176]
	ds_load_b128 v[169:172], v1 offset:1328
	s_wait_loadcnt_dscnt 0x901
	v_mul_f64_e32 v[181:182], v[2:3], v[12:13]
	v_mul_f64_e32 v[12:13], v[4:5], v[12:13]
	v_add_f64_e32 v[163:164], v[163:164], v[179:180]
	v_add_f64_e32 v[173:174], v[175:176], v[173:174]
	s_wait_loadcnt_dscnt 0x800
	v_mul_f64_e32 v[175:176], v[169:170], v[16:17]
	v_mul_f64_e32 v[16:17], v[171:172], v[16:17]
	v_fma_f64 v[177:178], v[4:5], v[10:11], v[181:182]
	v_fma_f64 v[179:180], v[2:3], v[10:11], -v[12:13]
	ds_load_b128 v[2:5], v1 offset:1344
	scratch_load_b128 v[10:13], off, off offset:592
	v_add_f64_e32 v[181:182], v[163:164], v[165:166]
	v_add_f64_e32 v[167:168], v[173:174], v[167:168]
	ds_load_b128 v[163:166], v1 offset:1360
	s_wait_loadcnt_dscnt 0x801
	v_mul_f64_e32 v[173:174], v[2:3], v[20:21]
	v_mul_f64_e32 v[20:21], v[4:5], v[20:21]
	v_fma_f64 v[171:172], v[171:172], v[14:15], v[175:176]
	v_fma_f64 v[169:170], v[169:170], v[14:15], -v[16:17]
	scratch_load_b128 v[14:17], off, off offset:608
	v_add_f64_e32 v[175:176], v[181:182], v[179:180]
	v_add_f64_e32 v[167:168], v[167:168], v[177:178]
	s_wait_loadcnt_dscnt 0x800
	v_mul_f64_e32 v[177:178], v[163:164], v[24:25]
	v_mul_f64_e32 v[24:25], v[165:166], v[24:25]
	v_fma_f64 v[173:174], v[4:5], v[18:19], v[173:174]
	v_fma_f64 v[179:180], v[2:3], v[18:19], -v[20:21]
	ds_load_b128 v[2:5], v1 offset:1376
	scratch_load_b128 v[18:21], off, off offset:624
	v_add_f64_e32 v[175:176], v[175:176], v[169:170]
	v_add_f64_e32 v[171:172], v[167:168], v[171:172]
	ds_load_b128 v[167:170], v1 offset:1392
	s_wait_loadcnt_dscnt 0x801
	v_mul_f64_e32 v[181:182], v[2:3], v[28:29]
	v_mul_f64_e32 v[28:29], v[4:5], v[28:29]
	v_fma_f64 v[165:166], v[165:166], v[22:23], v[177:178]
	v_fma_f64 v[163:164], v[163:164], v[22:23], -v[24:25]
	scratch_load_b128 v[22:25], off, off offset:640
	;; [unrolled: 18-line block ×4, first 2 shown]
	s_wait_loadcnt_dscnt 0x800
	v_mul_f64_e32 v[175:176], v[167:168], v[8:9]
	v_mul_f64_e32 v[8:9], v[169:170], v[8:9]
	v_add_f64_e32 v[173:174], v[173:174], v[179:180]
	v_add_f64_e32 v[171:172], v[171:172], v[177:178]
	v_fma_f64 v[177:178], v[4:5], v[42:43], v[181:182]
	v_fma_f64 v[179:180], v[2:3], v[42:43], -v[44:45]
	ds_load_b128 v[2:5], v1 offset:1472
	scratch_load_b128 v[42:45], off, off offset:720
	v_fma_f64 v[169:170], v[169:170], v[6:7], v[175:176]
	v_fma_f64 v[167:168], v[167:168], v[6:7], -v[8:9]
	scratch_load_b128 v[6:9], off, off offset:736
	v_add_f64_e32 v[173:174], v[173:174], v[163:164]
	v_add_f64_e32 v[171:172], v[171:172], v[165:166]
	ds_load_b128 v[163:166], v1 offset:1488
	s_wait_loadcnt_dscnt 0x901
	v_mul_f64_e32 v[181:182], v[2:3], v[12:13]
	v_mul_f64_e32 v[12:13], v[4:5], v[12:13]
	s_wait_loadcnt_dscnt 0x800
	v_mul_f64_e32 v[175:176], v[163:164], v[16:17]
	v_mul_f64_e32 v[16:17], v[165:166], v[16:17]
	v_add_f64_e32 v[173:174], v[173:174], v[179:180]
	v_add_f64_e32 v[171:172], v[171:172], v[177:178]
	v_fma_f64 v[177:178], v[4:5], v[10:11], v[181:182]
	v_fma_f64 v[179:180], v[2:3], v[10:11], -v[12:13]
	ds_load_b128 v[2:5], v1 offset:1504
	scratch_load_b128 v[10:13], off, off offset:752
	v_fma_f64 v[165:166], v[165:166], v[14:15], v[175:176]
	v_fma_f64 v[163:164], v[163:164], v[14:15], -v[16:17]
	scratch_load_b128 v[14:17], off, off offset:768
	v_add_f64_e32 v[173:174], v[173:174], v[167:168]
	v_add_f64_e32 v[171:172], v[171:172], v[169:170]
	ds_load_b128 v[167:170], v1 offset:1520
	s_wait_loadcnt_dscnt 0x901
	v_mul_f64_e32 v[181:182], v[2:3], v[20:21]
	v_mul_f64_e32 v[20:21], v[4:5], v[20:21]
	;; [unrolled: 18-line block ×6, first 2 shown]
	s_wait_loadcnt_dscnt 0x800
	v_mul_f64_e32 v[175:176], v[167:168], v[16:17]
	v_mul_f64_e32 v[16:17], v[169:170], v[16:17]
	v_add_f64_e32 v[173:174], v[173:174], v[179:180]
	v_add_f64_e32 v[171:172], v[171:172], v[177:178]
	v_fma_f64 v[177:178], v[4:5], v[10:11], v[181:182]
	v_fma_f64 v[179:180], v[2:3], v[10:11], -v[12:13]
	ds_load_b128 v[2:5], v1 offset:1664
	ds_load_b128 v[10:13], v1 offset:1680
	v_fma_f64 v[169:170], v[169:170], v[14:15], v[175:176]
	v_fma_f64 v[14:15], v[167:168], v[14:15], -v[16:17]
	v_add_f64_e32 v[163:164], v[173:174], v[163:164]
	v_add_f64_e32 v[165:166], v[171:172], v[165:166]
	s_wait_loadcnt_dscnt 0x701
	v_mul_f64_e32 v[171:172], v[2:3], v[20:21]
	v_mul_f64_e32 v[20:21], v[4:5], v[20:21]
	s_delay_alu instid0(VALU_DEP_4) | instskip(NEXT) | instid1(VALU_DEP_4)
	v_add_f64_e32 v[16:17], v[163:164], v[179:180]
	v_add_f64_e32 v[163:164], v[165:166], v[177:178]
	s_wait_loadcnt_dscnt 0x600
	v_mul_f64_e32 v[165:166], v[10:11], v[24:25]
	v_mul_f64_e32 v[24:25], v[12:13], v[24:25]
	v_fma_f64 v[167:168], v[4:5], v[18:19], v[171:172]
	v_fma_f64 v[18:19], v[2:3], v[18:19], -v[20:21]
	v_add_f64_e32 v[20:21], v[16:17], v[14:15]
	v_add_f64_e32 v[163:164], v[163:164], v[169:170]
	ds_load_b128 v[2:5], v1 offset:1696
	ds_load_b128 v[14:17], v1 offset:1712
	v_fma_f64 v[12:13], v[12:13], v[22:23], v[165:166]
	v_fma_f64 v[10:11], v[10:11], v[22:23], -v[24:25]
	s_wait_loadcnt_dscnt 0x501
	v_mul_f64_e32 v[169:170], v[2:3], v[28:29]
	v_mul_f64_e32 v[28:29], v[4:5], v[28:29]
	s_wait_loadcnt_dscnt 0x400
	v_mul_f64_e32 v[22:23], v[14:15], v[32:33]
	v_mul_f64_e32 v[24:25], v[16:17], v[32:33]
	v_add_f64_e32 v[18:19], v[20:21], v[18:19]
	v_add_f64_e32 v[20:21], v[163:164], v[167:168]
	v_fma_f64 v[32:33], v[4:5], v[26:27], v[169:170]
	v_fma_f64 v[26:27], v[2:3], v[26:27], -v[28:29]
	v_fma_f64 v[16:17], v[16:17], v[30:31], v[22:23]
	v_fma_f64 v[14:15], v[14:15], v[30:31], -v[24:25]
	v_add_f64_e32 v[18:19], v[18:19], v[10:11]
	v_add_f64_e32 v[20:21], v[20:21], v[12:13]
	ds_load_b128 v[2:5], v1 offset:1728
	ds_load_b128 v[10:13], v1 offset:1744
	s_wait_loadcnt_dscnt 0x301
	v_mul_f64_e32 v[28:29], v[2:3], v[36:37]
	v_mul_f64_e32 v[36:37], v[4:5], v[36:37]
	s_wait_loadcnt_dscnt 0x200
	v_mul_f64_e32 v[22:23], v[10:11], v[40:41]
	v_mul_f64_e32 v[24:25], v[12:13], v[40:41]
	v_add_f64_e32 v[18:19], v[18:19], v[26:27]
	v_add_f64_e32 v[20:21], v[20:21], v[32:33]
	v_fma_f64 v[26:27], v[4:5], v[34:35], v[28:29]
	v_fma_f64 v[28:29], v[2:3], v[34:35], -v[36:37]
	v_fma_f64 v[12:13], v[12:13], v[38:39], v[22:23]
	v_fma_f64 v[10:11], v[10:11], v[38:39], -v[24:25]
	v_add_f64_e32 v[18:19], v[18:19], v[14:15]
	v_add_f64_e32 v[20:21], v[20:21], v[16:17]
	ds_load_b128 v[2:5], v1 offset:1760
	ds_load_b128 v[14:17], v1 offset:1776
	s_wait_loadcnt_dscnt 0x101
	v_mul_f64_e32 v[30:31], v[2:3], v[44:45]
	v_mul_f64_e32 v[32:33], v[4:5], v[44:45]
	s_wait_loadcnt_dscnt 0x0
	v_mul_f64_e32 v[22:23], v[14:15], v[8:9]
	v_mul_f64_e32 v[8:9], v[16:17], v[8:9]
	v_add_f64_e32 v[18:19], v[18:19], v[28:29]
	v_add_f64_e32 v[20:21], v[20:21], v[26:27]
	v_fma_f64 v[4:5], v[4:5], v[42:43], v[30:31]
	v_fma_f64 v[1:2], v[2:3], v[42:43], -v[32:33]
	v_fma_f64 v[16:17], v[16:17], v[6:7], v[22:23]
	v_fma_f64 v[6:7], v[14:15], v[6:7], -v[8:9]
	v_add_f64_e32 v[10:11], v[18:19], v[10:11]
	v_add_f64_e32 v[12:13], v[20:21], v[12:13]
	s_delay_alu instid0(VALU_DEP_2) | instskip(NEXT) | instid1(VALU_DEP_2)
	v_add_f64_e32 v[1:2], v[10:11], v[1:2]
	v_add_f64_e32 v[3:4], v[12:13], v[4:5]
	s_delay_alu instid0(VALU_DEP_2) | instskip(NEXT) | instid1(VALU_DEP_2)
	;; [unrolled: 3-line block ×3, first 2 shown]
	v_add_f64_e64 v[1:2], v[159:160], -v[1:2]
	v_add_f64_e64 v[3:4], v[161:162], -v[3:4]
	scratch_store_b128 off, v[1:4], off offset:224
	v_cmpx_lt_u32_e32 12, v0
	s_cbranch_execz .LBB55_325
; %bb.324:
	scratch_load_b128 v[1:4], off, s57
	v_mov_b32_e32 v5, 0
	s_delay_alu instid0(VALU_DEP_1)
	v_dual_mov_b32 v6, v5 :: v_dual_mov_b32 v7, v5
	v_mov_b32_e32 v8, v5
	scratch_store_b128 off, v[5:8], off offset:208
	s_wait_loadcnt 0x0
	ds_store_b128 v158, v[1:4]
.LBB55_325:
	s_wait_alu 0xfffe
	s_or_b32 exec_lo, exec_lo, s0
	s_wait_storecnt_dscnt 0x0
	s_barrier_signal -1
	s_barrier_wait -1
	global_inv scope:SCOPE_SE
	s_clause 0x7
	scratch_load_b128 v[2:5], off, off offset:224
	scratch_load_b128 v[6:9], off, off offset:240
	scratch_load_b128 v[10:13], off, off offset:256
	scratch_load_b128 v[14:17], off, off offset:272
	scratch_load_b128 v[18:21], off, off offset:288
	scratch_load_b128 v[22:25], off, off offset:304
	scratch_load_b128 v[26:29], off, off offset:320
	scratch_load_b128 v[30:33], off, off offset:336
	v_mov_b32_e32 v1, 0
	s_mov_b32 s0, exec_lo
	ds_load_b128 v[38:41], v1 offset:1104
	s_clause 0x1
	scratch_load_b128 v[34:37], off, off offset:352
	scratch_load_b128 v[42:45], off, off offset:208
	ds_load_b128 v[159:162], v1 offset:1120
	scratch_load_b128 v[163:166], off, off offset:368
	s_wait_loadcnt_dscnt 0xa01
	v_mul_f64_e32 v[167:168], v[40:41], v[4:5]
	v_mul_f64_e32 v[4:5], v[38:39], v[4:5]
	s_delay_alu instid0(VALU_DEP_2) | instskip(NEXT) | instid1(VALU_DEP_2)
	v_fma_f64 v[173:174], v[38:39], v[2:3], -v[167:168]
	v_fma_f64 v[175:176], v[40:41], v[2:3], v[4:5]
	ds_load_b128 v[2:5], v1 offset:1136
	s_wait_loadcnt_dscnt 0x901
	v_mul_f64_e32 v[171:172], v[159:160], v[8:9]
	v_mul_f64_e32 v[8:9], v[161:162], v[8:9]
	scratch_load_b128 v[38:41], off, off offset:384
	ds_load_b128 v[167:170], v1 offset:1152
	s_wait_loadcnt_dscnt 0x901
	v_mul_f64_e32 v[177:178], v[2:3], v[12:13]
	v_mul_f64_e32 v[12:13], v[4:5], v[12:13]
	v_fma_f64 v[161:162], v[161:162], v[6:7], v[171:172]
	v_fma_f64 v[159:160], v[159:160], v[6:7], -v[8:9]
	v_add_f64_e32 v[171:172], 0, v[173:174]
	v_add_f64_e32 v[173:174], 0, v[175:176]
	scratch_load_b128 v[6:9], off, off offset:400
	v_fma_f64 v[177:178], v[4:5], v[10:11], v[177:178]
	v_fma_f64 v[179:180], v[2:3], v[10:11], -v[12:13]
	ds_load_b128 v[2:5], v1 offset:1168
	s_wait_loadcnt_dscnt 0x901
	v_mul_f64_e32 v[175:176], v[167:168], v[16:17]
	v_mul_f64_e32 v[16:17], v[169:170], v[16:17]
	scratch_load_b128 v[10:13], off, off offset:416
	v_add_f64_e32 v[171:172], v[171:172], v[159:160]
	v_add_f64_e32 v[173:174], v[173:174], v[161:162]
	s_wait_loadcnt_dscnt 0x900
	v_mul_f64_e32 v[181:182], v[2:3], v[20:21]
	v_mul_f64_e32 v[20:21], v[4:5], v[20:21]
	ds_load_b128 v[159:162], v1 offset:1184
	v_fma_f64 v[169:170], v[169:170], v[14:15], v[175:176]
	v_fma_f64 v[167:168], v[167:168], v[14:15], -v[16:17]
	scratch_load_b128 v[14:17], off, off offset:432
	v_add_f64_e32 v[171:172], v[171:172], v[179:180]
	v_add_f64_e32 v[173:174], v[173:174], v[177:178]
	v_fma_f64 v[177:178], v[4:5], v[18:19], v[181:182]
	v_fma_f64 v[179:180], v[2:3], v[18:19], -v[20:21]
	ds_load_b128 v[2:5], v1 offset:1200
	s_wait_loadcnt_dscnt 0x901
	v_mul_f64_e32 v[175:176], v[159:160], v[24:25]
	v_mul_f64_e32 v[24:25], v[161:162], v[24:25]
	scratch_load_b128 v[18:21], off, off offset:448
	s_wait_loadcnt_dscnt 0x900
	v_mul_f64_e32 v[181:182], v[2:3], v[28:29]
	v_mul_f64_e32 v[28:29], v[4:5], v[28:29]
	v_add_f64_e32 v[171:172], v[171:172], v[167:168]
	v_add_f64_e32 v[173:174], v[173:174], v[169:170]
	ds_load_b128 v[167:170], v1 offset:1216
	v_fma_f64 v[161:162], v[161:162], v[22:23], v[175:176]
	v_fma_f64 v[159:160], v[159:160], v[22:23], -v[24:25]
	scratch_load_b128 v[22:25], off, off offset:464
	v_add_f64_e32 v[171:172], v[171:172], v[179:180]
	v_add_f64_e32 v[173:174], v[173:174], v[177:178]
	v_fma_f64 v[177:178], v[4:5], v[26:27], v[181:182]
	v_fma_f64 v[179:180], v[2:3], v[26:27], -v[28:29]
	ds_load_b128 v[2:5], v1 offset:1232
	s_wait_loadcnt_dscnt 0x901
	v_mul_f64_e32 v[175:176], v[167:168], v[32:33]
	v_mul_f64_e32 v[32:33], v[169:170], v[32:33]
	scratch_load_b128 v[26:29], off, off offset:480
	s_wait_loadcnt_dscnt 0x900
	v_mul_f64_e32 v[181:182], v[2:3], v[36:37]
	v_mul_f64_e32 v[36:37], v[4:5], v[36:37]
	v_add_f64_e32 v[171:172], v[171:172], v[159:160]
	v_add_f64_e32 v[173:174], v[173:174], v[161:162]
	ds_load_b128 v[159:162], v1 offset:1248
	v_fma_f64 v[169:170], v[169:170], v[30:31], v[175:176]
	v_fma_f64 v[167:168], v[167:168], v[30:31], -v[32:33]
	scratch_load_b128 v[30:33], off, off offset:496
	v_add_f64_e32 v[171:172], v[171:172], v[179:180]
	v_add_f64_e32 v[173:174], v[173:174], v[177:178]
	v_fma_f64 v[179:180], v[4:5], v[34:35], v[181:182]
	v_fma_f64 v[181:182], v[2:3], v[34:35], -v[36:37]
	ds_load_b128 v[2:5], v1 offset:1264
	s_wait_loadcnt_dscnt 0x801
	v_mul_f64_e32 v[175:176], v[159:160], v[165:166]
	v_mul_f64_e32 v[177:178], v[161:162], v[165:166]
	scratch_load_b128 v[34:37], off, off offset:512
	v_add_f64_e32 v[171:172], v[171:172], v[167:168]
	v_add_f64_e32 v[169:170], v[173:174], v[169:170]
	ds_load_b128 v[165:168], v1 offset:1280
	v_fma_f64 v[175:176], v[161:162], v[163:164], v[175:176]
	v_fma_f64 v[163:164], v[159:160], v[163:164], -v[177:178]
	scratch_load_b128 v[159:162], off, off offset:528
	s_wait_loadcnt_dscnt 0x901
	v_mul_f64_e32 v[173:174], v[2:3], v[40:41]
	v_mul_f64_e32 v[40:41], v[4:5], v[40:41]
	v_add_f64_e32 v[171:172], v[171:172], v[181:182]
	v_add_f64_e32 v[169:170], v[169:170], v[179:180]
	s_delay_alu instid0(VALU_DEP_4) | instskip(NEXT) | instid1(VALU_DEP_4)
	v_fma_f64 v[173:174], v[4:5], v[38:39], v[173:174]
	v_fma_f64 v[179:180], v[2:3], v[38:39], -v[40:41]
	ds_load_b128 v[2:5], v1 offset:1296
	s_wait_loadcnt_dscnt 0x801
	v_mul_f64_e32 v[177:178], v[165:166], v[8:9]
	v_mul_f64_e32 v[8:9], v[167:168], v[8:9]
	scratch_load_b128 v[38:41], off, off offset:544
	s_wait_loadcnt_dscnt 0x800
	v_mul_f64_e32 v[181:182], v[2:3], v[12:13]
	v_add_f64_e32 v[163:164], v[171:172], v[163:164]
	v_add_f64_e32 v[175:176], v[169:170], v[175:176]
	v_mul_f64_e32 v[12:13], v[4:5], v[12:13]
	ds_load_b128 v[169:172], v1 offset:1312
	v_fma_f64 v[167:168], v[167:168], v[6:7], v[177:178]
	v_fma_f64 v[165:166], v[165:166], v[6:7], -v[8:9]
	scratch_load_b128 v[6:9], off, off offset:560
	v_fma_f64 v[177:178], v[4:5], v[10:11], v[181:182]
	v_add_f64_e32 v[163:164], v[163:164], v[179:180]
	v_add_f64_e32 v[173:174], v[175:176], v[173:174]
	v_fma_f64 v[179:180], v[2:3], v[10:11], -v[12:13]
	ds_load_b128 v[2:5], v1 offset:1328
	s_wait_loadcnt_dscnt 0x801
	v_mul_f64_e32 v[175:176], v[169:170], v[16:17]
	v_mul_f64_e32 v[16:17], v[171:172], v[16:17]
	scratch_load_b128 v[10:13], off, off offset:576
	v_add_f64_e32 v[181:182], v[163:164], v[165:166]
	v_add_f64_e32 v[167:168], v[173:174], v[167:168]
	s_wait_loadcnt_dscnt 0x800
	v_mul_f64_e32 v[173:174], v[2:3], v[20:21]
	v_mul_f64_e32 v[20:21], v[4:5], v[20:21]
	v_fma_f64 v[171:172], v[171:172], v[14:15], v[175:176]
	v_fma_f64 v[169:170], v[169:170], v[14:15], -v[16:17]
	ds_load_b128 v[163:166], v1 offset:1344
	scratch_load_b128 v[14:17], off, off offset:592
	v_add_f64_e32 v[175:176], v[181:182], v[179:180]
	v_add_f64_e32 v[167:168], v[167:168], v[177:178]
	v_fma_f64 v[173:174], v[4:5], v[18:19], v[173:174]
	v_fma_f64 v[179:180], v[2:3], v[18:19], -v[20:21]
	ds_load_b128 v[2:5], v1 offset:1360
	s_wait_loadcnt_dscnt 0x801
	v_mul_f64_e32 v[177:178], v[163:164], v[24:25]
	v_mul_f64_e32 v[24:25], v[165:166], v[24:25]
	scratch_load_b128 v[18:21], off, off offset:608
	s_wait_loadcnt_dscnt 0x800
	v_mul_f64_e32 v[181:182], v[2:3], v[28:29]
	v_mul_f64_e32 v[28:29], v[4:5], v[28:29]
	v_add_f64_e32 v[175:176], v[175:176], v[169:170]
	v_add_f64_e32 v[171:172], v[167:168], v[171:172]
	ds_load_b128 v[167:170], v1 offset:1376
	v_fma_f64 v[165:166], v[165:166], v[22:23], v[177:178]
	v_fma_f64 v[163:164], v[163:164], v[22:23], -v[24:25]
	scratch_load_b128 v[22:25], off, off offset:624
	v_fma_f64 v[177:178], v[4:5], v[26:27], v[181:182]
	v_add_f64_e32 v[175:176], v[175:176], v[179:180]
	v_add_f64_e32 v[171:172], v[171:172], v[173:174]
	v_fma_f64 v[179:180], v[2:3], v[26:27], -v[28:29]
	ds_load_b128 v[2:5], v1 offset:1392
	s_wait_loadcnt_dscnt 0x801
	v_mul_f64_e32 v[173:174], v[167:168], v[32:33]
	v_mul_f64_e32 v[32:33], v[169:170], v[32:33]
	scratch_load_b128 v[26:29], off, off offset:640
	s_wait_loadcnt_dscnt 0x800
	v_mul_f64_e32 v[181:182], v[2:3], v[36:37]
	v_mul_f64_e32 v[36:37], v[4:5], v[36:37]
	v_add_f64_e32 v[175:176], v[175:176], v[163:164]
	v_add_f64_e32 v[171:172], v[171:172], v[165:166]
	ds_load_b128 v[163:166], v1 offset:1408
	v_fma_f64 v[169:170], v[169:170], v[30:31], v[173:174]
	v_fma_f64 v[167:168], v[167:168], v[30:31], -v[32:33]
	scratch_load_b128 v[30:33], off, off offset:656
	v_add_f64_e32 v[173:174], v[175:176], v[179:180]
	v_add_f64_e32 v[171:172], v[171:172], v[177:178]
	v_fma_f64 v[177:178], v[4:5], v[34:35], v[181:182]
	v_fma_f64 v[179:180], v[2:3], v[34:35], -v[36:37]
	ds_load_b128 v[2:5], v1 offset:1424
	s_wait_loadcnt_dscnt 0x801
	v_mul_f64_e32 v[175:176], v[163:164], v[161:162]
	v_mul_f64_e32 v[161:162], v[165:166], v[161:162]
	scratch_load_b128 v[34:37], off, off offset:672
	s_wait_loadcnt_dscnt 0x800
	v_mul_f64_e32 v[181:182], v[2:3], v[40:41]
	v_mul_f64_e32 v[40:41], v[4:5], v[40:41]
	v_add_f64_e32 v[173:174], v[173:174], v[167:168]
	v_add_f64_e32 v[171:172], v[171:172], v[169:170]
	ds_load_b128 v[167:170], v1 offset:1440
	v_fma_f64 v[165:166], v[165:166], v[159:160], v[175:176]
	v_fma_f64 v[163:164], v[163:164], v[159:160], -v[161:162]
	scratch_load_b128 v[159:162], off, off offset:688
	v_add_f64_e32 v[173:174], v[173:174], v[179:180]
	v_add_f64_e32 v[171:172], v[171:172], v[177:178]
	v_fma_f64 v[177:178], v[4:5], v[38:39], v[181:182]
	;; [unrolled: 18-line block ×6, first 2 shown]
	v_fma_f64 v[181:182], v[2:3], v[34:35], -v[36:37]
	ds_load_b128 v[2:5], v1 offset:1584
	s_wait_loadcnt_dscnt 0x801
	v_mul_f64_e32 v[175:176], v[167:168], v[161:162]
	v_mul_f64_e32 v[177:178], v[169:170], v[161:162]
	scratch_load_b128 v[34:37], off, off offset:832
	v_add_f64_e32 v[173:174], v[173:174], v[163:164]
	v_add_f64_e32 v[165:166], v[171:172], v[165:166]
	s_wait_loadcnt_dscnt 0x800
	v_mul_f64_e32 v[171:172], v[2:3], v[40:41]
	v_mul_f64_e32 v[40:41], v[4:5], v[40:41]
	ds_load_b128 v[161:164], v1 offset:1600
	v_fma_f64 v[169:170], v[169:170], v[159:160], v[175:176]
	v_fma_f64 v[159:160], v[167:168], v[159:160], -v[177:178]
	v_add_f64_e32 v[173:174], v[173:174], v[181:182]
	v_add_f64_e32 v[175:176], v[165:166], v[179:180]
	scratch_load_b128 v[165:168], off, off offset:848
	v_fma_f64 v[179:180], v[4:5], v[38:39], v[171:172]
	v_fma_f64 v[181:182], v[2:3], v[38:39], -v[40:41]
	ds_load_b128 v[2:5], v1 offset:1616
	s_wait_loadcnt_dscnt 0x801
	v_mul_f64_e32 v[177:178], v[161:162], v[8:9]
	v_mul_f64_e32 v[8:9], v[163:164], v[8:9]
	scratch_load_b128 v[38:41], off, off offset:864
	v_add_f64_e32 v[159:160], v[173:174], v[159:160]
	v_add_f64_e32 v[173:174], v[175:176], v[169:170]
	s_wait_loadcnt_dscnt 0x800
	v_mul_f64_e32 v[175:176], v[2:3], v[12:13]
	v_mul_f64_e32 v[12:13], v[4:5], v[12:13]
	ds_load_b128 v[169:172], v1 offset:1632
	v_fma_f64 v[163:164], v[163:164], v[6:7], v[177:178]
	v_fma_f64 v[161:162], v[161:162], v[6:7], -v[8:9]
	scratch_load_b128 v[6:9], off, off offset:880
	v_add_f64_e32 v[159:160], v[159:160], v[181:182]
	v_add_f64_e32 v[173:174], v[173:174], v[179:180]
	v_fma_f64 v[175:176], v[4:5], v[10:11], v[175:176]
	v_fma_f64 v[179:180], v[2:3], v[10:11], -v[12:13]
	ds_load_b128 v[2:5], v1 offset:1648
	s_wait_loadcnt_dscnt 0x801
	v_mul_f64_e32 v[177:178], v[169:170], v[16:17]
	v_mul_f64_e32 v[16:17], v[171:172], v[16:17]
	scratch_load_b128 v[10:13], off, off offset:896
	v_add_f64_e32 v[181:182], v[159:160], v[161:162]
	v_add_f64_e32 v[163:164], v[173:174], v[163:164]
	s_wait_loadcnt_dscnt 0x800
	v_mul_f64_e32 v[173:174], v[2:3], v[20:21]
	v_mul_f64_e32 v[20:21], v[4:5], v[20:21]
	ds_load_b128 v[159:162], v1 offset:1664
	v_fma_f64 v[171:172], v[171:172], v[14:15], v[177:178]
	v_fma_f64 v[14:15], v[169:170], v[14:15], -v[16:17]
	s_wait_loadcnt_dscnt 0x700
	v_mul_f64_e32 v[169:170], v[159:160], v[24:25]
	v_mul_f64_e32 v[24:25], v[161:162], v[24:25]
	v_add_f64_e32 v[16:17], v[181:182], v[179:180]
	v_add_f64_e32 v[163:164], v[163:164], v[175:176]
	v_fma_f64 v[173:174], v[4:5], v[18:19], v[173:174]
	v_fma_f64 v[18:19], v[2:3], v[18:19], -v[20:21]
	v_fma_f64 v[161:162], v[161:162], v[22:23], v[169:170]
	v_fma_f64 v[22:23], v[159:160], v[22:23], -v[24:25]
	v_add_f64_e32 v[20:21], v[16:17], v[14:15]
	v_add_f64_e32 v[163:164], v[163:164], v[171:172]
	ds_load_b128 v[2:5], v1 offset:1680
	ds_load_b128 v[14:17], v1 offset:1696
	s_wait_loadcnt_dscnt 0x601
	v_mul_f64_e32 v[171:172], v[2:3], v[28:29]
	v_mul_f64_e32 v[28:29], v[4:5], v[28:29]
	s_wait_loadcnt_dscnt 0x500
	v_mul_f64_e32 v[24:25], v[14:15], v[32:33]
	v_mul_f64_e32 v[32:33], v[16:17], v[32:33]
	v_add_f64_e32 v[18:19], v[20:21], v[18:19]
	v_add_f64_e32 v[20:21], v[163:164], v[173:174]
	v_fma_f64 v[159:160], v[4:5], v[26:27], v[171:172]
	v_fma_f64 v[26:27], v[2:3], v[26:27], -v[28:29]
	v_fma_f64 v[16:17], v[16:17], v[30:31], v[24:25]
	v_fma_f64 v[14:15], v[14:15], v[30:31], -v[32:33]
	v_add_f64_e32 v[22:23], v[18:19], v[22:23]
	v_add_f64_e32 v[28:29], v[20:21], v[161:162]
	ds_load_b128 v[2:5], v1 offset:1712
	ds_load_b128 v[18:21], v1 offset:1728
	s_wait_loadcnt_dscnt 0x401
	v_mul_f64_e32 v[161:162], v[2:3], v[36:37]
	v_mul_f64_e32 v[36:37], v[4:5], v[36:37]
	v_add_f64_e32 v[22:23], v[22:23], v[26:27]
	v_add_f64_e32 v[24:25], v[28:29], v[159:160]
	s_wait_loadcnt_dscnt 0x300
	v_mul_f64_e32 v[26:27], v[18:19], v[167:168]
	v_mul_f64_e32 v[28:29], v[20:21], v[167:168]
	v_fma_f64 v[30:31], v[4:5], v[34:35], v[161:162]
	v_fma_f64 v[32:33], v[2:3], v[34:35], -v[36:37]
	v_add_f64_e32 v[22:23], v[22:23], v[14:15]
	v_add_f64_e32 v[24:25], v[24:25], v[16:17]
	ds_load_b128 v[2:5], v1 offset:1744
	ds_load_b128 v[14:17], v1 offset:1760
	v_fma_f64 v[20:21], v[20:21], v[165:166], v[26:27]
	v_fma_f64 v[18:19], v[18:19], v[165:166], -v[28:29]
	s_wait_loadcnt_dscnt 0x201
	v_mul_f64_e32 v[34:35], v[2:3], v[40:41]
	v_mul_f64_e32 v[36:37], v[4:5], v[40:41]
	s_wait_loadcnt_dscnt 0x100
	v_mul_f64_e32 v[26:27], v[14:15], v[8:9]
	v_mul_f64_e32 v[8:9], v[16:17], v[8:9]
	v_add_f64_e32 v[22:23], v[22:23], v[32:33]
	v_add_f64_e32 v[24:25], v[24:25], v[30:31]
	v_fma_f64 v[28:29], v[4:5], v[38:39], v[34:35]
	v_fma_f64 v[30:31], v[2:3], v[38:39], -v[36:37]
	ds_load_b128 v[2:5], v1 offset:1776
	v_fma_f64 v[16:17], v[16:17], v[6:7], v[26:27]
	v_fma_f64 v[6:7], v[14:15], v[6:7], -v[8:9]
	v_add_f64_e32 v[18:19], v[22:23], v[18:19]
	v_add_f64_e32 v[20:21], v[24:25], v[20:21]
	s_wait_loadcnt_dscnt 0x0
	v_mul_f64_e32 v[22:23], v[2:3], v[12:13]
	v_mul_f64_e32 v[12:13], v[4:5], v[12:13]
	s_delay_alu instid0(VALU_DEP_4) | instskip(NEXT) | instid1(VALU_DEP_4)
	v_add_f64_e32 v[8:9], v[18:19], v[30:31]
	v_add_f64_e32 v[14:15], v[20:21], v[28:29]
	s_delay_alu instid0(VALU_DEP_4) | instskip(NEXT) | instid1(VALU_DEP_4)
	v_fma_f64 v[4:5], v[4:5], v[10:11], v[22:23]
	v_fma_f64 v[2:3], v[2:3], v[10:11], -v[12:13]
	s_delay_alu instid0(VALU_DEP_4) | instskip(NEXT) | instid1(VALU_DEP_4)
	v_add_f64_e32 v[6:7], v[8:9], v[6:7]
	v_add_f64_e32 v[8:9], v[14:15], v[16:17]
	s_delay_alu instid0(VALU_DEP_2) | instskip(NEXT) | instid1(VALU_DEP_2)
	v_add_f64_e32 v[2:3], v[6:7], v[2:3]
	v_add_f64_e32 v[4:5], v[8:9], v[4:5]
	s_delay_alu instid0(VALU_DEP_2) | instskip(NEXT) | instid1(VALU_DEP_2)
	v_add_f64_e64 v[2:3], v[42:43], -v[2:3]
	v_add_f64_e64 v[4:5], v[44:45], -v[4:5]
	scratch_store_b128 off, v[2:5], off offset:208
	v_cmpx_lt_u32_e32 11, v0
	s_cbranch_execz .LBB55_327
; %bb.326:
	scratch_load_b128 v[5:8], off, s58
	v_dual_mov_b32 v2, v1 :: v_dual_mov_b32 v3, v1
	v_mov_b32_e32 v4, v1
	scratch_store_b128 off, v[1:4], off offset:192
	s_wait_loadcnt 0x0
	ds_store_b128 v158, v[5:8]
.LBB55_327:
	s_wait_alu 0xfffe
	s_or_b32 exec_lo, exec_lo, s0
	s_wait_storecnt_dscnt 0x0
	s_barrier_signal -1
	s_barrier_wait -1
	global_inv scope:SCOPE_SE
	s_clause 0x8
	scratch_load_b128 v[2:5], off, off offset:208
	scratch_load_b128 v[6:9], off, off offset:224
	scratch_load_b128 v[10:13], off, off offset:240
	scratch_load_b128 v[14:17], off, off offset:256
	scratch_load_b128 v[18:21], off, off offset:272
	scratch_load_b128 v[22:25], off, off offset:288
	scratch_load_b128 v[26:29], off, off offset:304
	scratch_load_b128 v[30:33], off, off offset:320
	scratch_load_b128 v[34:37], off, off offset:336
	ds_load_b128 v[42:45], v1 offset:1088
	ds_load_b128 v[38:41], v1 offset:1104
	s_clause 0x1
	scratch_load_b128 v[159:162], off, off offset:192
	scratch_load_b128 v[163:166], off, off offset:352
	s_mov_b32 s0, exec_lo
	s_wait_loadcnt_dscnt 0xa01
	v_mul_f64_e32 v[167:168], v[44:45], v[4:5]
	v_mul_f64_e32 v[4:5], v[42:43], v[4:5]
	s_wait_loadcnt_dscnt 0x900
	v_mul_f64_e32 v[171:172], v[38:39], v[8:9]
	v_mul_f64_e32 v[8:9], v[40:41], v[8:9]
	s_delay_alu instid0(VALU_DEP_4) | instskip(NEXT) | instid1(VALU_DEP_4)
	v_fma_f64 v[173:174], v[42:43], v[2:3], -v[167:168]
	v_fma_f64 v[175:176], v[44:45], v[2:3], v[4:5]
	ds_load_b128 v[2:5], v1 offset:1120
	ds_load_b128 v[167:170], v1 offset:1136
	scratch_load_b128 v[42:45], off, off offset:368
	v_fma_f64 v[40:41], v[40:41], v[6:7], v[171:172]
	v_fma_f64 v[38:39], v[38:39], v[6:7], -v[8:9]
	scratch_load_b128 v[6:9], off, off offset:384
	s_wait_loadcnt_dscnt 0xa01
	v_mul_f64_e32 v[177:178], v[2:3], v[12:13]
	v_mul_f64_e32 v[12:13], v[4:5], v[12:13]
	v_add_f64_e32 v[171:172], 0, v[173:174]
	v_add_f64_e32 v[173:174], 0, v[175:176]
	s_wait_loadcnt_dscnt 0x900
	v_mul_f64_e32 v[175:176], v[167:168], v[16:17]
	v_mul_f64_e32 v[16:17], v[169:170], v[16:17]
	v_fma_f64 v[177:178], v[4:5], v[10:11], v[177:178]
	v_fma_f64 v[179:180], v[2:3], v[10:11], -v[12:13]
	ds_load_b128 v[2:5], v1 offset:1152
	scratch_load_b128 v[10:13], off, off offset:400
	v_add_f64_e32 v[171:172], v[171:172], v[38:39]
	v_add_f64_e32 v[173:174], v[173:174], v[40:41]
	ds_load_b128 v[38:41], v1 offset:1168
	v_fma_f64 v[169:170], v[169:170], v[14:15], v[175:176]
	v_fma_f64 v[167:168], v[167:168], v[14:15], -v[16:17]
	scratch_load_b128 v[14:17], off, off offset:416
	s_wait_loadcnt_dscnt 0xa01
	v_mul_f64_e32 v[181:182], v[2:3], v[20:21]
	v_mul_f64_e32 v[20:21], v[4:5], v[20:21]
	s_wait_loadcnt_dscnt 0x900
	v_mul_f64_e32 v[175:176], v[38:39], v[24:25]
	v_mul_f64_e32 v[24:25], v[40:41], v[24:25]
	v_add_f64_e32 v[171:172], v[171:172], v[179:180]
	v_add_f64_e32 v[173:174], v[173:174], v[177:178]
	v_fma_f64 v[177:178], v[4:5], v[18:19], v[181:182]
	v_fma_f64 v[179:180], v[2:3], v[18:19], -v[20:21]
	ds_load_b128 v[2:5], v1 offset:1184
	scratch_load_b128 v[18:21], off, off offset:432
	v_fma_f64 v[40:41], v[40:41], v[22:23], v[175:176]
	v_fma_f64 v[38:39], v[38:39], v[22:23], -v[24:25]
	scratch_load_b128 v[22:25], off, off offset:448
	v_add_f64_e32 v[171:172], v[171:172], v[167:168]
	v_add_f64_e32 v[173:174], v[173:174], v[169:170]
	ds_load_b128 v[167:170], v1 offset:1200
	s_wait_loadcnt_dscnt 0xa01
	v_mul_f64_e32 v[181:182], v[2:3], v[28:29]
	v_mul_f64_e32 v[28:29], v[4:5], v[28:29]
	s_wait_loadcnt_dscnt 0x900
	v_mul_f64_e32 v[175:176], v[167:168], v[32:33]
	v_mul_f64_e32 v[32:33], v[169:170], v[32:33]
	v_add_f64_e32 v[171:172], v[171:172], v[179:180]
	v_add_f64_e32 v[173:174], v[173:174], v[177:178]
	v_fma_f64 v[177:178], v[4:5], v[26:27], v[181:182]
	v_fma_f64 v[179:180], v[2:3], v[26:27], -v[28:29]
	ds_load_b128 v[2:5], v1 offset:1216
	scratch_load_b128 v[26:29], off, off offset:464
	v_fma_f64 v[169:170], v[169:170], v[30:31], v[175:176]
	v_fma_f64 v[167:168], v[167:168], v[30:31], -v[32:33]
	scratch_load_b128 v[30:33], off, off offset:480
	v_add_f64_e32 v[171:172], v[171:172], v[38:39]
	v_add_f64_e32 v[173:174], v[173:174], v[40:41]
	ds_load_b128 v[38:41], v1 offset:1232
	s_wait_loadcnt_dscnt 0xa01
	v_mul_f64_e32 v[181:182], v[2:3], v[36:37]
	v_mul_f64_e32 v[36:37], v[4:5], v[36:37]
	s_wait_loadcnt_dscnt 0x800
	v_mul_f64_e32 v[175:176], v[38:39], v[165:166]
	v_add_f64_e32 v[171:172], v[171:172], v[179:180]
	v_add_f64_e32 v[173:174], v[173:174], v[177:178]
	v_mul_f64_e32 v[177:178], v[40:41], v[165:166]
	v_fma_f64 v[179:180], v[4:5], v[34:35], v[181:182]
	v_fma_f64 v[181:182], v[2:3], v[34:35], -v[36:37]
	ds_load_b128 v[2:5], v1 offset:1248
	scratch_load_b128 v[34:37], off, off offset:496
	v_fma_f64 v[175:176], v[40:41], v[163:164], v[175:176]
	v_add_f64_e32 v[171:172], v[171:172], v[167:168]
	v_add_f64_e32 v[169:170], v[173:174], v[169:170]
	ds_load_b128 v[165:168], v1 offset:1264
	v_fma_f64 v[163:164], v[38:39], v[163:164], -v[177:178]
	scratch_load_b128 v[38:41], off, off offset:512
	s_wait_loadcnt_dscnt 0x901
	v_mul_f64_e32 v[173:174], v[2:3], v[44:45]
	v_mul_f64_e32 v[44:45], v[4:5], v[44:45]
	s_wait_loadcnt_dscnt 0x800
	v_mul_f64_e32 v[177:178], v[165:166], v[8:9]
	v_mul_f64_e32 v[8:9], v[167:168], v[8:9]
	v_add_f64_e32 v[171:172], v[171:172], v[181:182]
	v_add_f64_e32 v[169:170], v[169:170], v[179:180]
	v_fma_f64 v[173:174], v[4:5], v[42:43], v[173:174]
	v_fma_f64 v[179:180], v[2:3], v[42:43], -v[44:45]
	ds_load_b128 v[2:5], v1 offset:1280
	scratch_load_b128 v[42:45], off, off offset:528
	v_fma_f64 v[167:168], v[167:168], v[6:7], v[177:178]
	v_fma_f64 v[165:166], v[165:166], v[6:7], -v[8:9]
	scratch_load_b128 v[6:9], off, off offset:544
	v_add_f64_e32 v[163:164], v[171:172], v[163:164]
	v_add_f64_e32 v[175:176], v[169:170], v[175:176]
	ds_load_b128 v[169:172], v1 offset:1296
	s_wait_loadcnt_dscnt 0x901
	v_mul_f64_e32 v[181:182], v[2:3], v[12:13]
	v_mul_f64_e32 v[12:13], v[4:5], v[12:13]
	v_add_f64_e32 v[163:164], v[163:164], v[179:180]
	v_add_f64_e32 v[173:174], v[175:176], v[173:174]
	s_wait_loadcnt_dscnt 0x800
	v_mul_f64_e32 v[175:176], v[169:170], v[16:17]
	v_mul_f64_e32 v[16:17], v[171:172], v[16:17]
	v_fma_f64 v[177:178], v[4:5], v[10:11], v[181:182]
	v_fma_f64 v[179:180], v[2:3], v[10:11], -v[12:13]
	ds_load_b128 v[2:5], v1 offset:1312
	scratch_load_b128 v[10:13], off, off offset:560
	v_add_f64_e32 v[181:182], v[163:164], v[165:166]
	v_add_f64_e32 v[167:168], v[173:174], v[167:168]
	ds_load_b128 v[163:166], v1 offset:1328
	s_wait_loadcnt_dscnt 0x801
	v_mul_f64_e32 v[173:174], v[2:3], v[20:21]
	v_mul_f64_e32 v[20:21], v[4:5], v[20:21]
	v_fma_f64 v[171:172], v[171:172], v[14:15], v[175:176]
	v_fma_f64 v[169:170], v[169:170], v[14:15], -v[16:17]
	scratch_load_b128 v[14:17], off, off offset:576
	v_add_f64_e32 v[175:176], v[181:182], v[179:180]
	v_add_f64_e32 v[167:168], v[167:168], v[177:178]
	s_wait_loadcnt_dscnt 0x800
	v_mul_f64_e32 v[177:178], v[163:164], v[24:25]
	v_mul_f64_e32 v[24:25], v[165:166], v[24:25]
	v_fma_f64 v[173:174], v[4:5], v[18:19], v[173:174]
	v_fma_f64 v[179:180], v[2:3], v[18:19], -v[20:21]
	ds_load_b128 v[2:5], v1 offset:1344
	scratch_load_b128 v[18:21], off, off offset:592
	v_add_f64_e32 v[175:176], v[175:176], v[169:170]
	v_add_f64_e32 v[171:172], v[167:168], v[171:172]
	ds_load_b128 v[167:170], v1 offset:1360
	s_wait_loadcnt_dscnt 0x801
	v_mul_f64_e32 v[181:182], v[2:3], v[28:29]
	v_mul_f64_e32 v[28:29], v[4:5], v[28:29]
	v_fma_f64 v[165:166], v[165:166], v[22:23], v[177:178]
	v_fma_f64 v[163:164], v[163:164], v[22:23], -v[24:25]
	scratch_load_b128 v[22:25], off, off offset:608
	;; [unrolled: 18-line block ×4, first 2 shown]
	s_wait_loadcnt_dscnt 0x800
	v_mul_f64_e32 v[175:176], v[167:168], v[8:9]
	v_mul_f64_e32 v[8:9], v[169:170], v[8:9]
	v_add_f64_e32 v[173:174], v[173:174], v[179:180]
	v_add_f64_e32 v[171:172], v[171:172], v[177:178]
	v_fma_f64 v[177:178], v[4:5], v[42:43], v[181:182]
	v_fma_f64 v[179:180], v[2:3], v[42:43], -v[44:45]
	ds_load_b128 v[2:5], v1 offset:1440
	scratch_load_b128 v[42:45], off, off offset:688
	v_fma_f64 v[169:170], v[169:170], v[6:7], v[175:176]
	v_fma_f64 v[167:168], v[167:168], v[6:7], -v[8:9]
	scratch_load_b128 v[6:9], off, off offset:704
	v_add_f64_e32 v[173:174], v[173:174], v[163:164]
	v_add_f64_e32 v[171:172], v[171:172], v[165:166]
	ds_load_b128 v[163:166], v1 offset:1456
	s_wait_loadcnt_dscnt 0x901
	v_mul_f64_e32 v[181:182], v[2:3], v[12:13]
	v_mul_f64_e32 v[12:13], v[4:5], v[12:13]
	s_wait_loadcnt_dscnt 0x800
	v_mul_f64_e32 v[175:176], v[163:164], v[16:17]
	v_mul_f64_e32 v[16:17], v[165:166], v[16:17]
	v_add_f64_e32 v[173:174], v[173:174], v[179:180]
	v_add_f64_e32 v[171:172], v[171:172], v[177:178]
	v_fma_f64 v[177:178], v[4:5], v[10:11], v[181:182]
	v_fma_f64 v[179:180], v[2:3], v[10:11], -v[12:13]
	ds_load_b128 v[2:5], v1 offset:1472
	scratch_load_b128 v[10:13], off, off offset:720
	v_fma_f64 v[165:166], v[165:166], v[14:15], v[175:176]
	v_fma_f64 v[163:164], v[163:164], v[14:15], -v[16:17]
	scratch_load_b128 v[14:17], off, off offset:736
	v_add_f64_e32 v[173:174], v[173:174], v[167:168]
	v_add_f64_e32 v[171:172], v[171:172], v[169:170]
	ds_load_b128 v[167:170], v1 offset:1488
	s_wait_loadcnt_dscnt 0x901
	v_mul_f64_e32 v[181:182], v[2:3], v[20:21]
	v_mul_f64_e32 v[20:21], v[4:5], v[20:21]
	;; [unrolled: 18-line block ×7, first 2 shown]
	s_wait_loadcnt_dscnt 0x800
	v_mul_f64_e32 v[175:176], v[163:164], v[24:25]
	v_mul_f64_e32 v[24:25], v[165:166], v[24:25]
	v_add_f64_e32 v[173:174], v[173:174], v[179:180]
	v_add_f64_e32 v[171:172], v[171:172], v[177:178]
	v_fma_f64 v[177:178], v[4:5], v[18:19], v[181:182]
	v_fma_f64 v[179:180], v[2:3], v[18:19], -v[20:21]
	ds_load_b128 v[2:5], v1 offset:1664
	ds_load_b128 v[18:21], v1 offset:1680
	v_fma_f64 v[165:166], v[165:166], v[22:23], v[175:176]
	v_fma_f64 v[22:23], v[163:164], v[22:23], -v[24:25]
	v_add_f64_e32 v[167:168], v[173:174], v[167:168]
	v_add_f64_e32 v[169:170], v[171:172], v[169:170]
	s_wait_loadcnt_dscnt 0x701
	v_mul_f64_e32 v[171:172], v[2:3], v[28:29]
	v_mul_f64_e32 v[28:29], v[4:5], v[28:29]
	s_delay_alu instid0(VALU_DEP_4) | instskip(NEXT) | instid1(VALU_DEP_4)
	v_add_f64_e32 v[24:25], v[167:168], v[179:180]
	v_add_f64_e32 v[163:164], v[169:170], v[177:178]
	s_wait_loadcnt_dscnt 0x600
	v_mul_f64_e32 v[167:168], v[18:19], v[32:33]
	v_mul_f64_e32 v[32:33], v[20:21], v[32:33]
	v_fma_f64 v[169:170], v[4:5], v[26:27], v[171:172]
	v_fma_f64 v[26:27], v[2:3], v[26:27], -v[28:29]
	v_add_f64_e32 v[28:29], v[24:25], v[22:23]
	v_add_f64_e32 v[163:164], v[163:164], v[165:166]
	ds_load_b128 v[2:5], v1 offset:1696
	ds_load_b128 v[22:25], v1 offset:1712
	v_fma_f64 v[20:21], v[20:21], v[30:31], v[167:168]
	v_fma_f64 v[18:19], v[18:19], v[30:31], -v[32:33]
	s_wait_loadcnt_dscnt 0x501
	v_mul_f64_e32 v[165:166], v[2:3], v[36:37]
	v_mul_f64_e32 v[36:37], v[4:5], v[36:37]
	s_wait_loadcnt_dscnt 0x400
	v_mul_f64_e32 v[30:31], v[22:23], v[40:41]
	v_mul_f64_e32 v[32:33], v[24:25], v[40:41]
	v_add_f64_e32 v[26:27], v[28:29], v[26:27]
	v_add_f64_e32 v[28:29], v[163:164], v[169:170]
	v_fma_f64 v[40:41], v[4:5], v[34:35], v[165:166]
	v_fma_f64 v[34:35], v[2:3], v[34:35], -v[36:37]
	v_fma_f64 v[24:25], v[24:25], v[38:39], v[30:31]
	v_fma_f64 v[22:23], v[22:23], v[38:39], -v[32:33]
	v_add_f64_e32 v[26:27], v[26:27], v[18:19]
	v_add_f64_e32 v[28:29], v[28:29], v[20:21]
	ds_load_b128 v[2:5], v1 offset:1728
	ds_load_b128 v[18:21], v1 offset:1744
	s_wait_loadcnt_dscnt 0x301
	v_mul_f64_e32 v[36:37], v[2:3], v[44:45]
	v_mul_f64_e32 v[44:45], v[4:5], v[44:45]
	s_wait_loadcnt_dscnt 0x200
	v_mul_f64_e32 v[30:31], v[18:19], v[8:9]
	v_mul_f64_e32 v[8:9], v[20:21], v[8:9]
	v_add_f64_e32 v[26:27], v[26:27], v[34:35]
	v_add_f64_e32 v[28:29], v[28:29], v[40:41]
	v_fma_f64 v[32:33], v[4:5], v[42:43], v[36:37]
	v_fma_f64 v[34:35], v[2:3], v[42:43], -v[44:45]
	v_fma_f64 v[20:21], v[20:21], v[6:7], v[30:31]
	v_fma_f64 v[6:7], v[18:19], v[6:7], -v[8:9]
	v_add_f64_e32 v[26:27], v[26:27], v[22:23]
	v_add_f64_e32 v[28:29], v[28:29], v[24:25]
	ds_load_b128 v[2:5], v1 offset:1760
	ds_load_b128 v[22:25], v1 offset:1776
	s_wait_loadcnt_dscnt 0x101
	v_mul_f64_e32 v[36:37], v[2:3], v[12:13]
	v_mul_f64_e32 v[12:13], v[4:5], v[12:13]
	v_add_f64_e32 v[8:9], v[26:27], v[34:35]
	v_add_f64_e32 v[18:19], v[28:29], v[32:33]
	s_wait_loadcnt_dscnt 0x0
	v_mul_f64_e32 v[26:27], v[22:23], v[16:17]
	v_mul_f64_e32 v[16:17], v[24:25], v[16:17]
	v_fma_f64 v[4:5], v[4:5], v[10:11], v[36:37]
	v_fma_f64 v[1:2], v[2:3], v[10:11], -v[12:13]
	v_add_f64_e32 v[6:7], v[8:9], v[6:7]
	v_add_f64_e32 v[8:9], v[18:19], v[20:21]
	v_fma_f64 v[10:11], v[24:25], v[14:15], v[26:27]
	v_fma_f64 v[12:13], v[22:23], v[14:15], -v[16:17]
	s_delay_alu instid0(VALU_DEP_4) | instskip(NEXT) | instid1(VALU_DEP_4)
	v_add_f64_e32 v[1:2], v[6:7], v[1:2]
	v_add_f64_e32 v[3:4], v[8:9], v[4:5]
	s_delay_alu instid0(VALU_DEP_2) | instskip(NEXT) | instid1(VALU_DEP_2)
	v_add_f64_e32 v[1:2], v[1:2], v[12:13]
	v_add_f64_e32 v[3:4], v[3:4], v[10:11]
	s_delay_alu instid0(VALU_DEP_2) | instskip(NEXT) | instid1(VALU_DEP_2)
	v_add_f64_e64 v[1:2], v[159:160], -v[1:2]
	v_add_f64_e64 v[3:4], v[161:162], -v[3:4]
	scratch_store_b128 off, v[1:4], off offset:192
	v_cmpx_lt_u32_e32 10, v0
	s_cbranch_execz .LBB55_329
; %bb.328:
	scratch_load_b128 v[1:4], off, s59
	v_mov_b32_e32 v5, 0
	s_delay_alu instid0(VALU_DEP_1)
	v_dual_mov_b32 v6, v5 :: v_dual_mov_b32 v7, v5
	v_mov_b32_e32 v8, v5
	scratch_store_b128 off, v[5:8], off offset:176
	s_wait_loadcnt 0x0
	ds_store_b128 v158, v[1:4]
.LBB55_329:
	s_wait_alu 0xfffe
	s_or_b32 exec_lo, exec_lo, s0
	s_wait_storecnt_dscnt 0x0
	s_barrier_signal -1
	s_barrier_wait -1
	global_inv scope:SCOPE_SE
	s_clause 0x7
	scratch_load_b128 v[2:5], off, off offset:192
	scratch_load_b128 v[6:9], off, off offset:208
	;; [unrolled: 1-line block ×8, first 2 shown]
	v_mov_b32_e32 v1, 0
	s_mov_b32 s0, exec_lo
	ds_load_b128 v[38:41], v1 offset:1072
	s_clause 0x1
	scratch_load_b128 v[34:37], off, off offset:320
	scratch_load_b128 v[42:45], off, off offset:176
	ds_load_b128 v[159:162], v1 offset:1088
	scratch_load_b128 v[163:166], off, off offset:336
	s_wait_loadcnt_dscnt 0xa01
	v_mul_f64_e32 v[167:168], v[40:41], v[4:5]
	v_mul_f64_e32 v[4:5], v[38:39], v[4:5]
	s_delay_alu instid0(VALU_DEP_2) | instskip(NEXT) | instid1(VALU_DEP_2)
	v_fma_f64 v[173:174], v[38:39], v[2:3], -v[167:168]
	v_fma_f64 v[175:176], v[40:41], v[2:3], v[4:5]
	ds_load_b128 v[2:5], v1 offset:1104
	s_wait_loadcnt_dscnt 0x901
	v_mul_f64_e32 v[171:172], v[159:160], v[8:9]
	v_mul_f64_e32 v[8:9], v[161:162], v[8:9]
	scratch_load_b128 v[38:41], off, off offset:352
	ds_load_b128 v[167:170], v1 offset:1120
	s_wait_loadcnt_dscnt 0x901
	v_mul_f64_e32 v[177:178], v[2:3], v[12:13]
	v_mul_f64_e32 v[12:13], v[4:5], v[12:13]
	v_fma_f64 v[161:162], v[161:162], v[6:7], v[171:172]
	v_fma_f64 v[159:160], v[159:160], v[6:7], -v[8:9]
	v_add_f64_e32 v[171:172], 0, v[173:174]
	v_add_f64_e32 v[173:174], 0, v[175:176]
	scratch_load_b128 v[6:9], off, off offset:368
	v_fma_f64 v[177:178], v[4:5], v[10:11], v[177:178]
	v_fma_f64 v[179:180], v[2:3], v[10:11], -v[12:13]
	ds_load_b128 v[2:5], v1 offset:1136
	s_wait_loadcnt_dscnt 0x901
	v_mul_f64_e32 v[175:176], v[167:168], v[16:17]
	v_mul_f64_e32 v[16:17], v[169:170], v[16:17]
	scratch_load_b128 v[10:13], off, off offset:384
	v_add_f64_e32 v[171:172], v[171:172], v[159:160]
	v_add_f64_e32 v[173:174], v[173:174], v[161:162]
	s_wait_loadcnt_dscnt 0x900
	v_mul_f64_e32 v[181:182], v[2:3], v[20:21]
	v_mul_f64_e32 v[20:21], v[4:5], v[20:21]
	ds_load_b128 v[159:162], v1 offset:1152
	v_fma_f64 v[169:170], v[169:170], v[14:15], v[175:176]
	v_fma_f64 v[167:168], v[167:168], v[14:15], -v[16:17]
	scratch_load_b128 v[14:17], off, off offset:400
	v_add_f64_e32 v[171:172], v[171:172], v[179:180]
	v_add_f64_e32 v[173:174], v[173:174], v[177:178]
	v_fma_f64 v[177:178], v[4:5], v[18:19], v[181:182]
	v_fma_f64 v[179:180], v[2:3], v[18:19], -v[20:21]
	ds_load_b128 v[2:5], v1 offset:1168
	s_wait_loadcnt_dscnt 0x901
	v_mul_f64_e32 v[175:176], v[159:160], v[24:25]
	v_mul_f64_e32 v[24:25], v[161:162], v[24:25]
	scratch_load_b128 v[18:21], off, off offset:416
	s_wait_loadcnt_dscnt 0x900
	v_mul_f64_e32 v[181:182], v[2:3], v[28:29]
	v_mul_f64_e32 v[28:29], v[4:5], v[28:29]
	v_add_f64_e32 v[171:172], v[171:172], v[167:168]
	v_add_f64_e32 v[173:174], v[173:174], v[169:170]
	ds_load_b128 v[167:170], v1 offset:1184
	v_fma_f64 v[161:162], v[161:162], v[22:23], v[175:176]
	v_fma_f64 v[159:160], v[159:160], v[22:23], -v[24:25]
	scratch_load_b128 v[22:25], off, off offset:432
	v_add_f64_e32 v[171:172], v[171:172], v[179:180]
	v_add_f64_e32 v[173:174], v[173:174], v[177:178]
	v_fma_f64 v[177:178], v[4:5], v[26:27], v[181:182]
	v_fma_f64 v[179:180], v[2:3], v[26:27], -v[28:29]
	ds_load_b128 v[2:5], v1 offset:1200
	s_wait_loadcnt_dscnt 0x901
	v_mul_f64_e32 v[175:176], v[167:168], v[32:33]
	v_mul_f64_e32 v[32:33], v[169:170], v[32:33]
	scratch_load_b128 v[26:29], off, off offset:448
	s_wait_loadcnt_dscnt 0x900
	v_mul_f64_e32 v[181:182], v[2:3], v[36:37]
	v_mul_f64_e32 v[36:37], v[4:5], v[36:37]
	v_add_f64_e32 v[171:172], v[171:172], v[159:160]
	v_add_f64_e32 v[173:174], v[173:174], v[161:162]
	ds_load_b128 v[159:162], v1 offset:1216
	v_fma_f64 v[169:170], v[169:170], v[30:31], v[175:176]
	v_fma_f64 v[167:168], v[167:168], v[30:31], -v[32:33]
	scratch_load_b128 v[30:33], off, off offset:464
	v_add_f64_e32 v[171:172], v[171:172], v[179:180]
	v_add_f64_e32 v[173:174], v[173:174], v[177:178]
	v_fma_f64 v[179:180], v[4:5], v[34:35], v[181:182]
	v_fma_f64 v[181:182], v[2:3], v[34:35], -v[36:37]
	ds_load_b128 v[2:5], v1 offset:1232
	s_wait_loadcnt_dscnt 0x801
	v_mul_f64_e32 v[175:176], v[159:160], v[165:166]
	v_mul_f64_e32 v[177:178], v[161:162], v[165:166]
	scratch_load_b128 v[34:37], off, off offset:480
	v_add_f64_e32 v[171:172], v[171:172], v[167:168]
	v_add_f64_e32 v[169:170], v[173:174], v[169:170]
	ds_load_b128 v[165:168], v1 offset:1248
	v_fma_f64 v[175:176], v[161:162], v[163:164], v[175:176]
	v_fma_f64 v[163:164], v[159:160], v[163:164], -v[177:178]
	scratch_load_b128 v[159:162], off, off offset:496
	s_wait_loadcnt_dscnt 0x901
	v_mul_f64_e32 v[173:174], v[2:3], v[40:41]
	v_mul_f64_e32 v[40:41], v[4:5], v[40:41]
	v_add_f64_e32 v[171:172], v[171:172], v[181:182]
	v_add_f64_e32 v[169:170], v[169:170], v[179:180]
	s_delay_alu instid0(VALU_DEP_4) | instskip(NEXT) | instid1(VALU_DEP_4)
	v_fma_f64 v[173:174], v[4:5], v[38:39], v[173:174]
	v_fma_f64 v[179:180], v[2:3], v[38:39], -v[40:41]
	ds_load_b128 v[2:5], v1 offset:1264
	s_wait_loadcnt_dscnt 0x801
	v_mul_f64_e32 v[177:178], v[165:166], v[8:9]
	v_mul_f64_e32 v[8:9], v[167:168], v[8:9]
	scratch_load_b128 v[38:41], off, off offset:512
	s_wait_loadcnt_dscnt 0x800
	v_mul_f64_e32 v[181:182], v[2:3], v[12:13]
	v_add_f64_e32 v[163:164], v[171:172], v[163:164]
	v_add_f64_e32 v[175:176], v[169:170], v[175:176]
	v_mul_f64_e32 v[12:13], v[4:5], v[12:13]
	ds_load_b128 v[169:172], v1 offset:1280
	v_fma_f64 v[167:168], v[167:168], v[6:7], v[177:178]
	v_fma_f64 v[165:166], v[165:166], v[6:7], -v[8:9]
	scratch_load_b128 v[6:9], off, off offset:528
	v_fma_f64 v[177:178], v[4:5], v[10:11], v[181:182]
	v_add_f64_e32 v[163:164], v[163:164], v[179:180]
	v_add_f64_e32 v[173:174], v[175:176], v[173:174]
	v_fma_f64 v[179:180], v[2:3], v[10:11], -v[12:13]
	ds_load_b128 v[2:5], v1 offset:1296
	s_wait_loadcnt_dscnt 0x801
	v_mul_f64_e32 v[175:176], v[169:170], v[16:17]
	v_mul_f64_e32 v[16:17], v[171:172], v[16:17]
	scratch_load_b128 v[10:13], off, off offset:544
	v_add_f64_e32 v[181:182], v[163:164], v[165:166]
	v_add_f64_e32 v[167:168], v[173:174], v[167:168]
	s_wait_loadcnt_dscnt 0x800
	v_mul_f64_e32 v[173:174], v[2:3], v[20:21]
	v_mul_f64_e32 v[20:21], v[4:5], v[20:21]
	v_fma_f64 v[171:172], v[171:172], v[14:15], v[175:176]
	v_fma_f64 v[169:170], v[169:170], v[14:15], -v[16:17]
	ds_load_b128 v[163:166], v1 offset:1312
	scratch_load_b128 v[14:17], off, off offset:560
	v_add_f64_e32 v[175:176], v[181:182], v[179:180]
	v_add_f64_e32 v[167:168], v[167:168], v[177:178]
	v_fma_f64 v[173:174], v[4:5], v[18:19], v[173:174]
	v_fma_f64 v[179:180], v[2:3], v[18:19], -v[20:21]
	ds_load_b128 v[2:5], v1 offset:1328
	s_wait_loadcnt_dscnt 0x801
	v_mul_f64_e32 v[177:178], v[163:164], v[24:25]
	v_mul_f64_e32 v[24:25], v[165:166], v[24:25]
	scratch_load_b128 v[18:21], off, off offset:576
	s_wait_loadcnt_dscnt 0x800
	v_mul_f64_e32 v[181:182], v[2:3], v[28:29]
	v_mul_f64_e32 v[28:29], v[4:5], v[28:29]
	v_add_f64_e32 v[175:176], v[175:176], v[169:170]
	v_add_f64_e32 v[171:172], v[167:168], v[171:172]
	ds_load_b128 v[167:170], v1 offset:1344
	v_fma_f64 v[165:166], v[165:166], v[22:23], v[177:178]
	v_fma_f64 v[163:164], v[163:164], v[22:23], -v[24:25]
	scratch_load_b128 v[22:25], off, off offset:592
	v_fma_f64 v[177:178], v[4:5], v[26:27], v[181:182]
	v_add_f64_e32 v[175:176], v[175:176], v[179:180]
	v_add_f64_e32 v[171:172], v[171:172], v[173:174]
	v_fma_f64 v[179:180], v[2:3], v[26:27], -v[28:29]
	ds_load_b128 v[2:5], v1 offset:1360
	s_wait_loadcnt_dscnt 0x801
	v_mul_f64_e32 v[173:174], v[167:168], v[32:33]
	v_mul_f64_e32 v[32:33], v[169:170], v[32:33]
	scratch_load_b128 v[26:29], off, off offset:608
	s_wait_loadcnt_dscnt 0x800
	v_mul_f64_e32 v[181:182], v[2:3], v[36:37]
	v_mul_f64_e32 v[36:37], v[4:5], v[36:37]
	v_add_f64_e32 v[175:176], v[175:176], v[163:164]
	v_add_f64_e32 v[171:172], v[171:172], v[165:166]
	ds_load_b128 v[163:166], v1 offset:1376
	v_fma_f64 v[169:170], v[169:170], v[30:31], v[173:174]
	v_fma_f64 v[167:168], v[167:168], v[30:31], -v[32:33]
	scratch_load_b128 v[30:33], off, off offset:624
	v_add_f64_e32 v[173:174], v[175:176], v[179:180]
	v_add_f64_e32 v[171:172], v[171:172], v[177:178]
	v_fma_f64 v[177:178], v[4:5], v[34:35], v[181:182]
	v_fma_f64 v[179:180], v[2:3], v[34:35], -v[36:37]
	ds_load_b128 v[2:5], v1 offset:1392
	s_wait_loadcnt_dscnt 0x801
	v_mul_f64_e32 v[175:176], v[163:164], v[161:162]
	v_mul_f64_e32 v[161:162], v[165:166], v[161:162]
	scratch_load_b128 v[34:37], off, off offset:640
	s_wait_loadcnt_dscnt 0x800
	v_mul_f64_e32 v[181:182], v[2:3], v[40:41]
	v_mul_f64_e32 v[40:41], v[4:5], v[40:41]
	v_add_f64_e32 v[173:174], v[173:174], v[167:168]
	v_add_f64_e32 v[171:172], v[171:172], v[169:170]
	ds_load_b128 v[167:170], v1 offset:1408
	v_fma_f64 v[165:166], v[165:166], v[159:160], v[175:176]
	v_fma_f64 v[163:164], v[163:164], v[159:160], -v[161:162]
	scratch_load_b128 v[159:162], off, off offset:656
	v_add_f64_e32 v[173:174], v[173:174], v[179:180]
	v_add_f64_e32 v[171:172], v[171:172], v[177:178]
	v_fma_f64 v[177:178], v[4:5], v[38:39], v[181:182]
	v_fma_f64 v[179:180], v[2:3], v[38:39], -v[40:41]
	ds_load_b128 v[2:5], v1 offset:1424
	s_wait_loadcnt_dscnt 0x801
	v_mul_f64_e32 v[175:176], v[167:168], v[8:9]
	v_mul_f64_e32 v[8:9], v[169:170], v[8:9]
	scratch_load_b128 v[38:41], off, off offset:672
	s_wait_loadcnt_dscnt 0x800
	v_mul_f64_e32 v[181:182], v[2:3], v[12:13]
	v_mul_f64_e32 v[12:13], v[4:5], v[12:13]
	v_add_f64_e32 v[173:174], v[173:174], v[163:164]
	v_add_f64_e32 v[171:172], v[171:172], v[165:166]
	ds_load_b128 v[163:166], v1 offset:1440
	v_fma_f64 v[169:170], v[169:170], v[6:7], v[175:176]
	v_fma_f64 v[167:168], v[167:168], v[6:7], -v[8:9]
	scratch_load_b128 v[6:9], off, off offset:688
	v_add_f64_e32 v[173:174], v[173:174], v[179:180]
	v_add_f64_e32 v[171:172], v[171:172], v[177:178]
	v_fma_f64 v[177:178], v[4:5], v[10:11], v[181:182]
	v_fma_f64 v[179:180], v[2:3], v[10:11], -v[12:13]
	ds_load_b128 v[2:5], v1 offset:1456
	s_wait_loadcnt_dscnt 0x801
	v_mul_f64_e32 v[175:176], v[163:164], v[16:17]
	v_mul_f64_e32 v[16:17], v[165:166], v[16:17]
	scratch_load_b128 v[10:13], off, off offset:704
	s_wait_loadcnt_dscnt 0x800
	v_mul_f64_e32 v[181:182], v[2:3], v[20:21]
	v_mul_f64_e32 v[20:21], v[4:5], v[20:21]
	v_add_f64_e32 v[173:174], v[173:174], v[167:168]
	v_add_f64_e32 v[171:172], v[171:172], v[169:170]
	ds_load_b128 v[167:170], v1 offset:1472
	v_fma_f64 v[165:166], v[165:166], v[14:15], v[175:176]
	v_fma_f64 v[163:164], v[163:164], v[14:15], -v[16:17]
	scratch_load_b128 v[14:17], off, off offset:720
	v_add_f64_e32 v[173:174], v[173:174], v[179:180]
	v_add_f64_e32 v[171:172], v[171:172], v[177:178]
	v_fma_f64 v[177:178], v[4:5], v[18:19], v[181:182]
	v_fma_f64 v[179:180], v[2:3], v[18:19], -v[20:21]
	ds_load_b128 v[2:5], v1 offset:1488
	s_wait_loadcnt_dscnt 0x801
	v_mul_f64_e32 v[175:176], v[167:168], v[24:25]
	v_mul_f64_e32 v[24:25], v[169:170], v[24:25]
	scratch_load_b128 v[18:21], off, off offset:736
	s_wait_loadcnt_dscnt 0x800
	v_mul_f64_e32 v[181:182], v[2:3], v[28:29]
	v_mul_f64_e32 v[28:29], v[4:5], v[28:29]
	v_add_f64_e32 v[173:174], v[173:174], v[163:164]
	v_add_f64_e32 v[171:172], v[171:172], v[165:166]
	ds_load_b128 v[163:166], v1 offset:1504
	v_fma_f64 v[169:170], v[169:170], v[22:23], v[175:176]
	v_fma_f64 v[167:168], v[167:168], v[22:23], -v[24:25]
	scratch_load_b128 v[22:25], off, off offset:752
	v_add_f64_e32 v[173:174], v[173:174], v[179:180]
	v_add_f64_e32 v[171:172], v[171:172], v[177:178]
	v_fma_f64 v[177:178], v[4:5], v[26:27], v[181:182]
	v_fma_f64 v[179:180], v[2:3], v[26:27], -v[28:29]
	ds_load_b128 v[2:5], v1 offset:1520
	s_wait_loadcnt_dscnt 0x801
	v_mul_f64_e32 v[175:176], v[163:164], v[32:33]
	v_mul_f64_e32 v[32:33], v[165:166], v[32:33]
	scratch_load_b128 v[26:29], off, off offset:768
	s_wait_loadcnt_dscnt 0x800
	v_mul_f64_e32 v[181:182], v[2:3], v[36:37]
	v_mul_f64_e32 v[36:37], v[4:5], v[36:37]
	v_add_f64_e32 v[173:174], v[173:174], v[167:168]
	v_add_f64_e32 v[171:172], v[171:172], v[169:170]
	ds_load_b128 v[167:170], v1 offset:1536
	v_fma_f64 v[165:166], v[165:166], v[30:31], v[175:176]
	v_fma_f64 v[163:164], v[163:164], v[30:31], -v[32:33]
	scratch_load_b128 v[30:33], off, off offset:784
	v_add_f64_e32 v[173:174], v[173:174], v[179:180]
	v_add_f64_e32 v[171:172], v[171:172], v[177:178]
	v_fma_f64 v[179:180], v[4:5], v[34:35], v[181:182]
	v_fma_f64 v[181:182], v[2:3], v[34:35], -v[36:37]
	ds_load_b128 v[2:5], v1 offset:1552
	s_wait_loadcnt_dscnt 0x801
	v_mul_f64_e32 v[175:176], v[167:168], v[161:162]
	v_mul_f64_e32 v[177:178], v[169:170], v[161:162]
	scratch_load_b128 v[34:37], off, off offset:800
	v_add_f64_e32 v[173:174], v[173:174], v[163:164]
	v_add_f64_e32 v[165:166], v[171:172], v[165:166]
	s_wait_loadcnt_dscnt 0x800
	v_mul_f64_e32 v[171:172], v[2:3], v[40:41]
	v_mul_f64_e32 v[40:41], v[4:5], v[40:41]
	ds_load_b128 v[161:164], v1 offset:1568
	v_fma_f64 v[169:170], v[169:170], v[159:160], v[175:176]
	v_fma_f64 v[159:160], v[167:168], v[159:160], -v[177:178]
	v_add_f64_e32 v[173:174], v[173:174], v[181:182]
	v_add_f64_e32 v[175:176], v[165:166], v[179:180]
	scratch_load_b128 v[165:168], off, off offset:816
	v_fma_f64 v[179:180], v[4:5], v[38:39], v[171:172]
	v_fma_f64 v[181:182], v[2:3], v[38:39], -v[40:41]
	ds_load_b128 v[2:5], v1 offset:1584
	s_wait_loadcnt_dscnt 0x801
	v_mul_f64_e32 v[177:178], v[161:162], v[8:9]
	v_mul_f64_e32 v[8:9], v[163:164], v[8:9]
	scratch_load_b128 v[38:41], off, off offset:832
	v_add_f64_e32 v[159:160], v[173:174], v[159:160]
	v_add_f64_e32 v[173:174], v[175:176], v[169:170]
	s_wait_loadcnt_dscnt 0x800
	v_mul_f64_e32 v[175:176], v[2:3], v[12:13]
	v_mul_f64_e32 v[12:13], v[4:5], v[12:13]
	ds_load_b128 v[169:172], v1 offset:1600
	v_fma_f64 v[163:164], v[163:164], v[6:7], v[177:178]
	v_fma_f64 v[161:162], v[161:162], v[6:7], -v[8:9]
	scratch_load_b128 v[6:9], off, off offset:848
	v_add_f64_e32 v[159:160], v[159:160], v[181:182]
	v_add_f64_e32 v[173:174], v[173:174], v[179:180]
	v_fma_f64 v[175:176], v[4:5], v[10:11], v[175:176]
	v_fma_f64 v[179:180], v[2:3], v[10:11], -v[12:13]
	ds_load_b128 v[2:5], v1 offset:1616
	s_wait_loadcnt_dscnt 0x801
	v_mul_f64_e32 v[177:178], v[169:170], v[16:17]
	v_mul_f64_e32 v[16:17], v[171:172], v[16:17]
	scratch_load_b128 v[10:13], off, off offset:864
	v_add_f64_e32 v[181:182], v[159:160], v[161:162]
	v_add_f64_e32 v[163:164], v[173:174], v[163:164]
	s_wait_loadcnt_dscnt 0x800
	v_mul_f64_e32 v[173:174], v[2:3], v[20:21]
	v_mul_f64_e32 v[20:21], v[4:5], v[20:21]
	ds_load_b128 v[159:162], v1 offset:1632
	v_fma_f64 v[171:172], v[171:172], v[14:15], v[177:178]
	v_fma_f64 v[169:170], v[169:170], v[14:15], -v[16:17]
	scratch_load_b128 v[14:17], off, off offset:880
	v_add_f64_e32 v[177:178], v[181:182], v[179:180]
	v_add_f64_e32 v[163:164], v[163:164], v[175:176]
	v_fma_f64 v[173:174], v[4:5], v[18:19], v[173:174]
	v_fma_f64 v[179:180], v[2:3], v[18:19], -v[20:21]
	ds_load_b128 v[2:5], v1 offset:1648
	s_wait_loadcnt_dscnt 0x801
	v_mul_f64_e32 v[175:176], v[159:160], v[24:25]
	v_mul_f64_e32 v[24:25], v[161:162], v[24:25]
	scratch_load_b128 v[18:21], off, off offset:896
	s_wait_loadcnt_dscnt 0x800
	v_mul_f64_e32 v[181:182], v[2:3], v[28:29]
	v_mul_f64_e32 v[28:29], v[4:5], v[28:29]
	v_add_f64_e32 v[177:178], v[177:178], v[169:170]
	v_add_f64_e32 v[163:164], v[163:164], v[171:172]
	ds_load_b128 v[169:172], v1 offset:1664
	v_fma_f64 v[161:162], v[161:162], v[22:23], v[175:176]
	v_fma_f64 v[22:23], v[159:160], v[22:23], -v[24:25]
	v_add_f64_e32 v[24:25], v[177:178], v[179:180]
	v_add_f64_e32 v[159:160], v[163:164], v[173:174]
	s_wait_loadcnt_dscnt 0x700
	v_mul_f64_e32 v[163:164], v[169:170], v[32:33]
	v_mul_f64_e32 v[32:33], v[171:172], v[32:33]
	v_fma_f64 v[173:174], v[4:5], v[26:27], v[181:182]
	v_fma_f64 v[26:27], v[2:3], v[26:27], -v[28:29]
	v_add_f64_e32 v[28:29], v[24:25], v[22:23]
	v_add_f64_e32 v[159:160], v[159:160], v[161:162]
	ds_load_b128 v[2:5], v1 offset:1680
	ds_load_b128 v[22:25], v1 offset:1696
	v_fma_f64 v[163:164], v[171:172], v[30:31], v[163:164]
	v_fma_f64 v[30:31], v[169:170], v[30:31], -v[32:33]
	s_wait_loadcnt_dscnt 0x601
	v_mul_f64_e32 v[161:162], v[2:3], v[36:37]
	v_mul_f64_e32 v[36:37], v[4:5], v[36:37]
	v_add_f64_e32 v[26:27], v[28:29], v[26:27]
	v_add_f64_e32 v[28:29], v[159:160], v[173:174]
	s_wait_loadcnt_dscnt 0x500
	v_mul_f64_e32 v[32:33], v[22:23], v[167:168]
	v_mul_f64_e32 v[159:160], v[24:25], v[167:168]
	v_fma_f64 v[161:162], v[4:5], v[34:35], v[161:162]
	v_fma_f64 v[34:35], v[2:3], v[34:35], -v[36:37]
	v_add_f64_e32 v[30:31], v[26:27], v[30:31]
	v_add_f64_e32 v[36:37], v[28:29], v[163:164]
	ds_load_b128 v[2:5], v1 offset:1712
	ds_load_b128 v[26:29], v1 offset:1728
	v_fma_f64 v[24:25], v[24:25], v[165:166], v[32:33]
	v_fma_f64 v[22:23], v[22:23], v[165:166], -v[159:160]
	s_wait_loadcnt_dscnt 0x401
	v_mul_f64_e32 v[163:164], v[2:3], v[40:41]
	v_mul_f64_e32 v[40:41], v[4:5], v[40:41]
	;; [unrolled: 16-line block ×3, first 2 shown]
	v_add_f64_e32 v[8:9], v[30:31], v[38:39]
	v_add_f64_e32 v[26:27], v[32:33], v[36:37]
	s_wait_loadcnt_dscnt 0x100
	v_mul_f64_e32 v[30:31], v[22:23], v[16:17]
	v_mul_f64_e32 v[16:17], v[24:25], v[16:17]
	v_fma_f64 v[32:33], v[4:5], v[10:11], v[40:41]
	v_fma_f64 v[10:11], v[2:3], v[10:11], -v[12:13]
	ds_load_b128 v[2:5], v1 offset:1776
	v_add_f64_e32 v[6:7], v[8:9], v[6:7]
	v_add_f64_e32 v[8:9], v[26:27], v[28:29]
	v_fma_f64 v[24:25], v[24:25], v[14:15], v[30:31]
	v_fma_f64 v[14:15], v[22:23], v[14:15], -v[16:17]
	s_wait_loadcnt_dscnt 0x0
	v_mul_f64_e32 v[12:13], v[2:3], v[20:21]
	v_mul_f64_e32 v[20:21], v[4:5], v[20:21]
	v_add_f64_e32 v[6:7], v[6:7], v[10:11]
	v_add_f64_e32 v[8:9], v[8:9], v[32:33]
	s_delay_alu instid0(VALU_DEP_4) | instskip(NEXT) | instid1(VALU_DEP_4)
	v_fma_f64 v[4:5], v[4:5], v[18:19], v[12:13]
	v_fma_f64 v[2:3], v[2:3], v[18:19], -v[20:21]
	s_delay_alu instid0(VALU_DEP_4) | instskip(NEXT) | instid1(VALU_DEP_4)
	v_add_f64_e32 v[6:7], v[6:7], v[14:15]
	v_add_f64_e32 v[8:9], v[8:9], v[24:25]
	s_delay_alu instid0(VALU_DEP_2) | instskip(NEXT) | instid1(VALU_DEP_2)
	v_add_f64_e32 v[2:3], v[6:7], v[2:3]
	v_add_f64_e32 v[4:5], v[8:9], v[4:5]
	s_delay_alu instid0(VALU_DEP_2) | instskip(NEXT) | instid1(VALU_DEP_2)
	v_add_f64_e64 v[2:3], v[42:43], -v[2:3]
	v_add_f64_e64 v[4:5], v[44:45], -v[4:5]
	scratch_store_b128 off, v[2:5], off offset:176
	v_cmpx_lt_u32_e32 9, v0
	s_cbranch_execz .LBB55_331
; %bb.330:
	scratch_load_b128 v[5:8], off, s60
	v_dual_mov_b32 v2, v1 :: v_dual_mov_b32 v3, v1
	v_mov_b32_e32 v4, v1
	scratch_store_b128 off, v[1:4], off offset:160
	s_wait_loadcnt 0x0
	ds_store_b128 v158, v[5:8]
.LBB55_331:
	s_wait_alu 0xfffe
	s_or_b32 exec_lo, exec_lo, s0
	s_wait_storecnt_dscnt 0x0
	s_barrier_signal -1
	s_barrier_wait -1
	global_inv scope:SCOPE_SE
	s_clause 0x8
	scratch_load_b128 v[2:5], off, off offset:176
	scratch_load_b128 v[6:9], off, off offset:192
	;; [unrolled: 1-line block ×9, first 2 shown]
	ds_load_b128 v[42:45], v1 offset:1056
	ds_load_b128 v[38:41], v1 offset:1072
	s_clause 0x1
	scratch_load_b128 v[159:162], off, off offset:160
	scratch_load_b128 v[163:166], off, off offset:320
	s_mov_b32 s0, exec_lo
	s_wait_loadcnt_dscnt 0xa01
	v_mul_f64_e32 v[167:168], v[44:45], v[4:5]
	v_mul_f64_e32 v[4:5], v[42:43], v[4:5]
	s_wait_loadcnt_dscnt 0x900
	v_mul_f64_e32 v[171:172], v[38:39], v[8:9]
	v_mul_f64_e32 v[8:9], v[40:41], v[8:9]
	s_delay_alu instid0(VALU_DEP_4) | instskip(NEXT) | instid1(VALU_DEP_4)
	v_fma_f64 v[173:174], v[42:43], v[2:3], -v[167:168]
	v_fma_f64 v[175:176], v[44:45], v[2:3], v[4:5]
	ds_load_b128 v[2:5], v1 offset:1088
	ds_load_b128 v[167:170], v1 offset:1104
	scratch_load_b128 v[42:45], off, off offset:336
	v_fma_f64 v[40:41], v[40:41], v[6:7], v[171:172]
	v_fma_f64 v[38:39], v[38:39], v[6:7], -v[8:9]
	scratch_load_b128 v[6:9], off, off offset:352
	s_wait_loadcnt_dscnt 0xa01
	v_mul_f64_e32 v[177:178], v[2:3], v[12:13]
	v_mul_f64_e32 v[12:13], v[4:5], v[12:13]
	v_add_f64_e32 v[171:172], 0, v[173:174]
	v_add_f64_e32 v[173:174], 0, v[175:176]
	s_wait_loadcnt_dscnt 0x900
	v_mul_f64_e32 v[175:176], v[167:168], v[16:17]
	v_mul_f64_e32 v[16:17], v[169:170], v[16:17]
	v_fma_f64 v[177:178], v[4:5], v[10:11], v[177:178]
	v_fma_f64 v[179:180], v[2:3], v[10:11], -v[12:13]
	ds_load_b128 v[2:5], v1 offset:1120
	scratch_load_b128 v[10:13], off, off offset:368
	v_add_f64_e32 v[171:172], v[171:172], v[38:39]
	v_add_f64_e32 v[173:174], v[173:174], v[40:41]
	ds_load_b128 v[38:41], v1 offset:1136
	v_fma_f64 v[169:170], v[169:170], v[14:15], v[175:176]
	v_fma_f64 v[167:168], v[167:168], v[14:15], -v[16:17]
	scratch_load_b128 v[14:17], off, off offset:384
	s_wait_loadcnt_dscnt 0xa01
	v_mul_f64_e32 v[181:182], v[2:3], v[20:21]
	v_mul_f64_e32 v[20:21], v[4:5], v[20:21]
	s_wait_loadcnt_dscnt 0x900
	v_mul_f64_e32 v[175:176], v[38:39], v[24:25]
	v_mul_f64_e32 v[24:25], v[40:41], v[24:25]
	v_add_f64_e32 v[171:172], v[171:172], v[179:180]
	v_add_f64_e32 v[173:174], v[173:174], v[177:178]
	v_fma_f64 v[177:178], v[4:5], v[18:19], v[181:182]
	v_fma_f64 v[179:180], v[2:3], v[18:19], -v[20:21]
	ds_load_b128 v[2:5], v1 offset:1152
	scratch_load_b128 v[18:21], off, off offset:400
	v_fma_f64 v[40:41], v[40:41], v[22:23], v[175:176]
	v_fma_f64 v[38:39], v[38:39], v[22:23], -v[24:25]
	scratch_load_b128 v[22:25], off, off offset:416
	v_add_f64_e32 v[171:172], v[171:172], v[167:168]
	v_add_f64_e32 v[173:174], v[173:174], v[169:170]
	ds_load_b128 v[167:170], v1 offset:1168
	s_wait_loadcnt_dscnt 0xa01
	v_mul_f64_e32 v[181:182], v[2:3], v[28:29]
	v_mul_f64_e32 v[28:29], v[4:5], v[28:29]
	s_wait_loadcnt_dscnt 0x900
	v_mul_f64_e32 v[175:176], v[167:168], v[32:33]
	v_mul_f64_e32 v[32:33], v[169:170], v[32:33]
	v_add_f64_e32 v[171:172], v[171:172], v[179:180]
	v_add_f64_e32 v[173:174], v[173:174], v[177:178]
	v_fma_f64 v[177:178], v[4:5], v[26:27], v[181:182]
	v_fma_f64 v[179:180], v[2:3], v[26:27], -v[28:29]
	ds_load_b128 v[2:5], v1 offset:1184
	scratch_load_b128 v[26:29], off, off offset:432
	v_fma_f64 v[169:170], v[169:170], v[30:31], v[175:176]
	v_fma_f64 v[167:168], v[167:168], v[30:31], -v[32:33]
	scratch_load_b128 v[30:33], off, off offset:448
	v_add_f64_e32 v[171:172], v[171:172], v[38:39]
	v_add_f64_e32 v[173:174], v[173:174], v[40:41]
	ds_load_b128 v[38:41], v1 offset:1200
	s_wait_loadcnt_dscnt 0xa01
	v_mul_f64_e32 v[181:182], v[2:3], v[36:37]
	v_mul_f64_e32 v[36:37], v[4:5], v[36:37]
	s_wait_loadcnt_dscnt 0x800
	v_mul_f64_e32 v[175:176], v[38:39], v[165:166]
	v_add_f64_e32 v[171:172], v[171:172], v[179:180]
	v_add_f64_e32 v[173:174], v[173:174], v[177:178]
	v_mul_f64_e32 v[177:178], v[40:41], v[165:166]
	v_fma_f64 v[179:180], v[4:5], v[34:35], v[181:182]
	v_fma_f64 v[181:182], v[2:3], v[34:35], -v[36:37]
	ds_load_b128 v[2:5], v1 offset:1216
	scratch_load_b128 v[34:37], off, off offset:464
	v_fma_f64 v[175:176], v[40:41], v[163:164], v[175:176]
	v_add_f64_e32 v[171:172], v[171:172], v[167:168]
	v_add_f64_e32 v[169:170], v[173:174], v[169:170]
	ds_load_b128 v[165:168], v1 offset:1232
	v_fma_f64 v[163:164], v[38:39], v[163:164], -v[177:178]
	scratch_load_b128 v[38:41], off, off offset:480
	s_wait_loadcnt_dscnt 0x901
	v_mul_f64_e32 v[173:174], v[2:3], v[44:45]
	v_mul_f64_e32 v[44:45], v[4:5], v[44:45]
	s_wait_loadcnt_dscnt 0x800
	v_mul_f64_e32 v[177:178], v[165:166], v[8:9]
	v_mul_f64_e32 v[8:9], v[167:168], v[8:9]
	v_add_f64_e32 v[171:172], v[171:172], v[181:182]
	v_add_f64_e32 v[169:170], v[169:170], v[179:180]
	v_fma_f64 v[173:174], v[4:5], v[42:43], v[173:174]
	v_fma_f64 v[179:180], v[2:3], v[42:43], -v[44:45]
	ds_load_b128 v[2:5], v1 offset:1248
	scratch_load_b128 v[42:45], off, off offset:496
	v_fma_f64 v[167:168], v[167:168], v[6:7], v[177:178]
	v_fma_f64 v[165:166], v[165:166], v[6:7], -v[8:9]
	scratch_load_b128 v[6:9], off, off offset:512
	v_add_f64_e32 v[163:164], v[171:172], v[163:164]
	v_add_f64_e32 v[175:176], v[169:170], v[175:176]
	ds_load_b128 v[169:172], v1 offset:1264
	s_wait_loadcnt_dscnt 0x901
	v_mul_f64_e32 v[181:182], v[2:3], v[12:13]
	v_mul_f64_e32 v[12:13], v[4:5], v[12:13]
	v_add_f64_e32 v[163:164], v[163:164], v[179:180]
	v_add_f64_e32 v[173:174], v[175:176], v[173:174]
	s_wait_loadcnt_dscnt 0x800
	v_mul_f64_e32 v[175:176], v[169:170], v[16:17]
	v_mul_f64_e32 v[16:17], v[171:172], v[16:17]
	v_fma_f64 v[177:178], v[4:5], v[10:11], v[181:182]
	v_fma_f64 v[179:180], v[2:3], v[10:11], -v[12:13]
	ds_load_b128 v[2:5], v1 offset:1280
	scratch_load_b128 v[10:13], off, off offset:528
	v_add_f64_e32 v[181:182], v[163:164], v[165:166]
	v_add_f64_e32 v[167:168], v[173:174], v[167:168]
	ds_load_b128 v[163:166], v1 offset:1296
	s_wait_loadcnt_dscnt 0x801
	v_mul_f64_e32 v[173:174], v[2:3], v[20:21]
	v_mul_f64_e32 v[20:21], v[4:5], v[20:21]
	v_fma_f64 v[171:172], v[171:172], v[14:15], v[175:176]
	v_fma_f64 v[169:170], v[169:170], v[14:15], -v[16:17]
	scratch_load_b128 v[14:17], off, off offset:544
	v_add_f64_e32 v[175:176], v[181:182], v[179:180]
	v_add_f64_e32 v[167:168], v[167:168], v[177:178]
	s_wait_loadcnt_dscnt 0x800
	v_mul_f64_e32 v[177:178], v[163:164], v[24:25]
	v_mul_f64_e32 v[24:25], v[165:166], v[24:25]
	v_fma_f64 v[173:174], v[4:5], v[18:19], v[173:174]
	v_fma_f64 v[179:180], v[2:3], v[18:19], -v[20:21]
	ds_load_b128 v[2:5], v1 offset:1312
	scratch_load_b128 v[18:21], off, off offset:560
	v_add_f64_e32 v[175:176], v[175:176], v[169:170]
	v_add_f64_e32 v[171:172], v[167:168], v[171:172]
	ds_load_b128 v[167:170], v1 offset:1328
	s_wait_loadcnt_dscnt 0x801
	v_mul_f64_e32 v[181:182], v[2:3], v[28:29]
	v_mul_f64_e32 v[28:29], v[4:5], v[28:29]
	v_fma_f64 v[165:166], v[165:166], v[22:23], v[177:178]
	v_fma_f64 v[163:164], v[163:164], v[22:23], -v[24:25]
	scratch_load_b128 v[22:25], off, off offset:576
	;; [unrolled: 18-line block ×4, first 2 shown]
	s_wait_loadcnt_dscnt 0x800
	v_mul_f64_e32 v[175:176], v[167:168], v[8:9]
	v_mul_f64_e32 v[8:9], v[169:170], v[8:9]
	v_add_f64_e32 v[173:174], v[173:174], v[179:180]
	v_add_f64_e32 v[171:172], v[171:172], v[177:178]
	v_fma_f64 v[177:178], v[4:5], v[42:43], v[181:182]
	v_fma_f64 v[179:180], v[2:3], v[42:43], -v[44:45]
	ds_load_b128 v[2:5], v1 offset:1408
	scratch_load_b128 v[42:45], off, off offset:656
	v_fma_f64 v[169:170], v[169:170], v[6:7], v[175:176]
	v_fma_f64 v[167:168], v[167:168], v[6:7], -v[8:9]
	scratch_load_b128 v[6:9], off, off offset:672
	v_add_f64_e32 v[173:174], v[173:174], v[163:164]
	v_add_f64_e32 v[171:172], v[171:172], v[165:166]
	ds_load_b128 v[163:166], v1 offset:1424
	s_wait_loadcnt_dscnt 0x901
	v_mul_f64_e32 v[181:182], v[2:3], v[12:13]
	v_mul_f64_e32 v[12:13], v[4:5], v[12:13]
	s_wait_loadcnt_dscnt 0x800
	v_mul_f64_e32 v[175:176], v[163:164], v[16:17]
	v_mul_f64_e32 v[16:17], v[165:166], v[16:17]
	v_add_f64_e32 v[173:174], v[173:174], v[179:180]
	v_add_f64_e32 v[171:172], v[171:172], v[177:178]
	v_fma_f64 v[177:178], v[4:5], v[10:11], v[181:182]
	v_fma_f64 v[179:180], v[2:3], v[10:11], -v[12:13]
	ds_load_b128 v[2:5], v1 offset:1440
	scratch_load_b128 v[10:13], off, off offset:688
	v_fma_f64 v[165:166], v[165:166], v[14:15], v[175:176]
	v_fma_f64 v[163:164], v[163:164], v[14:15], -v[16:17]
	scratch_load_b128 v[14:17], off, off offset:704
	v_add_f64_e32 v[173:174], v[173:174], v[167:168]
	v_add_f64_e32 v[171:172], v[171:172], v[169:170]
	ds_load_b128 v[167:170], v1 offset:1456
	s_wait_loadcnt_dscnt 0x901
	v_mul_f64_e32 v[181:182], v[2:3], v[20:21]
	v_mul_f64_e32 v[20:21], v[4:5], v[20:21]
	;; [unrolled: 18-line block ×8, first 2 shown]
	s_wait_loadcnt_dscnt 0x800
	v_mul_f64_e32 v[175:176], v[167:168], v[32:33]
	v_mul_f64_e32 v[32:33], v[169:170], v[32:33]
	v_add_f64_e32 v[173:174], v[173:174], v[179:180]
	v_add_f64_e32 v[171:172], v[171:172], v[177:178]
	v_fma_f64 v[177:178], v[4:5], v[26:27], v[181:182]
	v_fma_f64 v[179:180], v[2:3], v[26:27], -v[28:29]
	ds_load_b128 v[2:5], v1 offset:1664
	ds_load_b128 v[26:29], v1 offset:1680
	v_fma_f64 v[169:170], v[169:170], v[30:31], v[175:176]
	v_fma_f64 v[30:31], v[167:168], v[30:31], -v[32:33]
	v_add_f64_e32 v[163:164], v[173:174], v[163:164]
	v_add_f64_e32 v[165:166], v[171:172], v[165:166]
	s_wait_loadcnt_dscnt 0x701
	v_mul_f64_e32 v[171:172], v[2:3], v[36:37]
	v_mul_f64_e32 v[36:37], v[4:5], v[36:37]
	s_delay_alu instid0(VALU_DEP_4) | instskip(NEXT) | instid1(VALU_DEP_4)
	v_add_f64_e32 v[32:33], v[163:164], v[179:180]
	v_add_f64_e32 v[163:164], v[165:166], v[177:178]
	s_wait_loadcnt_dscnt 0x600
	v_mul_f64_e32 v[165:166], v[26:27], v[40:41]
	v_mul_f64_e32 v[40:41], v[28:29], v[40:41]
	v_fma_f64 v[167:168], v[4:5], v[34:35], v[171:172]
	v_fma_f64 v[34:35], v[2:3], v[34:35], -v[36:37]
	v_add_f64_e32 v[36:37], v[32:33], v[30:31]
	v_add_f64_e32 v[163:164], v[163:164], v[169:170]
	ds_load_b128 v[2:5], v1 offset:1696
	ds_load_b128 v[30:33], v1 offset:1712
	v_fma_f64 v[28:29], v[28:29], v[38:39], v[165:166]
	v_fma_f64 v[26:27], v[26:27], v[38:39], -v[40:41]
	s_wait_loadcnt_dscnt 0x501
	v_mul_f64_e32 v[169:170], v[2:3], v[44:45]
	v_mul_f64_e32 v[44:45], v[4:5], v[44:45]
	s_wait_loadcnt_dscnt 0x400
	v_mul_f64_e32 v[38:39], v[30:31], v[8:9]
	v_mul_f64_e32 v[8:9], v[32:33], v[8:9]
	v_add_f64_e32 v[34:35], v[36:37], v[34:35]
	v_add_f64_e32 v[36:37], v[163:164], v[167:168]
	v_fma_f64 v[40:41], v[4:5], v[42:43], v[169:170]
	v_fma_f64 v[42:43], v[2:3], v[42:43], -v[44:45]
	v_fma_f64 v[32:33], v[32:33], v[6:7], v[38:39]
	v_fma_f64 v[6:7], v[30:31], v[6:7], -v[8:9]
	v_add_f64_e32 v[34:35], v[34:35], v[26:27]
	v_add_f64_e32 v[36:37], v[36:37], v[28:29]
	ds_load_b128 v[2:5], v1 offset:1728
	ds_load_b128 v[26:29], v1 offset:1744
	s_wait_loadcnt_dscnt 0x301
	v_mul_f64_e32 v[44:45], v[2:3], v[12:13]
	v_mul_f64_e32 v[12:13], v[4:5], v[12:13]
	v_add_f64_e32 v[8:9], v[34:35], v[42:43]
	v_add_f64_e32 v[30:31], v[36:37], v[40:41]
	s_wait_loadcnt_dscnt 0x200
	v_mul_f64_e32 v[34:35], v[26:27], v[16:17]
	v_mul_f64_e32 v[16:17], v[28:29], v[16:17]
	v_fma_f64 v[36:37], v[4:5], v[10:11], v[44:45]
	v_fma_f64 v[10:11], v[2:3], v[10:11], -v[12:13]
	v_add_f64_e32 v[12:13], v[8:9], v[6:7]
	v_add_f64_e32 v[30:31], v[30:31], v[32:33]
	ds_load_b128 v[2:5], v1 offset:1760
	ds_load_b128 v[6:9], v1 offset:1776
	v_fma_f64 v[28:29], v[28:29], v[14:15], v[34:35]
	v_fma_f64 v[14:15], v[26:27], v[14:15], -v[16:17]
	s_wait_loadcnt_dscnt 0x101
	v_mul_f64_e32 v[32:33], v[2:3], v[20:21]
	v_mul_f64_e32 v[20:21], v[4:5], v[20:21]
	s_wait_loadcnt_dscnt 0x0
	v_mul_f64_e32 v[16:17], v[6:7], v[24:25]
	v_mul_f64_e32 v[24:25], v[8:9], v[24:25]
	v_add_f64_e32 v[10:11], v[12:13], v[10:11]
	v_add_f64_e32 v[12:13], v[30:31], v[36:37]
	v_fma_f64 v[4:5], v[4:5], v[18:19], v[32:33]
	v_fma_f64 v[1:2], v[2:3], v[18:19], -v[20:21]
	v_fma_f64 v[8:9], v[8:9], v[22:23], v[16:17]
	v_fma_f64 v[6:7], v[6:7], v[22:23], -v[24:25]
	v_add_f64_e32 v[10:11], v[10:11], v[14:15]
	v_add_f64_e32 v[12:13], v[12:13], v[28:29]
	s_delay_alu instid0(VALU_DEP_2) | instskip(NEXT) | instid1(VALU_DEP_2)
	v_add_f64_e32 v[1:2], v[10:11], v[1:2]
	v_add_f64_e32 v[3:4], v[12:13], v[4:5]
	s_delay_alu instid0(VALU_DEP_2) | instskip(NEXT) | instid1(VALU_DEP_2)
	;; [unrolled: 3-line block ×3, first 2 shown]
	v_add_f64_e64 v[1:2], v[159:160], -v[1:2]
	v_add_f64_e64 v[3:4], v[161:162], -v[3:4]
	scratch_store_b128 off, v[1:4], off offset:160
	v_cmpx_lt_u32_e32 8, v0
	s_cbranch_execz .LBB55_333
; %bb.332:
	scratch_load_b128 v[1:4], off, s61
	v_mov_b32_e32 v5, 0
	s_delay_alu instid0(VALU_DEP_1)
	v_dual_mov_b32 v6, v5 :: v_dual_mov_b32 v7, v5
	v_mov_b32_e32 v8, v5
	scratch_store_b128 off, v[5:8], off offset:144
	s_wait_loadcnt 0x0
	ds_store_b128 v158, v[1:4]
.LBB55_333:
	s_wait_alu 0xfffe
	s_or_b32 exec_lo, exec_lo, s0
	s_wait_storecnt_dscnt 0x0
	s_barrier_signal -1
	s_barrier_wait -1
	global_inv scope:SCOPE_SE
	s_clause 0x7
	scratch_load_b128 v[2:5], off, off offset:160
	scratch_load_b128 v[6:9], off, off offset:176
	;; [unrolled: 1-line block ×8, first 2 shown]
	v_mov_b32_e32 v1, 0
	s_mov_b32 s0, exec_lo
	ds_load_b128 v[38:41], v1 offset:1040
	s_clause 0x1
	scratch_load_b128 v[34:37], off, off offset:288
	scratch_load_b128 v[42:45], off, off offset:144
	ds_load_b128 v[159:162], v1 offset:1056
	scratch_load_b128 v[163:166], off, off offset:304
	s_wait_loadcnt_dscnt 0xa01
	v_mul_f64_e32 v[167:168], v[40:41], v[4:5]
	v_mul_f64_e32 v[4:5], v[38:39], v[4:5]
	s_delay_alu instid0(VALU_DEP_2) | instskip(NEXT) | instid1(VALU_DEP_2)
	v_fma_f64 v[173:174], v[38:39], v[2:3], -v[167:168]
	v_fma_f64 v[175:176], v[40:41], v[2:3], v[4:5]
	ds_load_b128 v[2:5], v1 offset:1072
	s_wait_loadcnt_dscnt 0x901
	v_mul_f64_e32 v[171:172], v[159:160], v[8:9]
	v_mul_f64_e32 v[8:9], v[161:162], v[8:9]
	scratch_load_b128 v[38:41], off, off offset:320
	ds_load_b128 v[167:170], v1 offset:1088
	s_wait_loadcnt_dscnt 0x901
	v_mul_f64_e32 v[177:178], v[2:3], v[12:13]
	v_mul_f64_e32 v[12:13], v[4:5], v[12:13]
	v_fma_f64 v[161:162], v[161:162], v[6:7], v[171:172]
	v_fma_f64 v[159:160], v[159:160], v[6:7], -v[8:9]
	v_add_f64_e32 v[171:172], 0, v[173:174]
	v_add_f64_e32 v[173:174], 0, v[175:176]
	scratch_load_b128 v[6:9], off, off offset:336
	v_fma_f64 v[177:178], v[4:5], v[10:11], v[177:178]
	v_fma_f64 v[179:180], v[2:3], v[10:11], -v[12:13]
	ds_load_b128 v[2:5], v1 offset:1104
	s_wait_loadcnt_dscnt 0x901
	v_mul_f64_e32 v[175:176], v[167:168], v[16:17]
	v_mul_f64_e32 v[16:17], v[169:170], v[16:17]
	scratch_load_b128 v[10:13], off, off offset:352
	v_add_f64_e32 v[171:172], v[171:172], v[159:160]
	v_add_f64_e32 v[173:174], v[173:174], v[161:162]
	s_wait_loadcnt_dscnt 0x900
	v_mul_f64_e32 v[181:182], v[2:3], v[20:21]
	v_mul_f64_e32 v[20:21], v[4:5], v[20:21]
	ds_load_b128 v[159:162], v1 offset:1120
	v_fma_f64 v[169:170], v[169:170], v[14:15], v[175:176]
	v_fma_f64 v[167:168], v[167:168], v[14:15], -v[16:17]
	scratch_load_b128 v[14:17], off, off offset:368
	v_add_f64_e32 v[171:172], v[171:172], v[179:180]
	v_add_f64_e32 v[173:174], v[173:174], v[177:178]
	v_fma_f64 v[177:178], v[4:5], v[18:19], v[181:182]
	v_fma_f64 v[179:180], v[2:3], v[18:19], -v[20:21]
	ds_load_b128 v[2:5], v1 offset:1136
	s_wait_loadcnt_dscnt 0x901
	v_mul_f64_e32 v[175:176], v[159:160], v[24:25]
	v_mul_f64_e32 v[24:25], v[161:162], v[24:25]
	scratch_load_b128 v[18:21], off, off offset:384
	s_wait_loadcnt_dscnt 0x900
	v_mul_f64_e32 v[181:182], v[2:3], v[28:29]
	v_mul_f64_e32 v[28:29], v[4:5], v[28:29]
	v_add_f64_e32 v[171:172], v[171:172], v[167:168]
	v_add_f64_e32 v[173:174], v[173:174], v[169:170]
	ds_load_b128 v[167:170], v1 offset:1152
	v_fma_f64 v[161:162], v[161:162], v[22:23], v[175:176]
	v_fma_f64 v[159:160], v[159:160], v[22:23], -v[24:25]
	scratch_load_b128 v[22:25], off, off offset:400
	v_add_f64_e32 v[171:172], v[171:172], v[179:180]
	v_add_f64_e32 v[173:174], v[173:174], v[177:178]
	v_fma_f64 v[177:178], v[4:5], v[26:27], v[181:182]
	v_fma_f64 v[179:180], v[2:3], v[26:27], -v[28:29]
	ds_load_b128 v[2:5], v1 offset:1168
	s_wait_loadcnt_dscnt 0x901
	v_mul_f64_e32 v[175:176], v[167:168], v[32:33]
	v_mul_f64_e32 v[32:33], v[169:170], v[32:33]
	scratch_load_b128 v[26:29], off, off offset:416
	s_wait_loadcnt_dscnt 0x900
	v_mul_f64_e32 v[181:182], v[2:3], v[36:37]
	v_mul_f64_e32 v[36:37], v[4:5], v[36:37]
	v_add_f64_e32 v[171:172], v[171:172], v[159:160]
	v_add_f64_e32 v[173:174], v[173:174], v[161:162]
	ds_load_b128 v[159:162], v1 offset:1184
	v_fma_f64 v[169:170], v[169:170], v[30:31], v[175:176]
	v_fma_f64 v[167:168], v[167:168], v[30:31], -v[32:33]
	scratch_load_b128 v[30:33], off, off offset:432
	v_add_f64_e32 v[171:172], v[171:172], v[179:180]
	v_add_f64_e32 v[173:174], v[173:174], v[177:178]
	v_fma_f64 v[179:180], v[4:5], v[34:35], v[181:182]
	v_fma_f64 v[181:182], v[2:3], v[34:35], -v[36:37]
	ds_load_b128 v[2:5], v1 offset:1200
	s_wait_loadcnt_dscnt 0x801
	v_mul_f64_e32 v[175:176], v[159:160], v[165:166]
	v_mul_f64_e32 v[177:178], v[161:162], v[165:166]
	scratch_load_b128 v[34:37], off, off offset:448
	v_add_f64_e32 v[171:172], v[171:172], v[167:168]
	v_add_f64_e32 v[169:170], v[173:174], v[169:170]
	ds_load_b128 v[165:168], v1 offset:1216
	v_fma_f64 v[175:176], v[161:162], v[163:164], v[175:176]
	v_fma_f64 v[163:164], v[159:160], v[163:164], -v[177:178]
	scratch_load_b128 v[159:162], off, off offset:464
	s_wait_loadcnt_dscnt 0x901
	v_mul_f64_e32 v[173:174], v[2:3], v[40:41]
	v_mul_f64_e32 v[40:41], v[4:5], v[40:41]
	v_add_f64_e32 v[171:172], v[171:172], v[181:182]
	v_add_f64_e32 v[169:170], v[169:170], v[179:180]
	s_delay_alu instid0(VALU_DEP_4) | instskip(NEXT) | instid1(VALU_DEP_4)
	v_fma_f64 v[173:174], v[4:5], v[38:39], v[173:174]
	v_fma_f64 v[179:180], v[2:3], v[38:39], -v[40:41]
	ds_load_b128 v[2:5], v1 offset:1232
	s_wait_loadcnt_dscnt 0x801
	v_mul_f64_e32 v[177:178], v[165:166], v[8:9]
	v_mul_f64_e32 v[8:9], v[167:168], v[8:9]
	scratch_load_b128 v[38:41], off, off offset:480
	s_wait_loadcnt_dscnt 0x800
	v_mul_f64_e32 v[181:182], v[2:3], v[12:13]
	v_add_f64_e32 v[163:164], v[171:172], v[163:164]
	v_add_f64_e32 v[175:176], v[169:170], v[175:176]
	v_mul_f64_e32 v[12:13], v[4:5], v[12:13]
	ds_load_b128 v[169:172], v1 offset:1248
	v_fma_f64 v[167:168], v[167:168], v[6:7], v[177:178]
	v_fma_f64 v[165:166], v[165:166], v[6:7], -v[8:9]
	scratch_load_b128 v[6:9], off, off offset:496
	v_fma_f64 v[177:178], v[4:5], v[10:11], v[181:182]
	v_add_f64_e32 v[163:164], v[163:164], v[179:180]
	v_add_f64_e32 v[173:174], v[175:176], v[173:174]
	v_fma_f64 v[179:180], v[2:3], v[10:11], -v[12:13]
	ds_load_b128 v[2:5], v1 offset:1264
	s_wait_loadcnt_dscnt 0x801
	v_mul_f64_e32 v[175:176], v[169:170], v[16:17]
	v_mul_f64_e32 v[16:17], v[171:172], v[16:17]
	scratch_load_b128 v[10:13], off, off offset:512
	v_add_f64_e32 v[181:182], v[163:164], v[165:166]
	v_add_f64_e32 v[167:168], v[173:174], v[167:168]
	s_wait_loadcnt_dscnt 0x800
	v_mul_f64_e32 v[173:174], v[2:3], v[20:21]
	v_mul_f64_e32 v[20:21], v[4:5], v[20:21]
	v_fma_f64 v[171:172], v[171:172], v[14:15], v[175:176]
	v_fma_f64 v[169:170], v[169:170], v[14:15], -v[16:17]
	ds_load_b128 v[163:166], v1 offset:1280
	scratch_load_b128 v[14:17], off, off offset:528
	v_add_f64_e32 v[175:176], v[181:182], v[179:180]
	v_add_f64_e32 v[167:168], v[167:168], v[177:178]
	v_fma_f64 v[173:174], v[4:5], v[18:19], v[173:174]
	v_fma_f64 v[179:180], v[2:3], v[18:19], -v[20:21]
	ds_load_b128 v[2:5], v1 offset:1296
	s_wait_loadcnt_dscnt 0x801
	v_mul_f64_e32 v[177:178], v[163:164], v[24:25]
	v_mul_f64_e32 v[24:25], v[165:166], v[24:25]
	scratch_load_b128 v[18:21], off, off offset:544
	s_wait_loadcnt_dscnt 0x800
	v_mul_f64_e32 v[181:182], v[2:3], v[28:29]
	v_mul_f64_e32 v[28:29], v[4:5], v[28:29]
	v_add_f64_e32 v[175:176], v[175:176], v[169:170]
	v_add_f64_e32 v[171:172], v[167:168], v[171:172]
	ds_load_b128 v[167:170], v1 offset:1312
	v_fma_f64 v[165:166], v[165:166], v[22:23], v[177:178]
	v_fma_f64 v[163:164], v[163:164], v[22:23], -v[24:25]
	scratch_load_b128 v[22:25], off, off offset:560
	v_fma_f64 v[177:178], v[4:5], v[26:27], v[181:182]
	v_add_f64_e32 v[175:176], v[175:176], v[179:180]
	v_add_f64_e32 v[171:172], v[171:172], v[173:174]
	v_fma_f64 v[179:180], v[2:3], v[26:27], -v[28:29]
	ds_load_b128 v[2:5], v1 offset:1328
	s_wait_loadcnt_dscnt 0x801
	v_mul_f64_e32 v[173:174], v[167:168], v[32:33]
	v_mul_f64_e32 v[32:33], v[169:170], v[32:33]
	scratch_load_b128 v[26:29], off, off offset:576
	s_wait_loadcnt_dscnt 0x800
	v_mul_f64_e32 v[181:182], v[2:3], v[36:37]
	v_mul_f64_e32 v[36:37], v[4:5], v[36:37]
	v_add_f64_e32 v[175:176], v[175:176], v[163:164]
	v_add_f64_e32 v[171:172], v[171:172], v[165:166]
	ds_load_b128 v[163:166], v1 offset:1344
	v_fma_f64 v[169:170], v[169:170], v[30:31], v[173:174]
	v_fma_f64 v[167:168], v[167:168], v[30:31], -v[32:33]
	scratch_load_b128 v[30:33], off, off offset:592
	v_add_f64_e32 v[173:174], v[175:176], v[179:180]
	v_add_f64_e32 v[171:172], v[171:172], v[177:178]
	v_fma_f64 v[177:178], v[4:5], v[34:35], v[181:182]
	v_fma_f64 v[179:180], v[2:3], v[34:35], -v[36:37]
	ds_load_b128 v[2:5], v1 offset:1360
	s_wait_loadcnt_dscnt 0x801
	v_mul_f64_e32 v[175:176], v[163:164], v[161:162]
	v_mul_f64_e32 v[161:162], v[165:166], v[161:162]
	scratch_load_b128 v[34:37], off, off offset:608
	s_wait_loadcnt_dscnt 0x800
	v_mul_f64_e32 v[181:182], v[2:3], v[40:41]
	v_mul_f64_e32 v[40:41], v[4:5], v[40:41]
	v_add_f64_e32 v[173:174], v[173:174], v[167:168]
	v_add_f64_e32 v[171:172], v[171:172], v[169:170]
	ds_load_b128 v[167:170], v1 offset:1376
	v_fma_f64 v[165:166], v[165:166], v[159:160], v[175:176]
	v_fma_f64 v[163:164], v[163:164], v[159:160], -v[161:162]
	scratch_load_b128 v[159:162], off, off offset:624
	v_add_f64_e32 v[173:174], v[173:174], v[179:180]
	v_add_f64_e32 v[171:172], v[171:172], v[177:178]
	v_fma_f64 v[177:178], v[4:5], v[38:39], v[181:182]
	;; [unrolled: 18-line block ×6, first 2 shown]
	v_fma_f64 v[181:182], v[2:3], v[34:35], -v[36:37]
	ds_load_b128 v[2:5], v1 offset:1520
	s_wait_loadcnt_dscnt 0x801
	v_mul_f64_e32 v[175:176], v[167:168], v[161:162]
	v_mul_f64_e32 v[177:178], v[169:170], v[161:162]
	scratch_load_b128 v[34:37], off, off offset:768
	v_add_f64_e32 v[173:174], v[173:174], v[163:164]
	v_add_f64_e32 v[165:166], v[171:172], v[165:166]
	s_wait_loadcnt_dscnt 0x800
	v_mul_f64_e32 v[171:172], v[2:3], v[40:41]
	v_mul_f64_e32 v[40:41], v[4:5], v[40:41]
	ds_load_b128 v[161:164], v1 offset:1536
	v_fma_f64 v[169:170], v[169:170], v[159:160], v[175:176]
	v_fma_f64 v[159:160], v[167:168], v[159:160], -v[177:178]
	v_add_f64_e32 v[173:174], v[173:174], v[181:182]
	v_add_f64_e32 v[175:176], v[165:166], v[179:180]
	scratch_load_b128 v[165:168], off, off offset:784
	v_fma_f64 v[179:180], v[4:5], v[38:39], v[171:172]
	v_fma_f64 v[181:182], v[2:3], v[38:39], -v[40:41]
	ds_load_b128 v[2:5], v1 offset:1552
	s_wait_loadcnt_dscnt 0x801
	v_mul_f64_e32 v[177:178], v[161:162], v[8:9]
	v_mul_f64_e32 v[8:9], v[163:164], v[8:9]
	scratch_load_b128 v[38:41], off, off offset:800
	v_add_f64_e32 v[159:160], v[173:174], v[159:160]
	v_add_f64_e32 v[173:174], v[175:176], v[169:170]
	s_wait_loadcnt_dscnt 0x800
	v_mul_f64_e32 v[175:176], v[2:3], v[12:13]
	v_mul_f64_e32 v[12:13], v[4:5], v[12:13]
	ds_load_b128 v[169:172], v1 offset:1568
	v_fma_f64 v[163:164], v[163:164], v[6:7], v[177:178]
	v_fma_f64 v[161:162], v[161:162], v[6:7], -v[8:9]
	scratch_load_b128 v[6:9], off, off offset:816
	v_add_f64_e32 v[159:160], v[159:160], v[181:182]
	v_add_f64_e32 v[173:174], v[173:174], v[179:180]
	v_fma_f64 v[175:176], v[4:5], v[10:11], v[175:176]
	v_fma_f64 v[179:180], v[2:3], v[10:11], -v[12:13]
	ds_load_b128 v[2:5], v1 offset:1584
	s_wait_loadcnt_dscnt 0x801
	v_mul_f64_e32 v[177:178], v[169:170], v[16:17]
	v_mul_f64_e32 v[16:17], v[171:172], v[16:17]
	scratch_load_b128 v[10:13], off, off offset:832
	v_add_f64_e32 v[181:182], v[159:160], v[161:162]
	v_add_f64_e32 v[163:164], v[173:174], v[163:164]
	s_wait_loadcnt_dscnt 0x800
	v_mul_f64_e32 v[173:174], v[2:3], v[20:21]
	v_mul_f64_e32 v[20:21], v[4:5], v[20:21]
	ds_load_b128 v[159:162], v1 offset:1600
	v_fma_f64 v[171:172], v[171:172], v[14:15], v[177:178]
	v_fma_f64 v[169:170], v[169:170], v[14:15], -v[16:17]
	scratch_load_b128 v[14:17], off, off offset:848
	v_add_f64_e32 v[177:178], v[181:182], v[179:180]
	v_add_f64_e32 v[163:164], v[163:164], v[175:176]
	v_fma_f64 v[173:174], v[4:5], v[18:19], v[173:174]
	v_fma_f64 v[179:180], v[2:3], v[18:19], -v[20:21]
	ds_load_b128 v[2:5], v1 offset:1616
	s_wait_loadcnt_dscnt 0x801
	v_mul_f64_e32 v[175:176], v[159:160], v[24:25]
	v_mul_f64_e32 v[24:25], v[161:162], v[24:25]
	scratch_load_b128 v[18:21], off, off offset:864
	s_wait_loadcnt_dscnt 0x800
	v_mul_f64_e32 v[181:182], v[2:3], v[28:29]
	v_mul_f64_e32 v[28:29], v[4:5], v[28:29]
	v_add_f64_e32 v[177:178], v[177:178], v[169:170]
	v_add_f64_e32 v[163:164], v[163:164], v[171:172]
	ds_load_b128 v[169:172], v1 offset:1632
	v_fma_f64 v[161:162], v[161:162], v[22:23], v[175:176]
	v_fma_f64 v[159:160], v[159:160], v[22:23], -v[24:25]
	scratch_load_b128 v[22:25], off, off offset:880
	v_add_f64_e32 v[175:176], v[177:178], v[179:180]
	v_add_f64_e32 v[163:164], v[163:164], v[173:174]
	v_fma_f64 v[177:178], v[4:5], v[26:27], v[181:182]
	v_fma_f64 v[179:180], v[2:3], v[26:27], -v[28:29]
	ds_load_b128 v[2:5], v1 offset:1648
	s_wait_loadcnt_dscnt 0x801
	v_mul_f64_e32 v[173:174], v[169:170], v[32:33]
	v_mul_f64_e32 v[32:33], v[171:172], v[32:33]
	scratch_load_b128 v[26:29], off, off offset:896
	s_wait_loadcnt_dscnt 0x800
	v_mul_f64_e32 v[181:182], v[2:3], v[36:37]
	v_mul_f64_e32 v[36:37], v[4:5], v[36:37]
	v_add_f64_e32 v[175:176], v[175:176], v[159:160]
	v_add_f64_e32 v[163:164], v[163:164], v[161:162]
	ds_load_b128 v[159:162], v1 offset:1664
	v_fma_f64 v[171:172], v[171:172], v[30:31], v[173:174]
	v_fma_f64 v[30:31], v[169:170], v[30:31], -v[32:33]
	v_fma_f64 v[173:174], v[4:5], v[34:35], v[181:182]
	v_fma_f64 v[34:35], v[2:3], v[34:35], -v[36:37]
	v_add_f64_e32 v[32:33], v[175:176], v[179:180]
	v_add_f64_e32 v[163:164], v[163:164], v[177:178]
	s_wait_loadcnt_dscnt 0x700
	v_mul_f64_e32 v[169:170], v[159:160], v[167:168]
	v_mul_f64_e32 v[167:168], v[161:162], v[167:168]
	s_delay_alu instid0(VALU_DEP_4) | instskip(NEXT) | instid1(VALU_DEP_4)
	v_add_f64_e32 v[36:37], v[32:33], v[30:31]
	v_add_f64_e32 v[163:164], v[163:164], v[171:172]
	ds_load_b128 v[2:5], v1 offset:1680
	ds_load_b128 v[30:33], v1 offset:1696
	v_fma_f64 v[161:162], v[161:162], v[165:166], v[169:170]
	v_fma_f64 v[159:160], v[159:160], v[165:166], -v[167:168]
	s_wait_loadcnt_dscnt 0x601
	v_mul_f64_e32 v[171:172], v[2:3], v[40:41]
	v_mul_f64_e32 v[40:41], v[4:5], v[40:41]
	v_add_f64_e32 v[34:35], v[36:37], v[34:35]
	v_add_f64_e32 v[36:37], v[163:164], v[173:174]
	s_wait_loadcnt_dscnt 0x500
	v_mul_f64_e32 v[163:164], v[30:31], v[8:9]
	v_mul_f64_e32 v[8:9], v[32:33], v[8:9]
	v_fma_f64 v[165:166], v[4:5], v[38:39], v[171:172]
	v_fma_f64 v[38:39], v[2:3], v[38:39], -v[40:41]
	v_add_f64_e32 v[40:41], v[34:35], v[159:160]
	v_add_f64_e32 v[159:160], v[36:37], v[161:162]
	ds_load_b128 v[2:5], v1 offset:1712
	ds_load_b128 v[34:37], v1 offset:1728
	v_fma_f64 v[32:33], v[32:33], v[6:7], v[163:164]
	v_fma_f64 v[6:7], v[30:31], v[6:7], -v[8:9]
	s_wait_loadcnt_dscnt 0x401
	v_mul_f64_e32 v[161:162], v[2:3], v[12:13]
	v_mul_f64_e32 v[12:13], v[4:5], v[12:13]
	v_add_f64_e32 v[8:9], v[40:41], v[38:39]
	v_add_f64_e32 v[30:31], v[159:160], v[165:166]
	s_wait_loadcnt_dscnt 0x300
	v_mul_f64_e32 v[38:39], v[34:35], v[16:17]
	v_mul_f64_e32 v[16:17], v[36:37], v[16:17]
	v_fma_f64 v[40:41], v[4:5], v[10:11], v[161:162]
	v_fma_f64 v[10:11], v[2:3], v[10:11], -v[12:13]
	v_add_f64_e32 v[12:13], v[8:9], v[6:7]
	v_add_f64_e32 v[30:31], v[30:31], v[32:33]
	ds_load_b128 v[2:5], v1 offset:1744
	ds_load_b128 v[6:9], v1 offset:1760
	v_fma_f64 v[36:37], v[36:37], v[14:15], v[38:39]
	v_fma_f64 v[14:15], v[34:35], v[14:15], -v[16:17]
	s_wait_loadcnt_dscnt 0x201
	v_mul_f64_e32 v[32:33], v[2:3], v[20:21]
	v_mul_f64_e32 v[20:21], v[4:5], v[20:21]
	s_wait_loadcnt_dscnt 0x100
	v_mul_f64_e32 v[16:17], v[6:7], v[24:25]
	v_mul_f64_e32 v[24:25], v[8:9], v[24:25]
	v_add_f64_e32 v[10:11], v[12:13], v[10:11]
	v_add_f64_e32 v[12:13], v[30:31], v[40:41]
	v_fma_f64 v[30:31], v[4:5], v[18:19], v[32:33]
	v_fma_f64 v[18:19], v[2:3], v[18:19], -v[20:21]
	ds_load_b128 v[2:5], v1 offset:1776
	v_fma_f64 v[8:9], v[8:9], v[22:23], v[16:17]
	v_fma_f64 v[6:7], v[6:7], v[22:23], -v[24:25]
	v_add_f64_e32 v[10:11], v[10:11], v[14:15]
	v_add_f64_e32 v[12:13], v[12:13], v[36:37]
	s_wait_loadcnt_dscnt 0x0
	v_mul_f64_e32 v[14:15], v[2:3], v[28:29]
	v_mul_f64_e32 v[20:21], v[4:5], v[28:29]
	s_delay_alu instid0(VALU_DEP_4) | instskip(NEXT) | instid1(VALU_DEP_4)
	v_add_f64_e32 v[10:11], v[10:11], v[18:19]
	v_add_f64_e32 v[12:13], v[12:13], v[30:31]
	s_delay_alu instid0(VALU_DEP_4) | instskip(NEXT) | instid1(VALU_DEP_4)
	v_fma_f64 v[4:5], v[4:5], v[26:27], v[14:15]
	v_fma_f64 v[2:3], v[2:3], v[26:27], -v[20:21]
	s_delay_alu instid0(VALU_DEP_4) | instskip(NEXT) | instid1(VALU_DEP_4)
	v_add_f64_e32 v[6:7], v[10:11], v[6:7]
	v_add_f64_e32 v[8:9], v[12:13], v[8:9]
	s_delay_alu instid0(VALU_DEP_2) | instskip(NEXT) | instid1(VALU_DEP_2)
	v_add_f64_e32 v[2:3], v[6:7], v[2:3]
	v_add_f64_e32 v[4:5], v[8:9], v[4:5]
	s_delay_alu instid0(VALU_DEP_2) | instskip(NEXT) | instid1(VALU_DEP_2)
	v_add_f64_e64 v[2:3], v[42:43], -v[2:3]
	v_add_f64_e64 v[4:5], v[44:45], -v[4:5]
	scratch_store_b128 off, v[2:5], off offset:144
	v_cmpx_lt_u32_e32 7, v0
	s_cbranch_execz .LBB55_335
; %bb.334:
	scratch_load_b128 v[5:8], off, s62
	v_dual_mov_b32 v2, v1 :: v_dual_mov_b32 v3, v1
	v_mov_b32_e32 v4, v1
	scratch_store_b128 off, v[1:4], off offset:128
	s_wait_loadcnt 0x0
	ds_store_b128 v158, v[5:8]
.LBB55_335:
	s_wait_alu 0xfffe
	s_or_b32 exec_lo, exec_lo, s0
	s_wait_storecnt_dscnt 0x0
	s_barrier_signal -1
	s_barrier_wait -1
	global_inv scope:SCOPE_SE
	s_clause 0x8
	scratch_load_b128 v[2:5], off, off offset:144
	scratch_load_b128 v[6:9], off, off offset:160
	;; [unrolled: 1-line block ×9, first 2 shown]
	ds_load_b128 v[42:45], v1 offset:1024
	ds_load_b128 v[38:41], v1 offset:1040
	s_clause 0x1
	scratch_load_b128 v[159:162], off, off offset:128
	scratch_load_b128 v[163:166], off, off offset:288
	s_mov_b32 s0, exec_lo
	s_wait_loadcnt_dscnt 0xa01
	v_mul_f64_e32 v[167:168], v[44:45], v[4:5]
	v_mul_f64_e32 v[4:5], v[42:43], v[4:5]
	s_wait_loadcnt_dscnt 0x900
	v_mul_f64_e32 v[171:172], v[38:39], v[8:9]
	v_mul_f64_e32 v[8:9], v[40:41], v[8:9]
	s_delay_alu instid0(VALU_DEP_4) | instskip(NEXT) | instid1(VALU_DEP_4)
	v_fma_f64 v[173:174], v[42:43], v[2:3], -v[167:168]
	v_fma_f64 v[175:176], v[44:45], v[2:3], v[4:5]
	ds_load_b128 v[2:5], v1 offset:1056
	ds_load_b128 v[167:170], v1 offset:1072
	scratch_load_b128 v[42:45], off, off offset:304
	v_fma_f64 v[40:41], v[40:41], v[6:7], v[171:172]
	v_fma_f64 v[38:39], v[38:39], v[6:7], -v[8:9]
	scratch_load_b128 v[6:9], off, off offset:320
	s_wait_loadcnt_dscnt 0xa01
	v_mul_f64_e32 v[177:178], v[2:3], v[12:13]
	v_mul_f64_e32 v[12:13], v[4:5], v[12:13]
	v_add_f64_e32 v[171:172], 0, v[173:174]
	v_add_f64_e32 v[173:174], 0, v[175:176]
	s_wait_loadcnt_dscnt 0x900
	v_mul_f64_e32 v[175:176], v[167:168], v[16:17]
	v_mul_f64_e32 v[16:17], v[169:170], v[16:17]
	v_fma_f64 v[177:178], v[4:5], v[10:11], v[177:178]
	v_fma_f64 v[179:180], v[2:3], v[10:11], -v[12:13]
	ds_load_b128 v[2:5], v1 offset:1088
	scratch_load_b128 v[10:13], off, off offset:336
	v_add_f64_e32 v[171:172], v[171:172], v[38:39]
	v_add_f64_e32 v[173:174], v[173:174], v[40:41]
	ds_load_b128 v[38:41], v1 offset:1104
	v_fma_f64 v[169:170], v[169:170], v[14:15], v[175:176]
	v_fma_f64 v[167:168], v[167:168], v[14:15], -v[16:17]
	scratch_load_b128 v[14:17], off, off offset:352
	s_wait_loadcnt_dscnt 0xa01
	v_mul_f64_e32 v[181:182], v[2:3], v[20:21]
	v_mul_f64_e32 v[20:21], v[4:5], v[20:21]
	s_wait_loadcnt_dscnt 0x900
	v_mul_f64_e32 v[175:176], v[38:39], v[24:25]
	v_mul_f64_e32 v[24:25], v[40:41], v[24:25]
	v_add_f64_e32 v[171:172], v[171:172], v[179:180]
	v_add_f64_e32 v[173:174], v[173:174], v[177:178]
	v_fma_f64 v[177:178], v[4:5], v[18:19], v[181:182]
	v_fma_f64 v[179:180], v[2:3], v[18:19], -v[20:21]
	ds_load_b128 v[2:5], v1 offset:1120
	scratch_load_b128 v[18:21], off, off offset:368
	v_fma_f64 v[40:41], v[40:41], v[22:23], v[175:176]
	v_fma_f64 v[38:39], v[38:39], v[22:23], -v[24:25]
	scratch_load_b128 v[22:25], off, off offset:384
	v_add_f64_e32 v[171:172], v[171:172], v[167:168]
	v_add_f64_e32 v[173:174], v[173:174], v[169:170]
	ds_load_b128 v[167:170], v1 offset:1136
	s_wait_loadcnt_dscnt 0xa01
	v_mul_f64_e32 v[181:182], v[2:3], v[28:29]
	v_mul_f64_e32 v[28:29], v[4:5], v[28:29]
	s_wait_loadcnt_dscnt 0x900
	v_mul_f64_e32 v[175:176], v[167:168], v[32:33]
	v_mul_f64_e32 v[32:33], v[169:170], v[32:33]
	v_add_f64_e32 v[171:172], v[171:172], v[179:180]
	v_add_f64_e32 v[173:174], v[173:174], v[177:178]
	v_fma_f64 v[177:178], v[4:5], v[26:27], v[181:182]
	v_fma_f64 v[179:180], v[2:3], v[26:27], -v[28:29]
	ds_load_b128 v[2:5], v1 offset:1152
	scratch_load_b128 v[26:29], off, off offset:400
	v_fma_f64 v[169:170], v[169:170], v[30:31], v[175:176]
	v_fma_f64 v[167:168], v[167:168], v[30:31], -v[32:33]
	scratch_load_b128 v[30:33], off, off offset:416
	v_add_f64_e32 v[171:172], v[171:172], v[38:39]
	v_add_f64_e32 v[173:174], v[173:174], v[40:41]
	ds_load_b128 v[38:41], v1 offset:1168
	s_wait_loadcnt_dscnt 0xa01
	v_mul_f64_e32 v[181:182], v[2:3], v[36:37]
	v_mul_f64_e32 v[36:37], v[4:5], v[36:37]
	s_wait_loadcnt_dscnt 0x800
	v_mul_f64_e32 v[175:176], v[38:39], v[165:166]
	v_add_f64_e32 v[171:172], v[171:172], v[179:180]
	v_add_f64_e32 v[173:174], v[173:174], v[177:178]
	v_mul_f64_e32 v[177:178], v[40:41], v[165:166]
	v_fma_f64 v[179:180], v[4:5], v[34:35], v[181:182]
	v_fma_f64 v[181:182], v[2:3], v[34:35], -v[36:37]
	ds_load_b128 v[2:5], v1 offset:1184
	scratch_load_b128 v[34:37], off, off offset:432
	v_fma_f64 v[175:176], v[40:41], v[163:164], v[175:176]
	v_add_f64_e32 v[171:172], v[171:172], v[167:168]
	v_add_f64_e32 v[169:170], v[173:174], v[169:170]
	ds_load_b128 v[165:168], v1 offset:1200
	v_fma_f64 v[163:164], v[38:39], v[163:164], -v[177:178]
	scratch_load_b128 v[38:41], off, off offset:448
	s_wait_loadcnt_dscnt 0x901
	v_mul_f64_e32 v[173:174], v[2:3], v[44:45]
	v_mul_f64_e32 v[44:45], v[4:5], v[44:45]
	s_wait_loadcnt_dscnt 0x800
	v_mul_f64_e32 v[177:178], v[165:166], v[8:9]
	v_mul_f64_e32 v[8:9], v[167:168], v[8:9]
	v_add_f64_e32 v[171:172], v[171:172], v[181:182]
	v_add_f64_e32 v[169:170], v[169:170], v[179:180]
	v_fma_f64 v[173:174], v[4:5], v[42:43], v[173:174]
	v_fma_f64 v[179:180], v[2:3], v[42:43], -v[44:45]
	ds_load_b128 v[2:5], v1 offset:1216
	scratch_load_b128 v[42:45], off, off offset:464
	v_fma_f64 v[167:168], v[167:168], v[6:7], v[177:178]
	v_fma_f64 v[165:166], v[165:166], v[6:7], -v[8:9]
	scratch_load_b128 v[6:9], off, off offset:480
	v_add_f64_e32 v[163:164], v[171:172], v[163:164]
	v_add_f64_e32 v[175:176], v[169:170], v[175:176]
	ds_load_b128 v[169:172], v1 offset:1232
	s_wait_loadcnt_dscnt 0x901
	v_mul_f64_e32 v[181:182], v[2:3], v[12:13]
	v_mul_f64_e32 v[12:13], v[4:5], v[12:13]
	v_add_f64_e32 v[163:164], v[163:164], v[179:180]
	v_add_f64_e32 v[173:174], v[175:176], v[173:174]
	s_wait_loadcnt_dscnt 0x800
	v_mul_f64_e32 v[175:176], v[169:170], v[16:17]
	v_mul_f64_e32 v[16:17], v[171:172], v[16:17]
	v_fma_f64 v[177:178], v[4:5], v[10:11], v[181:182]
	v_fma_f64 v[179:180], v[2:3], v[10:11], -v[12:13]
	ds_load_b128 v[2:5], v1 offset:1248
	scratch_load_b128 v[10:13], off, off offset:496
	v_add_f64_e32 v[181:182], v[163:164], v[165:166]
	v_add_f64_e32 v[167:168], v[173:174], v[167:168]
	ds_load_b128 v[163:166], v1 offset:1264
	s_wait_loadcnt_dscnt 0x801
	v_mul_f64_e32 v[173:174], v[2:3], v[20:21]
	v_mul_f64_e32 v[20:21], v[4:5], v[20:21]
	v_fma_f64 v[171:172], v[171:172], v[14:15], v[175:176]
	v_fma_f64 v[169:170], v[169:170], v[14:15], -v[16:17]
	scratch_load_b128 v[14:17], off, off offset:512
	v_add_f64_e32 v[175:176], v[181:182], v[179:180]
	v_add_f64_e32 v[167:168], v[167:168], v[177:178]
	s_wait_loadcnt_dscnt 0x800
	v_mul_f64_e32 v[177:178], v[163:164], v[24:25]
	v_mul_f64_e32 v[24:25], v[165:166], v[24:25]
	v_fma_f64 v[173:174], v[4:5], v[18:19], v[173:174]
	v_fma_f64 v[179:180], v[2:3], v[18:19], -v[20:21]
	ds_load_b128 v[2:5], v1 offset:1280
	scratch_load_b128 v[18:21], off, off offset:528
	v_add_f64_e32 v[175:176], v[175:176], v[169:170]
	v_add_f64_e32 v[171:172], v[167:168], v[171:172]
	ds_load_b128 v[167:170], v1 offset:1296
	s_wait_loadcnt_dscnt 0x801
	v_mul_f64_e32 v[181:182], v[2:3], v[28:29]
	v_mul_f64_e32 v[28:29], v[4:5], v[28:29]
	v_fma_f64 v[165:166], v[165:166], v[22:23], v[177:178]
	v_fma_f64 v[163:164], v[163:164], v[22:23], -v[24:25]
	scratch_load_b128 v[22:25], off, off offset:544
	v_add_f64_e32 v[175:176], v[175:176], v[179:180]
	v_add_f64_e32 v[171:172], v[171:172], v[173:174]
	s_wait_loadcnt_dscnt 0x800
	v_mul_f64_e32 v[173:174], v[167:168], v[32:33]
	v_mul_f64_e32 v[32:33], v[169:170], v[32:33]
	v_fma_f64 v[177:178], v[4:5], v[26:27], v[181:182]
	v_fma_f64 v[179:180], v[2:3], v[26:27], -v[28:29]
	ds_load_b128 v[2:5], v1 offset:1312
	scratch_load_b128 v[26:29], off, off offset:560
	v_add_f64_e32 v[175:176], v[175:176], v[163:164]
	v_add_f64_e32 v[171:172], v[171:172], v[165:166]
	ds_load_b128 v[163:166], v1 offset:1328
	s_wait_loadcnt_dscnt 0x801
	v_mul_f64_e32 v[181:182], v[2:3], v[36:37]
	v_mul_f64_e32 v[36:37], v[4:5], v[36:37]
	v_fma_f64 v[169:170], v[169:170], v[30:31], v[173:174]
	v_fma_f64 v[167:168], v[167:168], v[30:31], -v[32:33]
	scratch_load_b128 v[30:33], off, off offset:576
	v_add_f64_e32 v[173:174], v[175:176], v[179:180]
	v_add_f64_e32 v[171:172], v[171:172], v[177:178]
	s_wait_loadcnt_dscnt 0x800
	v_mul_f64_e32 v[175:176], v[163:164], v[40:41]
	v_mul_f64_e32 v[40:41], v[165:166], v[40:41]
	v_fma_f64 v[177:178], v[4:5], v[34:35], v[181:182]
	v_fma_f64 v[179:180], v[2:3], v[34:35], -v[36:37]
	ds_load_b128 v[2:5], v1 offset:1344
	scratch_load_b128 v[34:37], off, off offset:592
	v_add_f64_e32 v[173:174], v[173:174], v[167:168]
	v_add_f64_e32 v[171:172], v[171:172], v[169:170]
	ds_load_b128 v[167:170], v1 offset:1360
	s_wait_loadcnt_dscnt 0x801
	v_mul_f64_e32 v[181:182], v[2:3], v[44:45]
	v_mul_f64_e32 v[44:45], v[4:5], v[44:45]
	v_fma_f64 v[165:166], v[165:166], v[38:39], v[175:176]
	v_fma_f64 v[163:164], v[163:164], v[38:39], -v[40:41]
	scratch_load_b128 v[38:41], off, off offset:608
	s_wait_loadcnt_dscnt 0x800
	v_mul_f64_e32 v[175:176], v[167:168], v[8:9]
	v_mul_f64_e32 v[8:9], v[169:170], v[8:9]
	v_add_f64_e32 v[173:174], v[173:174], v[179:180]
	v_add_f64_e32 v[171:172], v[171:172], v[177:178]
	v_fma_f64 v[177:178], v[4:5], v[42:43], v[181:182]
	v_fma_f64 v[179:180], v[2:3], v[42:43], -v[44:45]
	ds_load_b128 v[2:5], v1 offset:1376
	scratch_load_b128 v[42:45], off, off offset:624
	v_fma_f64 v[169:170], v[169:170], v[6:7], v[175:176]
	v_fma_f64 v[167:168], v[167:168], v[6:7], -v[8:9]
	scratch_load_b128 v[6:9], off, off offset:640
	v_add_f64_e32 v[173:174], v[173:174], v[163:164]
	v_add_f64_e32 v[171:172], v[171:172], v[165:166]
	ds_load_b128 v[163:166], v1 offset:1392
	s_wait_loadcnt_dscnt 0x901
	v_mul_f64_e32 v[181:182], v[2:3], v[12:13]
	v_mul_f64_e32 v[12:13], v[4:5], v[12:13]
	s_wait_loadcnt_dscnt 0x800
	v_mul_f64_e32 v[175:176], v[163:164], v[16:17]
	v_mul_f64_e32 v[16:17], v[165:166], v[16:17]
	v_add_f64_e32 v[173:174], v[173:174], v[179:180]
	v_add_f64_e32 v[171:172], v[171:172], v[177:178]
	v_fma_f64 v[177:178], v[4:5], v[10:11], v[181:182]
	v_fma_f64 v[179:180], v[2:3], v[10:11], -v[12:13]
	ds_load_b128 v[2:5], v1 offset:1408
	scratch_load_b128 v[10:13], off, off offset:656
	v_fma_f64 v[165:166], v[165:166], v[14:15], v[175:176]
	v_fma_f64 v[163:164], v[163:164], v[14:15], -v[16:17]
	scratch_load_b128 v[14:17], off, off offset:672
	v_add_f64_e32 v[173:174], v[173:174], v[167:168]
	v_add_f64_e32 v[171:172], v[171:172], v[169:170]
	ds_load_b128 v[167:170], v1 offset:1424
	s_wait_loadcnt_dscnt 0x901
	v_mul_f64_e32 v[181:182], v[2:3], v[20:21]
	v_mul_f64_e32 v[20:21], v[4:5], v[20:21]
	;; [unrolled: 18-line block ×9, first 2 shown]
	s_wait_loadcnt_dscnt 0x800
	v_mul_f64_e32 v[175:176], v[163:164], v[40:41]
	v_mul_f64_e32 v[40:41], v[165:166], v[40:41]
	v_add_f64_e32 v[173:174], v[173:174], v[179:180]
	v_add_f64_e32 v[171:172], v[171:172], v[177:178]
	v_fma_f64 v[177:178], v[4:5], v[34:35], v[181:182]
	v_fma_f64 v[179:180], v[2:3], v[34:35], -v[36:37]
	ds_load_b128 v[2:5], v1 offset:1664
	ds_load_b128 v[34:37], v1 offset:1680
	v_fma_f64 v[165:166], v[165:166], v[38:39], v[175:176]
	v_fma_f64 v[38:39], v[163:164], v[38:39], -v[40:41]
	v_add_f64_e32 v[167:168], v[173:174], v[167:168]
	v_add_f64_e32 v[169:170], v[171:172], v[169:170]
	s_wait_loadcnt_dscnt 0x701
	v_mul_f64_e32 v[171:172], v[2:3], v[44:45]
	v_mul_f64_e32 v[44:45], v[4:5], v[44:45]
	s_delay_alu instid0(VALU_DEP_4) | instskip(NEXT) | instid1(VALU_DEP_4)
	v_add_f64_e32 v[40:41], v[167:168], v[179:180]
	v_add_f64_e32 v[163:164], v[169:170], v[177:178]
	s_wait_loadcnt_dscnt 0x600
	v_mul_f64_e32 v[167:168], v[34:35], v[8:9]
	v_mul_f64_e32 v[8:9], v[36:37], v[8:9]
	v_fma_f64 v[169:170], v[4:5], v[42:43], v[171:172]
	v_fma_f64 v[42:43], v[2:3], v[42:43], -v[44:45]
	v_add_f64_e32 v[44:45], v[40:41], v[38:39]
	v_add_f64_e32 v[163:164], v[163:164], v[165:166]
	ds_load_b128 v[2:5], v1 offset:1696
	ds_load_b128 v[38:41], v1 offset:1712
	v_fma_f64 v[36:37], v[36:37], v[6:7], v[167:168]
	v_fma_f64 v[6:7], v[34:35], v[6:7], -v[8:9]
	s_wait_loadcnt_dscnt 0x501
	v_mul_f64_e32 v[165:166], v[2:3], v[12:13]
	v_mul_f64_e32 v[12:13], v[4:5], v[12:13]
	v_add_f64_e32 v[8:9], v[44:45], v[42:43]
	v_add_f64_e32 v[34:35], v[163:164], v[169:170]
	s_wait_loadcnt_dscnt 0x400
	v_mul_f64_e32 v[42:43], v[38:39], v[16:17]
	v_mul_f64_e32 v[16:17], v[40:41], v[16:17]
	v_fma_f64 v[44:45], v[4:5], v[10:11], v[165:166]
	v_fma_f64 v[10:11], v[2:3], v[10:11], -v[12:13]
	v_add_f64_e32 v[12:13], v[8:9], v[6:7]
	v_add_f64_e32 v[34:35], v[34:35], v[36:37]
	ds_load_b128 v[2:5], v1 offset:1728
	ds_load_b128 v[6:9], v1 offset:1744
	v_fma_f64 v[40:41], v[40:41], v[14:15], v[42:43]
	v_fma_f64 v[14:15], v[38:39], v[14:15], -v[16:17]
	s_wait_loadcnt_dscnt 0x301
	v_mul_f64_e32 v[36:37], v[2:3], v[20:21]
	v_mul_f64_e32 v[20:21], v[4:5], v[20:21]
	s_wait_loadcnt_dscnt 0x200
	v_mul_f64_e32 v[16:17], v[6:7], v[24:25]
	v_mul_f64_e32 v[24:25], v[8:9], v[24:25]
	v_add_f64_e32 v[10:11], v[12:13], v[10:11]
	v_add_f64_e32 v[12:13], v[34:35], v[44:45]
	v_fma_f64 v[34:35], v[4:5], v[18:19], v[36:37]
	v_fma_f64 v[18:19], v[2:3], v[18:19], -v[20:21]
	v_fma_f64 v[8:9], v[8:9], v[22:23], v[16:17]
	v_fma_f64 v[6:7], v[6:7], v[22:23], -v[24:25]
	v_add_f64_e32 v[14:15], v[10:11], v[14:15]
	v_add_f64_e32 v[20:21], v[12:13], v[40:41]
	ds_load_b128 v[2:5], v1 offset:1760
	ds_load_b128 v[10:13], v1 offset:1776
	s_wait_loadcnt_dscnt 0x101
	v_mul_f64_e32 v[36:37], v[2:3], v[28:29]
	v_mul_f64_e32 v[28:29], v[4:5], v[28:29]
	v_add_f64_e32 v[14:15], v[14:15], v[18:19]
	v_add_f64_e32 v[16:17], v[20:21], v[34:35]
	s_wait_loadcnt_dscnt 0x0
	v_mul_f64_e32 v[18:19], v[10:11], v[32:33]
	v_mul_f64_e32 v[20:21], v[12:13], v[32:33]
	v_fma_f64 v[4:5], v[4:5], v[26:27], v[36:37]
	v_fma_f64 v[1:2], v[2:3], v[26:27], -v[28:29]
	v_add_f64_e32 v[6:7], v[14:15], v[6:7]
	v_add_f64_e32 v[8:9], v[16:17], v[8:9]
	v_fma_f64 v[12:13], v[12:13], v[30:31], v[18:19]
	v_fma_f64 v[10:11], v[10:11], v[30:31], -v[20:21]
	s_delay_alu instid0(VALU_DEP_4) | instskip(NEXT) | instid1(VALU_DEP_4)
	v_add_f64_e32 v[1:2], v[6:7], v[1:2]
	v_add_f64_e32 v[3:4], v[8:9], v[4:5]
	s_delay_alu instid0(VALU_DEP_2) | instskip(NEXT) | instid1(VALU_DEP_2)
	v_add_f64_e32 v[1:2], v[1:2], v[10:11]
	v_add_f64_e32 v[3:4], v[3:4], v[12:13]
	s_delay_alu instid0(VALU_DEP_2) | instskip(NEXT) | instid1(VALU_DEP_2)
	v_add_f64_e64 v[1:2], v[159:160], -v[1:2]
	v_add_f64_e64 v[3:4], v[161:162], -v[3:4]
	scratch_store_b128 off, v[1:4], off offset:128
	v_cmpx_lt_u32_e32 6, v0
	s_cbranch_execz .LBB55_337
; %bb.336:
	scratch_load_b128 v[1:4], off, s63
	v_mov_b32_e32 v5, 0
	s_delay_alu instid0(VALU_DEP_1)
	v_dual_mov_b32 v6, v5 :: v_dual_mov_b32 v7, v5
	v_mov_b32_e32 v8, v5
	scratch_store_b128 off, v[5:8], off offset:112
	s_wait_loadcnt 0x0
	ds_store_b128 v158, v[1:4]
.LBB55_337:
	s_wait_alu 0xfffe
	s_or_b32 exec_lo, exec_lo, s0
	s_wait_storecnt_dscnt 0x0
	s_barrier_signal -1
	s_barrier_wait -1
	global_inv scope:SCOPE_SE
	s_clause 0x7
	scratch_load_b128 v[2:5], off, off offset:128
	scratch_load_b128 v[6:9], off, off offset:144
	;; [unrolled: 1-line block ×8, first 2 shown]
	v_mov_b32_e32 v1, 0
	s_mov_b32 s0, exec_lo
	ds_load_b128 v[38:41], v1 offset:1008
	s_clause 0x1
	scratch_load_b128 v[34:37], off, off offset:256
	scratch_load_b128 v[42:45], off, off offset:112
	ds_load_b128 v[159:162], v1 offset:1024
	scratch_load_b128 v[163:166], off, off offset:272
	s_wait_loadcnt_dscnt 0xa01
	v_mul_f64_e32 v[167:168], v[40:41], v[4:5]
	v_mul_f64_e32 v[4:5], v[38:39], v[4:5]
	s_delay_alu instid0(VALU_DEP_2) | instskip(NEXT) | instid1(VALU_DEP_2)
	v_fma_f64 v[173:174], v[38:39], v[2:3], -v[167:168]
	v_fma_f64 v[175:176], v[40:41], v[2:3], v[4:5]
	ds_load_b128 v[2:5], v1 offset:1040
	s_wait_loadcnt_dscnt 0x901
	v_mul_f64_e32 v[171:172], v[159:160], v[8:9]
	v_mul_f64_e32 v[8:9], v[161:162], v[8:9]
	scratch_load_b128 v[38:41], off, off offset:288
	ds_load_b128 v[167:170], v1 offset:1056
	s_wait_loadcnt_dscnt 0x901
	v_mul_f64_e32 v[177:178], v[2:3], v[12:13]
	v_mul_f64_e32 v[12:13], v[4:5], v[12:13]
	v_fma_f64 v[161:162], v[161:162], v[6:7], v[171:172]
	v_fma_f64 v[159:160], v[159:160], v[6:7], -v[8:9]
	v_add_f64_e32 v[171:172], 0, v[173:174]
	v_add_f64_e32 v[173:174], 0, v[175:176]
	scratch_load_b128 v[6:9], off, off offset:304
	v_fma_f64 v[177:178], v[4:5], v[10:11], v[177:178]
	v_fma_f64 v[179:180], v[2:3], v[10:11], -v[12:13]
	ds_load_b128 v[2:5], v1 offset:1072
	s_wait_loadcnt_dscnt 0x901
	v_mul_f64_e32 v[175:176], v[167:168], v[16:17]
	v_mul_f64_e32 v[16:17], v[169:170], v[16:17]
	scratch_load_b128 v[10:13], off, off offset:320
	v_add_f64_e32 v[171:172], v[171:172], v[159:160]
	v_add_f64_e32 v[173:174], v[173:174], v[161:162]
	s_wait_loadcnt_dscnt 0x900
	v_mul_f64_e32 v[181:182], v[2:3], v[20:21]
	v_mul_f64_e32 v[20:21], v[4:5], v[20:21]
	ds_load_b128 v[159:162], v1 offset:1088
	v_fma_f64 v[169:170], v[169:170], v[14:15], v[175:176]
	v_fma_f64 v[167:168], v[167:168], v[14:15], -v[16:17]
	scratch_load_b128 v[14:17], off, off offset:336
	v_add_f64_e32 v[171:172], v[171:172], v[179:180]
	v_add_f64_e32 v[173:174], v[173:174], v[177:178]
	v_fma_f64 v[177:178], v[4:5], v[18:19], v[181:182]
	v_fma_f64 v[179:180], v[2:3], v[18:19], -v[20:21]
	ds_load_b128 v[2:5], v1 offset:1104
	s_wait_loadcnt_dscnt 0x901
	v_mul_f64_e32 v[175:176], v[159:160], v[24:25]
	v_mul_f64_e32 v[24:25], v[161:162], v[24:25]
	scratch_load_b128 v[18:21], off, off offset:352
	s_wait_loadcnt_dscnt 0x900
	v_mul_f64_e32 v[181:182], v[2:3], v[28:29]
	v_mul_f64_e32 v[28:29], v[4:5], v[28:29]
	v_add_f64_e32 v[171:172], v[171:172], v[167:168]
	v_add_f64_e32 v[173:174], v[173:174], v[169:170]
	ds_load_b128 v[167:170], v1 offset:1120
	v_fma_f64 v[161:162], v[161:162], v[22:23], v[175:176]
	v_fma_f64 v[159:160], v[159:160], v[22:23], -v[24:25]
	scratch_load_b128 v[22:25], off, off offset:368
	v_add_f64_e32 v[171:172], v[171:172], v[179:180]
	v_add_f64_e32 v[173:174], v[173:174], v[177:178]
	v_fma_f64 v[177:178], v[4:5], v[26:27], v[181:182]
	v_fma_f64 v[179:180], v[2:3], v[26:27], -v[28:29]
	ds_load_b128 v[2:5], v1 offset:1136
	s_wait_loadcnt_dscnt 0x901
	v_mul_f64_e32 v[175:176], v[167:168], v[32:33]
	v_mul_f64_e32 v[32:33], v[169:170], v[32:33]
	scratch_load_b128 v[26:29], off, off offset:384
	s_wait_loadcnt_dscnt 0x900
	v_mul_f64_e32 v[181:182], v[2:3], v[36:37]
	v_mul_f64_e32 v[36:37], v[4:5], v[36:37]
	v_add_f64_e32 v[171:172], v[171:172], v[159:160]
	v_add_f64_e32 v[173:174], v[173:174], v[161:162]
	ds_load_b128 v[159:162], v1 offset:1152
	v_fma_f64 v[169:170], v[169:170], v[30:31], v[175:176]
	v_fma_f64 v[167:168], v[167:168], v[30:31], -v[32:33]
	scratch_load_b128 v[30:33], off, off offset:400
	v_add_f64_e32 v[171:172], v[171:172], v[179:180]
	v_add_f64_e32 v[173:174], v[173:174], v[177:178]
	v_fma_f64 v[179:180], v[4:5], v[34:35], v[181:182]
	v_fma_f64 v[181:182], v[2:3], v[34:35], -v[36:37]
	ds_load_b128 v[2:5], v1 offset:1168
	s_wait_loadcnt_dscnt 0x801
	v_mul_f64_e32 v[175:176], v[159:160], v[165:166]
	v_mul_f64_e32 v[177:178], v[161:162], v[165:166]
	scratch_load_b128 v[34:37], off, off offset:416
	v_add_f64_e32 v[171:172], v[171:172], v[167:168]
	v_add_f64_e32 v[169:170], v[173:174], v[169:170]
	ds_load_b128 v[165:168], v1 offset:1184
	v_fma_f64 v[175:176], v[161:162], v[163:164], v[175:176]
	v_fma_f64 v[163:164], v[159:160], v[163:164], -v[177:178]
	scratch_load_b128 v[159:162], off, off offset:432
	s_wait_loadcnt_dscnt 0x901
	v_mul_f64_e32 v[173:174], v[2:3], v[40:41]
	v_mul_f64_e32 v[40:41], v[4:5], v[40:41]
	v_add_f64_e32 v[171:172], v[171:172], v[181:182]
	v_add_f64_e32 v[169:170], v[169:170], v[179:180]
	s_delay_alu instid0(VALU_DEP_4) | instskip(NEXT) | instid1(VALU_DEP_4)
	v_fma_f64 v[173:174], v[4:5], v[38:39], v[173:174]
	v_fma_f64 v[179:180], v[2:3], v[38:39], -v[40:41]
	ds_load_b128 v[2:5], v1 offset:1200
	s_wait_loadcnt_dscnt 0x801
	v_mul_f64_e32 v[177:178], v[165:166], v[8:9]
	v_mul_f64_e32 v[8:9], v[167:168], v[8:9]
	scratch_load_b128 v[38:41], off, off offset:448
	s_wait_loadcnt_dscnt 0x800
	v_mul_f64_e32 v[181:182], v[2:3], v[12:13]
	v_add_f64_e32 v[163:164], v[171:172], v[163:164]
	v_add_f64_e32 v[175:176], v[169:170], v[175:176]
	v_mul_f64_e32 v[12:13], v[4:5], v[12:13]
	ds_load_b128 v[169:172], v1 offset:1216
	v_fma_f64 v[167:168], v[167:168], v[6:7], v[177:178]
	v_fma_f64 v[165:166], v[165:166], v[6:7], -v[8:9]
	scratch_load_b128 v[6:9], off, off offset:464
	v_fma_f64 v[177:178], v[4:5], v[10:11], v[181:182]
	v_add_f64_e32 v[163:164], v[163:164], v[179:180]
	v_add_f64_e32 v[173:174], v[175:176], v[173:174]
	v_fma_f64 v[179:180], v[2:3], v[10:11], -v[12:13]
	ds_load_b128 v[2:5], v1 offset:1232
	s_wait_loadcnt_dscnt 0x801
	v_mul_f64_e32 v[175:176], v[169:170], v[16:17]
	v_mul_f64_e32 v[16:17], v[171:172], v[16:17]
	scratch_load_b128 v[10:13], off, off offset:480
	v_add_f64_e32 v[181:182], v[163:164], v[165:166]
	v_add_f64_e32 v[167:168], v[173:174], v[167:168]
	s_wait_loadcnt_dscnt 0x800
	v_mul_f64_e32 v[173:174], v[2:3], v[20:21]
	v_mul_f64_e32 v[20:21], v[4:5], v[20:21]
	v_fma_f64 v[171:172], v[171:172], v[14:15], v[175:176]
	v_fma_f64 v[169:170], v[169:170], v[14:15], -v[16:17]
	ds_load_b128 v[163:166], v1 offset:1248
	scratch_load_b128 v[14:17], off, off offset:496
	v_add_f64_e32 v[175:176], v[181:182], v[179:180]
	v_add_f64_e32 v[167:168], v[167:168], v[177:178]
	v_fma_f64 v[173:174], v[4:5], v[18:19], v[173:174]
	v_fma_f64 v[179:180], v[2:3], v[18:19], -v[20:21]
	ds_load_b128 v[2:5], v1 offset:1264
	s_wait_loadcnt_dscnt 0x801
	v_mul_f64_e32 v[177:178], v[163:164], v[24:25]
	v_mul_f64_e32 v[24:25], v[165:166], v[24:25]
	scratch_load_b128 v[18:21], off, off offset:512
	s_wait_loadcnt_dscnt 0x800
	v_mul_f64_e32 v[181:182], v[2:3], v[28:29]
	v_mul_f64_e32 v[28:29], v[4:5], v[28:29]
	v_add_f64_e32 v[175:176], v[175:176], v[169:170]
	v_add_f64_e32 v[171:172], v[167:168], v[171:172]
	ds_load_b128 v[167:170], v1 offset:1280
	v_fma_f64 v[165:166], v[165:166], v[22:23], v[177:178]
	v_fma_f64 v[163:164], v[163:164], v[22:23], -v[24:25]
	scratch_load_b128 v[22:25], off, off offset:528
	v_fma_f64 v[177:178], v[4:5], v[26:27], v[181:182]
	v_add_f64_e32 v[175:176], v[175:176], v[179:180]
	v_add_f64_e32 v[171:172], v[171:172], v[173:174]
	v_fma_f64 v[179:180], v[2:3], v[26:27], -v[28:29]
	ds_load_b128 v[2:5], v1 offset:1296
	s_wait_loadcnt_dscnt 0x801
	v_mul_f64_e32 v[173:174], v[167:168], v[32:33]
	v_mul_f64_e32 v[32:33], v[169:170], v[32:33]
	scratch_load_b128 v[26:29], off, off offset:544
	s_wait_loadcnt_dscnt 0x800
	v_mul_f64_e32 v[181:182], v[2:3], v[36:37]
	v_mul_f64_e32 v[36:37], v[4:5], v[36:37]
	v_add_f64_e32 v[175:176], v[175:176], v[163:164]
	v_add_f64_e32 v[171:172], v[171:172], v[165:166]
	ds_load_b128 v[163:166], v1 offset:1312
	v_fma_f64 v[169:170], v[169:170], v[30:31], v[173:174]
	v_fma_f64 v[167:168], v[167:168], v[30:31], -v[32:33]
	scratch_load_b128 v[30:33], off, off offset:560
	v_add_f64_e32 v[173:174], v[175:176], v[179:180]
	v_add_f64_e32 v[171:172], v[171:172], v[177:178]
	v_fma_f64 v[177:178], v[4:5], v[34:35], v[181:182]
	v_fma_f64 v[179:180], v[2:3], v[34:35], -v[36:37]
	ds_load_b128 v[2:5], v1 offset:1328
	s_wait_loadcnt_dscnt 0x801
	v_mul_f64_e32 v[175:176], v[163:164], v[161:162]
	v_mul_f64_e32 v[161:162], v[165:166], v[161:162]
	scratch_load_b128 v[34:37], off, off offset:576
	s_wait_loadcnt_dscnt 0x800
	v_mul_f64_e32 v[181:182], v[2:3], v[40:41]
	v_mul_f64_e32 v[40:41], v[4:5], v[40:41]
	v_add_f64_e32 v[173:174], v[173:174], v[167:168]
	v_add_f64_e32 v[171:172], v[171:172], v[169:170]
	ds_load_b128 v[167:170], v1 offset:1344
	v_fma_f64 v[165:166], v[165:166], v[159:160], v[175:176]
	v_fma_f64 v[163:164], v[163:164], v[159:160], -v[161:162]
	scratch_load_b128 v[159:162], off, off offset:592
	v_add_f64_e32 v[173:174], v[173:174], v[179:180]
	v_add_f64_e32 v[171:172], v[171:172], v[177:178]
	v_fma_f64 v[177:178], v[4:5], v[38:39], v[181:182]
	;; [unrolled: 18-line block ×6, first 2 shown]
	v_fma_f64 v[181:182], v[2:3], v[34:35], -v[36:37]
	ds_load_b128 v[2:5], v1 offset:1488
	s_wait_loadcnt_dscnt 0x801
	v_mul_f64_e32 v[175:176], v[167:168], v[161:162]
	v_mul_f64_e32 v[177:178], v[169:170], v[161:162]
	scratch_load_b128 v[34:37], off, off offset:736
	v_add_f64_e32 v[173:174], v[173:174], v[163:164]
	v_add_f64_e32 v[165:166], v[171:172], v[165:166]
	s_wait_loadcnt_dscnt 0x800
	v_mul_f64_e32 v[171:172], v[2:3], v[40:41]
	v_mul_f64_e32 v[40:41], v[4:5], v[40:41]
	ds_load_b128 v[161:164], v1 offset:1504
	v_fma_f64 v[169:170], v[169:170], v[159:160], v[175:176]
	v_fma_f64 v[159:160], v[167:168], v[159:160], -v[177:178]
	v_add_f64_e32 v[173:174], v[173:174], v[181:182]
	v_add_f64_e32 v[175:176], v[165:166], v[179:180]
	scratch_load_b128 v[165:168], off, off offset:752
	v_fma_f64 v[179:180], v[4:5], v[38:39], v[171:172]
	v_fma_f64 v[181:182], v[2:3], v[38:39], -v[40:41]
	ds_load_b128 v[2:5], v1 offset:1520
	s_wait_loadcnt_dscnt 0x801
	v_mul_f64_e32 v[177:178], v[161:162], v[8:9]
	v_mul_f64_e32 v[8:9], v[163:164], v[8:9]
	scratch_load_b128 v[38:41], off, off offset:768
	v_add_f64_e32 v[159:160], v[173:174], v[159:160]
	v_add_f64_e32 v[173:174], v[175:176], v[169:170]
	s_wait_loadcnt_dscnt 0x800
	v_mul_f64_e32 v[175:176], v[2:3], v[12:13]
	v_mul_f64_e32 v[12:13], v[4:5], v[12:13]
	ds_load_b128 v[169:172], v1 offset:1536
	v_fma_f64 v[163:164], v[163:164], v[6:7], v[177:178]
	v_fma_f64 v[161:162], v[161:162], v[6:7], -v[8:9]
	scratch_load_b128 v[6:9], off, off offset:784
	v_add_f64_e32 v[159:160], v[159:160], v[181:182]
	v_add_f64_e32 v[173:174], v[173:174], v[179:180]
	v_fma_f64 v[175:176], v[4:5], v[10:11], v[175:176]
	v_fma_f64 v[179:180], v[2:3], v[10:11], -v[12:13]
	ds_load_b128 v[2:5], v1 offset:1552
	s_wait_loadcnt_dscnt 0x801
	v_mul_f64_e32 v[177:178], v[169:170], v[16:17]
	v_mul_f64_e32 v[16:17], v[171:172], v[16:17]
	scratch_load_b128 v[10:13], off, off offset:800
	v_add_f64_e32 v[181:182], v[159:160], v[161:162]
	v_add_f64_e32 v[163:164], v[173:174], v[163:164]
	s_wait_loadcnt_dscnt 0x800
	v_mul_f64_e32 v[173:174], v[2:3], v[20:21]
	v_mul_f64_e32 v[20:21], v[4:5], v[20:21]
	ds_load_b128 v[159:162], v1 offset:1568
	v_fma_f64 v[171:172], v[171:172], v[14:15], v[177:178]
	v_fma_f64 v[169:170], v[169:170], v[14:15], -v[16:17]
	scratch_load_b128 v[14:17], off, off offset:816
	v_add_f64_e32 v[177:178], v[181:182], v[179:180]
	v_add_f64_e32 v[163:164], v[163:164], v[175:176]
	v_fma_f64 v[173:174], v[4:5], v[18:19], v[173:174]
	v_fma_f64 v[179:180], v[2:3], v[18:19], -v[20:21]
	ds_load_b128 v[2:5], v1 offset:1584
	s_wait_loadcnt_dscnt 0x801
	v_mul_f64_e32 v[175:176], v[159:160], v[24:25]
	v_mul_f64_e32 v[24:25], v[161:162], v[24:25]
	scratch_load_b128 v[18:21], off, off offset:832
	s_wait_loadcnt_dscnt 0x800
	v_mul_f64_e32 v[181:182], v[2:3], v[28:29]
	v_mul_f64_e32 v[28:29], v[4:5], v[28:29]
	v_add_f64_e32 v[177:178], v[177:178], v[169:170]
	v_add_f64_e32 v[163:164], v[163:164], v[171:172]
	ds_load_b128 v[169:172], v1 offset:1600
	v_fma_f64 v[161:162], v[161:162], v[22:23], v[175:176]
	v_fma_f64 v[159:160], v[159:160], v[22:23], -v[24:25]
	scratch_load_b128 v[22:25], off, off offset:848
	v_add_f64_e32 v[175:176], v[177:178], v[179:180]
	v_add_f64_e32 v[163:164], v[163:164], v[173:174]
	v_fma_f64 v[177:178], v[4:5], v[26:27], v[181:182]
	v_fma_f64 v[179:180], v[2:3], v[26:27], -v[28:29]
	ds_load_b128 v[2:5], v1 offset:1616
	s_wait_loadcnt_dscnt 0x801
	v_mul_f64_e32 v[173:174], v[169:170], v[32:33]
	v_mul_f64_e32 v[32:33], v[171:172], v[32:33]
	scratch_load_b128 v[26:29], off, off offset:864
	s_wait_loadcnt_dscnt 0x800
	v_mul_f64_e32 v[181:182], v[2:3], v[36:37]
	v_mul_f64_e32 v[36:37], v[4:5], v[36:37]
	v_add_f64_e32 v[175:176], v[175:176], v[159:160]
	v_add_f64_e32 v[163:164], v[163:164], v[161:162]
	ds_load_b128 v[159:162], v1 offset:1632
	v_fma_f64 v[171:172], v[171:172], v[30:31], v[173:174]
	v_fma_f64 v[169:170], v[169:170], v[30:31], -v[32:33]
	scratch_load_b128 v[30:33], off, off offset:880
	v_add_f64_e32 v[173:174], v[175:176], v[179:180]
	v_add_f64_e32 v[163:164], v[163:164], v[177:178]
	v_fma_f64 v[179:180], v[4:5], v[34:35], v[181:182]
	v_fma_f64 v[181:182], v[2:3], v[34:35], -v[36:37]
	ds_load_b128 v[2:5], v1 offset:1648
	scratch_load_b128 v[34:37], off, off offset:896
	s_wait_loadcnt_dscnt 0x901
	v_mul_f64_e32 v[175:176], v[159:160], v[167:168]
	v_mul_f64_e32 v[177:178], v[161:162], v[167:168]
	v_add_f64_e32 v[173:174], v[173:174], v[169:170]
	v_add_f64_e32 v[163:164], v[163:164], v[171:172]
	s_wait_loadcnt_dscnt 0x800
	v_mul_f64_e32 v[171:172], v[2:3], v[40:41]
	v_mul_f64_e32 v[40:41], v[4:5], v[40:41]
	ds_load_b128 v[167:170], v1 offset:1664
	v_fma_f64 v[161:162], v[161:162], v[165:166], v[175:176]
	v_fma_f64 v[159:160], v[159:160], v[165:166], -v[177:178]
	v_add_f64_e32 v[165:166], v[173:174], v[181:182]
	v_add_f64_e32 v[163:164], v[163:164], v[179:180]
	s_wait_loadcnt_dscnt 0x700
	v_mul_f64_e32 v[173:174], v[167:168], v[8:9]
	v_mul_f64_e32 v[8:9], v[169:170], v[8:9]
	v_fma_f64 v[171:172], v[4:5], v[38:39], v[171:172]
	v_fma_f64 v[175:176], v[2:3], v[38:39], -v[40:41]
	ds_load_b128 v[2:5], v1 offset:1680
	ds_load_b128 v[38:41], v1 offset:1696
	v_add_f64_e32 v[159:160], v[165:166], v[159:160]
	v_add_f64_e32 v[161:162], v[163:164], v[161:162]
	s_wait_loadcnt_dscnt 0x601
	v_mul_f64_e32 v[163:164], v[2:3], v[12:13]
	v_mul_f64_e32 v[12:13], v[4:5], v[12:13]
	v_fma_f64 v[165:166], v[169:170], v[6:7], v[173:174]
	v_fma_f64 v[6:7], v[167:168], v[6:7], -v[8:9]
	v_add_f64_e32 v[8:9], v[159:160], v[175:176]
	v_add_f64_e32 v[159:160], v[161:162], v[171:172]
	s_wait_loadcnt_dscnt 0x500
	v_mul_f64_e32 v[161:162], v[38:39], v[16:17]
	v_mul_f64_e32 v[16:17], v[40:41], v[16:17]
	v_fma_f64 v[163:164], v[4:5], v[10:11], v[163:164]
	v_fma_f64 v[10:11], v[2:3], v[10:11], -v[12:13]
	v_add_f64_e32 v[12:13], v[8:9], v[6:7]
	v_add_f64_e32 v[159:160], v[159:160], v[165:166]
	ds_load_b128 v[2:5], v1 offset:1712
	ds_load_b128 v[6:9], v1 offset:1728
	v_fma_f64 v[40:41], v[40:41], v[14:15], v[161:162]
	v_fma_f64 v[14:15], v[38:39], v[14:15], -v[16:17]
	s_wait_loadcnt_dscnt 0x401
	v_mul_f64_e32 v[165:166], v[2:3], v[20:21]
	v_mul_f64_e32 v[20:21], v[4:5], v[20:21]
	s_wait_loadcnt_dscnt 0x300
	v_mul_f64_e32 v[16:17], v[6:7], v[24:25]
	v_mul_f64_e32 v[24:25], v[8:9], v[24:25]
	v_add_f64_e32 v[10:11], v[12:13], v[10:11]
	v_add_f64_e32 v[12:13], v[159:160], v[163:164]
	v_fma_f64 v[38:39], v[4:5], v[18:19], v[165:166]
	v_fma_f64 v[18:19], v[2:3], v[18:19], -v[20:21]
	v_fma_f64 v[8:9], v[8:9], v[22:23], v[16:17]
	v_fma_f64 v[6:7], v[6:7], v[22:23], -v[24:25]
	v_add_f64_e32 v[14:15], v[10:11], v[14:15]
	v_add_f64_e32 v[20:21], v[12:13], v[40:41]
	ds_load_b128 v[2:5], v1 offset:1744
	ds_load_b128 v[10:13], v1 offset:1760
	s_wait_loadcnt_dscnt 0x201
	v_mul_f64_e32 v[40:41], v[2:3], v[28:29]
	v_mul_f64_e32 v[28:29], v[4:5], v[28:29]
	v_add_f64_e32 v[14:15], v[14:15], v[18:19]
	v_add_f64_e32 v[16:17], v[20:21], v[38:39]
	s_wait_loadcnt_dscnt 0x100
	v_mul_f64_e32 v[18:19], v[10:11], v[32:33]
	v_mul_f64_e32 v[20:21], v[12:13], v[32:33]
	v_fma_f64 v[22:23], v[4:5], v[26:27], v[40:41]
	v_fma_f64 v[24:25], v[2:3], v[26:27], -v[28:29]
	ds_load_b128 v[2:5], v1 offset:1776
	v_add_f64_e32 v[6:7], v[14:15], v[6:7]
	v_add_f64_e32 v[8:9], v[16:17], v[8:9]
	v_fma_f64 v[12:13], v[12:13], v[30:31], v[18:19]
	v_fma_f64 v[10:11], v[10:11], v[30:31], -v[20:21]
	s_wait_loadcnt_dscnt 0x0
	v_mul_f64_e32 v[14:15], v[2:3], v[36:37]
	v_mul_f64_e32 v[16:17], v[4:5], v[36:37]
	v_add_f64_e32 v[6:7], v[6:7], v[24:25]
	v_add_f64_e32 v[8:9], v[8:9], v[22:23]
	s_delay_alu instid0(VALU_DEP_4) | instskip(NEXT) | instid1(VALU_DEP_4)
	v_fma_f64 v[4:5], v[4:5], v[34:35], v[14:15]
	v_fma_f64 v[2:3], v[2:3], v[34:35], -v[16:17]
	s_delay_alu instid0(VALU_DEP_4) | instskip(NEXT) | instid1(VALU_DEP_4)
	v_add_f64_e32 v[6:7], v[6:7], v[10:11]
	v_add_f64_e32 v[8:9], v[8:9], v[12:13]
	s_delay_alu instid0(VALU_DEP_2) | instskip(NEXT) | instid1(VALU_DEP_2)
	v_add_f64_e32 v[2:3], v[6:7], v[2:3]
	v_add_f64_e32 v[4:5], v[8:9], v[4:5]
	s_delay_alu instid0(VALU_DEP_2) | instskip(NEXT) | instid1(VALU_DEP_2)
	v_add_f64_e64 v[2:3], v[42:43], -v[2:3]
	v_add_f64_e64 v[4:5], v[44:45], -v[4:5]
	scratch_store_b128 off, v[2:5], off offset:112
	v_cmpx_lt_u32_e32 5, v0
	s_cbranch_execz .LBB55_339
; %bb.338:
	scratch_load_b128 v[5:8], off, s64
	v_dual_mov_b32 v2, v1 :: v_dual_mov_b32 v3, v1
	v_mov_b32_e32 v4, v1
	scratch_store_b128 off, v[1:4], off offset:96
	s_wait_loadcnt 0x0
	ds_store_b128 v158, v[5:8]
.LBB55_339:
	s_wait_alu 0xfffe
	s_or_b32 exec_lo, exec_lo, s0
	s_wait_storecnt_dscnt 0x0
	s_barrier_signal -1
	s_barrier_wait -1
	global_inv scope:SCOPE_SE
	s_clause 0x8
	scratch_load_b128 v[2:5], off, off offset:112
	scratch_load_b128 v[6:9], off, off offset:128
	;; [unrolled: 1-line block ×9, first 2 shown]
	ds_load_b128 v[42:45], v1 offset:992
	ds_load_b128 v[38:41], v1 offset:1008
	s_clause 0x1
	scratch_load_b128 v[159:162], off, off offset:96
	scratch_load_b128 v[163:166], off, off offset:256
	s_mov_b32 s0, exec_lo
	s_wait_loadcnt_dscnt 0xa01
	v_mul_f64_e32 v[167:168], v[44:45], v[4:5]
	v_mul_f64_e32 v[4:5], v[42:43], v[4:5]
	s_wait_loadcnt_dscnt 0x900
	v_mul_f64_e32 v[171:172], v[38:39], v[8:9]
	v_mul_f64_e32 v[8:9], v[40:41], v[8:9]
	s_delay_alu instid0(VALU_DEP_4) | instskip(NEXT) | instid1(VALU_DEP_4)
	v_fma_f64 v[173:174], v[42:43], v[2:3], -v[167:168]
	v_fma_f64 v[175:176], v[44:45], v[2:3], v[4:5]
	ds_load_b128 v[2:5], v1 offset:1024
	ds_load_b128 v[167:170], v1 offset:1040
	scratch_load_b128 v[42:45], off, off offset:272
	v_fma_f64 v[40:41], v[40:41], v[6:7], v[171:172]
	v_fma_f64 v[38:39], v[38:39], v[6:7], -v[8:9]
	scratch_load_b128 v[6:9], off, off offset:288
	s_wait_loadcnt_dscnt 0xa01
	v_mul_f64_e32 v[177:178], v[2:3], v[12:13]
	v_mul_f64_e32 v[12:13], v[4:5], v[12:13]
	v_add_f64_e32 v[171:172], 0, v[173:174]
	v_add_f64_e32 v[173:174], 0, v[175:176]
	s_wait_loadcnt_dscnt 0x900
	v_mul_f64_e32 v[175:176], v[167:168], v[16:17]
	v_mul_f64_e32 v[16:17], v[169:170], v[16:17]
	v_fma_f64 v[177:178], v[4:5], v[10:11], v[177:178]
	v_fma_f64 v[179:180], v[2:3], v[10:11], -v[12:13]
	ds_load_b128 v[2:5], v1 offset:1056
	scratch_load_b128 v[10:13], off, off offset:304
	v_add_f64_e32 v[171:172], v[171:172], v[38:39]
	v_add_f64_e32 v[173:174], v[173:174], v[40:41]
	ds_load_b128 v[38:41], v1 offset:1072
	v_fma_f64 v[169:170], v[169:170], v[14:15], v[175:176]
	v_fma_f64 v[167:168], v[167:168], v[14:15], -v[16:17]
	scratch_load_b128 v[14:17], off, off offset:320
	s_wait_loadcnt_dscnt 0xa01
	v_mul_f64_e32 v[181:182], v[2:3], v[20:21]
	v_mul_f64_e32 v[20:21], v[4:5], v[20:21]
	s_wait_loadcnt_dscnt 0x900
	v_mul_f64_e32 v[175:176], v[38:39], v[24:25]
	v_mul_f64_e32 v[24:25], v[40:41], v[24:25]
	v_add_f64_e32 v[171:172], v[171:172], v[179:180]
	v_add_f64_e32 v[173:174], v[173:174], v[177:178]
	v_fma_f64 v[177:178], v[4:5], v[18:19], v[181:182]
	v_fma_f64 v[179:180], v[2:3], v[18:19], -v[20:21]
	ds_load_b128 v[2:5], v1 offset:1088
	scratch_load_b128 v[18:21], off, off offset:336
	v_fma_f64 v[40:41], v[40:41], v[22:23], v[175:176]
	v_fma_f64 v[38:39], v[38:39], v[22:23], -v[24:25]
	scratch_load_b128 v[22:25], off, off offset:352
	v_add_f64_e32 v[171:172], v[171:172], v[167:168]
	v_add_f64_e32 v[173:174], v[173:174], v[169:170]
	ds_load_b128 v[167:170], v1 offset:1104
	s_wait_loadcnt_dscnt 0xa01
	v_mul_f64_e32 v[181:182], v[2:3], v[28:29]
	v_mul_f64_e32 v[28:29], v[4:5], v[28:29]
	s_wait_loadcnt_dscnt 0x900
	v_mul_f64_e32 v[175:176], v[167:168], v[32:33]
	v_mul_f64_e32 v[32:33], v[169:170], v[32:33]
	v_add_f64_e32 v[171:172], v[171:172], v[179:180]
	v_add_f64_e32 v[173:174], v[173:174], v[177:178]
	v_fma_f64 v[177:178], v[4:5], v[26:27], v[181:182]
	v_fma_f64 v[179:180], v[2:3], v[26:27], -v[28:29]
	ds_load_b128 v[2:5], v1 offset:1120
	scratch_load_b128 v[26:29], off, off offset:368
	v_fma_f64 v[169:170], v[169:170], v[30:31], v[175:176]
	v_fma_f64 v[167:168], v[167:168], v[30:31], -v[32:33]
	scratch_load_b128 v[30:33], off, off offset:384
	v_add_f64_e32 v[171:172], v[171:172], v[38:39]
	v_add_f64_e32 v[173:174], v[173:174], v[40:41]
	ds_load_b128 v[38:41], v1 offset:1136
	s_wait_loadcnt_dscnt 0xa01
	v_mul_f64_e32 v[181:182], v[2:3], v[36:37]
	v_mul_f64_e32 v[36:37], v[4:5], v[36:37]
	s_wait_loadcnt_dscnt 0x800
	v_mul_f64_e32 v[175:176], v[38:39], v[165:166]
	v_add_f64_e32 v[171:172], v[171:172], v[179:180]
	v_add_f64_e32 v[173:174], v[173:174], v[177:178]
	v_mul_f64_e32 v[177:178], v[40:41], v[165:166]
	v_fma_f64 v[179:180], v[4:5], v[34:35], v[181:182]
	v_fma_f64 v[181:182], v[2:3], v[34:35], -v[36:37]
	ds_load_b128 v[2:5], v1 offset:1152
	scratch_load_b128 v[34:37], off, off offset:400
	v_fma_f64 v[175:176], v[40:41], v[163:164], v[175:176]
	v_add_f64_e32 v[171:172], v[171:172], v[167:168]
	v_add_f64_e32 v[169:170], v[173:174], v[169:170]
	ds_load_b128 v[165:168], v1 offset:1168
	v_fma_f64 v[163:164], v[38:39], v[163:164], -v[177:178]
	scratch_load_b128 v[38:41], off, off offset:416
	s_wait_loadcnt_dscnt 0x901
	v_mul_f64_e32 v[173:174], v[2:3], v[44:45]
	v_mul_f64_e32 v[44:45], v[4:5], v[44:45]
	s_wait_loadcnt_dscnt 0x800
	v_mul_f64_e32 v[177:178], v[165:166], v[8:9]
	v_mul_f64_e32 v[8:9], v[167:168], v[8:9]
	v_add_f64_e32 v[171:172], v[171:172], v[181:182]
	v_add_f64_e32 v[169:170], v[169:170], v[179:180]
	v_fma_f64 v[173:174], v[4:5], v[42:43], v[173:174]
	v_fma_f64 v[179:180], v[2:3], v[42:43], -v[44:45]
	ds_load_b128 v[2:5], v1 offset:1184
	scratch_load_b128 v[42:45], off, off offset:432
	v_fma_f64 v[167:168], v[167:168], v[6:7], v[177:178]
	v_fma_f64 v[165:166], v[165:166], v[6:7], -v[8:9]
	scratch_load_b128 v[6:9], off, off offset:448
	v_add_f64_e32 v[163:164], v[171:172], v[163:164]
	v_add_f64_e32 v[175:176], v[169:170], v[175:176]
	ds_load_b128 v[169:172], v1 offset:1200
	s_wait_loadcnt_dscnt 0x901
	v_mul_f64_e32 v[181:182], v[2:3], v[12:13]
	v_mul_f64_e32 v[12:13], v[4:5], v[12:13]
	v_add_f64_e32 v[163:164], v[163:164], v[179:180]
	v_add_f64_e32 v[173:174], v[175:176], v[173:174]
	s_wait_loadcnt_dscnt 0x800
	v_mul_f64_e32 v[175:176], v[169:170], v[16:17]
	v_mul_f64_e32 v[16:17], v[171:172], v[16:17]
	v_fma_f64 v[177:178], v[4:5], v[10:11], v[181:182]
	v_fma_f64 v[179:180], v[2:3], v[10:11], -v[12:13]
	ds_load_b128 v[2:5], v1 offset:1216
	scratch_load_b128 v[10:13], off, off offset:464
	v_add_f64_e32 v[181:182], v[163:164], v[165:166]
	v_add_f64_e32 v[167:168], v[173:174], v[167:168]
	ds_load_b128 v[163:166], v1 offset:1232
	s_wait_loadcnt_dscnt 0x801
	v_mul_f64_e32 v[173:174], v[2:3], v[20:21]
	v_mul_f64_e32 v[20:21], v[4:5], v[20:21]
	v_fma_f64 v[171:172], v[171:172], v[14:15], v[175:176]
	v_fma_f64 v[169:170], v[169:170], v[14:15], -v[16:17]
	scratch_load_b128 v[14:17], off, off offset:480
	v_add_f64_e32 v[175:176], v[181:182], v[179:180]
	v_add_f64_e32 v[167:168], v[167:168], v[177:178]
	s_wait_loadcnt_dscnt 0x800
	v_mul_f64_e32 v[177:178], v[163:164], v[24:25]
	v_mul_f64_e32 v[24:25], v[165:166], v[24:25]
	v_fma_f64 v[173:174], v[4:5], v[18:19], v[173:174]
	v_fma_f64 v[179:180], v[2:3], v[18:19], -v[20:21]
	ds_load_b128 v[2:5], v1 offset:1248
	scratch_load_b128 v[18:21], off, off offset:496
	v_add_f64_e32 v[175:176], v[175:176], v[169:170]
	v_add_f64_e32 v[171:172], v[167:168], v[171:172]
	ds_load_b128 v[167:170], v1 offset:1264
	s_wait_loadcnt_dscnt 0x801
	v_mul_f64_e32 v[181:182], v[2:3], v[28:29]
	v_mul_f64_e32 v[28:29], v[4:5], v[28:29]
	v_fma_f64 v[165:166], v[165:166], v[22:23], v[177:178]
	v_fma_f64 v[163:164], v[163:164], v[22:23], -v[24:25]
	scratch_load_b128 v[22:25], off, off offset:512
	;; [unrolled: 18-line block ×4, first 2 shown]
	s_wait_loadcnt_dscnt 0x800
	v_mul_f64_e32 v[175:176], v[167:168], v[8:9]
	v_mul_f64_e32 v[8:9], v[169:170], v[8:9]
	v_add_f64_e32 v[173:174], v[173:174], v[179:180]
	v_add_f64_e32 v[171:172], v[171:172], v[177:178]
	v_fma_f64 v[177:178], v[4:5], v[42:43], v[181:182]
	v_fma_f64 v[179:180], v[2:3], v[42:43], -v[44:45]
	ds_load_b128 v[2:5], v1 offset:1344
	scratch_load_b128 v[42:45], off, off offset:592
	v_fma_f64 v[169:170], v[169:170], v[6:7], v[175:176]
	v_fma_f64 v[167:168], v[167:168], v[6:7], -v[8:9]
	scratch_load_b128 v[6:9], off, off offset:608
	v_add_f64_e32 v[173:174], v[173:174], v[163:164]
	v_add_f64_e32 v[171:172], v[171:172], v[165:166]
	ds_load_b128 v[163:166], v1 offset:1360
	s_wait_loadcnt_dscnt 0x901
	v_mul_f64_e32 v[181:182], v[2:3], v[12:13]
	v_mul_f64_e32 v[12:13], v[4:5], v[12:13]
	s_wait_loadcnt_dscnt 0x800
	v_mul_f64_e32 v[175:176], v[163:164], v[16:17]
	v_mul_f64_e32 v[16:17], v[165:166], v[16:17]
	v_add_f64_e32 v[173:174], v[173:174], v[179:180]
	v_add_f64_e32 v[171:172], v[171:172], v[177:178]
	v_fma_f64 v[177:178], v[4:5], v[10:11], v[181:182]
	v_fma_f64 v[179:180], v[2:3], v[10:11], -v[12:13]
	ds_load_b128 v[2:5], v1 offset:1376
	scratch_load_b128 v[10:13], off, off offset:624
	v_fma_f64 v[165:166], v[165:166], v[14:15], v[175:176]
	v_fma_f64 v[163:164], v[163:164], v[14:15], -v[16:17]
	scratch_load_b128 v[14:17], off, off offset:640
	v_add_f64_e32 v[173:174], v[173:174], v[167:168]
	v_add_f64_e32 v[171:172], v[171:172], v[169:170]
	ds_load_b128 v[167:170], v1 offset:1392
	s_wait_loadcnt_dscnt 0x901
	v_mul_f64_e32 v[181:182], v[2:3], v[20:21]
	v_mul_f64_e32 v[20:21], v[4:5], v[20:21]
	;; [unrolled: 18-line block ×10, first 2 shown]
	s_wait_loadcnt_dscnt 0x800
	v_mul_f64_e32 v[175:176], v[167:168], v[8:9]
	v_mul_f64_e32 v[8:9], v[169:170], v[8:9]
	v_add_f64_e32 v[173:174], v[173:174], v[179:180]
	v_add_f64_e32 v[171:172], v[171:172], v[177:178]
	v_fma_f64 v[177:178], v[4:5], v[42:43], v[181:182]
	v_fma_f64 v[179:180], v[2:3], v[42:43], -v[44:45]
	ds_load_b128 v[2:5], v1 offset:1664
	ds_load_b128 v[42:45], v1 offset:1680
	v_fma_f64 v[169:170], v[169:170], v[6:7], v[175:176]
	v_fma_f64 v[6:7], v[167:168], v[6:7], -v[8:9]
	v_add_f64_e32 v[163:164], v[173:174], v[163:164]
	v_add_f64_e32 v[165:166], v[171:172], v[165:166]
	s_wait_loadcnt_dscnt 0x701
	v_mul_f64_e32 v[171:172], v[2:3], v[12:13]
	v_mul_f64_e32 v[12:13], v[4:5], v[12:13]
	s_delay_alu instid0(VALU_DEP_4) | instskip(NEXT) | instid1(VALU_DEP_4)
	v_add_f64_e32 v[8:9], v[163:164], v[179:180]
	v_add_f64_e32 v[163:164], v[165:166], v[177:178]
	s_wait_loadcnt_dscnt 0x600
	v_mul_f64_e32 v[165:166], v[42:43], v[16:17]
	v_mul_f64_e32 v[16:17], v[44:45], v[16:17]
	v_fma_f64 v[167:168], v[4:5], v[10:11], v[171:172]
	v_fma_f64 v[10:11], v[2:3], v[10:11], -v[12:13]
	v_add_f64_e32 v[12:13], v[8:9], v[6:7]
	v_add_f64_e32 v[163:164], v[163:164], v[169:170]
	ds_load_b128 v[2:5], v1 offset:1696
	ds_load_b128 v[6:9], v1 offset:1712
	v_fma_f64 v[44:45], v[44:45], v[14:15], v[165:166]
	v_fma_f64 v[14:15], v[42:43], v[14:15], -v[16:17]
	s_wait_loadcnt_dscnt 0x501
	v_mul_f64_e32 v[169:170], v[2:3], v[20:21]
	v_mul_f64_e32 v[20:21], v[4:5], v[20:21]
	s_wait_loadcnt_dscnt 0x400
	v_mul_f64_e32 v[16:17], v[6:7], v[24:25]
	v_mul_f64_e32 v[24:25], v[8:9], v[24:25]
	v_add_f64_e32 v[10:11], v[12:13], v[10:11]
	v_add_f64_e32 v[12:13], v[163:164], v[167:168]
	v_fma_f64 v[42:43], v[4:5], v[18:19], v[169:170]
	v_fma_f64 v[18:19], v[2:3], v[18:19], -v[20:21]
	v_fma_f64 v[8:9], v[8:9], v[22:23], v[16:17]
	v_fma_f64 v[6:7], v[6:7], v[22:23], -v[24:25]
	v_add_f64_e32 v[14:15], v[10:11], v[14:15]
	v_add_f64_e32 v[20:21], v[12:13], v[44:45]
	ds_load_b128 v[2:5], v1 offset:1728
	ds_load_b128 v[10:13], v1 offset:1744
	s_wait_loadcnt_dscnt 0x301
	v_mul_f64_e32 v[44:45], v[2:3], v[28:29]
	v_mul_f64_e32 v[28:29], v[4:5], v[28:29]
	v_add_f64_e32 v[14:15], v[14:15], v[18:19]
	v_add_f64_e32 v[16:17], v[20:21], v[42:43]
	s_wait_loadcnt_dscnt 0x200
	v_mul_f64_e32 v[18:19], v[10:11], v[32:33]
	v_mul_f64_e32 v[20:21], v[12:13], v[32:33]
	v_fma_f64 v[22:23], v[4:5], v[26:27], v[44:45]
	v_fma_f64 v[24:25], v[2:3], v[26:27], -v[28:29]
	v_add_f64_e32 v[14:15], v[14:15], v[6:7]
	v_add_f64_e32 v[16:17], v[16:17], v[8:9]
	ds_load_b128 v[2:5], v1 offset:1760
	ds_load_b128 v[6:9], v1 offset:1776
	v_fma_f64 v[12:13], v[12:13], v[30:31], v[18:19]
	v_fma_f64 v[10:11], v[10:11], v[30:31], -v[20:21]
	s_wait_loadcnt_dscnt 0x101
	v_mul_f64_e32 v[26:27], v[2:3], v[36:37]
	v_mul_f64_e32 v[28:29], v[4:5], v[36:37]
	s_wait_loadcnt_dscnt 0x0
	v_mul_f64_e32 v[18:19], v[6:7], v[40:41]
	v_mul_f64_e32 v[20:21], v[8:9], v[40:41]
	v_add_f64_e32 v[14:15], v[14:15], v[24:25]
	v_add_f64_e32 v[16:17], v[16:17], v[22:23]
	v_fma_f64 v[4:5], v[4:5], v[34:35], v[26:27]
	v_fma_f64 v[1:2], v[2:3], v[34:35], -v[28:29]
	v_fma_f64 v[8:9], v[8:9], v[38:39], v[18:19]
	v_fma_f64 v[6:7], v[6:7], v[38:39], -v[20:21]
	v_add_f64_e32 v[10:11], v[14:15], v[10:11]
	v_add_f64_e32 v[12:13], v[16:17], v[12:13]
	s_delay_alu instid0(VALU_DEP_2) | instskip(NEXT) | instid1(VALU_DEP_2)
	v_add_f64_e32 v[1:2], v[10:11], v[1:2]
	v_add_f64_e32 v[3:4], v[12:13], v[4:5]
	s_delay_alu instid0(VALU_DEP_2) | instskip(NEXT) | instid1(VALU_DEP_2)
	;; [unrolled: 3-line block ×3, first 2 shown]
	v_add_f64_e64 v[1:2], v[159:160], -v[1:2]
	v_add_f64_e64 v[3:4], v[161:162], -v[3:4]
	scratch_store_b128 off, v[1:4], off offset:96
	v_cmpx_lt_u32_e32 4, v0
	s_cbranch_execz .LBB55_341
; %bb.340:
	scratch_load_b128 v[1:4], off, s47
	v_mov_b32_e32 v5, 0
	s_delay_alu instid0(VALU_DEP_1)
	v_dual_mov_b32 v6, v5 :: v_dual_mov_b32 v7, v5
	v_mov_b32_e32 v8, v5
	scratch_store_b128 off, v[5:8], off offset:80
	s_wait_loadcnt 0x0
	ds_store_b128 v158, v[1:4]
.LBB55_341:
	s_wait_alu 0xfffe
	s_or_b32 exec_lo, exec_lo, s0
	s_wait_storecnt_dscnt 0x0
	s_barrier_signal -1
	s_barrier_wait -1
	global_inv scope:SCOPE_SE
	s_clause 0x7
	scratch_load_b128 v[2:5], off, off offset:96
	scratch_load_b128 v[6:9], off, off offset:112
	;; [unrolled: 1-line block ×8, first 2 shown]
	v_mov_b32_e32 v1, 0
	s_mov_b32 s0, exec_lo
	ds_load_b128 v[38:41], v1 offset:976
	s_clause 0x1
	scratch_load_b128 v[34:37], off, off offset:224
	scratch_load_b128 v[42:45], off, off offset:80
	ds_load_b128 v[159:162], v1 offset:992
	scratch_load_b128 v[163:166], off, off offset:240
	s_wait_loadcnt_dscnt 0xa01
	v_mul_f64_e32 v[167:168], v[40:41], v[4:5]
	v_mul_f64_e32 v[4:5], v[38:39], v[4:5]
	s_delay_alu instid0(VALU_DEP_2) | instskip(NEXT) | instid1(VALU_DEP_2)
	v_fma_f64 v[173:174], v[38:39], v[2:3], -v[167:168]
	v_fma_f64 v[175:176], v[40:41], v[2:3], v[4:5]
	ds_load_b128 v[2:5], v1 offset:1008
	s_wait_loadcnt_dscnt 0x901
	v_mul_f64_e32 v[171:172], v[159:160], v[8:9]
	v_mul_f64_e32 v[8:9], v[161:162], v[8:9]
	scratch_load_b128 v[38:41], off, off offset:256
	ds_load_b128 v[167:170], v1 offset:1024
	s_wait_loadcnt_dscnt 0x901
	v_mul_f64_e32 v[177:178], v[2:3], v[12:13]
	v_mul_f64_e32 v[12:13], v[4:5], v[12:13]
	v_fma_f64 v[161:162], v[161:162], v[6:7], v[171:172]
	v_fma_f64 v[159:160], v[159:160], v[6:7], -v[8:9]
	v_add_f64_e32 v[171:172], 0, v[173:174]
	v_add_f64_e32 v[173:174], 0, v[175:176]
	scratch_load_b128 v[6:9], off, off offset:272
	v_fma_f64 v[177:178], v[4:5], v[10:11], v[177:178]
	v_fma_f64 v[179:180], v[2:3], v[10:11], -v[12:13]
	ds_load_b128 v[2:5], v1 offset:1040
	s_wait_loadcnt_dscnt 0x901
	v_mul_f64_e32 v[175:176], v[167:168], v[16:17]
	v_mul_f64_e32 v[16:17], v[169:170], v[16:17]
	scratch_load_b128 v[10:13], off, off offset:288
	v_add_f64_e32 v[171:172], v[171:172], v[159:160]
	v_add_f64_e32 v[173:174], v[173:174], v[161:162]
	s_wait_loadcnt_dscnt 0x900
	v_mul_f64_e32 v[181:182], v[2:3], v[20:21]
	v_mul_f64_e32 v[20:21], v[4:5], v[20:21]
	ds_load_b128 v[159:162], v1 offset:1056
	v_fma_f64 v[169:170], v[169:170], v[14:15], v[175:176]
	v_fma_f64 v[167:168], v[167:168], v[14:15], -v[16:17]
	scratch_load_b128 v[14:17], off, off offset:304
	v_add_f64_e32 v[171:172], v[171:172], v[179:180]
	v_add_f64_e32 v[173:174], v[173:174], v[177:178]
	v_fma_f64 v[177:178], v[4:5], v[18:19], v[181:182]
	v_fma_f64 v[179:180], v[2:3], v[18:19], -v[20:21]
	ds_load_b128 v[2:5], v1 offset:1072
	s_wait_loadcnt_dscnt 0x901
	v_mul_f64_e32 v[175:176], v[159:160], v[24:25]
	v_mul_f64_e32 v[24:25], v[161:162], v[24:25]
	scratch_load_b128 v[18:21], off, off offset:320
	s_wait_loadcnt_dscnt 0x900
	v_mul_f64_e32 v[181:182], v[2:3], v[28:29]
	v_mul_f64_e32 v[28:29], v[4:5], v[28:29]
	v_add_f64_e32 v[171:172], v[171:172], v[167:168]
	v_add_f64_e32 v[173:174], v[173:174], v[169:170]
	ds_load_b128 v[167:170], v1 offset:1088
	v_fma_f64 v[161:162], v[161:162], v[22:23], v[175:176]
	v_fma_f64 v[159:160], v[159:160], v[22:23], -v[24:25]
	scratch_load_b128 v[22:25], off, off offset:336
	v_add_f64_e32 v[171:172], v[171:172], v[179:180]
	v_add_f64_e32 v[173:174], v[173:174], v[177:178]
	v_fma_f64 v[177:178], v[4:5], v[26:27], v[181:182]
	v_fma_f64 v[179:180], v[2:3], v[26:27], -v[28:29]
	ds_load_b128 v[2:5], v1 offset:1104
	s_wait_loadcnt_dscnt 0x901
	v_mul_f64_e32 v[175:176], v[167:168], v[32:33]
	v_mul_f64_e32 v[32:33], v[169:170], v[32:33]
	scratch_load_b128 v[26:29], off, off offset:352
	s_wait_loadcnt_dscnt 0x900
	v_mul_f64_e32 v[181:182], v[2:3], v[36:37]
	v_mul_f64_e32 v[36:37], v[4:5], v[36:37]
	v_add_f64_e32 v[171:172], v[171:172], v[159:160]
	v_add_f64_e32 v[173:174], v[173:174], v[161:162]
	ds_load_b128 v[159:162], v1 offset:1120
	v_fma_f64 v[169:170], v[169:170], v[30:31], v[175:176]
	v_fma_f64 v[167:168], v[167:168], v[30:31], -v[32:33]
	scratch_load_b128 v[30:33], off, off offset:368
	v_add_f64_e32 v[171:172], v[171:172], v[179:180]
	v_add_f64_e32 v[173:174], v[173:174], v[177:178]
	v_fma_f64 v[179:180], v[4:5], v[34:35], v[181:182]
	v_fma_f64 v[181:182], v[2:3], v[34:35], -v[36:37]
	ds_load_b128 v[2:5], v1 offset:1136
	s_wait_loadcnt_dscnt 0x801
	v_mul_f64_e32 v[175:176], v[159:160], v[165:166]
	v_mul_f64_e32 v[177:178], v[161:162], v[165:166]
	scratch_load_b128 v[34:37], off, off offset:384
	v_add_f64_e32 v[171:172], v[171:172], v[167:168]
	v_add_f64_e32 v[169:170], v[173:174], v[169:170]
	ds_load_b128 v[165:168], v1 offset:1152
	v_fma_f64 v[175:176], v[161:162], v[163:164], v[175:176]
	v_fma_f64 v[163:164], v[159:160], v[163:164], -v[177:178]
	scratch_load_b128 v[159:162], off, off offset:400
	s_wait_loadcnt_dscnt 0x901
	v_mul_f64_e32 v[173:174], v[2:3], v[40:41]
	v_mul_f64_e32 v[40:41], v[4:5], v[40:41]
	v_add_f64_e32 v[171:172], v[171:172], v[181:182]
	v_add_f64_e32 v[169:170], v[169:170], v[179:180]
	s_delay_alu instid0(VALU_DEP_4) | instskip(NEXT) | instid1(VALU_DEP_4)
	v_fma_f64 v[173:174], v[4:5], v[38:39], v[173:174]
	v_fma_f64 v[179:180], v[2:3], v[38:39], -v[40:41]
	ds_load_b128 v[2:5], v1 offset:1168
	s_wait_loadcnt_dscnt 0x801
	v_mul_f64_e32 v[177:178], v[165:166], v[8:9]
	v_mul_f64_e32 v[8:9], v[167:168], v[8:9]
	scratch_load_b128 v[38:41], off, off offset:416
	s_wait_loadcnt_dscnt 0x800
	v_mul_f64_e32 v[181:182], v[2:3], v[12:13]
	v_add_f64_e32 v[163:164], v[171:172], v[163:164]
	v_add_f64_e32 v[175:176], v[169:170], v[175:176]
	v_mul_f64_e32 v[12:13], v[4:5], v[12:13]
	ds_load_b128 v[169:172], v1 offset:1184
	v_fma_f64 v[167:168], v[167:168], v[6:7], v[177:178]
	v_fma_f64 v[165:166], v[165:166], v[6:7], -v[8:9]
	scratch_load_b128 v[6:9], off, off offset:432
	v_fma_f64 v[177:178], v[4:5], v[10:11], v[181:182]
	v_add_f64_e32 v[163:164], v[163:164], v[179:180]
	v_add_f64_e32 v[173:174], v[175:176], v[173:174]
	v_fma_f64 v[179:180], v[2:3], v[10:11], -v[12:13]
	ds_load_b128 v[2:5], v1 offset:1200
	s_wait_loadcnt_dscnt 0x801
	v_mul_f64_e32 v[175:176], v[169:170], v[16:17]
	v_mul_f64_e32 v[16:17], v[171:172], v[16:17]
	scratch_load_b128 v[10:13], off, off offset:448
	v_add_f64_e32 v[181:182], v[163:164], v[165:166]
	v_add_f64_e32 v[167:168], v[173:174], v[167:168]
	s_wait_loadcnt_dscnt 0x800
	v_mul_f64_e32 v[173:174], v[2:3], v[20:21]
	v_mul_f64_e32 v[20:21], v[4:5], v[20:21]
	v_fma_f64 v[171:172], v[171:172], v[14:15], v[175:176]
	v_fma_f64 v[169:170], v[169:170], v[14:15], -v[16:17]
	ds_load_b128 v[163:166], v1 offset:1216
	scratch_load_b128 v[14:17], off, off offset:464
	v_add_f64_e32 v[175:176], v[181:182], v[179:180]
	v_add_f64_e32 v[167:168], v[167:168], v[177:178]
	v_fma_f64 v[173:174], v[4:5], v[18:19], v[173:174]
	v_fma_f64 v[179:180], v[2:3], v[18:19], -v[20:21]
	ds_load_b128 v[2:5], v1 offset:1232
	s_wait_loadcnt_dscnt 0x801
	v_mul_f64_e32 v[177:178], v[163:164], v[24:25]
	v_mul_f64_e32 v[24:25], v[165:166], v[24:25]
	scratch_load_b128 v[18:21], off, off offset:480
	s_wait_loadcnt_dscnt 0x800
	v_mul_f64_e32 v[181:182], v[2:3], v[28:29]
	v_mul_f64_e32 v[28:29], v[4:5], v[28:29]
	v_add_f64_e32 v[175:176], v[175:176], v[169:170]
	v_add_f64_e32 v[171:172], v[167:168], v[171:172]
	ds_load_b128 v[167:170], v1 offset:1248
	v_fma_f64 v[165:166], v[165:166], v[22:23], v[177:178]
	v_fma_f64 v[163:164], v[163:164], v[22:23], -v[24:25]
	scratch_load_b128 v[22:25], off, off offset:496
	v_fma_f64 v[177:178], v[4:5], v[26:27], v[181:182]
	v_add_f64_e32 v[175:176], v[175:176], v[179:180]
	v_add_f64_e32 v[171:172], v[171:172], v[173:174]
	v_fma_f64 v[179:180], v[2:3], v[26:27], -v[28:29]
	ds_load_b128 v[2:5], v1 offset:1264
	s_wait_loadcnt_dscnt 0x801
	v_mul_f64_e32 v[173:174], v[167:168], v[32:33]
	v_mul_f64_e32 v[32:33], v[169:170], v[32:33]
	scratch_load_b128 v[26:29], off, off offset:512
	s_wait_loadcnt_dscnt 0x800
	v_mul_f64_e32 v[181:182], v[2:3], v[36:37]
	v_mul_f64_e32 v[36:37], v[4:5], v[36:37]
	v_add_f64_e32 v[175:176], v[175:176], v[163:164]
	v_add_f64_e32 v[171:172], v[171:172], v[165:166]
	ds_load_b128 v[163:166], v1 offset:1280
	v_fma_f64 v[169:170], v[169:170], v[30:31], v[173:174]
	v_fma_f64 v[167:168], v[167:168], v[30:31], -v[32:33]
	scratch_load_b128 v[30:33], off, off offset:528
	v_add_f64_e32 v[173:174], v[175:176], v[179:180]
	v_add_f64_e32 v[171:172], v[171:172], v[177:178]
	v_fma_f64 v[177:178], v[4:5], v[34:35], v[181:182]
	v_fma_f64 v[179:180], v[2:3], v[34:35], -v[36:37]
	ds_load_b128 v[2:5], v1 offset:1296
	s_wait_loadcnt_dscnt 0x801
	v_mul_f64_e32 v[175:176], v[163:164], v[161:162]
	v_mul_f64_e32 v[161:162], v[165:166], v[161:162]
	scratch_load_b128 v[34:37], off, off offset:544
	s_wait_loadcnt_dscnt 0x800
	v_mul_f64_e32 v[181:182], v[2:3], v[40:41]
	v_mul_f64_e32 v[40:41], v[4:5], v[40:41]
	v_add_f64_e32 v[173:174], v[173:174], v[167:168]
	v_add_f64_e32 v[171:172], v[171:172], v[169:170]
	ds_load_b128 v[167:170], v1 offset:1312
	v_fma_f64 v[165:166], v[165:166], v[159:160], v[175:176]
	v_fma_f64 v[163:164], v[163:164], v[159:160], -v[161:162]
	scratch_load_b128 v[159:162], off, off offset:560
	v_add_f64_e32 v[173:174], v[173:174], v[179:180]
	v_add_f64_e32 v[171:172], v[171:172], v[177:178]
	v_fma_f64 v[177:178], v[4:5], v[38:39], v[181:182]
	;; [unrolled: 18-line block ×6, first 2 shown]
	v_fma_f64 v[181:182], v[2:3], v[34:35], -v[36:37]
	ds_load_b128 v[2:5], v1 offset:1456
	s_wait_loadcnt_dscnt 0x801
	v_mul_f64_e32 v[175:176], v[167:168], v[161:162]
	v_mul_f64_e32 v[177:178], v[169:170], v[161:162]
	scratch_load_b128 v[34:37], off, off offset:704
	v_add_f64_e32 v[173:174], v[173:174], v[163:164]
	v_add_f64_e32 v[165:166], v[171:172], v[165:166]
	s_wait_loadcnt_dscnt 0x800
	v_mul_f64_e32 v[171:172], v[2:3], v[40:41]
	v_mul_f64_e32 v[40:41], v[4:5], v[40:41]
	ds_load_b128 v[161:164], v1 offset:1472
	v_fma_f64 v[169:170], v[169:170], v[159:160], v[175:176]
	v_fma_f64 v[159:160], v[167:168], v[159:160], -v[177:178]
	v_add_f64_e32 v[173:174], v[173:174], v[181:182]
	v_add_f64_e32 v[175:176], v[165:166], v[179:180]
	scratch_load_b128 v[165:168], off, off offset:720
	v_fma_f64 v[179:180], v[4:5], v[38:39], v[171:172]
	v_fma_f64 v[181:182], v[2:3], v[38:39], -v[40:41]
	ds_load_b128 v[2:5], v1 offset:1488
	s_wait_loadcnt_dscnt 0x801
	v_mul_f64_e32 v[177:178], v[161:162], v[8:9]
	v_mul_f64_e32 v[8:9], v[163:164], v[8:9]
	scratch_load_b128 v[38:41], off, off offset:736
	v_add_f64_e32 v[159:160], v[173:174], v[159:160]
	v_add_f64_e32 v[173:174], v[175:176], v[169:170]
	s_wait_loadcnt_dscnt 0x800
	v_mul_f64_e32 v[175:176], v[2:3], v[12:13]
	v_mul_f64_e32 v[12:13], v[4:5], v[12:13]
	ds_load_b128 v[169:172], v1 offset:1504
	v_fma_f64 v[163:164], v[163:164], v[6:7], v[177:178]
	v_fma_f64 v[161:162], v[161:162], v[6:7], -v[8:9]
	scratch_load_b128 v[6:9], off, off offset:752
	v_add_f64_e32 v[159:160], v[159:160], v[181:182]
	v_add_f64_e32 v[173:174], v[173:174], v[179:180]
	v_fma_f64 v[175:176], v[4:5], v[10:11], v[175:176]
	v_fma_f64 v[179:180], v[2:3], v[10:11], -v[12:13]
	ds_load_b128 v[2:5], v1 offset:1520
	s_wait_loadcnt_dscnt 0x801
	v_mul_f64_e32 v[177:178], v[169:170], v[16:17]
	v_mul_f64_e32 v[16:17], v[171:172], v[16:17]
	scratch_load_b128 v[10:13], off, off offset:768
	v_add_f64_e32 v[181:182], v[159:160], v[161:162]
	v_add_f64_e32 v[163:164], v[173:174], v[163:164]
	s_wait_loadcnt_dscnt 0x800
	v_mul_f64_e32 v[173:174], v[2:3], v[20:21]
	v_mul_f64_e32 v[20:21], v[4:5], v[20:21]
	ds_load_b128 v[159:162], v1 offset:1536
	v_fma_f64 v[171:172], v[171:172], v[14:15], v[177:178]
	v_fma_f64 v[169:170], v[169:170], v[14:15], -v[16:17]
	scratch_load_b128 v[14:17], off, off offset:784
	v_add_f64_e32 v[177:178], v[181:182], v[179:180]
	v_add_f64_e32 v[163:164], v[163:164], v[175:176]
	v_fma_f64 v[173:174], v[4:5], v[18:19], v[173:174]
	v_fma_f64 v[179:180], v[2:3], v[18:19], -v[20:21]
	ds_load_b128 v[2:5], v1 offset:1552
	s_wait_loadcnt_dscnt 0x801
	v_mul_f64_e32 v[175:176], v[159:160], v[24:25]
	v_mul_f64_e32 v[24:25], v[161:162], v[24:25]
	scratch_load_b128 v[18:21], off, off offset:800
	s_wait_loadcnt_dscnt 0x800
	v_mul_f64_e32 v[181:182], v[2:3], v[28:29]
	v_mul_f64_e32 v[28:29], v[4:5], v[28:29]
	v_add_f64_e32 v[177:178], v[177:178], v[169:170]
	v_add_f64_e32 v[163:164], v[163:164], v[171:172]
	ds_load_b128 v[169:172], v1 offset:1568
	v_fma_f64 v[161:162], v[161:162], v[22:23], v[175:176]
	v_fma_f64 v[159:160], v[159:160], v[22:23], -v[24:25]
	scratch_load_b128 v[22:25], off, off offset:816
	v_add_f64_e32 v[175:176], v[177:178], v[179:180]
	v_add_f64_e32 v[163:164], v[163:164], v[173:174]
	v_fma_f64 v[177:178], v[4:5], v[26:27], v[181:182]
	v_fma_f64 v[179:180], v[2:3], v[26:27], -v[28:29]
	ds_load_b128 v[2:5], v1 offset:1584
	s_wait_loadcnt_dscnt 0x801
	v_mul_f64_e32 v[173:174], v[169:170], v[32:33]
	v_mul_f64_e32 v[32:33], v[171:172], v[32:33]
	scratch_load_b128 v[26:29], off, off offset:832
	s_wait_loadcnt_dscnt 0x800
	v_mul_f64_e32 v[181:182], v[2:3], v[36:37]
	v_mul_f64_e32 v[36:37], v[4:5], v[36:37]
	v_add_f64_e32 v[175:176], v[175:176], v[159:160]
	v_add_f64_e32 v[163:164], v[163:164], v[161:162]
	ds_load_b128 v[159:162], v1 offset:1600
	v_fma_f64 v[171:172], v[171:172], v[30:31], v[173:174]
	v_fma_f64 v[169:170], v[169:170], v[30:31], -v[32:33]
	scratch_load_b128 v[30:33], off, off offset:848
	v_add_f64_e32 v[173:174], v[175:176], v[179:180]
	v_add_f64_e32 v[163:164], v[163:164], v[177:178]
	v_fma_f64 v[179:180], v[4:5], v[34:35], v[181:182]
	v_fma_f64 v[181:182], v[2:3], v[34:35], -v[36:37]
	ds_load_b128 v[2:5], v1 offset:1616
	scratch_load_b128 v[34:37], off, off offset:864
	s_wait_loadcnt_dscnt 0x901
	v_mul_f64_e32 v[175:176], v[159:160], v[167:168]
	v_mul_f64_e32 v[177:178], v[161:162], v[167:168]
	v_add_f64_e32 v[173:174], v[173:174], v[169:170]
	v_add_f64_e32 v[163:164], v[163:164], v[171:172]
	s_wait_loadcnt_dscnt 0x800
	v_mul_f64_e32 v[171:172], v[2:3], v[40:41]
	v_mul_f64_e32 v[40:41], v[4:5], v[40:41]
	ds_load_b128 v[167:170], v1 offset:1632
	v_fma_f64 v[175:176], v[161:162], v[165:166], v[175:176]
	v_fma_f64 v[165:166], v[159:160], v[165:166], -v[177:178]
	scratch_load_b128 v[159:162], off, off offset:880
	v_add_f64_e32 v[173:174], v[173:174], v[181:182]
	v_add_f64_e32 v[163:164], v[163:164], v[179:180]
	v_fma_f64 v[171:172], v[4:5], v[38:39], v[171:172]
	v_fma_f64 v[179:180], v[2:3], v[38:39], -v[40:41]
	ds_load_b128 v[2:5], v1 offset:1648
	s_wait_loadcnt_dscnt 0x801
	v_mul_f64_e32 v[177:178], v[167:168], v[8:9]
	v_mul_f64_e32 v[8:9], v[169:170], v[8:9]
	scratch_load_b128 v[38:41], off, off offset:896
	s_wait_loadcnt_dscnt 0x800
	v_mul_f64_e32 v[181:182], v[2:3], v[12:13]
	v_mul_f64_e32 v[12:13], v[4:5], v[12:13]
	v_add_f64_e32 v[173:174], v[173:174], v[165:166]
	v_add_f64_e32 v[175:176], v[163:164], v[175:176]
	ds_load_b128 v[163:166], v1 offset:1664
	v_fma_f64 v[169:170], v[169:170], v[6:7], v[177:178]
	v_fma_f64 v[6:7], v[167:168], v[6:7], -v[8:9]
	v_add_f64_e32 v[8:9], v[173:174], v[179:180]
	v_add_f64_e32 v[167:168], v[175:176], v[171:172]
	s_wait_loadcnt_dscnt 0x700
	v_mul_f64_e32 v[171:172], v[163:164], v[16:17]
	v_mul_f64_e32 v[16:17], v[165:166], v[16:17]
	v_fma_f64 v[173:174], v[4:5], v[10:11], v[181:182]
	v_fma_f64 v[10:11], v[2:3], v[10:11], -v[12:13]
	v_add_f64_e32 v[12:13], v[8:9], v[6:7]
	v_add_f64_e32 v[167:168], v[167:168], v[169:170]
	ds_load_b128 v[2:5], v1 offset:1680
	ds_load_b128 v[6:9], v1 offset:1696
	v_fma_f64 v[165:166], v[165:166], v[14:15], v[171:172]
	v_fma_f64 v[14:15], v[163:164], v[14:15], -v[16:17]
	s_wait_loadcnt_dscnt 0x601
	v_mul_f64_e32 v[169:170], v[2:3], v[20:21]
	v_mul_f64_e32 v[20:21], v[4:5], v[20:21]
	s_wait_loadcnt_dscnt 0x500
	v_mul_f64_e32 v[16:17], v[6:7], v[24:25]
	v_mul_f64_e32 v[24:25], v[8:9], v[24:25]
	v_add_f64_e32 v[10:11], v[12:13], v[10:11]
	v_add_f64_e32 v[12:13], v[167:168], v[173:174]
	v_fma_f64 v[163:164], v[4:5], v[18:19], v[169:170]
	v_fma_f64 v[18:19], v[2:3], v[18:19], -v[20:21]
	v_fma_f64 v[8:9], v[8:9], v[22:23], v[16:17]
	v_fma_f64 v[6:7], v[6:7], v[22:23], -v[24:25]
	v_add_f64_e32 v[14:15], v[10:11], v[14:15]
	v_add_f64_e32 v[20:21], v[12:13], v[165:166]
	ds_load_b128 v[2:5], v1 offset:1712
	ds_load_b128 v[10:13], v1 offset:1728
	s_wait_loadcnt_dscnt 0x401
	v_mul_f64_e32 v[165:166], v[2:3], v[28:29]
	v_mul_f64_e32 v[28:29], v[4:5], v[28:29]
	v_add_f64_e32 v[14:15], v[14:15], v[18:19]
	v_add_f64_e32 v[16:17], v[20:21], v[163:164]
	s_wait_loadcnt_dscnt 0x300
	v_mul_f64_e32 v[18:19], v[10:11], v[32:33]
	v_mul_f64_e32 v[20:21], v[12:13], v[32:33]
	v_fma_f64 v[22:23], v[4:5], v[26:27], v[165:166]
	v_fma_f64 v[24:25], v[2:3], v[26:27], -v[28:29]
	v_add_f64_e32 v[14:15], v[14:15], v[6:7]
	v_add_f64_e32 v[16:17], v[16:17], v[8:9]
	ds_load_b128 v[2:5], v1 offset:1744
	ds_load_b128 v[6:9], v1 offset:1760
	v_fma_f64 v[12:13], v[12:13], v[30:31], v[18:19]
	v_fma_f64 v[10:11], v[10:11], v[30:31], -v[20:21]
	s_wait_loadcnt_dscnt 0x201
	v_mul_f64_e32 v[26:27], v[2:3], v[36:37]
	v_mul_f64_e32 v[28:29], v[4:5], v[36:37]
	s_wait_loadcnt_dscnt 0x100
	v_mul_f64_e32 v[18:19], v[6:7], v[161:162]
	v_mul_f64_e32 v[20:21], v[8:9], v[161:162]
	v_add_f64_e32 v[14:15], v[14:15], v[24:25]
	v_add_f64_e32 v[16:17], v[16:17], v[22:23]
	v_fma_f64 v[22:23], v[4:5], v[34:35], v[26:27]
	v_fma_f64 v[24:25], v[2:3], v[34:35], -v[28:29]
	ds_load_b128 v[2:5], v1 offset:1776
	v_fma_f64 v[8:9], v[8:9], v[159:160], v[18:19]
	v_fma_f64 v[6:7], v[6:7], v[159:160], -v[20:21]
	v_add_f64_e32 v[10:11], v[14:15], v[10:11]
	v_add_f64_e32 v[12:13], v[16:17], v[12:13]
	s_wait_loadcnt_dscnt 0x0
	v_mul_f64_e32 v[14:15], v[2:3], v[40:41]
	v_mul_f64_e32 v[16:17], v[4:5], v[40:41]
	s_delay_alu instid0(VALU_DEP_4) | instskip(NEXT) | instid1(VALU_DEP_4)
	v_add_f64_e32 v[10:11], v[10:11], v[24:25]
	v_add_f64_e32 v[12:13], v[12:13], v[22:23]
	s_delay_alu instid0(VALU_DEP_4) | instskip(NEXT) | instid1(VALU_DEP_4)
	v_fma_f64 v[4:5], v[4:5], v[38:39], v[14:15]
	v_fma_f64 v[2:3], v[2:3], v[38:39], -v[16:17]
	s_delay_alu instid0(VALU_DEP_4) | instskip(NEXT) | instid1(VALU_DEP_4)
	v_add_f64_e32 v[6:7], v[10:11], v[6:7]
	v_add_f64_e32 v[8:9], v[12:13], v[8:9]
	s_delay_alu instid0(VALU_DEP_2) | instskip(NEXT) | instid1(VALU_DEP_2)
	v_add_f64_e32 v[2:3], v[6:7], v[2:3]
	v_add_f64_e32 v[4:5], v[8:9], v[4:5]
	s_delay_alu instid0(VALU_DEP_2) | instskip(NEXT) | instid1(VALU_DEP_2)
	v_add_f64_e64 v[2:3], v[42:43], -v[2:3]
	v_add_f64_e64 v[4:5], v[44:45], -v[4:5]
	scratch_store_b128 off, v[2:5], off offset:80
	v_cmpx_lt_u32_e32 3, v0
	s_cbranch_execz .LBB55_343
; %bb.342:
	scratch_load_b128 v[5:8], off, s48
	v_dual_mov_b32 v2, v1 :: v_dual_mov_b32 v3, v1
	v_mov_b32_e32 v4, v1
	scratch_store_b128 off, v[1:4], off offset:64
	s_wait_loadcnt 0x0
	ds_store_b128 v158, v[5:8]
.LBB55_343:
	s_wait_alu 0xfffe
	s_or_b32 exec_lo, exec_lo, s0
	s_wait_storecnt_dscnt 0x0
	s_barrier_signal -1
	s_barrier_wait -1
	global_inv scope:SCOPE_SE
	s_clause 0x8
	scratch_load_b128 v[2:5], off, off offset:80
	scratch_load_b128 v[6:9], off, off offset:96
	;; [unrolled: 1-line block ×9, first 2 shown]
	ds_load_b128 v[42:45], v1 offset:960
	ds_load_b128 v[38:41], v1 offset:976
	s_clause 0x1
	scratch_load_b128 v[159:162], off, off offset:64
	scratch_load_b128 v[163:166], off, off offset:224
	s_mov_b32 s0, exec_lo
	s_wait_loadcnt_dscnt 0xa01
	v_mul_f64_e32 v[167:168], v[44:45], v[4:5]
	v_mul_f64_e32 v[4:5], v[42:43], v[4:5]
	s_wait_loadcnt_dscnt 0x900
	v_mul_f64_e32 v[171:172], v[38:39], v[8:9]
	v_mul_f64_e32 v[8:9], v[40:41], v[8:9]
	s_delay_alu instid0(VALU_DEP_4) | instskip(NEXT) | instid1(VALU_DEP_4)
	v_fma_f64 v[173:174], v[42:43], v[2:3], -v[167:168]
	v_fma_f64 v[175:176], v[44:45], v[2:3], v[4:5]
	ds_load_b128 v[2:5], v1 offset:992
	ds_load_b128 v[167:170], v1 offset:1008
	scratch_load_b128 v[42:45], off, off offset:240
	v_fma_f64 v[40:41], v[40:41], v[6:7], v[171:172]
	v_fma_f64 v[38:39], v[38:39], v[6:7], -v[8:9]
	scratch_load_b128 v[6:9], off, off offset:256
	s_wait_loadcnt_dscnt 0xa01
	v_mul_f64_e32 v[177:178], v[2:3], v[12:13]
	v_mul_f64_e32 v[12:13], v[4:5], v[12:13]
	v_add_f64_e32 v[171:172], 0, v[173:174]
	v_add_f64_e32 v[173:174], 0, v[175:176]
	s_wait_loadcnt_dscnt 0x900
	v_mul_f64_e32 v[175:176], v[167:168], v[16:17]
	v_mul_f64_e32 v[16:17], v[169:170], v[16:17]
	v_fma_f64 v[177:178], v[4:5], v[10:11], v[177:178]
	v_fma_f64 v[179:180], v[2:3], v[10:11], -v[12:13]
	ds_load_b128 v[2:5], v1 offset:1024
	scratch_load_b128 v[10:13], off, off offset:272
	v_add_f64_e32 v[171:172], v[171:172], v[38:39]
	v_add_f64_e32 v[173:174], v[173:174], v[40:41]
	ds_load_b128 v[38:41], v1 offset:1040
	v_fma_f64 v[169:170], v[169:170], v[14:15], v[175:176]
	v_fma_f64 v[167:168], v[167:168], v[14:15], -v[16:17]
	scratch_load_b128 v[14:17], off, off offset:288
	s_wait_loadcnt_dscnt 0xa01
	v_mul_f64_e32 v[181:182], v[2:3], v[20:21]
	v_mul_f64_e32 v[20:21], v[4:5], v[20:21]
	s_wait_loadcnt_dscnt 0x900
	v_mul_f64_e32 v[175:176], v[38:39], v[24:25]
	v_mul_f64_e32 v[24:25], v[40:41], v[24:25]
	v_add_f64_e32 v[171:172], v[171:172], v[179:180]
	v_add_f64_e32 v[173:174], v[173:174], v[177:178]
	v_fma_f64 v[177:178], v[4:5], v[18:19], v[181:182]
	v_fma_f64 v[179:180], v[2:3], v[18:19], -v[20:21]
	ds_load_b128 v[2:5], v1 offset:1056
	scratch_load_b128 v[18:21], off, off offset:304
	v_fma_f64 v[40:41], v[40:41], v[22:23], v[175:176]
	v_fma_f64 v[38:39], v[38:39], v[22:23], -v[24:25]
	scratch_load_b128 v[22:25], off, off offset:320
	v_add_f64_e32 v[171:172], v[171:172], v[167:168]
	v_add_f64_e32 v[173:174], v[173:174], v[169:170]
	ds_load_b128 v[167:170], v1 offset:1072
	s_wait_loadcnt_dscnt 0xa01
	v_mul_f64_e32 v[181:182], v[2:3], v[28:29]
	v_mul_f64_e32 v[28:29], v[4:5], v[28:29]
	s_wait_loadcnt_dscnt 0x900
	v_mul_f64_e32 v[175:176], v[167:168], v[32:33]
	v_mul_f64_e32 v[32:33], v[169:170], v[32:33]
	v_add_f64_e32 v[171:172], v[171:172], v[179:180]
	v_add_f64_e32 v[173:174], v[173:174], v[177:178]
	v_fma_f64 v[177:178], v[4:5], v[26:27], v[181:182]
	v_fma_f64 v[179:180], v[2:3], v[26:27], -v[28:29]
	ds_load_b128 v[2:5], v1 offset:1088
	scratch_load_b128 v[26:29], off, off offset:336
	v_fma_f64 v[169:170], v[169:170], v[30:31], v[175:176]
	v_fma_f64 v[167:168], v[167:168], v[30:31], -v[32:33]
	scratch_load_b128 v[30:33], off, off offset:352
	v_add_f64_e32 v[171:172], v[171:172], v[38:39]
	v_add_f64_e32 v[173:174], v[173:174], v[40:41]
	ds_load_b128 v[38:41], v1 offset:1104
	s_wait_loadcnt_dscnt 0xa01
	v_mul_f64_e32 v[181:182], v[2:3], v[36:37]
	v_mul_f64_e32 v[36:37], v[4:5], v[36:37]
	s_wait_loadcnt_dscnt 0x800
	v_mul_f64_e32 v[175:176], v[38:39], v[165:166]
	v_add_f64_e32 v[171:172], v[171:172], v[179:180]
	v_add_f64_e32 v[173:174], v[173:174], v[177:178]
	v_mul_f64_e32 v[177:178], v[40:41], v[165:166]
	v_fma_f64 v[179:180], v[4:5], v[34:35], v[181:182]
	v_fma_f64 v[181:182], v[2:3], v[34:35], -v[36:37]
	ds_load_b128 v[2:5], v1 offset:1120
	scratch_load_b128 v[34:37], off, off offset:368
	v_fma_f64 v[175:176], v[40:41], v[163:164], v[175:176]
	v_add_f64_e32 v[171:172], v[171:172], v[167:168]
	v_add_f64_e32 v[169:170], v[173:174], v[169:170]
	ds_load_b128 v[165:168], v1 offset:1136
	v_fma_f64 v[163:164], v[38:39], v[163:164], -v[177:178]
	scratch_load_b128 v[38:41], off, off offset:384
	s_wait_loadcnt_dscnt 0x901
	v_mul_f64_e32 v[173:174], v[2:3], v[44:45]
	v_mul_f64_e32 v[44:45], v[4:5], v[44:45]
	s_wait_loadcnt_dscnt 0x800
	v_mul_f64_e32 v[177:178], v[165:166], v[8:9]
	v_mul_f64_e32 v[8:9], v[167:168], v[8:9]
	v_add_f64_e32 v[171:172], v[171:172], v[181:182]
	v_add_f64_e32 v[169:170], v[169:170], v[179:180]
	v_fma_f64 v[173:174], v[4:5], v[42:43], v[173:174]
	v_fma_f64 v[179:180], v[2:3], v[42:43], -v[44:45]
	ds_load_b128 v[2:5], v1 offset:1152
	scratch_load_b128 v[42:45], off, off offset:400
	v_fma_f64 v[167:168], v[167:168], v[6:7], v[177:178]
	v_fma_f64 v[165:166], v[165:166], v[6:7], -v[8:9]
	scratch_load_b128 v[6:9], off, off offset:416
	v_add_f64_e32 v[163:164], v[171:172], v[163:164]
	v_add_f64_e32 v[175:176], v[169:170], v[175:176]
	ds_load_b128 v[169:172], v1 offset:1168
	s_wait_loadcnt_dscnt 0x901
	v_mul_f64_e32 v[181:182], v[2:3], v[12:13]
	v_mul_f64_e32 v[12:13], v[4:5], v[12:13]
	v_add_f64_e32 v[163:164], v[163:164], v[179:180]
	v_add_f64_e32 v[173:174], v[175:176], v[173:174]
	s_wait_loadcnt_dscnt 0x800
	v_mul_f64_e32 v[175:176], v[169:170], v[16:17]
	v_mul_f64_e32 v[16:17], v[171:172], v[16:17]
	v_fma_f64 v[177:178], v[4:5], v[10:11], v[181:182]
	v_fma_f64 v[179:180], v[2:3], v[10:11], -v[12:13]
	ds_load_b128 v[2:5], v1 offset:1184
	scratch_load_b128 v[10:13], off, off offset:432
	v_add_f64_e32 v[181:182], v[163:164], v[165:166]
	v_add_f64_e32 v[167:168], v[173:174], v[167:168]
	ds_load_b128 v[163:166], v1 offset:1200
	s_wait_loadcnt_dscnt 0x801
	v_mul_f64_e32 v[173:174], v[2:3], v[20:21]
	v_mul_f64_e32 v[20:21], v[4:5], v[20:21]
	v_fma_f64 v[171:172], v[171:172], v[14:15], v[175:176]
	v_fma_f64 v[169:170], v[169:170], v[14:15], -v[16:17]
	scratch_load_b128 v[14:17], off, off offset:448
	v_add_f64_e32 v[175:176], v[181:182], v[179:180]
	v_add_f64_e32 v[167:168], v[167:168], v[177:178]
	s_wait_loadcnt_dscnt 0x800
	v_mul_f64_e32 v[177:178], v[163:164], v[24:25]
	v_mul_f64_e32 v[24:25], v[165:166], v[24:25]
	v_fma_f64 v[173:174], v[4:5], v[18:19], v[173:174]
	v_fma_f64 v[179:180], v[2:3], v[18:19], -v[20:21]
	ds_load_b128 v[2:5], v1 offset:1216
	scratch_load_b128 v[18:21], off, off offset:464
	v_add_f64_e32 v[175:176], v[175:176], v[169:170]
	v_add_f64_e32 v[171:172], v[167:168], v[171:172]
	ds_load_b128 v[167:170], v1 offset:1232
	s_wait_loadcnt_dscnt 0x801
	v_mul_f64_e32 v[181:182], v[2:3], v[28:29]
	v_mul_f64_e32 v[28:29], v[4:5], v[28:29]
	v_fma_f64 v[165:166], v[165:166], v[22:23], v[177:178]
	v_fma_f64 v[163:164], v[163:164], v[22:23], -v[24:25]
	scratch_load_b128 v[22:25], off, off offset:480
	;; [unrolled: 18-line block ×4, first 2 shown]
	s_wait_loadcnt_dscnt 0x800
	v_mul_f64_e32 v[175:176], v[167:168], v[8:9]
	v_mul_f64_e32 v[8:9], v[169:170], v[8:9]
	v_add_f64_e32 v[173:174], v[173:174], v[179:180]
	v_add_f64_e32 v[171:172], v[171:172], v[177:178]
	v_fma_f64 v[177:178], v[4:5], v[42:43], v[181:182]
	v_fma_f64 v[179:180], v[2:3], v[42:43], -v[44:45]
	ds_load_b128 v[2:5], v1 offset:1312
	scratch_load_b128 v[42:45], off, off offset:560
	v_fma_f64 v[169:170], v[169:170], v[6:7], v[175:176]
	v_fma_f64 v[167:168], v[167:168], v[6:7], -v[8:9]
	scratch_load_b128 v[6:9], off, off offset:576
	v_add_f64_e32 v[173:174], v[173:174], v[163:164]
	v_add_f64_e32 v[171:172], v[171:172], v[165:166]
	ds_load_b128 v[163:166], v1 offset:1328
	s_wait_loadcnt_dscnt 0x901
	v_mul_f64_e32 v[181:182], v[2:3], v[12:13]
	v_mul_f64_e32 v[12:13], v[4:5], v[12:13]
	s_wait_loadcnt_dscnt 0x800
	v_mul_f64_e32 v[175:176], v[163:164], v[16:17]
	v_mul_f64_e32 v[16:17], v[165:166], v[16:17]
	v_add_f64_e32 v[173:174], v[173:174], v[179:180]
	v_add_f64_e32 v[171:172], v[171:172], v[177:178]
	v_fma_f64 v[177:178], v[4:5], v[10:11], v[181:182]
	v_fma_f64 v[179:180], v[2:3], v[10:11], -v[12:13]
	ds_load_b128 v[2:5], v1 offset:1344
	scratch_load_b128 v[10:13], off, off offset:592
	v_fma_f64 v[165:166], v[165:166], v[14:15], v[175:176]
	v_fma_f64 v[163:164], v[163:164], v[14:15], -v[16:17]
	scratch_load_b128 v[14:17], off, off offset:608
	v_add_f64_e32 v[173:174], v[173:174], v[167:168]
	v_add_f64_e32 v[171:172], v[171:172], v[169:170]
	ds_load_b128 v[167:170], v1 offset:1360
	s_wait_loadcnt_dscnt 0x901
	v_mul_f64_e32 v[181:182], v[2:3], v[20:21]
	v_mul_f64_e32 v[20:21], v[4:5], v[20:21]
	;; [unrolled: 18-line block ×11, first 2 shown]
	s_wait_loadcnt_dscnt 0x800
	v_mul_f64_e32 v[175:176], v[163:164], v[16:17]
	v_mul_f64_e32 v[16:17], v[165:166], v[16:17]
	v_add_f64_e32 v[173:174], v[173:174], v[179:180]
	v_add_f64_e32 v[171:172], v[171:172], v[177:178]
	v_fma_f64 v[177:178], v[4:5], v[10:11], v[181:182]
	v_fma_f64 v[179:180], v[2:3], v[10:11], -v[12:13]
	ds_load_b128 v[2:5], v1 offset:1664
	ds_load_b128 v[10:13], v1 offset:1680
	v_fma_f64 v[165:166], v[165:166], v[14:15], v[175:176]
	v_fma_f64 v[14:15], v[163:164], v[14:15], -v[16:17]
	v_add_f64_e32 v[167:168], v[173:174], v[167:168]
	v_add_f64_e32 v[169:170], v[171:172], v[169:170]
	s_wait_loadcnt_dscnt 0x701
	v_mul_f64_e32 v[171:172], v[2:3], v[20:21]
	v_mul_f64_e32 v[20:21], v[4:5], v[20:21]
	s_delay_alu instid0(VALU_DEP_4) | instskip(NEXT) | instid1(VALU_DEP_4)
	v_add_f64_e32 v[16:17], v[167:168], v[179:180]
	v_add_f64_e32 v[163:164], v[169:170], v[177:178]
	s_wait_loadcnt_dscnt 0x600
	v_mul_f64_e32 v[167:168], v[10:11], v[24:25]
	v_mul_f64_e32 v[24:25], v[12:13], v[24:25]
	v_fma_f64 v[169:170], v[4:5], v[18:19], v[171:172]
	v_fma_f64 v[18:19], v[2:3], v[18:19], -v[20:21]
	v_add_f64_e32 v[20:21], v[16:17], v[14:15]
	v_add_f64_e32 v[163:164], v[163:164], v[165:166]
	ds_load_b128 v[2:5], v1 offset:1696
	ds_load_b128 v[14:17], v1 offset:1712
	v_fma_f64 v[12:13], v[12:13], v[22:23], v[167:168]
	v_fma_f64 v[10:11], v[10:11], v[22:23], -v[24:25]
	s_wait_loadcnt_dscnt 0x501
	v_mul_f64_e32 v[165:166], v[2:3], v[28:29]
	v_mul_f64_e32 v[28:29], v[4:5], v[28:29]
	s_wait_loadcnt_dscnt 0x400
	v_mul_f64_e32 v[22:23], v[14:15], v[32:33]
	v_mul_f64_e32 v[24:25], v[16:17], v[32:33]
	v_add_f64_e32 v[18:19], v[20:21], v[18:19]
	v_add_f64_e32 v[20:21], v[163:164], v[169:170]
	v_fma_f64 v[32:33], v[4:5], v[26:27], v[165:166]
	v_fma_f64 v[26:27], v[2:3], v[26:27], -v[28:29]
	v_fma_f64 v[16:17], v[16:17], v[30:31], v[22:23]
	v_fma_f64 v[14:15], v[14:15], v[30:31], -v[24:25]
	v_add_f64_e32 v[18:19], v[18:19], v[10:11]
	v_add_f64_e32 v[20:21], v[20:21], v[12:13]
	ds_load_b128 v[2:5], v1 offset:1728
	ds_load_b128 v[10:13], v1 offset:1744
	s_wait_loadcnt_dscnt 0x301
	v_mul_f64_e32 v[28:29], v[2:3], v[36:37]
	v_mul_f64_e32 v[36:37], v[4:5], v[36:37]
	s_wait_loadcnt_dscnt 0x200
	v_mul_f64_e32 v[22:23], v[10:11], v[40:41]
	v_mul_f64_e32 v[24:25], v[12:13], v[40:41]
	v_add_f64_e32 v[18:19], v[18:19], v[26:27]
	v_add_f64_e32 v[20:21], v[20:21], v[32:33]
	v_fma_f64 v[26:27], v[4:5], v[34:35], v[28:29]
	v_fma_f64 v[28:29], v[2:3], v[34:35], -v[36:37]
	v_fma_f64 v[12:13], v[12:13], v[38:39], v[22:23]
	v_fma_f64 v[10:11], v[10:11], v[38:39], -v[24:25]
	v_add_f64_e32 v[18:19], v[18:19], v[14:15]
	v_add_f64_e32 v[20:21], v[20:21], v[16:17]
	ds_load_b128 v[2:5], v1 offset:1760
	ds_load_b128 v[14:17], v1 offset:1776
	s_wait_loadcnt_dscnt 0x101
	v_mul_f64_e32 v[30:31], v[2:3], v[44:45]
	v_mul_f64_e32 v[32:33], v[4:5], v[44:45]
	s_wait_loadcnt_dscnt 0x0
	v_mul_f64_e32 v[22:23], v[14:15], v[8:9]
	v_mul_f64_e32 v[8:9], v[16:17], v[8:9]
	v_add_f64_e32 v[18:19], v[18:19], v[28:29]
	v_add_f64_e32 v[20:21], v[20:21], v[26:27]
	v_fma_f64 v[4:5], v[4:5], v[42:43], v[30:31]
	v_fma_f64 v[1:2], v[2:3], v[42:43], -v[32:33]
	v_fma_f64 v[16:17], v[16:17], v[6:7], v[22:23]
	v_fma_f64 v[6:7], v[14:15], v[6:7], -v[8:9]
	v_add_f64_e32 v[10:11], v[18:19], v[10:11]
	v_add_f64_e32 v[12:13], v[20:21], v[12:13]
	s_delay_alu instid0(VALU_DEP_2) | instskip(NEXT) | instid1(VALU_DEP_2)
	v_add_f64_e32 v[1:2], v[10:11], v[1:2]
	v_add_f64_e32 v[3:4], v[12:13], v[4:5]
	s_delay_alu instid0(VALU_DEP_2) | instskip(NEXT) | instid1(VALU_DEP_2)
	;; [unrolled: 3-line block ×3, first 2 shown]
	v_add_f64_e64 v[1:2], v[159:160], -v[1:2]
	v_add_f64_e64 v[3:4], v[161:162], -v[3:4]
	scratch_store_b128 off, v[1:4], off offset:64
	v_cmpx_lt_u32_e32 2, v0
	s_cbranch_execz .LBB55_345
; %bb.344:
	scratch_load_b128 v[1:4], off, s49
	v_mov_b32_e32 v5, 0
	s_delay_alu instid0(VALU_DEP_1)
	v_dual_mov_b32 v6, v5 :: v_dual_mov_b32 v7, v5
	v_mov_b32_e32 v8, v5
	scratch_store_b128 off, v[5:8], off offset:48
	s_wait_loadcnt 0x0
	ds_store_b128 v158, v[1:4]
.LBB55_345:
	s_wait_alu 0xfffe
	s_or_b32 exec_lo, exec_lo, s0
	s_wait_storecnt_dscnt 0x0
	s_barrier_signal -1
	s_barrier_wait -1
	global_inv scope:SCOPE_SE
	s_clause 0x7
	scratch_load_b128 v[2:5], off, off offset:64
	scratch_load_b128 v[6:9], off, off offset:80
	;; [unrolled: 1-line block ×8, first 2 shown]
	v_mov_b32_e32 v1, 0
	s_mov_b32 s0, exec_lo
	ds_load_b128 v[38:41], v1 offset:944
	s_clause 0x1
	scratch_load_b128 v[34:37], off, off offset:192
	scratch_load_b128 v[42:45], off, off offset:48
	ds_load_b128 v[159:162], v1 offset:960
	scratch_load_b128 v[163:166], off, off offset:208
	s_wait_loadcnt_dscnt 0xa01
	v_mul_f64_e32 v[167:168], v[40:41], v[4:5]
	v_mul_f64_e32 v[4:5], v[38:39], v[4:5]
	s_delay_alu instid0(VALU_DEP_2) | instskip(NEXT) | instid1(VALU_DEP_2)
	v_fma_f64 v[173:174], v[38:39], v[2:3], -v[167:168]
	v_fma_f64 v[175:176], v[40:41], v[2:3], v[4:5]
	ds_load_b128 v[2:5], v1 offset:976
	s_wait_loadcnt_dscnt 0x901
	v_mul_f64_e32 v[171:172], v[159:160], v[8:9]
	v_mul_f64_e32 v[8:9], v[161:162], v[8:9]
	scratch_load_b128 v[38:41], off, off offset:224
	ds_load_b128 v[167:170], v1 offset:992
	s_wait_loadcnt_dscnt 0x901
	v_mul_f64_e32 v[177:178], v[2:3], v[12:13]
	v_mul_f64_e32 v[12:13], v[4:5], v[12:13]
	v_fma_f64 v[161:162], v[161:162], v[6:7], v[171:172]
	v_fma_f64 v[159:160], v[159:160], v[6:7], -v[8:9]
	v_add_f64_e32 v[171:172], 0, v[173:174]
	v_add_f64_e32 v[173:174], 0, v[175:176]
	scratch_load_b128 v[6:9], off, off offset:240
	v_fma_f64 v[177:178], v[4:5], v[10:11], v[177:178]
	v_fma_f64 v[179:180], v[2:3], v[10:11], -v[12:13]
	ds_load_b128 v[2:5], v1 offset:1008
	s_wait_loadcnt_dscnt 0x901
	v_mul_f64_e32 v[175:176], v[167:168], v[16:17]
	v_mul_f64_e32 v[16:17], v[169:170], v[16:17]
	scratch_load_b128 v[10:13], off, off offset:256
	v_add_f64_e32 v[171:172], v[171:172], v[159:160]
	v_add_f64_e32 v[173:174], v[173:174], v[161:162]
	s_wait_loadcnt_dscnt 0x900
	v_mul_f64_e32 v[181:182], v[2:3], v[20:21]
	v_mul_f64_e32 v[20:21], v[4:5], v[20:21]
	ds_load_b128 v[159:162], v1 offset:1024
	v_fma_f64 v[169:170], v[169:170], v[14:15], v[175:176]
	v_fma_f64 v[167:168], v[167:168], v[14:15], -v[16:17]
	scratch_load_b128 v[14:17], off, off offset:272
	v_add_f64_e32 v[171:172], v[171:172], v[179:180]
	v_add_f64_e32 v[173:174], v[173:174], v[177:178]
	v_fma_f64 v[177:178], v[4:5], v[18:19], v[181:182]
	v_fma_f64 v[179:180], v[2:3], v[18:19], -v[20:21]
	ds_load_b128 v[2:5], v1 offset:1040
	s_wait_loadcnt_dscnt 0x901
	v_mul_f64_e32 v[175:176], v[159:160], v[24:25]
	v_mul_f64_e32 v[24:25], v[161:162], v[24:25]
	scratch_load_b128 v[18:21], off, off offset:288
	s_wait_loadcnt_dscnt 0x900
	v_mul_f64_e32 v[181:182], v[2:3], v[28:29]
	v_mul_f64_e32 v[28:29], v[4:5], v[28:29]
	v_add_f64_e32 v[171:172], v[171:172], v[167:168]
	v_add_f64_e32 v[173:174], v[173:174], v[169:170]
	ds_load_b128 v[167:170], v1 offset:1056
	v_fma_f64 v[161:162], v[161:162], v[22:23], v[175:176]
	v_fma_f64 v[159:160], v[159:160], v[22:23], -v[24:25]
	scratch_load_b128 v[22:25], off, off offset:304
	v_add_f64_e32 v[171:172], v[171:172], v[179:180]
	v_add_f64_e32 v[173:174], v[173:174], v[177:178]
	v_fma_f64 v[177:178], v[4:5], v[26:27], v[181:182]
	v_fma_f64 v[179:180], v[2:3], v[26:27], -v[28:29]
	ds_load_b128 v[2:5], v1 offset:1072
	s_wait_loadcnt_dscnt 0x901
	v_mul_f64_e32 v[175:176], v[167:168], v[32:33]
	v_mul_f64_e32 v[32:33], v[169:170], v[32:33]
	scratch_load_b128 v[26:29], off, off offset:320
	s_wait_loadcnt_dscnt 0x900
	v_mul_f64_e32 v[181:182], v[2:3], v[36:37]
	v_mul_f64_e32 v[36:37], v[4:5], v[36:37]
	v_add_f64_e32 v[171:172], v[171:172], v[159:160]
	v_add_f64_e32 v[173:174], v[173:174], v[161:162]
	ds_load_b128 v[159:162], v1 offset:1088
	v_fma_f64 v[169:170], v[169:170], v[30:31], v[175:176]
	v_fma_f64 v[167:168], v[167:168], v[30:31], -v[32:33]
	scratch_load_b128 v[30:33], off, off offset:336
	v_add_f64_e32 v[171:172], v[171:172], v[179:180]
	v_add_f64_e32 v[173:174], v[173:174], v[177:178]
	v_fma_f64 v[179:180], v[4:5], v[34:35], v[181:182]
	v_fma_f64 v[181:182], v[2:3], v[34:35], -v[36:37]
	ds_load_b128 v[2:5], v1 offset:1104
	s_wait_loadcnt_dscnt 0x801
	v_mul_f64_e32 v[175:176], v[159:160], v[165:166]
	v_mul_f64_e32 v[177:178], v[161:162], v[165:166]
	scratch_load_b128 v[34:37], off, off offset:352
	v_add_f64_e32 v[171:172], v[171:172], v[167:168]
	v_add_f64_e32 v[169:170], v[173:174], v[169:170]
	ds_load_b128 v[165:168], v1 offset:1120
	v_fma_f64 v[175:176], v[161:162], v[163:164], v[175:176]
	v_fma_f64 v[163:164], v[159:160], v[163:164], -v[177:178]
	scratch_load_b128 v[159:162], off, off offset:368
	s_wait_loadcnt_dscnt 0x901
	v_mul_f64_e32 v[173:174], v[2:3], v[40:41]
	v_mul_f64_e32 v[40:41], v[4:5], v[40:41]
	v_add_f64_e32 v[171:172], v[171:172], v[181:182]
	v_add_f64_e32 v[169:170], v[169:170], v[179:180]
	s_delay_alu instid0(VALU_DEP_4) | instskip(NEXT) | instid1(VALU_DEP_4)
	v_fma_f64 v[173:174], v[4:5], v[38:39], v[173:174]
	v_fma_f64 v[179:180], v[2:3], v[38:39], -v[40:41]
	ds_load_b128 v[2:5], v1 offset:1136
	s_wait_loadcnt_dscnt 0x801
	v_mul_f64_e32 v[177:178], v[165:166], v[8:9]
	v_mul_f64_e32 v[8:9], v[167:168], v[8:9]
	scratch_load_b128 v[38:41], off, off offset:384
	s_wait_loadcnt_dscnt 0x800
	v_mul_f64_e32 v[181:182], v[2:3], v[12:13]
	v_add_f64_e32 v[163:164], v[171:172], v[163:164]
	v_add_f64_e32 v[175:176], v[169:170], v[175:176]
	v_mul_f64_e32 v[12:13], v[4:5], v[12:13]
	ds_load_b128 v[169:172], v1 offset:1152
	v_fma_f64 v[167:168], v[167:168], v[6:7], v[177:178]
	v_fma_f64 v[165:166], v[165:166], v[6:7], -v[8:9]
	scratch_load_b128 v[6:9], off, off offset:400
	v_fma_f64 v[177:178], v[4:5], v[10:11], v[181:182]
	v_add_f64_e32 v[163:164], v[163:164], v[179:180]
	v_add_f64_e32 v[173:174], v[175:176], v[173:174]
	v_fma_f64 v[179:180], v[2:3], v[10:11], -v[12:13]
	ds_load_b128 v[2:5], v1 offset:1168
	s_wait_loadcnt_dscnt 0x801
	v_mul_f64_e32 v[175:176], v[169:170], v[16:17]
	v_mul_f64_e32 v[16:17], v[171:172], v[16:17]
	scratch_load_b128 v[10:13], off, off offset:416
	v_add_f64_e32 v[181:182], v[163:164], v[165:166]
	v_add_f64_e32 v[167:168], v[173:174], v[167:168]
	s_wait_loadcnt_dscnt 0x800
	v_mul_f64_e32 v[173:174], v[2:3], v[20:21]
	v_mul_f64_e32 v[20:21], v[4:5], v[20:21]
	v_fma_f64 v[171:172], v[171:172], v[14:15], v[175:176]
	v_fma_f64 v[169:170], v[169:170], v[14:15], -v[16:17]
	ds_load_b128 v[163:166], v1 offset:1184
	scratch_load_b128 v[14:17], off, off offset:432
	v_add_f64_e32 v[175:176], v[181:182], v[179:180]
	v_add_f64_e32 v[167:168], v[167:168], v[177:178]
	v_fma_f64 v[173:174], v[4:5], v[18:19], v[173:174]
	v_fma_f64 v[179:180], v[2:3], v[18:19], -v[20:21]
	ds_load_b128 v[2:5], v1 offset:1200
	s_wait_loadcnt_dscnt 0x801
	v_mul_f64_e32 v[177:178], v[163:164], v[24:25]
	v_mul_f64_e32 v[24:25], v[165:166], v[24:25]
	scratch_load_b128 v[18:21], off, off offset:448
	s_wait_loadcnt_dscnt 0x800
	v_mul_f64_e32 v[181:182], v[2:3], v[28:29]
	v_mul_f64_e32 v[28:29], v[4:5], v[28:29]
	v_add_f64_e32 v[175:176], v[175:176], v[169:170]
	v_add_f64_e32 v[171:172], v[167:168], v[171:172]
	ds_load_b128 v[167:170], v1 offset:1216
	v_fma_f64 v[165:166], v[165:166], v[22:23], v[177:178]
	v_fma_f64 v[163:164], v[163:164], v[22:23], -v[24:25]
	scratch_load_b128 v[22:25], off, off offset:464
	v_fma_f64 v[177:178], v[4:5], v[26:27], v[181:182]
	v_add_f64_e32 v[175:176], v[175:176], v[179:180]
	v_add_f64_e32 v[171:172], v[171:172], v[173:174]
	v_fma_f64 v[179:180], v[2:3], v[26:27], -v[28:29]
	ds_load_b128 v[2:5], v1 offset:1232
	s_wait_loadcnt_dscnt 0x801
	v_mul_f64_e32 v[173:174], v[167:168], v[32:33]
	v_mul_f64_e32 v[32:33], v[169:170], v[32:33]
	scratch_load_b128 v[26:29], off, off offset:480
	s_wait_loadcnt_dscnt 0x800
	v_mul_f64_e32 v[181:182], v[2:3], v[36:37]
	v_mul_f64_e32 v[36:37], v[4:5], v[36:37]
	v_add_f64_e32 v[175:176], v[175:176], v[163:164]
	v_add_f64_e32 v[171:172], v[171:172], v[165:166]
	ds_load_b128 v[163:166], v1 offset:1248
	v_fma_f64 v[169:170], v[169:170], v[30:31], v[173:174]
	v_fma_f64 v[167:168], v[167:168], v[30:31], -v[32:33]
	scratch_load_b128 v[30:33], off, off offset:496
	v_add_f64_e32 v[173:174], v[175:176], v[179:180]
	v_add_f64_e32 v[171:172], v[171:172], v[177:178]
	v_fma_f64 v[177:178], v[4:5], v[34:35], v[181:182]
	v_fma_f64 v[179:180], v[2:3], v[34:35], -v[36:37]
	ds_load_b128 v[2:5], v1 offset:1264
	s_wait_loadcnt_dscnt 0x801
	v_mul_f64_e32 v[175:176], v[163:164], v[161:162]
	v_mul_f64_e32 v[161:162], v[165:166], v[161:162]
	scratch_load_b128 v[34:37], off, off offset:512
	s_wait_loadcnt_dscnt 0x800
	v_mul_f64_e32 v[181:182], v[2:3], v[40:41]
	v_mul_f64_e32 v[40:41], v[4:5], v[40:41]
	v_add_f64_e32 v[173:174], v[173:174], v[167:168]
	v_add_f64_e32 v[171:172], v[171:172], v[169:170]
	ds_load_b128 v[167:170], v1 offset:1280
	v_fma_f64 v[165:166], v[165:166], v[159:160], v[175:176]
	v_fma_f64 v[163:164], v[163:164], v[159:160], -v[161:162]
	scratch_load_b128 v[159:162], off, off offset:528
	v_add_f64_e32 v[173:174], v[173:174], v[179:180]
	v_add_f64_e32 v[171:172], v[171:172], v[177:178]
	v_fma_f64 v[177:178], v[4:5], v[38:39], v[181:182]
	;; [unrolled: 18-line block ×6, first 2 shown]
	v_fma_f64 v[181:182], v[2:3], v[34:35], -v[36:37]
	ds_load_b128 v[2:5], v1 offset:1424
	s_wait_loadcnt_dscnt 0x801
	v_mul_f64_e32 v[175:176], v[167:168], v[161:162]
	v_mul_f64_e32 v[177:178], v[169:170], v[161:162]
	scratch_load_b128 v[34:37], off, off offset:672
	v_add_f64_e32 v[173:174], v[173:174], v[163:164]
	v_add_f64_e32 v[165:166], v[171:172], v[165:166]
	s_wait_loadcnt_dscnt 0x800
	v_mul_f64_e32 v[171:172], v[2:3], v[40:41]
	v_mul_f64_e32 v[40:41], v[4:5], v[40:41]
	ds_load_b128 v[161:164], v1 offset:1440
	v_fma_f64 v[169:170], v[169:170], v[159:160], v[175:176]
	v_fma_f64 v[159:160], v[167:168], v[159:160], -v[177:178]
	v_add_f64_e32 v[173:174], v[173:174], v[181:182]
	v_add_f64_e32 v[175:176], v[165:166], v[179:180]
	scratch_load_b128 v[165:168], off, off offset:688
	v_fma_f64 v[179:180], v[4:5], v[38:39], v[171:172]
	v_fma_f64 v[181:182], v[2:3], v[38:39], -v[40:41]
	ds_load_b128 v[2:5], v1 offset:1456
	s_wait_loadcnt_dscnt 0x801
	v_mul_f64_e32 v[177:178], v[161:162], v[8:9]
	v_mul_f64_e32 v[8:9], v[163:164], v[8:9]
	scratch_load_b128 v[38:41], off, off offset:704
	v_add_f64_e32 v[159:160], v[173:174], v[159:160]
	v_add_f64_e32 v[173:174], v[175:176], v[169:170]
	s_wait_loadcnt_dscnt 0x800
	v_mul_f64_e32 v[175:176], v[2:3], v[12:13]
	v_mul_f64_e32 v[12:13], v[4:5], v[12:13]
	ds_load_b128 v[169:172], v1 offset:1472
	v_fma_f64 v[163:164], v[163:164], v[6:7], v[177:178]
	v_fma_f64 v[161:162], v[161:162], v[6:7], -v[8:9]
	scratch_load_b128 v[6:9], off, off offset:720
	v_add_f64_e32 v[159:160], v[159:160], v[181:182]
	v_add_f64_e32 v[173:174], v[173:174], v[179:180]
	v_fma_f64 v[175:176], v[4:5], v[10:11], v[175:176]
	v_fma_f64 v[179:180], v[2:3], v[10:11], -v[12:13]
	ds_load_b128 v[2:5], v1 offset:1488
	s_wait_loadcnt_dscnt 0x801
	v_mul_f64_e32 v[177:178], v[169:170], v[16:17]
	v_mul_f64_e32 v[16:17], v[171:172], v[16:17]
	scratch_load_b128 v[10:13], off, off offset:736
	v_add_f64_e32 v[181:182], v[159:160], v[161:162]
	v_add_f64_e32 v[163:164], v[173:174], v[163:164]
	s_wait_loadcnt_dscnt 0x800
	v_mul_f64_e32 v[173:174], v[2:3], v[20:21]
	v_mul_f64_e32 v[20:21], v[4:5], v[20:21]
	ds_load_b128 v[159:162], v1 offset:1504
	v_fma_f64 v[171:172], v[171:172], v[14:15], v[177:178]
	v_fma_f64 v[169:170], v[169:170], v[14:15], -v[16:17]
	scratch_load_b128 v[14:17], off, off offset:752
	v_add_f64_e32 v[177:178], v[181:182], v[179:180]
	v_add_f64_e32 v[163:164], v[163:164], v[175:176]
	v_fma_f64 v[173:174], v[4:5], v[18:19], v[173:174]
	v_fma_f64 v[179:180], v[2:3], v[18:19], -v[20:21]
	ds_load_b128 v[2:5], v1 offset:1520
	s_wait_loadcnt_dscnt 0x801
	v_mul_f64_e32 v[175:176], v[159:160], v[24:25]
	v_mul_f64_e32 v[24:25], v[161:162], v[24:25]
	scratch_load_b128 v[18:21], off, off offset:768
	s_wait_loadcnt_dscnt 0x800
	v_mul_f64_e32 v[181:182], v[2:3], v[28:29]
	v_mul_f64_e32 v[28:29], v[4:5], v[28:29]
	v_add_f64_e32 v[177:178], v[177:178], v[169:170]
	v_add_f64_e32 v[163:164], v[163:164], v[171:172]
	ds_load_b128 v[169:172], v1 offset:1536
	v_fma_f64 v[161:162], v[161:162], v[22:23], v[175:176]
	v_fma_f64 v[159:160], v[159:160], v[22:23], -v[24:25]
	scratch_load_b128 v[22:25], off, off offset:784
	v_add_f64_e32 v[175:176], v[177:178], v[179:180]
	v_add_f64_e32 v[163:164], v[163:164], v[173:174]
	v_fma_f64 v[177:178], v[4:5], v[26:27], v[181:182]
	v_fma_f64 v[179:180], v[2:3], v[26:27], -v[28:29]
	ds_load_b128 v[2:5], v1 offset:1552
	s_wait_loadcnt_dscnt 0x801
	v_mul_f64_e32 v[173:174], v[169:170], v[32:33]
	v_mul_f64_e32 v[32:33], v[171:172], v[32:33]
	scratch_load_b128 v[26:29], off, off offset:800
	s_wait_loadcnt_dscnt 0x800
	v_mul_f64_e32 v[181:182], v[2:3], v[36:37]
	v_mul_f64_e32 v[36:37], v[4:5], v[36:37]
	v_add_f64_e32 v[175:176], v[175:176], v[159:160]
	v_add_f64_e32 v[163:164], v[163:164], v[161:162]
	ds_load_b128 v[159:162], v1 offset:1568
	v_fma_f64 v[171:172], v[171:172], v[30:31], v[173:174]
	v_fma_f64 v[169:170], v[169:170], v[30:31], -v[32:33]
	scratch_load_b128 v[30:33], off, off offset:816
	v_add_f64_e32 v[173:174], v[175:176], v[179:180]
	v_add_f64_e32 v[163:164], v[163:164], v[177:178]
	v_fma_f64 v[179:180], v[4:5], v[34:35], v[181:182]
	v_fma_f64 v[181:182], v[2:3], v[34:35], -v[36:37]
	ds_load_b128 v[2:5], v1 offset:1584
	scratch_load_b128 v[34:37], off, off offset:832
	s_wait_loadcnt_dscnt 0x901
	v_mul_f64_e32 v[175:176], v[159:160], v[167:168]
	v_mul_f64_e32 v[177:178], v[161:162], v[167:168]
	v_add_f64_e32 v[173:174], v[173:174], v[169:170]
	v_add_f64_e32 v[163:164], v[163:164], v[171:172]
	s_wait_loadcnt_dscnt 0x800
	v_mul_f64_e32 v[171:172], v[2:3], v[40:41]
	v_mul_f64_e32 v[40:41], v[4:5], v[40:41]
	ds_load_b128 v[167:170], v1 offset:1600
	v_fma_f64 v[175:176], v[161:162], v[165:166], v[175:176]
	v_fma_f64 v[165:166], v[159:160], v[165:166], -v[177:178]
	scratch_load_b128 v[159:162], off, off offset:848
	v_add_f64_e32 v[173:174], v[173:174], v[181:182]
	v_add_f64_e32 v[163:164], v[163:164], v[179:180]
	v_fma_f64 v[171:172], v[4:5], v[38:39], v[171:172]
	v_fma_f64 v[179:180], v[2:3], v[38:39], -v[40:41]
	ds_load_b128 v[2:5], v1 offset:1616
	s_wait_loadcnt_dscnt 0x801
	v_mul_f64_e32 v[177:178], v[167:168], v[8:9]
	v_mul_f64_e32 v[8:9], v[169:170], v[8:9]
	scratch_load_b128 v[38:41], off, off offset:864
	s_wait_loadcnt_dscnt 0x800
	v_mul_f64_e32 v[181:182], v[2:3], v[12:13]
	v_mul_f64_e32 v[12:13], v[4:5], v[12:13]
	v_add_f64_e32 v[173:174], v[173:174], v[165:166]
	v_add_f64_e32 v[175:176], v[163:164], v[175:176]
	ds_load_b128 v[163:166], v1 offset:1632
	v_fma_f64 v[169:170], v[169:170], v[6:7], v[177:178]
	v_fma_f64 v[167:168], v[167:168], v[6:7], -v[8:9]
	scratch_load_b128 v[6:9], off, off offset:880
	v_fma_f64 v[177:178], v[4:5], v[10:11], v[181:182]
	v_add_f64_e32 v[173:174], v[173:174], v[179:180]
	v_add_f64_e32 v[171:172], v[175:176], v[171:172]
	v_fma_f64 v[179:180], v[2:3], v[10:11], -v[12:13]
	ds_load_b128 v[2:5], v1 offset:1648
	s_wait_loadcnt_dscnt 0x801
	v_mul_f64_e32 v[175:176], v[163:164], v[16:17]
	v_mul_f64_e32 v[16:17], v[165:166], v[16:17]
	scratch_load_b128 v[10:13], off, off offset:896
	s_wait_loadcnt_dscnt 0x800
	v_mul_f64_e32 v[181:182], v[2:3], v[20:21]
	v_mul_f64_e32 v[20:21], v[4:5], v[20:21]
	v_add_f64_e32 v[173:174], v[173:174], v[167:168]
	v_add_f64_e32 v[171:172], v[171:172], v[169:170]
	ds_load_b128 v[167:170], v1 offset:1664
	v_fma_f64 v[165:166], v[165:166], v[14:15], v[175:176]
	v_fma_f64 v[14:15], v[163:164], v[14:15], -v[16:17]
	v_add_f64_e32 v[16:17], v[173:174], v[179:180]
	v_add_f64_e32 v[163:164], v[171:172], v[177:178]
	s_wait_loadcnt_dscnt 0x700
	v_mul_f64_e32 v[171:172], v[167:168], v[24:25]
	v_mul_f64_e32 v[24:25], v[169:170], v[24:25]
	v_fma_f64 v[173:174], v[4:5], v[18:19], v[181:182]
	v_fma_f64 v[18:19], v[2:3], v[18:19], -v[20:21]
	v_add_f64_e32 v[20:21], v[16:17], v[14:15]
	v_add_f64_e32 v[163:164], v[163:164], v[165:166]
	ds_load_b128 v[2:5], v1 offset:1680
	ds_load_b128 v[14:17], v1 offset:1696
	v_fma_f64 v[169:170], v[169:170], v[22:23], v[171:172]
	v_fma_f64 v[22:23], v[167:168], v[22:23], -v[24:25]
	s_wait_loadcnt_dscnt 0x601
	v_mul_f64_e32 v[165:166], v[2:3], v[28:29]
	v_mul_f64_e32 v[28:29], v[4:5], v[28:29]
	s_wait_loadcnt_dscnt 0x500
	v_mul_f64_e32 v[24:25], v[14:15], v[32:33]
	v_mul_f64_e32 v[32:33], v[16:17], v[32:33]
	v_add_f64_e32 v[18:19], v[20:21], v[18:19]
	v_add_f64_e32 v[20:21], v[163:164], v[173:174]
	v_fma_f64 v[163:164], v[4:5], v[26:27], v[165:166]
	v_fma_f64 v[26:27], v[2:3], v[26:27], -v[28:29]
	v_fma_f64 v[16:17], v[16:17], v[30:31], v[24:25]
	v_fma_f64 v[14:15], v[14:15], v[30:31], -v[32:33]
	v_add_f64_e32 v[22:23], v[18:19], v[22:23]
	v_add_f64_e32 v[28:29], v[20:21], v[169:170]
	ds_load_b128 v[2:5], v1 offset:1712
	ds_load_b128 v[18:21], v1 offset:1728
	s_wait_loadcnt_dscnt 0x401
	v_mul_f64_e32 v[165:166], v[2:3], v[36:37]
	v_mul_f64_e32 v[36:37], v[4:5], v[36:37]
	v_add_f64_e32 v[22:23], v[22:23], v[26:27]
	v_add_f64_e32 v[24:25], v[28:29], v[163:164]
	s_wait_loadcnt_dscnt 0x300
	v_mul_f64_e32 v[26:27], v[18:19], v[161:162]
	v_mul_f64_e32 v[28:29], v[20:21], v[161:162]
	v_fma_f64 v[30:31], v[4:5], v[34:35], v[165:166]
	v_fma_f64 v[32:33], v[2:3], v[34:35], -v[36:37]
	v_add_f64_e32 v[22:23], v[22:23], v[14:15]
	v_add_f64_e32 v[24:25], v[24:25], v[16:17]
	ds_load_b128 v[2:5], v1 offset:1744
	ds_load_b128 v[14:17], v1 offset:1760
	v_fma_f64 v[20:21], v[20:21], v[159:160], v[26:27]
	v_fma_f64 v[18:19], v[18:19], v[159:160], -v[28:29]
	s_wait_loadcnt_dscnt 0x201
	v_mul_f64_e32 v[34:35], v[2:3], v[40:41]
	v_mul_f64_e32 v[36:37], v[4:5], v[40:41]
	s_wait_loadcnt_dscnt 0x100
	v_mul_f64_e32 v[26:27], v[14:15], v[8:9]
	v_mul_f64_e32 v[8:9], v[16:17], v[8:9]
	v_add_f64_e32 v[22:23], v[22:23], v[32:33]
	v_add_f64_e32 v[24:25], v[24:25], v[30:31]
	v_fma_f64 v[28:29], v[4:5], v[38:39], v[34:35]
	v_fma_f64 v[30:31], v[2:3], v[38:39], -v[36:37]
	ds_load_b128 v[2:5], v1 offset:1776
	v_fma_f64 v[16:17], v[16:17], v[6:7], v[26:27]
	v_fma_f64 v[6:7], v[14:15], v[6:7], -v[8:9]
	v_add_f64_e32 v[18:19], v[22:23], v[18:19]
	v_add_f64_e32 v[20:21], v[24:25], v[20:21]
	s_wait_loadcnt_dscnt 0x0
	v_mul_f64_e32 v[22:23], v[2:3], v[12:13]
	v_mul_f64_e32 v[12:13], v[4:5], v[12:13]
	s_delay_alu instid0(VALU_DEP_4) | instskip(NEXT) | instid1(VALU_DEP_4)
	v_add_f64_e32 v[8:9], v[18:19], v[30:31]
	v_add_f64_e32 v[14:15], v[20:21], v[28:29]
	s_delay_alu instid0(VALU_DEP_4) | instskip(NEXT) | instid1(VALU_DEP_4)
	v_fma_f64 v[4:5], v[4:5], v[10:11], v[22:23]
	v_fma_f64 v[2:3], v[2:3], v[10:11], -v[12:13]
	s_delay_alu instid0(VALU_DEP_4) | instskip(NEXT) | instid1(VALU_DEP_4)
	v_add_f64_e32 v[6:7], v[8:9], v[6:7]
	v_add_f64_e32 v[8:9], v[14:15], v[16:17]
	s_delay_alu instid0(VALU_DEP_2) | instskip(NEXT) | instid1(VALU_DEP_2)
	v_add_f64_e32 v[2:3], v[6:7], v[2:3]
	v_add_f64_e32 v[4:5], v[8:9], v[4:5]
	s_delay_alu instid0(VALU_DEP_2) | instskip(NEXT) | instid1(VALU_DEP_2)
	v_add_f64_e64 v[2:3], v[42:43], -v[2:3]
	v_add_f64_e64 v[4:5], v[44:45], -v[4:5]
	scratch_store_b128 off, v[2:5], off offset:48
	v_cmpx_lt_u32_e32 1, v0
	s_cbranch_execz .LBB55_347
; %bb.346:
	scratch_load_b128 v[5:8], off, s50
	v_dual_mov_b32 v2, v1 :: v_dual_mov_b32 v3, v1
	v_mov_b32_e32 v4, v1
	scratch_store_b128 off, v[1:4], off offset:32
	s_wait_loadcnt 0x0
	ds_store_b128 v158, v[5:8]
.LBB55_347:
	s_wait_alu 0xfffe
	s_or_b32 exec_lo, exec_lo, s0
	s_wait_storecnt_dscnt 0x0
	s_barrier_signal -1
	s_barrier_wait -1
	global_inv scope:SCOPE_SE
	s_clause 0x8
	scratch_load_b128 v[2:5], off, off offset:48
	scratch_load_b128 v[6:9], off, off offset:64
	;; [unrolled: 1-line block ×9, first 2 shown]
	ds_load_b128 v[42:45], v1 offset:928
	ds_load_b128 v[38:41], v1 offset:944
	s_clause 0x1
	scratch_load_b128 v[159:162], off, off offset:32
	scratch_load_b128 v[163:166], off, off offset:192
	s_mov_b32 s0, exec_lo
	s_wait_loadcnt_dscnt 0xa01
	v_mul_f64_e32 v[167:168], v[44:45], v[4:5]
	v_mul_f64_e32 v[4:5], v[42:43], v[4:5]
	s_wait_loadcnt_dscnt 0x900
	v_mul_f64_e32 v[171:172], v[38:39], v[8:9]
	v_mul_f64_e32 v[8:9], v[40:41], v[8:9]
	s_delay_alu instid0(VALU_DEP_4) | instskip(NEXT) | instid1(VALU_DEP_4)
	v_fma_f64 v[173:174], v[42:43], v[2:3], -v[167:168]
	v_fma_f64 v[175:176], v[44:45], v[2:3], v[4:5]
	ds_load_b128 v[2:5], v1 offset:960
	ds_load_b128 v[167:170], v1 offset:976
	scratch_load_b128 v[42:45], off, off offset:208
	v_fma_f64 v[40:41], v[40:41], v[6:7], v[171:172]
	v_fma_f64 v[38:39], v[38:39], v[6:7], -v[8:9]
	scratch_load_b128 v[6:9], off, off offset:224
	s_wait_loadcnt_dscnt 0xa01
	v_mul_f64_e32 v[177:178], v[2:3], v[12:13]
	v_mul_f64_e32 v[12:13], v[4:5], v[12:13]
	v_add_f64_e32 v[171:172], 0, v[173:174]
	v_add_f64_e32 v[173:174], 0, v[175:176]
	s_wait_loadcnt_dscnt 0x900
	v_mul_f64_e32 v[175:176], v[167:168], v[16:17]
	v_mul_f64_e32 v[16:17], v[169:170], v[16:17]
	v_fma_f64 v[177:178], v[4:5], v[10:11], v[177:178]
	v_fma_f64 v[179:180], v[2:3], v[10:11], -v[12:13]
	ds_load_b128 v[2:5], v1 offset:992
	scratch_load_b128 v[10:13], off, off offset:240
	v_add_f64_e32 v[171:172], v[171:172], v[38:39]
	v_add_f64_e32 v[173:174], v[173:174], v[40:41]
	ds_load_b128 v[38:41], v1 offset:1008
	v_fma_f64 v[169:170], v[169:170], v[14:15], v[175:176]
	v_fma_f64 v[167:168], v[167:168], v[14:15], -v[16:17]
	scratch_load_b128 v[14:17], off, off offset:256
	s_wait_loadcnt_dscnt 0xa01
	v_mul_f64_e32 v[181:182], v[2:3], v[20:21]
	v_mul_f64_e32 v[20:21], v[4:5], v[20:21]
	s_wait_loadcnt_dscnt 0x900
	v_mul_f64_e32 v[175:176], v[38:39], v[24:25]
	v_mul_f64_e32 v[24:25], v[40:41], v[24:25]
	v_add_f64_e32 v[171:172], v[171:172], v[179:180]
	v_add_f64_e32 v[173:174], v[173:174], v[177:178]
	v_fma_f64 v[177:178], v[4:5], v[18:19], v[181:182]
	v_fma_f64 v[179:180], v[2:3], v[18:19], -v[20:21]
	ds_load_b128 v[2:5], v1 offset:1024
	scratch_load_b128 v[18:21], off, off offset:272
	v_fma_f64 v[40:41], v[40:41], v[22:23], v[175:176]
	v_fma_f64 v[38:39], v[38:39], v[22:23], -v[24:25]
	scratch_load_b128 v[22:25], off, off offset:288
	v_add_f64_e32 v[171:172], v[171:172], v[167:168]
	v_add_f64_e32 v[173:174], v[173:174], v[169:170]
	ds_load_b128 v[167:170], v1 offset:1040
	s_wait_loadcnt_dscnt 0xa01
	v_mul_f64_e32 v[181:182], v[2:3], v[28:29]
	v_mul_f64_e32 v[28:29], v[4:5], v[28:29]
	s_wait_loadcnt_dscnt 0x900
	v_mul_f64_e32 v[175:176], v[167:168], v[32:33]
	v_mul_f64_e32 v[32:33], v[169:170], v[32:33]
	v_add_f64_e32 v[171:172], v[171:172], v[179:180]
	v_add_f64_e32 v[173:174], v[173:174], v[177:178]
	v_fma_f64 v[177:178], v[4:5], v[26:27], v[181:182]
	v_fma_f64 v[179:180], v[2:3], v[26:27], -v[28:29]
	ds_load_b128 v[2:5], v1 offset:1056
	scratch_load_b128 v[26:29], off, off offset:304
	v_fma_f64 v[169:170], v[169:170], v[30:31], v[175:176]
	v_fma_f64 v[167:168], v[167:168], v[30:31], -v[32:33]
	scratch_load_b128 v[30:33], off, off offset:320
	v_add_f64_e32 v[171:172], v[171:172], v[38:39]
	v_add_f64_e32 v[173:174], v[173:174], v[40:41]
	ds_load_b128 v[38:41], v1 offset:1072
	s_wait_loadcnt_dscnt 0xa01
	v_mul_f64_e32 v[181:182], v[2:3], v[36:37]
	v_mul_f64_e32 v[36:37], v[4:5], v[36:37]
	s_wait_loadcnt_dscnt 0x800
	v_mul_f64_e32 v[175:176], v[38:39], v[165:166]
	v_add_f64_e32 v[171:172], v[171:172], v[179:180]
	v_add_f64_e32 v[173:174], v[173:174], v[177:178]
	v_mul_f64_e32 v[177:178], v[40:41], v[165:166]
	v_fma_f64 v[179:180], v[4:5], v[34:35], v[181:182]
	v_fma_f64 v[181:182], v[2:3], v[34:35], -v[36:37]
	ds_load_b128 v[2:5], v1 offset:1088
	scratch_load_b128 v[34:37], off, off offset:336
	v_fma_f64 v[175:176], v[40:41], v[163:164], v[175:176]
	v_add_f64_e32 v[171:172], v[171:172], v[167:168]
	v_add_f64_e32 v[169:170], v[173:174], v[169:170]
	ds_load_b128 v[165:168], v1 offset:1104
	v_fma_f64 v[163:164], v[38:39], v[163:164], -v[177:178]
	scratch_load_b128 v[38:41], off, off offset:352
	s_wait_loadcnt_dscnt 0x901
	v_mul_f64_e32 v[173:174], v[2:3], v[44:45]
	v_mul_f64_e32 v[44:45], v[4:5], v[44:45]
	s_wait_loadcnt_dscnt 0x800
	v_mul_f64_e32 v[177:178], v[165:166], v[8:9]
	v_mul_f64_e32 v[8:9], v[167:168], v[8:9]
	v_add_f64_e32 v[171:172], v[171:172], v[181:182]
	v_add_f64_e32 v[169:170], v[169:170], v[179:180]
	v_fma_f64 v[173:174], v[4:5], v[42:43], v[173:174]
	v_fma_f64 v[179:180], v[2:3], v[42:43], -v[44:45]
	ds_load_b128 v[2:5], v1 offset:1120
	scratch_load_b128 v[42:45], off, off offset:368
	v_fma_f64 v[167:168], v[167:168], v[6:7], v[177:178]
	v_fma_f64 v[165:166], v[165:166], v[6:7], -v[8:9]
	scratch_load_b128 v[6:9], off, off offset:384
	v_add_f64_e32 v[163:164], v[171:172], v[163:164]
	v_add_f64_e32 v[175:176], v[169:170], v[175:176]
	ds_load_b128 v[169:172], v1 offset:1136
	s_wait_loadcnt_dscnt 0x901
	v_mul_f64_e32 v[181:182], v[2:3], v[12:13]
	v_mul_f64_e32 v[12:13], v[4:5], v[12:13]
	v_add_f64_e32 v[163:164], v[163:164], v[179:180]
	v_add_f64_e32 v[173:174], v[175:176], v[173:174]
	s_wait_loadcnt_dscnt 0x800
	v_mul_f64_e32 v[175:176], v[169:170], v[16:17]
	v_mul_f64_e32 v[16:17], v[171:172], v[16:17]
	v_fma_f64 v[177:178], v[4:5], v[10:11], v[181:182]
	v_fma_f64 v[179:180], v[2:3], v[10:11], -v[12:13]
	ds_load_b128 v[2:5], v1 offset:1152
	scratch_load_b128 v[10:13], off, off offset:400
	v_add_f64_e32 v[181:182], v[163:164], v[165:166]
	v_add_f64_e32 v[167:168], v[173:174], v[167:168]
	ds_load_b128 v[163:166], v1 offset:1168
	s_wait_loadcnt_dscnt 0x801
	v_mul_f64_e32 v[173:174], v[2:3], v[20:21]
	v_mul_f64_e32 v[20:21], v[4:5], v[20:21]
	v_fma_f64 v[171:172], v[171:172], v[14:15], v[175:176]
	v_fma_f64 v[169:170], v[169:170], v[14:15], -v[16:17]
	scratch_load_b128 v[14:17], off, off offset:416
	v_add_f64_e32 v[175:176], v[181:182], v[179:180]
	v_add_f64_e32 v[167:168], v[167:168], v[177:178]
	s_wait_loadcnt_dscnt 0x800
	v_mul_f64_e32 v[177:178], v[163:164], v[24:25]
	v_mul_f64_e32 v[24:25], v[165:166], v[24:25]
	v_fma_f64 v[173:174], v[4:5], v[18:19], v[173:174]
	v_fma_f64 v[179:180], v[2:3], v[18:19], -v[20:21]
	ds_load_b128 v[2:5], v1 offset:1184
	scratch_load_b128 v[18:21], off, off offset:432
	v_add_f64_e32 v[175:176], v[175:176], v[169:170]
	v_add_f64_e32 v[171:172], v[167:168], v[171:172]
	ds_load_b128 v[167:170], v1 offset:1200
	s_wait_loadcnt_dscnt 0x801
	v_mul_f64_e32 v[181:182], v[2:3], v[28:29]
	v_mul_f64_e32 v[28:29], v[4:5], v[28:29]
	v_fma_f64 v[165:166], v[165:166], v[22:23], v[177:178]
	v_fma_f64 v[163:164], v[163:164], v[22:23], -v[24:25]
	scratch_load_b128 v[22:25], off, off offset:448
	;; [unrolled: 18-line block ×4, first 2 shown]
	s_wait_loadcnt_dscnt 0x800
	v_mul_f64_e32 v[175:176], v[167:168], v[8:9]
	v_mul_f64_e32 v[8:9], v[169:170], v[8:9]
	v_add_f64_e32 v[173:174], v[173:174], v[179:180]
	v_add_f64_e32 v[171:172], v[171:172], v[177:178]
	v_fma_f64 v[177:178], v[4:5], v[42:43], v[181:182]
	v_fma_f64 v[179:180], v[2:3], v[42:43], -v[44:45]
	ds_load_b128 v[2:5], v1 offset:1280
	scratch_load_b128 v[42:45], off, off offset:528
	v_fma_f64 v[169:170], v[169:170], v[6:7], v[175:176]
	v_fma_f64 v[167:168], v[167:168], v[6:7], -v[8:9]
	scratch_load_b128 v[6:9], off, off offset:544
	v_add_f64_e32 v[173:174], v[173:174], v[163:164]
	v_add_f64_e32 v[171:172], v[171:172], v[165:166]
	ds_load_b128 v[163:166], v1 offset:1296
	s_wait_loadcnt_dscnt 0x901
	v_mul_f64_e32 v[181:182], v[2:3], v[12:13]
	v_mul_f64_e32 v[12:13], v[4:5], v[12:13]
	s_wait_loadcnt_dscnt 0x800
	v_mul_f64_e32 v[175:176], v[163:164], v[16:17]
	v_mul_f64_e32 v[16:17], v[165:166], v[16:17]
	v_add_f64_e32 v[173:174], v[173:174], v[179:180]
	v_add_f64_e32 v[171:172], v[171:172], v[177:178]
	v_fma_f64 v[177:178], v[4:5], v[10:11], v[181:182]
	v_fma_f64 v[179:180], v[2:3], v[10:11], -v[12:13]
	ds_load_b128 v[2:5], v1 offset:1312
	scratch_load_b128 v[10:13], off, off offset:560
	v_fma_f64 v[165:166], v[165:166], v[14:15], v[175:176]
	v_fma_f64 v[163:164], v[163:164], v[14:15], -v[16:17]
	scratch_load_b128 v[14:17], off, off offset:576
	v_add_f64_e32 v[173:174], v[173:174], v[167:168]
	v_add_f64_e32 v[171:172], v[171:172], v[169:170]
	ds_load_b128 v[167:170], v1 offset:1328
	s_wait_loadcnt_dscnt 0x901
	v_mul_f64_e32 v[181:182], v[2:3], v[20:21]
	v_mul_f64_e32 v[20:21], v[4:5], v[20:21]
	;; [unrolled: 18-line block ×12, first 2 shown]
	s_wait_loadcnt_dscnt 0x800
	v_mul_f64_e32 v[175:176], v[167:168], v[24:25]
	v_mul_f64_e32 v[24:25], v[169:170], v[24:25]
	v_add_f64_e32 v[173:174], v[173:174], v[179:180]
	v_add_f64_e32 v[171:172], v[171:172], v[177:178]
	v_fma_f64 v[177:178], v[4:5], v[18:19], v[181:182]
	v_fma_f64 v[179:180], v[2:3], v[18:19], -v[20:21]
	ds_load_b128 v[2:5], v1 offset:1664
	ds_load_b128 v[18:21], v1 offset:1680
	v_fma_f64 v[169:170], v[169:170], v[22:23], v[175:176]
	v_fma_f64 v[22:23], v[167:168], v[22:23], -v[24:25]
	v_add_f64_e32 v[163:164], v[173:174], v[163:164]
	v_add_f64_e32 v[165:166], v[171:172], v[165:166]
	s_wait_loadcnt_dscnt 0x701
	v_mul_f64_e32 v[171:172], v[2:3], v[28:29]
	v_mul_f64_e32 v[28:29], v[4:5], v[28:29]
	s_delay_alu instid0(VALU_DEP_4) | instskip(NEXT) | instid1(VALU_DEP_4)
	v_add_f64_e32 v[24:25], v[163:164], v[179:180]
	v_add_f64_e32 v[163:164], v[165:166], v[177:178]
	s_wait_loadcnt_dscnt 0x600
	v_mul_f64_e32 v[165:166], v[18:19], v[32:33]
	v_mul_f64_e32 v[32:33], v[20:21], v[32:33]
	v_fma_f64 v[167:168], v[4:5], v[26:27], v[171:172]
	v_fma_f64 v[26:27], v[2:3], v[26:27], -v[28:29]
	v_add_f64_e32 v[28:29], v[24:25], v[22:23]
	v_add_f64_e32 v[163:164], v[163:164], v[169:170]
	ds_load_b128 v[2:5], v1 offset:1696
	ds_load_b128 v[22:25], v1 offset:1712
	v_fma_f64 v[20:21], v[20:21], v[30:31], v[165:166]
	v_fma_f64 v[18:19], v[18:19], v[30:31], -v[32:33]
	s_wait_loadcnt_dscnt 0x501
	v_mul_f64_e32 v[169:170], v[2:3], v[36:37]
	v_mul_f64_e32 v[36:37], v[4:5], v[36:37]
	s_wait_loadcnt_dscnt 0x400
	v_mul_f64_e32 v[30:31], v[22:23], v[40:41]
	v_mul_f64_e32 v[32:33], v[24:25], v[40:41]
	v_add_f64_e32 v[26:27], v[28:29], v[26:27]
	v_add_f64_e32 v[28:29], v[163:164], v[167:168]
	v_fma_f64 v[40:41], v[4:5], v[34:35], v[169:170]
	v_fma_f64 v[34:35], v[2:3], v[34:35], -v[36:37]
	v_fma_f64 v[24:25], v[24:25], v[38:39], v[30:31]
	v_fma_f64 v[22:23], v[22:23], v[38:39], -v[32:33]
	v_add_f64_e32 v[26:27], v[26:27], v[18:19]
	v_add_f64_e32 v[28:29], v[28:29], v[20:21]
	ds_load_b128 v[2:5], v1 offset:1728
	ds_load_b128 v[18:21], v1 offset:1744
	s_wait_loadcnt_dscnt 0x301
	v_mul_f64_e32 v[36:37], v[2:3], v[44:45]
	v_mul_f64_e32 v[44:45], v[4:5], v[44:45]
	s_wait_loadcnt_dscnt 0x200
	v_mul_f64_e32 v[30:31], v[18:19], v[8:9]
	v_mul_f64_e32 v[8:9], v[20:21], v[8:9]
	v_add_f64_e32 v[26:27], v[26:27], v[34:35]
	v_add_f64_e32 v[28:29], v[28:29], v[40:41]
	v_fma_f64 v[32:33], v[4:5], v[42:43], v[36:37]
	v_fma_f64 v[34:35], v[2:3], v[42:43], -v[44:45]
	v_fma_f64 v[20:21], v[20:21], v[6:7], v[30:31]
	v_fma_f64 v[6:7], v[18:19], v[6:7], -v[8:9]
	v_add_f64_e32 v[26:27], v[26:27], v[22:23]
	v_add_f64_e32 v[28:29], v[28:29], v[24:25]
	ds_load_b128 v[2:5], v1 offset:1760
	ds_load_b128 v[22:25], v1 offset:1776
	s_wait_loadcnt_dscnt 0x101
	v_mul_f64_e32 v[36:37], v[2:3], v[12:13]
	v_mul_f64_e32 v[12:13], v[4:5], v[12:13]
	v_add_f64_e32 v[8:9], v[26:27], v[34:35]
	v_add_f64_e32 v[18:19], v[28:29], v[32:33]
	s_wait_loadcnt_dscnt 0x0
	v_mul_f64_e32 v[26:27], v[22:23], v[16:17]
	v_mul_f64_e32 v[16:17], v[24:25], v[16:17]
	v_fma_f64 v[4:5], v[4:5], v[10:11], v[36:37]
	v_fma_f64 v[1:2], v[2:3], v[10:11], -v[12:13]
	v_add_f64_e32 v[6:7], v[8:9], v[6:7]
	v_add_f64_e32 v[8:9], v[18:19], v[20:21]
	v_fma_f64 v[10:11], v[24:25], v[14:15], v[26:27]
	v_fma_f64 v[12:13], v[22:23], v[14:15], -v[16:17]
	s_delay_alu instid0(VALU_DEP_4) | instskip(NEXT) | instid1(VALU_DEP_4)
	v_add_f64_e32 v[1:2], v[6:7], v[1:2]
	v_add_f64_e32 v[3:4], v[8:9], v[4:5]
	s_delay_alu instid0(VALU_DEP_2) | instskip(NEXT) | instid1(VALU_DEP_2)
	v_add_f64_e32 v[1:2], v[1:2], v[12:13]
	v_add_f64_e32 v[3:4], v[3:4], v[10:11]
	s_delay_alu instid0(VALU_DEP_2) | instskip(NEXT) | instid1(VALU_DEP_2)
	v_add_f64_e64 v[1:2], v[159:160], -v[1:2]
	v_add_f64_e64 v[3:4], v[161:162], -v[3:4]
	scratch_store_b128 off, v[1:4], off offset:32
	v_cmpx_ne_u32_e32 0, v0
	s_cbranch_execz .LBB55_349
; %bb.348:
	scratch_load_b128 v[0:3], off, off offset:16
	v_mov_b32_e32 v4, 0
	s_delay_alu instid0(VALU_DEP_1)
	v_dual_mov_b32 v5, v4 :: v_dual_mov_b32 v6, v4
	v_mov_b32_e32 v7, v4
	scratch_store_b128 off, v[4:7], off offset:16
	s_wait_loadcnt 0x0
	ds_store_b128 v158, v[0:3]
.LBB55_349:
	s_wait_alu 0xfffe
	s_or_b32 exec_lo, exec_lo, s0
	s_wait_storecnt_dscnt 0x0
	s_barrier_signal -1
	s_barrier_wait -1
	global_inv scope:SCOPE_SE
	s_clause 0x7
	scratch_load_b128 v[0:3], off, off offset:32
	scratch_load_b128 v[4:7], off, off offset:48
	;; [unrolled: 1-line block ×8, first 2 shown]
	v_mov_b32_e32 v40, 0
	s_and_b32 vcc_lo, exec_lo, s18
	ds_load_b128 v[36:39], v40 offset:912
	s_clause 0x1
	scratch_load_b128 v[32:35], off, off offset:160
	scratch_load_b128 v[41:44], off, off offset:16
	ds_load_b128 v[158:161], v40 offset:928
	scratch_load_b128 v[162:165], off, off offset:176
	s_wait_loadcnt_dscnt 0xa01
	v_mul_f64_e32 v[166:167], v[38:39], v[2:3]
	v_mul_f64_e32 v[2:3], v[36:37], v[2:3]
	s_delay_alu instid0(VALU_DEP_2) | instskip(NEXT) | instid1(VALU_DEP_2)
	v_fma_f64 v[172:173], v[36:37], v[0:1], -v[166:167]
	v_fma_f64 v[174:175], v[38:39], v[0:1], v[2:3]
	ds_load_b128 v[0:3], v40 offset:944
	s_wait_loadcnt_dscnt 0x901
	v_mul_f64_e32 v[170:171], v[158:159], v[6:7]
	v_mul_f64_e32 v[6:7], v[160:161], v[6:7]
	scratch_load_b128 v[36:39], off, off offset:192
	ds_load_b128 v[166:169], v40 offset:960
	s_wait_loadcnt_dscnt 0x901
	v_mul_f64_e32 v[176:177], v[0:1], v[10:11]
	v_mul_f64_e32 v[10:11], v[2:3], v[10:11]
	v_fma_f64 v[160:161], v[160:161], v[4:5], v[170:171]
	v_fma_f64 v[158:159], v[158:159], v[4:5], -v[6:7]
	v_add_f64_e32 v[170:171], 0, v[172:173]
	v_add_f64_e32 v[172:173], 0, v[174:175]
	scratch_load_b128 v[4:7], off, off offset:208
	v_fma_f64 v[176:177], v[2:3], v[8:9], v[176:177]
	v_fma_f64 v[178:179], v[0:1], v[8:9], -v[10:11]
	ds_load_b128 v[0:3], v40 offset:976
	s_wait_loadcnt_dscnt 0x901
	v_mul_f64_e32 v[174:175], v[166:167], v[14:15]
	v_mul_f64_e32 v[14:15], v[168:169], v[14:15]
	scratch_load_b128 v[8:11], off, off offset:224
	v_add_f64_e32 v[170:171], v[170:171], v[158:159]
	v_add_f64_e32 v[172:173], v[172:173], v[160:161]
	s_wait_loadcnt_dscnt 0x900
	v_mul_f64_e32 v[180:181], v[0:1], v[18:19]
	v_mul_f64_e32 v[18:19], v[2:3], v[18:19]
	ds_load_b128 v[158:161], v40 offset:992
	v_fma_f64 v[168:169], v[168:169], v[12:13], v[174:175]
	v_fma_f64 v[166:167], v[166:167], v[12:13], -v[14:15]
	scratch_load_b128 v[12:15], off, off offset:240
	v_add_f64_e32 v[170:171], v[170:171], v[178:179]
	v_add_f64_e32 v[172:173], v[172:173], v[176:177]
	v_fma_f64 v[176:177], v[2:3], v[16:17], v[180:181]
	v_fma_f64 v[178:179], v[0:1], v[16:17], -v[18:19]
	ds_load_b128 v[0:3], v40 offset:1008
	s_wait_loadcnt_dscnt 0x901
	v_mul_f64_e32 v[174:175], v[158:159], v[22:23]
	v_mul_f64_e32 v[22:23], v[160:161], v[22:23]
	scratch_load_b128 v[16:19], off, off offset:256
	s_wait_loadcnt_dscnt 0x900
	v_mul_f64_e32 v[180:181], v[0:1], v[26:27]
	v_mul_f64_e32 v[26:27], v[2:3], v[26:27]
	v_add_f64_e32 v[170:171], v[170:171], v[166:167]
	v_add_f64_e32 v[172:173], v[172:173], v[168:169]
	ds_load_b128 v[166:169], v40 offset:1024
	v_fma_f64 v[160:161], v[160:161], v[20:21], v[174:175]
	v_fma_f64 v[158:159], v[158:159], v[20:21], -v[22:23]
	scratch_load_b128 v[20:23], off, off offset:272
	v_add_f64_e32 v[170:171], v[170:171], v[178:179]
	v_add_f64_e32 v[172:173], v[172:173], v[176:177]
	v_fma_f64 v[176:177], v[2:3], v[24:25], v[180:181]
	v_fma_f64 v[178:179], v[0:1], v[24:25], -v[26:27]
	ds_load_b128 v[0:3], v40 offset:1040
	s_wait_loadcnt_dscnt 0x901
	v_mul_f64_e32 v[174:175], v[166:167], v[30:31]
	v_mul_f64_e32 v[30:31], v[168:169], v[30:31]
	scratch_load_b128 v[24:27], off, off offset:288
	s_wait_loadcnt_dscnt 0x900
	v_mul_f64_e32 v[180:181], v[0:1], v[34:35]
	v_mul_f64_e32 v[34:35], v[2:3], v[34:35]
	v_add_f64_e32 v[170:171], v[170:171], v[158:159]
	v_add_f64_e32 v[172:173], v[172:173], v[160:161]
	ds_load_b128 v[158:161], v40 offset:1056
	v_fma_f64 v[168:169], v[168:169], v[28:29], v[174:175]
	v_fma_f64 v[166:167], v[166:167], v[28:29], -v[30:31]
	scratch_load_b128 v[28:31], off, off offset:304
	v_add_f64_e32 v[170:171], v[170:171], v[178:179]
	v_add_f64_e32 v[172:173], v[172:173], v[176:177]
	v_fma_f64 v[178:179], v[2:3], v[32:33], v[180:181]
	v_fma_f64 v[180:181], v[0:1], v[32:33], -v[34:35]
	ds_load_b128 v[0:3], v40 offset:1072
	s_wait_loadcnt_dscnt 0x801
	v_mul_f64_e32 v[174:175], v[158:159], v[164:165]
	v_mul_f64_e32 v[176:177], v[160:161], v[164:165]
	scratch_load_b128 v[32:35], off, off offset:320
	v_add_f64_e32 v[170:171], v[170:171], v[166:167]
	v_add_f64_e32 v[168:169], v[172:173], v[168:169]
	ds_load_b128 v[164:167], v40 offset:1088
	v_fma_f64 v[174:175], v[160:161], v[162:163], v[174:175]
	v_fma_f64 v[162:163], v[158:159], v[162:163], -v[176:177]
	scratch_load_b128 v[158:161], off, off offset:336
	s_wait_loadcnt_dscnt 0x901
	v_mul_f64_e32 v[172:173], v[0:1], v[38:39]
	v_mul_f64_e32 v[38:39], v[2:3], v[38:39]
	v_add_f64_e32 v[170:171], v[170:171], v[180:181]
	v_add_f64_e32 v[168:169], v[168:169], v[178:179]
	s_delay_alu instid0(VALU_DEP_4) | instskip(NEXT) | instid1(VALU_DEP_4)
	v_fma_f64 v[172:173], v[2:3], v[36:37], v[172:173]
	v_fma_f64 v[178:179], v[0:1], v[36:37], -v[38:39]
	ds_load_b128 v[0:3], v40 offset:1104
	s_wait_loadcnt_dscnt 0x801
	v_mul_f64_e32 v[176:177], v[164:165], v[6:7]
	v_mul_f64_e32 v[6:7], v[166:167], v[6:7]
	scratch_load_b128 v[36:39], off, off offset:352
	s_wait_loadcnt_dscnt 0x800
	v_mul_f64_e32 v[180:181], v[0:1], v[10:11]
	v_add_f64_e32 v[162:163], v[170:171], v[162:163]
	v_add_f64_e32 v[174:175], v[168:169], v[174:175]
	v_mul_f64_e32 v[10:11], v[2:3], v[10:11]
	ds_load_b128 v[168:171], v40 offset:1120
	v_fma_f64 v[166:167], v[166:167], v[4:5], v[176:177]
	v_fma_f64 v[164:165], v[164:165], v[4:5], -v[6:7]
	scratch_load_b128 v[4:7], off, off offset:368
	v_fma_f64 v[176:177], v[2:3], v[8:9], v[180:181]
	v_add_f64_e32 v[162:163], v[162:163], v[178:179]
	v_add_f64_e32 v[172:173], v[174:175], v[172:173]
	v_fma_f64 v[178:179], v[0:1], v[8:9], -v[10:11]
	ds_load_b128 v[0:3], v40 offset:1136
	s_wait_loadcnt_dscnt 0x801
	v_mul_f64_e32 v[174:175], v[168:169], v[14:15]
	v_mul_f64_e32 v[14:15], v[170:171], v[14:15]
	scratch_load_b128 v[8:11], off, off offset:384
	v_add_f64_e32 v[180:181], v[162:163], v[164:165]
	v_add_f64_e32 v[166:167], v[172:173], v[166:167]
	s_wait_loadcnt_dscnt 0x800
	v_mul_f64_e32 v[172:173], v[0:1], v[18:19]
	v_mul_f64_e32 v[18:19], v[2:3], v[18:19]
	v_fma_f64 v[170:171], v[170:171], v[12:13], v[174:175]
	v_fma_f64 v[168:169], v[168:169], v[12:13], -v[14:15]
	ds_load_b128 v[162:165], v40 offset:1152
	scratch_load_b128 v[12:15], off, off offset:400
	v_add_f64_e32 v[174:175], v[180:181], v[178:179]
	v_add_f64_e32 v[166:167], v[166:167], v[176:177]
	v_fma_f64 v[172:173], v[2:3], v[16:17], v[172:173]
	v_fma_f64 v[178:179], v[0:1], v[16:17], -v[18:19]
	ds_load_b128 v[0:3], v40 offset:1168
	s_wait_loadcnt_dscnt 0x801
	v_mul_f64_e32 v[176:177], v[162:163], v[22:23]
	v_mul_f64_e32 v[22:23], v[164:165], v[22:23]
	scratch_load_b128 v[16:19], off, off offset:416
	s_wait_loadcnt_dscnt 0x800
	v_mul_f64_e32 v[180:181], v[0:1], v[26:27]
	v_mul_f64_e32 v[26:27], v[2:3], v[26:27]
	v_add_f64_e32 v[174:175], v[174:175], v[168:169]
	v_add_f64_e32 v[170:171], v[166:167], v[170:171]
	ds_load_b128 v[166:169], v40 offset:1184
	v_fma_f64 v[164:165], v[164:165], v[20:21], v[176:177]
	v_fma_f64 v[162:163], v[162:163], v[20:21], -v[22:23]
	scratch_load_b128 v[20:23], off, off offset:432
	v_fma_f64 v[176:177], v[2:3], v[24:25], v[180:181]
	v_add_f64_e32 v[174:175], v[174:175], v[178:179]
	v_add_f64_e32 v[170:171], v[170:171], v[172:173]
	v_fma_f64 v[178:179], v[0:1], v[24:25], -v[26:27]
	ds_load_b128 v[0:3], v40 offset:1200
	s_wait_loadcnt_dscnt 0x801
	v_mul_f64_e32 v[172:173], v[166:167], v[30:31]
	v_mul_f64_e32 v[30:31], v[168:169], v[30:31]
	scratch_load_b128 v[24:27], off, off offset:448
	s_wait_loadcnt_dscnt 0x800
	v_mul_f64_e32 v[180:181], v[0:1], v[34:35]
	v_mul_f64_e32 v[34:35], v[2:3], v[34:35]
	v_add_f64_e32 v[174:175], v[174:175], v[162:163]
	v_add_f64_e32 v[170:171], v[170:171], v[164:165]
	ds_load_b128 v[162:165], v40 offset:1216
	v_fma_f64 v[168:169], v[168:169], v[28:29], v[172:173]
	v_fma_f64 v[166:167], v[166:167], v[28:29], -v[30:31]
	scratch_load_b128 v[28:31], off, off offset:464
	v_add_f64_e32 v[172:173], v[174:175], v[178:179]
	v_add_f64_e32 v[170:171], v[170:171], v[176:177]
	v_fma_f64 v[176:177], v[2:3], v[32:33], v[180:181]
	v_fma_f64 v[178:179], v[0:1], v[32:33], -v[34:35]
	ds_load_b128 v[0:3], v40 offset:1232
	s_wait_loadcnt_dscnt 0x801
	v_mul_f64_e32 v[174:175], v[162:163], v[160:161]
	v_mul_f64_e32 v[160:161], v[164:165], v[160:161]
	scratch_load_b128 v[32:35], off, off offset:480
	s_wait_loadcnt_dscnt 0x800
	v_mul_f64_e32 v[180:181], v[0:1], v[38:39]
	v_mul_f64_e32 v[38:39], v[2:3], v[38:39]
	v_add_f64_e32 v[172:173], v[172:173], v[166:167]
	v_add_f64_e32 v[170:171], v[170:171], v[168:169]
	ds_load_b128 v[166:169], v40 offset:1248
	v_fma_f64 v[164:165], v[164:165], v[158:159], v[174:175]
	v_fma_f64 v[162:163], v[162:163], v[158:159], -v[160:161]
	scratch_load_b128 v[158:161], off, off offset:496
	v_add_f64_e32 v[172:173], v[172:173], v[178:179]
	v_add_f64_e32 v[170:171], v[170:171], v[176:177]
	v_fma_f64 v[176:177], v[2:3], v[36:37], v[180:181]
	;; [unrolled: 18-line block ×6, first 2 shown]
	v_fma_f64 v[180:181], v[0:1], v[32:33], -v[34:35]
	ds_load_b128 v[0:3], v40 offset:1392
	s_wait_loadcnt_dscnt 0x801
	v_mul_f64_e32 v[174:175], v[166:167], v[160:161]
	v_mul_f64_e32 v[176:177], v[168:169], v[160:161]
	scratch_load_b128 v[32:35], off, off offset:640
	v_add_f64_e32 v[172:173], v[172:173], v[162:163]
	v_add_f64_e32 v[164:165], v[170:171], v[164:165]
	s_wait_loadcnt_dscnt 0x800
	v_mul_f64_e32 v[170:171], v[0:1], v[38:39]
	v_mul_f64_e32 v[38:39], v[2:3], v[38:39]
	ds_load_b128 v[160:163], v40 offset:1408
	v_fma_f64 v[168:169], v[168:169], v[158:159], v[174:175]
	v_fma_f64 v[158:159], v[166:167], v[158:159], -v[176:177]
	v_add_f64_e32 v[172:173], v[172:173], v[180:181]
	v_add_f64_e32 v[174:175], v[164:165], v[178:179]
	scratch_load_b128 v[164:167], off, off offset:656
	v_fma_f64 v[178:179], v[2:3], v[36:37], v[170:171]
	v_fma_f64 v[180:181], v[0:1], v[36:37], -v[38:39]
	ds_load_b128 v[0:3], v40 offset:1424
	s_wait_loadcnt_dscnt 0x801
	v_mul_f64_e32 v[176:177], v[160:161], v[6:7]
	v_mul_f64_e32 v[6:7], v[162:163], v[6:7]
	scratch_load_b128 v[36:39], off, off offset:672
	v_add_f64_e32 v[158:159], v[172:173], v[158:159]
	v_add_f64_e32 v[172:173], v[174:175], v[168:169]
	s_wait_loadcnt_dscnt 0x800
	v_mul_f64_e32 v[174:175], v[0:1], v[10:11]
	v_mul_f64_e32 v[10:11], v[2:3], v[10:11]
	ds_load_b128 v[168:171], v40 offset:1440
	v_fma_f64 v[162:163], v[162:163], v[4:5], v[176:177]
	v_fma_f64 v[160:161], v[160:161], v[4:5], -v[6:7]
	scratch_load_b128 v[4:7], off, off offset:688
	v_add_f64_e32 v[158:159], v[158:159], v[180:181]
	v_add_f64_e32 v[172:173], v[172:173], v[178:179]
	v_fma_f64 v[174:175], v[2:3], v[8:9], v[174:175]
	v_fma_f64 v[178:179], v[0:1], v[8:9], -v[10:11]
	ds_load_b128 v[0:3], v40 offset:1456
	s_wait_loadcnt_dscnt 0x801
	v_mul_f64_e32 v[176:177], v[168:169], v[14:15]
	v_mul_f64_e32 v[14:15], v[170:171], v[14:15]
	scratch_load_b128 v[8:11], off, off offset:704
	v_add_f64_e32 v[180:181], v[158:159], v[160:161]
	v_add_f64_e32 v[162:163], v[172:173], v[162:163]
	s_wait_loadcnt_dscnt 0x800
	v_mul_f64_e32 v[172:173], v[0:1], v[18:19]
	v_mul_f64_e32 v[18:19], v[2:3], v[18:19]
	ds_load_b128 v[158:161], v40 offset:1472
	v_fma_f64 v[170:171], v[170:171], v[12:13], v[176:177]
	v_fma_f64 v[168:169], v[168:169], v[12:13], -v[14:15]
	scratch_load_b128 v[12:15], off, off offset:720
	v_add_f64_e32 v[176:177], v[180:181], v[178:179]
	v_add_f64_e32 v[162:163], v[162:163], v[174:175]
	v_fma_f64 v[172:173], v[2:3], v[16:17], v[172:173]
	v_fma_f64 v[178:179], v[0:1], v[16:17], -v[18:19]
	ds_load_b128 v[0:3], v40 offset:1488
	s_wait_loadcnt_dscnt 0x801
	v_mul_f64_e32 v[174:175], v[158:159], v[22:23]
	v_mul_f64_e32 v[22:23], v[160:161], v[22:23]
	scratch_load_b128 v[16:19], off, off offset:736
	s_wait_loadcnt_dscnt 0x800
	v_mul_f64_e32 v[180:181], v[0:1], v[26:27]
	v_mul_f64_e32 v[26:27], v[2:3], v[26:27]
	v_add_f64_e32 v[176:177], v[176:177], v[168:169]
	v_add_f64_e32 v[162:163], v[162:163], v[170:171]
	ds_load_b128 v[168:171], v40 offset:1504
	v_fma_f64 v[160:161], v[160:161], v[20:21], v[174:175]
	v_fma_f64 v[158:159], v[158:159], v[20:21], -v[22:23]
	scratch_load_b128 v[20:23], off, off offset:752
	v_add_f64_e32 v[174:175], v[176:177], v[178:179]
	v_add_f64_e32 v[162:163], v[162:163], v[172:173]
	v_fma_f64 v[176:177], v[2:3], v[24:25], v[180:181]
	v_fma_f64 v[178:179], v[0:1], v[24:25], -v[26:27]
	ds_load_b128 v[0:3], v40 offset:1520
	s_wait_loadcnt_dscnt 0x801
	v_mul_f64_e32 v[172:173], v[168:169], v[30:31]
	v_mul_f64_e32 v[30:31], v[170:171], v[30:31]
	scratch_load_b128 v[24:27], off, off offset:768
	s_wait_loadcnt_dscnt 0x800
	v_mul_f64_e32 v[180:181], v[0:1], v[34:35]
	v_mul_f64_e32 v[34:35], v[2:3], v[34:35]
	v_add_f64_e32 v[174:175], v[174:175], v[158:159]
	v_add_f64_e32 v[162:163], v[162:163], v[160:161]
	ds_load_b128 v[158:161], v40 offset:1536
	v_fma_f64 v[170:171], v[170:171], v[28:29], v[172:173]
	v_fma_f64 v[168:169], v[168:169], v[28:29], -v[30:31]
	scratch_load_b128 v[28:31], off, off offset:784
	v_add_f64_e32 v[172:173], v[174:175], v[178:179]
	v_add_f64_e32 v[162:163], v[162:163], v[176:177]
	v_fma_f64 v[178:179], v[2:3], v[32:33], v[180:181]
	v_fma_f64 v[180:181], v[0:1], v[32:33], -v[34:35]
	ds_load_b128 v[0:3], v40 offset:1552
	scratch_load_b128 v[32:35], off, off offset:800
	s_wait_loadcnt_dscnt 0x901
	v_mul_f64_e32 v[174:175], v[158:159], v[166:167]
	v_mul_f64_e32 v[176:177], v[160:161], v[166:167]
	v_add_f64_e32 v[172:173], v[172:173], v[168:169]
	v_add_f64_e32 v[162:163], v[162:163], v[170:171]
	s_wait_loadcnt_dscnt 0x800
	v_mul_f64_e32 v[170:171], v[0:1], v[38:39]
	v_mul_f64_e32 v[38:39], v[2:3], v[38:39]
	ds_load_b128 v[166:169], v40 offset:1568
	v_fma_f64 v[174:175], v[160:161], v[164:165], v[174:175]
	v_fma_f64 v[164:165], v[158:159], v[164:165], -v[176:177]
	scratch_load_b128 v[158:161], off, off offset:816
	v_add_f64_e32 v[172:173], v[172:173], v[180:181]
	v_add_f64_e32 v[162:163], v[162:163], v[178:179]
	v_fma_f64 v[170:171], v[2:3], v[36:37], v[170:171]
	v_fma_f64 v[178:179], v[0:1], v[36:37], -v[38:39]
	ds_load_b128 v[0:3], v40 offset:1584
	s_wait_loadcnt_dscnt 0x801
	v_mul_f64_e32 v[176:177], v[166:167], v[6:7]
	v_mul_f64_e32 v[6:7], v[168:169], v[6:7]
	scratch_load_b128 v[36:39], off, off offset:832
	s_wait_loadcnt_dscnt 0x800
	v_mul_f64_e32 v[180:181], v[0:1], v[10:11]
	v_mul_f64_e32 v[10:11], v[2:3], v[10:11]
	v_add_f64_e32 v[172:173], v[172:173], v[164:165]
	v_add_f64_e32 v[174:175], v[162:163], v[174:175]
	ds_load_b128 v[162:165], v40 offset:1600
	v_fma_f64 v[168:169], v[168:169], v[4:5], v[176:177]
	v_fma_f64 v[166:167], v[166:167], v[4:5], -v[6:7]
	scratch_load_b128 v[4:7], off, off offset:848
	v_fma_f64 v[176:177], v[2:3], v[8:9], v[180:181]
	v_add_f64_e32 v[172:173], v[172:173], v[178:179]
	v_add_f64_e32 v[170:171], v[174:175], v[170:171]
	v_fma_f64 v[178:179], v[0:1], v[8:9], -v[10:11]
	ds_load_b128 v[0:3], v40 offset:1616
	s_wait_loadcnt_dscnt 0x801
	v_mul_f64_e32 v[174:175], v[162:163], v[14:15]
	v_mul_f64_e32 v[14:15], v[164:165], v[14:15]
	scratch_load_b128 v[8:11], off, off offset:864
	s_wait_loadcnt_dscnt 0x800
	v_mul_f64_e32 v[180:181], v[0:1], v[18:19]
	v_mul_f64_e32 v[18:19], v[2:3], v[18:19]
	v_add_f64_e32 v[172:173], v[172:173], v[166:167]
	v_add_f64_e32 v[170:171], v[170:171], v[168:169]
	ds_load_b128 v[166:169], v40 offset:1632
	v_fma_f64 v[164:165], v[164:165], v[12:13], v[174:175]
	v_fma_f64 v[162:163], v[162:163], v[12:13], -v[14:15]
	scratch_load_b128 v[12:15], off, off offset:880
	v_add_f64_e32 v[172:173], v[172:173], v[178:179]
	v_add_f64_e32 v[170:171], v[170:171], v[176:177]
	v_fma_f64 v[176:177], v[2:3], v[16:17], v[180:181]
	v_fma_f64 v[178:179], v[0:1], v[16:17], -v[18:19]
	ds_load_b128 v[0:3], v40 offset:1648
	s_wait_loadcnt_dscnt 0x801
	v_mul_f64_e32 v[174:175], v[166:167], v[22:23]
	v_mul_f64_e32 v[22:23], v[168:169], v[22:23]
	scratch_load_b128 v[16:19], off, off offset:896
	s_wait_loadcnt_dscnt 0x800
	v_mul_f64_e32 v[180:181], v[0:1], v[26:27]
	v_mul_f64_e32 v[26:27], v[2:3], v[26:27]
	v_add_f64_e32 v[172:173], v[172:173], v[162:163]
	v_add_f64_e32 v[170:171], v[170:171], v[164:165]
	ds_load_b128 v[162:165], v40 offset:1664
	v_fma_f64 v[168:169], v[168:169], v[20:21], v[174:175]
	v_fma_f64 v[20:21], v[166:167], v[20:21], -v[22:23]
	v_add_f64_e32 v[22:23], v[172:173], v[178:179]
	v_add_f64_e32 v[166:167], v[170:171], v[176:177]
	s_wait_loadcnt_dscnt 0x700
	v_mul_f64_e32 v[170:171], v[162:163], v[30:31]
	v_mul_f64_e32 v[30:31], v[164:165], v[30:31]
	v_fma_f64 v[172:173], v[2:3], v[24:25], v[180:181]
	v_fma_f64 v[24:25], v[0:1], v[24:25], -v[26:27]
	v_add_f64_e32 v[26:27], v[22:23], v[20:21]
	v_add_f64_e32 v[166:167], v[166:167], v[168:169]
	ds_load_b128 v[0:3], v40 offset:1680
	ds_load_b128 v[20:23], v40 offset:1696
	v_fma_f64 v[164:165], v[164:165], v[28:29], v[170:171]
	v_fma_f64 v[28:29], v[162:163], v[28:29], -v[30:31]
	s_wait_loadcnt_dscnt 0x601
	v_mul_f64_e32 v[168:169], v[0:1], v[34:35]
	v_mul_f64_e32 v[34:35], v[2:3], v[34:35]
	s_wait_loadcnt_dscnt 0x500
	v_mul_f64_e32 v[30:31], v[20:21], v[160:161]
	v_mul_f64_e32 v[160:161], v[22:23], v[160:161]
	v_add_f64_e32 v[24:25], v[26:27], v[24:25]
	v_add_f64_e32 v[26:27], v[166:167], v[172:173]
	v_fma_f64 v[162:163], v[2:3], v[32:33], v[168:169]
	v_fma_f64 v[32:33], v[0:1], v[32:33], -v[34:35]
	v_fma_f64 v[22:23], v[22:23], v[158:159], v[30:31]
	v_fma_f64 v[20:21], v[20:21], v[158:159], -v[160:161]
	v_add_f64_e32 v[28:29], v[24:25], v[28:29]
	v_add_f64_e32 v[34:35], v[26:27], v[164:165]
	ds_load_b128 v[0:3], v40 offset:1712
	ds_load_b128 v[24:27], v40 offset:1728
	s_wait_loadcnt_dscnt 0x401
	v_mul_f64_e32 v[164:165], v[0:1], v[38:39]
	v_mul_f64_e32 v[38:39], v[2:3], v[38:39]
	v_add_f64_e32 v[28:29], v[28:29], v[32:33]
	v_add_f64_e32 v[30:31], v[34:35], v[162:163]
	s_wait_loadcnt_dscnt 0x300
	v_mul_f64_e32 v[32:33], v[24:25], v[6:7]
	v_mul_f64_e32 v[6:7], v[26:27], v[6:7]
	v_fma_f64 v[34:35], v[2:3], v[36:37], v[164:165]
	v_fma_f64 v[36:37], v[0:1], v[36:37], -v[38:39]
	v_add_f64_e32 v[28:29], v[28:29], v[20:21]
	v_add_f64_e32 v[30:31], v[30:31], v[22:23]
	ds_load_b128 v[0:3], v40 offset:1744
	ds_load_b128 v[20:23], v40 offset:1760
	v_fma_f64 v[26:27], v[26:27], v[4:5], v[32:33]
	v_fma_f64 v[4:5], v[24:25], v[4:5], -v[6:7]
	s_wait_loadcnt_dscnt 0x201
	v_mul_f64_e32 v[38:39], v[0:1], v[10:11]
	v_mul_f64_e32 v[10:11], v[2:3], v[10:11]
	v_add_f64_e32 v[6:7], v[28:29], v[36:37]
	v_add_f64_e32 v[24:25], v[30:31], v[34:35]
	s_wait_loadcnt_dscnt 0x100
	v_mul_f64_e32 v[28:29], v[20:21], v[14:15]
	v_mul_f64_e32 v[14:15], v[22:23], v[14:15]
	v_fma_f64 v[30:31], v[2:3], v[8:9], v[38:39]
	v_fma_f64 v[8:9], v[0:1], v[8:9], -v[10:11]
	ds_load_b128 v[0:3], v40 offset:1776
	v_add_f64_e32 v[4:5], v[6:7], v[4:5]
	v_add_f64_e32 v[6:7], v[24:25], v[26:27]
	v_fma_f64 v[22:23], v[22:23], v[12:13], v[28:29]
	v_fma_f64 v[12:13], v[20:21], v[12:13], -v[14:15]
	s_wait_loadcnt_dscnt 0x0
	v_mul_f64_e32 v[10:11], v[0:1], v[18:19]
	v_mul_f64_e32 v[18:19], v[2:3], v[18:19]
	v_add_f64_e32 v[4:5], v[4:5], v[8:9]
	v_add_f64_e32 v[6:7], v[6:7], v[30:31]
	s_delay_alu instid0(VALU_DEP_4) | instskip(NEXT) | instid1(VALU_DEP_4)
	v_fma_f64 v[2:3], v[2:3], v[16:17], v[10:11]
	v_fma_f64 v[0:1], v[0:1], v[16:17], -v[18:19]
	s_delay_alu instid0(VALU_DEP_4) | instskip(NEXT) | instid1(VALU_DEP_4)
	v_add_f64_e32 v[4:5], v[4:5], v[12:13]
	v_add_f64_e32 v[6:7], v[6:7], v[22:23]
	s_delay_alu instid0(VALU_DEP_2) | instskip(NEXT) | instid1(VALU_DEP_2)
	v_add_f64_e32 v[0:1], v[4:5], v[0:1]
	v_add_f64_e32 v[2:3], v[6:7], v[2:3]
	s_delay_alu instid0(VALU_DEP_2) | instskip(NEXT) | instid1(VALU_DEP_2)
	v_add_f64_e64 v[0:1], v[41:42], -v[0:1]
	v_add_f64_e64 v[2:3], v[43:44], -v[2:3]
	scratch_store_b128 off, v[0:3], off offset:16
	s_wait_alu 0xfffe
	s_cbranch_vccz .LBB55_460
; %bb.350:
	global_load_b32 v0, v40, s[2:3] offset:216
	s_wait_loadcnt 0x0
	v_cmp_ne_u32_e32 vcc_lo, 55, v0
	s_cbranch_vccz .LBB55_352
; %bb.351:
	v_lshlrev_b32_e32 v0, 4, v0
	s_delay_alu instid0(VALU_DEP_1)
	v_add_nc_u32_e32 v8, 16, v0
	s_clause 0x1
	scratch_load_b128 v[0:3], v8, off offset:-16
	scratch_load_b128 v[4:7], off, s30
	s_wait_loadcnt 0x1
	scratch_store_b128 off, v[0:3], s30
	s_wait_loadcnt 0x0
	scratch_store_b128 v8, v[4:7], off offset:-16
.LBB55_352:
	v_mov_b32_e32 v0, 0
	global_load_b32 v1, v0, s[2:3] offset:212
	s_wait_loadcnt 0x0
	v_cmp_eq_u32_e32 vcc_lo, 54, v1
	s_cbranch_vccnz .LBB55_354
; %bb.353:
	v_lshlrev_b32_e32 v1, 4, v1
	s_delay_alu instid0(VALU_DEP_1)
	v_add_nc_u32_e32 v9, 16, v1
	s_clause 0x1
	scratch_load_b128 v[1:4], v9, off offset:-16
	scratch_load_b128 v[5:8], off, s29
	s_wait_loadcnt 0x1
	scratch_store_b128 off, v[1:4], s29
	s_wait_loadcnt 0x0
	scratch_store_b128 v9, v[5:8], off offset:-16
.LBB55_354:
	global_load_b32 v0, v0, s[2:3] offset:208
	s_wait_loadcnt 0x0
	v_cmp_eq_u32_e32 vcc_lo, 53, v0
	s_cbranch_vccnz .LBB55_356
; %bb.355:
	v_lshlrev_b32_e32 v0, 4, v0
	s_delay_alu instid0(VALU_DEP_1)
	v_add_nc_u32_e32 v8, 16, v0
	s_clause 0x1
	scratch_load_b128 v[0:3], v8, off offset:-16
	scratch_load_b128 v[4:7], off, s35
	s_wait_loadcnt 0x1
	scratch_store_b128 off, v[0:3], s35
	s_wait_loadcnt 0x0
	scratch_store_b128 v8, v[4:7], off offset:-16
.LBB55_356:
	v_mov_b32_e32 v0, 0
	global_load_b32 v1, v0, s[2:3] offset:204
	s_wait_loadcnt 0x0
	v_cmp_eq_u32_e32 vcc_lo, 52, v1
	s_cbranch_vccnz .LBB55_358
; %bb.357:
	v_lshlrev_b32_e32 v1, 4, v1
	s_delay_alu instid0(VALU_DEP_1)
	v_add_nc_u32_e32 v9, 16, v1
	s_clause 0x1
	scratch_load_b128 v[1:4], v9, off offset:-16
	scratch_load_b128 v[5:8], off, s34
	s_wait_loadcnt 0x1
	scratch_store_b128 off, v[1:4], s34
	s_wait_loadcnt 0x0
	scratch_store_b128 v9, v[5:8], off offset:-16
.LBB55_358:
	global_load_b32 v0, v0, s[2:3] offset:200
	s_wait_loadcnt 0x0
	v_cmp_eq_u32_e32 vcc_lo, 51, v0
	s_cbranch_vccnz .LBB55_360
; %bb.359:
	v_lshlrev_b32_e32 v0, 4, v0
	s_delay_alu instid0(VALU_DEP_1)
	v_add_nc_u32_e32 v8, 16, v0
	s_clause 0x1
	scratch_load_b128 v[0:3], v8, off offset:-16
	scratch_load_b128 v[4:7], off, s39
	s_wait_loadcnt 0x1
	scratch_store_b128 off, v[0:3], s39
	s_wait_loadcnt 0x0
	scratch_store_b128 v8, v[4:7], off offset:-16
.LBB55_360:
	;; [unrolled: 33-line block ×26, first 2 shown]
	v_mov_b32_e32 v0, 0
	global_load_b32 v1, v0, s[2:3] offset:4
	s_wait_loadcnt 0x0
	v_cmp_eq_u32_e32 vcc_lo, 2, v1
	s_cbranch_vccnz .LBB55_458
; %bb.457:
	v_lshlrev_b32_e32 v1, 4, v1
	s_delay_alu instid0(VALU_DEP_1)
	v_add_nc_u32_e32 v9, 16, v1
	s_clause 0x1
	scratch_load_b128 v[1:4], v9, off offset:-16
	scratch_load_b128 v[5:8], off, s50
	s_wait_loadcnt 0x1
	scratch_store_b128 off, v[1:4], s50
	s_wait_loadcnt 0x0
	scratch_store_b128 v9, v[5:8], off offset:-16
.LBB55_458:
	global_load_b32 v0, v0, s[2:3]
	s_wait_loadcnt 0x0
	v_cmp_eq_u32_e32 vcc_lo, 1, v0
	s_cbranch_vccnz .LBB55_460
; %bb.459:
	v_lshlrev_b32_e32 v0, 4, v0
	s_delay_alu instid0(VALU_DEP_1)
	v_add_nc_u32_e32 v8, 16, v0
	scratch_load_b128 v[0:3], v8, off offset:-16
	scratch_load_b128 v[4:7], off, off offset:16
	s_wait_loadcnt 0x1
	scratch_store_b128 off, v[0:3], off offset:16
	s_wait_loadcnt 0x0
	scratch_store_b128 v8, v[4:7], off offset:-16
.LBB55_460:
	scratch_load_b128 v[0:3], off, off offset:16
	s_clause 0x11
	scratch_load_b128 v[4:7], off, s50
	scratch_load_b128 v[8:11], off, s49
	;; [unrolled: 1-line block ×18, first 2 shown]
	s_wait_loadcnt 0x12
	global_store_b128 v[46:47], v[0:3], off
	scratch_load_b128 v[0:3], off, s46
	s_wait_loadcnt 0x12
	global_store_b128 v[48:49], v[4:7], off
	s_clause 0x1
	scratch_load_b128 v[4:7], off, s44
	scratch_load_b128 v[44:47], off, s45
	s_wait_loadcnt 0x13
	global_store_b128 v[50:51], v[8:11], off
	scratch_load_b128 v[8:11], off, s43
	s_wait_loadcnt 0x13
	global_store_b128 v[52:53], v[12:15], off
	s_clause 0x1
	scratch_load_b128 v[12:15], off, s41
	scratch_load_b128 v[48:51], off, s42
	;; [unrolled: 8-line block ×3, first 2 shown]
	s_wait_loadcnt 0x15
	global_store_b128 v[58:59], v[24:27], off
	s_wait_loadcnt 0x14
	global_store_b128 v[60:61], v[28:31], off
	s_clause 0x1
	scratch_load_b128 v[24:27], off, s31
	scratch_load_b128 v[28:31], off, s33
	s_wait_loadcnt 0x15
	global_store_b128 v[62:63], v[32:35], off
	s_clause 0x1
	scratch_load_b128 v[32:35], off, s27
	scratch_load_b128 v[56:59], off, s28
	s_wait_loadcnt 0x16
	global_store_b128 v[66:67], v[36:39], off
	s_clause 0x1
	scratch_load_b128 v[36:39], off, s25
	scratch_load_b128 v[60:63], off, s26
	s_wait_loadcnt 0x17
	global_store_b128 v[64:65], v[40:43], off
	s_wait_loadcnt 0x16
	global_store_b128 v[68:69], v[158:161], off
	s_clause 0x1
	scratch_load_b128 v[40:43], off, s23
	scratch_load_b128 v[64:67], off, s24
	s_wait_loadcnt 0x17
	global_store_b128 v[70:71], v[162:165], off
	s_clause 0x1
	scratch_load_b128 v[68:71], off, s21
	scratch_load_b128 v[158:161], off, s22
	s_wait_loadcnt 0x18
	global_store_b128 v[72:73], v[166:169], off
	s_clause 0x1
	scratch_load_b128 v[162:165], off, s19
	scratch_load_b128 v[166:169], off, s20
	;; [unrolled: 17-line block ×4, first 2 shown]
	s_wait_loadcnt 0x1c
	global_store_b128 v[90:91], v[12:15], off
	s_wait_loadcnt 0x1b
	global_store_b128 v[92:93], v[48:51], off
	s_clause 0x1
	scratch_load_b128 v[12:15], off, s34
	scratch_load_b128 v[48:51], off, s35
	s_wait_loadcnt 0x1c
	global_store_b128 v[94:95], v[16:19], off
	s_clause 0x1
	scratch_load_b128 v[16:19], off, s29
	scratch_load_b128 v[88:91], off, s30
	s_wait_loadcnt 0x1d
	global_store_b128 v[96:97], v[20:23], off
	s_wait_loadcnt 0x1c
	global_store_b128 v[98:99], v[52:55], off
	;; [unrolled: 2-line block ×29, first 2 shown]
	s_wait_loadcnt 0x0
	s_clause 0x1
	global_store_b128 v[154:155], v[88:91], off
	global_store_b128 v[156:157], v[186:189], off
	s_nop 0
	s_sendmsg sendmsg(MSG_DEALLOC_VGPRS)
	s_endpgm
	.section	.rodata,"a",@progbits
	.p2align	6, 0x0
	.amdhsa_kernel _ZN9rocsolver6v33100L18getri_kernel_smallILi56E19rocblas_complex_numIdEPS3_EEvT1_iilPiilS6_bb
		.amdhsa_group_segment_fixed_size 1800
		.amdhsa_private_segment_fixed_size 928
		.amdhsa_kernarg_size 60
		.amdhsa_user_sgpr_count 2
		.amdhsa_user_sgpr_dispatch_ptr 0
		.amdhsa_user_sgpr_queue_ptr 0
		.amdhsa_user_sgpr_kernarg_segment_ptr 1
		.amdhsa_user_sgpr_dispatch_id 0
		.amdhsa_user_sgpr_private_segment_size 0
		.amdhsa_wavefront_size32 1
		.amdhsa_uses_dynamic_stack 0
		.amdhsa_enable_private_segment 1
		.amdhsa_system_sgpr_workgroup_id_x 1
		.amdhsa_system_sgpr_workgroup_id_y 0
		.amdhsa_system_sgpr_workgroup_id_z 0
		.amdhsa_system_sgpr_workgroup_info 0
		.amdhsa_system_vgpr_workitem_id 0
		.amdhsa_next_free_vgpr 206
		.amdhsa_next_free_sgpr 88
		.amdhsa_reserve_vcc 1
		.amdhsa_float_round_mode_32 0
		.amdhsa_float_round_mode_16_64 0
		.amdhsa_float_denorm_mode_32 3
		.amdhsa_float_denorm_mode_16_64 3
		.amdhsa_fp16_overflow 0
		.amdhsa_workgroup_processor_mode 1
		.amdhsa_memory_ordered 1
		.amdhsa_forward_progress 1
		.amdhsa_inst_pref_size 255
		.amdhsa_round_robin_scheduling 0
		.amdhsa_exception_fp_ieee_invalid_op 0
		.amdhsa_exception_fp_denorm_src 0
		.amdhsa_exception_fp_ieee_div_zero 0
		.amdhsa_exception_fp_ieee_overflow 0
		.amdhsa_exception_fp_ieee_underflow 0
		.amdhsa_exception_fp_ieee_inexact 0
		.amdhsa_exception_int_div_zero 0
	.end_amdhsa_kernel
	.section	.text._ZN9rocsolver6v33100L18getri_kernel_smallILi56E19rocblas_complex_numIdEPS3_EEvT1_iilPiilS6_bb,"axG",@progbits,_ZN9rocsolver6v33100L18getri_kernel_smallILi56E19rocblas_complex_numIdEPS3_EEvT1_iilPiilS6_bb,comdat
.Lfunc_end55:
	.size	_ZN9rocsolver6v33100L18getri_kernel_smallILi56E19rocblas_complex_numIdEPS3_EEvT1_iilPiilS6_bb, .Lfunc_end55-_ZN9rocsolver6v33100L18getri_kernel_smallILi56E19rocblas_complex_numIdEPS3_EEvT1_iilPiilS6_bb
                                        ; -- End function
	.set _ZN9rocsolver6v33100L18getri_kernel_smallILi56E19rocblas_complex_numIdEPS3_EEvT1_iilPiilS6_bb.num_vgpr, 206
	.set _ZN9rocsolver6v33100L18getri_kernel_smallILi56E19rocblas_complex_numIdEPS3_EEvT1_iilPiilS6_bb.num_agpr, 0
	.set _ZN9rocsolver6v33100L18getri_kernel_smallILi56E19rocblas_complex_numIdEPS3_EEvT1_iilPiilS6_bb.numbered_sgpr, 88
	.set _ZN9rocsolver6v33100L18getri_kernel_smallILi56E19rocblas_complex_numIdEPS3_EEvT1_iilPiilS6_bb.num_named_barrier, 0
	.set _ZN9rocsolver6v33100L18getri_kernel_smallILi56E19rocblas_complex_numIdEPS3_EEvT1_iilPiilS6_bb.private_seg_size, 928
	.set _ZN9rocsolver6v33100L18getri_kernel_smallILi56E19rocblas_complex_numIdEPS3_EEvT1_iilPiilS6_bb.uses_vcc, 1
	.set _ZN9rocsolver6v33100L18getri_kernel_smallILi56E19rocblas_complex_numIdEPS3_EEvT1_iilPiilS6_bb.uses_flat_scratch, 1
	.set _ZN9rocsolver6v33100L18getri_kernel_smallILi56E19rocblas_complex_numIdEPS3_EEvT1_iilPiilS6_bb.has_dyn_sized_stack, 0
	.set _ZN9rocsolver6v33100L18getri_kernel_smallILi56E19rocblas_complex_numIdEPS3_EEvT1_iilPiilS6_bb.has_recursion, 0
	.set _ZN9rocsolver6v33100L18getri_kernel_smallILi56E19rocblas_complex_numIdEPS3_EEvT1_iilPiilS6_bb.has_indirect_call, 0
	.section	.AMDGPU.csdata,"",@progbits
; Kernel info:
; codeLenInByte = 123788
; TotalNumSgprs: 90
; NumVgprs: 206
; ScratchSize: 928
; MemoryBound: 0
; FloatMode: 240
; IeeeMode: 1
; LDSByteSize: 1800 bytes/workgroup (compile time only)
; SGPRBlocks: 0
; VGPRBlocks: 25
; NumSGPRsForWavesPerEU: 90
; NumVGPRsForWavesPerEU: 206
; Occupancy: 7
; WaveLimiterHint : 1
; COMPUTE_PGM_RSRC2:SCRATCH_EN: 1
; COMPUTE_PGM_RSRC2:USER_SGPR: 2
; COMPUTE_PGM_RSRC2:TRAP_HANDLER: 0
; COMPUTE_PGM_RSRC2:TGID_X_EN: 1
; COMPUTE_PGM_RSRC2:TGID_Y_EN: 0
; COMPUTE_PGM_RSRC2:TGID_Z_EN: 0
; COMPUTE_PGM_RSRC2:TIDIG_COMP_CNT: 0
	.section	.text._ZN9rocsolver6v33100L18getri_kernel_smallILi57E19rocblas_complex_numIdEPS3_EEvT1_iilPiilS6_bb,"axG",@progbits,_ZN9rocsolver6v33100L18getri_kernel_smallILi57E19rocblas_complex_numIdEPS3_EEvT1_iilPiilS6_bb,comdat
	.globl	_ZN9rocsolver6v33100L18getri_kernel_smallILi57E19rocblas_complex_numIdEPS3_EEvT1_iilPiilS6_bb ; -- Begin function _ZN9rocsolver6v33100L18getri_kernel_smallILi57E19rocblas_complex_numIdEPS3_EEvT1_iilPiilS6_bb
	.p2align	8
	.type	_ZN9rocsolver6v33100L18getri_kernel_smallILi57E19rocblas_complex_numIdEPS3_EEvT1_iilPiilS6_bb,@function
_ZN9rocsolver6v33100L18getri_kernel_smallILi57E19rocblas_complex_numIdEPS3_EEvT1_iilPiilS6_bb: ; @_ZN9rocsolver6v33100L18getri_kernel_smallILi57E19rocblas_complex_numIdEPS3_EEvT1_iilPiilS6_bb
; %bb.0:
	s_mov_b32 s2, exec_lo
	v_cmpx_gt_u32_e32 57, v0
	s_cbranch_execz .LBB56_242
; %bb.1:
	s_clause 0x2
	s_load_b32 s2, s[0:1], 0x38
	s_load_b128 s[12:15], s[0:1], 0x10
	s_load_b128 s[4:7], s[0:1], 0x28
	s_mov_b32 s16, ttmp9
	s_wait_kmcnt 0x0
	s_bitcmp1_b32 s2, 8
	s_cselect_b32 s18, -1, 0
	s_bfe_u32 s2, s2, 0x10008
	s_ashr_i32 s17, ttmp9, 31
	s_cmp_eq_u32 s2, 0
                                        ; implicit-def: $sgpr2_sgpr3
	s_cbranch_scc1 .LBB56_3
; %bb.2:
	s_load_b32 s2, s[0:1], 0x20
	s_mul_u64 s[4:5], s[4:5], s[16:17]
	s_delay_alu instid0(SALU_CYCLE_1) | instskip(NEXT) | instid1(SALU_CYCLE_1)
	s_lshl_b64 s[4:5], s[4:5], 2
	s_add_nc_u64 s[4:5], s[14:15], s[4:5]
	s_wait_kmcnt 0x0
	s_ashr_i32 s3, s2, 31
	s_delay_alu instid0(SALU_CYCLE_1) | instskip(NEXT) | instid1(SALU_CYCLE_1)
	s_lshl_b64 s[2:3], s[2:3], 2
	s_add_nc_u64 s[2:3], s[4:5], s[2:3]
.LBB56_3:
	s_clause 0x1
	s_load_b128 s[8:11], s[0:1], 0x0
	s_load_b32 s66, s[0:1], 0x38
	s_mul_u64 s[0:1], s[12:13], s[16:17]
	v_lshlrev_b32_e32 v13, 4, v0
	s_lshl_b64 s[0:1], s[0:1], 4
	s_movk_i32 s12, 0xd0
	s_movk_i32 s13, 0xe0
	;; [unrolled: 1-line block ×15, first 2 shown]
	s_wait_kmcnt 0x0
	v_add3_u32 v5, s11, s11, v0
	s_ashr_i32 s5, s10, 31
	s_mov_b32 s4, s10
	s_add_nc_u64 s[0:1], s[8:9], s[0:1]
	s_lshl_b64 s[4:5], s[4:5], 4
	v_add_nc_u32_e32 v7, s11, v5
	v_ashrrev_i32_e32 v6, 31, v5
	s_add_nc_u64 s[0:1], s[0:1], s[4:5]
	s_ashr_i32 s9, s11, 31
	v_add_co_u32 v46, s4, s0, v13
	v_add_nc_u32_e32 v9, s11, v7
	s_mov_b32 s8, s11
	v_ashrrev_i32_e32 v8, 31, v7
	v_lshlrev_b64_e32 v[5:6], 4, v[5:6]
	v_add_co_ci_u32_e64 v47, null, s1, 0, s4
	s_lshl_b64 s[8:9], s[8:9], 4
	v_ashrrev_i32_e32 v10, 31, v9
	v_add_nc_u32_e32 v11, s11, v9
	v_add_co_u32 v48, vcc_lo, v46, s8
	v_lshlrev_b64_e32 v[7:8], 4, v[7:8]
	v_add_co_ci_u32_e64 v49, null, s9, v47, vcc_lo
	v_add_co_u32 v50, vcc_lo, s0, v5
	s_wait_alu 0xfffd
	v_add_co_ci_u32_e64 v51, null, s1, v6, vcc_lo
	v_lshlrev_b64_e32 v[5:6], 4, v[9:10]
	v_ashrrev_i32_e32 v12, 31, v11
	v_add_nc_u32_e32 v9, s11, v11
	v_add_co_u32 v52, vcc_lo, s0, v7
	s_wait_alu 0xfffd
	v_add_co_ci_u32_e64 v53, null, s1, v8, vcc_lo
	v_lshlrev_b64_e32 v[7:8], 4, v[11:12]
	v_add_nc_u32_e32 v11, s11, v9
	v_ashrrev_i32_e32 v10, 31, v9
	v_add_co_u32 v54, vcc_lo, s0, v5
	s_wait_alu 0xfffd
	v_add_co_ci_u32_e64 v55, null, s1, v6, vcc_lo
	v_add_nc_u32_e32 v14, s11, v11
	v_lshlrev_b64_e32 v[5:6], 4, v[9:10]
	v_ashrrev_i32_e32 v12, 31, v11
	v_add_co_u32 v56, vcc_lo, s0, v7
	s_delay_alu instid0(VALU_DEP_4)
	v_add_nc_u32_e32 v20, s11, v14
	v_ashrrev_i32_e32 v15, 31, v14
	s_wait_alu 0xfffd
	v_add_co_ci_u32_e64 v57, null, s1, v8, vcc_lo
	v_lshlrev_b64_e32 v[18:19], 4, v[11:12]
	v_ashrrev_i32_e32 v21, 31, v20
	v_add_co_u32 v58, vcc_lo, s0, v5
	v_add_nc_u32_e32 v24, s11, v20
	global_load_b128 v[1:4], v13, s[0:1]
	s_wait_alu 0xfffd
	v_add_co_ci_u32_e64 v59, null, s1, v6, vcc_lo
	s_clause 0x1
	global_load_b128 v[5:8], v[48:49], off
	global_load_b128 v[9:12], v[50:51], off
	v_lshlrev_b64_e32 v[22:23], 4, v[14:15]
	v_lshlrev_b64_e32 v[26:27], 4, v[20:21]
	v_add_nc_u32_e32 v30, s11, v24
	v_add_co_u32 v60, vcc_lo, s0, v18
	v_ashrrev_i32_e32 v25, 31, v24
	s_wait_alu 0xfffd
	v_add_co_ci_u32_e64 v61, null, s1, v19, vcc_lo
	v_add_co_u32 v62, vcc_lo, s0, v22
	s_wait_alu 0xfffd
	v_add_co_ci_u32_e64 v63, null, s1, v23, vcc_lo
	v_add_nc_u32_e32 v34, s11, v30
	v_add_co_u32 v64, vcc_lo, s0, v26
	global_load_b128 v[14:17], v[52:53], off
	v_lshlrev_b64_e32 v[32:33], 4, v[24:25]
	s_clause 0x1
	global_load_b128 v[18:21], v[54:55], off
	global_load_b128 v[22:25], v[56:57], off
	s_wait_alu 0xfffd
	v_add_co_ci_u32_e64 v65, null, s1, v27, vcc_lo
	global_load_b128 v[26:29], v[58:59], off
	v_ashrrev_i32_e32 v31, 31, v30
	v_add_nc_u32_e32 v40, s11, v34
	v_ashrrev_i32_e32 v35, 31, v34
	v_add_co_u32 v66, vcc_lo, s0, v32
	s_delay_alu instid0(VALU_DEP_4) | instskip(NEXT) | instid1(VALU_DEP_4)
	v_lshlrev_b64_e32 v[38:39], 4, v[30:31]
	v_add_nc_u32_e32 v44, s11, v40
	s_wait_alu 0xfffd
	v_add_co_ci_u32_e64 v67, null, s1, v33, vcc_lo
	v_lshlrev_b64_e32 v[42:43], 4, v[34:35]
	s_clause 0x1
	global_load_b128 v[30:33], v[60:61], off
	global_load_b128 v[34:37], v[62:63], off
	v_ashrrev_i32_e32 v41, 31, v40
	v_ashrrev_i32_e32 v45, 31, v44
	v_add_co_u32 v68, vcc_lo, s0, v38
	v_add_nc_u32_e32 v74, s11, v44
	s_wait_alu 0xfffd
	v_add_co_ci_u32_e64 v69, null, s1, v39, vcc_lo
	v_lshlrev_b64_e32 v[72:73], 4, v[40:41]
	v_add_co_u32 v70, vcc_lo, s0, v42
	v_lshlrev_b64_e32 v[76:77], 4, v[44:45]
	v_ashrrev_i32_e32 v75, 31, v74
	global_load_b128 v[38:41], v[64:65], off
	s_wait_alu 0xfffd
	v_add_co_ci_u32_e64 v71, null, s1, v43, vcc_lo
	s_clause 0x1
	global_load_b128 v[42:45], v[66:67], off
	global_load_b128 v[142:145], v[68:69], off
	v_add_co_u32 v72, vcc_lo, s0, v72
	v_add_nc_u32_e32 v78, s11, v74
	s_wait_alu 0xfffd
	v_add_co_ci_u32_e64 v73, null, s1, v73, vcc_lo
	v_lshlrev_b64_e32 v[80:81], 4, v[74:75]
	v_add_co_u32 v74, vcc_lo, s0, v76
	s_wait_alu 0xfffd
	v_add_co_ci_u32_e64 v75, null, s1, v77, vcc_lo
	s_clause 0x2
	global_load_b128 v[146:149], v[70:71], off
	global_load_b128 v[150:153], v[72:73], off
	;; [unrolled: 1-line block ×3, first 2 shown]
	v_add_nc_u32_e32 v82, s11, v78
	v_add_co_u32 v76, vcc_lo, s0, v80
	v_ashrrev_i32_e32 v79, 31, v78
	s_wait_alu 0xfffd
	v_add_co_ci_u32_e64 v77, null, s1, v81, vcc_lo
	v_ashrrev_i32_e32 v83, 31, v82
	v_add_nc_u32_e32 v84, s11, v82
	v_lshlrev_b64_e32 v[78:79], 4, v[78:79]
	global_load_b128 v[158:161], v[76:77], off
	s_movk_i32 s4, 0x70
	v_lshlrev_b64_e32 v[82:83], 4, v[82:83]
	v_ashrrev_i32_e32 v85, 31, v84
	v_add_nc_u32_e32 v86, s11, v84
	v_add_co_u32 v80, vcc_lo, s0, v78
	s_wait_alu 0xfffd
	v_add_co_ci_u32_e64 v81, null, s1, v79, vcc_lo
	v_add_co_u32 v78, vcc_lo, s0, v82
	s_wait_alu 0xfffd
	v_add_co_ci_u32_e64 v79, null, s1, v83, vcc_lo
	v_lshlrev_b64_e32 v[82:83], 4, v[84:85]
	s_clause 0x1
	global_load_b128 v[162:165], v[80:81], off
	global_load_b128 v[166:169], v[78:79], off
	v_add_nc_u32_e32 v88, s11, v86
	v_ashrrev_i32_e32 v87, 31, v86
	s_movk_i32 s5, 0x80
	v_add_co_u32 v82, vcc_lo, s0, v82
	s_wait_alu 0xfffd
	v_add_co_ci_u32_e64 v83, null, s1, v83, vcc_lo
	v_ashrrev_i32_e32 v89, 31, v88
	v_lshlrev_b64_e32 v[84:85], 4, v[86:87]
	s_movk_i32 s8, 0x90
	global_load_b128 v[170:173], v[82:83], off
	s_movk_i32 s9, 0xa0
	v_lshlrev_b64_e32 v[86:87], 4, v[88:89]
	v_add_nc_u32_e32 v88, s11, v88
	v_add_co_u32 v84, vcc_lo, s0, v84
	s_wait_alu 0xfffd
	v_add_co_ci_u32_e64 v85, null, s1, v85, vcc_lo
	s_delay_alu instid0(VALU_DEP_3)
	v_add_nc_u32_e32 v90, s11, v88
	v_ashrrev_i32_e32 v89, 31, v88
	v_add_co_u32 v86, vcc_lo, s0, v86
	s_wait_alu 0xfffd
	v_add_co_ci_u32_e64 v87, null, s1, v87, vcc_lo
	v_add_nc_u32_e32 v92, s11, v90
	v_ashrrev_i32_e32 v91, 31, v90
	v_lshlrev_b64_e32 v[88:89], 4, v[88:89]
	s_clause 0x1
	global_load_b128 v[174:177], v[84:85], off
	global_load_b128 v[178:181], v[86:87], off
	s_movk_i32 s10, 0xb0
	v_add_nc_u32_e32 v94, s11, v92
	v_ashrrev_i32_e32 v93, 31, v92
	v_lshlrev_b64_e32 v[90:91], 4, v[90:91]
	v_add_co_u32 v88, vcc_lo, s0, v88
	s_delay_alu instid0(VALU_DEP_4)
	v_add_nc_u32_e32 v96, s11, v94
	v_ashrrev_i32_e32 v95, 31, v94
	v_lshlrev_b64_e32 v[92:93], 4, v[92:93]
	s_wait_alu 0xfffd
	v_add_co_ci_u32_e64 v89, null, s1, v89, vcc_lo
	v_add_nc_u32_e32 v98, s11, v96
	v_ashrrev_i32_e32 v97, 31, v96
	v_lshlrev_b64_e32 v[94:95], 4, v[94:95]
	v_add_co_u32 v90, vcc_lo, s0, v90
	s_delay_alu instid0(VALU_DEP_4)
	v_add_nc_u32_e32 v100, s11, v98
	v_ashrrev_i32_e32 v99, 31, v98
	v_lshlrev_b64_e32 v[96:97], 4, v[96:97]
	s_wait_alu 0xfffd
	v_add_co_ci_u32_e64 v91, null, s1, v91, vcc_lo
	v_add_nc_u32_e32 v102, s11, v100
	v_ashrrev_i32_e32 v101, 31, v100
	v_add_co_u32 v92, vcc_lo, s0, v92
	v_lshlrev_b64_e32 v[98:99], 4, v[98:99]
	s_delay_alu instid0(VALU_DEP_4)
	v_add_nc_u32_e32 v104, s11, v102
	v_ashrrev_i32_e32 v103, 31, v102
	s_wait_alu 0xfffd
	v_add_co_ci_u32_e64 v93, null, s1, v93, vcc_lo
	v_add_co_u32 v94, vcc_lo, s0, v94
	v_add_nc_u32_e32 v106, s11, v104
	v_ashrrev_i32_e32 v105, 31, v104
	v_lshlrev_b64_e32 v[100:101], 4, v[100:101]
	s_wait_alu 0xfffd
	v_add_co_ci_u32_e64 v95, null, s1, v95, vcc_lo
	v_add_nc_u32_e32 v108, s11, v106
	v_ashrrev_i32_e32 v107, 31, v106
	v_add_co_u32 v96, vcc_lo, s0, v96
	v_lshlrev_b64_e32 v[102:103], 4, v[102:103]
	s_delay_alu instid0(VALU_DEP_4)
	v_add_nc_u32_e32 v110, s11, v108
	v_ashrrev_i32_e32 v109, 31, v108
	s_wait_alu 0xfffd
	v_add_co_ci_u32_e64 v97, null, s1, v97, vcc_lo
	v_add_co_u32 v98, vcc_lo, s0, v98
	v_add_nc_u32_e32 v112, s11, v110
	v_lshlrev_b64_e32 v[104:105], 4, v[104:105]
	v_ashrrev_i32_e32 v111, 31, v110
	s_wait_alu 0xfffd
	v_add_co_ci_u32_e64 v99, null, s1, v99, vcc_lo
	v_add_nc_u32_e32 v114, s11, v112
	v_add_co_u32 v100, vcc_lo, s0, v100
	v_lshlrev_b64_e32 v[106:107], 4, v[106:107]
	v_ashrrev_i32_e32 v113, 31, v112
	s_delay_alu instid0(VALU_DEP_4) | instskip(SKIP_3) | instid1(VALU_DEP_3)
	v_add_nc_u32_e32 v116, s11, v114
	s_wait_alu 0xfffd
	v_add_co_ci_u32_e64 v101, null, s1, v101, vcc_lo
	v_add_co_u32 v102, vcc_lo, s0, v102
	v_add_nc_u32_e32 v118, s11, v116
	v_lshlrev_b64_e32 v[108:109], 4, v[108:109]
	v_ashrrev_i32_e32 v115, 31, v114
	s_wait_alu 0xfffd
	v_add_co_ci_u32_e64 v103, null, s1, v103, vcc_lo
	v_add_nc_u32_e32 v120, s11, v118
	v_add_co_u32 v104, vcc_lo, s0, v104
	v_lshlrev_b64_e32 v[110:111], 4, v[110:111]
	v_ashrrev_i32_e32 v117, 31, v116
	s_delay_alu instid0(VALU_DEP_4) | instskip(SKIP_3) | instid1(VALU_DEP_3)
	v_add_nc_u32_e32 v122, s11, v120
	;; [unrolled: 14-line block ×3, first 2 shown]
	s_wait_alu 0xfffd
	v_add_co_ci_u32_e64 v109, null, s1, v109, vcc_lo
	v_add_co_u32 v110, vcc_lo, s0, v110
	v_add_nc_u32_e32 v130, s11, v128
	v_lshlrev_b64_e32 v[116:117], 4, v[116:117]
	v_ashrrev_i32_e32 v123, 31, v122
	s_wait_alu 0xfffd
	v_add_co_ci_u32_e64 v111, null, s1, v111, vcc_lo
	v_add_co_u32 v112, vcc_lo, s0, v112
	v_lshlrev_b64_e32 v[118:119], 4, v[118:119]
	v_ashrrev_i32_e32 v125, 31, v124
	s_wait_alu 0xfffd
	v_add_co_ci_u32_e64 v113, null, s1, v113, vcc_lo
	v_add_co_u32 v114, vcc_lo, s0, v114
	v_lshlrev_b64_e32 v[120:121], 4, v[120:121]
	v_add_nc_u32_e32 v132, s11, v130
	v_ashrrev_i32_e32 v127, 31, v126
	s_wait_alu 0xfffd
	v_add_co_ci_u32_e64 v115, null, s1, v115, vcc_lo
	v_add_co_u32 v116, vcc_lo, s0, v116
	v_lshlrev_b64_e32 v[122:123], 4, v[122:123]
	v_ashrrev_i32_e32 v129, 31, v128
	s_wait_alu 0xfffd
	v_add_co_ci_u32_e64 v117, null, s1, v117, vcc_lo
	v_add_co_u32 v118, vcc_lo, s0, v118
	v_lshlrev_b64_e32 v[124:125], 4, v[124:125]
	v_ashrrev_i32_e32 v131, 31, v130
	v_add_nc_u32_e32 v134, s11, v132
	s_wait_alu 0xfffd
	v_add_co_ci_u32_e64 v119, null, s1, v119, vcc_lo
	v_add_co_u32 v120, vcc_lo, s0, v120
	v_lshlrev_b64_e32 v[126:127], 4, v[126:127]
	v_ashrrev_i32_e32 v133, 31, v132
	s_wait_alu 0xfffd
	v_add_co_ci_u32_e64 v121, null, s1, v121, vcc_lo
	v_add_co_u32 v122, vcc_lo, s0, v122
	v_lshlrev_b64_e32 v[128:129], 4, v[128:129]
	s_clause 0x1
	global_load_b128 v[182:185], v[88:89], off
	global_load_b128 v[186:189], v[90:91], off
	s_wait_alu 0xfffd
	v_add_co_ci_u32_e64 v123, null, s1, v123, vcc_lo
	v_add_co_u32 v124, vcc_lo, s0, v124
	s_clause 0x1
	global_load_b128 v[190:193], v[92:93], off
	global_load_b128 v[194:197], v[94:95], off
	v_add_nc_u32_e32 v136, s11, v134
	s_wait_alu 0xfffd
	v_add_co_ci_u32_e64 v125, null, s1, v125, vcc_lo
	v_add_co_u32 v126, vcc_lo, s0, v126
	s_wait_alu 0xfffd
	v_add_co_ci_u32_e64 v127, null, s1, v127, vcc_lo
	v_add_co_u32 v128, vcc_lo, s0, v128
	v_add_nc_u32_e32 v138, s11, v136
	s_wait_alu 0xfffd
	v_add_co_ci_u32_e64 v129, null, s1, v129, vcc_lo
	v_ashrrev_i32_e32 v135, 31, v134
	v_ashrrev_i32_e32 v137, 31, v136
	v_ashrrev_i32_e32 v139, 31, v138
	s_movk_i32 s35, 0x1c0
	s_movk_i32 s36, 0x1d0
	;; [unrolled: 1-line block ×29, first 2 shown]
	s_wait_alu 0xfffe
	s_add_co_i32 s63, s4, 16
	s_add_co_i32 s62, s5, 16
	;; [unrolled: 1-line block ×19, first 2 shown]
	s_wait_loadcnt 0x18
	scratch_store_b128 off, v[1:4], off offset:16
	s_wait_loadcnt 0x17
	scratch_store_b128 off, v[5:8], off offset:32
	;; [unrolled: 2-line block ×3, first 2 shown]
	v_lshlrev_b64_e32 v[9:10], 4, v[130:131]
	v_lshlrev_b64_e32 v[11:12], 4, v[132:133]
	s_clause 0x1
	global_load_b128 v[1:4], v[96:97], off
	global_load_b128 v[5:8], v[98:99], off
	s_add_co_i32 s43, s34, 16
	s_add_co_i32 s42, s35, 16
	;; [unrolled: 1-line block ×3, first 2 shown]
	v_add_co_u32 v130, vcc_lo, s0, v9
	s_wait_alu 0xfffd
	v_add_co_ci_u32_e64 v131, null, s1, v10, vcc_lo
	v_add_co_u32 v132, vcc_lo, s0, v11
	s_wait_alu 0xfffd
	v_add_co_ci_u32_e64 v133, null, s1, v12, vcc_lo
	s_add_co_i32 s40, s37, 16
	s_wait_loadcnt 0x17
	scratch_store_b128 off, v[14:17], off offset:64
	s_wait_loadcnt 0x16
	scratch_store_b128 off, v[18:21], off offset:80
	;; [unrolled: 2-line block ×3, first 2 shown]
	s_clause 0x1
	global_load_b128 v[9:12], v[100:101], off
	global_load_b128 v[14:17], v[102:103], off
	v_lshlrev_b64_e32 v[18:19], 4, v[134:135]
	s_wait_loadcnt 0x16
	scratch_store_b128 off, v[26:29], off offset:112
	v_add_nc_u32_e32 v26, s11, v138
	s_wait_loadcnt 0x15
	scratch_store_b128 off, v[30:33], off offset:128
	s_wait_loadcnt 0x14
	scratch_store_b128 off, v[34:37], off offset:144
	v_add_nc_u32_e32 v198, s11, v26
	v_lshlrev_b64_e32 v[20:21], 4, v[136:137]
	v_add_co_u32 v134, vcc_lo, s0, v18
	v_ashrrev_i32_e32 v27, 31, v26
	s_delay_alu instid0(VALU_DEP_4) | instskip(SKIP_3) | instid1(VALU_DEP_3)
	v_add_nc_u32_e32 v34, s11, v198
	s_wait_alu 0xfffd
	v_add_co_ci_u32_e64 v135, null, s1, v19, vcc_lo
	v_add_co_u32 v136, vcc_lo, s0, v20
	v_add_nc_u32_e32 v200, s11, v34
	s_wait_alu 0xfffd
	v_add_co_ci_u32_e64 v137, null, s1, v21, vcc_lo
	s_clause 0x1
	global_load_b128 v[18:21], v[104:105], off
	global_load_b128 v[22:25], v[106:107], off
	v_lshlrev_b64_e32 v[28:29], 4, v[138:139]
	v_ashrrev_i32_e32 v199, 31, v198
	s_wait_loadcnt 0x15
	scratch_store_b128 off, v[38:41], off offset:160
	s_wait_loadcnt 0x14
	scratch_store_b128 off, v[42:45], off offset:176
	;; [unrolled: 2-line block ×3, first 2 shown]
	v_add_nc_u32_e32 v42, s11, v200
	v_lshlrev_b64_e32 v[26:27], 4, v[26:27]
	v_lshlrev_b64_e32 v[36:37], 4, v[198:199]
	v_add_co_u32 v138, vcc_lo, s0, v28
	s_delay_alu instid0(VALU_DEP_4)
	v_add_nc_u32_e32 v198, s11, v42
	v_ashrrev_i32_e32 v35, 31, v34
	s_wait_alu 0xfffd
	v_add_co_ci_u32_e64 v139, null, s1, v29, vcc_lo
	v_add_co_u32 v140, vcc_lo, s0, v26
	v_ashrrev_i32_e32 v201, 31, v200
	s_wait_alu 0xfffd
	v_add_co_ci_u32_e64 v141, null, s1, v27, vcc_lo
	s_clause 0x1
	global_load_b128 v[26:29], v[108:109], off
	global_load_b128 v[30:33], v[110:111], off
	s_wait_loadcnt 0x14
	scratch_store_b128 off, v[146:149], off offset:208
	s_wait_loadcnt 0x13
	scratch_store_b128 off, v[150:153], off offset:224
	;; [unrolled: 2-line block ×3, first 2 shown]
	v_add_nc_u32_e32 v150, s11, v198
	v_ashrrev_i32_e32 v43, 31, v42
	v_lshlrev_b64_e32 v[34:35], 4, v[34:35]
	v_ashrrev_i32_e32 v199, 31, v198
	v_lshlrev_b64_e32 v[44:45], 4, v[200:201]
	v_ashrrev_i32_e32 v151, 31, v150
	v_add_co_u32 v142, vcc_lo, s0, v36
	v_lshlrev_b64_e32 v[42:43], 4, v[42:43]
	v_add_nc_u32_e32 v154, s11, v150
	s_wait_alu 0xfffd
	v_add_co_ci_u32_e64 v143, null, s1, v37, vcc_lo
	v_add_co_u32 v144, vcc_lo, s0, v34
	v_lshlrev_b64_e32 v[152:153], 4, v[198:199]
	s_wait_alu 0xfffd
	v_add_co_ci_u32_e64 v145, null, s1, v35, vcc_lo
	v_add_co_u32 v146, vcc_lo, s0, v44
	v_lshlrev_b64_e32 v[156:157], 4, v[150:151]
	s_clause 0x1
	global_load_b128 v[34:37], v[112:113], off
	global_load_b128 v[38:41], v[114:115], off
	s_wait_loadcnt 0x13
	scratch_store_b128 off, v[158:161], off offset:256
	v_add_nc_u32_e32 v158, s11, v154
	s_wait_alu 0xfffd
	v_add_co_ci_u32_e64 v147, null, s1, v45, vcc_lo
	v_add_co_u32 v148, vcc_lo, s0, v42
	s_wait_alu 0xfffd
	v_add_co_ci_u32_e64 v149, null, s1, v43, vcc_lo
	v_add_co_u32 v150, vcc_lo, s0, v152
	;; [unrolled: 3-line block ×3, first 2 shown]
	v_add_nc_u32_e32 v156, s11, v158
	v_ashrrev_i32_e32 v155, 31, v154
	v_ashrrev_i32_e32 v159, 31, v158
	s_wait_alu 0xfffd
	v_add_co_ci_u32_e64 v153, null, s1, v157, vcc_lo
	v_ashrrev_i32_e32 v157, 31, v156
	v_lshlrev_b64_e32 v[154:155], 4, v[154:155]
	v_lshlrev_b64_e32 v[158:159], 4, v[158:159]
	s_wait_loadcnt 0x12
	scratch_store_b128 off, v[162:165], off offset:272
	s_wait_loadcnt 0x11
	scratch_store_b128 off, v[166:169], off offset:288
	s_clause 0x1
	global_load_b128 v[42:45], v[116:117], off
	global_load_b128 v[160:163], v[118:119], off
	v_lshlrev_b64_e32 v[168:169], 4, v[156:157]
	s_wait_loadcnt 0x12
	scratch_store_b128 off, v[170:173], off offset:304
	s_wait_loadcnt 0x11
	scratch_store_b128 off, v[174:177], off offset:320
	v_add_co_u32 v154, vcc_lo, s0, v154
	s_wait_alu 0xfffd
	v_add_co_ci_u32_e64 v155, null, s1, v155, vcc_lo
	v_add_co_u32 v156, vcc_lo, s0, v158
	s_wait_alu 0xfffd
	v_add_co_ci_u32_e64 v157, null, s1, v159, vcc_lo
	v_add_co_u32 v158, vcc_lo, s0, v168
	global_load_b128 v[164:167], v[120:121], off
	s_wait_alu 0xfffd
	v_add_co_ci_u32_e64 v159, null, s1, v169, vcc_lo
	global_load_b128 v[168:171], v[122:123], off
	s_wait_loadcnt 0x12
	scratch_store_b128 off, v[178:181], off offset:336
	s_wait_loadcnt 0x11
	scratch_store_b128 off, v[182:185], off offset:352
	s_wait_loadcnt 0x10
	scratch_store_b128 off, v[186:189], off offset:368
	s_clause 0x1
	global_load_b128 v[172:175], v[124:125], off
	global_load_b128 v[176:179], v[126:127], off
	s_wait_loadcnt 0x11
	scratch_store_b128 off, v[190:193], off offset:384
	s_wait_loadcnt 0x10
	scratch_store_b128 off, v[194:197], off offset:400
	s_clause 0x1
	global_load_b128 v[180:183], v[128:129], off
	global_load_b128 v[184:187], v[130:131], off
	s_movk_i32 s0, 0x50
	s_movk_i32 s1, 0x60
	;; [unrolled: 1-line block ×3, first 2 shown]
	s_wait_alu 0xfffe
	s_add_co_i32 s65, s0, 16
	s_add_co_i32 s64, s1, 16
	;; [unrolled: 1-line block ×29, first 2 shown]
	s_mov_b32 s30, 32
	s_mov_b32 s28, 48
	;; [unrolled: 1-line block ×3, first 2 shown]
	s_movk_i32 s25, 0x50
	s_bitcmp0_b32 s66, 0
	s_mov_b32 s1, -1
	s_wait_loadcnt 0x11
	scratch_store_b128 off, v[1:4], off offset:416
	s_wait_loadcnt 0x10
	scratch_store_b128 off, v[5:8], off offset:432
	s_clause 0x1
	global_load_b128 v[1:4], v[132:133], off
	global_load_b128 v[5:8], v[134:135], off
	s_wait_loadcnt 0x11
	scratch_store_b128 off, v[9:12], off offset:448
	s_wait_loadcnt 0x10
	scratch_store_b128 off, v[14:17], off offset:464
	s_clause 0x1
	global_load_b128 v[9:12], v[136:137], off
	global_load_b128 v[14:17], v[138:139], off
	;; [unrolled: 7-line block ×6, first 2 shown]
	s_wait_loadcnt 0x11
	scratch_store_b128 off, v[164:167], off offset:608
	global_load_b128 v[164:167], v[156:157], off
	s_wait_loadcnt 0x11
	scratch_store_b128 off, v[168:171], off offset:624
	global_load_b128 v[168:171], v[158:159], off
	s_wait_loadcnt 0x11
	scratch_store_b128 off, v[172:175], off offset:640
	s_wait_loadcnt 0x10
	scratch_store_b128 off, v[176:179], off offset:656
	;; [unrolled: 2-line block ×18, first 2 shown]
	s_cbranch_scc1 .LBB56_240
; %bb.4:
	v_cmp_eq_u32_e64 s0, 0, v0
	s_and_saveexec_b32 s1, s0
; %bb.5:
	v_mov_b32_e32 v1, 0
	ds_store_b32 v1, v1 offset:1824
; %bb.6:
	s_wait_alu 0xfffe
	s_or_b32 exec_lo, exec_lo, s1
	s_wait_storecnt_dscnt 0x0
	s_barrier_signal -1
	s_barrier_wait -1
	global_inv scope:SCOPE_SE
	scratch_load_b128 v[1:4], v13, off offset:16
	s_wait_loadcnt 0x0
	v_cmp_eq_f64_e32 vcc_lo, 0, v[1:2]
	v_cmp_eq_f64_e64 s1, 0, v[3:4]
	s_and_b32 s1, vcc_lo, s1
	s_wait_alu 0xfffe
	s_and_saveexec_b32 s66, s1
	s_cbranch_execz .LBB56_10
; %bb.7:
	v_mov_b32_e32 v1, 0
	s_mov_b32 s67, 0
	ds_load_b32 v2, v1 offset:1824
	s_wait_dscnt 0x0
	v_readfirstlane_b32 s1, v2
	v_add_nc_u32_e32 v2, 1, v0
	s_cmp_eq_u32 s1, 0
	s_delay_alu instid0(VALU_DEP_1) | instskip(SKIP_1) | instid1(SALU_CYCLE_1)
	v_cmp_gt_i32_e32 vcc_lo, s1, v2
	s_cselect_b32 s68, -1, 0
	s_or_b32 s68, s68, vcc_lo
	s_delay_alu instid0(SALU_CYCLE_1)
	s_and_b32 exec_lo, exec_lo, s68
	s_cbranch_execz .LBB56_10
; %bb.8:
	v_mov_b32_e32 v3, s1
.LBB56_9:                               ; =>This Inner Loop Header: Depth=1
	ds_cmpstore_rtn_b32 v3, v1, v2, v3 offset:1824
	s_wait_dscnt 0x0
	v_cmp_ne_u32_e32 vcc_lo, 0, v3
	v_cmp_le_i32_e64 s1, v3, v2
	s_and_b32 s1, vcc_lo, s1
	s_wait_alu 0xfffe
	s_and_b32 s1, exec_lo, s1
	s_wait_alu 0xfffe
	s_or_b32 s67, s1, s67
	s_delay_alu instid0(SALU_CYCLE_1)
	s_and_not1_b32 exec_lo, exec_lo, s67
	s_cbranch_execnz .LBB56_9
.LBB56_10:
	s_or_b32 exec_lo, exec_lo, s66
	v_mov_b32_e32 v1, 0
	s_barrier_signal -1
	s_barrier_wait -1
	global_inv scope:SCOPE_SE
	ds_load_b32 v2, v1 offset:1824
	s_and_saveexec_b32 s1, s0
	s_cbranch_execz .LBB56_12
; %bb.11:
	s_lshl_b64 s[66:67], s[16:17], 2
	s_delay_alu instid0(SALU_CYCLE_1)
	s_add_nc_u64 s[66:67], s[6:7], s[66:67]
	s_wait_dscnt 0x0
	global_store_b32 v1, v2, s[66:67]
.LBB56_12:
	s_wait_alu 0xfffe
	s_or_b32 exec_lo, exec_lo, s1
	s_wait_dscnt 0x0
	v_cmp_ne_u32_e32 vcc_lo, 0, v2
	s_mov_b32 s1, 0
	s_cbranch_vccnz .LBB56_240
; %bb.13:
	v_add_nc_u32_e32 v14, 16, v13
                                        ; implicit-def: $vgpr1_vgpr2
                                        ; implicit-def: $vgpr9_vgpr10
	scratch_load_b128 v[5:8], v14, off
	s_wait_loadcnt 0x0
	v_cmp_ngt_f64_e64 s1, |v[5:6]|, |v[7:8]|
	s_wait_alu 0xfffe
	s_and_saveexec_b32 s66, s1
	s_delay_alu instid0(SALU_CYCLE_1)
	s_xor_b32 s1, exec_lo, s66
	s_cbranch_execz .LBB56_15
; %bb.14:
	v_div_scale_f64 v[1:2], null, v[7:8], v[7:8], v[5:6]
	v_div_scale_f64 v[11:12], vcc_lo, v[5:6], v[7:8], v[5:6]
	s_delay_alu instid0(VALU_DEP_2) | instskip(NEXT) | instid1(TRANS32_DEP_1)
	v_rcp_f64_e32 v[3:4], v[1:2]
	v_fma_f64 v[9:10], -v[1:2], v[3:4], 1.0
	s_delay_alu instid0(VALU_DEP_1) | instskip(NEXT) | instid1(VALU_DEP_1)
	v_fma_f64 v[3:4], v[3:4], v[9:10], v[3:4]
	v_fma_f64 v[9:10], -v[1:2], v[3:4], 1.0
	s_delay_alu instid0(VALU_DEP_1) | instskip(NEXT) | instid1(VALU_DEP_1)
	v_fma_f64 v[3:4], v[3:4], v[9:10], v[3:4]
	v_mul_f64_e32 v[9:10], v[11:12], v[3:4]
	s_delay_alu instid0(VALU_DEP_1) | instskip(SKIP_1) | instid1(VALU_DEP_1)
	v_fma_f64 v[1:2], -v[1:2], v[9:10], v[11:12]
	s_wait_alu 0xfffd
	v_div_fmas_f64 v[1:2], v[1:2], v[3:4], v[9:10]
	s_delay_alu instid0(VALU_DEP_1) | instskip(NEXT) | instid1(VALU_DEP_1)
	v_div_fixup_f64 v[1:2], v[1:2], v[7:8], v[5:6]
	v_fma_f64 v[3:4], v[5:6], v[1:2], v[7:8]
	s_delay_alu instid0(VALU_DEP_1) | instskip(SKIP_1) | instid1(VALU_DEP_2)
	v_div_scale_f64 v[5:6], null, v[3:4], v[3:4], 1.0
	v_div_scale_f64 v[11:12], vcc_lo, 1.0, v[3:4], 1.0
	v_rcp_f64_e32 v[7:8], v[5:6]
	s_delay_alu instid0(TRANS32_DEP_1) | instskip(NEXT) | instid1(VALU_DEP_1)
	v_fma_f64 v[9:10], -v[5:6], v[7:8], 1.0
	v_fma_f64 v[7:8], v[7:8], v[9:10], v[7:8]
	s_delay_alu instid0(VALU_DEP_1) | instskip(NEXT) | instid1(VALU_DEP_1)
	v_fma_f64 v[9:10], -v[5:6], v[7:8], 1.0
	v_fma_f64 v[7:8], v[7:8], v[9:10], v[7:8]
	s_delay_alu instid0(VALU_DEP_1) | instskip(NEXT) | instid1(VALU_DEP_1)
	v_mul_f64_e32 v[9:10], v[11:12], v[7:8]
	v_fma_f64 v[5:6], -v[5:6], v[9:10], v[11:12]
	s_wait_alu 0xfffd
	s_delay_alu instid0(VALU_DEP_1) | instskip(NEXT) | instid1(VALU_DEP_1)
	v_div_fmas_f64 v[5:6], v[5:6], v[7:8], v[9:10]
	v_div_fixup_f64 v[3:4], v[5:6], v[3:4], 1.0
                                        ; implicit-def: $vgpr5_vgpr6
	s_delay_alu instid0(VALU_DEP_1) | instskip(SKIP_1) | instid1(VALU_DEP_2)
	v_mul_f64_e32 v[1:2], v[1:2], v[3:4]
	v_xor_b32_e32 v4, 0x80000000, v4
	v_xor_b32_e32 v10, 0x80000000, v2
	s_delay_alu instid0(VALU_DEP_3)
	v_mov_b32_e32 v9, v1
.LBB56_15:
	s_wait_alu 0xfffe
	s_and_not1_saveexec_b32 s1, s1
	s_cbranch_execz .LBB56_17
; %bb.16:
	v_div_scale_f64 v[1:2], null, v[5:6], v[5:6], v[7:8]
	v_div_scale_f64 v[11:12], vcc_lo, v[7:8], v[5:6], v[7:8]
	s_delay_alu instid0(VALU_DEP_2) | instskip(NEXT) | instid1(TRANS32_DEP_1)
	v_rcp_f64_e32 v[3:4], v[1:2]
	v_fma_f64 v[9:10], -v[1:2], v[3:4], 1.0
	s_delay_alu instid0(VALU_DEP_1) | instskip(NEXT) | instid1(VALU_DEP_1)
	v_fma_f64 v[3:4], v[3:4], v[9:10], v[3:4]
	v_fma_f64 v[9:10], -v[1:2], v[3:4], 1.0
	s_delay_alu instid0(VALU_DEP_1) | instskip(NEXT) | instid1(VALU_DEP_1)
	v_fma_f64 v[3:4], v[3:4], v[9:10], v[3:4]
	v_mul_f64_e32 v[9:10], v[11:12], v[3:4]
	s_delay_alu instid0(VALU_DEP_1) | instskip(SKIP_1) | instid1(VALU_DEP_1)
	v_fma_f64 v[1:2], -v[1:2], v[9:10], v[11:12]
	s_wait_alu 0xfffd
	v_div_fmas_f64 v[1:2], v[1:2], v[3:4], v[9:10]
	s_delay_alu instid0(VALU_DEP_1) | instskip(NEXT) | instid1(VALU_DEP_1)
	v_div_fixup_f64 v[3:4], v[1:2], v[5:6], v[7:8]
	v_fma_f64 v[1:2], v[7:8], v[3:4], v[5:6]
	s_delay_alu instid0(VALU_DEP_1) | instskip(NEXT) | instid1(VALU_DEP_1)
	v_div_scale_f64 v[5:6], null, v[1:2], v[1:2], 1.0
	v_rcp_f64_e32 v[7:8], v[5:6]
	s_delay_alu instid0(TRANS32_DEP_1) | instskip(NEXT) | instid1(VALU_DEP_1)
	v_fma_f64 v[9:10], -v[5:6], v[7:8], 1.0
	v_fma_f64 v[7:8], v[7:8], v[9:10], v[7:8]
	s_delay_alu instid0(VALU_DEP_1) | instskip(NEXT) | instid1(VALU_DEP_1)
	v_fma_f64 v[9:10], -v[5:6], v[7:8], 1.0
	v_fma_f64 v[7:8], v[7:8], v[9:10], v[7:8]
	v_div_scale_f64 v[9:10], vcc_lo, 1.0, v[1:2], 1.0
	s_delay_alu instid0(VALU_DEP_1) | instskip(NEXT) | instid1(VALU_DEP_1)
	v_mul_f64_e32 v[11:12], v[9:10], v[7:8]
	v_fma_f64 v[5:6], -v[5:6], v[11:12], v[9:10]
	s_wait_alu 0xfffd
	s_delay_alu instid0(VALU_DEP_1) | instskip(NEXT) | instid1(VALU_DEP_1)
	v_div_fmas_f64 v[5:6], v[5:6], v[7:8], v[11:12]
	v_div_fixup_f64 v[1:2], v[5:6], v[1:2], 1.0
	s_delay_alu instid0(VALU_DEP_1)
	v_mul_f64_e64 v[3:4], v[3:4], -v[1:2]
	v_xor_b32_e32 v10, 0x80000000, v2
	v_mov_b32_e32 v9, v1
.LBB56_17:
	s_wait_alu 0xfffe
	s_or_b32 exec_lo, exec_lo, s1
	scratch_store_b128 v14, v[1:4], off
	scratch_load_b128 v[15:18], off, s30
	v_xor_b32_e32 v12, 0x80000000, v4
	v_mov_b32_e32 v11, v3
	v_add_nc_u32_e32 v5, 0x390, v13
	ds_store_b128 v13, v[9:12]
	s_wait_loadcnt 0x0
	ds_store_b128 v13, v[15:18] offset:912
	s_wait_storecnt_dscnt 0x0
	s_barrier_signal -1
	s_barrier_wait -1
	global_inv scope:SCOPE_SE
	s_and_saveexec_b32 s1, s0
	s_cbranch_execz .LBB56_19
; %bb.18:
	scratch_load_b128 v[1:4], v14, off
	ds_load_b128 v[6:9], v5
	v_mov_b32_e32 v10, 0
	ds_load_b128 v[15:18], v10 offset:16
	s_wait_loadcnt_dscnt 0x1
	v_mul_f64_e32 v[10:11], v[6:7], v[3:4]
	v_mul_f64_e32 v[3:4], v[8:9], v[3:4]
	s_delay_alu instid0(VALU_DEP_2) | instskip(NEXT) | instid1(VALU_DEP_2)
	v_fma_f64 v[8:9], v[8:9], v[1:2], v[10:11]
	v_fma_f64 v[1:2], v[6:7], v[1:2], -v[3:4]
	s_delay_alu instid0(VALU_DEP_2) | instskip(NEXT) | instid1(VALU_DEP_2)
	v_add_f64_e32 v[3:4], 0, v[8:9]
	v_add_f64_e32 v[1:2], 0, v[1:2]
	s_wait_dscnt 0x0
	s_delay_alu instid0(VALU_DEP_2) | instskip(NEXT) | instid1(VALU_DEP_2)
	v_mul_f64_e32 v[6:7], v[3:4], v[17:18]
	v_mul_f64_e32 v[8:9], v[1:2], v[17:18]
	s_delay_alu instid0(VALU_DEP_2) | instskip(NEXT) | instid1(VALU_DEP_2)
	v_fma_f64 v[1:2], v[1:2], v[15:16], -v[6:7]
	v_fma_f64 v[3:4], v[3:4], v[15:16], v[8:9]
	scratch_store_b128 off, v[1:4], off offset:32
.LBB56_19:
	s_wait_alu 0xfffe
	s_or_b32 exec_lo, exec_lo, s1
	s_wait_loadcnt 0x0
	s_wait_storecnt 0x0
	s_barrier_signal -1
	s_barrier_wait -1
	global_inv scope:SCOPE_SE
	scratch_load_b128 v[1:4], off, s28
	s_mov_b32 s1, exec_lo
	s_wait_loadcnt 0x0
	ds_store_b128 v5, v[1:4]
	s_wait_dscnt 0x0
	s_barrier_signal -1
	s_barrier_wait -1
	global_inv scope:SCOPE_SE
	v_cmpx_gt_u32_e32 2, v0
	s_cbranch_execz .LBB56_23
; %bb.20:
	scratch_load_b128 v[1:4], v14, off
	ds_load_b128 v[6:9], v5
	s_wait_loadcnt_dscnt 0x0
	v_mul_f64_e32 v[10:11], v[8:9], v[3:4]
	v_mul_f64_e32 v[3:4], v[6:7], v[3:4]
	s_delay_alu instid0(VALU_DEP_2) | instskip(NEXT) | instid1(VALU_DEP_2)
	v_fma_f64 v[6:7], v[6:7], v[1:2], -v[10:11]
	v_fma_f64 v[3:4], v[8:9], v[1:2], v[3:4]
	s_delay_alu instid0(VALU_DEP_2) | instskip(NEXT) | instid1(VALU_DEP_2)
	v_add_f64_e32 v[1:2], 0, v[6:7]
	v_add_f64_e32 v[3:4], 0, v[3:4]
	s_and_saveexec_b32 s66, s0
	s_cbranch_execz .LBB56_22
; %bb.21:
	scratch_load_b128 v[6:9], off, off offset:32
	v_mov_b32_e32 v10, 0
	ds_load_b128 v[15:18], v10 offset:928
	s_wait_loadcnt_dscnt 0x0
	v_mul_f64_e32 v[10:11], v[15:16], v[8:9]
	v_mul_f64_e32 v[8:9], v[17:18], v[8:9]
	s_delay_alu instid0(VALU_DEP_2) | instskip(NEXT) | instid1(VALU_DEP_2)
	v_fma_f64 v[10:11], v[17:18], v[6:7], v[10:11]
	v_fma_f64 v[6:7], v[15:16], v[6:7], -v[8:9]
	s_delay_alu instid0(VALU_DEP_2) | instskip(NEXT) | instid1(VALU_DEP_2)
	v_add_f64_e32 v[3:4], v[3:4], v[10:11]
	v_add_f64_e32 v[1:2], v[1:2], v[6:7]
.LBB56_22:
	s_or_b32 exec_lo, exec_lo, s66
	v_mov_b32_e32 v6, 0
	ds_load_b128 v[6:9], v6 offset:32
	s_wait_dscnt 0x0
	v_mul_f64_e32 v[10:11], v[3:4], v[8:9]
	v_mul_f64_e32 v[8:9], v[1:2], v[8:9]
	s_delay_alu instid0(VALU_DEP_2) | instskip(NEXT) | instid1(VALU_DEP_2)
	v_fma_f64 v[1:2], v[1:2], v[6:7], -v[10:11]
	v_fma_f64 v[3:4], v[3:4], v[6:7], v[8:9]
	scratch_store_b128 off, v[1:4], off offset:48
.LBB56_23:
	s_wait_alu 0xfffe
	s_or_b32 exec_lo, exec_lo, s1
	s_wait_loadcnt 0x0
	s_wait_storecnt 0x0
	s_barrier_signal -1
	s_barrier_wait -1
	global_inv scope:SCOPE_SE
	scratch_load_b128 v[1:4], off, s26
	v_add_nc_u32_e32 v6, -1, v0
	s_mov_b32 s0, exec_lo
	s_wait_loadcnt 0x0
	ds_store_b128 v5, v[1:4]
	s_wait_dscnt 0x0
	s_barrier_signal -1
	s_barrier_wait -1
	global_inv scope:SCOPE_SE
	v_cmpx_gt_u32_e32 3, v0
	s_cbranch_execz .LBB56_27
; %bb.24:
	v_dual_mov_b32 v1, 0 :: v_dual_add_nc_u32 v8, 0x390, v13
	v_mov_b32_e32 v3, 0
	v_dual_mov_b32 v2, 0 :: v_dual_add_nc_u32 v7, -1, v0
	v_mov_b32_e32 v4, 0
	v_or_b32_e32 v9, 8, v14
	s_mov_b32 s1, 0
.LBB56_25:                              ; =>This Inner Loop Header: Depth=1
	scratch_load_b128 v[15:18], v9, off offset:-8
	ds_load_b128 v[19:22], v8
	v_add_nc_u32_e32 v7, 1, v7
	v_add_nc_u32_e32 v8, 16, v8
	v_add_nc_u32_e32 v9, 16, v9
	s_delay_alu instid0(VALU_DEP_3)
	v_cmp_lt_u32_e32 vcc_lo, 1, v7
	s_wait_alu 0xfffe
	s_or_b32 s1, vcc_lo, s1
	s_wait_loadcnt_dscnt 0x0
	v_mul_f64_e32 v[10:11], v[21:22], v[17:18]
	v_mul_f64_e32 v[17:18], v[19:20], v[17:18]
	s_delay_alu instid0(VALU_DEP_2) | instskip(NEXT) | instid1(VALU_DEP_2)
	v_fma_f64 v[10:11], v[19:20], v[15:16], -v[10:11]
	v_fma_f64 v[15:16], v[21:22], v[15:16], v[17:18]
	s_delay_alu instid0(VALU_DEP_2) | instskip(NEXT) | instid1(VALU_DEP_2)
	v_add_f64_e32 v[3:4], v[3:4], v[10:11]
	v_add_f64_e32 v[1:2], v[1:2], v[15:16]
	s_wait_alu 0xfffe
	s_and_not1_b32 exec_lo, exec_lo, s1
	s_cbranch_execnz .LBB56_25
; %bb.26:
	s_or_b32 exec_lo, exec_lo, s1
	v_mov_b32_e32 v7, 0
	ds_load_b128 v[7:10], v7 offset:48
	s_wait_dscnt 0x0
	v_mul_f64_e32 v[11:12], v[1:2], v[9:10]
	v_mul_f64_e32 v[15:16], v[3:4], v[9:10]
	s_delay_alu instid0(VALU_DEP_2) | instskip(NEXT) | instid1(VALU_DEP_2)
	v_fma_f64 v[9:10], v[3:4], v[7:8], -v[11:12]
	v_fma_f64 v[11:12], v[1:2], v[7:8], v[15:16]
	scratch_store_b128 off, v[9:12], off offset:64
.LBB56_27:
	s_wait_alu 0xfffe
	s_or_b32 exec_lo, exec_lo, s0
	s_wait_loadcnt 0x0
	s_wait_storecnt 0x0
	s_barrier_signal -1
	s_barrier_wait -1
	global_inv scope:SCOPE_SE
	scratch_load_b128 v[1:4], off, s25
	s_mov_b32 s0, exec_lo
	s_wait_loadcnt 0x0
	ds_store_b128 v5, v[1:4]
	s_wait_dscnt 0x0
	s_barrier_signal -1
	s_barrier_wait -1
	global_inv scope:SCOPE_SE
	v_cmpx_gt_u32_e32 4, v0
	s_cbranch_execz .LBB56_31
; %bb.28:
	v_dual_mov_b32 v1, 0 :: v_dual_add_nc_u32 v8, 0x390, v13
	v_mov_b32_e32 v3, 0
	v_dual_mov_b32 v2, 0 :: v_dual_add_nc_u32 v7, -1, v0
	v_mov_b32_e32 v4, 0
	v_or_b32_e32 v9, 8, v14
	s_mov_b32 s1, 0
.LBB56_29:                              ; =>This Inner Loop Header: Depth=1
	scratch_load_b128 v[15:18], v9, off offset:-8
	ds_load_b128 v[19:22], v8
	v_add_nc_u32_e32 v7, 1, v7
	v_add_nc_u32_e32 v8, 16, v8
	v_add_nc_u32_e32 v9, 16, v9
	s_delay_alu instid0(VALU_DEP_3)
	v_cmp_lt_u32_e32 vcc_lo, 2, v7
	s_wait_alu 0xfffe
	s_or_b32 s1, vcc_lo, s1
	s_wait_loadcnt_dscnt 0x0
	v_mul_f64_e32 v[10:11], v[21:22], v[17:18]
	v_mul_f64_e32 v[17:18], v[19:20], v[17:18]
	s_delay_alu instid0(VALU_DEP_2) | instskip(NEXT) | instid1(VALU_DEP_2)
	v_fma_f64 v[10:11], v[19:20], v[15:16], -v[10:11]
	v_fma_f64 v[15:16], v[21:22], v[15:16], v[17:18]
	s_delay_alu instid0(VALU_DEP_2) | instskip(NEXT) | instid1(VALU_DEP_2)
	v_add_f64_e32 v[3:4], v[3:4], v[10:11]
	v_add_f64_e32 v[1:2], v[1:2], v[15:16]
	s_wait_alu 0xfffe
	s_and_not1_b32 exec_lo, exec_lo, s1
	s_cbranch_execnz .LBB56_29
; %bb.30:
	s_or_b32 exec_lo, exec_lo, s1
	v_mov_b32_e32 v7, 0
	ds_load_b128 v[7:10], v7 offset:64
	s_wait_dscnt 0x0
	v_mul_f64_e32 v[11:12], v[1:2], v[9:10]
	v_mul_f64_e32 v[15:16], v[3:4], v[9:10]
	s_delay_alu instid0(VALU_DEP_2) | instskip(NEXT) | instid1(VALU_DEP_2)
	v_fma_f64 v[9:10], v[3:4], v[7:8], -v[11:12]
	v_fma_f64 v[11:12], v[1:2], v[7:8], v[15:16]
	scratch_store_b128 off, v[9:12], off offset:80
.LBB56_31:
	s_wait_alu 0xfffe
	s_or_b32 exec_lo, exec_lo, s0
	s_wait_loadcnt 0x0
	s_wait_storecnt 0x0
	s_barrier_signal -1
	s_barrier_wait -1
	global_inv scope:SCOPE_SE
	scratch_load_b128 v[1:4], off, s65
	;; [unrolled: 58-line block ×19, first 2 shown]
	s_mov_b32 s0, exec_lo
	s_wait_loadcnt 0x0
	ds_store_b128 v5, v[1:4]
	s_wait_dscnt 0x0
	s_barrier_signal -1
	s_barrier_wait -1
	global_inv scope:SCOPE_SE
	v_cmpx_gt_u32_e32 22, v0
	s_cbranch_execz .LBB56_103
; %bb.100:
	v_dual_mov_b32 v1, 0 :: v_dual_add_nc_u32 v8, 0x390, v13
	v_mov_b32_e32 v3, 0
	v_dual_mov_b32 v2, 0 :: v_dual_add_nc_u32 v7, -1, v0
	v_mov_b32_e32 v4, 0
	v_or_b32_e32 v9, 8, v14
	s_mov_b32 s1, 0
.LBB56_101:                             ; =>This Inner Loop Header: Depth=1
	scratch_load_b128 v[15:18], v9, off offset:-8
	ds_load_b128 v[19:22], v8
	v_add_nc_u32_e32 v7, 1, v7
	v_add_nc_u32_e32 v8, 16, v8
	v_add_nc_u32_e32 v9, 16, v9
	s_delay_alu instid0(VALU_DEP_3)
	v_cmp_lt_u32_e32 vcc_lo, 20, v7
	s_wait_alu 0xfffe
	s_or_b32 s1, vcc_lo, s1
	s_wait_loadcnt_dscnt 0x0
	v_mul_f64_e32 v[10:11], v[21:22], v[17:18]
	v_mul_f64_e32 v[17:18], v[19:20], v[17:18]
	s_delay_alu instid0(VALU_DEP_2) | instskip(NEXT) | instid1(VALU_DEP_2)
	v_fma_f64 v[10:11], v[19:20], v[15:16], -v[10:11]
	v_fma_f64 v[15:16], v[21:22], v[15:16], v[17:18]
	s_delay_alu instid0(VALU_DEP_2) | instskip(NEXT) | instid1(VALU_DEP_2)
	v_add_f64_e32 v[3:4], v[3:4], v[10:11]
	v_add_f64_e32 v[1:2], v[1:2], v[15:16]
	s_wait_alu 0xfffe
	s_and_not1_b32 exec_lo, exec_lo, s1
	s_cbranch_execnz .LBB56_101
; %bb.102:
	s_or_b32 exec_lo, exec_lo, s1
	v_mov_b32_e32 v7, 0
	ds_load_b128 v[7:10], v7 offset:352
	s_wait_dscnt 0x0
	v_mul_f64_e32 v[11:12], v[1:2], v[9:10]
	v_mul_f64_e32 v[15:16], v[3:4], v[9:10]
	s_delay_alu instid0(VALU_DEP_2) | instskip(NEXT) | instid1(VALU_DEP_2)
	v_fma_f64 v[9:10], v[3:4], v[7:8], -v[11:12]
	v_fma_f64 v[11:12], v[1:2], v[7:8], v[15:16]
	scratch_store_b128 off, v[9:12], off offset:368
.LBB56_103:
	s_wait_alu 0xfffe
	s_or_b32 exec_lo, exec_lo, s0
	s_wait_loadcnt 0x0
	s_wait_storecnt 0x0
	s_barrier_signal -1
	s_barrier_wait -1
	global_inv scope:SCOPE_SE
	scratch_load_b128 v[1:4], off, s47
	s_mov_b32 s0, exec_lo
	s_wait_loadcnt 0x0
	ds_store_b128 v5, v[1:4]
	s_wait_dscnt 0x0
	s_barrier_signal -1
	s_barrier_wait -1
	global_inv scope:SCOPE_SE
	v_cmpx_gt_u32_e32 23, v0
	s_cbranch_execz .LBB56_107
; %bb.104:
	v_dual_mov_b32 v1, 0 :: v_dual_add_nc_u32 v8, 0x390, v13
	v_mov_b32_e32 v3, 0
	v_dual_mov_b32 v2, 0 :: v_dual_add_nc_u32 v7, -1, v0
	v_mov_b32_e32 v4, 0
	v_or_b32_e32 v9, 8, v14
	s_mov_b32 s1, 0
.LBB56_105:                             ; =>This Inner Loop Header: Depth=1
	scratch_load_b128 v[15:18], v9, off offset:-8
	ds_load_b128 v[19:22], v8
	v_add_nc_u32_e32 v7, 1, v7
	v_add_nc_u32_e32 v8, 16, v8
	v_add_nc_u32_e32 v9, 16, v9
	s_delay_alu instid0(VALU_DEP_3)
	v_cmp_lt_u32_e32 vcc_lo, 21, v7
	s_wait_alu 0xfffe
	s_or_b32 s1, vcc_lo, s1
	s_wait_loadcnt_dscnt 0x0
	v_mul_f64_e32 v[10:11], v[21:22], v[17:18]
	v_mul_f64_e32 v[17:18], v[19:20], v[17:18]
	s_delay_alu instid0(VALU_DEP_2) | instskip(NEXT) | instid1(VALU_DEP_2)
	v_fma_f64 v[10:11], v[19:20], v[15:16], -v[10:11]
	v_fma_f64 v[15:16], v[21:22], v[15:16], v[17:18]
	s_delay_alu instid0(VALU_DEP_2) | instskip(NEXT) | instid1(VALU_DEP_2)
	v_add_f64_e32 v[3:4], v[3:4], v[10:11]
	v_add_f64_e32 v[1:2], v[1:2], v[15:16]
	s_wait_alu 0xfffe
	s_and_not1_b32 exec_lo, exec_lo, s1
	s_cbranch_execnz .LBB56_105
; %bb.106:
	s_or_b32 exec_lo, exec_lo, s1
	v_mov_b32_e32 v7, 0
	ds_load_b128 v[7:10], v7 offset:368
	s_wait_dscnt 0x0
	v_mul_f64_e32 v[11:12], v[1:2], v[9:10]
	v_mul_f64_e32 v[15:16], v[3:4], v[9:10]
	s_delay_alu instid0(VALU_DEP_2) | instskip(NEXT) | instid1(VALU_DEP_2)
	v_fma_f64 v[9:10], v[3:4], v[7:8], -v[11:12]
	v_fma_f64 v[11:12], v[1:2], v[7:8], v[15:16]
	scratch_store_b128 off, v[9:12], off offset:384
.LBB56_107:
	s_wait_alu 0xfffe
	s_or_b32 exec_lo, exec_lo, s0
	s_wait_loadcnt 0x0
	s_wait_storecnt 0x0
	s_barrier_signal -1
	s_barrier_wait -1
	global_inv scope:SCOPE_SE
	scratch_load_b128 v[1:4], off, s46
	;; [unrolled: 58-line block ×34, first 2 shown]
	s_mov_b32 s0, exec_lo
	s_wait_loadcnt 0x0
	ds_store_b128 v5, v[1:4]
	s_wait_dscnt 0x0
	s_barrier_signal -1
	s_barrier_wait -1
	global_inv scope:SCOPE_SE
	v_cmpx_ne_u32_e32 56, v0
	s_cbranch_execz .LBB56_239
; %bb.236:
	v_mov_b32_e32 v1, 0
	v_dual_mov_b32 v2, 0 :: v_dual_mov_b32 v3, 0
	v_mov_b32_e32 v4, 0
	v_or_b32_e32 v7, 8, v14
	s_mov_b32 s1, 0
.LBB56_237:                             ; =>This Inner Loop Header: Depth=1
	scratch_load_b128 v[8:11], v7, off offset:-8
	ds_load_b128 v[12:15], v5
	v_add_nc_u32_e32 v6, 1, v6
	v_add_nc_u32_e32 v5, 16, v5
	;; [unrolled: 1-line block ×3, first 2 shown]
	s_delay_alu instid0(VALU_DEP_3)
	v_cmp_lt_u32_e32 vcc_lo, 54, v6
	s_wait_alu 0xfffe
	s_or_b32 s1, vcc_lo, s1
	s_wait_loadcnt_dscnt 0x0
	v_mul_f64_e32 v[16:17], v[14:15], v[10:11]
	v_mul_f64_e32 v[10:11], v[12:13], v[10:11]
	s_delay_alu instid0(VALU_DEP_2) | instskip(NEXT) | instid1(VALU_DEP_2)
	v_fma_f64 v[12:13], v[12:13], v[8:9], -v[16:17]
	v_fma_f64 v[8:9], v[14:15], v[8:9], v[10:11]
	s_delay_alu instid0(VALU_DEP_2) | instskip(NEXT) | instid1(VALU_DEP_2)
	v_add_f64_e32 v[3:4], v[3:4], v[12:13]
	v_add_f64_e32 v[1:2], v[1:2], v[8:9]
	s_wait_alu 0xfffe
	s_and_not1_b32 exec_lo, exec_lo, s1
	s_cbranch_execnz .LBB56_237
; %bb.238:
	s_or_b32 exec_lo, exec_lo, s1
	v_mov_b32_e32 v5, 0
	ds_load_b128 v[5:8], v5 offset:896
	s_wait_dscnt 0x0
	v_mul_f64_e32 v[9:10], v[1:2], v[7:8]
	v_mul_f64_e32 v[7:8], v[3:4], v[7:8]
	s_delay_alu instid0(VALU_DEP_2) | instskip(NEXT) | instid1(VALU_DEP_2)
	v_fma_f64 v[3:4], v[3:4], v[5:6], -v[9:10]
	v_fma_f64 v[5:6], v[1:2], v[5:6], v[7:8]
	scratch_store_b128 off, v[3:6], off offset:912
.LBB56_239:
	s_wait_alu 0xfffe
	s_or_b32 exec_lo, exec_lo, s0
	s_mov_b32 s1, -1
	s_wait_loadcnt 0x0
	s_wait_storecnt 0x0
	s_barrier_signal -1
	s_barrier_wait -1
	global_inv scope:SCOPE_SE
.LBB56_240:
	s_wait_alu 0xfffe
	s_and_b32 vcc_lo, exec_lo, s1
	s_wait_alu 0xfffe
	s_cbranch_vccz .LBB56_242
; %bb.241:
	v_mov_b32_e32 v1, 0
	s_lshl_b64 s[0:1], s[16:17], 2
	s_wait_alu 0xfffe
	s_add_nc_u64 s[0:1], s[6:7], s[0:1]
	global_load_b32 v1, v1, s[0:1]
	s_wait_loadcnt 0x0
	v_cmp_ne_u32_e32 vcc_lo, 0, v1
	s_cbranch_vccz .LBB56_243
.LBB56_242:
	s_nop 0
	s_sendmsg sendmsg(MSG_DEALLOC_VGPRS)
	s_endpgm
.LBB56_243:
	v_lshl_add_u32 v160, v0, 4, 0x390
	s_mov_b32 s0, exec_lo
	v_cmpx_eq_u32_e32 56, v0
	s_cbranch_execz .LBB56_245
; %bb.244:
	scratch_load_b128 v[1:4], off, s19
	v_mov_b32_e32 v5, 0
	s_delay_alu instid0(VALU_DEP_1)
	v_dual_mov_b32 v6, v5 :: v_dual_mov_b32 v7, v5
	v_mov_b32_e32 v8, v5
	scratch_store_b128 off, v[5:8], off offset:896
	s_wait_loadcnt 0x0
	ds_store_b128 v160, v[1:4]
.LBB56_245:
	s_wait_alu 0xfffe
	s_or_b32 exec_lo, exec_lo, s0
	s_wait_storecnt_dscnt 0x0
	s_barrier_signal -1
	s_barrier_wait -1
	global_inv scope:SCOPE_SE
	s_clause 0x1
	scratch_load_b128 v[2:5], off, off offset:912
	scratch_load_b128 v[6:9], off, off offset:896
	v_mov_b32_e32 v1, 0
	s_mov_b32 s0, exec_lo
	ds_load_b128 v[10:13], v1 offset:1808
	s_wait_loadcnt_dscnt 0x100
	v_mul_f64_e32 v[14:15], v[12:13], v[4:5]
	v_mul_f64_e32 v[4:5], v[10:11], v[4:5]
	s_delay_alu instid0(VALU_DEP_2) | instskip(NEXT) | instid1(VALU_DEP_2)
	v_fma_f64 v[10:11], v[10:11], v[2:3], -v[14:15]
	v_fma_f64 v[2:3], v[12:13], v[2:3], v[4:5]
	s_delay_alu instid0(VALU_DEP_2) | instskip(NEXT) | instid1(VALU_DEP_2)
	v_add_f64_e32 v[4:5], 0, v[10:11]
	v_add_f64_e32 v[10:11], 0, v[2:3]
	s_wait_loadcnt 0x0
	s_delay_alu instid0(VALU_DEP_2) | instskip(NEXT) | instid1(VALU_DEP_2)
	v_add_f64_e64 v[2:3], v[6:7], -v[4:5]
	v_add_f64_e64 v[4:5], v[8:9], -v[10:11]
	scratch_store_b128 off, v[2:5], off offset:896
	v_cmpx_lt_u32_e32 54, v0
	s_cbranch_execz .LBB56_247
; %bb.246:
	scratch_load_b128 v[5:8], off, s21
	v_dual_mov_b32 v2, v1 :: v_dual_mov_b32 v3, v1
	v_mov_b32_e32 v4, v1
	scratch_store_b128 off, v[1:4], off offset:880
	s_wait_loadcnt 0x0
	ds_store_b128 v160, v[5:8]
.LBB56_247:
	s_wait_alu 0xfffe
	s_or_b32 exec_lo, exec_lo, s0
	s_wait_storecnt_dscnt 0x0
	s_barrier_signal -1
	s_barrier_wait -1
	global_inv scope:SCOPE_SE
	s_clause 0x2
	scratch_load_b128 v[2:5], off, off offset:896
	scratch_load_b128 v[6:9], off, off offset:912
	;; [unrolled: 1-line block ×3, first 2 shown]
	ds_load_b128 v[14:17], v1 offset:1792
	ds_load_b128 v[18:21], v1 offset:1808
	s_mov_b32 s0, exec_lo
	s_wait_loadcnt_dscnt 0x201
	v_mul_f64_e32 v[22:23], v[16:17], v[4:5]
	v_mul_f64_e32 v[4:5], v[14:15], v[4:5]
	s_wait_loadcnt_dscnt 0x100
	v_mul_f64_e32 v[24:25], v[18:19], v[8:9]
	v_mul_f64_e32 v[8:9], v[20:21], v[8:9]
	s_delay_alu instid0(VALU_DEP_4) | instskip(NEXT) | instid1(VALU_DEP_4)
	v_fma_f64 v[14:15], v[14:15], v[2:3], -v[22:23]
	v_fma_f64 v[1:2], v[16:17], v[2:3], v[4:5]
	s_delay_alu instid0(VALU_DEP_4) | instskip(NEXT) | instid1(VALU_DEP_4)
	v_fma_f64 v[3:4], v[20:21], v[6:7], v[24:25]
	v_fma_f64 v[5:6], v[18:19], v[6:7], -v[8:9]
	s_delay_alu instid0(VALU_DEP_4) | instskip(NEXT) | instid1(VALU_DEP_4)
	v_add_f64_e32 v[7:8], 0, v[14:15]
	v_add_f64_e32 v[1:2], 0, v[1:2]
	s_delay_alu instid0(VALU_DEP_2) | instskip(NEXT) | instid1(VALU_DEP_2)
	v_add_f64_e32 v[5:6], v[7:8], v[5:6]
	v_add_f64_e32 v[3:4], v[1:2], v[3:4]
	s_wait_loadcnt 0x0
	s_delay_alu instid0(VALU_DEP_2) | instskip(NEXT) | instid1(VALU_DEP_2)
	v_add_f64_e64 v[1:2], v[10:11], -v[5:6]
	v_add_f64_e64 v[3:4], v[12:13], -v[3:4]
	scratch_store_b128 off, v[1:4], off offset:880
	v_cmpx_lt_u32_e32 53, v0
	s_cbranch_execz .LBB56_249
; %bb.248:
	scratch_load_b128 v[1:4], off, s4
	v_mov_b32_e32 v5, 0
	s_delay_alu instid0(VALU_DEP_1)
	v_dual_mov_b32 v6, v5 :: v_dual_mov_b32 v7, v5
	v_mov_b32_e32 v8, v5
	scratch_store_b128 off, v[5:8], off offset:864
	s_wait_loadcnt 0x0
	ds_store_b128 v160, v[1:4]
.LBB56_249:
	s_wait_alu 0xfffe
	s_or_b32 exec_lo, exec_lo, s0
	s_wait_storecnt_dscnt 0x0
	s_barrier_signal -1
	s_barrier_wait -1
	global_inv scope:SCOPE_SE
	s_clause 0x3
	scratch_load_b128 v[2:5], off, off offset:880
	scratch_load_b128 v[6:9], off, off offset:896
	scratch_load_b128 v[10:13], off, off offset:912
	scratch_load_b128 v[14:17], off, off offset:864
	v_mov_b32_e32 v1, 0
	ds_load_b128 v[18:21], v1 offset:1776
	ds_load_b128 v[22:25], v1 offset:1792
	s_mov_b32 s0, exec_lo
	s_wait_loadcnt_dscnt 0x301
	v_mul_f64_e32 v[26:27], v[20:21], v[4:5]
	v_mul_f64_e32 v[4:5], v[18:19], v[4:5]
	s_wait_loadcnt_dscnt 0x200
	v_mul_f64_e32 v[28:29], v[22:23], v[8:9]
	v_mul_f64_e32 v[8:9], v[24:25], v[8:9]
	s_delay_alu instid0(VALU_DEP_4) | instskip(NEXT) | instid1(VALU_DEP_4)
	v_fma_f64 v[18:19], v[18:19], v[2:3], -v[26:27]
	v_fma_f64 v[20:21], v[20:21], v[2:3], v[4:5]
	ds_load_b128 v[2:5], v1 offset:1808
	v_fma_f64 v[24:25], v[24:25], v[6:7], v[28:29]
	v_fma_f64 v[6:7], v[22:23], v[6:7], -v[8:9]
	s_wait_loadcnt_dscnt 0x100
	v_mul_f64_e32 v[26:27], v[2:3], v[12:13]
	v_mul_f64_e32 v[12:13], v[4:5], v[12:13]
	v_add_f64_e32 v[8:9], 0, v[18:19]
	v_add_f64_e32 v[18:19], 0, v[20:21]
	s_delay_alu instid0(VALU_DEP_4) | instskip(NEXT) | instid1(VALU_DEP_4)
	v_fma_f64 v[4:5], v[4:5], v[10:11], v[26:27]
	v_fma_f64 v[2:3], v[2:3], v[10:11], -v[12:13]
	s_delay_alu instid0(VALU_DEP_4) | instskip(NEXT) | instid1(VALU_DEP_4)
	v_add_f64_e32 v[6:7], v[8:9], v[6:7]
	v_add_f64_e32 v[8:9], v[18:19], v[24:25]
	s_delay_alu instid0(VALU_DEP_2) | instskip(NEXT) | instid1(VALU_DEP_2)
	v_add_f64_e32 v[2:3], v[6:7], v[2:3]
	v_add_f64_e32 v[4:5], v[8:9], v[4:5]
	s_wait_loadcnt 0x0
	s_delay_alu instid0(VALU_DEP_2) | instskip(NEXT) | instid1(VALU_DEP_2)
	v_add_f64_e64 v[2:3], v[14:15], -v[2:3]
	v_add_f64_e64 v[4:5], v[16:17], -v[4:5]
	scratch_store_b128 off, v[2:5], off offset:864
	v_cmpx_lt_u32_e32 52, v0
	s_cbranch_execz .LBB56_251
; %bb.250:
	scratch_load_b128 v[5:8], off, s5
	v_dual_mov_b32 v2, v1 :: v_dual_mov_b32 v3, v1
	v_mov_b32_e32 v4, v1
	scratch_store_b128 off, v[1:4], off offset:848
	s_wait_loadcnt 0x0
	ds_store_b128 v160, v[5:8]
.LBB56_251:
	s_wait_alu 0xfffe
	s_or_b32 exec_lo, exec_lo, s0
	s_wait_storecnt_dscnt 0x0
	s_barrier_signal -1
	s_barrier_wait -1
	global_inv scope:SCOPE_SE
	s_clause 0x4
	scratch_load_b128 v[2:5], off, off offset:864
	scratch_load_b128 v[6:9], off, off offset:880
	;; [unrolled: 1-line block ×5, first 2 shown]
	ds_load_b128 v[22:25], v1 offset:1760
	ds_load_b128 v[26:29], v1 offset:1776
	s_mov_b32 s0, exec_lo
	s_wait_loadcnt_dscnt 0x401
	v_mul_f64_e32 v[30:31], v[24:25], v[4:5]
	v_mul_f64_e32 v[4:5], v[22:23], v[4:5]
	s_wait_loadcnt_dscnt 0x300
	v_mul_f64_e32 v[32:33], v[26:27], v[8:9]
	v_mul_f64_e32 v[8:9], v[28:29], v[8:9]
	s_delay_alu instid0(VALU_DEP_4) | instskip(NEXT) | instid1(VALU_DEP_4)
	v_fma_f64 v[30:31], v[22:23], v[2:3], -v[30:31]
	v_fma_f64 v[34:35], v[24:25], v[2:3], v[4:5]
	ds_load_b128 v[2:5], v1 offset:1792
	ds_load_b128 v[22:25], v1 offset:1808
	v_fma_f64 v[28:29], v[28:29], v[6:7], v[32:33]
	v_fma_f64 v[6:7], v[26:27], v[6:7], -v[8:9]
	s_wait_loadcnt_dscnt 0x201
	v_mul_f64_e32 v[36:37], v[2:3], v[12:13]
	v_mul_f64_e32 v[12:13], v[4:5], v[12:13]
	v_add_f64_e32 v[8:9], 0, v[30:31]
	v_add_f64_e32 v[26:27], 0, v[34:35]
	s_wait_loadcnt_dscnt 0x100
	v_mul_f64_e32 v[30:31], v[22:23], v[16:17]
	v_mul_f64_e32 v[16:17], v[24:25], v[16:17]
	v_fma_f64 v[4:5], v[4:5], v[10:11], v[36:37]
	v_fma_f64 v[1:2], v[2:3], v[10:11], -v[12:13]
	v_add_f64_e32 v[6:7], v[8:9], v[6:7]
	v_add_f64_e32 v[8:9], v[26:27], v[28:29]
	v_fma_f64 v[10:11], v[24:25], v[14:15], v[30:31]
	v_fma_f64 v[12:13], v[22:23], v[14:15], -v[16:17]
	s_delay_alu instid0(VALU_DEP_4) | instskip(NEXT) | instid1(VALU_DEP_4)
	v_add_f64_e32 v[1:2], v[6:7], v[1:2]
	v_add_f64_e32 v[3:4], v[8:9], v[4:5]
	s_delay_alu instid0(VALU_DEP_2) | instskip(NEXT) | instid1(VALU_DEP_2)
	v_add_f64_e32 v[1:2], v[1:2], v[12:13]
	v_add_f64_e32 v[3:4], v[3:4], v[10:11]
	s_wait_loadcnt 0x0
	s_delay_alu instid0(VALU_DEP_2) | instskip(NEXT) | instid1(VALU_DEP_2)
	v_add_f64_e64 v[1:2], v[18:19], -v[1:2]
	v_add_f64_e64 v[3:4], v[20:21], -v[3:4]
	scratch_store_b128 off, v[1:4], off offset:848
	v_cmpx_lt_u32_e32 51, v0
	s_cbranch_execz .LBB56_253
; %bb.252:
	scratch_load_b128 v[1:4], off, s8
	v_mov_b32_e32 v5, 0
	s_delay_alu instid0(VALU_DEP_1)
	v_dual_mov_b32 v6, v5 :: v_dual_mov_b32 v7, v5
	v_mov_b32_e32 v8, v5
	scratch_store_b128 off, v[5:8], off offset:832
	s_wait_loadcnt 0x0
	ds_store_b128 v160, v[1:4]
.LBB56_253:
	s_wait_alu 0xfffe
	s_or_b32 exec_lo, exec_lo, s0
	s_wait_storecnt_dscnt 0x0
	s_barrier_signal -1
	s_barrier_wait -1
	global_inv scope:SCOPE_SE
	s_clause 0x5
	scratch_load_b128 v[2:5], off, off offset:848
	scratch_load_b128 v[6:9], off, off offset:864
	;; [unrolled: 1-line block ×6, first 2 shown]
	v_mov_b32_e32 v1, 0
	ds_load_b128 v[26:29], v1 offset:1744
	ds_load_b128 v[30:33], v1 offset:1760
	s_mov_b32 s0, exec_lo
	s_wait_loadcnt_dscnt 0x501
	v_mul_f64_e32 v[34:35], v[28:29], v[4:5]
	v_mul_f64_e32 v[4:5], v[26:27], v[4:5]
	s_wait_loadcnt_dscnt 0x400
	v_mul_f64_e32 v[36:37], v[30:31], v[8:9]
	v_mul_f64_e32 v[8:9], v[32:33], v[8:9]
	s_delay_alu instid0(VALU_DEP_4) | instskip(NEXT) | instid1(VALU_DEP_4)
	v_fma_f64 v[34:35], v[26:27], v[2:3], -v[34:35]
	v_fma_f64 v[38:39], v[28:29], v[2:3], v[4:5]
	ds_load_b128 v[2:5], v1 offset:1776
	ds_load_b128 v[26:29], v1 offset:1792
	v_fma_f64 v[32:33], v[32:33], v[6:7], v[36:37]
	v_fma_f64 v[6:7], v[30:31], v[6:7], -v[8:9]
	s_wait_loadcnt_dscnt 0x301
	v_mul_f64_e32 v[40:41], v[2:3], v[12:13]
	v_mul_f64_e32 v[12:13], v[4:5], v[12:13]
	v_add_f64_e32 v[8:9], 0, v[34:35]
	v_add_f64_e32 v[30:31], 0, v[38:39]
	s_wait_loadcnt_dscnt 0x200
	v_mul_f64_e32 v[34:35], v[26:27], v[16:17]
	v_mul_f64_e32 v[16:17], v[28:29], v[16:17]
	v_fma_f64 v[36:37], v[4:5], v[10:11], v[40:41]
	v_fma_f64 v[10:11], v[2:3], v[10:11], -v[12:13]
	ds_load_b128 v[2:5], v1 offset:1808
	v_add_f64_e32 v[6:7], v[8:9], v[6:7]
	v_add_f64_e32 v[8:9], v[30:31], v[32:33]
	v_fma_f64 v[28:29], v[28:29], v[14:15], v[34:35]
	v_fma_f64 v[14:15], v[26:27], v[14:15], -v[16:17]
	s_wait_loadcnt_dscnt 0x100
	v_mul_f64_e32 v[12:13], v[2:3], v[20:21]
	v_mul_f64_e32 v[20:21], v[4:5], v[20:21]
	v_add_f64_e32 v[6:7], v[6:7], v[10:11]
	v_add_f64_e32 v[8:9], v[8:9], v[36:37]
	s_delay_alu instid0(VALU_DEP_4) | instskip(NEXT) | instid1(VALU_DEP_4)
	v_fma_f64 v[4:5], v[4:5], v[18:19], v[12:13]
	v_fma_f64 v[2:3], v[2:3], v[18:19], -v[20:21]
	s_delay_alu instid0(VALU_DEP_4) | instskip(NEXT) | instid1(VALU_DEP_4)
	v_add_f64_e32 v[6:7], v[6:7], v[14:15]
	v_add_f64_e32 v[8:9], v[8:9], v[28:29]
	s_delay_alu instid0(VALU_DEP_2) | instskip(NEXT) | instid1(VALU_DEP_2)
	v_add_f64_e32 v[2:3], v[6:7], v[2:3]
	v_add_f64_e32 v[4:5], v[8:9], v[4:5]
	s_wait_loadcnt 0x0
	s_delay_alu instid0(VALU_DEP_2) | instskip(NEXT) | instid1(VALU_DEP_2)
	v_add_f64_e64 v[2:3], v[22:23], -v[2:3]
	v_add_f64_e64 v[4:5], v[24:25], -v[4:5]
	scratch_store_b128 off, v[2:5], off offset:832
	v_cmpx_lt_u32_e32 50, v0
	s_cbranch_execz .LBB56_255
; %bb.254:
	scratch_load_b128 v[5:8], off, s9
	v_dual_mov_b32 v2, v1 :: v_dual_mov_b32 v3, v1
	v_mov_b32_e32 v4, v1
	scratch_store_b128 off, v[1:4], off offset:816
	s_wait_loadcnt 0x0
	ds_store_b128 v160, v[5:8]
.LBB56_255:
	s_wait_alu 0xfffe
	s_or_b32 exec_lo, exec_lo, s0
	s_wait_storecnt_dscnt 0x0
	s_barrier_signal -1
	s_barrier_wait -1
	global_inv scope:SCOPE_SE
	s_clause 0x5
	scratch_load_b128 v[2:5], off, off offset:832
	scratch_load_b128 v[6:9], off, off offset:848
	;; [unrolled: 1-line block ×6, first 2 shown]
	ds_load_b128 v[26:29], v1 offset:1728
	ds_load_b128 v[34:37], v1 offset:1744
	scratch_load_b128 v[30:33], off, off offset:816
	s_mov_b32 s0, exec_lo
	s_wait_loadcnt_dscnt 0x601
	v_mul_f64_e32 v[38:39], v[28:29], v[4:5]
	v_mul_f64_e32 v[4:5], v[26:27], v[4:5]
	s_wait_loadcnt_dscnt 0x500
	v_mul_f64_e32 v[40:41], v[34:35], v[8:9]
	v_mul_f64_e32 v[8:9], v[36:37], v[8:9]
	s_delay_alu instid0(VALU_DEP_4) | instskip(NEXT) | instid1(VALU_DEP_4)
	v_fma_f64 v[38:39], v[26:27], v[2:3], -v[38:39]
	v_fma_f64 v[42:43], v[28:29], v[2:3], v[4:5]
	ds_load_b128 v[2:5], v1 offset:1760
	ds_load_b128 v[26:29], v1 offset:1776
	v_fma_f64 v[36:37], v[36:37], v[6:7], v[40:41]
	v_fma_f64 v[6:7], v[34:35], v[6:7], -v[8:9]
	s_wait_loadcnt_dscnt 0x401
	v_mul_f64_e32 v[44:45], v[2:3], v[12:13]
	v_mul_f64_e32 v[12:13], v[4:5], v[12:13]
	v_add_f64_e32 v[8:9], 0, v[38:39]
	v_add_f64_e32 v[34:35], 0, v[42:43]
	s_wait_loadcnt_dscnt 0x300
	v_mul_f64_e32 v[38:39], v[26:27], v[16:17]
	v_mul_f64_e32 v[16:17], v[28:29], v[16:17]
	v_fma_f64 v[40:41], v[4:5], v[10:11], v[44:45]
	v_fma_f64 v[10:11], v[2:3], v[10:11], -v[12:13]
	v_add_f64_e32 v[12:13], v[8:9], v[6:7]
	v_add_f64_e32 v[34:35], v[34:35], v[36:37]
	ds_load_b128 v[2:5], v1 offset:1792
	ds_load_b128 v[6:9], v1 offset:1808
	v_fma_f64 v[28:29], v[28:29], v[14:15], v[38:39]
	v_fma_f64 v[14:15], v[26:27], v[14:15], -v[16:17]
	s_wait_loadcnt_dscnt 0x201
	v_mul_f64_e32 v[36:37], v[2:3], v[20:21]
	v_mul_f64_e32 v[20:21], v[4:5], v[20:21]
	s_wait_loadcnt_dscnt 0x100
	v_mul_f64_e32 v[16:17], v[6:7], v[24:25]
	v_mul_f64_e32 v[24:25], v[8:9], v[24:25]
	v_add_f64_e32 v[10:11], v[12:13], v[10:11]
	v_add_f64_e32 v[12:13], v[34:35], v[40:41]
	v_fma_f64 v[4:5], v[4:5], v[18:19], v[36:37]
	v_fma_f64 v[1:2], v[2:3], v[18:19], -v[20:21]
	v_fma_f64 v[8:9], v[8:9], v[22:23], v[16:17]
	v_fma_f64 v[6:7], v[6:7], v[22:23], -v[24:25]
	v_add_f64_e32 v[10:11], v[10:11], v[14:15]
	v_add_f64_e32 v[12:13], v[12:13], v[28:29]
	s_delay_alu instid0(VALU_DEP_2) | instskip(NEXT) | instid1(VALU_DEP_2)
	v_add_f64_e32 v[1:2], v[10:11], v[1:2]
	v_add_f64_e32 v[3:4], v[12:13], v[4:5]
	s_delay_alu instid0(VALU_DEP_2) | instskip(NEXT) | instid1(VALU_DEP_2)
	v_add_f64_e32 v[1:2], v[1:2], v[6:7]
	v_add_f64_e32 v[3:4], v[3:4], v[8:9]
	s_wait_loadcnt 0x0
	s_delay_alu instid0(VALU_DEP_2) | instskip(NEXT) | instid1(VALU_DEP_2)
	v_add_f64_e64 v[1:2], v[30:31], -v[1:2]
	v_add_f64_e64 v[3:4], v[32:33], -v[3:4]
	scratch_store_b128 off, v[1:4], off offset:816
	v_cmpx_lt_u32_e32 49, v0
	s_cbranch_execz .LBB56_257
; %bb.256:
	scratch_load_b128 v[1:4], off, s10
	v_mov_b32_e32 v5, 0
	s_delay_alu instid0(VALU_DEP_1)
	v_dual_mov_b32 v6, v5 :: v_dual_mov_b32 v7, v5
	v_mov_b32_e32 v8, v5
	scratch_store_b128 off, v[5:8], off offset:800
	s_wait_loadcnt 0x0
	ds_store_b128 v160, v[1:4]
.LBB56_257:
	s_wait_alu 0xfffe
	s_or_b32 exec_lo, exec_lo, s0
	s_wait_storecnt_dscnt 0x0
	s_barrier_signal -1
	s_barrier_wait -1
	global_inv scope:SCOPE_SE
	s_clause 0x6
	scratch_load_b128 v[2:5], off, off offset:816
	scratch_load_b128 v[6:9], off, off offset:832
	;; [unrolled: 1-line block ×7, first 2 shown]
	v_mov_b32_e32 v1, 0
	scratch_load_b128 v[34:37], off, off offset:800
	s_mov_b32 s0, exec_lo
	ds_load_b128 v[30:33], v1 offset:1712
	ds_load_b128 v[38:41], v1 offset:1728
	s_wait_loadcnt_dscnt 0x701
	v_mul_f64_e32 v[42:43], v[32:33], v[4:5]
	v_mul_f64_e32 v[4:5], v[30:31], v[4:5]
	s_wait_loadcnt_dscnt 0x600
	v_mul_f64_e32 v[44:45], v[38:39], v[8:9]
	v_mul_f64_e32 v[8:9], v[40:41], v[8:9]
	s_delay_alu instid0(VALU_DEP_4) | instskip(NEXT) | instid1(VALU_DEP_4)
	v_fma_f64 v[42:43], v[30:31], v[2:3], -v[42:43]
	v_fma_f64 v[161:162], v[32:33], v[2:3], v[4:5]
	ds_load_b128 v[2:5], v1 offset:1744
	ds_load_b128 v[30:33], v1 offset:1760
	v_fma_f64 v[40:41], v[40:41], v[6:7], v[44:45]
	v_fma_f64 v[6:7], v[38:39], v[6:7], -v[8:9]
	s_wait_loadcnt_dscnt 0x501
	v_mul_f64_e32 v[163:164], v[2:3], v[12:13]
	v_mul_f64_e32 v[12:13], v[4:5], v[12:13]
	v_add_f64_e32 v[8:9], 0, v[42:43]
	v_add_f64_e32 v[38:39], 0, v[161:162]
	s_wait_loadcnt_dscnt 0x400
	v_mul_f64_e32 v[42:43], v[30:31], v[16:17]
	v_mul_f64_e32 v[16:17], v[32:33], v[16:17]
	v_fma_f64 v[44:45], v[4:5], v[10:11], v[163:164]
	v_fma_f64 v[10:11], v[2:3], v[10:11], -v[12:13]
	v_add_f64_e32 v[12:13], v[8:9], v[6:7]
	v_add_f64_e32 v[38:39], v[38:39], v[40:41]
	ds_load_b128 v[2:5], v1 offset:1776
	ds_load_b128 v[6:9], v1 offset:1792
	v_fma_f64 v[32:33], v[32:33], v[14:15], v[42:43]
	v_fma_f64 v[14:15], v[30:31], v[14:15], -v[16:17]
	s_wait_loadcnt_dscnt 0x301
	v_mul_f64_e32 v[40:41], v[2:3], v[20:21]
	v_mul_f64_e32 v[20:21], v[4:5], v[20:21]
	s_wait_loadcnt_dscnt 0x200
	v_mul_f64_e32 v[16:17], v[6:7], v[24:25]
	v_mul_f64_e32 v[24:25], v[8:9], v[24:25]
	v_add_f64_e32 v[10:11], v[12:13], v[10:11]
	v_add_f64_e32 v[12:13], v[38:39], v[44:45]
	v_fma_f64 v[30:31], v[4:5], v[18:19], v[40:41]
	v_fma_f64 v[18:19], v[2:3], v[18:19], -v[20:21]
	ds_load_b128 v[2:5], v1 offset:1808
	v_fma_f64 v[8:9], v[8:9], v[22:23], v[16:17]
	v_fma_f64 v[6:7], v[6:7], v[22:23], -v[24:25]
	v_add_f64_e32 v[10:11], v[10:11], v[14:15]
	v_add_f64_e32 v[12:13], v[12:13], v[32:33]
	s_wait_loadcnt_dscnt 0x100
	v_mul_f64_e32 v[14:15], v[2:3], v[28:29]
	v_mul_f64_e32 v[20:21], v[4:5], v[28:29]
	s_delay_alu instid0(VALU_DEP_4) | instskip(NEXT) | instid1(VALU_DEP_4)
	v_add_f64_e32 v[10:11], v[10:11], v[18:19]
	v_add_f64_e32 v[12:13], v[12:13], v[30:31]
	s_delay_alu instid0(VALU_DEP_4) | instskip(NEXT) | instid1(VALU_DEP_4)
	v_fma_f64 v[4:5], v[4:5], v[26:27], v[14:15]
	v_fma_f64 v[2:3], v[2:3], v[26:27], -v[20:21]
	s_delay_alu instid0(VALU_DEP_4) | instskip(NEXT) | instid1(VALU_DEP_4)
	v_add_f64_e32 v[6:7], v[10:11], v[6:7]
	v_add_f64_e32 v[8:9], v[12:13], v[8:9]
	s_delay_alu instid0(VALU_DEP_2) | instskip(NEXT) | instid1(VALU_DEP_2)
	v_add_f64_e32 v[2:3], v[6:7], v[2:3]
	v_add_f64_e32 v[4:5], v[8:9], v[4:5]
	s_wait_loadcnt 0x0
	s_delay_alu instid0(VALU_DEP_2) | instskip(NEXT) | instid1(VALU_DEP_2)
	v_add_f64_e64 v[2:3], v[34:35], -v[2:3]
	v_add_f64_e64 v[4:5], v[36:37], -v[4:5]
	scratch_store_b128 off, v[2:5], off offset:800
	v_cmpx_lt_u32_e32 48, v0
	s_cbranch_execz .LBB56_259
; %bb.258:
	scratch_load_b128 v[5:8], off, s11
	v_dual_mov_b32 v2, v1 :: v_dual_mov_b32 v3, v1
	v_mov_b32_e32 v4, v1
	scratch_store_b128 off, v[1:4], off offset:784
	s_wait_loadcnt 0x0
	ds_store_b128 v160, v[5:8]
.LBB56_259:
	s_wait_alu 0xfffe
	s_or_b32 exec_lo, exec_lo, s0
	s_wait_storecnt_dscnt 0x0
	s_barrier_signal -1
	s_barrier_wait -1
	global_inv scope:SCOPE_SE
	s_clause 0x7
	scratch_load_b128 v[2:5], off, off offset:800
	scratch_load_b128 v[6:9], off, off offset:816
	;; [unrolled: 1-line block ×8, first 2 shown]
	ds_load_b128 v[34:37], v1 offset:1696
	ds_load_b128 v[38:41], v1 offset:1712
	s_mov_b32 s0, exec_lo
	s_wait_loadcnt_dscnt 0x701
	v_mul_f64_e32 v[42:43], v[36:37], v[4:5]
	v_mul_f64_e32 v[4:5], v[34:35], v[4:5]
	s_wait_loadcnt_dscnt 0x600
	v_mul_f64_e32 v[44:45], v[38:39], v[8:9]
	v_mul_f64_e32 v[8:9], v[40:41], v[8:9]
	s_delay_alu instid0(VALU_DEP_4) | instskip(NEXT) | instid1(VALU_DEP_4)
	v_fma_f64 v[42:43], v[34:35], v[2:3], -v[42:43]
	v_fma_f64 v[161:162], v[36:37], v[2:3], v[4:5]
	ds_load_b128 v[2:5], v1 offset:1728
	scratch_load_b128 v[34:37], off, off offset:784
	v_fma_f64 v[40:41], v[40:41], v[6:7], v[44:45]
	v_fma_f64 v[38:39], v[38:39], v[6:7], -v[8:9]
	ds_load_b128 v[6:9], v1 offset:1744
	s_wait_loadcnt_dscnt 0x601
	v_mul_f64_e32 v[163:164], v[2:3], v[12:13]
	v_mul_f64_e32 v[12:13], v[4:5], v[12:13]
	v_add_f64_e32 v[42:43], 0, v[42:43]
	v_add_f64_e32 v[44:45], 0, v[161:162]
	s_wait_loadcnt_dscnt 0x500
	v_mul_f64_e32 v[161:162], v[6:7], v[16:17]
	v_mul_f64_e32 v[16:17], v[8:9], v[16:17]
	v_fma_f64 v[163:164], v[4:5], v[10:11], v[163:164]
	v_fma_f64 v[10:11], v[2:3], v[10:11], -v[12:13]
	ds_load_b128 v[2:5], v1 offset:1760
	v_add_f64_e32 v[12:13], v[42:43], v[38:39]
	v_add_f64_e32 v[38:39], v[44:45], v[40:41]
	v_fma_f64 v[42:43], v[8:9], v[14:15], v[161:162]
	v_fma_f64 v[14:15], v[6:7], v[14:15], -v[16:17]
	ds_load_b128 v[6:9], v1 offset:1776
	s_wait_loadcnt_dscnt 0x401
	v_mul_f64_e32 v[40:41], v[2:3], v[20:21]
	v_mul_f64_e32 v[20:21], v[4:5], v[20:21]
	s_wait_loadcnt_dscnt 0x300
	v_mul_f64_e32 v[16:17], v[6:7], v[24:25]
	v_mul_f64_e32 v[24:25], v[8:9], v[24:25]
	v_add_f64_e32 v[10:11], v[12:13], v[10:11]
	v_add_f64_e32 v[12:13], v[38:39], v[163:164]
	v_fma_f64 v[38:39], v[4:5], v[18:19], v[40:41]
	v_fma_f64 v[18:19], v[2:3], v[18:19], -v[20:21]
	ds_load_b128 v[2:5], v1 offset:1792
	v_fma_f64 v[16:17], v[8:9], v[22:23], v[16:17]
	v_fma_f64 v[22:23], v[6:7], v[22:23], -v[24:25]
	ds_load_b128 v[6:9], v1 offset:1808
	s_wait_loadcnt_dscnt 0x201
	v_mul_f64_e32 v[20:21], v[4:5], v[28:29]
	v_add_f64_e32 v[10:11], v[10:11], v[14:15]
	v_add_f64_e32 v[12:13], v[12:13], v[42:43]
	v_mul_f64_e32 v[14:15], v[2:3], v[28:29]
	s_wait_loadcnt_dscnt 0x100
	v_mul_f64_e32 v[24:25], v[8:9], v[32:33]
	v_fma_f64 v[1:2], v[2:3], v[26:27], -v[20:21]
	v_add_f64_e32 v[10:11], v[10:11], v[18:19]
	v_add_f64_e32 v[12:13], v[12:13], v[38:39]
	v_mul_f64_e32 v[18:19], v[6:7], v[32:33]
	v_fma_f64 v[4:5], v[4:5], v[26:27], v[14:15]
	v_fma_f64 v[6:7], v[6:7], v[30:31], -v[24:25]
	v_add_f64_e32 v[10:11], v[10:11], v[22:23]
	v_add_f64_e32 v[12:13], v[12:13], v[16:17]
	v_fma_f64 v[8:9], v[8:9], v[30:31], v[18:19]
	s_delay_alu instid0(VALU_DEP_3) | instskip(NEXT) | instid1(VALU_DEP_3)
	v_add_f64_e32 v[1:2], v[10:11], v[1:2]
	v_add_f64_e32 v[3:4], v[12:13], v[4:5]
	s_delay_alu instid0(VALU_DEP_2) | instskip(NEXT) | instid1(VALU_DEP_2)
	v_add_f64_e32 v[1:2], v[1:2], v[6:7]
	v_add_f64_e32 v[3:4], v[3:4], v[8:9]
	s_wait_loadcnt 0x0
	s_delay_alu instid0(VALU_DEP_2) | instskip(NEXT) | instid1(VALU_DEP_2)
	v_add_f64_e64 v[1:2], v[34:35], -v[1:2]
	v_add_f64_e64 v[3:4], v[36:37], -v[3:4]
	scratch_store_b128 off, v[1:4], off offset:784
	v_cmpx_lt_u32_e32 47, v0
	s_cbranch_execz .LBB56_261
; %bb.260:
	scratch_load_b128 v[1:4], off, s12
	v_mov_b32_e32 v5, 0
	s_delay_alu instid0(VALU_DEP_1)
	v_dual_mov_b32 v6, v5 :: v_dual_mov_b32 v7, v5
	v_mov_b32_e32 v8, v5
	scratch_store_b128 off, v[5:8], off offset:768
	s_wait_loadcnt 0x0
	ds_store_b128 v160, v[1:4]
.LBB56_261:
	s_wait_alu 0xfffe
	s_or_b32 exec_lo, exec_lo, s0
	s_wait_storecnt_dscnt 0x0
	s_barrier_signal -1
	s_barrier_wait -1
	global_inv scope:SCOPE_SE
	s_clause 0x7
	scratch_load_b128 v[2:5], off, off offset:784
	scratch_load_b128 v[6:9], off, off offset:800
	;; [unrolled: 1-line block ×8, first 2 shown]
	v_mov_b32_e32 v1, 0
	scratch_load_b128 v[38:41], off, off offset:912
	s_mov_b32 s0, exec_lo
	ds_load_b128 v[34:37], v1 offset:1680
	ds_load_b128 v[42:45], v1 offset:1696
	s_wait_loadcnt_dscnt 0x801
	v_mul_f64_e32 v[161:162], v[36:37], v[4:5]
	v_mul_f64_e32 v[4:5], v[34:35], v[4:5]
	s_wait_loadcnt_dscnt 0x700
	v_mul_f64_e32 v[163:164], v[42:43], v[8:9]
	v_mul_f64_e32 v[8:9], v[44:45], v[8:9]
	s_delay_alu instid0(VALU_DEP_4) | instskip(NEXT) | instid1(VALU_DEP_4)
	v_fma_f64 v[34:35], v[34:35], v[2:3], -v[161:162]
	v_fma_f64 v[36:37], v[36:37], v[2:3], v[4:5]
	ds_load_b128 v[2:5], v1 offset:1712
	v_fma_f64 v[44:45], v[44:45], v[6:7], v[163:164]
	v_fma_f64 v[42:43], v[42:43], v[6:7], -v[8:9]
	ds_load_b128 v[6:9], v1 offset:1728
	s_wait_loadcnt_dscnt 0x601
	v_mul_f64_e32 v[161:162], v[2:3], v[12:13]
	v_mul_f64_e32 v[12:13], v[4:5], v[12:13]
	s_wait_loadcnt_dscnt 0x500
	v_mul_f64_e32 v[167:168], v[6:7], v[16:17]
	v_mul_f64_e32 v[16:17], v[8:9], v[16:17]
	v_add_f64_e32 v[163:164], 0, v[34:35]
	v_add_f64_e32 v[165:166], 0, v[36:37]
	scratch_load_b128 v[34:37], off, off offset:768
	v_fma_f64 v[161:162], v[4:5], v[10:11], v[161:162]
	v_fma_f64 v[10:11], v[2:3], v[10:11], -v[12:13]
	ds_load_b128 v[2:5], v1 offset:1744
	v_add_f64_e32 v[12:13], v[163:164], v[42:43]
	v_add_f64_e32 v[42:43], v[165:166], v[44:45]
	v_fma_f64 v[163:164], v[8:9], v[14:15], v[167:168]
	v_fma_f64 v[14:15], v[6:7], v[14:15], -v[16:17]
	ds_load_b128 v[6:9], v1 offset:1760
	s_wait_loadcnt_dscnt 0x501
	v_mul_f64_e32 v[44:45], v[2:3], v[20:21]
	v_mul_f64_e32 v[20:21], v[4:5], v[20:21]
	s_wait_loadcnt_dscnt 0x400
	v_mul_f64_e32 v[16:17], v[6:7], v[24:25]
	v_mul_f64_e32 v[24:25], v[8:9], v[24:25]
	v_add_f64_e32 v[10:11], v[12:13], v[10:11]
	v_add_f64_e32 v[12:13], v[42:43], v[161:162]
	v_fma_f64 v[42:43], v[4:5], v[18:19], v[44:45]
	v_fma_f64 v[18:19], v[2:3], v[18:19], -v[20:21]
	ds_load_b128 v[2:5], v1 offset:1776
	v_fma_f64 v[16:17], v[8:9], v[22:23], v[16:17]
	v_fma_f64 v[22:23], v[6:7], v[22:23], -v[24:25]
	ds_load_b128 v[6:9], v1 offset:1792
	s_wait_loadcnt_dscnt 0x301
	v_mul_f64_e32 v[20:21], v[4:5], v[28:29]
	v_add_f64_e32 v[10:11], v[10:11], v[14:15]
	v_add_f64_e32 v[12:13], v[12:13], v[163:164]
	v_mul_f64_e32 v[14:15], v[2:3], v[28:29]
	s_wait_loadcnt_dscnt 0x200
	v_mul_f64_e32 v[24:25], v[8:9], v[32:33]
	v_fma_f64 v[20:21], v[2:3], v[26:27], -v[20:21]
	v_add_f64_e32 v[10:11], v[10:11], v[18:19]
	v_add_f64_e32 v[12:13], v[12:13], v[42:43]
	v_mul_f64_e32 v[18:19], v[6:7], v[32:33]
	v_fma_f64 v[14:15], v[4:5], v[26:27], v[14:15]
	ds_load_b128 v[2:5], v1 offset:1808
	v_fma_f64 v[6:7], v[6:7], v[30:31], -v[24:25]
	v_add_f64_e32 v[10:11], v[10:11], v[22:23]
	v_add_f64_e32 v[12:13], v[12:13], v[16:17]
	s_wait_loadcnt_dscnt 0x100
	v_mul_f64_e32 v[16:17], v[2:3], v[40:41]
	v_mul_f64_e32 v[22:23], v[4:5], v[40:41]
	v_fma_f64 v[8:9], v[8:9], v[30:31], v[18:19]
	v_add_f64_e32 v[10:11], v[10:11], v[20:21]
	v_add_f64_e32 v[12:13], v[12:13], v[14:15]
	v_fma_f64 v[4:5], v[4:5], v[38:39], v[16:17]
	v_fma_f64 v[2:3], v[2:3], v[38:39], -v[22:23]
	s_delay_alu instid0(VALU_DEP_4) | instskip(NEXT) | instid1(VALU_DEP_4)
	v_add_f64_e32 v[6:7], v[10:11], v[6:7]
	v_add_f64_e32 v[8:9], v[12:13], v[8:9]
	s_delay_alu instid0(VALU_DEP_2) | instskip(NEXT) | instid1(VALU_DEP_2)
	v_add_f64_e32 v[2:3], v[6:7], v[2:3]
	v_add_f64_e32 v[4:5], v[8:9], v[4:5]
	s_wait_loadcnt 0x0
	s_delay_alu instid0(VALU_DEP_2) | instskip(NEXT) | instid1(VALU_DEP_2)
	v_add_f64_e64 v[2:3], v[34:35], -v[2:3]
	v_add_f64_e64 v[4:5], v[36:37], -v[4:5]
	scratch_store_b128 off, v[2:5], off offset:768
	v_cmpx_lt_u32_e32 46, v0
	s_cbranch_execz .LBB56_263
; %bb.262:
	scratch_load_b128 v[5:8], off, s13
	v_dual_mov_b32 v2, v1 :: v_dual_mov_b32 v3, v1
	v_mov_b32_e32 v4, v1
	scratch_store_b128 off, v[1:4], off offset:752
	s_wait_loadcnt 0x0
	ds_store_b128 v160, v[5:8]
.LBB56_263:
	s_wait_alu 0xfffe
	s_or_b32 exec_lo, exec_lo, s0
	s_wait_storecnt_dscnt 0x0
	s_barrier_signal -1
	s_barrier_wait -1
	global_inv scope:SCOPE_SE
	s_clause 0x8
	scratch_load_b128 v[2:5], off, off offset:768
	scratch_load_b128 v[6:9], off, off offset:784
	;; [unrolled: 1-line block ×9, first 2 shown]
	ds_load_b128 v[38:41], v1 offset:1664
	ds_load_b128 v[42:45], v1 offset:1680
	s_clause 0x1
	scratch_load_b128 v[161:164], off, off offset:752
	scratch_load_b128 v[165:168], off, off offset:912
	s_mov_b32 s0, exec_lo
	s_wait_loadcnt_dscnt 0xa01
	v_mul_f64_e32 v[169:170], v[40:41], v[4:5]
	v_mul_f64_e32 v[4:5], v[38:39], v[4:5]
	s_wait_loadcnt_dscnt 0x900
	v_mul_f64_e32 v[171:172], v[42:43], v[8:9]
	v_mul_f64_e32 v[8:9], v[44:45], v[8:9]
	s_delay_alu instid0(VALU_DEP_4) | instskip(NEXT) | instid1(VALU_DEP_4)
	v_fma_f64 v[169:170], v[38:39], v[2:3], -v[169:170]
	v_fma_f64 v[173:174], v[40:41], v[2:3], v[4:5]
	ds_load_b128 v[2:5], v1 offset:1696
	ds_load_b128 v[38:41], v1 offset:1712
	v_fma_f64 v[44:45], v[44:45], v[6:7], v[171:172]
	v_fma_f64 v[6:7], v[42:43], v[6:7], -v[8:9]
	s_wait_loadcnt_dscnt 0x801
	v_mul_f64_e32 v[175:176], v[2:3], v[12:13]
	v_mul_f64_e32 v[12:13], v[4:5], v[12:13]
	v_add_f64_e32 v[8:9], 0, v[169:170]
	v_add_f64_e32 v[42:43], 0, v[173:174]
	s_wait_loadcnt_dscnt 0x700
	v_mul_f64_e32 v[169:170], v[38:39], v[16:17]
	v_mul_f64_e32 v[16:17], v[40:41], v[16:17]
	v_fma_f64 v[171:172], v[4:5], v[10:11], v[175:176]
	v_fma_f64 v[10:11], v[2:3], v[10:11], -v[12:13]
	v_add_f64_e32 v[12:13], v[8:9], v[6:7]
	v_add_f64_e32 v[42:43], v[42:43], v[44:45]
	ds_load_b128 v[2:5], v1 offset:1728
	ds_load_b128 v[6:9], v1 offset:1744
	v_fma_f64 v[40:41], v[40:41], v[14:15], v[169:170]
	v_fma_f64 v[14:15], v[38:39], v[14:15], -v[16:17]
	s_wait_loadcnt_dscnt 0x601
	v_mul_f64_e32 v[44:45], v[2:3], v[20:21]
	v_mul_f64_e32 v[20:21], v[4:5], v[20:21]
	s_wait_loadcnt_dscnt 0x500
	v_mul_f64_e32 v[16:17], v[6:7], v[24:25]
	v_mul_f64_e32 v[24:25], v[8:9], v[24:25]
	v_add_f64_e32 v[10:11], v[12:13], v[10:11]
	v_add_f64_e32 v[12:13], v[42:43], v[171:172]
	v_fma_f64 v[38:39], v[4:5], v[18:19], v[44:45]
	v_fma_f64 v[18:19], v[2:3], v[18:19], -v[20:21]
	v_fma_f64 v[8:9], v[8:9], v[22:23], v[16:17]
	v_fma_f64 v[6:7], v[6:7], v[22:23], -v[24:25]
	v_add_f64_e32 v[14:15], v[10:11], v[14:15]
	v_add_f64_e32 v[20:21], v[12:13], v[40:41]
	ds_load_b128 v[2:5], v1 offset:1760
	ds_load_b128 v[10:13], v1 offset:1776
	s_wait_loadcnt_dscnt 0x401
	v_mul_f64_e32 v[40:41], v[2:3], v[28:29]
	v_mul_f64_e32 v[28:29], v[4:5], v[28:29]
	v_add_f64_e32 v[14:15], v[14:15], v[18:19]
	v_add_f64_e32 v[16:17], v[20:21], v[38:39]
	s_wait_loadcnt_dscnt 0x300
	v_mul_f64_e32 v[18:19], v[10:11], v[32:33]
	v_mul_f64_e32 v[20:21], v[12:13], v[32:33]
	v_fma_f64 v[22:23], v[4:5], v[26:27], v[40:41]
	v_fma_f64 v[24:25], v[2:3], v[26:27], -v[28:29]
	v_add_f64_e32 v[14:15], v[14:15], v[6:7]
	v_add_f64_e32 v[16:17], v[16:17], v[8:9]
	ds_load_b128 v[2:5], v1 offset:1792
	ds_load_b128 v[6:9], v1 offset:1808
	v_fma_f64 v[12:13], v[12:13], v[30:31], v[18:19]
	v_fma_f64 v[10:11], v[10:11], v[30:31], -v[20:21]
	s_wait_loadcnt_dscnt 0x201
	v_mul_f64_e32 v[26:27], v[2:3], v[36:37]
	v_mul_f64_e32 v[28:29], v[4:5], v[36:37]
	s_wait_loadcnt_dscnt 0x0
	v_mul_f64_e32 v[18:19], v[6:7], v[167:168]
	v_mul_f64_e32 v[20:21], v[8:9], v[167:168]
	v_add_f64_e32 v[14:15], v[14:15], v[24:25]
	v_add_f64_e32 v[16:17], v[16:17], v[22:23]
	v_fma_f64 v[4:5], v[4:5], v[34:35], v[26:27]
	v_fma_f64 v[1:2], v[2:3], v[34:35], -v[28:29]
	v_fma_f64 v[8:9], v[8:9], v[165:166], v[18:19]
	v_fma_f64 v[6:7], v[6:7], v[165:166], -v[20:21]
	v_add_f64_e32 v[10:11], v[14:15], v[10:11]
	v_add_f64_e32 v[12:13], v[16:17], v[12:13]
	s_delay_alu instid0(VALU_DEP_2) | instskip(NEXT) | instid1(VALU_DEP_2)
	v_add_f64_e32 v[1:2], v[10:11], v[1:2]
	v_add_f64_e32 v[3:4], v[12:13], v[4:5]
	s_delay_alu instid0(VALU_DEP_2) | instskip(NEXT) | instid1(VALU_DEP_2)
	;; [unrolled: 3-line block ×3, first 2 shown]
	v_add_f64_e64 v[1:2], v[161:162], -v[1:2]
	v_add_f64_e64 v[3:4], v[163:164], -v[3:4]
	scratch_store_b128 off, v[1:4], off offset:752
	v_cmpx_lt_u32_e32 45, v0
	s_cbranch_execz .LBB56_265
; %bb.264:
	scratch_load_b128 v[1:4], off, s15
	v_mov_b32_e32 v5, 0
	s_delay_alu instid0(VALU_DEP_1)
	v_dual_mov_b32 v6, v5 :: v_dual_mov_b32 v7, v5
	v_mov_b32_e32 v8, v5
	scratch_store_b128 off, v[5:8], off offset:736
	s_wait_loadcnt 0x0
	ds_store_b128 v160, v[1:4]
.LBB56_265:
	s_wait_alu 0xfffe
	s_or_b32 exec_lo, exec_lo, s0
	s_wait_storecnt_dscnt 0x0
	s_barrier_signal -1
	s_barrier_wait -1
	global_inv scope:SCOPE_SE
	s_clause 0x7
	scratch_load_b128 v[2:5], off, off offset:752
	scratch_load_b128 v[6:9], off, off offset:768
	;; [unrolled: 1-line block ×8, first 2 shown]
	v_mov_b32_e32 v1, 0
	s_mov_b32 s0, exec_lo
	ds_load_b128 v[34:37], v1 offset:1648
	s_clause 0x1
	scratch_load_b128 v[38:41], off, off offset:880
	scratch_load_b128 v[42:45], off, off offset:736
	ds_load_b128 v[161:164], v1 offset:1664
	scratch_load_b128 v[165:168], off, off offset:896
	s_wait_loadcnt_dscnt 0xa01
	v_mul_f64_e32 v[169:170], v[36:37], v[4:5]
	v_mul_f64_e32 v[4:5], v[34:35], v[4:5]
	s_delay_alu instid0(VALU_DEP_2) | instskip(NEXT) | instid1(VALU_DEP_2)
	v_fma_f64 v[175:176], v[34:35], v[2:3], -v[169:170]
	v_fma_f64 v[177:178], v[36:37], v[2:3], v[4:5]
	ds_load_b128 v[2:5], v1 offset:1680
	s_wait_loadcnt_dscnt 0x901
	v_mul_f64_e32 v[173:174], v[161:162], v[8:9]
	v_mul_f64_e32 v[8:9], v[163:164], v[8:9]
	scratch_load_b128 v[34:37], off, off offset:912
	ds_load_b128 v[169:172], v1 offset:1696
	s_wait_loadcnt_dscnt 0x901
	v_mul_f64_e32 v[179:180], v[2:3], v[12:13]
	v_mul_f64_e32 v[12:13], v[4:5], v[12:13]
	v_fma_f64 v[163:164], v[163:164], v[6:7], v[173:174]
	v_fma_f64 v[6:7], v[161:162], v[6:7], -v[8:9]
	v_add_f64_e32 v[8:9], 0, v[175:176]
	v_add_f64_e32 v[161:162], 0, v[177:178]
	s_wait_loadcnt_dscnt 0x800
	v_mul_f64_e32 v[173:174], v[169:170], v[16:17]
	v_mul_f64_e32 v[16:17], v[171:172], v[16:17]
	v_fma_f64 v[175:176], v[4:5], v[10:11], v[179:180]
	v_fma_f64 v[10:11], v[2:3], v[10:11], -v[12:13]
	v_add_f64_e32 v[12:13], v[8:9], v[6:7]
	v_add_f64_e32 v[161:162], v[161:162], v[163:164]
	ds_load_b128 v[2:5], v1 offset:1712
	ds_load_b128 v[6:9], v1 offset:1728
	v_fma_f64 v[171:172], v[171:172], v[14:15], v[173:174]
	v_fma_f64 v[14:15], v[169:170], v[14:15], -v[16:17]
	s_wait_loadcnt_dscnt 0x701
	v_mul_f64_e32 v[163:164], v[2:3], v[20:21]
	v_mul_f64_e32 v[20:21], v[4:5], v[20:21]
	s_wait_loadcnt_dscnt 0x600
	v_mul_f64_e32 v[16:17], v[6:7], v[24:25]
	v_mul_f64_e32 v[24:25], v[8:9], v[24:25]
	v_add_f64_e32 v[10:11], v[12:13], v[10:11]
	v_add_f64_e32 v[12:13], v[161:162], v[175:176]
	v_fma_f64 v[161:162], v[4:5], v[18:19], v[163:164]
	v_fma_f64 v[18:19], v[2:3], v[18:19], -v[20:21]
	v_fma_f64 v[8:9], v[8:9], v[22:23], v[16:17]
	v_fma_f64 v[6:7], v[6:7], v[22:23], -v[24:25]
	v_add_f64_e32 v[14:15], v[10:11], v[14:15]
	v_add_f64_e32 v[20:21], v[12:13], v[171:172]
	ds_load_b128 v[2:5], v1 offset:1744
	ds_load_b128 v[10:13], v1 offset:1760
	s_wait_loadcnt_dscnt 0x501
	v_mul_f64_e32 v[163:164], v[2:3], v[28:29]
	v_mul_f64_e32 v[28:29], v[4:5], v[28:29]
	v_add_f64_e32 v[14:15], v[14:15], v[18:19]
	v_add_f64_e32 v[16:17], v[20:21], v[161:162]
	s_wait_loadcnt_dscnt 0x400
	v_mul_f64_e32 v[18:19], v[10:11], v[32:33]
	v_mul_f64_e32 v[20:21], v[12:13], v[32:33]
	v_fma_f64 v[22:23], v[4:5], v[26:27], v[163:164]
	v_fma_f64 v[24:25], v[2:3], v[26:27], -v[28:29]
	v_add_f64_e32 v[14:15], v[14:15], v[6:7]
	v_add_f64_e32 v[16:17], v[16:17], v[8:9]
	ds_load_b128 v[2:5], v1 offset:1776
	ds_load_b128 v[6:9], v1 offset:1792
	v_fma_f64 v[12:13], v[12:13], v[30:31], v[18:19]
	v_fma_f64 v[10:11], v[10:11], v[30:31], -v[20:21]
	s_wait_loadcnt_dscnt 0x301
	v_mul_f64_e32 v[26:27], v[2:3], v[40:41]
	v_mul_f64_e32 v[28:29], v[4:5], v[40:41]
	s_wait_loadcnt_dscnt 0x100
	v_mul_f64_e32 v[18:19], v[6:7], v[167:168]
	v_mul_f64_e32 v[20:21], v[8:9], v[167:168]
	v_add_f64_e32 v[14:15], v[14:15], v[24:25]
	v_add_f64_e32 v[16:17], v[16:17], v[22:23]
	v_fma_f64 v[22:23], v[4:5], v[38:39], v[26:27]
	v_fma_f64 v[24:25], v[2:3], v[38:39], -v[28:29]
	ds_load_b128 v[2:5], v1 offset:1808
	v_fma_f64 v[8:9], v[8:9], v[165:166], v[18:19]
	v_fma_f64 v[6:7], v[6:7], v[165:166], -v[20:21]
	v_add_f64_e32 v[10:11], v[14:15], v[10:11]
	v_add_f64_e32 v[12:13], v[16:17], v[12:13]
	s_wait_loadcnt_dscnt 0x0
	v_mul_f64_e32 v[14:15], v[2:3], v[36:37]
	v_mul_f64_e32 v[16:17], v[4:5], v[36:37]
	s_delay_alu instid0(VALU_DEP_4) | instskip(NEXT) | instid1(VALU_DEP_4)
	v_add_f64_e32 v[10:11], v[10:11], v[24:25]
	v_add_f64_e32 v[12:13], v[12:13], v[22:23]
	s_delay_alu instid0(VALU_DEP_4) | instskip(NEXT) | instid1(VALU_DEP_4)
	v_fma_f64 v[4:5], v[4:5], v[34:35], v[14:15]
	v_fma_f64 v[2:3], v[2:3], v[34:35], -v[16:17]
	s_delay_alu instid0(VALU_DEP_4) | instskip(NEXT) | instid1(VALU_DEP_4)
	v_add_f64_e32 v[6:7], v[10:11], v[6:7]
	v_add_f64_e32 v[8:9], v[12:13], v[8:9]
	s_delay_alu instid0(VALU_DEP_2) | instskip(NEXT) | instid1(VALU_DEP_2)
	v_add_f64_e32 v[2:3], v[6:7], v[2:3]
	v_add_f64_e32 v[4:5], v[8:9], v[4:5]
	s_delay_alu instid0(VALU_DEP_2) | instskip(NEXT) | instid1(VALU_DEP_2)
	v_add_f64_e64 v[2:3], v[42:43], -v[2:3]
	v_add_f64_e64 v[4:5], v[44:45], -v[4:5]
	scratch_store_b128 off, v[2:5], off offset:736
	v_cmpx_lt_u32_e32 44, v0
	s_cbranch_execz .LBB56_267
; %bb.266:
	scratch_load_b128 v[5:8], off, s20
	v_dual_mov_b32 v2, v1 :: v_dual_mov_b32 v3, v1
	v_mov_b32_e32 v4, v1
	scratch_store_b128 off, v[1:4], off offset:720
	s_wait_loadcnt 0x0
	ds_store_b128 v160, v[5:8]
.LBB56_267:
	s_wait_alu 0xfffe
	s_or_b32 exec_lo, exec_lo, s0
	s_wait_storecnt_dscnt 0x0
	s_barrier_signal -1
	s_barrier_wait -1
	global_inv scope:SCOPE_SE
	s_clause 0x8
	scratch_load_b128 v[2:5], off, off offset:736
	scratch_load_b128 v[6:9], off, off offset:752
	;; [unrolled: 1-line block ×9, first 2 shown]
	ds_load_b128 v[38:41], v1 offset:1632
	ds_load_b128 v[42:45], v1 offset:1648
	s_clause 0x1
	scratch_load_b128 v[161:164], off, off offset:720
	scratch_load_b128 v[165:168], off, off offset:880
	s_mov_b32 s0, exec_lo
	s_wait_loadcnt_dscnt 0xa01
	v_mul_f64_e32 v[169:170], v[40:41], v[4:5]
	v_mul_f64_e32 v[4:5], v[38:39], v[4:5]
	s_wait_loadcnt_dscnt 0x900
	v_mul_f64_e32 v[173:174], v[42:43], v[8:9]
	v_mul_f64_e32 v[8:9], v[44:45], v[8:9]
	s_delay_alu instid0(VALU_DEP_4) | instskip(NEXT) | instid1(VALU_DEP_4)
	v_fma_f64 v[175:176], v[38:39], v[2:3], -v[169:170]
	v_fma_f64 v[177:178], v[40:41], v[2:3], v[4:5]
	ds_load_b128 v[2:5], v1 offset:1664
	ds_load_b128 v[169:172], v1 offset:1680
	scratch_load_b128 v[38:41], off, off offset:896
	v_fma_f64 v[44:45], v[44:45], v[6:7], v[173:174]
	v_fma_f64 v[42:43], v[42:43], v[6:7], -v[8:9]
	scratch_load_b128 v[6:9], off, off offset:912
	s_wait_loadcnt_dscnt 0xa01
	v_mul_f64_e32 v[179:180], v[2:3], v[12:13]
	v_mul_f64_e32 v[12:13], v[4:5], v[12:13]
	v_add_f64_e32 v[173:174], 0, v[175:176]
	v_add_f64_e32 v[175:176], 0, v[177:178]
	s_wait_loadcnt_dscnt 0x900
	v_mul_f64_e32 v[177:178], v[169:170], v[16:17]
	v_mul_f64_e32 v[16:17], v[171:172], v[16:17]
	v_fma_f64 v[179:180], v[4:5], v[10:11], v[179:180]
	v_fma_f64 v[181:182], v[2:3], v[10:11], -v[12:13]
	ds_load_b128 v[2:5], v1 offset:1696
	ds_load_b128 v[10:13], v1 offset:1712
	v_add_f64_e32 v[42:43], v[173:174], v[42:43]
	v_add_f64_e32 v[44:45], v[175:176], v[44:45]
	v_fma_f64 v[171:172], v[171:172], v[14:15], v[177:178]
	v_fma_f64 v[14:15], v[169:170], v[14:15], -v[16:17]
	s_wait_loadcnt_dscnt 0x801
	v_mul_f64_e32 v[173:174], v[2:3], v[20:21]
	v_mul_f64_e32 v[20:21], v[4:5], v[20:21]
	v_add_f64_e32 v[16:17], v[42:43], v[181:182]
	v_add_f64_e32 v[42:43], v[44:45], v[179:180]
	s_wait_loadcnt_dscnt 0x700
	v_mul_f64_e32 v[44:45], v[10:11], v[24:25]
	v_mul_f64_e32 v[24:25], v[12:13], v[24:25]
	v_fma_f64 v[169:170], v[4:5], v[18:19], v[173:174]
	v_fma_f64 v[18:19], v[2:3], v[18:19], -v[20:21]
	v_add_f64_e32 v[20:21], v[16:17], v[14:15]
	v_add_f64_e32 v[42:43], v[42:43], v[171:172]
	ds_load_b128 v[2:5], v1 offset:1728
	ds_load_b128 v[14:17], v1 offset:1744
	v_fma_f64 v[12:13], v[12:13], v[22:23], v[44:45]
	v_fma_f64 v[10:11], v[10:11], v[22:23], -v[24:25]
	s_wait_loadcnt_dscnt 0x601
	v_mul_f64_e32 v[171:172], v[2:3], v[28:29]
	v_mul_f64_e32 v[28:29], v[4:5], v[28:29]
	s_wait_loadcnt_dscnt 0x500
	v_mul_f64_e32 v[22:23], v[14:15], v[32:33]
	v_mul_f64_e32 v[24:25], v[16:17], v[32:33]
	v_add_f64_e32 v[18:19], v[20:21], v[18:19]
	v_add_f64_e32 v[20:21], v[42:43], v[169:170]
	v_fma_f64 v[32:33], v[4:5], v[26:27], v[171:172]
	v_fma_f64 v[26:27], v[2:3], v[26:27], -v[28:29]
	v_fma_f64 v[16:17], v[16:17], v[30:31], v[22:23]
	v_fma_f64 v[14:15], v[14:15], v[30:31], -v[24:25]
	v_add_f64_e32 v[18:19], v[18:19], v[10:11]
	v_add_f64_e32 v[20:21], v[20:21], v[12:13]
	ds_load_b128 v[2:5], v1 offset:1760
	ds_load_b128 v[10:13], v1 offset:1776
	s_wait_loadcnt_dscnt 0x401
	v_mul_f64_e32 v[28:29], v[2:3], v[36:37]
	v_mul_f64_e32 v[36:37], v[4:5], v[36:37]
	s_wait_loadcnt_dscnt 0x200
	v_mul_f64_e32 v[22:23], v[10:11], v[167:168]
	v_mul_f64_e32 v[24:25], v[12:13], v[167:168]
	v_add_f64_e32 v[18:19], v[18:19], v[26:27]
	v_add_f64_e32 v[20:21], v[20:21], v[32:33]
	v_fma_f64 v[26:27], v[4:5], v[34:35], v[28:29]
	v_fma_f64 v[28:29], v[2:3], v[34:35], -v[36:37]
	v_fma_f64 v[12:13], v[12:13], v[165:166], v[22:23]
	v_fma_f64 v[10:11], v[10:11], v[165:166], -v[24:25]
	v_add_f64_e32 v[18:19], v[18:19], v[14:15]
	v_add_f64_e32 v[20:21], v[20:21], v[16:17]
	ds_load_b128 v[2:5], v1 offset:1792
	ds_load_b128 v[14:17], v1 offset:1808
	s_wait_loadcnt_dscnt 0x101
	v_mul_f64_e32 v[30:31], v[2:3], v[40:41]
	v_mul_f64_e32 v[32:33], v[4:5], v[40:41]
	s_wait_loadcnt_dscnt 0x0
	v_mul_f64_e32 v[22:23], v[14:15], v[8:9]
	v_mul_f64_e32 v[8:9], v[16:17], v[8:9]
	v_add_f64_e32 v[18:19], v[18:19], v[28:29]
	v_add_f64_e32 v[20:21], v[20:21], v[26:27]
	v_fma_f64 v[4:5], v[4:5], v[38:39], v[30:31]
	v_fma_f64 v[1:2], v[2:3], v[38:39], -v[32:33]
	v_fma_f64 v[16:17], v[16:17], v[6:7], v[22:23]
	v_fma_f64 v[6:7], v[14:15], v[6:7], -v[8:9]
	v_add_f64_e32 v[10:11], v[18:19], v[10:11]
	v_add_f64_e32 v[12:13], v[20:21], v[12:13]
	s_delay_alu instid0(VALU_DEP_2) | instskip(NEXT) | instid1(VALU_DEP_2)
	v_add_f64_e32 v[1:2], v[10:11], v[1:2]
	v_add_f64_e32 v[3:4], v[12:13], v[4:5]
	s_delay_alu instid0(VALU_DEP_2) | instskip(NEXT) | instid1(VALU_DEP_2)
	;; [unrolled: 3-line block ×3, first 2 shown]
	v_add_f64_e64 v[1:2], v[161:162], -v[1:2]
	v_add_f64_e64 v[3:4], v[163:164], -v[3:4]
	scratch_store_b128 off, v[1:4], off offset:720
	v_cmpx_lt_u32_e32 43, v0
	s_cbranch_execz .LBB56_269
; %bb.268:
	scratch_load_b128 v[1:4], off, s22
	v_mov_b32_e32 v5, 0
	s_delay_alu instid0(VALU_DEP_1)
	v_dual_mov_b32 v6, v5 :: v_dual_mov_b32 v7, v5
	v_mov_b32_e32 v8, v5
	scratch_store_b128 off, v[5:8], off offset:704
	s_wait_loadcnt 0x0
	ds_store_b128 v160, v[1:4]
.LBB56_269:
	s_wait_alu 0xfffe
	s_or_b32 exec_lo, exec_lo, s0
	s_wait_storecnt_dscnt 0x0
	s_barrier_signal -1
	s_barrier_wait -1
	global_inv scope:SCOPE_SE
	s_clause 0x7
	scratch_load_b128 v[2:5], off, off offset:720
	scratch_load_b128 v[6:9], off, off offset:736
	;; [unrolled: 1-line block ×8, first 2 shown]
	v_mov_b32_e32 v1, 0
	s_mov_b32 s0, exec_lo
	ds_load_b128 v[34:37], v1 offset:1616
	s_clause 0x1
	scratch_load_b128 v[38:41], off, off offset:848
	scratch_load_b128 v[42:45], off, off offset:704
	ds_load_b128 v[161:164], v1 offset:1632
	scratch_load_b128 v[165:168], off, off offset:864
	s_wait_loadcnt_dscnt 0xa01
	v_mul_f64_e32 v[169:170], v[36:37], v[4:5]
	v_mul_f64_e32 v[4:5], v[34:35], v[4:5]
	s_delay_alu instid0(VALU_DEP_2) | instskip(NEXT) | instid1(VALU_DEP_2)
	v_fma_f64 v[175:176], v[34:35], v[2:3], -v[169:170]
	v_fma_f64 v[177:178], v[36:37], v[2:3], v[4:5]
	ds_load_b128 v[2:5], v1 offset:1648
	s_wait_loadcnt_dscnt 0x901
	v_mul_f64_e32 v[173:174], v[161:162], v[8:9]
	v_mul_f64_e32 v[8:9], v[163:164], v[8:9]
	scratch_load_b128 v[34:37], off, off offset:880
	ds_load_b128 v[169:172], v1 offset:1664
	s_wait_loadcnt_dscnt 0x901
	v_mul_f64_e32 v[179:180], v[2:3], v[12:13]
	v_mul_f64_e32 v[12:13], v[4:5], v[12:13]
	v_fma_f64 v[163:164], v[163:164], v[6:7], v[173:174]
	v_fma_f64 v[161:162], v[161:162], v[6:7], -v[8:9]
	v_add_f64_e32 v[173:174], 0, v[175:176]
	v_add_f64_e32 v[175:176], 0, v[177:178]
	scratch_load_b128 v[6:9], off, off offset:896
	v_fma_f64 v[179:180], v[4:5], v[10:11], v[179:180]
	v_fma_f64 v[181:182], v[2:3], v[10:11], -v[12:13]
	ds_load_b128 v[2:5], v1 offset:1680
	s_wait_loadcnt_dscnt 0x901
	v_mul_f64_e32 v[177:178], v[169:170], v[16:17]
	v_mul_f64_e32 v[16:17], v[171:172], v[16:17]
	scratch_load_b128 v[10:13], off, off offset:912
	v_add_f64_e32 v[173:174], v[173:174], v[161:162]
	v_add_f64_e32 v[175:176], v[175:176], v[163:164]
	s_wait_loadcnt_dscnt 0x900
	v_mul_f64_e32 v[183:184], v[2:3], v[20:21]
	v_mul_f64_e32 v[20:21], v[4:5], v[20:21]
	ds_load_b128 v[161:164], v1 offset:1696
	v_fma_f64 v[171:172], v[171:172], v[14:15], v[177:178]
	v_fma_f64 v[14:15], v[169:170], v[14:15], -v[16:17]
	v_add_f64_e32 v[16:17], v[173:174], v[181:182]
	v_add_f64_e32 v[169:170], v[175:176], v[179:180]
	s_wait_loadcnt_dscnt 0x800
	v_mul_f64_e32 v[173:174], v[161:162], v[24:25]
	v_mul_f64_e32 v[24:25], v[163:164], v[24:25]
	v_fma_f64 v[175:176], v[4:5], v[18:19], v[183:184]
	v_fma_f64 v[18:19], v[2:3], v[18:19], -v[20:21]
	v_add_f64_e32 v[20:21], v[16:17], v[14:15]
	v_add_f64_e32 v[169:170], v[169:170], v[171:172]
	ds_load_b128 v[2:5], v1 offset:1712
	ds_load_b128 v[14:17], v1 offset:1728
	v_fma_f64 v[163:164], v[163:164], v[22:23], v[173:174]
	v_fma_f64 v[22:23], v[161:162], v[22:23], -v[24:25]
	s_wait_loadcnt_dscnt 0x701
	v_mul_f64_e32 v[171:172], v[2:3], v[28:29]
	v_mul_f64_e32 v[28:29], v[4:5], v[28:29]
	s_wait_loadcnt_dscnt 0x600
	v_mul_f64_e32 v[24:25], v[14:15], v[32:33]
	v_mul_f64_e32 v[32:33], v[16:17], v[32:33]
	v_add_f64_e32 v[18:19], v[20:21], v[18:19]
	v_add_f64_e32 v[20:21], v[169:170], v[175:176]
	v_fma_f64 v[161:162], v[4:5], v[26:27], v[171:172]
	v_fma_f64 v[26:27], v[2:3], v[26:27], -v[28:29]
	v_fma_f64 v[16:17], v[16:17], v[30:31], v[24:25]
	v_fma_f64 v[14:15], v[14:15], v[30:31], -v[32:33]
	v_add_f64_e32 v[22:23], v[18:19], v[22:23]
	v_add_f64_e32 v[28:29], v[20:21], v[163:164]
	ds_load_b128 v[2:5], v1 offset:1744
	ds_load_b128 v[18:21], v1 offset:1760
	s_wait_loadcnt_dscnt 0x501
	v_mul_f64_e32 v[163:164], v[2:3], v[40:41]
	v_mul_f64_e32 v[40:41], v[4:5], v[40:41]
	v_add_f64_e32 v[22:23], v[22:23], v[26:27]
	v_add_f64_e32 v[24:25], v[28:29], v[161:162]
	s_wait_loadcnt_dscnt 0x300
	v_mul_f64_e32 v[26:27], v[18:19], v[167:168]
	v_mul_f64_e32 v[28:29], v[20:21], v[167:168]
	v_fma_f64 v[30:31], v[4:5], v[38:39], v[163:164]
	v_fma_f64 v[32:33], v[2:3], v[38:39], -v[40:41]
	v_add_f64_e32 v[22:23], v[22:23], v[14:15]
	v_add_f64_e32 v[24:25], v[24:25], v[16:17]
	ds_load_b128 v[2:5], v1 offset:1776
	ds_load_b128 v[14:17], v1 offset:1792
	v_fma_f64 v[20:21], v[20:21], v[165:166], v[26:27]
	v_fma_f64 v[18:19], v[18:19], v[165:166], -v[28:29]
	s_wait_loadcnt_dscnt 0x201
	v_mul_f64_e32 v[38:39], v[2:3], v[36:37]
	v_mul_f64_e32 v[36:37], v[4:5], v[36:37]
	v_add_f64_e32 v[22:23], v[22:23], v[32:33]
	v_add_f64_e32 v[24:25], v[24:25], v[30:31]
	s_wait_loadcnt_dscnt 0x100
	v_mul_f64_e32 v[26:27], v[14:15], v[8:9]
	v_mul_f64_e32 v[8:9], v[16:17], v[8:9]
	v_fma_f64 v[28:29], v[4:5], v[34:35], v[38:39]
	v_fma_f64 v[30:31], v[2:3], v[34:35], -v[36:37]
	ds_load_b128 v[2:5], v1 offset:1808
	v_add_f64_e32 v[18:19], v[22:23], v[18:19]
	v_add_f64_e32 v[20:21], v[24:25], v[20:21]
	s_wait_loadcnt_dscnt 0x0
	v_mul_f64_e32 v[22:23], v[2:3], v[12:13]
	v_mul_f64_e32 v[12:13], v[4:5], v[12:13]
	v_fma_f64 v[16:17], v[16:17], v[6:7], v[26:27]
	v_fma_f64 v[6:7], v[14:15], v[6:7], -v[8:9]
	v_add_f64_e32 v[8:9], v[18:19], v[30:31]
	v_add_f64_e32 v[14:15], v[20:21], v[28:29]
	v_fma_f64 v[4:5], v[4:5], v[10:11], v[22:23]
	v_fma_f64 v[2:3], v[2:3], v[10:11], -v[12:13]
	s_delay_alu instid0(VALU_DEP_4) | instskip(NEXT) | instid1(VALU_DEP_4)
	v_add_f64_e32 v[6:7], v[8:9], v[6:7]
	v_add_f64_e32 v[8:9], v[14:15], v[16:17]
	s_delay_alu instid0(VALU_DEP_2) | instskip(NEXT) | instid1(VALU_DEP_2)
	v_add_f64_e32 v[2:3], v[6:7], v[2:3]
	v_add_f64_e32 v[4:5], v[8:9], v[4:5]
	s_delay_alu instid0(VALU_DEP_2) | instskip(NEXT) | instid1(VALU_DEP_2)
	v_add_f64_e64 v[2:3], v[42:43], -v[2:3]
	v_add_f64_e64 v[4:5], v[44:45], -v[4:5]
	scratch_store_b128 off, v[2:5], off offset:704
	v_cmpx_lt_u32_e32 42, v0
	s_cbranch_execz .LBB56_271
; %bb.270:
	scratch_load_b128 v[5:8], off, s23
	v_dual_mov_b32 v2, v1 :: v_dual_mov_b32 v3, v1
	v_mov_b32_e32 v4, v1
	scratch_store_b128 off, v[1:4], off offset:688
	s_wait_loadcnt 0x0
	ds_store_b128 v160, v[5:8]
.LBB56_271:
	s_wait_alu 0xfffe
	s_or_b32 exec_lo, exec_lo, s0
	s_wait_storecnt_dscnt 0x0
	s_barrier_signal -1
	s_barrier_wait -1
	global_inv scope:SCOPE_SE
	s_clause 0x8
	scratch_load_b128 v[2:5], off, off offset:704
	scratch_load_b128 v[6:9], off, off offset:720
	;; [unrolled: 1-line block ×9, first 2 shown]
	ds_load_b128 v[38:41], v1 offset:1600
	ds_load_b128 v[42:45], v1 offset:1616
	s_clause 0x1
	scratch_load_b128 v[161:164], off, off offset:688
	scratch_load_b128 v[165:168], off, off offset:848
	s_mov_b32 s0, exec_lo
	s_wait_loadcnt_dscnt 0xa01
	v_mul_f64_e32 v[169:170], v[40:41], v[4:5]
	v_mul_f64_e32 v[4:5], v[38:39], v[4:5]
	s_wait_loadcnt_dscnt 0x900
	v_mul_f64_e32 v[173:174], v[42:43], v[8:9]
	v_mul_f64_e32 v[8:9], v[44:45], v[8:9]
	s_delay_alu instid0(VALU_DEP_4) | instskip(NEXT) | instid1(VALU_DEP_4)
	v_fma_f64 v[175:176], v[38:39], v[2:3], -v[169:170]
	v_fma_f64 v[177:178], v[40:41], v[2:3], v[4:5]
	ds_load_b128 v[2:5], v1 offset:1632
	ds_load_b128 v[169:172], v1 offset:1648
	scratch_load_b128 v[38:41], off, off offset:864
	v_fma_f64 v[44:45], v[44:45], v[6:7], v[173:174]
	v_fma_f64 v[42:43], v[42:43], v[6:7], -v[8:9]
	scratch_load_b128 v[6:9], off, off offset:880
	s_wait_loadcnt_dscnt 0xa01
	v_mul_f64_e32 v[179:180], v[2:3], v[12:13]
	v_mul_f64_e32 v[12:13], v[4:5], v[12:13]
	v_add_f64_e32 v[173:174], 0, v[175:176]
	v_add_f64_e32 v[175:176], 0, v[177:178]
	s_wait_loadcnt_dscnt 0x900
	v_mul_f64_e32 v[177:178], v[169:170], v[16:17]
	v_mul_f64_e32 v[16:17], v[171:172], v[16:17]
	v_fma_f64 v[179:180], v[4:5], v[10:11], v[179:180]
	v_fma_f64 v[181:182], v[2:3], v[10:11], -v[12:13]
	ds_load_b128 v[2:5], v1 offset:1664
	scratch_load_b128 v[10:13], off, off offset:896
	v_add_f64_e32 v[173:174], v[173:174], v[42:43]
	v_add_f64_e32 v[175:176], v[175:176], v[44:45]
	ds_load_b128 v[42:45], v1 offset:1680
	v_fma_f64 v[171:172], v[171:172], v[14:15], v[177:178]
	v_fma_f64 v[169:170], v[169:170], v[14:15], -v[16:17]
	scratch_load_b128 v[14:17], off, off offset:912
	s_wait_loadcnt_dscnt 0xa01
	v_mul_f64_e32 v[183:184], v[2:3], v[20:21]
	v_mul_f64_e32 v[20:21], v[4:5], v[20:21]
	s_wait_loadcnt_dscnt 0x900
	v_mul_f64_e32 v[177:178], v[42:43], v[24:25]
	v_mul_f64_e32 v[24:25], v[44:45], v[24:25]
	v_add_f64_e32 v[173:174], v[173:174], v[181:182]
	v_add_f64_e32 v[175:176], v[175:176], v[179:180]
	v_fma_f64 v[179:180], v[4:5], v[18:19], v[183:184]
	v_fma_f64 v[181:182], v[2:3], v[18:19], -v[20:21]
	ds_load_b128 v[2:5], v1 offset:1696
	ds_load_b128 v[18:21], v1 offset:1712
	v_fma_f64 v[44:45], v[44:45], v[22:23], v[177:178]
	v_fma_f64 v[22:23], v[42:43], v[22:23], -v[24:25]
	v_add_f64_e32 v[169:170], v[173:174], v[169:170]
	v_add_f64_e32 v[171:172], v[175:176], v[171:172]
	s_wait_loadcnt_dscnt 0x801
	v_mul_f64_e32 v[173:174], v[2:3], v[28:29]
	v_mul_f64_e32 v[28:29], v[4:5], v[28:29]
	s_delay_alu instid0(VALU_DEP_4) | instskip(NEXT) | instid1(VALU_DEP_4)
	v_add_f64_e32 v[24:25], v[169:170], v[181:182]
	v_add_f64_e32 v[42:43], v[171:172], v[179:180]
	s_wait_loadcnt_dscnt 0x700
	v_mul_f64_e32 v[169:170], v[18:19], v[32:33]
	v_mul_f64_e32 v[32:33], v[20:21], v[32:33]
	v_fma_f64 v[171:172], v[4:5], v[26:27], v[173:174]
	v_fma_f64 v[26:27], v[2:3], v[26:27], -v[28:29]
	v_add_f64_e32 v[28:29], v[24:25], v[22:23]
	v_add_f64_e32 v[42:43], v[42:43], v[44:45]
	ds_load_b128 v[2:5], v1 offset:1728
	ds_load_b128 v[22:25], v1 offset:1744
	v_fma_f64 v[20:21], v[20:21], v[30:31], v[169:170]
	v_fma_f64 v[18:19], v[18:19], v[30:31], -v[32:33]
	s_wait_loadcnt_dscnt 0x601
	v_mul_f64_e32 v[44:45], v[2:3], v[36:37]
	v_mul_f64_e32 v[36:37], v[4:5], v[36:37]
	s_wait_loadcnt_dscnt 0x400
	v_mul_f64_e32 v[30:31], v[22:23], v[167:168]
	v_mul_f64_e32 v[32:33], v[24:25], v[167:168]
	v_add_f64_e32 v[26:27], v[28:29], v[26:27]
	v_add_f64_e32 v[28:29], v[42:43], v[171:172]
	v_fma_f64 v[42:43], v[4:5], v[34:35], v[44:45]
	v_fma_f64 v[34:35], v[2:3], v[34:35], -v[36:37]
	v_fma_f64 v[24:25], v[24:25], v[165:166], v[30:31]
	v_fma_f64 v[22:23], v[22:23], v[165:166], -v[32:33]
	v_add_f64_e32 v[26:27], v[26:27], v[18:19]
	v_add_f64_e32 v[28:29], v[28:29], v[20:21]
	ds_load_b128 v[2:5], v1 offset:1760
	ds_load_b128 v[18:21], v1 offset:1776
	s_wait_loadcnt_dscnt 0x301
	v_mul_f64_e32 v[36:37], v[2:3], v[40:41]
	v_mul_f64_e32 v[40:41], v[4:5], v[40:41]
	s_wait_loadcnt_dscnt 0x200
	v_mul_f64_e32 v[30:31], v[18:19], v[8:9]
	v_mul_f64_e32 v[8:9], v[20:21], v[8:9]
	v_add_f64_e32 v[26:27], v[26:27], v[34:35]
	v_add_f64_e32 v[28:29], v[28:29], v[42:43]
	v_fma_f64 v[32:33], v[4:5], v[38:39], v[36:37]
	v_fma_f64 v[34:35], v[2:3], v[38:39], -v[40:41]
	v_fma_f64 v[20:21], v[20:21], v[6:7], v[30:31]
	v_fma_f64 v[6:7], v[18:19], v[6:7], -v[8:9]
	v_add_f64_e32 v[26:27], v[26:27], v[22:23]
	v_add_f64_e32 v[28:29], v[28:29], v[24:25]
	ds_load_b128 v[2:5], v1 offset:1792
	ds_load_b128 v[22:25], v1 offset:1808
	s_wait_loadcnt_dscnt 0x101
	v_mul_f64_e32 v[36:37], v[2:3], v[12:13]
	v_mul_f64_e32 v[12:13], v[4:5], v[12:13]
	v_add_f64_e32 v[8:9], v[26:27], v[34:35]
	v_add_f64_e32 v[18:19], v[28:29], v[32:33]
	s_wait_loadcnt_dscnt 0x0
	v_mul_f64_e32 v[26:27], v[22:23], v[16:17]
	v_mul_f64_e32 v[16:17], v[24:25], v[16:17]
	v_fma_f64 v[4:5], v[4:5], v[10:11], v[36:37]
	v_fma_f64 v[1:2], v[2:3], v[10:11], -v[12:13]
	v_add_f64_e32 v[6:7], v[8:9], v[6:7]
	v_add_f64_e32 v[8:9], v[18:19], v[20:21]
	v_fma_f64 v[10:11], v[24:25], v[14:15], v[26:27]
	v_fma_f64 v[12:13], v[22:23], v[14:15], -v[16:17]
	s_delay_alu instid0(VALU_DEP_4) | instskip(NEXT) | instid1(VALU_DEP_4)
	v_add_f64_e32 v[1:2], v[6:7], v[1:2]
	v_add_f64_e32 v[3:4], v[8:9], v[4:5]
	s_delay_alu instid0(VALU_DEP_2) | instskip(NEXT) | instid1(VALU_DEP_2)
	v_add_f64_e32 v[1:2], v[1:2], v[12:13]
	v_add_f64_e32 v[3:4], v[3:4], v[10:11]
	s_delay_alu instid0(VALU_DEP_2) | instskip(NEXT) | instid1(VALU_DEP_2)
	v_add_f64_e64 v[1:2], v[161:162], -v[1:2]
	v_add_f64_e64 v[3:4], v[163:164], -v[3:4]
	scratch_store_b128 off, v[1:4], off offset:688
	v_cmpx_lt_u32_e32 41, v0
	s_cbranch_execz .LBB56_273
; %bb.272:
	scratch_load_b128 v[1:4], off, s24
	v_mov_b32_e32 v5, 0
	s_delay_alu instid0(VALU_DEP_1)
	v_dual_mov_b32 v6, v5 :: v_dual_mov_b32 v7, v5
	v_mov_b32_e32 v8, v5
	scratch_store_b128 off, v[5:8], off offset:672
	s_wait_loadcnt 0x0
	ds_store_b128 v160, v[1:4]
.LBB56_273:
	s_wait_alu 0xfffe
	s_or_b32 exec_lo, exec_lo, s0
	s_wait_storecnt_dscnt 0x0
	s_barrier_signal -1
	s_barrier_wait -1
	global_inv scope:SCOPE_SE
	s_clause 0x7
	scratch_load_b128 v[2:5], off, off offset:688
	scratch_load_b128 v[6:9], off, off offset:704
	;; [unrolled: 1-line block ×8, first 2 shown]
	v_mov_b32_e32 v1, 0
	s_mov_b32 s0, exec_lo
	ds_load_b128 v[34:37], v1 offset:1584
	s_clause 0x1
	scratch_load_b128 v[38:41], off, off offset:816
	scratch_load_b128 v[42:45], off, off offset:672
	ds_load_b128 v[161:164], v1 offset:1600
	scratch_load_b128 v[165:168], off, off offset:832
	s_wait_loadcnt_dscnt 0xa01
	v_mul_f64_e32 v[169:170], v[36:37], v[4:5]
	v_mul_f64_e32 v[4:5], v[34:35], v[4:5]
	s_delay_alu instid0(VALU_DEP_2) | instskip(NEXT) | instid1(VALU_DEP_2)
	v_fma_f64 v[175:176], v[34:35], v[2:3], -v[169:170]
	v_fma_f64 v[177:178], v[36:37], v[2:3], v[4:5]
	ds_load_b128 v[2:5], v1 offset:1616
	s_wait_loadcnt_dscnt 0x901
	v_mul_f64_e32 v[173:174], v[161:162], v[8:9]
	v_mul_f64_e32 v[8:9], v[163:164], v[8:9]
	scratch_load_b128 v[34:37], off, off offset:848
	ds_load_b128 v[169:172], v1 offset:1632
	s_wait_loadcnt_dscnt 0x901
	v_mul_f64_e32 v[179:180], v[2:3], v[12:13]
	v_mul_f64_e32 v[12:13], v[4:5], v[12:13]
	v_fma_f64 v[163:164], v[163:164], v[6:7], v[173:174]
	v_fma_f64 v[161:162], v[161:162], v[6:7], -v[8:9]
	v_add_f64_e32 v[173:174], 0, v[175:176]
	v_add_f64_e32 v[175:176], 0, v[177:178]
	scratch_load_b128 v[6:9], off, off offset:864
	v_fma_f64 v[179:180], v[4:5], v[10:11], v[179:180]
	v_fma_f64 v[181:182], v[2:3], v[10:11], -v[12:13]
	ds_load_b128 v[2:5], v1 offset:1648
	s_wait_loadcnt_dscnt 0x901
	v_mul_f64_e32 v[177:178], v[169:170], v[16:17]
	v_mul_f64_e32 v[16:17], v[171:172], v[16:17]
	scratch_load_b128 v[10:13], off, off offset:880
	v_add_f64_e32 v[173:174], v[173:174], v[161:162]
	v_add_f64_e32 v[175:176], v[175:176], v[163:164]
	s_wait_loadcnt_dscnt 0x900
	v_mul_f64_e32 v[183:184], v[2:3], v[20:21]
	v_mul_f64_e32 v[20:21], v[4:5], v[20:21]
	ds_load_b128 v[161:164], v1 offset:1664
	v_fma_f64 v[171:172], v[171:172], v[14:15], v[177:178]
	v_fma_f64 v[169:170], v[169:170], v[14:15], -v[16:17]
	scratch_load_b128 v[14:17], off, off offset:896
	v_add_f64_e32 v[173:174], v[173:174], v[181:182]
	v_add_f64_e32 v[175:176], v[175:176], v[179:180]
	v_fma_f64 v[179:180], v[4:5], v[18:19], v[183:184]
	v_fma_f64 v[181:182], v[2:3], v[18:19], -v[20:21]
	ds_load_b128 v[2:5], v1 offset:1680
	s_wait_loadcnt_dscnt 0x901
	v_mul_f64_e32 v[177:178], v[161:162], v[24:25]
	v_mul_f64_e32 v[24:25], v[163:164], v[24:25]
	scratch_load_b128 v[18:21], off, off offset:912
	s_wait_loadcnt_dscnt 0x900
	v_mul_f64_e32 v[183:184], v[2:3], v[28:29]
	v_mul_f64_e32 v[28:29], v[4:5], v[28:29]
	v_add_f64_e32 v[173:174], v[173:174], v[169:170]
	v_add_f64_e32 v[175:176], v[175:176], v[171:172]
	ds_load_b128 v[169:172], v1 offset:1696
	v_fma_f64 v[163:164], v[163:164], v[22:23], v[177:178]
	v_fma_f64 v[22:23], v[161:162], v[22:23], -v[24:25]
	v_add_f64_e32 v[24:25], v[173:174], v[181:182]
	v_add_f64_e32 v[161:162], v[175:176], v[179:180]
	s_wait_loadcnt_dscnt 0x800
	v_mul_f64_e32 v[173:174], v[169:170], v[32:33]
	v_mul_f64_e32 v[32:33], v[171:172], v[32:33]
	v_fma_f64 v[175:176], v[4:5], v[26:27], v[183:184]
	v_fma_f64 v[26:27], v[2:3], v[26:27], -v[28:29]
	v_add_f64_e32 v[28:29], v[24:25], v[22:23]
	v_add_f64_e32 v[161:162], v[161:162], v[163:164]
	ds_load_b128 v[2:5], v1 offset:1712
	ds_load_b128 v[22:25], v1 offset:1728
	v_fma_f64 v[171:172], v[171:172], v[30:31], v[173:174]
	v_fma_f64 v[30:31], v[169:170], v[30:31], -v[32:33]
	s_wait_loadcnt_dscnt 0x701
	v_mul_f64_e32 v[163:164], v[2:3], v[40:41]
	v_mul_f64_e32 v[40:41], v[4:5], v[40:41]
	s_wait_loadcnt_dscnt 0x500
	v_mul_f64_e32 v[32:33], v[22:23], v[167:168]
	v_add_f64_e32 v[26:27], v[28:29], v[26:27]
	v_add_f64_e32 v[28:29], v[161:162], v[175:176]
	v_mul_f64_e32 v[161:162], v[24:25], v[167:168]
	v_fma_f64 v[163:164], v[4:5], v[38:39], v[163:164]
	v_fma_f64 v[38:39], v[2:3], v[38:39], -v[40:41]
	v_fma_f64 v[24:25], v[24:25], v[165:166], v[32:33]
	v_add_f64_e32 v[30:31], v[26:27], v[30:31]
	v_add_f64_e32 v[40:41], v[28:29], v[171:172]
	ds_load_b128 v[2:5], v1 offset:1744
	ds_load_b128 v[26:29], v1 offset:1760
	v_fma_f64 v[22:23], v[22:23], v[165:166], -v[161:162]
	s_wait_loadcnt_dscnt 0x401
	v_mul_f64_e32 v[167:168], v[2:3], v[36:37]
	v_mul_f64_e32 v[36:37], v[4:5], v[36:37]
	v_add_f64_e32 v[30:31], v[30:31], v[38:39]
	v_add_f64_e32 v[32:33], v[40:41], v[163:164]
	s_wait_loadcnt_dscnt 0x300
	v_mul_f64_e32 v[38:39], v[26:27], v[8:9]
	v_mul_f64_e32 v[8:9], v[28:29], v[8:9]
	v_fma_f64 v[40:41], v[4:5], v[34:35], v[167:168]
	v_fma_f64 v[34:35], v[2:3], v[34:35], -v[36:37]
	v_add_f64_e32 v[30:31], v[30:31], v[22:23]
	v_add_f64_e32 v[32:33], v[32:33], v[24:25]
	ds_load_b128 v[2:5], v1 offset:1776
	ds_load_b128 v[22:25], v1 offset:1792
	v_fma_f64 v[28:29], v[28:29], v[6:7], v[38:39]
	v_fma_f64 v[6:7], v[26:27], v[6:7], -v[8:9]
	s_wait_loadcnt_dscnt 0x201
	v_mul_f64_e32 v[36:37], v[2:3], v[12:13]
	v_mul_f64_e32 v[12:13], v[4:5], v[12:13]
	v_add_f64_e32 v[8:9], v[30:31], v[34:35]
	v_add_f64_e32 v[26:27], v[32:33], v[40:41]
	s_wait_loadcnt_dscnt 0x100
	v_mul_f64_e32 v[30:31], v[22:23], v[16:17]
	v_mul_f64_e32 v[16:17], v[24:25], v[16:17]
	v_fma_f64 v[32:33], v[4:5], v[10:11], v[36:37]
	v_fma_f64 v[10:11], v[2:3], v[10:11], -v[12:13]
	ds_load_b128 v[2:5], v1 offset:1808
	v_add_f64_e32 v[6:7], v[8:9], v[6:7]
	v_add_f64_e32 v[8:9], v[26:27], v[28:29]
	v_fma_f64 v[24:25], v[24:25], v[14:15], v[30:31]
	v_fma_f64 v[14:15], v[22:23], v[14:15], -v[16:17]
	s_wait_loadcnt_dscnt 0x0
	v_mul_f64_e32 v[12:13], v[2:3], v[20:21]
	v_mul_f64_e32 v[20:21], v[4:5], v[20:21]
	v_add_f64_e32 v[6:7], v[6:7], v[10:11]
	v_add_f64_e32 v[8:9], v[8:9], v[32:33]
	s_delay_alu instid0(VALU_DEP_4) | instskip(NEXT) | instid1(VALU_DEP_4)
	v_fma_f64 v[4:5], v[4:5], v[18:19], v[12:13]
	v_fma_f64 v[2:3], v[2:3], v[18:19], -v[20:21]
	s_delay_alu instid0(VALU_DEP_4) | instskip(NEXT) | instid1(VALU_DEP_4)
	v_add_f64_e32 v[6:7], v[6:7], v[14:15]
	v_add_f64_e32 v[8:9], v[8:9], v[24:25]
	s_delay_alu instid0(VALU_DEP_2) | instskip(NEXT) | instid1(VALU_DEP_2)
	v_add_f64_e32 v[2:3], v[6:7], v[2:3]
	v_add_f64_e32 v[4:5], v[8:9], v[4:5]
	s_delay_alu instid0(VALU_DEP_2) | instskip(NEXT) | instid1(VALU_DEP_2)
	v_add_f64_e64 v[2:3], v[42:43], -v[2:3]
	v_add_f64_e64 v[4:5], v[44:45], -v[4:5]
	scratch_store_b128 off, v[2:5], off offset:672
	v_cmpx_lt_u32_e32 40, v0
	s_cbranch_execz .LBB56_275
; %bb.274:
	scratch_load_b128 v[5:8], off, s27
	v_dual_mov_b32 v2, v1 :: v_dual_mov_b32 v3, v1
	v_mov_b32_e32 v4, v1
	scratch_store_b128 off, v[1:4], off offset:656
	s_wait_loadcnt 0x0
	ds_store_b128 v160, v[5:8]
.LBB56_275:
	s_wait_alu 0xfffe
	s_or_b32 exec_lo, exec_lo, s0
	s_wait_storecnt_dscnt 0x0
	s_barrier_signal -1
	s_barrier_wait -1
	global_inv scope:SCOPE_SE
	s_clause 0x8
	scratch_load_b128 v[2:5], off, off offset:672
	scratch_load_b128 v[6:9], off, off offset:688
	;; [unrolled: 1-line block ×9, first 2 shown]
	ds_load_b128 v[38:41], v1 offset:1568
	ds_load_b128 v[42:45], v1 offset:1584
	s_clause 0x1
	scratch_load_b128 v[161:164], off, off offset:656
	scratch_load_b128 v[165:168], off, off offset:816
	s_mov_b32 s0, exec_lo
	s_wait_loadcnt_dscnt 0xa01
	v_mul_f64_e32 v[169:170], v[40:41], v[4:5]
	v_mul_f64_e32 v[4:5], v[38:39], v[4:5]
	s_wait_loadcnt_dscnt 0x900
	v_mul_f64_e32 v[173:174], v[42:43], v[8:9]
	v_mul_f64_e32 v[8:9], v[44:45], v[8:9]
	s_delay_alu instid0(VALU_DEP_4) | instskip(NEXT) | instid1(VALU_DEP_4)
	v_fma_f64 v[175:176], v[38:39], v[2:3], -v[169:170]
	v_fma_f64 v[177:178], v[40:41], v[2:3], v[4:5]
	ds_load_b128 v[2:5], v1 offset:1600
	ds_load_b128 v[169:172], v1 offset:1616
	scratch_load_b128 v[38:41], off, off offset:832
	v_fma_f64 v[44:45], v[44:45], v[6:7], v[173:174]
	v_fma_f64 v[42:43], v[42:43], v[6:7], -v[8:9]
	scratch_load_b128 v[6:9], off, off offset:848
	s_wait_loadcnt_dscnt 0xa01
	v_mul_f64_e32 v[179:180], v[2:3], v[12:13]
	v_mul_f64_e32 v[12:13], v[4:5], v[12:13]
	v_add_f64_e32 v[173:174], 0, v[175:176]
	v_add_f64_e32 v[175:176], 0, v[177:178]
	s_wait_loadcnt_dscnt 0x900
	v_mul_f64_e32 v[177:178], v[169:170], v[16:17]
	v_mul_f64_e32 v[16:17], v[171:172], v[16:17]
	v_fma_f64 v[179:180], v[4:5], v[10:11], v[179:180]
	v_fma_f64 v[181:182], v[2:3], v[10:11], -v[12:13]
	ds_load_b128 v[2:5], v1 offset:1632
	scratch_load_b128 v[10:13], off, off offset:864
	v_add_f64_e32 v[173:174], v[173:174], v[42:43]
	v_add_f64_e32 v[175:176], v[175:176], v[44:45]
	ds_load_b128 v[42:45], v1 offset:1648
	v_fma_f64 v[171:172], v[171:172], v[14:15], v[177:178]
	v_fma_f64 v[169:170], v[169:170], v[14:15], -v[16:17]
	scratch_load_b128 v[14:17], off, off offset:880
	s_wait_loadcnt_dscnt 0xa01
	v_mul_f64_e32 v[183:184], v[2:3], v[20:21]
	v_mul_f64_e32 v[20:21], v[4:5], v[20:21]
	s_wait_loadcnt_dscnt 0x900
	v_mul_f64_e32 v[177:178], v[42:43], v[24:25]
	v_mul_f64_e32 v[24:25], v[44:45], v[24:25]
	v_add_f64_e32 v[173:174], v[173:174], v[181:182]
	v_add_f64_e32 v[175:176], v[175:176], v[179:180]
	v_fma_f64 v[179:180], v[4:5], v[18:19], v[183:184]
	v_fma_f64 v[181:182], v[2:3], v[18:19], -v[20:21]
	ds_load_b128 v[2:5], v1 offset:1664
	scratch_load_b128 v[18:21], off, off offset:896
	v_fma_f64 v[44:45], v[44:45], v[22:23], v[177:178]
	v_fma_f64 v[42:43], v[42:43], v[22:23], -v[24:25]
	scratch_load_b128 v[22:25], off, off offset:912
	v_add_f64_e32 v[173:174], v[173:174], v[169:170]
	v_add_f64_e32 v[175:176], v[175:176], v[171:172]
	ds_load_b128 v[169:172], v1 offset:1680
	s_wait_loadcnt_dscnt 0xa01
	v_mul_f64_e32 v[183:184], v[2:3], v[28:29]
	v_mul_f64_e32 v[28:29], v[4:5], v[28:29]
	s_wait_loadcnt_dscnt 0x900
	v_mul_f64_e32 v[177:178], v[169:170], v[32:33]
	v_mul_f64_e32 v[32:33], v[171:172], v[32:33]
	v_add_f64_e32 v[173:174], v[173:174], v[181:182]
	v_add_f64_e32 v[175:176], v[175:176], v[179:180]
	v_fma_f64 v[179:180], v[4:5], v[26:27], v[183:184]
	v_fma_f64 v[181:182], v[2:3], v[26:27], -v[28:29]
	ds_load_b128 v[2:5], v1 offset:1696
	ds_load_b128 v[26:29], v1 offset:1712
	v_fma_f64 v[171:172], v[171:172], v[30:31], v[177:178]
	v_fma_f64 v[30:31], v[169:170], v[30:31], -v[32:33]
	v_add_f64_e32 v[42:43], v[173:174], v[42:43]
	v_add_f64_e32 v[44:45], v[175:176], v[44:45]
	s_wait_loadcnt_dscnt 0x801
	v_mul_f64_e32 v[173:174], v[2:3], v[36:37]
	v_mul_f64_e32 v[36:37], v[4:5], v[36:37]
	s_delay_alu instid0(VALU_DEP_4) | instskip(NEXT) | instid1(VALU_DEP_4)
	v_add_f64_e32 v[32:33], v[42:43], v[181:182]
	v_add_f64_e32 v[42:43], v[44:45], v[179:180]
	s_wait_loadcnt_dscnt 0x600
	v_mul_f64_e32 v[44:45], v[26:27], v[167:168]
	v_mul_f64_e32 v[167:168], v[28:29], v[167:168]
	v_fma_f64 v[169:170], v[4:5], v[34:35], v[173:174]
	v_fma_f64 v[34:35], v[2:3], v[34:35], -v[36:37]
	v_add_f64_e32 v[36:37], v[32:33], v[30:31]
	v_add_f64_e32 v[42:43], v[42:43], v[171:172]
	ds_load_b128 v[2:5], v1 offset:1728
	ds_load_b128 v[30:33], v1 offset:1744
	v_fma_f64 v[28:29], v[28:29], v[165:166], v[44:45]
	v_fma_f64 v[26:27], v[26:27], v[165:166], -v[167:168]
	s_wait_loadcnt_dscnt 0x501
	v_mul_f64_e32 v[171:172], v[2:3], v[40:41]
	v_mul_f64_e32 v[40:41], v[4:5], v[40:41]
	v_add_f64_e32 v[34:35], v[36:37], v[34:35]
	v_add_f64_e32 v[36:37], v[42:43], v[169:170]
	s_wait_loadcnt_dscnt 0x400
	v_mul_f64_e32 v[42:43], v[30:31], v[8:9]
	v_mul_f64_e32 v[8:9], v[32:33], v[8:9]
	v_fma_f64 v[44:45], v[4:5], v[38:39], v[171:172]
	v_fma_f64 v[38:39], v[2:3], v[38:39], -v[40:41]
	v_add_f64_e32 v[34:35], v[34:35], v[26:27]
	v_add_f64_e32 v[36:37], v[36:37], v[28:29]
	ds_load_b128 v[2:5], v1 offset:1760
	ds_load_b128 v[26:29], v1 offset:1776
	v_fma_f64 v[32:33], v[32:33], v[6:7], v[42:43]
	v_fma_f64 v[6:7], v[30:31], v[6:7], -v[8:9]
	s_wait_loadcnt_dscnt 0x301
	v_mul_f64_e32 v[40:41], v[2:3], v[12:13]
	v_mul_f64_e32 v[12:13], v[4:5], v[12:13]
	;; [unrolled: 16-line block ×3, first 2 shown]
	s_wait_loadcnt_dscnt 0x0
	v_mul_f64_e32 v[16:17], v[6:7], v[24:25]
	v_mul_f64_e32 v[24:25], v[8:9], v[24:25]
	v_add_f64_e32 v[10:11], v[12:13], v[10:11]
	v_add_f64_e32 v[12:13], v[30:31], v[36:37]
	v_fma_f64 v[4:5], v[4:5], v[18:19], v[32:33]
	v_fma_f64 v[1:2], v[2:3], v[18:19], -v[20:21]
	v_fma_f64 v[8:9], v[8:9], v[22:23], v[16:17]
	v_fma_f64 v[6:7], v[6:7], v[22:23], -v[24:25]
	v_add_f64_e32 v[10:11], v[10:11], v[14:15]
	v_add_f64_e32 v[12:13], v[12:13], v[28:29]
	s_delay_alu instid0(VALU_DEP_2) | instskip(NEXT) | instid1(VALU_DEP_2)
	v_add_f64_e32 v[1:2], v[10:11], v[1:2]
	v_add_f64_e32 v[3:4], v[12:13], v[4:5]
	s_delay_alu instid0(VALU_DEP_2) | instskip(NEXT) | instid1(VALU_DEP_2)
	;; [unrolled: 3-line block ×3, first 2 shown]
	v_add_f64_e64 v[1:2], v[161:162], -v[1:2]
	v_add_f64_e64 v[3:4], v[163:164], -v[3:4]
	scratch_store_b128 off, v[1:4], off offset:656
	v_cmpx_lt_u32_e32 39, v0
	s_cbranch_execz .LBB56_277
; %bb.276:
	scratch_load_b128 v[1:4], off, s29
	v_mov_b32_e32 v5, 0
	s_delay_alu instid0(VALU_DEP_1)
	v_dual_mov_b32 v6, v5 :: v_dual_mov_b32 v7, v5
	v_mov_b32_e32 v8, v5
	scratch_store_b128 off, v[5:8], off offset:640
	s_wait_loadcnt 0x0
	ds_store_b128 v160, v[1:4]
.LBB56_277:
	s_wait_alu 0xfffe
	s_or_b32 exec_lo, exec_lo, s0
	s_wait_storecnt_dscnt 0x0
	s_barrier_signal -1
	s_barrier_wait -1
	global_inv scope:SCOPE_SE
	s_clause 0x7
	scratch_load_b128 v[2:5], off, off offset:656
	scratch_load_b128 v[6:9], off, off offset:672
	;; [unrolled: 1-line block ×8, first 2 shown]
	v_mov_b32_e32 v1, 0
	s_mov_b32 s0, exec_lo
	ds_load_b128 v[34:37], v1 offset:1552
	s_clause 0x1
	scratch_load_b128 v[38:41], off, off offset:784
	scratch_load_b128 v[42:45], off, off offset:640
	ds_load_b128 v[161:164], v1 offset:1568
	scratch_load_b128 v[165:168], off, off offset:800
	s_wait_loadcnt_dscnt 0xa01
	v_mul_f64_e32 v[169:170], v[36:37], v[4:5]
	v_mul_f64_e32 v[4:5], v[34:35], v[4:5]
	s_delay_alu instid0(VALU_DEP_2) | instskip(NEXT) | instid1(VALU_DEP_2)
	v_fma_f64 v[175:176], v[34:35], v[2:3], -v[169:170]
	v_fma_f64 v[177:178], v[36:37], v[2:3], v[4:5]
	ds_load_b128 v[2:5], v1 offset:1584
	s_wait_loadcnt_dscnt 0x901
	v_mul_f64_e32 v[173:174], v[161:162], v[8:9]
	v_mul_f64_e32 v[8:9], v[163:164], v[8:9]
	scratch_load_b128 v[34:37], off, off offset:816
	ds_load_b128 v[169:172], v1 offset:1600
	s_wait_loadcnt_dscnt 0x901
	v_mul_f64_e32 v[179:180], v[2:3], v[12:13]
	v_mul_f64_e32 v[12:13], v[4:5], v[12:13]
	v_fma_f64 v[163:164], v[163:164], v[6:7], v[173:174]
	v_fma_f64 v[161:162], v[161:162], v[6:7], -v[8:9]
	v_add_f64_e32 v[173:174], 0, v[175:176]
	v_add_f64_e32 v[175:176], 0, v[177:178]
	scratch_load_b128 v[6:9], off, off offset:832
	v_fma_f64 v[179:180], v[4:5], v[10:11], v[179:180]
	v_fma_f64 v[181:182], v[2:3], v[10:11], -v[12:13]
	ds_load_b128 v[2:5], v1 offset:1616
	s_wait_loadcnt_dscnt 0x901
	v_mul_f64_e32 v[177:178], v[169:170], v[16:17]
	v_mul_f64_e32 v[16:17], v[171:172], v[16:17]
	scratch_load_b128 v[10:13], off, off offset:848
	v_add_f64_e32 v[173:174], v[173:174], v[161:162]
	v_add_f64_e32 v[175:176], v[175:176], v[163:164]
	s_wait_loadcnt_dscnt 0x900
	v_mul_f64_e32 v[183:184], v[2:3], v[20:21]
	v_mul_f64_e32 v[20:21], v[4:5], v[20:21]
	ds_load_b128 v[161:164], v1 offset:1632
	v_fma_f64 v[171:172], v[171:172], v[14:15], v[177:178]
	v_fma_f64 v[169:170], v[169:170], v[14:15], -v[16:17]
	scratch_load_b128 v[14:17], off, off offset:864
	v_add_f64_e32 v[173:174], v[173:174], v[181:182]
	v_add_f64_e32 v[175:176], v[175:176], v[179:180]
	v_fma_f64 v[179:180], v[4:5], v[18:19], v[183:184]
	v_fma_f64 v[181:182], v[2:3], v[18:19], -v[20:21]
	ds_load_b128 v[2:5], v1 offset:1648
	s_wait_loadcnt_dscnt 0x901
	v_mul_f64_e32 v[177:178], v[161:162], v[24:25]
	v_mul_f64_e32 v[24:25], v[163:164], v[24:25]
	scratch_load_b128 v[18:21], off, off offset:880
	s_wait_loadcnt_dscnt 0x900
	v_mul_f64_e32 v[183:184], v[2:3], v[28:29]
	v_mul_f64_e32 v[28:29], v[4:5], v[28:29]
	v_add_f64_e32 v[173:174], v[173:174], v[169:170]
	v_add_f64_e32 v[175:176], v[175:176], v[171:172]
	ds_load_b128 v[169:172], v1 offset:1664
	v_fma_f64 v[163:164], v[163:164], v[22:23], v[177:178]
	v_fma_f64 v[161:162], v[161:162], v[22:23], -v[24:25]
	scratch_load_b128 v[22:25], off, off offset:896
	v_add_f64_e32 v[173:174], v[173:174], v[181:182]
	v_add_f64_e32 v[175:176], v[175:176], v[179:180]
	v_fma_f64 v[179:180], v[4:5], v[26:27], v[183:184]
	v_fma_f64 v[181:182], v[2:3], v[26:27], -v[28:29]
	ds_load_b128 v[2:5], v1 offset:1680
	s_wait_loadcnt_dscnt 0x901
	v_mul_f64_e32 v[177:178], v[169:170], v[32:33]
	v_mul_f64_e32 v[32:33], v[171:172], v[32:33]
	scratch_load_b128 v[26:29], off, off offset:912
	s_wait_loadcnt_dscnt 0x900
	v_mul_f64_e32 v[183:184], v[2:3], v[40:41]
	v_mul_f64_e32 v[40:41], v[4:5], v[40:41]
	v_add_f64_e32 v[173:174], v[173:174], v[161:162]
	v_add_f64_e32 v[175:176], v[175:176], v[163:164]
	ds_load_b128 v[161:164], v1 offset:1696
	v_fma_f64 v[171:172], v[171:172], v[30:31], v[177:178]
	v_fma_f64 v[30:31], v[169:170], v[30:31], -v[32:33]
	v_add_f64_e32 v[32:33], v[173:174], v[181:182]
	v_add_f64_e32 v[169:170], v[175:176], v[179:180]
	s_wait_loadcnt_dscnt 0x700
	v_mul_f64_e32 v[173:174], v[161:162], v[167:168]
	v_mul_f64_e32 v[167:168], v[163:164], v[167:168]
	v_fma_f64 v[175:176], v[4:5], v[38:39], v[183:184]
	v_fma_f64 v[38:39], v[2:3], v[38:39], -v[40:41]
	v_add_f64_e32 v[40:41], v[32:33], v[30:31]
	v_add_f64_e32 v[169:170], v[169:170], v[171:172]
	ds_load_b128 v[2:5], v1 offset:1712
	ds_load_b128 v[30:33], v1 offset:1728
	v_fma_f64 v[163:164], v[163:164], v[165:166], v[173:174]
	v_fma_f64 v[161:162], v[161:162], v[165:166], -v[167:168]
	s_wait_loadcnt_dscnt 0x601
	v_mul_f64_e32 v[171:172], v[2:3], v[36:37]
	v_mul_f64_e32 v[36:37], v[4:5], v[36:37]
	v_add_f64_e32 v[38:39], v[40:41], v[38:39]
	v_add_f64_e32 v[40:41], v[169:170], v[175:176]
	s_wait_loadcnt_dscnt 0x500
	v_mul_f64_e32 v[165:166], v[30:31], v[8:9]
	v_mul_f64_e32 v[8:9], v[32:33], v[8:9]
	v_fma_f64 v[167:168], v[4:5], v[34:35], v[171:172]
	v_fma_f64 v[169:170], v[2:3], v[34:35], -v[36:37]
	ds_load_b128 v[2:5], v1 offset:1744
	ds_load_b128 v[34:37], v1 offset:1760
	v_add_f64_e32 v[38:39], v[38:39], v[161:162]
	v_add_f64_e32 v[40:41], v[40:41], v[163:164]
	s_wait_loadcnt_dscnt 0x401
	v_mul_f64_e32 v[161:162], v[2:3], v[12:13]
	v_mul_f64_e32 v[12:13], v[4:5], v[12:13]
	v_fma_f64 v[32:33], v[32:33], v[6:7], v[165:166]
	v_fma_f64 v[6:7], v[30:31], v[6:7], -v[8:9]
	v_add_f64_e32 v[8:9], v[38:39], v[169:170]
	v_add_f64_e32 v[30:31], v[40:41], v[167:168]
	s_wait_loadcnt_dscnt 0x300
	v_mul_f64_e32 v[38:39], v[34:35], v[16:17]
	v_mul_f64_e32 v[16:17], v[36:37], v[16:17]
	v_fma_f64 v[40:41], v[4:5], v[10:11], v[161:162]
	v_fma_f64 v[10:11], v[2:3], v[10:11], -v[12:13]
	v_add_f64_e32 v[12:13], v[8:9], v[6:7]
	v_add_f64_e32 v[30:31], v[30:31], v[32:33]
	ds_load_b128 v[2:5], v1 offset:1776
	ds_load_b128 v[6:9], v1 offset:1792
	v_fma_f64 v[36:37], v[36:37], v[14:15], v[38:39]
	v_fma_f64 v[14:15], v[34:35], v[14:15], -v[16:17]
	s_wait_loadcnt_dscnt 0x201
	v_mul_f64_e32 v[32:33], v[2:3], v[20:21]
	v_mul_f64_e32 v[20:21], v[4:5], v[20:21]
	s_wait_loadcnt_dscnt 0x100
	v_mul_f64_e32 v[16:17], v[6:7], v[24:25]
	v_mul_f64_e32 v[24:25], v[8:9], v[24:25]
	v_add_f64_e32 v[10:11], v[12:13], v[10:11]
	v_add_f64_e32 v[12:13], v[30:31], v[40:41]
	v_fma_f64 v[30:31], v[4:5], v[18:19], v[32:33]
	v_fma_f64 v[18:19], v[2:3], v[18:19], -v[20:21]
	ds_load_b128 v[2:5], v1 offset:1808
	v_fma_f64 v[8:9], v[8:9], v[22:23], v[16:17]
	v_fma_f64 v[6:7], v[6:7], v[22:23], -v[24:25]
	v_add_f64_e32 v[10:11], v[10:11], v[14:15]
	v_add_f64_e32 v[12:13], v[12:13], v[36:37]
	s_wait_loadcnt_dscnt 0x0
	v_mul_f64_e32 v[14:15], v[2:3], v[28:29]
	v_mul_f64_e32 v[20:21], v[4:5], v[28:29]
	s_delay_alu instid0(VALU_DEP_4) | instskip(NEXT) | instid1(VALU_DEP_4)
	v_add_f64_e32 v[10:11], v[10:11], v[18:19]
	v_add_f64_e32 v[12:13], v[12:13], v[30:31]
	s_delay_alu instid0(VALU_DEP_4) | instskip(NEXT) | instid1(VALU_DEP_4)
	v_fma_f64 v[4:5], v[4:5], v[26:27], v[14:15]
	v_fma_f64 v[2:3], v[2:3], v[26:27], -v[20:21]
	s_delay_alu instid0(VALU_DEP_4) | instskip(NEXT) | instid1(VALU_DEP_4)
	v_add_f64_e32 v[6:7], v[10:11], v[6:7]
	v_add_f64_e32 v[8:9], v[12:13], v[8:9]
	s_delay_alu instid0(VALU_DEP_2) | instskip(NEXT) | instid1(VALU_DEP_2)
	v_add_f64_e32 v[2:3], v[6:7], v[2:3]
	v_add_f64_e32 v[4:5], v[8:9], v[4:5]
	s_delay_alu instid0(VALU_DEP_2) | instskip(NEXT) | instid1(VALU_DEP_2)
	v_add_f64_e64 v[2:3], v[42:43], -v[2:3]
	v_add_f64_e64 v[4:5], v[44:45], -v[4:5]
	scratch_store_b128 off, v[2:5], off offset:640
	v_cmpx_lt_u32_e32 38, v0
	s_cbranch_execz .LBB56_279
; %bb.278:
	scratch_load_b128 v[5:8], off, s31
	v_dual_mov_b32 v2, v1 :: v_dual_mov_b32 v3, v1
	v_mov_b32_e32 v4, v1
	scratch_store_b128 off, v[1:4], off offset:624
	s_wait_loadcnt 0x0
	ds_store_b128 v160, v[5:8]
.LBB56_279:
	s_wait_alu 0xfffe
	s_or_b32 exec_lo, exec_lo, s0
	s_wait_storecnt_dscnt 0x0
	s_barrier_signal -1
	s_barrier_wait -1
	global_inv scope:SCOPE_SE
	s_clause 0x8
	scratch_load_b128 v[2:5], off, off offset:640
	scratch_load_b128 v[6:9], off, off offset:656
	;; [unrolled: 1-line block ×9, first 2 shown]
	ds_load_b128 v[38:41], v1 offset:1536
	ds_load_b128 v[42:45], v1 offset:1552
	s_clause 0x1
	scratch_load_b128 v[161:164], off, off offset:624
	scratch_load_b128 v[165:168], off, off offset:784
	s_mov_b32 s0, exec_lo
	s_wait_loadcnt_dscnt 0xa01
	v_mul_f64_e32 v[169:170], v[40:41], v[4:5]
	v_mul_f64_e32 v[4:5], v[38:39], v[4:5]
	s_wait_loadcnt_dscnt 0x900
	v_mul_f64_e32 v[173:174], v[42:43], v[8:9]
	v_mul_f64_e32 v[8:9], v[44:45], v[8:9]
	s_delay_alu instid0(VALU_DEP_4) | instskip(NEXT) | instid1(VALU_DEP_4)
	v_fma_f64 v[175:176], v[38:39], v[2:3], -v[169:170]
	v_fma_f64 v[177:178], v[40:41], v[2:3], v[4:5]
	ds_load_b128 v[2:5], v1 offset:1568
	ds_load_b128 v[169:172], v1 offset:1584
	scratch_load_b128 v[38:41], off, off offset:800
	v_fma_f64 v[44:45], v[44:45], v[6:7], v[173:174]
	v_fma_f64 v[42:43], v[42:43], v[6:7], -v[8:9]
	scratch_load_b128 v[6:9], off, off offset:816
	s_wait_loadcnt_dscnt 0xa01
	v_mul_f64_e32 v[179:180], v[2:3], v[12:13]
	v_mul_f64_e32 v[12:13], v[4:5], v[12:13]
	v_add_f64_e32 v[173:174], 0, v[175:176]
	v_add_f64_e32 v[175:176], 0, v[177:178]
	s_wait_loadcnt_dscnt 0x900
	v_mul_f64_e32 v[177:178], v[169:170], v[16:17]
	v_mul_f64_e32 v[16:17], v[171:172], v[16:17]
	v_fma_f64 v[179:180], v[4:5], v[10:11], v[179:180]
	v_fma_f64 v[181:182], v[2:3], v[10:11], -v[12:13]
	ds_load_b128 v[2:5], v1 offset:1600
	scratch_load_b128 v[10:13], off, off offset:832
	v_add_f64_e32 v[173:174], v[173:174], v[42:43]
	v_add_f64_e32 v[175:176], v[175:176], v[44:45]
	ds_load_b128 v[42:45], v1 offset:1616
	v_fma_f64 v[171:172], v[171:172], v[14:15], v[177:178]
	v_fma_f64 v[169:170], v[169:170], v[14:15], -v[16:17]
	scratch_load_b128 v[14:17], off, off offset:848
	s_wait_loadcnt_dscnt 0xa01
	v_mul_f64_e32 v[183:184], v[2:3], v[20:21]
	v_mul_f64_e32 v[20:21], v[4:5], v[20:21]
	s_wait_loadcnt_dscnt 0x900
	v_mul_f64_e32 v[177:178], v[42:43], v[24:25]
	v_mul_f64_e32 v[24:25], v[44:45], v[24:25]
	v_add_f64_e32 v[173:174], v[173:174], v[181:182]
	v_add_f64_e32 v[175:176], v[175:176], v[179:180]
	v_fma_f64 v[179:180], v[4:5], v[18:19], v[183:184]
	v_fma_f64 v[181:182], v[2:3], v[18:19], -v[20:21]
	ds_load_b128 v[2:5], v1 offset:1632
	scratch_load_b128 v[18:21], off, off offset:864
	v_fma_f64 v[44:45], v[44:45], v[22:23], v[177:178]
	v_fma_f64 v[42:43], v[42:43], v[22:23], -v[24:25]
	scratch_load_b128 v[22:25], off, off offset:880
	v_add_f64_e32 v[173:174], v[173:174], v[169:170]
	v_add_f64_e32 v[175:176], v[175:176], v[171:172]
	ds_load_b128 v[169:172], v1 offset:1648
	s_wait_loadcnt_dscnt 0xa01
	v_mul_f64_e32 v[183:184], v[2:3], v[28:29]
	v_mul_f64_e32 v[28:29], v[4:5], v[28:29]
	s_wait_loadcnt_dscnt 0x900
	v_mul_f64_e32 v[177:178], v[169:170], v[32:33]
	v_mul_f64_e32 v[32:33], v[171:172], v[32:33]
	v_add_f64_e32 v[173:174], v[173:174], v[181:182]
	v_add_f64_e32 v[175:176], v[175:176], v[179:180]
	v_fma_f64 v[179:180], v[4:5], v[26:27], v[183:184]
	v_fma_f64 v[181:182], v[2:3], v[26:27], -v[28:29]
	ds_load_b128 v[2:5], v1 offset:1664
	scratch_load_b128 v[26:29], off, off offset:896
	v_fma_f64 v[171:172], v[171:172], v[30:31], v[177:178]
	v_fma_f64 v[169:170], v[169:170], v[30:31], -v[32:33]
	scratch_load_b128 v[30:33], off, off offset:912
	v_add_f64_e32 v[173:174], v[173:174], v[42:43]
	v_add_f64_e32 v[175:176], v[175:176], v[44:45]
	ds_load_b128 v[42:45], v1 offset:1680
	s_wait_loadcnt_dscnt 0xa01
	v_mul_f64_e32 v[183:184], v[2:3], v[36:37]
	v_mul_f64_e32 v[36:37], v[4:5], v[36:37]
	s_wait_loadcnt_dscnt 0x800
	v_mul_f64_e32 v[177:178], v[42:43], v[167:168]
	v_mul_f64_e32 v[167:168], v[44:45], v[167:168]
	v_add_f64_e32 v[173:174], v[173:174], v[181:182]
	v_add_f64_e32 v[175:176], v[175:176], v[179:180]
	v_fma_f64 v[179:180], v[4:5], v[34:35], v[183:184]
	v_fma_f64 v[181:182], v[2:3], v[34:35], -v[36:37]
	ds_load_b128 v[2:5], v1 offset:1696
	ds_load_b128 v[34:37], v1 offset:1712
	v_fma_f64 v[44:45], v[44:45], v[165:166], v[177:178]
	v_fma_f64 v[42:43], v[42:43], v[165:166], -v[167:168]
	v_add_f64_e32 v[169:170], v[173:174], v[169:170]
	v_add_f64_e32 v[171:172], v[175:176], v[171:172]
	s_wait_loadcnt_dscnt 0x701
	v_mul_f64_e32 v[173:174], v[2:3], v[40:41]
	v_mul_f64_e32 v[40:41], v[4:5], v[40:41]
	s_delay_alu instid0(VALU_DEP_4) | instskip(NEXT) | instid1(VALU_DEP_4)
	v_add_f64_e32 v[165:166], v[169:170], v[181:182]
	v_add_f64_e32 v[167:168], v[171:172], v[179:180]
	s_wait_loadcnt_dscnt 0x600
	v_mul_f64_e32 v[169:170], v[34:35], v[8:9]
	v_mul_f64_e32 v[8:9], v[36:37], v[8:9]
	v_fma_f64 v[171:172], v[4:5], v[38:39], v[173:174]
	v_fma_f64 v[173:174], v[2:3], v[38:39], -v[40:41]
	ds_load_b128 v[2:5], v1 offset:1728
	ds_load_b128 v[38:41], v1 offset:1744
	v_add_f64_e32 v[42:43], v[165:166], v[42:43]
	v_add_f64_e32 v[44:45], v[167:168], v[44:45]
	v_fma_f64 v[36:37], v[36:37], v[6:7], v[169:170]
	s_wait_loadcnt_dscnt 0x501
	v_mul_f64_e32 v[165:166], v[2:3], v[12:13]
	v_mul_f64_e32 v[12:13], v[4:5], v[12:13]
	v_fma_f64 v[6:7], v[34:35], v[6:7], -v[8:9]
	v_add_f64_e32 v[8:9], v[42:43], v[173:174]
	v_add_f64_e32 v[34:35], v[44:45], v[171:172]
	s_wait_loadcnt_dscnt 0x400
	v_mul_f64_e32 v[42:43], v[38:39], v[16:17]
	v_mul_f64_e32 v[16:17], v[40:41], v[16:17]
	v_fma_f64 v[44:45], v[4:5], v[10:11], v[165:166]
	v_fma_f64 v[10:11], v[2:3], v[10:11], -v[12:13]
	v_add_f64_e32 v[12:13], v[8:9], v[6:7]
	v_add_f64_e32 v[34:35], v[34:35], v[36:37]
	ds_load_b128 v[2:5], v1 offset:1760
	ds_load_b128 v[6:9], v1 offset:1776
	v_fma_f64 v[40:41], v[40:41], v[14:15], v[42:43]
	v_fma_f64 v[14:15], v[38:39], v[14:15], -v[16:17]
	s_wait_loadcnt_dscnt 0x301
	v_mul_f64_e32 v[36:37], v[2:3], v[20:21]
	v_mul_f64_e32 v[20:21], v[4:5], v[20:21]
	s_wait_loadcnt_dscnt 0x200
	v_mul_f64_e32 v[16:17], v[6:7], v[24:25]
	v_mul_f64_e32 v[24:25], v[8:9], v[24:25]
	v_add_f64_e32 v[10:11], v[12:13], v[10:11]
	v_add_f64_e32 v[12:13], v[34:35], v[44:45]
	v_fma_f64 v[34:35], v[4:5], v[18:19], v[36:37]
	v_fma_f64 v[18:19], v[2:3], v[18:19], -v[20:21]
	v_fma_f64 v[8:9], v[8:9], v[22:23], v[16:17]
	v_fma_f64 v[6:7], v[6:7], v[22:23], -v[24:25]
	v_add_f64_e32 v[14:15], v[10:11], v[14:15]
	v_add_f64_e32 v[20:21], v[12:13], v[40:41]
	ds_load_b128 v[2:5], v1 offset:1792
	ds_load_b128 v[10:13], v1 offset:1808
	s_wait_loadcnt_dscnt 0x101
	v_mul_f64_e32 v[36:37], v[2:3], v[28:29]
	v_mul_f64_e32 v[28:29], v[4:5], v[28:29]
	v_add_f64_e32 v[14:15], v[14:15], v[18:19]
	v_add_f64_e32 v[16:17], v[20:21], v[34:35]
	s_wait_loadcnt_dscnt 0x0
	v_mul_f64_e32 v[18:19], v[10:11], v[32:33]
	v_mul_f64_e32 v[20:21], v[12:13], v[32:33]
	v_fma_f64 v[4:5], v[4:5], v[26:27], v[36:37]
	v_fma_f64 v[1:2], v[2:3], v[26:27], -v[28:29]
	v_add_f64_e32 v[6:7], v[14:15], v[6:7]
	v_add_f64_e32 v[8:9], v[16:17], v[8:9]
	v_fma_f64 v[12:13], v[12:13], v[30:31], v[18:19]
	v_fma_f64 v[10:11], v[10:11], v[30:31], -v[20:21]
	s_delay_alu instid0(VALU_DEP_4) | instskip(NEXT) | instid1(VALU_DEP_4)
	v_add_f64_e32 v[1:2], v[6:7], v[1:2]
	v_add_f64_e32 v[3:4], v[8:9], v[4:5]
	s_delay_alu instid0(VALU_DEP_2) | instskip(NEXT) | instid1(VALU_DEP_2)
	v_add_f64_e32 v[1:2], v[1:2], v[10:11]
	v_add_f64_e32 v[3:4], v[3:4], v[12:13]
	s_delay_alu instid0(VALU_DEP_2) | instskip(NEXT) | instid1(VALU_DEP_2)
	v_add_f64_e64 v[1:2], v[161:162], -v[1:2]
	v_add_f64_e64 v[3:4], v[163:164], -v[3:4]
	scratch_store_b128 off, v[1:4], off offset:624
	v_cmpx_lt_u32_e32 37, v0
	s_cbranch_execz .LBB56_281
; %bb.280:
	scratch_load_b128 v[1:4], off, s33
	v_mov_b32_e32 v5, 0
	s_delay_alu instid0(VALU_DEP_1)
	v_dual_mov_b32 v6, v5 :: v_dual_mov_b32 v7, v5
	v_mov_b32_e32 v8, v5
	scratch_store_b128 off, v[5:8], off offset:608
	s_wait_loadcnt 0x0
	ds_store_b128 v160, v[1:4]
.LBB56_281:
	s_wait_alu 0xfffe
	s_or_b32 exec_lo, exec_lo, s0
	s_wait_storecnt_dscnt 0x0
	s_barrier_signal -1
	s_barrier_wait -1
	global_inv scope:SCOPE_SE
	s_clause 0x7
	scratch_load_b128 v[2:5], off, off offset:624
	scratch_load_b128 v[6:9], off, off offset:640
	;; [unrolled: 1-line block ×8, first 2 shown]
	v_mov_b32_e32 v1, 0
	s_mov_b32 s0, exec_lo
	ds_load_b128 v[34:37], v1 offset:1520
	s_clause 0x1
	scratch_load_b128 v[38:41], off, off offset:752
	scratch_load_b128 v[42:45], off, off offset:608
	ds_load_b128 v[161:164], v1 offset:1536
	scratch_load_b128 v[165:168], off, off offset:768
	s_wait_loadcnt_dscnt 0xa01
	v_mul_f64_e32 v[169:170], v[36:37], v[4:5]
	v_mul_f64_e32 v[4:5], v[34:35], v[4:5]
	s_delay_alu instid0(VALU_DEP_2) | instskip(NEXT) | instid1(VALU_DEP_2)
	v_fma_f64 v[175:176], v[34:35], v[2:3], -v[169:170]
	v_fma_f64 v[177:178], v[36:37], v[2:3], v[4:5]
	ds_load_b128 v[2:5], v1 offset:1552
	s_wait_loadcnt_dscnt 0x901
	v_mul_f64_e32 v[173:174], v[161:162], v[8:9]
	v_mul_f64_e32 v[8:9], v[163:164], v[8:9]
	scratch_load_b128 v[34:37], off, off offset:784
	ds_load_b128 v[169:172], v1 offset:1568
	s_wait_loadcnt_dscnt 0x901
	v_mul_f64_e32 v[179:180], v[2:3], v[12:13]
	v_mul_f64_e32 v[12:13], v[4:5], v[12:13]
	v_fma_f64 v[163:164], v[163:164], v[6:7], v[173:174]
	v_fma_f64 v[161:162], v[161:162], v[6:7], -v[8:9]
	v_add_f64_e32 v[173:174], 0, v[175:176]
	v_add_f64_e32 v[175:176], 0, v[177:178]
	scratch_load_b128 v[6:9], off, off offset:800
	v_fma_f64 v[179:180], v[4:5], v[10:11], v[179:180]
	v_fma_f64 v[181:182], v[2:3], v[10:11], -v[12:13]
	ds_load_b128 v[2:5], v1 offset:1584
	s_wait_loadcnt_dscnt 0x901
	v_mul_f64_e32 v[177:178], v[169:170], v[16:17]
	v_mul_f64_e32 v[16:17], v[171:172], v[16:17]
	scratch_load_b128 v[10:13], off, off offset:816
	v_add_f64_e32 v[173:174], v[173:174], v[161:162]
	v_add_f64_e32 v[175:176], v[175:176], v[163:164]
	s_wait_loadcnt_dscnt 0x900
	v_mul_f64_e32 v[183:184], v[2:3], v[20:21]
	v_mul_f64_e32 v[20:21], v[4:5], v[20:21]
	ds_load_b128 v[161:164], v1 offset:1600
	v_fma_f64 v[171:172], v[171:172], v[14:15], v[177:178]
	v_fma_f64 v[169:170], v[169:170], v[14:15], -v[16:17]
	scratch_load_b128 v[14:17], off, off offset:832
	v_add_f64_e32 v[173:174], v[173:174], v[181:182]
	v_add_f64_e32 v[175:176], v[175:176], v[179:180]
	v_fma_f64 v[179:180], v[4:5], v[18:19], v[183:184]
	v_fma_f64 v[181:182], v[2:3], v[18:19], -v[20:21]
	ds_load_b128 v[2:5], v1 offset:1616
	s_wait_loadcnt_dscnt 0x901
	v_mul_f64_e32 v[177:178], v[161:162], v[24:25]
	v_mul_f64_e32 v[24:25], v[163:164], v[24:25]
	scratch_load_b128 v[18:21], off, off offset:848
	s_wait_loadcnt_dscnt 0x900
	v_mul_f64_e32 v[183:184], v[2:3], v[28:29]
	v_mul_f64_e32 v[28:29], v[4:5], v[28:29]
	v_add_f64_e32 v[173:174], v[173:174], v[169:170]
	v_add_f64_e32 v[175:176], v[175:176], v[171:172]
	ds_load_b128 v[169:172], v1 offset:1632
	v_fma_f64 v[163:164], v[163:164], v[22:23], v[177:178]
	v_fma_f64 v[161:162], v[161:162], v[22:23], -v[24:25]
	scratch_load_b128 v[22:25], off, off offset:864
	v_add_f64_e32 v[173:174], v[173:174], v[181:182]
	v_add_f64_e32 v[175:176], v[175:176], v[179:180]
	v_fma_f64 v[179:180], v[4:5], v[26:27], v[183:184]
	v_fma_f64 v[181:182], v[2:3], v[26:27], -v[28:29]
	ds_load_b128 v[2:5], v1 offset:1648
	s_wait_loadcnt_dscnt 0x901
	v_mul_f64_e32 v[177:178], v[169:170], v[32:33]
	v_mul_f64_e32 v[32:33], v[171:172], v[32:33]
	scratch_load_b128 v[26:29], off, off offset:880
	s_wait_loadcnt_dscnt 0x900
	v_mul_f64_e32 v[183:184], v[2:3], v[40:41]
	v_mul_f64_e32 v[40:41], v[4:5], v[40:41]
	v_add_f64_e32 v[173:174], v[173:174], v[161:162]
	v_add_f64_e32 v[175:176], v[175:176], v[163:164]
	ds_load_b128 v[161:164], v1 offset:1664
	v_fma_f64 v[171:172], v[171:172], v[30:31], v[177:178]
	v_fma_f64 v[169:170], v[169:170], v[30:31], -v[32:33]
	scratch_load_b128 v[30:33], off, off offset:896
	v_add_f64_e32 v[173:174], v[173:174], v[181:182]
	v_add_f64_e32 v[175:176], v[175:176], v[179:180]
	v_fma_f64 v[181:182], v[4:5], v[38:39], v[183:184]
	v_fma_f64 v[183:184], v[2:3], v[38:39], -v[40:41]
	ds_load_b128 v[2:5], v1 offset:1680
	s_wait_loadcnt_dscnt 0x801
	v_mul_f64_e32 v[177:178], v[161:162], v[167:168]
	v_mul_f64_e32 v[179:180], v[163:164], v[167:168]
	scratch_load_b128 v[38:41], off, off offset:912
	v_add_f64_e32 v[173:174], v[173:174], v[169:170]
	v_add_f64_e32 v[171:172], v[175:176], v[171:172]
	ds_load_b128 v[167:170], v1 offset:1696
	v_fma_f64 v[163:164], v[163:164], v[165:166], v[177:178]
	v_fma_f64 v[161:162], v[161:162], v[165:166], -v[179:180]
	s_wait_loadcnt_dscnt 0x801
	v_mul_f64_e32 v[175:176], v[2:3], v[36:37]
	v_mul_f64_e32 v[36:37], v[4:5], v[36:37]
	v_add_f64_e32 v[165:166], v[173:174], v[183:184]
	v_add_f64_e32 v[171:172], v[171:172], v[181:182]
	s_delay_alu instid0(VALU_DEP_4) | instskip(NEXT) | instid1(VALU_DEP_4)
	v_fma_f64 v[175:176], v[4:5], v[34:35], v[175:176]
	v_fma_f64 v[177:178], v[2:3], v[34:35], -v[36:37]
	s_wait_loadcnt_dscnt 0x700
	v_mul_f64_e32 v[173:174], v[167:168], v[8:9]
	v_mul_f64_e32 v[8:9], v[169:170], v[8:9]
	ds_load_b128 v[2:5], v1 offset:1712
	ds_load_b128 v[34:37], v1 offset:1728
	v_add_f64_e32 v[161:162], v[165:166], v[161:162]
	v_add_f64_e32 v[163:164], v[171:172], v[163:164]
	s_wait_loadcnt_dscnt 0x601
	v_mul_f64_e32 v[165:166], v[2:3], v[12:13]
	v_mul_f64_e32 v[12:13], v[4:5], v[12:13]
	v_fma_f64 v[169:170], v[169:170], v[6:7], v[173:174]
	v_fma_f64 v[6:7], v[167:168], v[6:7], -v[8:9]
	v_add_f64_e32 v[8:9], v[161:162], v[177:178]
	v_add_f64_e32 v[161:162], v[163:164], v[175:176]
	s_wait_loadcnt_dscnt 0x500
	v_mul_f64_e32 v[163:164], v[34:35], v[16:17]
	v_mul_f64_e32 v[16:17], v[36:37], v[16:17]
	v_fma_f64 v[165:166], v[4:5], v[10:11], v[165:166]
	v_fma_f64 v[10:11], v[2:3], v[10:11], -v[12:13]
	v_add_f64_e32 v[12:13], v[8:9], v[6:7]
	v_add_f64_e32 v[161:162], v[161:162], v[169:170]
	ds_load_b128 v[2:5], v1 offset:1744
	ds_load_b128 v[6:9], v1 offset:1760
	v_fma_f64 v[36:37], v[36:37], v[14:15], v[163:164]
	v_fma_f64 v[14:15], v[34:35], v[14:15], -v[16:17]
	s_wait_loadcnt_dscnt 0x401
	v_mul_f64_e32 v[167:168], v[2:3], v[20:21]
	v_mul_f64_e32 v[20:21], v[4:5], v[20:21]
	s_wait_loadcnt_dscnt 0x300
	v_mul_f64_e32 v[16:17], v[6:7], v[24:25]
	v_mul_f64_e32 v[24:25], v[8:9], v[24:25]
	v_add_f64_e32 v[10:11], v[12:13], v[10:11]
	v_add_f64_e32 v[12:13], v[161:162], v[165:166]
	v_fma_f64 v[34:35], v[4:5], v[18:19], v[167:168]
	v_fma_f64 v[18:19], v[2:3], v[18:19], -v[20:21]
	v_fma_f64 v[8:9], v[8:9], v[22:23], v[16:17]
	v_fma_f64 v[6:7], v[6:7], v[22:23], -v[24:25]
	v_add_f64_e32 v[14:15], v[10:11], v[14:15]
	v_add_f64_e32 v[20:21], v[12:13], v[36:37]
	ds_load_b128 v[2:5], v1 offset:1776
	ds_load_b128 v[10:13], v1 offset:1792
	s_wait_loadcnt_dscnt 0x201
	v_mul_f64_e32 v[36:37], v[2:3], v[28:29]
	v_mul_f64_e32 v[28:29], v[4:5], v[28:29]
	v_add_f64_e32 v[14:15], v[14:15], v[18:19]
	v_add_f64_e32 v[16:17], v[20:21], v[34:35]
	s_wait_loadcnt_dscnt 0x100
	v_mul_f64_e32 v[18:19], v[10:11], v[32:33]
	v_mul_f64_e32 v[20:21], v[12:13], v[32:33]
	v_fma_f64 v[22:23], v[4:5], v[26:27], v[36:37]
	v_fma_f64 v[24:25], v[2:3], v[26:27], -v[28:29]
	ds_load_b128 v[2:5], v1 offset:1808
	v_add_f64_e32 v[6:7], v[14:15], v[6:7]
	v_add_f64_e32 v[8:9], v[16:17], v[8:9]
	v_fma_f64 v[12:13], v[12:13], v[30:31], v[18:19]
	v_fma_f64 v[10:11], v[10:11], v[30:31], -v[20:21]
	s_wait_loadcnt_dscnt 0x0
	v_mul_f64_e32 v[14:15], v[2:3], v[40:41]
	v_mul_f64_e32 v[16:17], v[4:5], v[40:41]
	v_add_f64_e32 v[6:7], v[6:7], v[24:25]
	v_add_f64_e32 v[8:9], v[8:9], v[22:23]
	s_delay_alu instid0(VALU_DEP_4) | instskip(NEXT) | instid1(VALU_DEP_4)
	v_fma_f64 v[4:5], v[4:5], v[38:39], v[14:15]
	v_fma_f64 v[2:3], v[2:3], v[38:39], -v[16:17]
	s_delay_alu instid0(VALU_DEP_4) | instskip(NEXT) | instid1(VALU_DEP_4)
	v_add_f64_e32 v[6:7], v[6:7], v[10:11]
	v_add_f64_e32 v[8:9], v[8:9], v[12:13]
	s_delay_alu instid0(VALU_DEP_2) | instskip(NEXT) | instid1(VALU_DEP_2)
	v_add_f64_e32 v[2:3], v[6:7], v[2:3]
	v_add_f64_e32 v[4:5], v[8:9], v[4:5]
	s_delay_alu instid0(VALU_DEP_2) | instskip(NEXT) | instid1(VALU_DEP_2)
	v_add_f64_e64 v[2:3], v[42:43], -v[2:3]
	v_add_f64_e64 v[4:5], v[44:45], -v[4:5]
	scratch_store_b128 off, v[2:5], off offset:608
	v_cmpx_lt_u32_e32 36, v0
	s_cbranch_execz .LBB56_283
; %bb.282:
	scratch_load_b128 v[5:8], off, s34
	v_dual_mov_b32 v2, v1 :: v_dual_mov_b32 v3, v1
	v_mov_b32_e32 v4, v1
	scratch_store_b128 off, v[1:4], off offset:592
	s_wait_loadcnt 0x0
	ds_store_b128 v160, v[5:8]
.LBB56_283:
	s_wait_alu 0xfffe
	s_or_b32 exec_lo, exec_lo, s0
	s_wait_storecnt_dscnt 0x0
	s_barrier_signal -1
	s_barrier_wait -1
	global_inv scope:SCOPE_SE
	s_clause 0x8
	scratch_load_b128 v[2:5], off, off offset:608
	scratch_load_b128 v[6:9], off, off offset:624
	;; [unrolled: 1-line block ×9, first 2 shown]
	ds_load_b128 v[38:41], v1 offset:1504
	ds_load_b128 v[42:45], v1 offset:1520
	s_clause 0x1
	scratch_load_b128 v[161:164], off, off offset:592
	scratch_load_b128 v[165:168], off, off offset:752
	s_mov_b32 s0, exec_lo
	s_wait_loadcnt_dscnt 0xa01
	v_mul_f64_e32 v[169:170], v[40:41], v[4:5]
	v_mul_f64_e32 v[4:5], v[38:39], v[4:5]
	s_wait_loadcnt_dscnt 0x900
	v_mul_f64_e32 v[173:174], v[42:43], v[8:9]
	v_mul_f64_e32 v[8:9], v[44:45], v[8:9]
	s_delay_alu instid0(VALU_DEP_4) | instskip(NEXT) | instid1(VALU_DEP_4)
	v_fma_f64 v[175:176], v[38:39], v[2:3], -v[169:170]
	v_fma_f64 v[177:178], v[40:41], v[2:3], v[4:5]
	ds_load_b128 v[2:5], v1 offset:1536
	ds_load_b128 v[169:172], v1 offset:1552
	scratch_load_b128 v[38:41], off, off offset:768
	v_fma_f64 v[44:45], v[44:45], v[6:7], v[173:174]
	v_fma_f64 v[42:43], v[42:43], v[6:7], -v[8:9]
	scratch_load_b128 v[6:9], off, off offset:784
	s_wait_loadcnt_dscnt 0xa01
	v_mul_f64_e32 v[179:180], v[2:3], v[12:13]
	v_mul_f64_e32 v[12:13], v[4:5], v[12:13]
	v_add_f64_e32 v[173:174], 0, v[175:176]
	v_add_f64_e32 v[175:176], 0, v[177:178]
	s_wait_loadcnt_dscnt 0x900
	v_mul_f64_e32 v[177:178], v[169:170], v[16:17]
	v_mul_f64_e32 v[16:17], v[171:172], v[16:17]
	v_fma_f64 v[179:180], v[4:5], v[10:11], v[179:180]
	v_fma_f64 v[181:182], v[2:3], v[10:11], -v[12:13]
	ds_load_b128 v[2:5], v1 offset:1568
	scratch_load_b128 v[10:13], off, off offset:800
	v_add_f64_e32 v[173:174], v[173:174], v[42:43]
	v_add_f64_e32 v[175:176], v[175:176], v[44:45]
	ds_load_b128 v[42:45], v1 offset:1584
	v_fma_f64 v[171:172], v[171:172], v[14:15], v[177:178]
	v_fma_f64 v[169:170], v[169:170], v[14:15], -v[16:17]
	scratch_load_b128 v[14:17], off, off offset:816
	s_wait_loadcnt_dscnt 0xa01
	v_mul_f64_e32 v[183:184], v[2:3], v[20:21]
	v_mul_f64_e32 v[20:21], v[4:5], v[20:21]
	s_wait_loadcnt_dscnt 0x900
	v_mul_f64_e32 v[177:178], v[42:43], v[24:25]
	v_mul_f64_e32 v[24:25], v[44:45], v[24:25]
	v_add_f64_e32 v[173:174], v[173:174], v[181:182]
	v_add_f64_e32 v[175:176], v[175:176], v[179:180]
	v_fma_f64 v[179:180], v[4:5], v[18:19], v[183:184]
	v_fma_f64 v[181:182], v[2:3], v[18:19], -v[20:21]
	ds_load_b128 v[2:5], v1 offset:1600
	scratch_load_b128 v[18:21], off, off offset:832
	v_fma_f64 v[44:45], v[44:45], v[22:23], v[177:178]
	v_fma_f64 v[42:43], v[42:43], v[22:23], -v[24:25]
	scratch_load_b128 v[22:25], off, off offset:848
	v_add_f64_e32 v[173:174], v[173:174], v[169:170]
	v_add_f64_e32 v[175:176], v[175:176], v[171:172]
	ds_load_b128 v[169:172], v1 offset:1616
	s_wait_loadcnt_dscnt 0xa01
	v_mul_f64_e32 v[183:184], v[2:3], v[28:29]
	v_mul_f64_e32 v[28:29], v[4:5], v[28:29]
	s_wait_loadcnt_dscnt 0x900
	v_mul_f64_e32 v[177:178], v[169:170], v[32:33]
	v_mul_f64_e32 v[32:33], v[171:172], v[32:33]
	v_add_f64_e32 v[173:174], v[173:174], v[181:182]
	v_add_f64_e32 v[175:176], v[175:176], v[179:180]
	v_fma_f64 v[179:180], v[4:5], v[26:27], v[183:184]
	v_fma_f64 v[181:182], v[2:3], v[26:27], -v[28:29]
	ds_load_b128 v[2:5], v1 offset:1632
	scratch_load_b128 v[26:29], off, off offset:864
	v_fma_f64 v[171:172], v[171:172], v[30:31], v[177:178]
	v_fma_f64 v[169:170], v[169:170], v[30:31], -v[32:33]
	scratch_load_b128 v[30:33], off, off offset:880
	v_add_f64_e32 v[173:174], v[173:174], v[42:43]
	v_add_f64_e32 v[175:176], v[175:176], v[44:45]
	ds_load_b128 v[42:45], v1 offset:1648
	s_wait_loadcnt_dscnt 0xa01
	v_mul_f64_e32 v[183:184], v[2:3], v[36:37]
	v_mul_f64_e32 v[36:37], v[4:5], v[36:37]
	s_wait_loadcnt_dscnt 0x800
	v_mul_f64_e32 v[177:178], v[42:43], v[167:168]
	v_add_f64_e32 v[173:174], v[173:174], v[181:182]
	v_add_f64_e32 v[175:176], v[175:176], v[179:180]
	v_mul_f64_e32 v[179:180], v[44:45], v[167:168]
	v_fma_f64 v[181:182], v[4:5], v[34:35], v[183:184]
	v_fma_f64 v[183:184], v[2:3], v[34:35], -v[36:37]
	ds_load_b128 v[2:5], v1 offset:1664
	scratch_load_b128 v[34:37], off, off offset:896
	v_fma_f64 v[44:45], v[44:45], v[165:166], v[177:178]
	v_add_f64_e32 v[173:174], v[173:174], v[169:170]
	v_add_f64_e32 v[171:172], v[175:176], v[171:172]
	ds_load_b128 v[167:170], v1 offset:1680
	v_fma_f64 v[165:166], v[42:43], v[165:166], -v[179:180]
	s_wait_loadcnt_dscnt 0x801
	v_mul_f64_e32 v[175:176], v[2:3], v[40:41]
	v_mul_f64_e32 v[185:186], v[4:5], v[40:41]
	scratch_load_b128 v[40:43], off, off offset:912
	s_wait_loadcnt_dscnt 0x800
	v_mul_f64_e32 v[177:178], v[167:168], v[8:9]
	v_mul_f64_e32 v[8:9], v[169:170], v[8:9]
	v_add_f64_e32 v[173:174], v[173:174], v[183:184]
	v_add_f64_e32 v[171:172], v[171:172], v[181:182]
	v_fma_f64 v[175:176], v[4:5], v[38:39], v[175:176]
	v_fma_f64 v[38:39], v[2:3], v[38:39], -v[185:186]
	v_fma_f64 v[169:170], v[169:170], v[6:7], v[177:178]
	v_fma_f64 v[6:7], v[167:168], v[6:7], -v[8:9]
	v_add_f64_e32 v[165:166], v[173:174], v[165:166]
	v_add_f64_e32 v[44:45], v[171:172], v[44:45]
	ds_load_b128 v[2:5], v1 offset:1696
	ds_load_b128 v[171:174], v1 offset:1712
	s_wait_loadcnt_dscnt 0x701
	v_mul_f64_e32 v[179:180], v[2:3], v[12:13]
	v_mul_f64_e32 v[12:13], v[4:5], v[12:13]
	v_add_f64_e32 v[8:9], v[165:166], v[38:39]
	v_add_f64_e32 v[38:39], v[44:45], v[175:176]
	s_wait_loadcnt_dscnt 0x600
	v_mul_f64_e32 v[44:45], v[171:172], v[16:17]
	v_mul_f64_e32 v[16:17], v[173:174], v[16:17]
	v_fma_f64 v[165:166], v[4:5], v[10:11], v[179:180]
	v_fma_f64 v[10:11], v[2:3], v[10:11], -v[12:13]
	v_add_f64_e32 v[12:13], v[8:9], v[6:7]
	v_add_f64_e32 v[38:39], v[38:39], v[169:170]
	ds_load_b128 v[2:5], v1 offset:1728
	ds_load_b128 v[6:9], v1 offset:1744
	v_fma_f64 v[44:45], v[173:174], v[14:15], v[44:45]
	v_fma_f64 v[14:15], v[171:172], v[14:15], -v[16:17]
	s_wait_loadcnt_dscnt 0x501
	v_mul_f64_e32 v[167:168], v[2:3], v[20:21]
	v_mul_f64_e32 v[20:21], v[4:5], v[20:21]
	s_wait_loadcnt_dscnt 0x400
	v_mul_f64_e32 v[16:17], v[6:7], v[24:25]
	v_mul_f64_e32 v[24:25], v[8:9], v[24:25]
	v_add_f64_e32 v[10:11], v[12:13], v[10:11]
	v_add_f64_e32 v[12:13], v[38:39], v[165:166]
	v_fma_f64 v[38:39], v[4:5], v[18:19], v[167:168]
	v_fma_f64 v[18:19], v[2:3], v[18:19], -v[20:21]
	v_fma_f64 v[8:9], v[8:9], v[22:23], v[16:17]
	v_fma_f64 v[6:7], v[6:7], v[22:23], -v[24:25]
	v_add_f64_e32 v[14:15], v[10:11], v[14:15]
	v_add_f64_e32 v[20:21], v[12:13], v[44:45]
	ds_load_b128 v[2:5], v1 offset:1760
	ds_load_b128 v[10:13], v1 offset:1776
	s_wait_loadcnt_dscnt 0x301
	v_mul_f64_e32 v[44:45], v[2:3], v[28:29]
	v_mul_f64_e32 v[28:29], v[4:5], v[28:29]
	v_add_f64_e32 v[14:15], v[14:15], v[18:19]
	v_add_f64_e32 v[16:17], v[20:21], v[38:39]
	s_wait_loadcnt_dscnt 0x200
	v_mul_f64_e32 v[18:19], v[10:11], v[32:33]
	v_mul_f64_e32 v[20:21], v[12:13], v[32:33]
	v_fma_f64 v[22:23], v[4:5], v[26:27], v[44:45]
	v_fma_f64 v[24:25], v[2:3], v[26:27], -v[28:29]
	v_add_f64_e32 v[14:15], v[14:15], v[6:7]
	v_add_f64_e32 v[16:17], v[16:17], v[8:9]
	ds_load_b128 v[2:5], v1 offset:1792
	ds_load_b128 v[6:9], v1 offset:1808
	v_fma_f64 v[12:13], v[12:13], v[30:31], v[18:19]
	v_fma_f64 v[10:11], v[10:11], v[30:31], -v[20:21]
	s_wait_loadcnt_dscnt 0x101
	v_mul_f64_e32 v[26:27], v[2:3], v[36:37]
	v_mul_f64_e32 v[28:29], v[4:5], v[36:37]
	s_wait_loadcnt_dscnt 0x0
	v_mul_f64_e32 v[18:19], v[6:7], v[42:43]
	v_add_f64_e32 v[14:15], v[14:15], v[24:25]
	v_add_f64_e32 v[16:17], v[16:17], v[22:23]
	v_mul_f64_e32 v[20:21], v[8:9], v[42:43]
	v_fma_f64 v[4:5], v[4:5], v[34:35], v[26:27]
	v_fma_f64 v[1:2], v[2:3], v[34:35], -v[28:29]
	v_fma_f64 v[8:9], v[8:9], v[40:41], v[18:19]
	v_add_f64_e32 v[10:11], v[14:15], v[10:11]
	v_add_f64_e32 v[12:13], v[16:17], v[12:13]
	v_fma_f64 v[6:7], v[6:7], v[40:41], -v[20:21]
	s_delay_alu instid0(VALU_DEP_3) | instskip(NEXT) | instid1(VALU_DEP_3)
	v_add_f64_e32 v[1:2], v[10:11], v[1:2]
	v_add_f64_e32 v[3:4], v[12:13], v[4:5]
	s_delay_alu instid0(VALU_DEP_2) | instskip(NEXT) | instid1(VALU_DEP_2)
	v_add_f64_e32 v[1:2], v[1:2], v[6:7]
	v_add_f64_e32 v[3:4], v[3:4], v[8:9]
	s_delay_alu instid0(VALU_DEP_2) | instskip(NEXT) | instid1(VALU_DEP_2)
	v_add_f64_e64 v[1:2], v[161:162], -v[1:2]
	v_add_f64_e64 v[3:4], v[163:164], -v[3:4]
	scratch_store_b128 off, v[1:4], off offset:592
	v_cmpx_lt_u32_e32 35, v0
	s_cbranch_execz .LBB56_285
; %bb.284:
	scratch_load_b128 v[1:4], off, s35
	v_mov_b32_e32 v5, 0
	s_delay_alu instid0(VALU_DEP_1)
	v_dual_mov_b32 v6, v5 :: v_dual_mov_b32 v7, v5
	v_mov_b32_e32 v8, v5
	scratch_store_b128 off, v[5:8], off offset:576
	s_wait_loadcnt 0x0
	ds_store_b128 v160, v[1:4]
.LBB56_285:
	s_wait_alu 0xfffe
	s_or_b32 exec_lo, exec_lo, s0
	s_wait_storecnt_dscnt 0x0
	s_barrier_signal -1
	s_barrier_wait -1
	global_inv scope:SCOPE_SE
	s_clause 0x7
	scratch_load_b128 v[2:5], off, off offset:592
	scratch_load_b128 v[6:9], off, off offset:608
	;; [unrolled: 1-line block ×8, first 2 shown]
	v_mov_b32_e32 v1, 0
	s_mov_b32 s0, exec_lo
	ds_load_b128 v[34:37], v1 offset:1488
	s_clause 0x1
	scratch_load_b128 v[38:41], off, off offset:720
	scratch_load_b128 v[42:45], off, off offset:576
	ds_load_b128 v[161:164], v1 offset:1504
	scratch_load_b128 v[165:168], off, off offset:736
	s_wait_loadcnt_dscnt 0xa01
	v_mul_f64_e32 v[169:170], v[36:37], v[4:5]
	v_mul_f64_e32 v[4:5], v[34:35], v[4:5]
	s_delay_alu instid0(VALU_DEP_2) | instskip(NEXT) | instid1(VALU_DEP_2)
	v_fma_f64 v[175:176], v[34:35], v[2:3], -v[169:170]
	v_fma_f64 v[177:178], v[36:37], v[2:3], v[4:5]
	ds_load_b128 v[2:5], v1 offset:1520
	s_wait_loadcnt_dscnt 0x901
	v_mul_f64_e32 v[173:174], v[161:162], v[8:9]
	v_mul_f64_e32 v[8:9], v[163:164], v[8:9]
	scratch_load_b128 v[34:37], off, off offset:752
	ds_load_b128 v[169:172], v1 offset:1536
	s_wait_loadcnt_dscnt 0x901
	v_mul_f64_e32 v[179:180], v[2:3], v[12:13]
	v_mul_f64_e32 v[12:13], v[4:5], v[12:13]
	v_fma_f64 v[163:164], v[163:164], v[6:7], v[173:174]
	v_fma_f64 v[161:162], v[161:162], v[6:7], -v[8:9]
	v_add_f64_e32 v[173:174], 0, v[175:176]
	v_add_f64_e32 v[175:176], 0, v[177:178]
	scratch_load_b128 v[6:9], off, off offset:768
	v_fma_f64 v[179:180], v[4:5], v[10:11], v[179:180]
	v_fma_f64 v[181:182], v[2:3], v[10:11], -v[12:13]
	ds_load_b128 v[2:5], v1 offset:1552
	s_wait_loadcnt_dscnt 0x901
	v_mul_f64_e32 v[177:178], v[169:170], v[16:17]
	v_mul_f64_e32 v[16:17], v[171:172], v[16:17]
	scratch_load_b128 v[10:13], off, off offset:784
	v_add_f64_e32 v[173:174], v[173:174], v[161:162]
	v_add_f64_e32 v[175:176], v[175:176], v[163:164]
	s_wait_loadcnt_dscnt 0x900
	v_mul_f64_e32 v[183:184], v[2:3], v[20:21]
	v_mul_f64_e32 v[20:21], v[4:5], v[20:21]
	ds_load_b128 v[161:164], v1 offset:1568
	v_fma_f64 v[171:172], v[171:172], v[14:15], v[177:178]
	v_fma_f64 v[169:170], v[169:170], v[14:15], -v[16:17]
	scratch_load_b128 v[14:17], off, off offset:800
	v_add_f64_e32 v[173:174], v[173:174], v[181:182]
	v_add_f64_e32 v[175:176], v[175:176], v[179:180]
	v_fma_f64 v[179:180], v[4:5], v[18:19], v[183:184]
	v_fma_f64 v[181:182], v[2:3], v[18:19], -v[20:21]
	ds_load_b128 v[2:5], v1 offset:1584
	s_wait_loadcnt_dscnt 0x901
	v_mul_f64_e32 v[177:178], v[161:162], v[24:25]
	v_mul_f64_e32 v[24:25], v[163:164], v[24:25]
	scratch_load_b128 v[18:21], off, off offset:816
	s_wait_loadcnt_dscnt 0x900
	v_mul_f64_e32 v[183:184], v[2:3], v[28:29]
	v_mul_f64_e32 v[28:29], v[4:5], v[28:29]
	v_add_f64_e32 v[173:174], v[173:174], v[169:170]
	v_add_f64_e32 v[175:176], v[175:176], v[171:172]
	ds_load_b128 v[169:172], v1 offset:1600
	v_fma_f64 v[163:164], v[163:164], v[22:23], v[177:178]
	v_fma_f64 v[161:162], v[161:162], v[22:23], -v[24:25]
	scratch_load_b128 v[22:25], off, off offset:832
	v_add_f64_e32 v[173:174], v[173:174], v[181:182]
	v_add_f64_e32 v[175:176], v[175:176], v[179:180]
	v_fma_f64 v[179:180], v[4:5], v[26:27], v[183:184]
	v_fma_f64 v[181:182], v[2:3], v[26:27], -v[28:29]
	ds_load_b128 v[2:5], v1 offset:1616
	s_wait_loadcnt_dscnt 0x901
	v_mul_f64_e32 v[177:178], v[169:170], v[32:33]
	v_mul_f64_e32 v[32:33], v[171:172], v[32:33]
	scratch_load_b128 v[26:29], off, off offset:848
	s_wait_loadcnt_dscnt 0x900
	v_mul_f64_e32 v[183:184], v[2:3], v[40:41]
	v_mul_f64_e32 v[40:41], v[4:5], v[40:41]
	v_add_f64_e32 v[173:174], v[173:174], v[161:162]
	v_add_f64_e32 v[175:176], v[175:176], v[163:164]
	ds_load_b128 v[161:164], v1 offset:1632
	v_fma_f64 v[171:172], v[171:172], v[30:31], v[177:178]
	v_fma_f64 v[169:170], v[169:170], v[30:31], -v[32:33]
	scratch_load_b128 v[30:33], off, off offset:864
	v_add_f64_e32 v[173:174], v[173:174], v[181:182]
	v_add_f64_e32 v[175:176], v[175:176], v[179:180]
	v_fma_f64 v[181:182], v[4:5], v[38:39], v[183:184]
	v_fma_f64 v[183:184], v[2:3], v[38:39], -v[40:41]
	ds_load_b128 v[2:5], v1 offset:1648
	s_wait_loadcnt_dscnt 0x801
	v_mul_f64_e32 v[177:178], v[161:162], v[167:168]
	v_mul_f64_e32 v[179:180], v[163:164], v[167:168]
	scratch_load_b128 v[38:41], off, off offset:880
	v_add_f64_e32 v[173:174], v[173:174], v[169:170]
	v_add_f64_e32 v[171:172], v[175:176], v[171:172]
	ds_load_b128 v[167:170], v1 offset:1664
	v_fma_f64 v[177:178], v[163:164], v[165:166], v[177:178]
	v_fma_f64 v[165:166], v[161:162], v[165:166], -v[179:180]
	scratch_load_b128 v[161:164], off, off offset:896
	s_wait_loadcnt_dscnt 0x901
	v_mul_f64_e32 v[175:176], v[2:3], v[36:37]
	v_mul_f64_e32 v[36:37], v[4:5], v[36:37]
	v_add_f64_e32 v[173:174], v[173:174], v[183:184]
	v_add_f64_e32 v[171:172], v[171:172], v[181:182]
	s_delay_alu instid0(VALU_DEP_4) | instskip(NEXT) | instid1(VALU_DEP_4)
	v_fma_f64 v[175:176], v[4:5], v[34:35], v[175:176]
	v_fma_f64 v[181:182], v[2:3], v[34:35], -v[36:37]
	ds_load_b128 v[2:5], v1 offset:1680
	s_wait_loadcnt_dscnt 0x801
	v_mul_f64_e32 v[179:180], v[167:168], v[8:9]
	v_mul_f64_e32 v[8:9], v[169:170], v[8:9]
	scratch_load_b128 v[34:37], off, off offset:912
	s_wait_loadcnt_dscnt 0x800
	v_mul_f64_e32 v[183:184], v[2:3], v[12:13]
	v_add_f64_e32 v[165:166], v[173:174], v[165:166]
	v_add_f64_e32 v[177:178], v[171:172], v[177:178]
	v_mul_f64_e32 v[12:13], v[4:5], v[12:13]
	ds_load_b128 v[171:174], v1 offset:1696
	v_fma_f64 v[169:170], v[169:170], v[6:7], v[179:180]
	v_fma_f64 v[6:7], v[167:168], v[6:7], -v[8:9]
	s_wait_loadcnt_dscnt 0x700
	v_mul_f64_e32 v[167:168], v[171:172], v[16:17]
	v_add_f64_e32 v[8:9], v[165:166], v[181:182]
	v_add_f64_e32 v[165:166], v[177:178], v[175:176]
	v_mul_f64_e32 v[16:17], v[173:174], v[16:17]
	v_fma_f64 v[175:176], v[4:5], v[10:11], v[183:184]
	v_fma_f64 v[10:11], v[2:3], v[10:11], -v[12:13]
	v_fma_f64 v[167:168], v[173:174], v[14:15], v[167:168]
	v_add_f64_e32 v[12:13], v[8:9], v[6:7]
	v_add_f64_e32 v[165:166], v[165:166], v[169:170]
	ds_load_b128 v[2:5], v1 offset:1712
	ds_load_b128 v[6:9], v1 offset:1728
	v_fma_f64 v[14:15], v[171:172], v[14:15], -v[16:17]
	s_wait_loadcnt_dscnt 0x601
	v_mul_f64_e32 v[169:170], v[2:3], v[20:21]
	v_mul_f64_e32 v[20:21], v[4:5], v[20:21]
	s_wait_loadcnt_dscnt 0x500
	v_mul_f64_e32 v[16:17], v[6:7], v[24:25]
	v_mul_f64_e32 v[24:25], v[8:9], v[24:25]
	v_add_f64_e32 v[10:11], v[12:13], v[10:11]
	v_add_f64_e32 v[12:13], v[165:166], v[175:176]
	v_fma_f64 v[165:166], v[4:5], v[18:19], v[169:170]
	v_fma_f64 v[18:19], v[2:3], v[18:19], -v[20:21]
	v_fma_f64 v[8:9], v[8:9], v[22:23], v[16:17]
	v_fma_f64 v[6:7], v[6:7], v[22:23], -v[24:25]
	v_add_f64_e32 v[14:15], v[10:11], v[14:15]
	v_add_f64_e32 v[20:21], v[12:13], v[167:168]
	ds_load_b128 v[2:5], v1 offset:1744
	ds_load_b128 v[10:13], v1 offset:1760
	s_wait_loadcnt_dscnt 0x401
	v_mul_f64_e32 v[167:168], v[2:3], v[28:29]
	v_mul_f64_e32 v[28:29], v[4:5], v[28:29]
	v_add_f64_e32 v[14:15], v[14:15], v[18:19]
	v_add_f64_e32 v[16:17], v[20:21], v[165:166]
	s_wait_loadcnt_dscnt 0x300
	v_mul_f64_e32 v[18:19], v[10:11], v[32:33]
	v_mul_f64_e32 v[20:21], v[12:13], v[32:33]
	v_fma_f64 v[22:23], v[4:5], v[26:27], v[167:168]
	v_fma_f64 v[24:25], v[2:3], v[26:27], -v[28:29]
	v_add_f64_e32 v[14:15], v[14:15], v[6:7]
	v_add_f64_e32 v[16:17], v[16:17], v[8:9]
	ds_load_b128 v[2:5], v1 offset:1776
	ds_load_b128 v[6:9], v1 offset:1792
	v_fma_f64 v[12:13], v[12:13], v[30:31], v[18:19]
	v_fma_f64 v[10:11], v[10:11], v[30:31], -v[20:21]
	s_wait_loadcnt_dscnt 0x201
	v_mul_f64_e32 v[26:27], v[2:3], v[40:41]
	v_mul_f64_e32 v[28:29], v[4:5], v[40:41]
	s_wait_loadcnt_dscnt 0x100
	v_mul_f64_e32 v[18:19], v[6:7], v[163:164]
	v_mul_f64_e32 v[20:21], v[8:9], v[163:164]
	v_add_f64_e32 v[14:15], v[14:15], v[24:25]
	v_add_f64_e32 v[16:17], v[16:17], v[22:23]
	v_fma_f64 v[22:23], v[4:5], v[38:39], v[26:27]
	v_fma_f64 v[24:25], v[2:3], v[38:39], -v[28:29]
	ds_load_b128 v[2:5], v1 offset:1808
	v_fma_f64 v[8:9], v[8:9], v[161:162], v[18:19]
	v_fma_f64 v[6:7], v[6:7], v[161:162], -v[20:21]
	v_add_f64_e32 v[10:11], v[14:15], v[10:11]
	v_add_f64_e32 v[12:13], v[16:17], v[12:13]
	s_wait_loadcnt_dscnt 0x0
	v_mul_f64_e32 v[14:15], v[2:3], v[36:37]
	v_mul_f64_e32 v[16:17], v[4:5], v[36:37]
	s_delay_alu instid0(VALU_DEP_4) | instskip(NEXT) | instid1(VALU_DEP_4)
	v_add_f64_e32 v[10:11], v[10:11], v[24:25]
	v_add_f64_e32 v[12:13], v[12:13], v[22:23]
	s_delay_alu instid0(VALU_DEP_4) | instskip(NEXT) | instid1(VALU_DEP_4)
	v_fma_f64 v[4:5], v[4:5], v[34:35], v[14:15]
	v_fma_f64 v[2:3], v[2:3], v[34:35], -v[16:17]
	s_delay_alu instid0(VALU_DEP_4) | instskip(NEXT) | instid1(VALU_DEP_4)
	v_add_f64_e32 v[6:7], v[10:11], v[6:7]
	v_add_f64_e32 v[8:9], v[12:13], v[8:9]
	s_delay_alu instid0(VALU_DEP_2) | instskip(NEXT) | instid1(VALU_DEP_2)
	v_add_f64_e32 v[2:3], v[6:7], v[2:3]
	v_add_f64_e32 v[4:5], v[8:9], v[4:5]
	s_delay_alu instid0(VALU_DEP_2) | instskip(NEXT) | instid1(VALU_DEP_2)
	v_add_f64_e64 v[2:3], v[42:43], -v[2:3]
	v_add_f64_e64 v[4:5], v[44:45], -v[4:5]
	scratch_store_b128 off, v[2:5], off offset:576
	v_cmpx_lt_u32_e32 34, v0
	s_cbranch_execz .LBB56_287
; %bb.286:
	scratch_load_b128 v[5:8], off, s36
	v_dual_mov_b32 v2, v1 :: v_dual_mov_b32 v3, v1
	v_mov_b32_e32 v4, v1
	scratch_store_b128 off, v[1:4], off offset:560
	s_wait_loadcnt 0x0
	ds_store_b128 v160, v[5:8]
.LBB56_287:
	s_wait_alu 0xfffe
	s_or_b32 exec_lo, exec_lo, s0
	s_wait_storecnt_dscnt 0x0
	s_barrier_signal -1
	s_barrier_wait -1
	global_inv scope:SCOPE_SE
	s_clause 0x8
	scratch_load_b128 v[2:5], off, off offset:576
	scratch_load_b128 v[6:9], off, off offset:592
	;; [unrolled: 1-line block ×9, first 2 shown]
	ds_load_b128 v[38:41], v1 offset:1472
	ds_load_b128 v[42:45], v1 offset:1488
	s_clause 0x1
	scratch_load_b128 v[161:164], off, off offset:560
	scratch_load_b128 v[165:168], off, off offset:720
	s_mov_b32 s0, exec_lo
	s_wait_loadcnt_dscnt 0xa01
	v_mul_f64_e32 v[169:170], v[40:41], v[4:5]
	v_mul_f64_e32 v[4:5], v[38:39], v[4:5]
	s_wait_loadcnt_dscnt 0x900
	v_mul_f64_e32 v[173:174], v[42:43], v[8:9]
	v_mul_f64_e32 v[8:9], v[44:45], v[8:9]
	s_delay_alu instid0(VALU_DEP_4) | instskip(NEXT) | instid1(VALU_DEP_4)
	v_fma_f64 v[175:176], v[38:39], v[2:3], -v[169:170]
	v_fma_f64 v[177:178], v[40:41], v[2:3], v[4:5]
	ds_load_b128 v[2:5], v1 offset:1504
	ds_load_b128 v[169:172], v1 offset:1520
	scratch_load_b128 v[38:41], off, off offset:736
	v_fma_f64 v[44:45], v[44:45], v[6:7], v[173:174]
	v_fma_f64 v[42:43], v[42:43], v[6:7], -v[8:9]
	scratch_load_b128 v[6:9], off, off offset:752
	s_wait_loadcnt_dscnt 0xa01
	v_mul_f64_e32 v[179:180], v[2:3], v[12:13]
	v_mul_f64_e32 v[12:13], v[4:5], v[12:13]
	v_add_f64_e32 v[173:174], 0, v[175:176]
	v_add_f64_e32 v[175:176], 0, v[177:178]
	s_wait_loadcnt_dscnt 0x900
	v_mul_f64_e32 v[177:178], v[169:170], v[16:17]
	v_mul_f64_e32 v[16:17], v[171:172], v[16:17]
	v_fma_f64 v[179:180], v[4:5], v[10:11], v[179:180]
	v_fma_f64 v[181:182], v[2:3], v[10:11], -v[12:13]
	ds_load_b128 v[2:5], v1 offset:1536
	scratch_load_b128 v[10:13], off, off offset:768
	v_add_f64_e32 v[173:174], v[173:174], v[42:43]
	v_add_f64_e32 v[175:176], v[175:176], v[44:45]
	ds_load_b128 v[42:45], v1 offset:1552
	v_fma_f64 v[171:172], v[171:172], v[14:15], v[177:178]
	v_fma_f64 v[169:170], v[169:170], v[14:15], -v[16:17]
	scratch_load_b128 v[14:17], off, off offset:784
	s_wait_loadcnt_dscnt 0xa01
	v_mul_f64_e32 v[183:184], v[2:3], v[20:21]
	v_mul_f64_e32 v[20:21], v[4:5], v[20:21]
	s_wait_loadcnt_dscnt 0x900
	v_mul_f64_e32 v[177:178], v[42:43], v[24:25]
	v_mul_f64_e32 v[24:25], v[44:45], v[24:25]
	v_add_f64_e32 v[173:174], v[173:174], v[181:182]
	v_add_f64_e32 v[175:176], v[175:176], v[179:180]
	v_fma_f64 v[179:180], v[4:5], v[18:19], v[183:184]
	v_fma_f64 v[181:182], v[2:3], v[18:19], -v[20:21]
	ds_load_b128 v[2:5], v1 offset:1568
	scratch_load_b128 v[18:21], off, off offset:800
	v_fma_f64 v[44:45], v[44:45], v[22:23], v[177:178]
	v_fma_f64 v[42:43], v[42:43], v[22:23], -v[24:25]
	scratch_load_b128 v[22:25], off, off offset:816
	v_add_f64_e32 v[173:174], v[173:174], v[169:170]
	v_add_f64_e32 v[175:176], v[175:176], v[171:172]
	ds_load_b128 v[169:172], v1 offset:1584
	s_wait_loadcnt_dscnt 0xa01
	v_mul_f64_e32 v[183:184], v[2:3], v[28:29]
	v_mul_f64_e32 v[28:29], v[4:5], v[28:29]
	s_wait_loadcnt_dscnt 0x900
	v_mul_f64_e32 v[177:178], v[169:170], v[32:33]
	v_mul_f64_e32 v[32:33], v[171:172], v[32:33]
	v_add_f64_e32 v[173:174], v[173:174], v[181:182]
	v_add_f64_e32 v[175:176], v[175:176], v[179:180]
	v_fma_f64 v[179:180], v[4:5], v[26:27], v[183:184]
	v_fma_f64 v[181:182], v[2:3], v[26:27], -v[28:29]
	ds_load_b128 v[2:5], v1 offset:1600
	scratch_load_b128 v[26:29], off, off offset:832
	v_fma_f64 v[171:172], v[171:172], v[30:31], v[177:178]
	v_fma_f64 v[169:170], v[169:170], v[30:31], -v[32:33]
	scratch_load_b128 v[30:33], off, off offset:848
	v_add_f64_e32 v[173:174], v[173:174], v[42:43]
	v_add_f64_e32 v[175:176], v[175:176], v[44:45]
	ds_load_b128 v[42:45], v1 offset:1616
	s_wait_loadcnt_dscnt 0xa01
	v_mul_f64_e32 v[183:184], v[2:3], v[36:37]
	v_mul_f64_e32 v[36:37], v[4:5], v[36:37]
	s_wait_loadcnt_dscnt 0x800
	v_mul_f64_e32 v[177:178], v[42:43], v[167:168]
	v_add_f64_e32 v[173:174], v[173:174], v[181:182]
	v_add_f64_e32 v[175:176], v[175:176], v[179:180]
	v_mul_f64_e32 v[179:180], v[44:45], v[167:168]
	v_fma_f64 v[181:182], v[4:5], v[34:35], v[183:184]
	v_fma_f64 v[183:184], v[2:3], v[34:35], -v[36:37]
	ds_load_b128 v[2:5], v1 offset:1632
	scratch_load_b128 v[34:37], off, off offset:864
	v_fma_f64 v[44:45], v[44:45], v[165:166], v[177:178]
	v_add_f64_e32 v[173:174], v[173:174], v[169:170]
	v_add_f64_e32 v[171:172], v[175:176], v[171:172]
	ds_load_b128 v[167:170], v1 offset:1648
	v_fma_f64 v[165:166], v[42:43], v[165:166], -v[179:180]
	s_wait_loadcnt_dscnt 0x801
	v_mul_f64_e32 v[175:176], v[2:3], v[40:41]
	v_mul_f64_e32 v[185:186], v[4:5], v[40:41]
	scratch_load_b128 v[40:43], off, off offset:880
	s_wait_loadcnt_dscnt 0x800
	v_mul_f64_e32 v[179:180], v[167:168], v[8:9]
	v_mul_f64_e32 v[8:9], v[169:170], v[8:9]
	v_add_f64_e32 v[173:174], v[173:174], v[183:184]
	v_add_f64_e32 v[171:172], v[171:172], v[181:182]
	v_fma_f64 v[181:182], v[4:5], v[38:39], v[175:176]
	v_fma_f64 v[38:39], v[2:3], v[38:39], -v[185:186]
	ds_load_b128 v[2:5], v1 offset:1664
	ds_load_b128 v[175:178], v1 offset:1680
	v_fma_f64 v[169:170], v[169:170], v[6:7], v[179:180]
	v_fma_f64 v[167:168], v[167:168], v[6:7], -v[8:9]
	scratch_load_b128 v[6:9], off, off offset:912
	v_add_f64_e32 v[165:166], v[173:174], v[165:166]
	v_add_f64_e32 v[44:45], v[171:172], v[44:45]
	scratch_load_b128 v[171:174], off, off offset:896
	s_wait_loadcnt_dscnt 0x901
	v_mul_f64_e32 v[183:184], v[2:3], v[12:13]
	v_mul_f64_e32 v[12:13], v[4:5], v[12:13]
	v_add_f64_e32 v[38:39], v[165:166], v[38:39]
	v_add_f64_e32 v[44:45], v[44:45], v[181:182]
	s_wait_loadcnt_dscnt 0x800
	v_mul_f64_e32 v[165:166], v[175:176], v[16:17]
	v_mul_f64_e32 v[16:17], v[177:178], v[16:17]
	v_fma_f64 v[179:180], v[4:5], v[10:11], v[183:184]
	v_fma_f64 v[181:182], v[2:3], v[10:11], -v[12:13]
	ds_load_b128 v[2:5], v1 offset:1696
	ds_load_b128 v[10:13], v1 offset:1712
	v_add_f64_e32 v[38:39], v[38:39], v[167:168]
	v_add_f64_e32 v[44:45], v[44:45], v[169:170]
	s_wait_loadcnt_dscnt 0x701
	v_mul_f64_e32 v[167:168], v[2:3], v[20:21]
	v_mul_f64_e32 v[20:21], v[4:5], v[20:21]
	v_fma_f64 v[165:166], v[177:178], v[14:15], v[165:166]
	v_fma_f64 v[14:15], v[175:176], v[14:15], -v[16:17]
	v_add_f64_e32 v[16:17], v[38:39], v[181:182]
	v_add_f64_e32 v[38:39], v[44:45], v[179:180]
	s_wait_loadcnt_dscnt 0x600
	v_mul_f64_e32 v[44:45], v[10:11], v[24:25]
	v_mul_f64_e32 v[24:25], v[12:13], v[24:25]
	v_fma_f64 v[167:168], v[4:5], v[18:19], v[167:168]
	v_fma_f64 v[18:19], v[2:3], v[18:19], -v[20:21]
	v_add_f64_e32 v[20:21], v[16:17], v[14:15]
	v_add_f64_e32 v[38:39], v[38:39], v[165:166]
	ds_load_b128 v[2:5], v1 offset:1728
	ds_load_b128 v[14:17], v1 offset:1744
	v_fma_f64 v[12:13], v[12:13], v[22:23], v[44:45]
	v_fma_f64 v[10:11], v[10:11], v[22:23], -v[24:25]
	s_wait_loadcnt_dscnt 0x501
	v_mul_f64_e32 v[165:166], v[2:3], v[28:29]
	v_mul_f64_e32 v[28:29], v[4:5], v[28:29]
	s_wait_loadcnt_dscnt 0x400
	v_mul_f64_e32 v[22:23], v[14:15], v[32:33]
	v_mul_f64_e32 v[24:25], v[16:17], v[32:33]
	v_add_f64_e32 v[18:19], v[20:21], v[18:19]
	v_add_f64_e32 v[20:21], v[38:39], v[167:168]
	v_fma_f64 v[32:33], v[4:5], v[26:27], v[165:166]
	v_fma_f64 v[26:27], v[2:3], v[26:27], -v[28:29]
	v_fma_f64 v[16:17], v[16:17], v[30:31], v[22:23]
	v_fma_f64 v[14:15], v[14:15], v[30:31], -v[24:25]
	v_add_f64_e32 v[18:19], v[18:19], v[10:11]
	v_add_f64_e32 v[20:21], v[20:21], v[12:13]
	ds_load_b128 v[2:5], v1 offset:1760
	ds_load_b128 v[10:13], v1 offset:1776
	s_wait_loadcnt_dscnt 0x301
	v_mul_f64_e32 v[28:29], v[2:3], v[36:37]
	v_mul_f64_e32 v[36:37], v[4:5], v[36:37]
	s_wait_loadcnt_dscnt 0x200
	v_mul_f64_e32 v[22:23], v[10:11], v[42:43]
	v_add_f64_e32 v[18:19], v[18:19], v[26:27]
	v_add_f64_e32 v[20:21], v[20:21], v[32:33]
	v_mul_f64_e32 v[24:25], v[12:13], v[42:43]
	v_fma_f64 v[26:27], v[4:5], v[34:35], v[28:29]
	v_fma_f64 v[28:29], v[2:3], v[34:35], -v[36:37]
	v_fma_f64 v[12:13], v[12:13], v[40:41], v[22:23]
	v_add_f64_e32 v[18:19], v[18:19], v[14:15]
	v_add_f64_e32 v[20:21], v[20:21], v[16:17]
	ds_load_b128 v[2:5], v1 offset:1792
	ds_load_b128 v[14:17], v1 offset:1808
	v_fma_f64 v[10:11], v[10:11], v[40:41], -v[24:25]
	s_wait_loadcnt_dscnt 0x1
	v_mul_f64_e32 v[30:31], v[2:3], v[173:174]
	v_mul_f64_e32 v[32:33], v[4:5], v[173:174]
	s_wait_dscnt 0x0
	v_mul_f64_e32 v[22:23], v[14:15], v[8:9]
	v_mul_f64_e32 v[8:9], v[16:17], v[8:9]
	v_add_f64_e32 v[18:19], v[18:19], v[28:29]
	v_add_f64_e32 v[20:21], v[20:21], v[26:27]
	v_fma_f64 v[4:5], v[4:5], v[171:172], v[30:31]
	v_fma_f64 v[1:2], v[2:3], v[171:172], -v[32:33]
	v_fma_f64 v[16:17], v[16:17], v[6:7], v[22:23]
	v_fma_f64 v[6:7], v[14:15], v[6:7], -v[8:9]
	v_add_f64_e32 v[10:11], v[18:19], v[10:11]
	v_add_f64_e32 v[12:13], v[20:21], v[12:13]
	s_delay_alu instid0(VALU_DEP_2) | instskip(NEXT) | instid1(VALU_DEP_2)
	v_add_f64_e32 v[1:2], v[10:11], v[1:2]
	v_add_f64_e32 v[3:4], v[12:13], v[4:5]
	s_delay_alu instid0(VALU_DEP_2) | instskip(NEXT) | instid1(VALU_DEP_2)
	;; [unrolled: 3-line block ×3, first 2 shown]
	v_add_f64_e64 v[1:2], v[161:162], -v[1:2]
	v_add_f64_e64 v[3:4], v[163:164], -v[3:4]
	scratch_store_b128 off, v[1:4], off offset:560
	v_cmpx_lt_u32_e32 33, v0
	s_cbranch_execz .LBB56_289
; %bb.288:
	scratch_load_b128 v[1:4], off, s37
	v_mov_b32_e32 v5, 0
	s_delay_alu instid0(VALU_DEP_1)
	v_dual_mov_b32 v6, v5 :: v_dual_mov_b32 v7, v5
	v_mov_b32_e32 v8, v5
	scratch_store_b128 off, v[5:8], off offset:544
	s_wait_loadcnt 0x0
	ds_store_b128 v160, v[1:4]
.LBB56_289:
	s_wait_alu 0xfffe
	s_or_b32 exec_lo, exec_lo, s0
	s_wait_storecnt_dscnt 0x0
	s_barrier_signal -1
	s_barrier_wait -1
	global_inv scope:SCOPE_SE
	s_clause 0x7
	scratch_load_b128 v[2:5], off, off offset:560
	scratch_load_b128 v[6:9], off, off offset:576
	;; [unrolled: 1-line block ×8, first 2 shown]
	v_mov_b32_e32 v1, 0
	s_mov_b32 s0, exec_lo
	ds_load_b128 v[34:37], v1 offset:1456
	s_clause 0x1
	scratch_load_b128 v[38:41], off, off offset:688
	scratch_load_b128 v[42:45], off, off offset:544
	ds_load_b128 v[161:164], v1 offset:1472
	scratch_load_b128 v[165:168], off, off offset:704
	s_wait_loadcnt_dscnt 0xa01
	v_mul_f64_e32 v[169:170], v[36:37], v[4:5]
	v_mul_f64_e32 v[4:5], v[34:35], v[4:5]
	s_delay_alu instid0(VALU_DEP_2) | instskip(NEXT) | instid1(VALU_DEP_2)
	v_fma_f64 v[175:176], v[34:35], v[2:3], -v[169:170]
	v_fma_f64 v[177:178], v[36:37], v[2:3], v[4:5]
	ds_load_b128 v[2:5], v1 offset:1488
	s_wait_loadcnt_dscnt 0x901
	v_mul_f64_e32 v[173:174], v[161:162], v[8:9]
	v_mul_f64_e32 v[8:9], v[163:164], v[8:9]
	scratch_load_b128 v[34:37], off, off offset:720
	ds_load_b128 v[169:172], v1 offset:1504
	s_wait_loadcnt_dscnt 0x901
	v_mul_f64_e32 v[179:180], v[2:3], v[12:13]
	v_mul_f64_e32 v[12:13], v[4:5], v[12:13]
	v_fma_f64 v[163:164], v[163:164], v[6:7], v[173:174]
	v_fma_f64 v[161:162], v[161:162], v[6:7], -v[8:9]
	v_add_f64_e32 v[173:174], 0, v[175:176]
	v_add_f64_e32 v[175:176], 0, v[177:178]
	scratch_load_b128 v[6:9], off, off offset:736
	v_fma_f64 v[179:180], v[4:5], v[10:11], v[179:180]
	v_fma_f64 v[181:182], v[2:3], v[10:11], -v[12:13]
	ds_load_b128 v[2:5], v1 offset:1520
	s_wait_loadcnt_dscnt 0x901
	v_mul_f64_e32 v[177:178], v[169:170], v[16:17]
	v_mul_f64_e32 v[16:17], v[171:172], v[16:17]
	scratch_load_b128 v[10:13], off, off offset:752
	v_add_f64_e32 v[173:174], v[173:174], v[161:162]
	v_add_f64_e32 v[175:176], v[175:176], v[163:164]
	s_wait_loadcnt_dscnt 0x900
	v_mul_f64_e32 v[183:184], v[2:3], v[20:21]
	v_mul_f64_e32 v[20:21], v[4:5], v[20:21]
	ds_load_b128 v[161:164], v1 offset:1536
	v_fma_f64 v[171:172], v[171:172], v[14:15], v[177:178]
	v_fma_f64 v[169:170], v[169:170], v[14:15], -v[16:17]
	scratch_load_b128 v[14:17], off, off offset:768
	v_add_f64_e32 v[173:174], v[173:174], v[181:182]
	v_add_f64_e32 v[175:176], v[175:176], v[179:180]
	v_fma_f64 v[179:180], v[4:5], v[18:19], v[183:184]
	v_fma_f64 v[181:182], v[2:3], v[18:19], -v[20:21]
	ds_load_b128 v[2:5], v1 offset:1552
	s_wait_loadcnt_dscnt 0x901
	v_mul_f64_e32 v[177:178], v[161:162], v[24:25]
	v_mul_f64_e32 v[24:25], v[163:164], v[24:25]
	scratch_load_b128 v[18:21], off, off offset:784
	s_wait_loadcnt_dscnt 0x900
	v_mul_f64_e32 v[183:184], v[2:3], v[28:29]
	v_mul_f64_e32 v[28:29], v[4:5], v[28:29]
	v_add_f64_e32 v[173:174], v[173:174], v[169:170]
	v_add_f64_e32 v[175:176], v[175:176], v[171:172]
	ds_load_b128 v[169:172], v1 offset:1568
	v_fma_f64 v[163:164], v[163:164], v[22:23], v[177:178]
	v_fma_f64 v[161:162], v[161:162], v[22:23], -v[24:25]
	scratch_load_b128 v[22:25], off, off offset:800
	v_add_f64_e32 v[173:174], v[173:174], v[181:182]
	v_add_f64_e32 v[175:176], v[175:176], v[179:180]
	v_fma_f64 v[179:180], v[4:5], v[26:27], v[183:184]
	v_fma_f64 v[181:182], v[2:3], v[26:27], -v[28:29]
	ds_load_b128 v[2:5], v1 offset:1584
	s_wait_loadcnt_dscnt 0x901
	v_mul_f64_e32 v[177:178], v[169:170], v[32:33]
	v_mul_f64_e32 v[32:33], v[171:172], v[32:33]
	scratch_load_b128 v[26:29], off, off offset:816
	s_wait_loadcnt_dscnt 0x900
	v_mul_f64_e32 v[183:184], v[2:3], v[40:41]
	v_mul_f64_e32 v[40:41], v[4:5], v[40:41]
	v_add_f64_e32 v[173:174], v[173:174], v[161:162]
	v_add_f64_e32 v[175:176], v[175:176], v[163:164]
	ds_load_b128 v[161:164], v1 offset:1600
	v_fma_f64 v[171:172], v[171:172], v[30:31], v[177:178]
	v_fma_f64 v[169:170], v[169:170], v[30:31], -v[32:33]
	scratch_load_b128 v[30:33], off, off offset:832
	v_add_f64_e32 v[173:174], v[173:174], v[181:182]
	v_add_f64_e32 v[175:176], v[175:176], v[179:180]
	v_fma_f64 v[181:182], v[4:5], v[38:39], v[183:184]
	v_fma_f64 v[183:184], v[2:3], v[38:39], -v[40:41]
	ds_load_b128 v[2:5], v1 offset:1616
	s_wait_loadcnt_dscnt 0x801
	v_mul_f64_e32 v[177:178], v[161:162], v[167:168]
	v_mul_f64_e32 v[179:180], v[163:164], v[167:168]
	scratch_load_b128 v[38:41], off, off offset:848
	v_add_f64_e32 v[173:174], v[173:174], v[169:170]
	v_add_f64_e32 v[171:172], v[175:176], v[171:172]
	ds_load_b128 v[167:170], v1 offset:1632
	v_fma_f64 v[177:178], v[163:164], v[165:166], v[177:178]
	v_fma_f64 v[165:166], v[161:162], v[165:166], -v[179:180]
	scratch_load_b128 v[161:164], off, off offset:864
	s_wait_loadcnt_dscnt 0x901
	v_mul_f64_e32 v[175:176], v[2:3], v[36:37]
	v_mul_f64_e32 v[36:37], v[4:5], v[36:37]
	v_add_f64_e32 v[173:174], v[173:174], v[183:184]
	v_add_f64_e32 v[171:172], v[171:172], v[181:182]
	s_delay_alu instid0(VALU_DEP_4) | instskip(NEXT) | instid1(VALU_DEP_4)
	v_fma_f64 v[175:176], v[4:5], v[34:35], v[175:176]
	v_fma_f64 v[181:182], v[2:3], v[34:35], -v[36:37]
	ds_load_b128 v[2:5], v1 offset:1648
	s_wait_loadcnt_dscnt 0x801
	v_mul_f64_e32 v[179:180], v[167:168], v[8:9]
	v_mul_f64_e32 v[8:9], v[169:170], v[8:9]
	scratch_load_b128 v[34:37], off, off offset:880
	s_wait_loadcnt_dscnt 0x800
	v_mul_f64_e32 v[183:184], v[2:3], v[12:13]
	v_add_f64_e32 v[165:166], v[173:174], v[165:166]
	v_add_f64_e32 v[177:178], v[171:172], v[177:178]
	v_mul_f64_e32 v[12:13], v[4:5], v[12:13]
	ds_load_b128 v[171:174], v1 offset:1664
	v_fma_f64 v[169:170], v[169:170], v[6:7], v[179:180]
	v_fma_f64 v[167:168], v[167:168], v[6:7], -v[8:9]
	scratch_load_b128 v[6:9], off, off offset:896
	v_fma_f64 v[179:180], v[4:5], v[10:11], v[183:184]
	v_add_f64_e32 v[165:166], v[165:166], v[181:182]
	v_add_f64_e32 v[175:176], v[177:178], v[175:176]
	v_fma_f64 v[181:182], v[2:3], v[10:11], -v[12:13]
	ds_load_b128 v[2:5], v1 offset:1680
	s_wait_loadcnt_dscnt 0x801
	v_mul_f64_e32 v[177:178], v[171:172], v[16:17]
	v_mul_f64_e32 v[16:17], v[173:174], v[16:17]
	scratch_load_b128 v[10:13], off, off offset:912
	v_add_f64_e32 v[183:184], v[165:166], v[167:168]
	v_add_f64_e32 v[169:170], v[175:176], v[169:170]
	s_wait_loadcnt_dscnt 0x800
	v_mul_f64_e32 v[175:176], v[2:3], v[20:21]
	v_mul_f64_e32 v[20:21], v[4:5], v[20:21]
	v_fma_f64 v[173:174], v[173:174], v[14:15], v[177:178]
	v_fma_f64 v[14:15], v[171:172], v[14:15], -v[16:17]
	ds_load_b128 v[165:168], v1 offset:1696
	s_wait_loadcnt_dscnt 0x700
	v_mul_f64_e32 v[171:172], v[165:166], v[24:25]
	v_mul_f64_e32 v[24:25], v[167:168], v[24:25]
	v_add_f64_e32 v[16:17], v[183:184], v[181:182]
	v_add_f64_e32 v[169:170], v[169:170], v[179:180]
	v_fma_f64 v[175:176], v[4:5], v[18:19], v[175:176]
	v_fma_f64 v[18:19], v[2:3], v[18:19], -v[20:21]
	v_fma_f64 v[167:168], v[167:168], v[22:23], v[171:172]
	v_fma_f64 v[22:23], v[165:166], v[22:23], -v[24:25]
	v_add_f64_e32 v[20:21], v[16:17], v[14:15]
	v_add_f64_e32 v[169:170], v[169:170], v[173:174]
	ds_load_b128 v[2:5], v1 offset:1712
	ds_load_b128 v[14:17], v1 offset:1728
	s_wait_loadcnt_dscnt 0x601
	v_mul_f64_e32 v[173:174], v[2:3], v[28:29]
	v_mul_f64_e32 v[28:29], v[4:5], v[28:29]
	s_wait_loadcnt_dscnt 0x500
	v_mul_f64_e32 v[24:25], v[14:15], v[32:33]
	v_mul_f64_e32 v[32:33], v[16:17], v[32:33]
	v_add_f64_e32 v[18:19], v[20:21], v[18:19]
	v_add_f64_e32 v[20:21], v[169:170], v[175:176]
	v_fma_f64 v[165:166], v[4:5], v[26:27], v[173:174]
	v_fma_f64 v[26:27], v[2:3], v[26:27], -v[28:29]
	v_fma_f64 v[16:17], v[16:17], v[30:31], v[24:25]
	v_fma_f64 v[14:15], v[14:15], v[30:31], -v[32:33]
	v_add_f64_e32 v[22:23], v[18:19], v[22:23]
	v_add_f64_e32 v[28:29], v[20:21], v[167:168]
	ds_load_b128 v[2:5], v1 offset:1744
	ds_load_b128 v[18:21], v1 offset:1760
	s_wait_loadcnt_dscnt 0x401
	v_mul_f64_e32 v[167:168], v[2:3], v[40:41]
	v_mul_f64_e32 v[40:41], v[4:5], v[40:41]
	v_add_f64_e32 v[22:23], v[22:23], v[26:27]
	v_add_f64_e32 v[24:25], v[28:29], v[165:166]
	s_wait_loadcnt_dscnt 0x300
	v_mul_f64_e32 v[26:27], v[18:19], v[163:164]
	v_mul_f64_e32 v[28:29], v[20:21], v[163:164]
	v_fma_f64 v[30:31], v[4:5], v[38:39], v[167:168]
	v_fma_f64 v[32:33], v[2:3], v[38:39], -v[40:41]
	v_add_f64_e32 v[22:23], v[22:23], v[14:15]
	v_add_f64_e32 v[24:25], v[24:25], v[16:17]
	ds_load_b128 v[2:5], v1 offset:1776
	ds_load_b128 v[14:17], v1 offset:1792
	v_fma_f64 v[20:21], v[20:21], v[161:162], v[26:27]
	v_fma_f64 v[18:19], v[18:19], v[161:162], -v[28:29]
	s_wait_loadcnt_dscnt 0x201
	v_mul_f64_e32 v[38:39], v[2:3], v[36:37]
	v_mul_f64_e32 v[36:37], v[4:5], v[36:37]
	s_wait_loadcnt_dscnt 0x100
	v_mul_f64_e32 v[26:27], v[14:15], v[8:9]
	v_mul_f64_e32 v[8:9], v[16:17], v[8:9]
	v_add_f64_e32 v[22:23], v[22:23], v[32:33]
	v_add_f64_e32 v[24:25], v[24:25], v[30:31]
	v_fma_f64 v[28:29], v[4:5], v[34:35], v[38:39]
	v_fma_f64 v[30:31], v[2:3], v[34:35], -v[36:37]
	ds_load_b128 v[2:5], v1 offset:1808
	v_fma_f64 v[16:17], v[16:17], v[6:7], v[26:27]
	v_fma_f64 v[6:7], v[14:15], v[6:7], -v[8:9]
	v_add_f64_e32 v[18:19], v[22:23], v[18:19]
	v_add_f64_e32 v[20:21], v[24:25], v[20:21]
	s_wait_loadcnt_dscnt 0x0
	v_mul_f64_e32 v[22:23], v[2:3], v[12:13]
	v_mul_f64_e32 v[12:13], v[4:5], v[12:13]
	s_delay_alu instid0(VALU_DEP_4) | instskip(NEXT) | instid1(VALU_DEP_4)
	v_add_f64_e32 v[8:9], v[18:19], v[30:31]
	v_add_f64_e32 v[14:15], v[20:21], v[28:29]
	s_delay_alu instid0(VALU_DEP_4) | instskip(NEXT) | instid1(VALU_DEP_4)
	v_fma_f64 v[4:5], v[4:5], v[10:11], v[22:23]
	v_fma_f64 v[2:3], v[2:3], v[10:11], -v[12:13]
	s_delay_alu instid0(VALU_DEP_4) | instskip(NEXT) | instid1(VALU_DEP_4)
	v_add_f64_e32 v[6:7], v[8:9], v[6:7]
	v_add_f64_e32 v[8:9], v[14:15], v[16:17]
	s_delay_alu instid0(VALU_DEP_2) | instskip(NEXT) | instid1(VALU_DEP_2)
	v_add_f64_e32 v[2:3], v[6:7], v[2:3]
	v_add_f64_e32 v[4:5], v[8:9], v[4:5]
	s_delay_alu instid0(VALU_DEP_2) | instskip(NEXT) | instid1(VALU_DEP_2)
	v_add_f64_e64 v[2:3], v[42:43], -v[2:3]
	v_add_f64_e64 v[4:5], v[44:45], -v[4:5]
	scratch_store_b128 off, v[2:5], off offset:544
	v_cmpx_lt_u32_e32 32, v0
	s_cbranch_execz .LBB56_291
; %bb.290:
	scratch_load_b128 v[5:8], off, s38
	v_dual_mov_b32 v2, v1 :: v_dual_mov_b32 v3, v1
	v_mov_b32_e32 v4, v1
	scratch_store_b128 off, v[1:4], off offset:528
	s_wait_loadcnt 0x0
	ds_store_b128 v160, v[5:8]
.LBB56_291:
	s_wait_alu 0xfffe
	s_or_b32 exec_lo, exec_lo, s0
	s_wait_storecnt_dscnt 0x0
	s_barrier_signal -1
	s_barrier_wait -1
	global_inv scope:SCOPE_SE
	s_clause 0x8
	scratch_load_b128 v[2:5], off, off offset:544
	scratch_load_b128 v[6:9], off, off offset:560
	;; [unrolled: 1-line block ×9, first 2 shown]
	ds_load_b128 v[38:41], v1 offset:1440
	ds_load_b128 v[42:45], v1 offset:1456
	s_clause 0x1
	scratch_load_b128 v[161:164], off, off offset:528
	scratch_load_b128 v[165:168], off, off offset:688
	s_mov_b32 s0, exec_lo
	s_wait_loadcnt_dscnt 0xa01
	v_mul_f64_e32 v[169:170], v[40:41], v[4:5]
	v_mul_f64_e32 v[4:5], v[38:39], v[4:5]
	s_wait_loadcnt_dscnt 0x900
	v_mul_f64_e32 v[173:174], v[42:43], v[8:9]
	v_mul_f64_e32 v[8:9], v[44:45], v[8:9]
	s_delay_alu instid0(VALU_DEP_4) | instskip(NEXT) | instid1(VALU_DEP_4)
	v_fma_f64 v[175:176], v[38:39], v[2:3], -v[169:170]
	v_fma_f64 v[177:178], v[40:41], v[2:3], v[4:5]
	ds_load_b128 v[2:5], v1 offset:1472
	ds_load_b128 v[169:172], v1 offset:1488
	scratch_load_b128 v[38:41], off, off offset:704
	v_fma_f64 v[44:45], v[44:45], v[6:7], v[173:174]
	v_fma_f64 v[42:43], v[42:43], v[6:7], -v[8:9]
	scratch_load_b128 v[6:9], off, off offset:720
	s_wait_loadcnt_dscnt 0xa01
	v_mul_f64_e32 v[179:180], v[2:3], v[12:13]
	v_mul_f64_e32 v[12:13], v[4:5], v[12:13]
	v_add_f64_e32 v[173:174], 0, v[175:176]
	v_add_f64_e32 v[175:176], 0, v[177:178]
	s_wait_loadcnt_dscnt 0x900
	v_mul_f64_e32 v[177:178], v[169:170], v[16:17]
	v_mul_f64_e32 v[16:17], v[171:172], v[16:17]
	v_fma_f64 v[179:180], v[4:5], v[10:11], v[179:180]
	v_fma_f64 v[181:182], v[2:3], v[10:11], -v[12:13]
	ds_load_b128 v[2:5], v1 offset:1504
	scratch_load_b128 v[10:13], off, off offset:736
	v_add_f64_e32 v[173:174], v[173:174], v[42:43]
	v_add_f64_e32 v[175:176], v[175:176], v[44:45]
	ds_load_b128 v[42:45], v1 offset:1520
	v_fma_f64 v[171:172], v[171:172], v[14:15], v[177:178]
	v_fma_f64 v[169:170], v[169:170], v[14:15], -v[16:17]
	scratch_load_b128 v[14:17], off, off offset:752
	s_wait_loadcnt_dscnt 0xa01
	v_mul_f64_e32 v[183:184], v[2:3], v[20:21]
	v_mul_f64_e32 v[20:21], v[4:5], v[20:21]
	s_wait_loadcnt_dscnt 0x900
	v_mul_f64_e32 v[177:178], v[42:43], v[24:25]
	v_mul_f64_e32 v[24:25], v[44:45], v[24:25]
	v_add_f64_e32 v[173:174], v[173:174], v[181:182]
	v_add_f64_e32 v[175:176], v[175:176], v[179:180]
	v_fma_f64 v[179:180], v[4:5], v[18:19], v[183:184]
	v_fma_f64 v[181:182], v[2:3], v[18:19], -v[20:21]
	ds_load_b128 v[2:5], v1 offset:1536
	scratch_load_b128 v[18:21], off, off offset:768
	v_fma_f64 v[44:45], v[44:45], v[22:23], v[177:178]
	v_fma_f64 v[42:43], v[42:43], v[22:23], -v[24:25]
	scratch_load_b128 v[22:25], off, off offset:784
	v_add_f64_e32 v[173:174], v[173:174], v[169:170]
	v_add_f64_e32 v[175:176], v[175:176], v[171:172]
	ds_load_b128 v[169:172], v1 offset:1552
	s_wait_loadcnt_dscnt 0xa01
	v_mul_f64_e32 v[183:184], v[2:3], v[28:29]
	v_mul_f64_e32 v[28:29], v[4:5], v[28:29]
	s_wait_loadcnt_dscnt 0x900
	v_mul_f64_e32 v[177:178], v[169:170], v[32:33]
	v_mul_f64_e32 v[32:33], v[171:172], v[32:33]
	v_add_f64_e32 v[173:174], v[173:174], v[181:182]
	v_add_f64_e32 v[175:176], v[175:176], v[179:180]
	v_fma_f64 v[179:180], v[4:5], v[26:27], v[183:184]
	v_fma_f64 v[181:182], v[2:3], v[26:27], -v[28:29]
	ds_load_b128 v[2:5], v1 offset:1568
	scratch_load_b128 v[26:29], off, off offset:800
	v_fma_f64 v[171:172], v[171:172], v[30:31], v[177:178]
	v_fma_f64 v[169:170], v[169:170], v[30:31], -v[32:33]
	scratch_load_b128 v[30:33], off, off offset:816
	v_add_f64_e32 v[173:174], v[173:174], v[42:43]
	v_add_f64_e32 v[175:176], v[175:176], v[44:45]
	ds_load_b128 v[42:45], v1 offset:1584
	s_wait_loadcnt_dscnt 0xa01
	v_mul_f64_e32 v[183:184], v[2:3], v[36:37]
	v_mul_f64_e32 v[36:37], v[4:5], v[36:37]
	s_wait_loadcnt_dscnt 0x800
	v_mul_f64_e32 v[177:178], v[42:43], v[167:168]
	v_add_f64_e32 v[173:174], v[173:174], v[181:182]
	v_add_f64_e32 v[175:176], v[175:176], v[179:180]
	v_mul_f64_e32 v[179:180], v[44:45], v[167:168]
	v_fma_f64 v[181:182], v[4:5], v[34:35], v[183:184]
	v_fma_f64 v[183:184], v[2:3], v[34:35], -v[36:37]
	ds_load_b128 v[2:5], v1 offset:1600
	scratch_load_b128 v[34:37], off, off offset:832
	v_fma_f64 v[44:45], v[44:45], v[165:166], v[177:178]
	v_add_f64_e32 v[173:174], v[173:174], v[169:170]
	v_add_f64_e32 v[171:172], v[175:176], v[171:172]
	ds_load_b128 v[167:170], v1 offset:1616
	v_fma_f64 v[165:166], v[42:43], v[165:166], -v[179:180]
	s_wait_loadcnt_dscnt 0x801
	v_mul_f64_e32 v[175:176], v[2:3], v[40:41]
	v_mul_f64_e32 v[185:186], v[4:5], v[40:41]
	scratch_load_b128 v[40:43], off, off offset:848
	s_wait_loadcnt_dscnt 0x800
	v_mul_f64_e32 v[179:180], v[167:168], v[8:9]
	v_mul_f64_e32 v[8:9], v[169:170], v[8:9]
	v_add_f64_e32 v[173:174], v[173:174], v[183:184]
	v_add_f64_e32 v[171:172], v[171:172], v[181:182]
	v_fma_f64 v[181:182], v[4:5], v[38:39], v[175:176]
	v_fma_f64 v[38:39], v[2:3], v[38:39], -v[185:186]
	ds_load_b128 v[2:5], v1 offset:1632
	ds_load_b128 v[175:178], v1 offset:1648
	v_fma_f64 v[169:170], v[169:170], v[6:7], v[179:180]
	v_fma_f64 v[167:168], v[167:168], v[6:7], -v[8:9]
	scratch_load_b128 v[6:9], off, off offset:880
	v_add_f64_e32 v[165:166], v[173:174], v[165:166]
	v_add_f64_e32 v[44:45], v[171:172], v[44:45]
	scratch_load_b128 v[171:174], off, off offset:864
	s_wait_loadcnt_dscnt 0x901
	v_mul_f64_e32 v[183:184], v[2:3], v[12:13]
	v_mul_f64_e32 v[12:13], v[4:5], v[12:13]
	s_wait_loadcnt_dscnt 0x800
	v_mul_f64_e32 v[179:180], v[175:176], v[16:17]
	v_mul_f64_e32 v[16:17], v[177:178], v[16:17]
	v_add_f64_e32 v[38:39], v[165:166], v[38:39]
	v_add_f64_e32 v[44:45], v[44:45], v[181:182]
	v_fma_f64 v[181:182], v[4:5], v[10:11], v[183:184]
	v_fma_f64 v[183:184], v[2:3], v[10:11], -v[12:13]
	ds_load_b128 v[2:5], v1 offset:1664
	scratch_load_b128 v[10:13], off, off offset:896
	v_fma_f64 v[177:178], v[177:178], v[14:15], v[179:180]
	v_fma_f64 v[175:176], v[175:176], v[14:15], -v[16:17]
	scratch_load_b128 v[14:17], off, off offset:912
	v_add_f64_e32 v[38:39], v[38:39], v[167:168]
	v_add_f64_e32 v[44:45], v[44:45], v[169:170]
	ds_load_b128 v[165:168], v1 offset:1680
	s_wait_loadcnt_dscnt 0x901
	v_mul_f64_e32 v[169:170], v[2:3], v[20:21]
	v_mul_f64_e32 v[20:21], v[4:5], v[20:21]
	s_wait_loadcnt_dscnt 0x800
	v_mul_f64_e32 v[179:180], v[165:166], v[24:25]
	v_mul_f64_e32 v[24:25], v[167:168], v[24:25]
	v_add_f64_e32 v[38:39], v[38:39], v[183:184]
	v_add_f64_e32 v[44:45], v[44:45], v[181:182]
	v_fma_f64 v[169:170], v[4:5], v[18:19], v[169:170]
	v_fma_f64 v[181:182], v[2:3], v[18:19], -v[20:21]
	ds_load_b128 v[2:5], v1 offset:1696
	ds_load_b128 v[18:21], v1 offset:1712
	v_fma_f64 v[167:168], v[167:168], v[22:23], v[179:180]
	v_fma_f64 v[22:23], v[165:166], v[22:23], -v[24:25]
	v_add_f64_e32 v[38:39], v[38:39], v[175:176]
	v_add_f64_e32 v[44:45], v[44:45], v[177:178]
	s_wait_loadcnt_dscnt 0x701
	v_mul_f64_e32 v[175:176], v[2:3], v[28:29]
	v_mul_f64_e32 v[28:29], v[4:5], v[28:29]
	s_delay_alu instid0(VALU_DEP_4) | instskip(NEXT) | instid1(VALU_DEP_4)
	v_add_f64_e32 v[24:25], v[38:39], v[181:182]
	v_add_f64_e32 v[38:39], v[44:45], v[169:170]
	s_wait_loadcnt_dscnt 0x600
	v_mul_f64_e32 v[44:45], v[18:19], v[32:33]
	v_mul_f64_e32 v[32:33], v[20:21], v[32:33]
	v_fma_f64 v[165:166], v[4:5], v[26:27], v[175:176]
	v_fma_f64 v[26:27], v[2:3], v[26:27], -v[28:29]
	v_add_f64_e32 v[28:29], v[24:25], v[22:23]
	v_add_f64_e32 v[38:39], v[38:39], v[167:168]
	ds_load_b128 v[2:5], v1 offset:1728
	ds_load_b128 v[22:25], v1 offset:1744
	v_fma_f64 v[20:21], v[20:21], v[30:31], v[44:45]
	v_fma_f64 v[18:19], v[18:19], v[30:31], -v[32:33]
	s_wait_loadcnt_dscnt 0x501
	v_mul_f64_e32 v[167:168], v[2:3], v[36:37]
	v_mul_f64_e32 v[36:37], v[4:5], v[36:37]
	s_wait_loadcnt_dscnt 0x400
	v_mul_f64_e32 v[30:31], v[22:23], v[42:43]
	v_add_f64_e32 v[26:27], v[28:29], v[26:27]
	v_add_f64_e32 v[28:29], v[38:39], v[165:166]
	v_mul_f64_e32 v[32:33], v[24:25], v[42:43]
	v_fma_f64 v[38:39], v[4:5], v[34:35], v[167:168]
	v_fma_f64 v[34:35], v[2:3], v[34:35], -v[36:37]
	v_fma_f64 v[24:25], v[24:25], v[40:41], v[30:31]
	v_add_f64_e32 v[26:27], v[26:27], v[18:19]
	v_add_f64_e32 v[28:29], v[28:29], v[20:21]
	ds_load_b128 v[2:5], v1 offset:1760
	ds_load_b128 v[18:21], v1 offset:1776
	v_fma_f64 v[22:23], v[22:23], v[40:41], -v[32:33]
	s_wait_loadcnt_dscnt 0x201
	v_mul_f64_e32 v[36:37], v[2:3], v[173:174]
	v_mul_f64_e32 v[42:43], v[4:5], v[173:174]
	s_wait_dscnt 0x0
	v_mul_f64_e32 v[30:31], v[18:19], v[8:9]
	v_mul_f64_e32 v[8:9], v[20:21], v[8:9]
	v_add_f64_e32 v[26:27], v[26:27], v[34:35]
	v_add_f64_e32 v[28:29], v[28:29], v[38:39]
	v_fma_f64 v[32:33], v[4:5], v[171:172], v[36:37]
	v_fma_f64 v[34:35], v[2:3], v[171:172], -v[42:43]
	v_fma_f64 v[20:21], v[20:21], v[6:7], v[30:31]
	v_fma_f64 v[6:7], v[18:19], v[6:7], -v[8:9]
	v_add_f64_e32 v[26:27], v[26:27], v[22:23]
	v_add_f64_e32 v[28:29], v[28:29], v[24:25]
	ds_load_b128 v[2:5], v1 offset:1792
	ds_load_b128 v[22:25], v1 offset:1808
	s_wait_loadcnt_dscnt 0x101
	v_mul_f64_e32 v[36:37], v[2:3], v[12:13]
	v_mul_f64_e32 v[12:13], v[4:5], v[12:13]
	v_add_f64_e32 v[8:9], v[26:27], v[34:35]
	v_add_f64_e32 v[18:19], v[28:29], v[32:33]
	s_wait_loadcnt_dscnt 0x0
	v_mul_f64_e32 v[26:27], v[22:23], v[16:17]
	v_mul_f64_e32 v[16:17], v[24:25], v[16:17]
	v_fma_f64 v[4:5], v[4:5], v[10:11], v[36:37]
	v_fma_f64 v[1:2], v[2:3], v[10:11], -v[12:13]
	v_add_f64_e32 v[6:7], v[8:9], v[6:7]
	v_add_f64_e32 v[8:9], v[18:19], v[20:21]
	v_fma_f64 v[10:11], v[24:25], v[14:15], v[26:27]
	v_fma_f64 v[12:13], v[22:23], v[14:15], -v[16:17]
	s_delay_alu instid0(VALU_DEP_4) | instskip(NEXT) | instid1(VALU_DEP_4)
	v_add_f64_e32 v[1:2], v[6:7], v[1:2]
	v_add_f64_e32 v[3:4], v[8:9], v[4:5]
	s_delay_alu instid0(VALU_DEP_2) | instskip(NEXT) | instid1(VALU_DEP_2)
	v_add_f64_e32 v[1:2], v[1:2], v[12:13]
	v_add_f64_e32 v[3:4], v[3:4], v[10:11]
	s_delay_alu instid0(VALU_DEP_2) | instskip(NEXT) | instid1(VALU_DEP_2)
	v_add_f64_e64 v[1:2], v[161:162], -v[1:2]
	v_add_f64_e64 v[3:4], v[163:164], -v[3:4]
	scratch_store_b128 off, v[1:4], off offset:528
	v_cmpx_lt_u32_e32 31, v0
	s_cbranch_execz .LBB56_293
; %bb.292:
	scratch_load_b128 v[1:4], off, s39
	v_mov_b32_e32 v5, 0
	s_delay_alu instid0(VALU_DEP_1)
	v_dual_mov_b32 v6, v5 :: v_dual_mov_b32 v7, v5
	v_mov_b32_e32 v8, v5
	scratch_store_b128 off, v[5:8], off offset:512
	s_wait_loadcnt 0x0
	ds_store_b128 v160, v[1:4]
.LBB56_293:
	s_wait_alu 0xfffe
	s_or_b32 exec_lo, exec_lo, s0
	s_wait_storecnt_dscnt 0x0
	s_barrier_signal -1
	s_barrier_wait -1
	global_inv scope:SCOPE_SE
	s_clause 0x7
	scratch_load_b128 v[2:5], off, off offset:528
	scratch_load_b128 v[6:9], off, off offset:544
	;; [unrolled: 1-line block ×8, first 2 shown]
	v_mov_b32_e32 v1, 0
	s_mov_b32 s0, exec_lo
	ds_load_b128 v[34:37], v1 offset:1424
	s_clause 0x1
	scratch_load_b128 v[38:41], off, off offset:656
	scratch_load_b128 v[42:45], off, off offset:512
	ds_load_b128 v[161:164], v1 offset:1440
	scratch_load_b128 v[165:168], off, off offset:672
	s_wait_loadcnt_dscnt 0xa01
	v_mul_f64_e32 v[169:170], v[36:37], v[4:5]
	v_mul_f64_e32 v[4:5], v[34:35], v[4:5]
	s_delay_alu instid0(VALU_DEP_2) | instskip(NEXT) | instid1(VALU_DEP_2)
	v_fma_f64 v[175:176], v[34:35], v[2:3], -v[169:170]
	v_fma_f64 v[177:178], v[36:37], v[2:3], v[4:5]
	ds_load_b128 v[2:5], v1 offset:1456
	s_wait_loadcnt_dscnt 0x901
	v_mul_f64_e32 v[173:174], v[161:162], v[8:9]
	v_mul_f64_e32 v[8:9], v[163:164], v[8:9]
	scratch_load_b128 v[34:37], off, off offset:688
	ds_load_b128 v[169:172], v1 offset:1472
	s_wait_loadcnt_dscnt 0x901
	v_mul_f64_e32 v[179:180], v[2:3], v[12:13]
	v_mul_f64_e32 v[12:13], v[4:5], v[12:13]
	v_fma_f64 v[163:164], v[163:164], v[6:7], v[173:174]
	v_fma_f64 v[161:162], v[161:162], v[6:7], -v[8:9]
	v_add_f64_e32 v[173:174], 0, v[175:176]
	v_add_f64_e32 v[175:176], 0, v[177:178]
	scratch_load_b128 v[6:9], off, off offset:704
	v_fma_f64 v[179:180], v[4:5], v[10:11], v[179:180]
	v_fma_f64 v[181:182], v[2:3], v[10:11], -v[12:13]
	ds_load_b128 v[2:5], v1 offset:1488
	s_wait_loadcnt_dscnt 0x901
	v_mul_f64_e32 v[177:178], v[169:170], v[16:17]
	v_mul_f64_e32 v[16:17], v[171:172], v[16:17]
	scratch_load_b128 v[10:13], off, off offset:720
	v_add_f64_e32 v[173:174], v[173:174], v[161:162]
	v_add_f64_e32 v[175:176], v[175:176], v[163:164]
	s_wait_loadcnt_dscnt 0x900
	v_mul_f64_e32 v[183:184], v[2:3], v[20:21]
	v_mul_f64_e32 v[20:21], v[4:5], v[20:21]
	ds_load_b128 v[161:164], v1 offset:1504
	v_fma_f64 v[171:172], v[171:172], v[14:15], v[177:178]
	v_fma_f64 v[169:170], v[169:170], v[14:15], -v[16:17]
	scratch_load_b128 v[14:17], off, off offset:736
	v_add_f64_e32 v[173:174], v[173:174], v[181:182]
	v_add_f64_e32 v[175:176], v[175:176], v[179:180]
	v_fma_f64 v[179:180], v[4:5], v[18:19], v[183:184]
	v_fma_f64 v[181:182], v[2:3], v[18:19], -v[20:21]
	ds_load_b128 v[2:5], v1 offset:1520
	s_wait_loadcnt_dscnt 0x901
	v_mul_f64_e32 v[177:178], v[161:162], v[24:25]
	v_mul_f64_e32 v[24:25], v[163:164], v[24:25]
	scratch_load_b128 v[18:21], off, off offset:752
	s_wait_loadcnt_dscnt 0x900
	v_mul_f64_e32 v[183:184], v[2:3], v[28:29]
	v_mul_f64_e32 v[28:29], v[4:5], v[28:29]
	v_add_f64_e32 v[173:174], v[173:174], v[169:170]
	v_add_f64_e32 v[175:176], v[175:176], v[171:172]
	ds_load_b128 v[169:172], v1 offset:1536
	v_fma_f64 v[163:164], v[163:164], v[22:23], v[177:178]
	v_fma_f64 v[161:162], v[161:162], v[22:23], -v[24:25]
	scratch_load_b128 v[22:25], off, off offset:768
	v_add_f64_e32 v[173:174], v[173:174], v[181:182]
	v_add_f64_e32 v[175:176], v[175:176], v[179:180]
	v_fma_f64 v[179:180], v[4:5], v[26:27], v[183:184]
	v_fma_f64 v[181:182], v[2:3], v[26:27], -v[28:29]
	ds_load_b128 v[2:5], v1 offset:1552
	s_wait_loadcnt_dscnt 0x901
	v_mul_f64_e32 v[177:178], v[169:170], v[32:33]
	v_mul_f64_e32 v[32:33], v[171:172], v[32:33]
	scratch_load_b128 v[26:29], off, off offset:784
	s_wait_loadcnt_dscnt 0x900
	v_mul_f64_e32 v[183:184], v[2:3], v[40:41]
	v_mul_f64_e32 v[40:41], v[4:5], v[40:41]
	v_add_f64_e32 v[173:174], v[173:174], v[161:162]
	v_add_f64_e32 v[175:176], v[175:176], v[163:164]
	ds_load_b128 v[161:164], v1 offset:1568
	v_fma_f64 v[171:172], v[171:172], v[30:31], v[177:178]
	v_fma_f64 v[169:170], v[169:170], v[30:31], -v[32:33]
	scratch_load_b128 v[30:33], off, off offset:800
	v_add_f64_e32 v[173:174], v[173:174], v[181:182]
	v_add_f64_e32 v[175:176], v[175:176], v[179:180]
	v_fma_f64 v[181:182], v[4:5], v[38:39], v[183:184]
	v_fma_f64 v[183:184], v[2:3], v[38:39], -v[40:41]
	ds_load_b128 v[2:5], v1 offset:1584
	s_wait_loadcnt_dscnt 0x801
	v_mul_f64_e32 v[177:178], v[161:162], v[167:168]
	v_mul_f64_e32 v[179:180], v[163:164], v[167:168]
	scratch_load_b128 v[38:41], off, off offset:816
	v_add_f64_e32 v[173:174], v[173:174], v[169:170]
	v_add_f64_e32 v[171:172], v[175:176], v[171:172]
	ds_load_b128 v[167:170], v1 offset:1600
	v_fma_f64 v[177:178], v[163:164], v[165:166], v[177:178]
	v_fma_f64 v[165:166], v[161:162], v[165:166], -v[179:180]
	scratch_load_b128 v[161:164], off, off offset:832
	s_wait_loadcnt_dscnt 0x901
	v_mul_f64_e32 v[175:176], v[2:3], v[36:37]
	v_mul_f64_e32 v[36:37], v[4:5], v[36:37]
	v_add_f64_e32 v[173:174], v[173:174], v[183:184]
	v_add_f64_e32 v[171:172], v[171:172], v[181:182]
	s_delay_alu instid0(VALU_DEP_4) | instskip(NEXT) | instid1(VALU_DEP_4)
	v_fma_f64 v[175:176], v[4:5], v[34:35], v[175:176]
	v_fma_f64 v[181:182], v[2:3], v[34:35], -v[36:37]
	ds_load_b128 v[2:5], v1 offset:1616
	s_wait_loadcnt_dscnt 0x801
	v_mul_f64_e32 v[179:180], v[167:168], v[8:9]
	v_mul_f64_e32 v[8:9], v[169:170], v[8:9]
	scratch_load_b128 v[34:37], off, off offset:848
	s_wait_loadcnt_dscnt 0x800
	v_mul_f64_e32 v[183:184], v[2:3], v[12:13]
	v_add_f64_e32 v[165:166], v[173:174], v[165:166]
	v_add_f64_e32 v[177:178], v[171:172], v[177:178]
	v_mul_f64_e32 v[12:13], v[4:5], v[12:13]
	ds_load_b128 v[171:174], v1 offset:1632
	v_fma_f64 v[169:170], v[169:170], v[6:7], v[179:180]
	v_fma_f64 v[167:168], v[167:168], v[6:7], -v[8:9]
	scratch_load_b128 v[6:9], off, off offset:864
	v_fma_f64 v[179:180], v[4:5], v[10:11], v[183:184]
	v_add_f64_e32 v[165:166], v[165:166], v[181:182]
	v_add_f64_e32 v[175:176], v[177:178], v[175:176]
	v_fma_f64 v[181:182], v[2:3], v[10:11], -v[12:13]
	ds_load_b128 v[2:5], v1 offset:1648
	s_wait_loadcnt_dscnt 0x801
	v_mul_f64_e32 v[177:178], v[171:172], v[16:17]
	v_mul_f64_e32 v[16:17], v[173:174], v[16:17]
	scratch_load_b128 v[10:13], off, off offset:880
	v_add_f64_e32 v[183:184], v[165:166], v[167:168]
	v_add_f64_e32 v[169:170], v[175:176], v[169:170]
	s_wait_loadcnt_dscnt 0x800
	v_mul_f64_e32 v[175:176], v[2:3], v[20:21]
	v_mul_f64_e32 v[20:21], v[4:5], v[20:21]
	v_fma_f64 v[173:174], v[173:174], v[14:15], v[177:178]
	v_fma_f64 v[171:172], v[171:172], v[14:15], -v[16:17]
	ds_load_b128 v[165:168], v1 offset:1664
	scratch_load_b128 v[14:17], off, off offset:896
	v_add_f64_e32 v[177:178], v[183:184], v[181:182]
	v_add_f64_e32 v[169:170], v[169:170], v[179:180]
	v_fma_f64 v[175:176], v[4:5], v[18:19], v[175:176]
	v_fma_f64 v[181:182], v[2:3], v[18:19], -v[20:21]
	ds_load_b128 v[2:5], v1 offset:1680
	s_wait_loadcnt_dscnt 0x801
	v_mul_f64_e32 v[179:180], v[165:166], v[24:25]
	v_mul_f64_e32 v[24:25], v[167:168], v[24:25]
	scratch_load_b128 v[18:21], off, off offset:912
	s_wait_loadcnt_dscnt 0x800
	v_mul_f64_e32 v[183:184], v[2:3], v[28:29]
	v_mul_f64_e32 v[28:29], v[4:5], v[28:29]
	v_add_f64_e32 v[177:178], v[177:178], v[171:172]
	v_add_f64_e32 v[173:174], v[169:170], v[173:174]
	ds_load_b128 v[169:172], v1 offset:1696
	v_fma_f64 v[167:168], v[167:168], v[22:23], v[179:180]
	v_fma_f64 v[22:23], v[165:166], v[22:23], -v[24:25]
	v_add_f64_e32 v[24:25], v[177:178], v[181:182]
	v_add_f64_e32 v[165:166], v[173:174], v[175:176]
	s_wait_loadcnt_dscnt 0x700
	v_mul_f64_e32 v[173:174], v[169:170], v[32:33]
	v_mul_f64_e32 v[32:33], v[171:172], v[32:33]
	v_fma_f64 v[175:176], v[4:5], v[26:27], v[183:184]
	v_fma_f64 v[26:27], v[2:3], v[26:27], -v[28:29]
	v_add_f64_e32 v[28:29], v[24:25], v[22:23]
	v_add_f64_e32 v[165:166], v[165:166], v[167:168]
	ds_load_b128 v[2:5], v1 offset:1712
	ds_load_b128 v[22:25], v1 offset:1728
	v_fma_f64 v[171:172], v[171:172], v[30:31], v[173:174]
	v_fma_f64 v[30:31], v[169:170], v[30:31], -v[32:33]
	s_wait_loadcnt_dscnt 0x601
	v_mul_f64_e32 v[167:168], v[2:3], v[40:41]
	v_mul_f64_e32 v[40:41], v[4:5], v[40:41]
	s_wait_loadcnt_dscnt 0x500
	v_mul_f64_e32 v[32:33], v[22:23], v[163:164]
	v_mul_f64_e32 v[163:164], v[24:25], v[163:164]
	v_add_f64_e32 v[26:27], v[28:29], v[26:27]
	v_add_f64_e32 v[28:29], v[165:166], v[175:176]
	v_fma_f64 v[165:166], v[4:5], v[38:39], v[167:168]
	v_fma_f64 v[38:39], v[2:3], v[38:39], -v[40:41]
	v_fma_f64 v[24:25], v[24:25], v[161:162], v[32:33]
	v_fma_f64 v[22:23], v[22:23], v[161:162], -v[163:164]
	v_add_f64_e32 v[30:31], v[26:27], v[30:31]
	v_add_f64_e32 v[40:41], v[28:29], v[171:172]
	ds_load_b128 v[2:5], v1 offset:1744
	ds_load_b128 v[26:29], v1 offset:1760
	s_wait_loadcnt_dscnt 0x401
	v_mul_f64_e32 v[167:168], v[2:3], v[36:37]
	v_mul_f64_e32 v[36:37], v[4:5], v[36:37]
	v_add_f64_e32 v[30:31], v[30:31], v[38:39]
	v_add_f64_e32 v[32:33], v[40:41], v[165:166]
	s_wait_loadcnt_dscnt 0x300
	v_mul_f64_e32 v[38:39], v[26:27], v[8:9]
	v_mul_f64_e32 v[8:9], v[28:29], v[8:9]
	v_fma_f64 v[40:41], v[4:5], v[34:35], v[167:168]
	v_fma_f64 v[34:35], v[2:3], v[34:35], -v[36:37]
	v_add_f64_e32 v[30:31], v[30:31], v[22:23]
	v_add_f64_e32 v[32:33], v[32:33], v[24:25]
	ds_load_b128 v[2:5], v1 offset:1776
	ds_load_b128 v[22:25], v1 offset:1792
	v_fma_f64 v[28:29], v[28:29], v[6:7], v[38:39]
	v_fma_f64 v[6:7], v[26:27], v[6:7], -v[8:9]
	s_wait_loadcnt_dscnt 0x201
	v_mul_f64_e32 v[36:37], v[2:3], v[12:13]
	v_mul_f64_e32 v[12:13], v[4:5], v[12:13]
	v_add_f64_e32 v[8:9], v[30:31], v[34:35]
	v_add_f64_e32 v[26:27], v[32:33], v[40:41]
	s_wait_loadcnt_dscnt 0x100
	v_mul_f64_e32 v[30:31], v[22:23], v[16:17]
	v_mul_f64_e32 v[16:17], v[24:25], v[16:17]
	v_fma_f64 v[32:33], v[4:5], v[10:11], v[36:37]
	v_fma_f64 v[10:11], v[2:3], v[10:11], -v[12:13]
	ds_load_b128 v[2:5], v1 offset:1808
	v_add_f64_e32 v[6:7], v[8:9], v[6:7]
	v_add_f64_e32 v[8:9], v[26:27], v[28:29]
	v_fma_f64 v[24:25], v[24:25], v[14:15], v[30:31]
	v_fma_f64 v[14:15], v[22:23], v[14:15], -v[16:17]
	s_wait_loadcnt_dscnt 0x0
	v_mul_f64_e32 v[12:13], v[2:3], v[20:21]
	v_mul_f64_e32 v[20:21], v[4:5], v[20:21]
	v_add_f64_e32 v[6:7], v[6:7], v[10:11]
	v_add_f64_e32 v[8:9], v[8:9], v[32:33]
	s_delay_alu instid0(VALU_DEP_4) | instskip(NEXT) | instid1(VALU_DEP_4)
	v_fma_f64 v[4:5], v[4:5], v[18:19], v[12:13]
	v_fma_f64 v[2:3], v[2:3], v[18:19], -v[20:21]
	s_delay_alu instid0(VALU_DEP_4) | instskip(NEXT) | instid1(VALU_DEP_4)
	v_add_f64_e32 v[6:7], v[6:7], v[14:15]
	v_add_f64_e32 v[8:9], v[8:9], v[24:25]
	s_delay_alu instid0(VALU_DEP_2) | instskip(NEXT) | instid1(VALU_DEP_2)
	v_add_f64_e32 v[2:3], v[6:7], v[2:3]
	v_add_f64_e32 v[4:5], v[8:9], v[4:5]
	s_delay_alu instid0(VALU_DEP_2) | instskip(NEXT) | instid1(VALU_DEP_2)
	v_add_f64_e64 v[2:3], v[42:43], -v[2:3]
	v_add_f64_e64 v[4:5], v[44:45], -v[4:5]
	scratch_store_b128 off, v[2:5], off offset:512
	v_cmpx_lt_u32_e32 30, v0
	s_cbranch_execz .LBB56_295
; %bb.294:
	scratch_load_b128 v[5:8], off, s40
	v_dual_mov_b32 v2, v1 :: v_dual_mov_b32 v3, v1
	v_mov_b32_e32 v4, v1
	scratch_store_b128 off, v[1:4], off offset:496
	s_wait_loadcnt 0x0
	ds_store_b128 v160, v[5:8]
.LBB56_295:
	s_wait_alu 0xfffe
	s_or_b32 exec_lo, exec_lo, s0
	s_wait_storecnt_dscnt 0x0
	s_barrier_signal -1
	s_barrier_wait -1
	global_inv scope:SCOPE_SE
	s_clause 0x8
	scratch_load_b128 v[2:5], off, off offset:512
	scratch_load_b128 v[6:9], off, off offset:528
	;; [unrolled: 1-line block ×9, first 2 shown]
	ds_load_b128 v[38:41], v1 offset:1408
	ds_load_b128 v[42:45], v1 offset:1424
	s_clause 0x1
	scratch_load_b128 v[161:164], off, off offset:496
	scratch_load_b128 v[165:168], off, off offset:656
	s_mov_b32 s0, exec_lo
	s_wait_loadcnt_dscnt 0xa01
	v_mul_f64_e32 v[169:170], v[40:41], v[4:5]
	v_mul_f64_e32 v[4:5], v[38:39], v[4:5]
	s_wait_loadcnt_dscnt 0x900
	v_mul_f64_e32 v[173:174], v[42:43], v[8:9]
	v_mul_f64_e32 v[8:9], v[44:45], v[8:9]
	s_delay_alu instid0(VALU_DEP_4) | instskip(NEXT) | instid1(VALU_DEP_4)
	v_fma_f64 v[175:176], v[38:39], v[2:3], -v[169:170]
	v_fma_f64 v[177:178], v[40:41], v[2:3], v[4:5]
	ds_load_b128 v[2:5], v1 offset:1440
	ds_load_b128 v[169:172], v1 offset:1456
	scratch_load_b128 v[38:41], off, off offset:672
	v_fma_f64 v[44:45], v[44:45], v[6:7], v[173:174]
	v_fma_f64 v[42:43], v[42:43], v[6:7], -v[8:9]
	scratch_load_b128 v[6:9], off, off offset:688
	s_wait_loadcnt_dscnt 0xa01
	v_mul_f64_e32 v[179:180], v[2:3], v[12:13]
	v_mul_f64_e32 v[12:13], v[4:5], v[12:13]
	v_add_f64_e32 v[173:174], 0, v[175:176]
	v_add_f64_e32 v[175:176], 0, v[177:178]
	s_wait_loadcnt_dscnt 0x900
	v_mul_f64_e32 v[177:178], v[169:170], v[16:17]
	v_mul_f64_e32 v[16:17], v[171:172], v[16:17]
	v_fma_f64 v[179:180], v[4:5], v[10:11], v[179:180]
	v_fma_f64 v[181:182], v[2:3], v[10:11], -v[12:13]
	ds_load_b128 v[2:5], v1 offset:1472
	scratch_load_b128 v[10:13], off, off offset:704
	v_add_f64_e32 v[173:174], v[173:174], v[42:43]
	v_add_f64_e32 v[175:176], v[175:176], v[44:45]
	ds_load_b128 v[42:45], v1 offset:1488
	v_fma_f64 v[171:172], v[171:172], v[14:15], v[177:178]
	v_fma_f64 v[169:170], v[169:170], v[14:15], -v[16:17]
	scratch_load_b128 v[14:17], off, off offset:720
	s_wait_loadcnt_dscnt 0xa01
	v_mul_f64_e32 v[183:184], v[2:3], v[20:21]
	v_mul_f64_e32 v[20:21], v[4:5], v[20:21]
	s_wait_loadcnt_dscnt 0x900
	v_mul_f64_e32 v[177:178], v[42:43], v[24:25]
	v_mul_f64_e32 v[24:25], v[44:45], v[24:25]
	v_add_f64_e32 v[173:174], v[173:174], v[181:182]
	v_add_f64_e32 v[175:176], v[175:176], v[179:180]
	v_fma_f64 v[179:180], v[4:5], v[18:19], v[183:184]
	v_fma_f64 v[181:182], v[2:3], v[18:19], -v[20:21]
	ds_load_b128 v[2:5], v1 offset:1504
	scratch_load_b128 v[18:21], off, off offset:736
	v_fma_f64 v[44:45], v[44:45], v[22:23], v[177:178]
	v_fma_f64 v[42:43], v[42:43], v[22:23], -v[24:25]
	scratch_load_b128 v[22:25], off, off offset:752
	v_add_f64_e32 v[173:174], v[173:174], v[169:170]
	v_add_f64_e32 v[175:176], v[175:176], v[171:172]
	ds_load_b128 v[169:172], v1 offset:1520
	s_wait_loadcnt_dscnt 0xa01
	v_mul_f64_e32 v[183:184], v[2:3], v[28:29]
	v_mul_f64_e32 v[28:29], v[4:5], v[28:29]
	s_wait_loadcnt_dscnt 0x900
	v_mul_f64_e32 v[177:178], v[169:170], v[32:33]
	v_mul_f64_e32 v[32:33], v[171:172], v[32:33]
	v_add_f64_e32 v[173:174], v[173:174], v[181:182]
	v_add_f64_e32 v[175:176], v[175:176], v[179:180]
	v_fma_f64 v[179:180], v[4:5], v[26:27], v[183:184]
	v_fma_f64 v[181:182], v[2:3], v[26:27], -v[28:29]
	ds_load_b128 v[2:5], v1 offset:1536
	scratch_load_b128 v[26:29], off, off offset:768
	v_fma_f64 v[171:172], v[171:172], v[30:31], v[177:178]
	v_fma_f64 v[169:170], v[169:170], v[30:31], -v[32:33]
	scratch_load_b128 v[30:33], off, off offset:784
	v_add_f64_e32 v[173:174], v[173:174], v[42:43]
	v_add_f64_e32 v[175:176], v[175:176], v[44:45]
	ds_load_b128 v[42:45], v1 offset:1552
	s_wait_loadcnt_dscnt 0xa01
	v_mul_f64_e32 v[183:184], v[2:3], v[36:37]
	v_mul_f64_e32 v[36:37], v[4:5], v[36:37]
	s_wait_loadcnt_dscnt 0x800
	v_mul_f64_e32 v[177:178], v[42:43], v[167:168]
	v_add_f64_e32 v[173:174], v[173:174], v[181:182]
	v_add_f64_e32 v[175:176], v[175:176], v[179:180]
	v_mul_f64_e32 v[179:180], v[44:45], v[167:168]
	v_fma_f64 v[181:182], v[4:5], v[34:35], v[183:184]
	v_fma_f64 v[183:184], v[2:3], v[34:35], -v[36:37]
	ds_load_b128 v[2:5], v1 offset:1568
	scratch_load_b128 v[34:37], off, off offset:800
	v_fma_f64 v[44:45], v[44:45], v[165:166], v[177:178]
	v_add_f64_e32 v[173:174], v[173:174], v[169:170]
	v_add_f64_e32 v[171:172], v[175:176], v[171:172]
	ds_load_b128 v[167:170], v1 offset:1584
	v_fma_f64 v[165:166], v[42:43], v[165:166], -v[179:180]
	s_wait_loadcnt_dscnt 0x801
	v_mul_f64_e32 v[175:176], v[2:3], v[40:41]
	v_mul_f64_e32 v[185:186], v[4:5], v[40:41]
	scratch_load_b128 v[40:43], off, off offset:816
	s_wait_loadcnt_dscnt 0x800
	v_mul_f64_e32 v[179:180], v[167:168], v[8:9]
	v_mul_f64_e32 v[8:9], v[169:170], v[8:9]
	v_add_f64_e32 v[173:174], v[173:174], v[183:184]
	v_add_f64_e32 v[171:172], v[171:172], v[181:182]
	v_fma_f64 v[181:182], v[4:5], v[38:39], v[175:176]
	v_fma_f64 v[38:39], v[2:3], v[38:39], -v[185:186]
	ds_load_b128 v[2:5], v1 offset:1600
	ds_load_b128 v[175:178], v1 offset:1616
	v_fma_f64 v[169:170], v[169:170], v[6:7], v[179:180]
	v_fma_f64 v[167:168], v[167:168], v[6:7], -v[8:9]
	scratch_load_b128 v[6:9], off, off offset:848
	v_add_f64_e32 v[165:166], v[173:174], v[165:166]
	v_add_f64_e32 v[44:45], v[171:172], v[44:45]
	scratch_load_b128 v[171:174], off, off offset:832
	s_wait_loadcnt_dscnt 0x901
	v_mul_f64_e32 v[183:184], v[2:3], v[12:13]
	v_mul_f64_e32 v[12:13], v[4:5], v[12:13]
	s_wait_loadcnt_dscnt 0x800
	v_mul_f64_e32 v[179:180], v[175:176], v[16:17]
	v_mul_f64_e32 v[16:17], v[177:178], v[16:17]
	v_add_f64_e32 v[38:39], v[165:166], v[38:39]
	v_add_f64_e32 v[44:45], v[44:45], v[181:182]
	v_fma_f64 v[181:182], v[4:5], v[10:11], v[183:184]
	v_fma_f64 v[183:184], v[2:3], v[10:11], -v[12:13]
	ds_load_b128 v[2:5], v1 offset:1632
	scratch_load_b128 v[10:13], off, off offset:864
	v_fma_f64 v[177:178], v[177:178], v[14:15], v[179:180]
	v_fma_f64 v[175:176], v[175:176], v[14:15], -v[16:17]
	scratch_load_b128 v[14:17], off, off offset:880
	v_add_f64_e32 v[38:39], v[38:39], v[167:168]
	v_add_f64_e32 v[44:45], v[44:45], v[169:170]
	ds_load_b128 v[165:168], v1 offset:1648
	s_wait_loadcnt_dscnt 0x901
	v_mul_f64_e32 v[169:170], v[2:3], v[20:21]
	v_mul_f64_e32 v[20:21], v[4:5], v[20:21]
	s_wait_loadcnt_dscnt 0x800
	v_mul_f64_e32 v[179:180], v[165:166], v[24:25]
	v_mul_f64_e32 v[24:25], v[167:168], v[24:25]
	v_add_f64_e32 v[38:39], v[38:39], v[183:184]
	v_add_f64_e32 v[44:45], v[44:45], v[181:182]
	v_fma_f64 v[169:170], v[4:5], v[18:19], v[169:170]
	v_fma_f64 v[181:182], v[2:3], v[18:19], -v[20:21]
	ds_load_b128 v[2:5], v1 offset:1664
	scratch_load_b128 v[18:21], off, off offset:896
	v_fma_f64 v[167:168], v[167:168], v[22:23], v[179:180]
	v_fma_f64 v[165:166], v[165:166], v[22:23], -v[24:25]
	scratch_load_b128 v[22:25], off, off offset:912
	v_add_f64_e32 v[38:39], v[38:39], v[175:176]
	v_add_f64_e32 v[44:45], v[44:45], v[177:178]
	ds_load_b128 v[175:178], v1 offset:1680
	s_wait_loadcnt_dscnt 0x901
	v_mul_f64_e32 v[183:184], v[2:3], v[28:29]
	v_mul_f64_e32 v[28:29], v[4:5], v[28:29]
	v_add_f64_e32 v[38:39], v[38:39], v[181:182]
	v_add_f64_e32 v[44:45], v[44:45], v[169:170]
	s_wait_loadcnt_dscnt 0x800
	v_mul_f64_e32 v[169:170], v[175:176], v[32:33]
	v_mul_f64_e32 v[32:33], v[177:178], v[32:33]
	v_fma_f64 v[179:180], v[4:5], v[26:27], v[183:184]
	v_fma_f64 v[181:182], v[2:3], v[26:27], -v[28:29]
	ds_load_b128 v[2:5], v1 offset:1696
	ds_load_b128 v[26:29], v1 offset:1712
	v_add_f64_e32 v[38:39], v[38:39], v[165:166]
	v_add_f64_e32 v[44:45], v[44:45], v[167:168]
	s_wait_loadcnt_dscnt 0x701
	v_mul_f64_e32 v[165:166], v[2:3], v[36:37]
	v_mul_f64_e32 v[36:37], v[4:5], v[36:37]
	v_fma_f64 v[167:168], v[177:178], v[30:31], v[169:170]
	v_fma_f64 v[30:31], v[175:176], v[30:31], -v[32:33]
	v_add_f64_e32 v[32:33], v[38:39], v[181:182]
	v_add_f64_e32 v[38:39], v[44:45], v[179:180]
	s_wait_loadcnt_dscnt 0x600
	v_mul_f64_e32 v[44:45], v[26:27], v[42:43]
	v_mul_f64_e32 v[42:43], v[28:29], v[42:43]
	v_fma_f64 v[165:166], v[4:5], v[34:35], v[165:166]
	v_fma_f64 v[34:35], v[2:3], v[34:35], -v[36:37]
	v_add_f64_e32 v[36:37], v[32:33], v[30:31]
	v_add_f64_e32 v[38:39], v[38:39], v[167:168]
	ds_load_b128 v[2:5], v1 offset:1728
	ds_load_b128 v[30:33], v1 offset:1744
	v_fma_f64 v[28:29], v[28:29], v[40:41], v[44:45]
	v_fma_f64 v[26:27], v[26:27], v[40:41], -v[42:43]
	s_wait_loadcnt_dscnt 0x401
	v_mul_f64_e32 v[167:168], v[2:3], v[173:174]
	v_mul_f64_e32 v[169:170], v[4:5], v[173:174]
	v_add_f64_e32 v[34:35], v[36:37], v[34:35]
	v_add_f64_e32 v[36:37], v[38:39], v[165:166]
	s_wait_dscnt 0x0
	v_mul_f64_e32 v[38:39], v[30:31], v[8:9]
	v_mul_f64_e32 v[8:9], v[32:33], v[8:9]
	v_fma_f64 v[40:41], v[4:5], v[171:172], v[167:168]
	v_fma_f64 v[42:43], v[2:3], v[171:172], -v[169:170]
	v_add_f64_e32 v[34:35], v[34:35], v[26:27]
	v_add_f64_e32 v[36:37], v[36:37], v[28:29]
	ds_load_b128 v[2:5], v1 offset:1760
	ds_load_b128 v[26:29], v1 offset:1776
	v_fma_f64 v[32:33], v[32:33], v[6:7], v[38:39]
	v_fma_f64 v[6:7], v[30:31], v[6:7], -v[8:9]
	s_wait_loadcnt_dscnt 0x301
	v_mul_f64_e32 v[44:45], v[2:3], v[12:13]
	v_mul_f64_e32 v[12:13], v[4:5], v[12:13]
	v_add_f64_e32 v[8:9], v[34:35], v[42:43]
	v_add_f64_e32 v[30:31], v[36:37], v[40:41]
	s_wait_loadcnt_dscnt 0x200
	v_mul_f64_e32 v[34:35], v[26:27], v[16:17]
	v_mul_f64_e32 v[16:17], v[28:29], v[16:17]
	v_fma_f64 v[36:37], v[4:5], v[10:11], v[44:45]
	v_fma_f64 v[10:11], v[2:3], v[10:11], -v[12:13]
	v_add_f64_e32 v[12:13], v[8:9], v[6:7]
	v_add_f64_e32 v[30:31], v[30:31], v[32:33]
	ds_load_b128 v[2:5], v1 offset:1792
	ds_load_b128 v[6:9], v1 offset:1808
	v_fma_f64 v[28:29], v[28:29], v[14:15], v[34:35]
	v_fma_f64 v[14:15], v[26:27], v[14:15], -v[16:17]
	s_wait_loadcnt_dscnt 0x101
	v_mul_f64_e32 v[32:33], v[2:3], v[20:21]
	v_mul_f64_e32 v[20:21], v[4:5], v[20:21]
	s_wait_loadcnt_dscnt 0x0
	v_mul_f64_e32 v[16:17], v[6:7], v[24:25]
	v_mul_f64_e32 v[24:25], v[8:9], v[24:25]
	v_add_f64_e32 v[10:11], v[12:13], v[10:11]
	v_add_f64_e32 v[12:13], v[30:31], v[36:37]
	v_fma_f64 v[4:5], v[4:5], v[18:19], v[32:33]
	v_fma_f64 v[1:2], v[2:3], v[18:19], -v[20:21]
	v_fma_f64 v[8:9], v[8:9], v[22:23], v[16:17]
	v_fma_f64 v[6:7], v[6:7], v[22:23], -v[24:25]
	v_add_f64_e32 v[10:11], v[10:11], v[14:15]
	v_add_f64_e32 v[12:13], v[12:13], v[28:29]
	s_delay_alu instid0(VALU_DEP_2) | instskip(NEXT) | instid1(VALU_DEP_2)
	v_add_f64_e32 v[1:2], v[10:11], v[1:2]
	v_add_f64_e32 v[3:4], v[12:13], v[4:5]
	s_delay_alu instid0(VALU_DEP_2) | instskip(NEXT) | instid1(VALU_DEP_2)
	;; [unrolled: 3-line block ×3, first 2 shown]
	v_add_f64_e64 v[1:2], v[161:162], -v[1:2]
	v_add_f64_e64 v[3:4], v[163:164], -v[3:4]
	scratch_store_b128 off, v[1:4], off offset:496
	v_cmpx_lt_u32_e32 29, v0
	s_cbranch_execz .LBB56_297
; %bb.296:
	scratch_load_b128 v[1:4], off, s41
	v_mov_b32_e32 v5, 0
	s_delay_alu instid0(VALU_DEP_1)
	v_dual_mov_b32 v6, v5 :: v_dual_mov_b32 v7, v5
	v_mov_b32_e32 v8, v5
	scratch_store_b128 off, v[5:8], off offset:480
	s_wait_loadcnt 0x0
	ds_store_b128 v160, v[1:4]
.LBB56_297:
	s_wait_alu 0xfffe
	s_or_b32 exec_lo, exec_lo, s0
	s_wait_storecnt_dscnt 0x0
	s_barrier_signal -1
	s_barrier_wait -1
	global_inv scope:SCOPE_SE
	s_clause 0x7
	scratch_load_b128 v[2:5], off, off offset:496
	scratch_load_b128 v[6:9], off, off offset:512
	;; [unrolled: 1-line block ×8, first 2 shown]
	v_mov_b32_e32 v1, 0
	s_mov_b32 s0, exec_lo
	ds_load_b128 v[34:37], v1 offset:1392
	s_clause 0x1
	scratch_load_b128 v[38:41], off, off offset:624
	scratch_load_b128 v[42:45], off, off offset:480
	ds_load_b128 v[161:164], v1 offset:1408
	scratch_load_b128 v[165:168], off, off offset:640
	s_wait_loadcnt_dscnt 0xa01
	v_mul_f64_e32 v[169:170], v[36:37], v[4:5]
	v_mul_f64_e32 v[4:5], v[34:35], v[4:5]
	s_delay_alu instid0(VALU_DEP_2) | instskip(NEXT) | instid1(VALU_DEP_2)
	v_fma_f64 v[175:176], v[34:35], v[2:3], -v[169:170]
	v_fma_f64 v[177:178], v[36:37], v[2:3], v[4:5]
	ds_load_b128 v[2:5], v1 offset:1424
	s_wait_loadcnt_dscnt 0x901
	v_mul_f64_e32 v[173:174], v[161:162], v[8:9]
	v_mul_f64_e32 v[8:9], v[163:164], v[8:9]
	scratch_load_b128 v[34:37], off, off offset:656
	ds_load_b128 v[169:172], v1 offset:1440
	s_wait_loadcnt_dscnt 0x901
	v_mul_f64_e32 v[179:180], v[2:3], v[12:13]
	v_mul_f64_e32 v[12:13], v[4:5], v[12:13]
	v_fma_f64 v[163:164], v[163:164], v[6:7], v[173:174]
	v_fma_f64 v[161:162], v[161:162], v[6:7], -v[8:9]
	v_add_f64_e32 v[173:174], 0, v[175:176]
	v_add_f64_e32 v[175:176], 0, v[177:178]
	scratch_load_b128 v[6:9], off, off offset:672
	v_fma_f64 v[179:180], v[4:5], v[10:11], v[179:180]
	v_fma_f64 v[181:182], v[2:3], v[10:11], -v[12:13]
	ds_load_b128 v[2:5], v1 offset:1456
	s_wait_loadcnt_dscnt 0x901
	v_mul_f64_e32 v[177:178], v[169:170], v[16:17]
	v_mul_f64_e32 v[16:17], v[171:172], v[16:17]
	scratch_load_b128 v[10:13], off, off offset:688
	v_add_f64_e32 v[173:174], v[173:174], v[161:162]
	v_add_f64_e32 v[175:176], v[175:176], v[163:164]
	s_wait_loadcnt_dscnt 0x900
	v_mul_f64_e32 v[183:184], v[2:3], v[20:21]
	v_mul_f64_e32 v[20:21], v[4:5], v[20:21]
	ds_load_b128 v[161:164], v1 offset:1472
	v_fma_f64 v[171:172], v[171:172], v[14:15], v[177:178]
	v_fma_f64 v[169:170], v[169:170], v[14:15], -v[16:17]
	scratch_load_b128 v[14:17], off, off offset:704
	v_add_f64_e32 v[173:174], v[173:174], v[181:182]
	v_add_f64_e32 v[175:176], v[175:176], v[179:180]
	v_fma_f64 v[179:180], v[4:5], v[18:19], v[183:184]
	v_fma_f64 v[181:182], v[2:3], v[18:19], -v[20:21]
	ds_load_b128 v[2:5], v1 offset:1488
	s_wait_loadcnt_dscnt 0x901
	v_mul_f64_e32 v[177:178], v[161:162], v[24:25]
	v_mul_f64_e32 v[24:25], v[163:164], v[24:25]
	scratch_load_b128 v[18:21], off, off offset:720
	s_wait_loadcnt_dscnt 0x900
	v_mul_f64_e32 v[183:184], v[2:3], v[28:29]
	v_mul_f64_e32 v[28:29], v[4:5], v[28:29]
	v_add_f64_e32 v[173:174], v[173:174], v[169:170]
	v_add_f64_e32 v[175:176], v[175:176], v[171:172]
	ds_load_b128 v[169:172], v1 offset:1504
	v_fma_f64 v[163:164], v[163:164], v[22:23], v[177:178]
	v_fma_f64 v[161:162], v[161:162], v[22:23], -v[24:25]
	scratch_load_b128 v[22:25], off, off offset:736
	v_add_f64_e32 v[173:174], v[173:174], v[181:182]
	v_add_f64_e32 v[175:176], v[175:176], v[179:180]
	v_fma_f64 v[179:180], v[4:5], v[26:27], v[183:184]
	v_fma_f64 v[181:182], v[2:3], v[26:27], -v[28:29]
	ds_load_b128 v[2:5], v1 offset:1520
	s_wait_loadcnt_dscnt 0x901
	v_mul_f64_e32 v[177:178], v[169:170], v[32:33]
	v_mul_f64_e32 v[32:33], v[171:172], v[32:33]
	scratch_load_b128 v[26:29], off, off offset:752
	s_wait_loadcnt_dscnt 0x900
	v_mul_f64_e32 v[183:184], v[2:3], v[40:41]
	v_mul_f64_e32 v[40:41], v[4:5], v[40:41]
	v_add_f64_e32 v[173:174], v[173:174], v[161:162]
	v_add_f64_e32 v[175:176], v[175:176], v[163:164]
	ds_load_b128 v[161:164], v1 offset:1536
	v_fma_f64 v[171:172], v[171:172], v[30:31], v[177:178]
	v_fma_f64 v[169:170], v[169:170], v[30:31], -v[32:33]
	scratch_load_b128 v[30:33], off, off offset:768
	v_add_f64_e32 v[173:174], v[173:174], v[181:182]
	v_add_f64_e32 v[175:176], v[175:176], v[179:180]
	v_fma_f64 v[181:182], v[4:5], v[38:39], v[183:184]
	v_fma_f64 v[183:184], v[2:3], v[38:39], -v[40:41]
	ds_load_b128 v[2:5], v1 offset:1552
	s_wait_loadcnt_dscnt 0x801
	v_mul_f64_e32 v[177:178], v[161:162], v[167:168]
	v_mul_f64_e32 v[179:180], v[163:164], v[167:168]
	scratch_load_b128 v[38:41], off, off offset:784
	v_add_f64_e32 v[173:174], v[173:174], v[169:170]
	v_add_f64_e32 v[171:172], v[175:176], v[171:172]
	ds_load_b128 v[167:170], v1 offset:1568
	v_fma_f64 v[177:178], v[163:164], v[165:166], v[177:178]
	v_fma_f64 v[165:166], v[161:162], v[165:166], -v[179:180]
	scratch_load_b128 v[161:164], off, off offset:800
	s_wait_loadcnt_dscnt 0x901
	v_mul_f64_e32 v[175:176], v[2:3], v[36:37]
	v_mul_f64_e32 v[36:37], v[4:5], v[36:37]
	v_add_f64_e32 v[173:174], v[173:174], v[183:184]
	v_add_f64_e32 v[171:172], v[171:172], v[181:182]
	s_delay_alu instid0(VALU_DEP_4) | instskip(NEXT) | instid1(VALU_DEP_4)
	v_fma_f64 v[175:176], v[4:5], v[34:35], v[175:176]
	v_fma_f64 v[181:182], v[2:3], v[34:35], -v[36:37]
	ds_load_b128 v[2:5], v1 offset:1584
	s_wait_loadcnt_dscnt 0x801
	v_mul_f64_e32 v[179:180], v[167:168], v[8:9]
	v_mul_f64_e32 v[8:9], v[169:170], v[8:9]
	scratch_load_b128 v[34:37], off, off offset:816
	s_wait_loadcnt_dscnt 0x800
	v_mul_f64_e32 v[183:184], v[2:3], v[12:13]
	v_add_f64_e32 v[165:166], v[173:174], v[165:166]
	v_add_f64_e32 v[177:178], v[171:172], v[177:178]
	v_mul_f64_e32 v[12:13], v[4:5], v[12:13]
	ds_load_b128 v[171:174], v1 offset:1600
	v_fma_f64 v[169:170], v[169:170], v[6:7], v[179:180]
	v_fma_f64 v[167:168], v[167:168], v[6:7], -v[8:9]
	scratch_load_b128 v[6:9], off, off offset:832
	v_fma_f64 v[179:180], v[4:5], v[10:11], v[183:184]
	v_add_f64_e32 v[165:166], v[165:166], v[181:182]
	v_add_f64_e32 v[175:176], v[177:178], v[175:176]
	v_fma_f64 v[181:182], v[2:3], v[10:11], -v[12:13]
	ds_load_b128 v[2:5], v1 offset:1616
	s_wait_loadcnt_dscnt 0x801
	v_mul_f64_e32 v[177:178], v[171:172], v[16:17]
	v_mul_f64_e32 v[16:17], v[173:174], v[16:17]
	scratch_load_b128 v[10:13], off, off offset:848
	v_add_f64_e32 v[183:184], v[165:166], v[167:168]
	v_add_f64_e32 v[169:170], v[175:176], v[169:170]
	s_wait_loadcnt_dscnt 0x800
	v_mul_f64_e32 v[175:176], v[2:3], v[20:21]
	v_mul_f64_e32 v[20:21], v[4:5], v[20:21]
	v_fma_f64 v[173:174], v[173:174], v[14:15], v[177:178]
	v_fma_f64 v[171:172], v[171:172], v[14:15], -v[16:17]
	ds_load_b128 v[165:168], v1 offset:1632
	scratch_load_b128 v[14:17], off, off offset:864
	v_add_f64_e32 v[177:178], v[183:184], v[181:182]
	v_add_f64_e32 v[169:170], v[169:170], v[179:180]
	v_fma_f64 v[175:176], v[4:5], v[18:19], v[175:176]
	v_fma_f64 v[181:182], v[2:3], v[18:19], -v[20:21]
	ds_load_b128 v[2:5], v1 offset:1648
	s_wait_loadcnt_dscnt 0x801
	v_mul_f64_e32 v[179:180], v[165:166], v[24:25]
	v_mul_f64_e32 v[24:25], v[167:168], v[24:25]
	scratch_load_b128 v[18:21], off, off offset:880
	s_wait_loadcnt_dscnt 0x800
	v_mul_f64_e32 v[183:184], v[2:3], v[28:29]
	v_mul_f64_e32 v[28:29], v[4:5], v[28:29]
	v_add_f64_e32 v[177:178], v[177:178], v[171:172]
	v_add_f64_e32 v[173:174], v[169:170], v[173:174]
	ds_load_b128 v[169:172], v1 offset:1664
	v_fma_f64 v[167:168], v[167:168], v[22:23], v[179:180]
	v_fma_f64 v[165:166], v[165:166], v[22:23], -v[24:25]
	scratch_load_b128 v[22:25], off, off offset:896
	v_fma_f64 v[179:180], v[4:5], v[26:27], v[183:184]
	v_add_f64_e32 v[177:178], v[177:178], v[181:182]
	v_add_f64_e32 v[173:174], v[173:174], v[175:176]
	v_fma_f64 v[181:182], v[2:3], v[26:27], -v[28:29]
	ds_load_b128 v[2:5], v1 offset:1680
	s_wait_loadcnt_dscnt 0x801
	v_mul_f64_e32 v[175:176], v[169:170], v[32:33]
	v_mul_f64_e32 v[32:33], v[171:172], v[32:33]
	scratch_load_b128 v[26:29], off, off offset:912
	s_wait_loadcnt_dscnt 0x800
	v_mul_f64_e32 v[183:184], v[2:3], v[40:41]
	v_mul_f64_e32 v[40:41], v[4:5], v[40:41]
	v_add_f64_e32 v[177:178], v[177:178], v[165:166]
	v_add_f64_e32 v[173:174], v[173:174], v[167:168]
	ds_load_b128 v[165:168], v1 offset:1696
	v_fma_f64 v[171:172], v[171:172], v[30:31], v[175:176]
	v_fma_f64 v[30:31], v[169:170], v[30:31], -v[32:33]
	v_fma_f64 v[175:176], v[4:5], v[38:39], v[183:184]
	v_fma_f64 v[38:39], v[2:3], v[38:39], -v[40:41]
	v_add_f64_e32 v[32:33], v[177:178], v[181:182]
	v_add_f64_e32 v[169:170], v[173:174], v[179:180]
	s_wait_loadcnt_dscnt 0x700
	v_mul_f64_e32 v[173:174], v[165:166], v[163:164]
	v_mul_f64_e32 v[163:164], v[167:168], v[163:164]
	s_delay_alu instid0(VALU_DEP_4) | instskip(NEXT) | instid1(VALU_DEP_4)
	v_add_f64_e32 v[40:41], v[32:33], v[30:31]
	v_add_f64_e32 v[169:170], v[169:170], v[171:172]
	ds_load_b128 v[2:5], v1 offset:1712
	ds_load_b128 v[30:33], v1 offset:1728
	v_fma_f64 v[167:168], v[167:168], v[161:162], v[173:174]
	v_fma_f64 v[161:162], v[165:166], v[161:162], -v[163:164]
	s_wait_loadcnt_dscnt 0x601
	v_mul_f64_e32 v[171:172], v[2:3], v[36:37]
	v_mul_f64_e32 v[36:37], v[4:5], v[36:37]
	s_wait_loadcnt_dscnt 0x500
	v_mul_f64_e32 v[163:164], v[30:31], v[8:9]
	v_mul_f64_e32 v[8:9], v[32:33], v[8:9]
	v_add_f64_e32 v[38:39], v[40:41], v[38:39]
	v_add_f64_e32 v[40:41], v[169:170], v[175:176]
	v_fma_f64 v[165:166], v[4:5], v[34:35], v[171:172]
	v_fma_f64 v[169:170], v[2:3], v[34:35], -v[36:37]
	ds_load_b128 v[2:5], v1 offset:1744
	ds_load_b128 v[34:37], v1 offset:1760
	v_fma_f64 v[32:33], v[32:33], v[6:7], v[163:164]
	v_fma_f64 v[6:7], v[30:31], v[6:7], -v[8:9]
	v_add_f64_e32 v[38:39], v[38:39], v[161:162]
	v_add_f64_e32 v[40:41], v[40:41], v[167:168]
	s_wait_loadcnt_dscnt 0x401
	v_mul_f64_e32 v[161:162], v[2:3], v[12:13]
	v_mul_f64_e32 v[12:13], v[4:5], v[12:13]
	s_delay_alu instid0(VALU_DEP_4) | instskip(NEXT) | instid1(VALU_DEP_4)
	v_add_f64_e32 v[8:9], v[38:39], v[169:170]
	v_add_f64_e32 v[30:31], v[40:41], v[165:166]
	s_wait_loadcnt_dscnt 0x300
	v_mul_f64_e32 v[38:39], v[34:35], v[16:17]
	v_mul_f64_e32 v[16:17], v[36:37], v[16:17]
	v_fma_f64 v[40:41], v[4:5], v[10:11], v[161:162]
	v_fma_f64 v[10:11], v[2:3], v[10:11], -v[12:13]
	v_add_f64_e32 v[12:13], v[8:9], v[6:7]
	v_add_f64_e32 v[30:31], v[30:31], v[32:33]
	ds_load_b128 v[2:5], v1 offset:1776
	ds_load_b128 v[6:9], v1 offset:1792
	v_fma_f64 v[36:37], v[36:37], v[14:15], v[38:39]
	v_fma_f64 v[14:15], v[34:35], v[14:15], -v[16:17]
	s_wait_loadcnt_dscnt 0x201
	v_mul_f64_e32 v[32:33], v[2:3], v[20:21]
	v_mul_f64_e32 v[20:21], v[4:5], v[20:21]
	s_wait_loadcnt_dscnt 0x100
	v_mul_f64_e32 v[16:17], v[6:7], v[24:25]
	v_mul_f64_e32 v[24:25], v[8:9], v[24:25]
	v_add_f64_e32 v[10:11], v[12:13], v[10:11]
	v_add_f64_e32 v[12:13], v[30:31], v[40:41]
	v_fma_f64 v[30:31], v[4:5], v[18:19], v[32:33]
	v_fma_f64 v[18:19], v[2:3], v[18:19], -v[20:21]
	ds_load_b128 v[2:5], v1 offset:1808
	v_fma_f64 v[8:9], v[8:9], v[22:23], v[16:17]
	v_fma_f64 v[6:7], v[6:7], v[22:23], -v[24:25]
	v_add_f64_e32 v[10:11], v[10:11], v[14:15]
	v_add_f64_e32 v[12:13], v[12:13], v[36:37]
	s_wait_loadcnt_dscnt 0x0
	v_mul_f64_e32 v[14:15], v[2:3], v[28:29]
	v_mul_f64_e32 v[20:21], v[4:5], v[28:29]
	s_delay_alu instid0(VALU_DEP_4) | instskip(NEXT) | instid1(VALU_DEP_4)
	v_add_f64_e32 v[10:11], v[10:11], v[18:19]
	v_add_f64_e32 v[12:13], v[12:13], v[30:31]
	s_delay_alu instid0(VALU_DEP_4) | instskip(NEXT) | instid1(VALU_DEP_4)
	v_fma_f64 v[4:5], v[4:5], v[26:27], v[14:15]
	v_fma_f64 v[2:3], v[2:3], v[26:27], -v[20:21]
	s_delay_alu instid0(VALU_DEP_4) | instskip(NEXT) | instid1(VALU_DEP_4)
	v_add_f64_e32 v[6:7], v[10:11], v[6:7]
	v_add_f64_e32 v[8:9], v[12:13], v[8:9]
	s_delay_alu instid0(VALU_DEP_2) | instskip(NEXT) | instid1(VALU_DEP_2)
	v_add_f64_e32 v[2:3], v[6:7], v[2:3]
	v_add_f64_e32 v[4:5], v[8:9], v[4:5]
	s_delay_alu instid0(VALU_DEP_2) | instskip(NEXT) | instid1(VALU_DEP_2)
	v_add_f64_e64 v[2:3], v[42:43], -v[2:3]
	v_add_f64_e64 v[4:5], v[44:45], -v[4:5]
	scratch_store_b128 off, v[2:5], off offset:480
	v_cmpx_lt_u32_e32 28, v0
	s_cbranch_execz .LBB56_299
; %bb.298:
	scratch_load_b128 v[5:8], off, s42
	v_dual_mov_b32 v2, v1 :: v_dual_mov_b32 v3, v1
	v_mov_b32_e32 v4, v1
	scratch_store_b128 off, v[1:4], off offset:464
	s_wait_loadcnt 0x0
	ds_store_b128 v160, v[5:8]
.LBB56_299:
	s_wait_alu 0xfffe
	s_or_b32 exec_lo, exec_lo, s0
	s_wait_storecnt_dscnt 0x0
	s_barrier_signal -1
	s_barrier_wait -1
	global_inv scope:SCOPE_SE
	s_clause 0x8
	scratch_load_b128 v[2:5], off, off offset:480
	scratch_load_b128 v[6:9], off, off offset:496
	;; [unrolled: 1-line block ×9, first 2 shown]
	ds_load_b128 v[38:41], v1 offset:1376
	ds_load_b128 v[42:45], v1 offset:1392
	s_clause 0x1
	scratch_load_b128 v[161:164], off, off offset:464
	scratch_load_b128 v[165:168], off, off offset:624
	s_mov_b32 s0, exec_lo
	s_wait_loadcnt_dscnt 0xa01
	v_mul_f64_e32 v[169:170], v[40:41], v[4:5]
	v_mul_f64_e32 v[4:5], v[38:39], v[4:5]
	s_wait_loadcnt_dscnt 0x900
	v_mul_f64_e32 v[173:174], v[42:43], v[8:9]
	v_mul_f64_e32 v[8:9], v[44:45], v[8:9]
	s_delay_alu instid0(VALU_DEP_4) | instskip(NEXT) | instid1(VALU_DEP_4)
	v_fma_f64 v[175:176], v[38:39], v[2:3], -v[169:170]
	v_fma_f64 v[177:178], v[40:41], v[2:3], v[4:5]
	ds_load_b128 v[2:5], v1 offset:1408
	ds_load_b128 v[169:172], v1 offset:1424
	scratch_load_b128 v[38:41], off, off offset:640
	v_fma_f64 v[44:45], v[44:45], v[6:7], v[173:174]
	v_fma_f64 v[42:43], v[42:43], v[6:7], -v[8:9]
	scratch_load_b128 v[6:9], off, off offset:656
	s_wait_loadcnt_dscnt 0xa01
	v_mul_f64_e32 v[179:180], v[2:3], v[12:13]
	v_mul_f64_e32 v[12:13], v[4:5], v[12:13]
	v_add_f64_e32 v[173:174], 0, v[175:176]
	v_add_f64_e32 v[175:176], 0, v[177:178]
	s_wait_loadcnt_dscnt 0x900
	v_mul_f64_e32 v[177:178], v[169:170], v[16:17]
	v_mul_f64_e32 v[16:17], v[171:172], v[16:17]
	v_fma_f64 v[179:180], v[4:5], v[10:11], v[179:180]
	v_fma_f64 v[181:182], v[2:3], v[10:11], -v[12:13]
	ds_load_b128 v[2:5], v1 offset:1440
	scratch_load_b128 v[10:13], off, off offset:672
	v_add_f64_e32 v[173:174], v[173:174], v[42:43]
	v_add_f64_e32 v[175:176], v[175:176], v[44:45]
	ds_load_b128 v[42:45], v1 offset:1456
	v_fma_f64 v[171:172], v[171:172], v[14:15], v[177:178]
	v_fma_f64 v[169:170], v[169:170], v[14:15], -v[16:17]
	scratch_load_b128 v[14:17], off, off offset:688
	s_wait_loadcnt_dscnt 0xa01
	v_mul_f64_e32 v[183:184], v[2:3], v[20:21]
	v_mul_f64_e32 v[20:21], v[4:5], v[20:21]
	s_wait_loadcnt_dscnt 0x900
	v_mul_f64_e32 v[177:178], v[42:43], v[24:25]
	v_mul_f64_e32 v[24:25], v[44:45], v[24:25]
	v_add_f64_e32 v[173:174], v[173:174], v[181:182]
	v_add_f64_e32 v[175:176], v[175:176], v[179:180]
	v_fma_f64 v[179:180], v[4:5], v[18:19], v[183:184]
	v_fma_f64 v[181:182], v[2:3], v[18:19], -v[20:21]
	ds_load_b128 v[2:5], v1 offset:1472
	scratch_load_b128 v[18:21], off, off offset:704
	v_fma_f64 v[44:45], v[44:45], v[22:23], v[177:178]
	v_fma_f64 v[42:43], v[42:43], v[22:23], -v[24:25]
	scratch_load_b128 v[22:25], off, off offset:720
	v_add_f64_e32 v[173:174], v[173:174], v[169:170]
	v_add_f64_e32 v[175:176], v[175:176], v[171:172]
	ds_load_b128 v[169:172], v1 offset:1488
	s_wait_loadcnt_dscnt 0xa01
	v_mul_f64_e32 v[183:184], v[2:3], v[28:29]
	v_mul_f64_e32 v[28:29], v[4:5], v[28:29]
	s_wait_loadcnt_dscnt 0x900
	v_mul_f64_e32 v[177:178], v[169:170], v[32:33]
	v_mul_f64_e32 v[32:33], v[171:172], v[32:33]
	v_add_f64_e32 v[173:174], v[173:174], v[181:182]
	v_add_f64_e32 v[175:176], v[175:176], v[179:180]
	v_fma_f64 v[179:180], v[4:5], v[26:27], v[183:184]
	v_fma_f64 v[181:182], v[2:3], v[26:27], -v[28:29]
	ds_load_b128 v[2:5], v1 offset:1504
	scratch_load_b128 v[26:29], off, off offset:736
	v_fma_f64 v[171:172], v[171:172], v[30:31], v[177:178]
	v_fma_f64 v[169:170], v[169:170], v[30:31], -v[32:33]
	scratch_load_b128 v[30:33], off, off offset:752
	v_add_f64_e32 v[173:174], v[173:174], v[42:43]
	v_add_f64_e32 v[175:176], v[175:176], v[44:45]
	ds_load_b128 v[42:45], v1 offset:1520
	s_wait_loadcnt_dscnt 0xa01
	v_mul_f64_e32 v[183:184], v[2:3], v[36:37]
	v_mul_f64_e32 v[36:37], v[4:5], v[36:37]
	s_wait_loadcnt_dscnt 0x800
	v_mul_f64_e32 v[177:178], v[42:43], v[167:168]
	v_add_f64_e32 v[173:174], v[173:174], v[181:182]
	v_add_f64_e32 v[175:176], v[175:176], v[179:180]
	v_mul_f64_e32 v[179:180], v[44:45], v[167:168]
	v_fma_f64 v[181:182], v[4:5], v[34:35], v[183:184]
	v_fma_f64 v[183:184], v[2:3], v[34:35], -v[36:37]
	ds_load_b128 v[2:5], v1 offset:1536
	scratch_load_b128 v[34:37], off, off offset:768
	v_fma_f64 v[44:45], v[44:45], v[165:166], v[177:178]
	v_add_f64_e32 v[173:174], v[173:174], v[169:170]
	v_add_f64_e32 v[171:172], v[175:176], v[171:172]
	ds_load_b128 v[167:170], v1 offset:1552
	v_fma_f64 v[165:166], v[42:43], v[165:166], -v[179:180]
	s_wait_loadcnt_dscnt 0x801
	v_mul_f64_e32 v[175:176], v[2:3], v[40:41]
	v_mul_f64_e32 v[185:186], v[4:5], v[40:41]
	scratch_load_b128 v[40:43], off, off offset:784
	s_wait_loadcnt_dscnt 0x800
	v_mul_f64_e32 v[179:180], v[167:168], v[8:9]
	v_mul_f64_e32 v[8:9], v[169:170], v[8:9]
	v_add_f64_e32 v[173:174], v[173:174], v[183:184]
	v_add_f64_e32 v[171:172], v[171:172], v[181:182]
	v_fma_f64 v[181:182], v[4:5], v[38:39], v[175:176]
	v_fma_f64 v[38:39], v[2:3], v[38:39], -v[185:186]
	ds_load_b128 v[2:5], v1 offset:1568
	ds_load_b128 v[175:178], v1 offset:1584
	v_fma_f64 v[169:170], v[169:170], v[6:7], v[179:180]
	v_fma_f64 v[167:168], v[167:168], v[6:7], -v[8:9]
	scratch_load_b128 v[6:9], off, off offset:816
	v_add_f64_e32 v[165:166], v[173:174], v[165:166]
	v_add_f64_e32 v[44:45], v[171:172], v[44:45]
	scratch_load_b128 v[171:174], off, off offset:800
	s_wait_loadcnt_dscnt 0x901
	v_mul_f64_e32 v[183:184], v[2:3], v[12:13]
	v_mul_f64_e32 v[12:13], v[4:5], v[12:13]
	s_wait_loadcnt_dscnt 0x800
	v_mul_f64_e32 v[179:180], v[175:176], v[16:17]
	v_mul_f64_e32 v[16:17], v[177:178], v[16:17]
	v_add_f64_e32 v[38:39], v[165:166], v[38:39]
	v_add_f64_e32 v[44:45], v[44:45], v[181:182]
	v_fma_f64 v[181:182], v[4:5], v[10:11], v[183:184]
	v_fma_f64 v[183:184], v[2:3], v[10:11], -v[12:13]
	ds_load_b128 v[2:5], v1 offset:1600
	scratch_load_b128 v[10:13], off, off offset:832
	v_fma_f64 v[177:178], v[177:178], v[14:15], v[179:180]
	v_fma_f64 v[175:176], v[175:176], v[14:15], -v[16:17]
	scratch_load_b128 v[14:17], off, off offset:848
	v_add_f64_e32 v[38:39], v[38:39], v[167:168]
	v_add_f64_e32 v[44:45], v[44:45], v[169:170]
	ds_load_b128 v[165:168], v1 offset:1616
	s_wait_loadcnt_dscnt 0x901
	v_mul_f64_e32 v[169:170], v[2:3], v[20:21]
	v_mul_f64_e32 v[20:21], v[4:5], v[20:21]
	s_wait_loadcnt_dscnt 0x800
	v_mul_f64_e32 v[179:180], v[165:166], v[24:25]
	v_mul_f64_e32 v[24:25], v[167:168], v[24:25]
	v_add_f64_e32 v[38:39], v[38:39], v[183:184]
	v_add_f64_e32 v[44:45], v[44:45], v[181:182]
	v_fma_f64 v[169:170], v[4:5], v[18:19], v[169:170]
	v_fma_f64 v[181:182], v[2:3], v[18:19], -v[20:21]
	ds_load_b128 v[2:5], v1 offset:1632
	scratch_load_b128 v[18:21], off, off offset:864
	v_fma_f64 v[167:168], v[167:168], v[22:23], v[179:180]
	v_fma_f64 v[165:166], v[165:166], v[22:23], -v[24:25]
	scratch_load_b128 v[22:25], off, off offset:880
	v_add_f64_e32 v[38:39], v[38:39], v[175:176]
	v_add_f64_e32 v[44:45], v[44:45], v[177:178]
	ds_load_b128 v[175:178], v1 offset:1648
	s_wait_loadcnt_dscnt 0x901
	v_mul_f64_e32 v[183:184], v[2:3], v[28:29]
	v_mul_f64_e32 v[28:29], v[4:5], v[28:29]
	v_add_f64_e32 v[38:39], v[38:39], v[181:182]
	v_add_f64_e32 v[44:45], v[44:45], v[169:170]
	s_wait_loadcnt_dscnt 0x800
	v_mul_f64_e32 v[169:170], v[175:176], v[32:33]
	v_mul_f64_e32 v[32:33], v[177:178], v[32:33]
	v_fma_f64 v[179:180], v[4:5], v[26:27], v[183:184]
	v_fma_f64 v[181:182], v[2:3], v[26:27], -v[28:29]
	ds_load_b128 v[2:5], v1 offset:1664
	scratch_load_b128 v[26:29], off, off offset:896
	v_add_f64_e32 v[38:39], v[38:39], v[165:166]
	v_add_f64_e32 v[44:45], v[44:45], v[167:168]
	ds_load_b128 v[165:168], v1 offset:1680
	s_wait_loadcnt_dscnt 0x801
	v_mul_f64_e32 v[183:184], v[2:3], v[36:37]
	v_mul_f64_e32 v[36:37], v[4:5], v[36:37]
	v_fma_f64 v[169:170], v[177:178], v[30:31], v[169:170]
	v_fma_f64 v[175:176], v[175:176], v[30:31], -v[32:33]
	scratch_load_b128 v[30:33], off, off offset:912
	s_wait_loadcnt_dscnt 0x800
	v_mul_f64_e32 v[177:178], v[165:166], v[42:43]
	v_add_f64_e32 v[38:39], v[38:39], v[181:182]
	v_add_f64_e32 v[44:45], v[44:45], v[179:180]
	v_mul_f64_e32 v[42:43], v[167:168], v[42:43]
	v_fma_f64 v[179:180], v[4:5], v[34:35], v[183:184]
	v_fma_f64 v[181:182], v[2:3], v[34:35], -v[36:37]
	ds_load_b128 v[2:5], v1 offset:1696
	ds_load_b128 v[34:37], v1 offset:1712
	v_fma_f64 v[167:168], v[167:168], v[40:41], v[177:178]
	v_add_f64_e32 v[38:39], v[38:39], v[175:176]
	v_add_f64_e32 v[44:45], v[44:45], v[169:170]
	v_fma_f64 v[40:41], v[165:166], v[40:41], -v[42:43]
	s_wait_loadcnt_dscnt 0x601
	v_mul_f64_e32 v[169:170], v[2:3], v[173:174]
	v_mul_f64_e32 v[173:174], v[4:5], v[173:174]
	v_add_f64_e32 v[38:39], v[38:39], v[181:182]
	v_add_f64_e32 v[42:43], v[44:45], v[179:180]
	s_wait_dscnt 0x0
	v_mul_f64_e32 v[44:45], v[34:35], v[8:9]
	v_mul_f64_e32 v[8:9], v[36:37], v[8:9]
	v_fma_f64 v[165:166], v[4:5], v[171:172], v[169:170]
	v_fma_f64 v[169:170], v[2:3], v[171:172], -v[173:174]
	v_add_f64_e32 v[171:172], v[38:39], v[40:41]
	v_add_f64_e32 v[42:43], v[42:43], v[167:168]
	ds_load_b128 v[2:5], v1 offset:1728
	ds_load_b128 v[38:41], v1 offset:1744
	v_fma_f64 v[36:37], v[36:37], v[6:7], v[44:45]
	v_fma_f64 v[6:7], v[34:35], v[6:7], -v[8:9]
	s_wait_loadcnt_dscnt 0x501
	v_mul_f64_e32 v[167:168], v[2:3], v[12:13]
	v_mul_f64_e32 v[12:13], v[4:5], v[12:13]
	v_add_f64_e32 v[8:9], v[171:172], v[169:170]
	v_add_f64_e32 v[34:35], v[42:43], v[165:166]
	s_wait_loadcnt_dscnt 0x400
	v_mul_f64_e32 v[42:43], v[38:39], v[16:17]
	v_mul_f64_e32 v[16:17], v[40:41], v[16:17]
	v_fma_f64 v[44:45], v[4:5], v[10:11], v[167:168]
	v_fma_f64 v[10:11], v[2:3], v[10:11], -v[12:13]
	v_add_f64_e32 v[12:13], v[8:9], v[6:7]
	v_add_f64_e32 v[34:35], v[34:35], v[36:37]
	ds_load_b128 v[2:5], v1 offset:1760
	ds_load_b128 v[6:9], v1 offset:1776
	v_fma_f64 v[40:41], v[40:41], v[14:15], v[42:43]
	v_fma_f64 v[14:15], v[38:39], v[14:15], -v[16:17]
	s_wait_loadcnt_dscnt 0x301
	v_mul_f64_e32 v[36:37], v[2:3], v[20:21]
	v_mul_f64_e32 v[20:21], v[4:5], v[20:21]
	s_wait_loadcnt_dscnt 0x200
	v_mul_f64_e32 v[16:17], v[6:7], v[24:25]
	v_mul_f64_e32 v[24:25], v[8:9], v[24:25]
	v_add_f64_e32 v[10:11], v[12:13], v[10:11]
	v_add_f64_e32 v[12:13], v[34:35], v[44:45]
	v_fma_f64 v[34:35], v[4:5], v[18:19], v[36:37]
	v_fma_f64 v[18:19], v[2:3], v[18:19], -v[20:21]
	v_fma_f64 v[8:9], v[8:9], v[22:23], v[16:17]
	v_fma_f64 v[6:7], v[6:7], v[22:23], -v[24:25]
	v_add_f64_e32 v[14:15], v[10:11], v[14:15]
	v_add_f64_e32 v[20:21], v[12:13], v[40:41]
	ds_load_b128 v[2:5], v1 offset:1792
	ds_load_b128 v[10:13], v1 offset:1808
	s_wait_loadcnt_dscnt 0x101
	v_mul_f64_e32 v[36:37], v[2:3], v[28:29]
	v_mul_f64_e32 v[28:29], v[4:5], v[28:29]
	v_add_f64_e32 v[14:15], v[14:15], v[18:19]
	v_add_f64_e32 v[16:17], v[20:21], v[34:35]
	s_wait_loadcnt_dscnt 0x0
	v_mul_f64_e32 v[18:19], v[10:11], v[32:33]
	v_mul_f64_e32 v[20:21], v[12:13], v[32:33]
	v_fma_f64 v[4:5], v[4:5], v[26:27], v[36:37]
	v_fma_f64 v[1:2], v[2:3], v[26:27], -v[28:29]
	v_add_f64_e32 v[6:7], v[14:15], v[6:7]
	v_add_f64_e32 v[8:9], v[16:17], v[8:9]
	v_fma_f64 v[12:13], v[12:13], v[30:31], v[18:19]
	v_fma_f64 v[10:11], v[10:11], v[30:31], -v[20:21]
	s_delay_alu instid0(VALU_DEP_4) | instskip(NEXT) | instid1(VALU_DEP_4)
	v_add_f64_e32 v[1:2], v[6:7], v[1:2]
	v_add_f64_e32 v[3:4], v[8:9], v[4:5]
	s_delay_alu instid0(VALU_DEP_2) | instskip(NEXT) | instid1(VALU_DEP_2)
	v_add_f64_e32 v[1:2], v[1:2], v[10:11]
	v_add_f64_e32 v[3:4], v[3:4], v[12:13]
	s_delay_alu instid0(VALU_DEP_2) | instskip(NEXT) | instid1(VALU_DEP_2)
	v_add_f64_e64 v[1:2], v[161:162], -v[1:2]
	v_add_f64_e64 v[3:4], v[163:164], -v[3:4]
	scratch_store_b128 off, v[1:4], off offset:464
	v_cmpx_lt_u32_e32 27, v0
	s_cbranch_execz .LBB56_301
; %bb.300:
	scratch_load_b128 v[1:4], off, s43
	v_mov_b32_e32 v5, 0
	s_delay_alu instid0(VALU_DEP_1)
	v_dual_mov_b32 v6, v5 :: v_dual_mov_b32 v7, v5
	v_mov_b32_e32 v8, v5
	scratch_store_b128 off, v[5:8], off offset:448
	s_wait_loadcnt 0x0
	ds_store_b128 v160, v[1:4]
.LBB56_301:
	s_wait_alu 0xfffe
	s_or_b32 exec_lo, exec_lo, s0
	s_wait_storecnt_dscnt 0x0
	s_barrier_signal -1
	s_barrier_wait -1
	global_inv scope:SCOPE_SE
	s_clause 0x7
	scratch_load_b128 v[2:5], off, off offset:464
	scratch_load_b128 v[6:9], off, off offset:480
	;; [unrolled: 1-line block ×8, first 2 shown]
	v_mov_b32_e32 v1, 0
	s_mov_b32 s0, exec_lo
	ds_load_b128 v[34:37], v1 offset:1360
	s_clause 0x1
	scratch_load_b128 v[38:41], off, off offset:592
	scratch_load_b128 v[42:45], off, off offset:448
	ds_load_b128 v[161:164], v1 offset:1376
	scratch_load_b128 v[165:168], off, off offset:608
	s_wait_loadcnt_dscnt 0xa01
	v_mul_f64_e32 v[169:170], v[36:37], v[4:5]
	v_mul_f64_e32 v[4:5], v[34:35], v[4:5]
	s_delay_alu instid0(VALU_DEP_2) | instskip(NEXT) | instid1(VALU_DEP_2)
	v_fma_f64 v[175:176], v[34:35], v[2:3], -v[169:170]
	v_fma_f64 v[177:178], v[36:37], v[2:3], v[4:5]
	ds_load_b128 v[2:5], v1 offset:1392
	s_wait_loadcnt_dscnt 0x901
	v_mul_f64_e32 v[173:174], v[161:162], v[8:9]
	v_mul_f64_e32 v[8:9], v[163:164], v[8:9]
	scratch_load_b128 v[34:37], off, off offset:624
	ds_load_b128 v[169:172], v1 offset:1408
	s_wait_loadcnt_dscnt 0x901
	v_mul_f64_e32 v[179:180], v[2:3], v[12:13]
	v_mul_f64_e32 v[12:13], v[4:5], v[12:13]
	v_fma_f64 v[163:164], v[163:164], v[6:7], v[173:174]
	v_fma_f64 v[161:162], v[161:162], v[6:7], -v[8:9]
	v_add_f64_e32 v[173:174], 0, v[175:176]
	v_add_f64_e32 v[175:176], 0, v[177:178]
	scratch_load_b128 v[6:9], off, off offset:640
	v_fma_f64 v[179:180], v[4:5], v[10:11], v[179:180]
	v_fma_f64 v[181:182], v[2:3], v[10:11], -v[12:13]
	ds_load_b128 v[2:5], v1 offset:1424
	s_wait_loadcnt_dscnt 0x901
	v_mul_f64_e32 v[177:178], v[169:170], v[16:17]
	v_mul_f64_e32 v[16:17], v[171:172], v[16:17]
	scratch_load_b128 v[10:13], off, off offset:656
	v_add_f64_e32 v[173:174], v[173:174], v[161:162]
	v_add_f64_e32 v[175:176], v[175:176], v[163:164]
	s_wait_loadcnt_dscnt 0x900
	v_mul_f64_e32 v[183:184], v[2:3], v[20:21]
	v_mul_f64_e32 v[20:21], v[4:5], v[20:21]
	ds_load_b128 v[161:164], v1 offset:1440
	v_fma_f64 v[171:172], v[171:172], v[14:15], v[177:178]
	v_fma_f64 v[169:170], v[169:170], v[14:15], -v[16:17]
	scratch_load_b128 v[14:17], off, off offset:672
	v_add_f64_e32 v[173:174], v[173:174], v[181:182]
	v_add_f64_e32 v[175:176], v[175:176], v[179:180]
	v_fma_f64 v[179:180], v[4:5], v[18:19], v[183:184]
	v_fma_f64 v[181:182], v[2:3], v[18:19], -v[20:21]
	ds_load_b128 v[2:5], v1 offset:1456
	s_wait_loadcnt_dscnt 0x901
	v_mul_f64_e32 v[177:178], v[161:162], v[24:25]
	v_mul_f64_e32 v[24:25], v[163:164], v[24:25]
	scratch_load_b128 v[18:21], off, off offset:688
	s_wait_loadcnt_dscnt 0x900
	v_mul_f64_e32 v[183:184], v[2:3], v[28:29]
	v_mul_f64_e32 v[28:29], v[4:5], v[28:29]
	v_add_f64_e32 v[173:174], v[173:174], v[169:170]
	v_add_f64_e32 v[175:176], v[175:176], v[171:172]
	ds_load_b128 v[169:172], v1 offset:1472
	v_fma_f64 v[163:164], v[163:164], v[22:23], v[177:178]
	v_fma_f64 v[161:162], v[161:162], v[22:23], -v[24:25]
	scratch_load_b128 v[22:25], off, off offset:704
	v_add_f64_e32 v[173:174], v[173:174], v[181:182]
	v_add_f64_e32 v[175:176], v[175:176], v[179:180]
	v_fma_f64 v[179:180], v[4:5], v[26:27], v[183:184]
	v_fma_f64 v[181:182], v[2:3], v[26:27], -v[28:29]
	ds_load_b128 v[2:5], v1 offset:1488
	s_wait_loadcnt_dscnt 0x901
	v_mul_f64_e32 v[177:178], v[169:170], v[32:33]
	v_mul_f64_e32 v[32:33], v[171:172], v[32:33]
	scratch_load_b128 v[26:29], off, off offset:720
	s_wait_loadcnt_dscnt 0x900
	v_mul_f64_e32 v[183:184], v[2:3], v[40:41]
	v_mul_f64_e32 v[40:41], v[4:5], v[40:41]
	v_add_f64_e32 v[173:174], v[173:174], v[161:162]
	v_add_f64_e32 v[175:176], v[175:176], v[163:164]
	ds_load_b128 v[161:164], v1 offset:1504
	v_fma_f64 v[171:172], v[171:172], v[30:31], v[177:178]
	v_fma_f64 v[169:170], v[169:170], v[30:31], -v[32:33]
	scratch_load_b128 v[30:33], off, off offset:736
	v_add_f64_e32 v[173:174], v[173:174], v[181:182]
	v_add_f64_e32 v[175:176], v[175:176], v[179:180]
	v_fma_f64 v[181:182], v[4:5], v[38:39], v[183:184]
	v_fma_f64 v[183:184], v[2:3], v[38:39], -v[40:41]
	ds_load_b128 v[2:5], v1 offset:1520
	s_wait_loadcnt_dscnt 0x801
	v_mul_f64_e32 v[177:178], v[161:162], v[167:168]
	v_mul_f64_e32 v[179:180], v[163:164], v[167:168]
	scratch_load_b128 v[38:41], off, off offset:752
	v_add_f64_e32 v[173:174], v[173:174], v[169:170]
	v_add_f64_e32 v[171:172], v[175:176], v[171:172]
	ds_load_b128 v[167:170], v1 offset:1536
	v_fma_f64 v[177:178], v[163:164], v[165:166], v[177:178]
	v_fma_f64 v[165:166], v[161:162], v[165:166], -v[179:180]
	scratch_load_b128 v[161:164], off, off offset:768
	s_wait_loadcnt_dscnt 0x901
	v_mul_f64_e32 v[175:176], v[2:3], v[36:37]
	v_mul_f64_e32 v[36:37], v[4:5], v[36:37]
	v_add_f64_e32 v[173:174], v[173:174], v[183:184]
	v_add_f64_e32 v[171:172], v[171:172], v[181:182]
	s_delay_alu instid0(VALU_DEP_4) | instskip(NEXT) | instid1(VALU_DEP_4)
	v_fma_f64 v[175:176], v[4:5], v[34:35], v[175:176]
	v_fma_f64 v[181:182], v[2:3], v[34:35], -v[36:37]
	ds_load_b128 v[2:5], v1 offset:1552
	s_wait_loadcnt_dscnt 0x801
	v_mul_f64_e32 v[179:180], v[167:168], v[8:9]
	v_mul_f64_e32 v[8:9], v[169:170], v[8:9]
	scratch_load_b128 v[34:37], off, off offset:784
	s_wait_loadcnt_dscnt 0x800
	v_mul_f64_e32 v[183:184], v[2:3], v[12:13]
	v_add_f64_e32 v[165:166], v[173:174], v[165:166]
	v_add_f64_e32 v[177:178], v[171:172], v[177:178]
	v_mul_f64_e32 v[12:13], v[4:5], v[12:13]
	ds_load_b128 v[171:174], v1 offset:1568
	v_fma_f64 v[169:170], v[169:170], v[6:7], v[179:180]
	v_fma_f64 v[167:168], v[167:168], v[6:7], -v[8:9]
	scratch_load_b128 v[6:9], off, off offset:800
	v_fma_f64 v[179:180], v[4:5], v[10:11], v[183:184]
	v_add_f64_e32 v[165:166], v[165:166], v[181:182]
	v_add_f64_e32 v[175:176], v[177:178], v[175:176]
	v_fma_f64 v[181:182], v[2:3], v[10:11], -v[12:13]
	ds_load_b128 v[2:5], v1 offset:1584
	s_wait_loadcnt_dscnt 0x801
	v_mul_f64_e32 v[177:178], v[171:172], v[16:17]
	v_mul_f64_e32 v[16:17], v[173:174], v[16:17]
	scratch_load_b128 v[10:13], off, off offset:816
	v_add_f64_e32 v[183:184], v[165:166], v[167:168]
	v_add_f64_e32 v[169:170], v[175:176], v[169:170]
	s_wait_loadcnt_dscnt 0x800
	v_mul_f64_e32 v[175:176], v[2:3], v[20:21]
	v_mul_f64_e32 v[20:21], v[4:5], v[20:21]
	v_fma_f64 v[173:174], v[173:174], v[14:15], v[177:178]
	v_fma_f64 v[171:172], v[171:172], v[14:15], -v[16:17]
	ds_load_b128 v[165:168], v1 offset:1600
	scratch_load_b128 v[14:17], off, off offset:832
	v_add_f64_e32 v[177:178], v[183:184], v[181:182]
	v_add_f64_e32 v[169:170], v[169:170], v[179:180]
	v_fma_f64 v[175:176], v[4:5], v[18:19], v[175:176]
	v_fma_f64 v[181:182], v[2:3], v[18:19], -v[20:21]
	ds_load_b128 v[2:5], v1 offset:1616
	s_wait_loadcnt_dscnt 0x801
	v_mul_f64_e32 v[179:180], v[165:166], v[24:25]
	v_mul_f64_e32 v[24:25], v[167:168], v[24:25]
	scratch_load_b128 v[18:21], off, off offset:848
	s_wait_loadcnt_dscnt 0x800
	v_mul_f64_e32 v[183:184], v[2:3], v[28:29]
	v_mul_f64_e32 v[28:29], v[4:5], v[28:29]
	v_add_f64_e32 v[177:178], v[177:178], v[171:172]
	v_add_f64_e32 v[173:174], v[169:170], v[173:174]
	ds_load_b128 v[169:172], v1 offset:1632
	v_fma_f64 v[167:168], v[167:168], v[22:23], v[179:180]
	v_fma_f64 v[165:166], v[165:166], v[22:23], -v[24:25]
	scratch_load_b128 v[22:25], off, off offset:864
	v_fma_f64 v[179:180], v[4:5], v[26:27], v[183:184]
	v_add_f64_e32 v[177:178], v[177:178], v[181:182]
	v_add_f64_e32 v[173:174], v[173:174], v[175:176]
	v_fma_f64 v[181:182], v[2:3], v[26:27], -v[28:29]
	ds_load_b128 v[2:5], v1 offset:1648
	s_wait_loadcnt_dscnt 0x801
	v_mul_f64_e32 v[175:176], v[169:170], v[32:33]
	v_mul_f64_e32 v[32:33], v[171:172], v[32:33]
	scratch_load_b128 v[26:29], off, off offset:880
	s_wait_loadcnt_dscnt 0x800
	v_mul_f64_e32 v[183:184], v[2:3], v[40:41]
	v_mul_f64_e32 v[40:41], v[4:5], v[40:41]
	v_add_f64_e32 v[177:178], v[177:178], v[165:166]
	v_add_f64_e32 v[173:174], v[173:174], v[167:168]
	ds_load_b128 v[165:168], v1 offset:1664
	v_fma_f64 v[171:172], v[171:172], v[30:31], v[175:176]
	v_fma_f64 v[169:170], v[169:170], v[30:31], -v[32:33]
	scratch_load_b128 v[30:33], off, off offset:896
	v_add_f64_e32 v[175:176], v[177:178], v[181:182]
	v_add_f64_e32 v[173:174], v[173:174], v[179:180]
	v_fma_f64 v[179:180], v[4:5], v[38:39], v[183:184]
	v_fma_f64 v[181:182], v[2:3], v[38:39], -v[40:41]
	ds_load_b128 v[2:5], v1 offset:1680
	s_wait_loadcnt_dscnt 0x801
	v_mul_f64_e32 v[177:178], v[165:166], v[163:164]
	v_mul_f64_e32 v[163:164], v[167:168], v[163:164]
	scratch_load_b128 v[38:41], off, off offset:912
	s_wait_loadcnt_dscnt 0x800
	v_mul_f64_e32 v[183:184], v[2:3], v[36:37]
	v_mul_f64_e32 v[36:37], v[4:5], v[36:37]
	v_add_f64_e32 v[175:176], v[175:176], v[169:170]
	v_add_f64_e32 v[173:174], v[173:174], v[171:172]
	ds_load_b128 v[169:172], v1 offset:1696
	v_fma_f64 v[167:168], v[167:168], v[161:162], v[177:178]
	v_fma_f64 v[161:162], v[165:166], v[161:162], -v[163:164]
	v_fma_f64 v[177:178], v[2:3], v[34:35], -v[36:37]
	v_add_f64_e32 v[163:164], v[175:176], v[181:182]
	v_add_f64_e32 v[165:166], v[173:174], v[179:180]
	s_wait_loadcnt_dscnt 0x700
	v_mul_f64_e32 v[173:174], v[169:170], v[8:9]
	v_mul_f64_e32 v[8:9], v[171:172], v[8:9]
	v_fma_f64 v[175:176], v[4:5], v[34:35], v[183:184]
	ds_load_b128 v[2:5], v1 offset:1712
	ds_load_b128 v[34:37], v1 offset:1728
	v_add_f64_e32 v[161:162], v[163:164], v[161:162]
	v_add_f64_e32 v[163:164], v[165:166], v[167:168]
	s_wait_loadcnt_dscnt 0x601
	v_mul_f64_e32 v[165:166], v[2:3], v[12:13]
	v_mul_f64_e32 v[12:13], v[4:5], v[12:13]
	v_fma_f64 v[167:168], v[171:172], v[6:7], v[173:174]
	v_fma_f64 v[6:7], v[169:170], v[6:7], -v[8:9]
	v_add_f64_e32 v[8:9], v[161:162], v[177:178]
	v_add_f64_e32 v[161:162], v[163:164], v[175:176]
	s_wait_loadcnt_dscnt 0x500
	v_mul_f64_e32 v[163:164], v[34:35], v[16:17]
	v_mul_f64_e32 v[16:17], v[36:37], v[16:17]
	v_fma_f64 v[165:166], v[4:5], v[10:11], v[165:166]
	v_fma_f64 v[10:11], v[2:3], v[10:11], -v[12:13]
	v_add_f64_e32 v[12:13], v[8:9], v[6:7]
	v_add_f64_e32 v[161:162], v[161:162], v[167:168]
	ds_load_b128 v[2:5], v1 offset:1744
	ds_load_b128 v[6:9], v1 offset:1760
	v_fma_f64 v[36:37], v[36:37], v[14:15], v[163:164]
	v_fma_f64 v[14:15], v[34:35], v[14:15], -v[16:17]
	s_wait_loadcnt_dscnt 0x401
	v_mul_f64_e32 v[167:168], v[2:3], v[20:21]
	v_mul_f64_e32 v[20:21], v[4:5], v[20:21]
	s_wait_loadcnt_dscnt 0x300
	v_mul_f64_e32 v[16:17], v[6:7], v[24:25]
	v_mul_f64_e32 v[24:25], v[8:9], v[24:25]
	v_add_f64_e32 v[10:11], v[12:13], v[10:11]
	v_add_f64_e32 v[12:13], v[161:162], v[165:166]
	v_fma_f64 v[34:35], v[4:5], v[18:19], v[167:168]
	v_fma_f64 v[18:19], v[2:3], v[18:19], -v[20:21]
	v_fma_f64 v[8:9], v[8:9], v[22:23], v[16:17]
	v_fma_f64 v[6:7], v[6:7], v[22:23], -v[24:25]
	v_add_f64_e32 v[14:15], v[10:11], v[14:15]
	v_add_f64_e32 v[20:21], v[12:13], v[36:37]
	ds_load_b128 v[2:5], v1 offset:1776
	ds_load_b128 v[10:13], v1 offset:1792
	s_wait_loadcnt_dscnt 0x201
	v_mul_f64_e32 v[36:37], v[2:3], v[28:29]
	v_mul_f64_e32 v[28:29], v[4:5], v[28:29]
	v_add_f64_e32 v[14:15], v[14:15], v[18:19]
	v_add_f64_e32 v[16:17], v[20:21], v[34:35]
	s_wait_loadcnt_dscnt 0x100
	v_mul_f64_e32 v[18:19], v[10:11], v[32:33]
	v_mul_f64_e32 v[20:21], v[12:13], v[32:33]
	v_fma_f64 v[22:23], v[4:5], v[26:27], v[36:37]
	v_fma_f64 v[24:25], v[2:3], v[26:27], -v[28:29]
	ds_load_b128 v[2:5], v1 offset:1808
	v_add_f64_e32 v[6:7], v[14:15], v[6:7]
	v_add_f64_e32 v[8:9], v[16:17], v[8:9]
	v_fma_f64 v[12:13], v[12:13], v[30:31], v[18:19]
	v_fma_f64 v[10:11], v[10:11], v[30:31], -v[20:21]
	s_wait_loadcnt_dscnt 0x0
	v_mul_f64_e32 v[14:15], v[2:3], v[40:41]
	v_mul_f64_e32 v[16:17], v[4:5], v[40:41]
	v_add_f64_e32 v[6:7], v[6:7], v[24:25]
	v_add_f64_e32 v[8:9], v[8:9], v[22:23]
	s_delay_alu instid0(VALU_DEP_4) | instskip(NEXT) | instid1(VALU_DEP_4)
	v_fma_f64 v[4:5], v[4:5], v[38:39], v[14:15]
	v_fma_f64 v[2:3], v[2:3], v[38:39], -v[16:17]
	s_delay_alu instid0(VALU_DEP_4) | instskip(NEXT) | instid1(VALU_DEP_4)
	v_add_f64_e32 v[6:7], v[6:7], v[10:11]
	v_add_f64_e32 v[8:9], v[8:9], v[12:13]
	s_delay_alu instid0(VALU_DEP_2) | instskip(NEXT) | instid1(VALU_DEP_2)
	v_add_f64_e32 v[2:3], v[6:7], v[2:3]
	v_add_f64_e32 v[4:5], v[8:9], v[4:5]
	s_delay_alu instid0(VALU_DEP_2) | instskip(NEXT) | instid1(VALU_DEP_2)
	v_add_f64_e64 v[2:3], v[42:43], -v[2:3]
	v_add_f64_e64 v[4:5], v[44:45], -v[4:5]
	scratch_store_b128 off, v[2:5], off offset:448
	v_cmpx_lt_u32_e32 26, v0
	s_cbranch_execz .LBB56_303
; %bb.302:
	scratch_load_b128 v[5:8], off, s44
	v_dual_mov_b32 v2, v1 :: v_dual_mov_b32 v3, v1
	v_mov_b32_e32 v4, v1
	scratch_store_b128 off, v[1:4], off offset:432
	s_wait_loadcnt 0x0
	ds_store_b128 v160, v[5:8]
.LBB56_303:
	s_wait_alu 0xfffe
	s_or_b32 exec_lo, exec_lo, s0
	s_wait_storecnt_dscnt 0x0
	s_barrier_signal -1
	s_barrier_wait -1
	global_inv scope:SCOPE_SE
	s_clause 0x8
	scratch_load_b128 v[2:5], off, off offset:448
	scratch_load_b128 v[6:9], off, off offset:464
	scratch_load_b128 v[10:13], off, off offset:480
	scratch_load_b128 v[14:17], off, off offset:496
	scratch_load_b128 v[18:21], off, off offset:512
	scratch_load_b128 v[22:25], off, off offset:528
	scratch_load_b128 v[26:29], off, off offset:544
	scratch_load_b128 v[30:33], off, off offset:560
	scratch_load_b128 v[34:37], off, off offset:576
	ds_load_b128 v[38:41], v1 offset:1344
	ds_load_b128 v[42:45], v1 offset:1360
	s_clause 0x1
	scratch_load_b128 v[161:164], off, off offset:432
	scratch_load_b128 v[165:168], off, off offset:592
	s_mov_b32 s0, exec_lo
	s_wait_loadcnt_dscnt 0xa01
	v_mul_f64_e32 v[169:170], v[40:41], v[4:5]
	v_mul_f64_e32 v[4:5], v[38:39], v[4:5]
	s_wait_loadcnt_dscnt 0x900
	v_mul_f64_e32 v[173:174], v[42:43], v[8:9]
	v_mul_f64_e32 v[8:9], v[44:45], v[8:9]
	s_delay_alu instid0(VALU_DEP_4) | instskip(NEXT) | instid1(VALU_DEP_4)
	v_fma_f64 v[175:176], v[38:39], v[2:3], -v[169:170]
	v_fma_f64 v[177:178], v[40:41], v[2:3], v[4:5]
	ds_load_b128 v[2:5], v1 offset:1376
	ds_load_b128 v[169:172], v1 offset:1392
	scratch_load_b128 v[38:41], off, off offset:608
	v_fma_f64 v[44:45], v[44:45], v[6:7], v[173:174]
	v_fma_f64 v[42:43], v[42:43], v[6:7], -v[8:9]
	scratch_load_b128 v[6:9], off, off offset:624
	s_wait_loadcnt_dscnt 0xa01
	v_mul_f64_e32 v[179:180], v[2:3], v[12:13]
	v_mul_f64_e32 v[12:13], v[4:5], v[12:13]
	v_add_f64_e32 v[173:174], 0, v[175:176]
	v_add_f64_e32 v[175:176], 0, v[177:178]
	s_wait_loadcnt_dscnt 0x900
	v_mul_f64_e32 v[177:178], v[169:170], v[16:17]
	v_mul_f64_e32 v[16:17], v[171:172], v[16:17]
	v_fma_f64 v[179:180], v[4:5], v[10:11], v[179:180]
	v_fma_f64 v[181:182], v[2:3], v[10:11], -v[12:13]
	ds_load_b128 v[2:5], v1 offset:1408
	scratch_load_b128 v[10:13], off, off offset:640
	v_add_f64_e32 v[173:174], v[173:174], v[42:43]
	v_add_f64_e32 v[175:176], v[175:176], v[44:45]
	ds_load_b128 v[42:45], v1 offset:1424
	v_fma_f64 v[171:172], v[171:172], v[14:15], v[177:178]
	v_fma_f64 v[169:170], v[169:170], v[14:15], -v[16:17]
	scratch_load_b128 v[14:17], off, off offset:656
	s_wait_loadcnt_dscnt 0xa01
	v_mul_f64_e32 v[183:184], v[2:3], v[20:21]
	v_mul_f64_e32 v[20:21], v[4:5], v[20:21]
	s_wait_loadcnt_dscnt 0x900
	v_mul_f64_e32 v[177:178], v[42:43], v[24:25]
	v_mul_f64_e32 v[24:25], v[44:45], v[24:25]
	v_add_f64_e32 v[173:174], v[173:174], v[181:182]
	v_add_f64_e32 v[175:176], v[175:176], v[179:180]
	v_fma_f64 v[179:180], v[4:5], v[18:19], v[183:184]
	v_fma_f64 v[181:182], v[2:3], v[18:19], -v[20:21]
	ds_load_b128 v[2:5], v1 offset:1440
	scratch_load_b128 v[18:21], off, off offset:672
	v_fma_f64 v[44:45], v[44:45], v[22:23], v[177:178]
	v_fma_f64 v[42:43], v[42:43], v[22:23], -v[24:25]
	scratch_load_b128 v[22:25], off, off offset:688
	v_add_f64_e32 v[173:174], v[173:174], v[169:170]
	v_add_f64_e32 v[175:176], v[175:176], v[171:172]
	ds_load_b128 v[169:172], v1 offset:1456
	s_wait_loadcnt_dscnt 0xa01
	v_mul_f64_e32 v[183:184], v[2:3], v[28:29]
	v_mul_f64_e32 v[28:29], v[4:5], v[28:29]
	s_wait_loadcnt_dscnt 0x900
	v_mul_f64_e32 v[177:178], v[169:170], v[32:33]
	v_mul_f64_e32 v[32:33], v[171:172], v[32:33]
	v_add_f64_e32 v[173:174], v[173:174], v[181:182]
	v_add_f64_e32 v[175:176], v[175:176], v[179:180]
	v_fma_f64 v[179:180], v[4:5], v[26:27], v[183:184]
	v_fma_f64 v[181:182], v[2:3], v[26:27], -v[28:29]
	ds_load_b128 v[2:5], v1 offset:1472
	scratch_load_b128 v[26:29], off, off offset:704
	v_fma_f64 v[171:172], v[171:172], v[30:31], v[177:178]
	v_fma_f64 v[169:170], v[169:170], v[30:31], -v[32:33]
	scratch_load_b128 v[30:33], off, off offset:720
	v_add_f64_e32 v[173:174], v[173:174], v[42:43]
	v_add_f64_e32 v[175:176], v[175:176], v[44:45]
	ds_load_b128 v[42:45], v1 offset:1488
	s_wait_loadcnt_dscnt 0xa01
	v_mul_f64_e32 v[183:184], v[2:3], v[36:37]
	v_mul_f64_e32 v[36:37], v[4:5], v[36:37]
	s_wait_loadcnt_dscnt 0x800
	v_mul_f64_e32 v[177:178], v[42:43], v[167:168]
	v_add_f64_e32 v[173:174], v[173:174], v[181:182]
	v_add_f64_e32 v[175:176], v[175:176], v[179:180]
	v_mul_f64_e32 v[179:180], v[44:45], v[167:168]
	v_fma_f64 v[181:182], v[4:5], v[34:35], v[183:184]
	v_fma_f64 v[183:184], v[2:3], v[34:35], -v[36:37]
	ds_load_b128 v[2:5], v1 offset:1504
	scratch_load_b128 v[34:37], off, off offset:736
	v_fma_f64 v[44:45], v[44:45], v[165:166], v[177:178]
	v_add_f64_e32 v[173:174], v[173:174], v[169:170]
	v_add_f64_e32 v[171:172], v[175:176], v[171:172]
	ds_load_b128 v[167:170], v1 offset:1520
	v_fma_f64 v[165:166], v[42:43], v[165:166], -v[179:180]
	s_wait_loadcnt_dscnt 0x801
	v_mul_f64_e32 v[175:176], v[2:3], v[40:41]
	v_mul_f64_e32 v[185:186], v[4:5], v[40:41]
	scratch_load_b128 v[40:43], off, off offset:752
	s_wait_loadcnt_dscnt 0x800
	v_mul_f64_e32 v[179:180], v[167:168], v[8:9]
	v_mul_f64_e32 v[8:9], v[169:170], v[8:9]
	v_add_f64_e32 v[173:174], v[173:174], v[183:184]
	v_add_f64_e32 v[171:172], v[171:172], v[181:182]
	v_fma_f64 v[181:182], v[4:5], v[38:39], v[175:176]
	v_fma_f64 v[38:39], v[2:3], v[38:39], -v[185:186]
	ds_load_b128 v[2:5], v1 offset:1536
	ds_load_b128 v[175:178], v1 offset:1552
	v_fma_f64 v[169:170], v[169:170], v[6:7], v[179:180]
	v_fma_f64 v[167:168], v[167:168], v[6:7], -v[8:9]
	scratch_load_b128 v[6:9], off, off offset:784
	v_add_f64_e32 v[165:166], v[173:174], v[165:166]
	v_add_f64_e32 v[44:45], v[171:172], v[44:45]
	scratch_load_b128 v[171:174], off, off offset:768
	s_wait_loadcnt_dscnt 0x901
	v_mul_f64_e32 v[183:184], v[2:3], v[12:13]
	v_mul_f64_e32 v[12:13], v[4:5], v[12:13]
	s_wait_loadcnt_dscnt 0x800
	v_mul_f64_e32 v[179:180], v[175:176], v[16:17]
	v_mul_f64_e32 v[16:17], v[177:178], v[16:17]
	v_add_f64_e32 v[38:39], v[165:166], v[38:39]
	v_add_f64_e32 v[44:45], v[44:45], v[181:182]
	v_fma_f64 v[181:182], v[4:5], v[10:11], v[183:184]
	v_fma_f64 v[183:184], v[2:3], v[10:11], -v[12:13]
	ds_load_b128 v[2:5], v1 offset:1568
	scratch_load_b128 v[10:13], off, off offset:800
	v_fma_f64 v[177:178], v[177:178], v[14:15], v[179:180]
	v_fma_f64 v[175:176], v[175:176], v[14:15], -v[16:17]
	scratch_load_b128 v[14:17], off, off offset:816
	v_add_f64_e32 v[38:39], v[38:39], v[167:168]
	v_add_f64_e32 v[44:45], v[44:45], v[169:170]
	ds_load_b128 v[165:168], v1 offset:1584
	s_wait_loadcnt_dscnt 0x901
	v_mul_f64_e32 v[169:170], v[2:3], v[20:21]
	v_mul_f64_e32 v[20:21], v[4:5], v[20:21]
	s_wait_loadcnt_dscnt 0x800
	v_mul_f64_e32 v[179:180], v[165:166], v[24:25]
	v_mul_f64_e32 v[24:25], v[167:168], v[24:25]
	v_add_f64_e32 v[38:39], v[38:39], v[183:184]
	v_add_f64_e32 v[44:45], v[44:45], v[181:182]
	v_fma_f64 v[169:170], v[4:5], v[18:19], v[169:170]
	v_fma_f64 v[181:182], v[2:3], v[18:19], -v[20:21]
	ds_load_b128 v[2:5], v1 offset:1600
	scratch_load_b128 v[18:21], off, off offset:832
	v_fma_f64 v[167:168], v[167:168], v[22:23], v[179:180]
	v_fma_f64 v[165:166], v[165:166], v[22:23], -v[24:25]
	scratch_load_b128 v[22:25], off, off offset:848
	v_add_f64_e32 v[38:39], v[38:39], v[175:176]
	v_add_f64_e32 v[44:45], v[44:45], v[177:178]
	ds_load_b128 v[175:178], v1 offset:1616
	s_wait_loadcnt_dscnt 0x901
	v_mul_f64_e32 v[183:184], v[2:3], v[28:29]
	v_mul_f64_e32 v[28:29], v[4:5], v[28:29]
	v_add_f64_e32 v[38:39], v[38:39], v[181:182]
	v_add_f64_e32 v[44:45], v[44:45], v[169:170]
	s_wait_loadcnt_dscnt 0x800
	v_mul_f64_e32 v[169:170], v[175:176], v[32:33]
	v_mul_f64_e32 v[32:33], v[177:178], v[32:33]
	v_fma_f64 v[179:180], v[4:5], v[26:27], v[183:184]
	v_fma_f64 v[181:182], v[2:3], v[26:27], -v[28:29]
	ds_load_b128 v[2:5], v1 offset:1632
	scratch_load_b128 v[26:29], off, off offset:864
	v_add_f64_e32 v[38:39], v[38:39], v[165:166]
	v_add_f64_e32 v[44:45], v[44:45], v[167:168]
	ds_load_b128 v[165:168], v1 offset:1648
	s_wait_loadcnt_dscnt 0x801
	v_mul_f64_e32 v[183:184], v[2:3], v[36:37]
	v_mul_f64_e32 v[36:37], v[4:5], v[36:37]
	v_fma_f64 v[169:170], v[177:178], v[30:31], v[169:170]
	v_fma_f64 v[175:176], v[175:176], v[30:31], -v[32:33]
	scratch_load_b128 v[30:33], off, off offset:880
	s_wait_loadcnt_dscnt 0x800
	v_mul_f64_e32 v[177:178], v[165:166], v[42:43]
	v_add_f64_e32 v[38:39], v[38:39], v[181:182]
	v_add_f64_e32 v[44:45], v[44:45], v[179:180]
	v_mul_f64_e32 v[179:180], v[167:168], v[42:43]
	v_fma_f64 v[181:182], v[4:5], v[34:35], v[183:184]
	v_fma_f64 v[183:184], v[2:3], v[34:35], -v[36:37]
	ds_load_b128 v[2:5], v1 offset:1664
	scratch_load_b128 v[34:37], off, off offset:896
	v_fma_f64 v[167:168], v[167:168], v[40:41], v[177:178]
	v_add_f64_e32 v[38:39], v[38:39], v[175:176]
	v_add_f64_e32 v[169:170], v[44:45], v[169:170]
	ds_load_b128 v[42:45], v1 offset:1680
	v_fma_f64 v[165:166], v[165:166], v[40:41], -v[179:180]
	s_wait_loadcnt_dscnt 0x701
	v_mul_f64_e32 v[175:176], v[2:3], v[173:174]
	v_mul_f64_e32 v[173:174], v[4:5], v[173:174]
	s_wait_dscnt 0x0
	v_mul_f64_e32 v[179:180], v[42:43], v[8:9]
	v_mul_f64_e32 v[8:9], v[44:45], v[8:9]
	v_add_f64_e32 v[177:178], v[38:39], v[183:184]
	v_add_f64_e32 v[169:170], v[169:170], v[181:182]
	scratch_load_b128 v[38:41], off, off offset:912
	v_fma_f64 v[175:176], v[4:5], v[171:172], v[175:176]
	v_fma_f64 v[171:172], v[2:3], v[171:172], -v[173:174]
	v_fma_f64 v[44:45], v[44:45], v[6:7], v[179:180]
	v_fma_f64 v[6:7], v[42:43], v[6:7], -v[8:9]
	v_add_f64_e32 v[173:174], v[177:178], v[165:166]
	v_add_f64_e32 v[169:170], v[169:170], v[167:168]
	ds_load_b128 v[2:5], v1 offset:1696
	ds_load_b128 v[165:168], v1 offset:1712
	s_wait_loadcnt_dscnt 0x701
	v_mul_f64_e32 v[177:178], v[2:3], v[12:13]
	v_mul_f64_e32 v[12:13], v[4:5], v[12:13]
	v_add_f64_e32 v[8:9], v[173:174], v[171:172]
	v_add_f64_e32 v[42:43], v[169:170], v[175:176]
	s_wait_loadcnt_dscnt 0x600
	v_mul_f64_e32 v[169:170], v[165:166], v[16:17]
	v_mul_f64_e32 v[16:17], v[167:168], v[16:17]
	v_fma_f64 v[171:172], v[4:5], v[10:11], v[177:178]
	v_fma_f64 v[10:11], v[2:3], v[10:11], -v[12:13]
	v_add_f64_e32 v[12:13], v[8:9], v[6:7]
	v_add_f64_e32 v[42:43], v[42:43], v[44:45]
	ds_load_b128 v[2:5], v1 offset:1728
	ds_load_b128 v[6:9], v1 offset:1744
	v_fma_f64 v[167:168], v[167:168], v[14:15], v[169:170]
	v_fma_f64 v[14:15], v[165:166], v[14:15], -v[16:17]
	s_wait_loadcnt_dscnt 0x501
	v_mul_f64_e32 v[44:45], v[2:3], v[20:21]
	v_mul_f64_e32 v[20:21], v[4:5], v[20:21]
	s_wait_loadcnt_dscnt 0x400
	v_mul_f64_e32 v[16:17], v[6:7], v[24:25]
	v_mul_f64_e32 v[24:25], v[8:9], v[24:25]
	v_add_f64_e32 v[10:11], v[12:13], v[10:11]
	v_add_f64_e32 v[12:13], v[42:43], v[171:172]
	v_fma_f64 v[42:43], v[4:5], v[18:19], v[44:45]
	v_fma_f64 v[18:19], v[2:3], v[18:19], -v[20:21]
	v_fma_f64 v[8:9], v[8:9], v[22:23], v[16:17]
	v_fma_f64 v[6:7], v[6:7], v[22:23], -v[24:25]
	v_add_f64_e32 v[14:15], v[10:11], v[14:15]
	v_add_f64_e32 v[20:21], v[12:13], v[167:168]
	ds_load_b128 v[2:5], v1 offset:1760
	ds_load_b128 v[10:13], v1 offset:1776
	s_wait_loadcnt_dscnt 0x301
	v_mul_f64_e32 v[44:45], v[2:3], v[28:29]
	v_mul_f64_e32 v[28:29], v[4:5], v[28:29]
	v_add_f64_e32 v[14:15], v[14:15], v[18:19]
	v_add_f64_e32 v[16:17], v[20:21], v[42:43]
	s_wait_loadcnt_dscnt 0x200
	v_mul_f64_e32 v[18:19], v[10:11], v[32:33]
	v_mul_f64_e32 v[20:21], v[12:13], v[32:33]
	v_fma_f64 v[22:23], v[4:5], v[26:27], v[44:45]
	v_fma_f64 v[24:25], v[2:3], v[26:27], -v[28:29]
	v_add_f64_e32 v[14:15], v[14:15], v[6:7]
	v_add_f64_e32 v[16:17], v[16:17], v[8:9]
	ds_load_b128 v[2:5], v1 offset:1792
	ds_load_b128 v[6:9], v1 offset:1808
	v_fma_f64 v[12:13], v[12:13], v[30:31], v[18:19]
	v_fma_f64 v[10:11], v[10:11], v[30:31], -v[20:21]
	s_wait_loadcnt_dscnt 0x101
	v_mul_f64_e32 v[26:27], v[2:3], v[36:37]
	v_mul_f64_e32 v[28:29], v[4:5], v[36:37]
	v_add_f64_e32 v[14:15], v[14:15], v[24:25]
	v_add_f64_e32 v[16:17], v[16:17], v[22:23]
	s_wait_loadcnt_dscnt 0x0
	v_mul_f64_e32 v[18:19], v[6:7], v[40:41]
	v_mul_f64_e32 v[20:21], v[8:9], v[40:41]
	v_fma_f64 v[4:5], v[4:5], v[34:35], v[26:27]
	v_fma_f64 v[1:2], v[2:3], v[34:35], -v[28:29]
	v_add_f64_e32 v[10:11], v[14:15], v[10:11]
	v_add_f64_e32 v[12:13], v[16:17], v[12:13]
	v_fma_f64 v[8:9], v[8:9], v[38:39], v[18:19]
	v_fma_f64 v[6:7], v[6:7], v[38:39], -v[20:21]
	s_delay_alu instid0(VALU_DEP_4) | instskip(NEXT) | instid1(VALU_DEP_4)
	v_add_f64_e32 v[1:2], v[10:11], v[1:2]
	v_add_f64_e32 v[3:4], v[12:13], v[4:5]
	s_delay_alu instid0(VALU_DEP_2) | instskip(NEXT) | instid1(VALU_DEP_2)
	v_add_f64_e32 v[1:2], v[1:2], v[6:7]
	v_add_f64_e32 v[3:4], v[3:4], v[8:9]
	s_delay_alu instid0(VALU_DEP_2) | instskip(NEXT) | instid1(VALU_DEP_2)
	v_add_f64_e64 v[1:2], v[161:162], -v[1:2]
	v_add_f64_e64 v[3:4], v[163:164], -v[3:4]
	scratch_store_b128 off, v[1:4], off offset:432
	v_cmpx_lt_u32_e32 25, v0
	s_cbranch_execz .LBB56_305
; %bb.304:
	scratch_load_b128 v[1:4], off, s45
	v_mov_b32_e32 v5, 0
	s_delay_alu instid0(VALU_DEP_1)
	v_dual_mov_b32 v6, v5 :: v_dual_mov_b32 v7, v5
	v_mov_b32_e32 v8, v5
	scratch_store_b128 off, v[5:8], off offset:416
	s_wait_loadcnt 0x0
	ds_store_b128 v160, v[1:4]
.LBB56_305:
	s_wait_alu 0xfffe
	s_or_b32 exec_lo, exec_lo, s0
	s_wait_storecnt_dscnt 0x0
	s_barrier_signal -1
	s_barrier_wait -1
	global_inv scope:SCOPE_SE
	s_clause 0x7
	scratch_load_b128 v[2:5], off, off offset:432
	scratch_load_b128 v[6:9], off, off offset:448
	;; [unrolled: 1-line block ×8, first 2 shown]
	v_mov_b32_e32 v1, 0
	s_mov_b32 s0, exec_lo
	ds_load_b128 v[34:37], v1 offset:1328
	s_clause 0x1
	scratch_load_b128 v[38:41], off, off offset:560
	scratch_load_b128 v[42:45], off, off offset:416
	ds_load_b128 v[161:164], v1 offset:1344
	scratch_load_b128 v[165:168], off, off offset:576
	s_wait_loadcnt_dscnt 0xa01
	v_mul_f64_e32 v[169:170], v[36:37], v[4:5]
	v_mul_f64_e32 v[4:5], v[34:35], v[4:5]
	s_delay_alu instid0(VALU_DEP_2) | instskip(NEXT) | instid1(VALU_DEP_2)
	v_fma_f64 v[175:176], v[34:35], v[2:3], -v[169:170]
	v_fma_f64 v[177:178], v[36:37], v[2:3], v[4:5]
	ds_load_b128 v[2:5], v1 offset:1360
	s_wait_loadcnt_dscnt 0x901
	v_mul_f64_e32 v[173:174], v[161:162], v[8:9]
	v_mul_f64_e32 v[8:9], v[163:164], v[8:9]
	scratch_load_b128 v[34:37], off, off offset:592
	ds_load_b128 v[169:172], v1 offset:1376
	s_wait_loadcnt_dscnt 0x901
	v_mul_f64_e32 v[179:180], v[2:3], v[12:13]
	v_mul_f64_e32 v[12:13], v[4:5], v[12:13]
	v_fma_f64 v[163:164], v[163:164], v[6:7], v[173:174]
	v_fma_f64 v[161:162], v[161:162], v[6:7], -v[8:9]
	v_add_f64_e32 v[173:174], 0, v[175:176]
	v_add_f64_e32 v[175:176], 0, v[177:178]
	scratch_load_b128 v[6:9], off, off offset:608
	v_fma_f64 v[179:180], v[4:5], v[10:11], v[179:180]
	v_fma_f64 v[181:182], v[2:3], v[10:11], -v[12:13]
	ds_load_b128 v[2:5], v1 offset:1392
	s_wait_loadcnt_dscnt 0x901
	v_mul_f64_e32 v[177:178], v[169:170], v[16:17]
	v_mul_f64_e32 v[16:17], v[171:172], v[16:17]
	scratch_load_b128 v[10:13], off, off offset:624
	v_add_f64_e32 v[173:174], v[173:174], v[161:162]
	v_add_f64_e32 v[175:176], v[175:176], v[163:164]
	s_wait_loadcnt_dscnt 0x900
	v_mul_f64_e32 v[183:184], v[2:3], v[20:21]
	v_mul_f64_e32 v[20:21], v[4:5], v[20:21]
	ds_load_b128 v[161:164], v1 offset:1408
	v_fma_f64 v[171:172], v[171:172], v[14:15], v[177:178]
	v_fma_f64 v[169:170], v[169:170], v[14:15], -v[16:17]
	scratch_load_b128 v[14:17], off, off offset:640
	v_add_f64_e32 v[173:174], v[173:174], v[181:182]
	v_add_f64_e32 v[175:176], v[175:176], v[179:180]
	v_fma_f64 v[179:180], v[4:5], v[18:19], v[183:184]
	v_fma_f64 v[181:182], v[2:3], v[18:19], -v[20:21]
	ds_load_b128 v[2:5], v1 offset:1424
	s_wait_loadcnt_dscnt 0x901
	v_mul_f64_e32 v[177:178], v[161:162], v[24:25]
	v_mul_f64_e32 v[24:25], v[163:164], v[24:25]
	scratch_load_b128 v[18:21], off, off offset:656
	s_wait_loadcnt_dscnt 0x900
	v_mul_f64_e32 v[183:184], v[2:3], v[28:29]
	v_mul_f64_e32 v[28:29], v[4:5], v[28:29]
	v_add_f64_e32 v[173:174], v[173:174], v[169:170]
	v_add_f64_e32 v[175:176], v[175:176], v[171:172]
	ds_load_b128 v[169:172], v1 offset:1440
	v_fma_f64 v[163:164], v[163:164], v[22:23], v[177:178]
	v_fma_f64 v[161:162], v[161:162], v[22:23], -v[24:25]
	scratch_load_b128 v[22:25], off, off offset:672
	v_add_f64_e32 v[173:174], v[173:174], v[181:182]
	v_add_f64_e32 v[175:176], v[175:176], v[179:180]
	v_fma_f64 v[179:180], v[4:5], v[26:27], v[183:184]
	v_fma_f64 v[181:182], v[2:3], v[26:27], -v[28:29]
	ds_load_b128 v[2:5], v1 offset:1456
	s_wait_loadcnt_dscnt 0x901
	v_mul_f64_e32 v[177:178], v[169:170], v[32:33]
	v_mul_f64_e32 v[32:33], v[171:172], v[32:33]
	scratch_load_b128 v[26:29], off, off offset:688
	s_wait_loadcnt_dscnt 0x900
	v_mul_f64_e32 v[183:184], v[2:3], v[40:41]
	v_mul_f64_e32 v[40:41], v[4:5], v[40:41]
	v_add_f64_e32 v[173:174], v[173:174], v[161:162]
	v_add_f64_e32 v[175:176], v[175:176], v[163:164]
	ds_load_b128 v[161:164], v1 offset:1472
	v_fma_f64 v[171:172], v[171:172], v[30:31], v[177:178]
	v_fma_f64 v[169:170], v[169:170], v[30:31], -v[32:33]
	scratch_load_b128 v[30:33], off, off offset:704
	v_add_f64_e32 v[173:174], v[173:174], v[181:182]
	v_add_f64_e32 v[175:176], v[175:176], v[179:180]
	v_fma_f64 v[181:182], v[4:5], v[38:39], v[183:184]
	v_fma_f64 v[183:184], v[2:3], v[38:39], -v[40:41]
	ds_load_b128 v[2:5], v1 offset:1488
	s_wait_loadcnt_dscnt 0x801
	v_mul_f64_e32 v[177:178], v[161:162], v[167:168]
	v_mul_f64_e32 v[179:180], v[163:164], v[167:168]
	scratch_load_b128 v[38:41], off, off offset:720
	v_add_f64_e32 v[173:174], v[173:174], v[169:170]
	v_add_f64_e32 v[171:172], v[175:176], v[171:172]
	ds_load_b128 v[167:170], v1 offset:1504
	v_fma_f64 v[177:178], v[163:164], v[165:166], v[177:178]
	v_fma_f64 v[165:166], v[161:162], v[165:166], -v[179:180]
	scratch_load_b128 v[161:164], off, off offset:736
	s_wait_loadcnt_dscnt 0x901
	v_mul_f64_e32 v[175:176], v[2:3], v[36:37]
	v_mul_f64_e32 v[36:37], v[4:5], v[36:37]
	v_add_f64_e32 v[173:174], v[173:174], v[183:184]
	v_add_f64_e32 v[171:172], v[171:172], v[181:182]
	s_delay_alu instid0(VALU_DEP_4) | instskip(NEXT) | instid1(VALU_DEP_4)
	v_fma_f64 v[175:176], v[4:5], v[34:35], v[175:176]
	v_fma_f64 v[181:182], v[2:3], v[34:35], -v[36:37]
	ds_load_b128 v[2:5], v1 offset:1520
	s_wait_loadcnt_dscnt 0x801
	v_mul_f64_e32 v[179:180], v[167:168], v[8:9]
	v_mul_f64_e32 v[8:9], v[169:170], v[8:9]
	scratch_load_b128 v[34:37], off, off offset:752
	s_wait_loadcnt_dscnt 0x800
	v_mul_f64_e32 v[183:184], v[2:3], v[12:13]
	v_add_f64_e32 v[165:166], v[173:174], v[165:166]
	v_add_f64_e32 v[177:178], v[171:172], v[177:178]
	v_mul_f64_e32 v[12:13], v[4:5], v[12:13]
	ds_load_b128 v[171:174], v1 offset:1536
	v_fma_f64 v[169:170], v[169:170], v[6:7], v[179:180]
	v_fma_f64 v[167:168], v[167:168], v[6:7], -v[8:9]
	scratch_load_b128 v[6:9], off, off offset:768
	v_fma_f64 v[179:180], v[4:5], v[10:11], v[183:184]
	v_add_f64_e32 v[165:166], v[165:166], v[181:182]
	v_add_f64_e32 v[175:176], v[177:178], v[175:176]
	v_fma_f64 v[181:182], v[2:3], v[10:11], -v[12:13]
	ds_load_b128 v[2:5], v1 offset:1552
	s_wait_loadcnt_dscnt 0x801
	v_mul_f64_e32 v[177:178], v[171:172], v[16:17]
	v_mul_f64_e32 v[16:17], v[173:174], v[16:17]
	scratch_load_b128 v[10:13], off, off offset:784
	v_add_f64_e32 v[183:184], v[165:166], v[167:168]
	v_add_f64_e32 v[169:170], v[175:176], v[169:170]
	s_wait_loadcnt_dscnt 0x800
	v_mul_f64_e32 v[175:176], v[2:3], v[20:21]
	v_mul_f64_e32 v[20:21], v[4:5], v[20:21]
	v_fma_f64 v[173:174], v[173:174], v[14:15], v[177:178]
	v_fma_f64 v[171:172], v[171:172], v[14:15], -v[16:17]
	ds_load_b128 v[165:168], v1 offset:1568
	scratch_load_b128 v[14:17], off, off offset:800
	v_add_f64_e32 v[177:178], v[183:184], v[181:182]
	v_add_f64_e32 v[169:170], v[169:170], v[179:180]
	v_fma_f64 v[175:176], v[4:5], v[18:19], v[175:176]
	v_fma_f64 v[181:182], v[2:3], v[18:19], -v[20:21]
	ds_load_b128 v[2:5], v1 offset:1584
	s_wait_loadcnt_dscnt 0x801
	v_mul_f64_e32 v[179:180], v[165:166], v[24:25]
	v_mul_f64_e32 v[24:25], v[167:168], v[24:25]
	scratch_load_b128 v[18:21], off, off offset:816
	s_wait_loadcnt_dscnt 0x800
	v_mul_f64_e32 v[183:184], v[2:3], v[28:29]
	v_mul_f64_e32 v[28:29], v[4:5], v[28:29]
	v_add_f64_e32 v[177:178], v[177:178], v[171:172]
	v_add_f64_e32 v[173:174], v[169:170], v[173:174]
	ds_load_b128 v[169:172], v1 offset:1600
	v_fma_f64 v[167:168], v[167:168], v[22:23], v[179:180]
	v_fma_f64 v[165:166], v[165:166], v[22:23], -v[24:25]
	scratch_load_b128 v[22:25], off, off offset:832
	v_fma_f64 v[179:180], v[4:5], v[26:27], v[183:184]
	v_add_f64_e32 v[177:178], v[177:178], v[181:182]
	v_add_f64_e32 v[173:174], v[173:174], v[175:176]
	v_fma_f64 v[181:182], v[2:3], v[26:27], -v[28:29]
	ds_load_b128 v[2:5], v1 offset:1616
	s_wait_loadcnt_dscnt 0x801
	v_mul_f64_e32 v[175:176], v[169:170], v[32:33]
	v_mul_f64_e32 v[32:33], v[171:172], v[32:33]
	scratch_load_b128 v[26:29], off, off offset:848
	s_wait_loadcnt_dscnt 0x800
	v_mul_f64_e32 v[183:184], v[2:3], v[40:41]
	v_mul_f64_e32 v[40:41], v[4:5], v[40:41]
	v_add_f64_e32 v[177:178], v[177:178], v[165:166]
	v_add_f64_e32 v[173:174], v[173:174], v[167:168]
	ds_load_b128 v[165:168], v1 offset:1632
	v_fma_f64 v[171:172], v[171:172], v[30:31], v[175:176]
	v_fma_f64 v[169:170], v[169:170], v[30:31], -v[32:33]
	scratch_load_b128 v[30:33], off, off offset:864
	v_add_f64_e32 v[175:176], v[177:178], v[181:182]
	v_add_f64_e32 v[173:174], v[173:174], v[179:180]
	v_fma_f64 v[179:180], v[4:5], v[38:39], v[183:184]
	v_fma_f64 v[181:182], v[2:3], v[38:39], -v[40:41]
	ds_load_b128 v[2:5], v1 offset:1648
	s_wait_loadcnt_dscnt 0x801
	v_mul_f64_e32 v[177:178], v[165:166], v[163:164]
	v_mul_f64_e32 v[163:164], v[167:168], v[163:164]
	scratch_load_b128 v[38:41], off, off offset:880
	s_wait_loadcnt_dscnt 0x800
	v_mul_f64_e32 v[183:184], v[2:3], v[36:37]
	v_mul_f64_e32 v[36:37], v[4:5], v[36:37]
	v_add_f64_e32 v[175:176], v[175:176], v[169:170]
	v_add_f64_e32 v[173:174], v[173:174], v[171:172]
	ds_load_b128 v[169:172], v1 offset:1664
	v_fma_f64 v[167:168], v[167:168], v[161:162], v[177:178]
	v_fma_f64 v[165:166], v[165:166], v[161:162], -v[163:164]
	scratch_load_b128 v[161:164], off, off offset:896
	v_add_f64_e32 v[175:176], v[175:176], v[181:182]
	v_add_f64_e32 v[173:174], v[173:174], v[179:180]
	v_fma_f64 v[179:180], v[4:5], v[34:35], v[183:184]
	v_fma_f64 v[181:182], v[2:3], v[34:35], -v[36:37]
	ds_load_b128 v[2:5], v1 offset:1680
	s_wait_loadcnt_dscnt 0x801
	v_mul_f64_e32 v[177:178], v[169:170], v[8:9]
	v_mul_f64_e32 v[8:9], v[171:172], v[8:9]
	scratch_load_b128 v[34:37], off, off offset:912
	s_wait_loadcnt_dscnt 0x800
	v_mul_f64_e32 v[183:184], v[2:3], v[12:13]
	v_mul_f64_e32 v[12:13], v[4:5], v[12:13]
	v_add_f64_e32 v[175:176], v[175:176], v[165:166]
	v_add_f64_e32 v[173:174], v[173:174], v[167:168]
	ds_load_b128 v[165:168], v1 offset:1696
	v_fma_f64 v[171:172], v[171:172], v[6:7], v[177:178]
	v_fma_f64 v[6:7], v[169:170], v[6:7], -v[8:9]
	v_add_f64_e32 v[8:9], v[175:176], v[181:182]
	v_add_f64_e32 v[169:170], v[173:174], v[179:180]
	s_wait_loadcnt_dscnt 0x700
	v_mul_f64_e32 v[173:174], v[165:166], v[16:17]
	v_mul_f64_e32 v[16:17], v[167:168], v[16:17]
	v_fma_f64 v[175:176], v[4:5], v[10:11], v[183:184]
	v_fma_f64 v[10:11], v[2:3], v[10:11], -v[12:13]
	v_add_f64_e32 v[12:13], v[8:9], v[6:7]
	v_add_f64_e32 v[169:170], v[169:170], v[171:172]
	ds_load_b128 v[2:5], v1 offset:1712
	ds_load_b128 v[6:9], v1 offset:1728
	v_fma_f64 v[167:168], v[167:168], v[14:15], v[173:174]
	v_fma_f64 v[14:15], v[165:166], v[14:15], -v[16:17]
	s_wait_loadcnt_dscnt 0x601
	v_mul_f64_e32 v[171:172], v[2:3], v[20:21]
	v_mul_f64_e32 v[20:21], v[4:5], v[20:21]
	s_wait_loadcnt_dscnt 0x500
	v_mul_f64_e32 v[16:17], v[6:7], v[24:25]
	v_mul_f64_e32 v[24:25], v[8:9], v[24:25]
	v_add_f64_e32 v[10:11], v[12:13], v[10:11]
	v_add_f64_e32 v[12:13], v[169:170], v[175:176]
	v_fma_f64 v[165:166], v[4:5], v[18:19], v[171:172]
	v_fma_f64 v[18:19], v[2:3], v[18:19], -v[20:21]
	v_fma_f64 v[8:9], v[8:9], v[22:23], v[16:17]
	v_fma_f64 v[6:7], v[6:7], v[22:23], -v[24:25]
	v_add_f64_e32 v[14:15], v[10:11], v[14:15]
	v_add_f64_e32 v[20:21], v[12:13], v[167:168]
	ds_load_b128 v[2:5], v1 offset:1744
	ds_load_b128 v[10:13], v1 offset:1760
	s_wait_loadcnt_dscnt 0x401
	v_mul_f64_e32 v[167:168], v[2:3], v[28:29]
	v_mul_f64_e32 v[28:29], v[4:5], v[28:29]
	v_add_f64_e32 v[14:15], v[14:15], v[18:19]
	v_add_f64_e32 v[16:17], v[20:21], v[165:166]
	s_wait_loadcnt_dscnt 0x300
	v_mul_f64_e32 v[18:19], v[10:11], v[32:33]
	v_mul_f64_e32 v[20:21], v[12:13], v[32:33]
	v_fma_f64 v[22:23], v[4:5], v[26:27], v[167:168]
	v_fma_f64 v[24:25], v[2:3], v[26:27], -v[28:29]
	v_add_f64_e32 v[14:15], v[14:15], v[6:7]
	v_add_f64_e32 v[16:17], v[16:17], v[8:9]
	ds_load_b128 v[2:5], v1 offset:1776
	ds_load_b128 v[6:9], v1 offset:1792
	v_fma_f64 v[12:13], v[12:13], v[30:31], v[18:19]
	v_fma_f64 v[10:11], v[10:11], v[30:31], -v[20:21]
	s_wait_loadcnt_dscnt 0x201
	v_mul_f64_e32 v[26:27], v[2:3], v[40:41]
	v_mul_f64_e32 v[28:29], v[4:5], v[40:41]
	s_wait_loadcnt_dscnt 0x100
	v_mul_f64_e32 v[18:19], v[6:7], v[163:164]
	v_mul_f64_e32 v[20:21], v[8:9], v[163:164]
	v_add_f64_e32 v[14:15], v[14:15], v[24:25]
	v_add_f64_e32 v[16:17], v[16:17], v[22:23]
	v_fma_f64 v[22:23], v[4:5], v[38:39], v[26:27]
	v_fma_f64 v[24:25], v[2:3], v[38:39], -v[28:29]
	ds_load_b128 v[2:5], v1 offset:1808
	v_fma_f64 v[8:9], v[8:9], v[161:162], v[18:19]
	v_fma_f64 v[6:7], v[6:7], v[161:162], -v[20:21]
	v_add_f64_e32 v[10:11], v[14:15], v[10:11]
	v_add_f64_e32 v[12:13], v[16:17], v[12:13]
	s_wait_loadcnt_dscnt 0x0
	v_mul_f64_e32 v[14:15], v[2:3], v[36:37]
	v_mul_f64_e32 v[16:17], v[4:5], v[36:37]
	s_delay_alu instid0(VALU_DEP_4) | instskip(NEXT) | instid1(VALU_DEP_4)
	v_add_f64_e32 v[10:11], v[10:11], v[24:25]
	v_add_f64_e32 v[12:13], v[12:13], v[22:23]
	s_delay_alu instid0(VALU_DEP_4) | instskip(NEXT) | instid1(VALU_DEP_4)
	v_fma_f64 v[4:5], v[4:5], v[34:35], v[14:15]
	v_fma_f64 v[2:3], v[2:3], v[34:35], -v[16:17]
	s_delay_alu instid0(VALU_DEP_4) | instskip(NEXT) | instid1(VALU_DEP_4)
	v_add_f64_e32 v[6:7], v[10:11], v[6:7]
	v_add_f64_e32 v[8:9], v[12:13], v[8:9]
	s_delay_alu instid0(VALU_DEP_2) | instskip(NEXT) | instid1(VALU_DEP_2)
	v_add_f64_e32 v[2:3], v[6:7], v[2:3]
	v_add_f64_e32 v[4:5], v[8:9], v[4:5]
	s_delay_alu instid0(VALU_DEP_2) | instskip(NEXT) | instid1(VALU_DEP_2)
	v_add_f64_e64 v[2:3], v[42:43], -v[2:3]
	v_add_f64_e64 v[4:5], v[44:45], -v[4:5]
	scratch_store_b128 off, v[2:5], off offset:416
	v_cmpx_lt_u32_e32 24, v0
	s_cbranch_execz .LBB56_307
; %bb.306:
	scratch_load_b128 v[5:8], off, s46
	v_dual_mov_b32 v2, v1 :: v_dual_mov_b32 v3, v1
	v_mov_b32_e32 v4, v1
	scratch_store_b128 off, v[1:4], off offset:400
	s_wait_loadcnt 0x0
	ds_store_b128 v160, v[5:8]
.LBB56_307:
	s_wait_alu 0xfffe
	s_or_b32 exec_lo, exec_lo, s0
	s_wait_storecnt_dscnt 0x0
	s_barrier_signal -1
	s_barrier_wait -1
	global_inv scope:SCOPE_SE
	s_clause 0x8
	scratch_load_b128 v[2:5], off, off offset:416
	scratch_load_b128 v[6:9], off, off offset:432
	;; [unrolled: 1-line block ×9, first 2 shown]
	ds_load_b128 v[38:41], v1 offset:1312
	ds_load_b128 v[42:45], v1 offset:1328
	s_clause 0x1
	scratch_load_b128 v[161:164], off, off offset:400
	scratch_load_b128 v[165:168], off, off offset:560
	s_mov_b32 s0, exec_lo
	s_wait_loadcnt_dscnt 0xa01
	v_mul_f64_e32 v[169:170], v[40:41], v[4:5]
	v_mul_f64_e32 v[4:5], v[38:39], v[4:5]
	s_wait_loadcnt_dscnt 0x900
	v_mul_f64_e32 v[173:174], v[42:43], v[8:9]
	v_mul_f64_e32 v[8:9], v[44:45], v[8:9]
	s_delay_alu instid0(VALU_DEP_4) | instskip(NEXT) | instid1(VALU_DEP_4)
	v_fma_f64 v[175:176], v[38:39], v[2:3], -v[169:170]
	v_fma_f64 v[177:178], v[40:41], v[2:3], v[4:5]
	ds_load_b128 v[2:5], v1 offset:1344
	ds_load_b128 v[169:172], v1 offset:1360
	scratch_load_b128 v[38:41], off, off offset:576
	v_fma_f64 v[44:45], v[44:45], v[6:7], v[173:174]
	v_fma_f64 v[42:43], v[42:43], v[6:7], -v[8:9]
	scratch_load_b128 v[6:9], off, off offset:592
	s_wait_loadcnt_dscnt 0xa01
	v_mul_f64_e32 v[179:180], v[2:3], v[12:13]
	v_mul_f64_e32 v[12:13], v[4:5], v[12:13]
	v_add_f64_e32 v[173:174], 0, v[175:176]
	v_add_f64_e32 v[175:176], 0, v[177:178]
	s_wait_loadcnt_dscnt 0x900
	v_mul_f64_e32 v[177:178], v[169:170], v[16:17]
	v_mul_f64_e32 v[16:17], v[171:172], v[16:17]
	v_fma_f64 v[179:180], v[4:5], v[10:11], v[179:180]
	v_fma_f64 v[181:182], v[2:3], v[10:11], -v[12:13]
	ds_load_b128 v[2:5], v1 offset:1376
	scratch_load_b128 v[10:13], off, off offset:608
	v_add_f64_e32 v[173:174], v[173:174], v[42:43]
	v_add_f64_e32 v[175:176], v[175:176], v[44:45]
	ds_load_b128 v[42:45], v1 offset:1392
	v_fma_f64 v[171:172], v[171:172], v[14:15], v[177:178]
	v_fma_f64 v[169:170], v[169:170], v[14:15], -v[16:17]
	scratch_load_b128 v[14:17], off, off offset:624
	s_wait_loadcnt_dscnt 0xa01
	v_mul_f64_e32 v[183:184], v[2:3], v[20:21]
	v_mul_f64_e32 v[20:21], v[4:5], v[20:21]
	s_wait_loadcnt_dscnt 0x900
	v_mul_f64_e32 v[177:178], v[42:43], v[24:25]
	v_mul_f64_e32 v[24:25], v[44:45], v[24:25]
	v_add_f64_e32 v[173:174], v[173:174], v[181:182]
	v_add_f64_e32 v[175:176], v[175:176], v[179:180]
	v_fma_f64 v[179:180], v[4:5], v[18:19], v[183:184]
	v_fma_f64 v[181:182], v[2:3], v[18:19], -v[20:21]
	ds_load_b128 v[2:5], v1 offset:1408
	scratch_load_b128 v[18:21], off, off offset:640
	v_fma_f64 v[44:45], v[44:45], v[22:23], v[177:178]
	v_fma_f64 v[42:43], v[42:43], v[22:23], -v[24:25]
	scratch_load_b128 v[22:25], off, off offset:656
	v_add_f64_e32 v[173:174], v[173:174], v[169:170]
	v_add_f64_e32 v[175:176], v[175:176], v[171:172]
	ds_load_b128 v[169:172], v1 offset:1424
	s_wait_loadcnt_dscnt 0xa01
	v_mul_f64_e32 v[183:184], v[2:3], v[28:29]
	v_mul_f64_e32 v[28:29], v[4:5], v[28:29]
	s_wait_loadcnt_dscnt 0x900
	v_mul_f64_e32 v[177:178], v[169:170], v[32:33]
	v_mul_f64_e32 v[32:33], v[171:172], v[32:33]
	v_add_f64_e32 v[173:174], v[173:174], v[181:182]
	v_add_f64_e32 v[175:176], v[175:176], v[179:180]
	v_fma_f64 v[179:180], v[4:5], v[26:27], v[183:184]
	v_fma_f64 v[181:182], v[2:3], v[26:27], -v[28:29]
	ds_load_b128 v[2:5], v1 offset:1440
	scratch_load_b128 v[26:29], off, off offset:672
	v_fma_f64 v[171:172], v[171:172], v[30:31], v[177:178]
	v_fma_f64 v[169:170], v[169:170], v[30:31], -v[32:33]
	scratch_load_b128 v[30:33], off, off offset:688
	v_add_f64_e32 v[173:174], v[173:174], v[42:43]
	v_add_f64_e32 v[175:176], v[175:176], v[44:45]
	ds_load_b128 v[42:45], v1 offset:1456
	s_wait_loadcnt_dscnt 0xa01
	v_mul_f64_e32 v[183:184], v[2:3], v[36:37]
	v_mul_f64_e32 v[36:37], v[4:5], v[36:37]
	s_wait_loadcnt_dscnt 0x800
	v_mul_f64_e32 v[177:178], v[42:43], v[167:168]
	v_add_f64_e32 v[173:174], v[173:174], v[181:182]
	v_add_f64_e32 v[175:176], v[175:176], v[179:180]
	v_mul_f64_e32 v[179:180], v[44:45], v[167:168]
	v_fma_f64 v[181:182], v[4:5], v[34:35], v[183:184]
	v_fma_f64 v[183:184], v[2:3], v[34:35], -v[36:37]
	ds_load_b128 v[2:5], v1 offset:1472
	scratch_load_b128 v[34:37], off, off offset:704
	v_fma_f64 v[44:45], v[44:45], v[165:166], v[177:178]
	v_add_f64_e32 v[173:174], v[173:174], v[169:170]
	v_add_f64_e32 v[171:172], v[175:176], v[171:172]
	ds_load_b128 v[167:170], v1 offset:1488
	v_fma_f64 v[165:166], v[42:43], v[165:166], -v[179:180]
	s_wait_loadcnt_dscnt 0x801
	v_mul_f64_e32 v[175:176], v[2:3], v[40:41]
	v_mul_f64_e32 v[185:186], v[4:5], v[40:41]
	scratch_load_b128 v[40:43], off, off offset:720
	s_wait_loadcnt_dscnt 0x800
	v_mul_f64_e32 v[179:180], v[167:168], v[8:9]
	v_mul_f64_e32 v[8:9], v[169:170], v[8:9]
	v_add_f64_e32 v[173:174], v[173:174], v[183:184]
	v_add_f64_e32 v[171:172], v[171:172], v[181:182]
	v_fma_f64 v[181:182], v[4:5], v[38:39], v[175:176]
	v_fma_f64 v[38:39], v[2:3], v[38:39], -v[185:186]
	ds_load_b128 v[2:5], v1 offset:1504
	ds_load_b128 v[175:178], v1 offset:1520
	v_fma_f64 v[169:170], v[169:170], v[6:7], v[179:180]
	v_fma_f64 v[167:168], v[167:168], v[6:7], -v[8:9]
	scratch_load_b128 v[6:9], off, off offset:752
	v_add_f64_e32 v[165:166], v[173:174], v[165:166]
	v_add_f64_e32 v[44:45], v[171:172], v[44:45]
	scratch_load_b128 v[171:174], off, off offset:736
	s_wait_loadcnt_dscnt 0x901
	v_mul_f64_e32 v[183:184], v[2:3], v[12:13]
	v_mul_f64_e32 v[12:13], v[4:5], v[12:13]
	s_wait_loadcnt_dscnt 0x800
	v_mul_f64_e32 v[179:180], v[175:176], v[16:17]
	v_mul_f64_e32 v[16:17], v[177:178], v[16:17]
	v_add_f64_e32 v[38:39], v[165:166], v[38:39]
	v_add_f64_e32 v[44:45], v[44:45], v[181:182]
	v_fma_f64 v[181:182], v[4:5], v[10:11], v[183:184]
	v_fma_f64 v[183:184], v[2:3], v[10:11], -v[12:13]
	ds_load_b128 v[2:5], v1 offset:1536
	scratch_load_b128 v[10:13], off, off offset:768
	v_fma_f64 v[177:178], v[177:178], v[14:15], v[179:180]
	v_fma_f64 v[175:176], v[175:176], v[14:15], -v[16:17]
	scratch_load_b128 v[14:17], off, off offset:784
	v_add_f64_e32 v[38:39], v[38:39], v[167:168]
	v_add_f64_e32 v[44:45], v[44:45], v[169:170]
	ds_load_b128 v[165:168], v1 offset:1552
	s_wait_loadcnt_dscnt 0x901
	v_mul_f64_e32 v[169:170], v[2:3], v[20:21]
	v_mul_f64_e32 v[20:21], v[4:5], v[20:21]
	s_wait_loadcnt_dscnt 0x800
	v_mul_f64_e32 v[179:180], v[165:166], v[24:25]
	v_mul_f64_e32 v[24:25], v[167:168], v[24:25]
	v_add_f64_e32 v[38:39], v[38:39], v[183:184]
	v_add_f64_e32 v[44:45], v[44:45], v[181:182]
	v_fma_f64 v[169:170], v[4:5], v[18:19], v[169:170]
	v_fma_f64 v[181:182], v[2:3], v[18:19], -v[20:21]
	ds_load_b128 v[2:5], v1 offset:1568
	scratch_load_b128 v[18:21], off, off offset:800
	v_fma_f64 v[167:168], v[167:168], v[22:23], v[179:180]
	v_fma_f64 v[165:166], v[165:166], v[22:23], -v[24:25]
	scratch_load_b128 v[22:25], off, off offset:816
	v_add_f64_e32 v[38:39], v[38:39], v[175:176]
	v_add_f64_e32 v[44:45], v[44:45], v[177:178]
	ds_load_b128 v[175:178], v1 offset:1584
	s_wait_loadcnt_dscnt 0x901
	v_mul_f64_e32 v[183:184], v[2:3], v[28:29]
	v_mul_f64_e32 v[28:29], v[4:5], v[28:29]
	v_add_f64_e32 v[38:39], v[38:39], v[181:182]
	v_add_f64_e32 v[44:45], v[44:45], v[169:170]
	s_wait_loadcnt_dscnt 0x800
	v_mul_f64_e32 v[169:170], v[175:176], v[32:33]
	v_mul_f64_e32 v[32:33], v[177:178], v[32:33]
	v_fma_f64 v[179:180], v[4:5], v[26:27], v[183:184]
	v_fma_f64 v[181:182], v[2:3], v[26:27], -v[28:29]
	ds_load_b128 v[2:5], v1 offset:1600
	scratch_load_b128 v[26:29], off, off offset:832
	v_add_f64_e32 v[38:39], v[38:39], v[165:166]
	v_add_f64_e32 v[44:45], v[44:45], v[167:168]
	ds_load_b128 v[165:168], v1 offset:1616
	s_wait_loadcnt_dscnt 0x801
	v_mul_f64_e32 v[183:184], v[2:3], v[36:37]
	v_mul_f64_e32 v[36:37], v[4:5], v[36:37]
	v_fma_f64 v[169:170], v[177:178], v[30:31], v[169:170]
	v_fma_f64 v[175:176], v[175:176], v[30:31], -v[32:33]
	scratch_load_b128 v[30:33], off, off offset:848
	s_wait_loadcnt_dscnt 0x800
	v_mul_f64_e32 v[177:178], v[165:166], v[42:43]
	v_add_f64_e32 v[38:39], v[38:39], v[181:182]
	v_add_f64_e32 v[44:45], v[44:45], v[179:180]
	v_mul_f64_e32 v[179:180], v[167:168], v[42:43]
	v_fma_f64 v[181:182], v[4:5], v[34:35], v[183:184]
	v_fma_f64 v[183:184], v[2:3], v[34:35], -v[36:37]
	ds_load_b128 v[2:5], v1 offset:1632
	scratch_load_b128 v[34:37], off, off offset:864
	v_fma_f64 v[167:168], v[167:168], v[40:41], v[177:178]
	v_add_f64_e32 v[38:39], v[38:39], v[175:176]
	v_add_f64_e32 v[169:170], v[44:45], v[169:170]
	ds_load_b128 v[42:45], v1 offset:1648
	v_fma_f64 v[165:166], v[165:166], v[40:41], -v[179:180]
	s_wait_loadcnt_dscnt 0x701
	v_mul_f64_e32 v[175:176], v[2:3], v[173:174]
	v_mul_f64_e32 v[173:174], v[4:5], v[173:174]
	s_wait_dscnt 0x0
	v_mul_f64_e32 v[179:180], v[42:43], v[8:9]
	v_mul_f64_e32 v[8:9], v[44:45], v[8:9]
	v_add_f64_e32 v[177:178], v[38:39], v[183:184]
	v_add_f64_e32 v[169:170], v[169:170], v[181:182]
	scratch_load_b128 v[38:41], off, off offset:880
	v_fma_f64 v[175:176], v[4:5], v[171:172], v[175:176]
	v_fma_f64 v[173:174], v[2:3], v[171:172], -v[173:174]
	ds_load_b128 v[2:5], v1 offset:1664
	v_fma_f64 v[44:45], v[44:45], v[6:7], v[179:180]
	v_fma_f64 v[42:43], v[42:43], v[6:7], -v[8:9]
	scratch_load_b128 v[6:9], off, off offset:912
	v_add_f64_e32 v[177:178], v[177:178], v[165:166]
	v_add_f64_e32 v[181:182], v[169:170], v[167:168]
	scratch_load_b128 v[165:168], off, off offset:896
	ds_load_b128 v[169:172], v1 offset:1680
	s_wait_loadcnt_dscnt 0x901
	v_mul_f64_e32 v[183:184], v[2:3], v[12:13]
	v_mul_f64_e32 v[12:13], v[4:5], v[12:13]
	v_add_f64_e32 v[173:174], v[177:178], v[173:174]
	v_add_f64_e32 v[175:176], v[181:182], v[175:176]
	s_wait_loadcnt_dscnt 0x800
	v_mul_f64_e32 v[177:178], v[169:170], v[16:17]
	v_mul_f64_e32 v[16:17], v[171:172], v[16:17]
	v_fma_f64 v[179:180], v[4:5], v[10:11], v[183:184]
	v_fma_f64 v[181:182], v[2:3], v[10:11], -v[12:13]
	ds_load_b128 v[2:5], v1 offset:1696
	ds_load_b128 v[10:13], v1 offset:1712
	v_add_f64_e32 v[42:43], v[173:174], v[42:43]
	v_add_f64_e32 v[44:45], v[175:176], v[44:45]
	s_wait_loadcnt_dscnt 0x701
	v_mul_f64_e32 v[173:174], v[2:3], v[20:21]
	v_mul_f64_e32 v[20:21], v[4:5], v[20:21]
	v_fma_f64 v[171:172], v[171:172], v[14:15], v[177:178]
	v_fma_f64 v[14:15], v[169:170], v[14:15], -v[16:17]
	v_add_f64_e32 v[16:17], v[42:43], v[181:182]
	v_add_f64_e32 v[42:43], v[44:45], v[179:180]
	s_wait_loadcnt_dscnt 0x600
	v_mul_f64_e32 v[44:45], v[10:11], v[24:25]
	v_mul_f64_e32 v[24:25], v[12:13], v[24:25]
	v_fma_f64 v[169:170], v[4:5], v[18:19], v[173:174]
	v_fma_f64 v[18:19], v[2:3], v[18:19], -v[20:21]
	v_add_f64_e32 v[20:21], v[16:17], v[14:15]
	v_add_f64_e32 v[42:43], v[42:43], v[171:172]
	ds_load_b128 v[2:5], v1 offset:1728
	ds_load_b128 v[14:17], v1 offset:1744
	v_fma_f64 v[12:13], v[12:13], v[22:23], v[44:45]
	v_fma_f64 v[10:11], v[10:11], v[22:23], -v[24:25]
	s_wait_loadcnt_dscnt 0x501
	v_mul_f64_e32 v[171:172], v[2:3], v[28:29]
	v_mul_f64_e32 v[28:29], v[4:5], v[28:29]
	s_wait_loadcnt_dscnt 0x400
	v_mul_f64_e32 v[22:23], v[14:15], v[32:33]
	v_mul_f64_e32 v[24:25], v[16:17], v[32:33]
	v_add_f64_e32 v[18:19], v[20:21], v[18:19]
	v_add_f64_e32 v[20:21], v[42:43], v[169:170]
	v_fma_f64 v[32:33], v[4:5], v[26:27], v[171:172]
	v_fma_f64 v[26:27], v[2:3], v[26:27], -v[28:29]
	v_fma_f64 v[16:17], v[16:17], v[30:31], v[22:23]
	v_fma_f64 v[14:15], v[14:15], v[30:31], -v[24:25]
	v_add_f64_e32 v[18:19], v[18:19], v[10:11]
	v_add_f64_e32 v[20:21], v[20:21], v[12:13]
	ds_load_b128 v[2:5], v1 offset:1760
	ds_load_b128 v[10:13], v1 offset:1776
	s_wait_loadcnt_dscnt 0x301
	v_mul_f64_e32 v[28:29], v[2:3], v[36:37]
	v_mul_f64_e32 v[36:37], v[4:5], v[36:37]
	v_add_f64_e32 v[18:19], v[18:19], v[26:27]
	v_add_f64_e32 v[20:21], v[20:21], v[32:33]
	s_wait_loadcnt_dscnt 0x200
	v_mul_f64_e32 v[22:23], v[10:11], v[40:41]
	v_mul_f64_e32 v[24:25], v[12:13], v[40:41]
	v_fma_f64 v[26:27], v[4:5], v[34:35], v[28:29]
	v_fma_f64 v[28:29], v[2:3], v[34:35], -v[36:37]
	v_add_f64_e32 v[18:19], v[18:19], v[14:15]
	v_add_f64_e32 v[20:21], v[20:21], v[16:17]
	ds_load_b128 v[2:5], v1 offset:1792
	ds_load_b128 v[14:17], v1 offset:1808
	v_fma_f64 v[12:13], v[12:13], v[38:39], v[22:23]
	v_fma_f64 v[10:11], v[10:11], v[38:39], -v[24:25]
	s_wait_loadcnt_dscnt 0x1
	v_mul_f64_e32 v[30:31], v[2:3], v[167:168]
	v_mul_f64_e32 v[32:33], v[4:5], v[167:168]
	s_wait_dscnt 0x0
	v_mul_f64_e32 v[22:23], v[14:15], v[8:9]
	v_mul_f64_e32 v[8:9], v[16:17], v[8:9]
	v_add_f64_e32 v[18:19], v[18:19], v[28:29]
	v_add_f64_e32 v[20:21], v[20:21], v[26:27]
	v_fma_f64 v[4:5], v[4:5], v[165:166], v[30:31]
	v_fma_f64 v[1:2], v[2:3], v[165:166], -v[32:33]
	v_fma_f64 v[16:17], v[16:17], v[6:7], v[22:23]
	v_fma_f64 v[6:7], v[14:15], v[6:7], -v[8:9]
	v_add_f64_e32 v[10:11], v[18:19], v[10:11]
	v_add_f64_e32 v[12:13], v[20:21], v[12:13]
	s_delay_alu instid0(VALU_DEP_2) | instskip(NEXT) | instid1(VALU_DEP_2)
	v_add_f64_e32 v[1:2], v[10:11], v[1:2]
	v_add_f64_e32 v[3:4], v[12:13], v[4:5]
	s_delay_alu instid0(VALU_DEP_2) | instskip(NEXT) | instid1(VALU_DEP_2)
	;; [unrolled: 3-line block ×3, first 2 shown]
	v_add_f64_e64 v[1:2], v[161:162], -v[1:2]
	v_add_f64_e64 v[3:4], v[163:164], -v[3:4]
	scratch_store_b128 off, v[1:4], off offset:400
	v_cmpx_lt_u32_e32 23, v0
	s_cbranch_execz .LBB56_309
; %bb.308:
	scratch_load_b128 v[1:4], off, s47
	v_mov_b32_e32 v5, 0
	s_delay_alu instid0(VALU_DEP_1)
	v_dual_mov_b32 v6, v5 :: v_dual_mov_b32 v7, v5
	v_mov_b32_e32 v8, v5
	scratch_store_b128 off, v[5:8], off offset:384
	s_wait_loadcnt 0x0
	ds_store_b128 v160, v[1:4]
.LBB56_309:
	s_wait_alu 0xfffe
	s_or_b32 exec_lo, exec_lo, s0
	s_wait_storecnt_dscnt 0x0
	s_barrier_signal -1
	s_barrier_wait -1
	global_inv scope:SCOPE_SE
	s_clause 0x7
	scratch_load_b128 v[2:5], off, off offset:400
	scratch_load_b128 v[6:9], off, off offset:416
	;; [unrolled: 1-line block ×8, first 2 shown]
	v_mov_b32_e32 v1, 0
	s_mov_b32 s0, exec_lo
	ds_load_b128 v[34:37], v1 offset:1296
	s_clause 0x1
	scratch_load_b128 v[38:41], off, off offset:528
	scratch_load_b128 v[42:45], off, off offset:384
	ds_load_b128 v[161:164], v1 offset:1312
	scratch_load_b128 v[165:168], off, off offset:544
	s_wait_loadcnt_dscnt 0xa01
	v_mul_f64_e32 v[169:170], v[36:37], v[4:5]
	v_mul_f64_e32 v[4:5], v[34:35], v[4:5]
	s_delay_alu instid0(VALU_DEP_2) | instskip(NEXT) | instid1(VALU_DEP_2)
	v_fma_f64 v[175:176], v[34:35], v[2:3], -v[169:170]
	v_fma_f64 v[177:178], v[36:37], v[2:3], v[4:5]
	ds_load_b128 v[2:5], v1 offset:1328
	s_wait_loadcnt_dscnt 0x901
	v_mul_f64_e32 v[173:174], v[161:162], v[8:9]
	v_mul_f64_e32 v[8:9], v[163:164], v[8:9]
	scratch_load_b128 v[34:37], off, off offset:560
	ds_load_b128 v[169:172], v1 offset:1344
	s_wait_loadcnt_dscnt 0x901
	v_mul_f64_e32 v[179:180], v[2:3], v[12:13]
	v_mul_f64_e32 v[12:13], v[4:5], v[12:13]
	v_fma_f64 v[163:164], v[163:164], v[6:7], v[173:174]
	v_fma_f64 v[161:162], v[161:162], v[6:7], -v[8:9]
	v_add_f64_e32 v[173:174], 0, v[175:176]
	v_add_f64_e32 v[175:176], 0, v[177:178]
	scratch_load_b128 v[6:9], off, off offset:576
	v_fma_f64 v[179:180], v[4:5], v[10:11], v[179:180]
	v_fma_f64 v[181:182], v[2:3], v[10:11], -v[12:13]
	ds_load_b128 v[2:5], v1 offset:1360
	s_wait_loadcnt_dscnt 0x901
	v_mul_f64_e32 v[177:178], v[169:170], v[16:17]
	v_mul_f64_e32 v[16:17], v[171:172], v[16:17]
	scratch_load_b128 v[10:13], off, off offset:592
	v_add_f64_e32 v[173:174], v[173:174], v[161:162]
	v_add_f64_e32 v[175:176], v[175:176], v[163:164]
	s_wait_loadcnt_dscnt 0x900
	v_mul_f64_e32 v[183:184], v[2:3], v[20:21]
	v_mul_f64_e32 v[20:21], v[4:5], v[20:21]
	ds_load_b128 v[161:164], v1 offset:1376
	v_fma_f64 v[171:172], v[171:172], v[14:15], v[177:178]
	v_fma_f64 v[169:170], v[169:170], v[14:15], -v[16:17]
	scratch_load_b128 v[14:17], off, off offset:608
	v_add_f64_e32 v[173:174], v[173:174], v[181:182]
	v_add_f64_e32 v[175:176], v[175:176], v[179:180]
	v_fma_f64 v[179:180], v[4:5], v[18:19], v[183:184]
	v_fma_f64 v[181:182], v[2:3], v[18:19], -v[20:21]
	ds_load_b128 v[2:5], v1 offset:1392
	s_wait_loadcnt_dscnt 0x901
	v_mul_f64_e32 v[177:178], v[161:162], v[24:25]
	v_mul_f64_e32 v[24:25], v[163:164], v[24:25]
	scratch_load_b128 v[18:21], off, off offset:624
	s_wait_loadcnt_dscnt 0x900
	v_mul_f64_e32 v[183:184], v[2:3], v[28:29]
	v_mul_f64_e32 v[28:29], v[4:5], v[28:29]
	v_add_f64_e32 v[173:174], v[173:174], v[169:170]
	v_add_f64_e32 v[175:176], v[175:176], v[171:172]
	ds_load_b128 v[169:172], v1 offset:1408
	v_fma_f64 v[163:164], v[163:164], v[22:23], v[177:178]
	v_fma_f64 v[161:162], v[161:162], v[22:23], -v[24:25]
	scratch_load_b128 v[22:25], off, off offset:640
	v_add_f64_e32 v[173:174], v[173:174], v[181:182]
	v_add_f64_e32 v[175:176], v[175:176], v[179:180]
	v_fma_f64 v[179:180], v[4:5], v[26:27], v[183:184]
	v_fma_f64 v[181:182], v[2:3], v[26:27], -v[28:29]
	ds_load_b128 v[2:5], v1 offset:1424
	s_wait_loadcnt_dscnt 0x901
	v_mul_f64_e32 v[177:178], v[169:170], v[32:33]
	v_mul_f64_e32 v[32:33], v[171:172], v[32:33]
	scratch_load_b128 v[26:29], off, off offset:656
	s_wait_loadcnt_dscnt 0x900
	v_mul_f64_e32 v[183:184], v[2:3], v[40:41]
	v_mul_f64_e32 v[40:41], v[4:5], v[40:41]
	v_add_f64_e32 v[173:174], v[173:174], v[161:162]
	v_add_f64_e32 v[175:176], v[175:176], v[163:164]
	ds_load_b128 v[161:164], v1 offset:1440
	v_fma_f64 v[171:172], v[171:172], v[30:31], v[177:178]
	v_fma_f64 v[169:170], v[169:170], v[30:31], -v[32:33]
	scratch_load_b128 v[30:33], off, off offset:672
	v_add_f64_e32 v[173:174], v[173:174], v[181:182]
	v_add_f64_e32 v[175:176], v[175:176], v[179:180]
	v_fma_f64 v[181:182], v[4:5], v[38:39], v[183:184]
	v_fma_f64 v[183:184], v[2:3], v[38:39], -v[40:41]
	ds_load_b128 v[2:5], v1 offset:1456
	s_wait_loadcnt_dscnt 0x801
	v_mul_f64_e32 v[177:178], v[161:162], v[167:168]
	v_mul_f64_e32 v[179:180], v[163:164], v[167:168]
	scratch_load_b128 v[38:41], off, off offset:688
	v_add_f64_e32 v[173:174], v[173:174], v[169:170]
	v_add_f64_e32 v[171:172], v[175:176], v[171:172]
	ds_load_b128 v[167:170], v1 offset:1472
	v_fma_f64 v[177:178], v[163:164], v[165:166], v[177:178]
	v_fma_f64 v[165:166], v[161:162], v[165:166], -v[179:180]
	scratch_load_b128 v[161:164], off, off offset:704
	s_wait_loadcnt_dscnt 0x901
	v_mul_f64_e32 v[175:176], v[2:3], v[36:37]
	v_mul_f64_e32 v[36:37], v[4:5], v[36:37]
	v_add_f64_e32 v[173:174], v[173:174], v[183:184]
	v_add_f64_e32 v[171:172], v[171:172], v[181:182]
	s_delay_alu instid0(VALU_DEP_4) | instskip(NEXT) | instid1(VALU_DEP_4)
	v_fma_f64 v[175:176], v[4:5], v[34:35], v[175:176]
	v_fma_f64 v[181:182], v[2:3], v[34:35], -v[36:37]
	ds_load_b128 v[2:5], v1 offset:1488
	s_wait_loadcnt_dscnt 0x801
	v_mul_f64_e32 v[179:180], v[167:168], v[8:9]
	v_mul_f64_e32 v[8:9], v[169:170], v[8:9]
	scratch_load_b128 v[34:37], off, off offset:720
	s_wait_loadcnt_dscnt 0x800
	v_mul_f64_e32 v[183:184], v[2:3], v[12:13]
	v_add_f64_e32 v[165:166], v[173:174], v[165:166]
	v_add_f64_e32 v[177:178], v[171:172], v[177:178]
	v_mul_f64_e32 v[12:13], v[4:5], v[12:13]
	ds_load_b128 v[171:174], v1 offset:1504
	v_fma_f64 v[169:170], v[169:170], v[6:7], v[179:180]
	v_fma_f64 v[167:168], v[167:168], v[6:7], -v[8:9]
	scratch_load_b128 v[6:9], off, off offset:736
	v_fma_f64 v[179:180], v[4:5], v[10:11], v[183:184]
	v_add_f64_e32 v[165:166], v[165:166], v[181:182]
	v_add_f64_e32 v[175:176], v[177:178], v[175:176]
	v_fma_f64 v[181:182], v[2:3], v[10:11], -v[12:13]
	ds_load_b128 v[2:5], v1 offset:1520
	s_wait_loadcnt_dscnt 0x801
	v_mul_f64_e32 v[177:178], v[171:172], v[16:17]
	v_mul_f64_e32 v[16:17], v[173:174], v[16:17]
	scratch_load_b128 v[10:13], off, off offset:752
	v_add_f64_e32 v[183:184], v[165:166], v[167:168]
	v_add_f64_e32 v[169:170], v[175:176], v[169:170]
	s_wait_loadcnt_dscnt 0x800
	v_mul_f64_e32 v[175:176], v[2:3], v[20:21]
	v_mul_f64_e32 v[20:21], v[4:5], v[20:21]
	v_fma_f64 v[173:174], v[173:174], v[14:15], v[177:178]
	v_fma_f64 v[171:172], v[171:172], v[14:15], -v[16:17]
	ds_load_b128 v[165:168], v1 offset:1536
	scratch_load_b128 v[14:17], off, off offset:768
	v_add_f64_e32 v[177:178], v[183:184], v[181:182]
	v_add_f64_e32 v[169:170], v[169:170], v[179:180]
	v_fma_f64 v[175:176], v[4:5], v[18:19], v[175:176]
	v_fma_f64 v[181:182], v[2:3], v[18:19], -v[20:21]
	ds_load_b128 v[2:5], v1 offset:1552
	s_wait_loadcnt_dscnt 0x801
	v_mul_f64_e32 v[179:180], v[165:166], v[24:25]
	v_mul_f64_e32 v[24:25], v[167:168], v[24:25]
	scratch_load_b128 v[18:21], off, off offset:784
	s_wait_loadcnt_dscnt 0x800
	v_mul_f64_e32 v[183:184], v[2:3], v[28:29]
	v_mul_f64_e32 v[28:29], v[4:5], v[28:29]
	v_add_f64_e32 v[177:178], v[177:178], v[171:172]
	v_add_f64_e32 v[173:174], v[169:170], v[173:174]
	ds_load_b128 v[169:172], v1 offset:1568
	v_fma_f64 v[167:168], v[167:168], v[22:23], v[179:180]
	v_fma_f64 v[165:166], v[165:166], v[22:23], -v[24:25]
	scratch_load_b128 v[22:25], off, off offset:800
	v_fma_f64 v[179:180], v[4:5], v[26:27], v[183:184]
	v_add_f64_e32 v[177:178], v[177:178], v[181:182]
	v_add_f64_e32 v[173:174], v[173:174], v[175:176]
	v_fma_f64 v[181:182], v[2:3], v[26:27], -v[28:29]
	ds_load_b128 v[2:5], v1 offset:1584
	s_wait_loadcnt_dscnt 0x801
	v_mul_f64_e32 v[175:176], v[169:170], v[32:33]
	v_mul_f64_e32 v[32:33], v[171:172], v[32:33]
	scratch_load_b128 v[26:29], off, off offset:816
	s_wait_loadcnt_dscnt 0x800
	v_mul_f64_e32 v[183:184], v[2:3], v[40:41]
	v_mul_f64_e32 v[40:41], v[4:5], v[40:41]
	v_add_f64_e32 v[177:178], v[177:178], v[165:166]
	v_add_f64_e32 v[173:174], v[173:174], v[167:168]
	ds_load_b128 v[165:168], v1 offset:1600
	v_fma_f64 v[171:172], v[171:172], v[30:31], v[175:176]
	v_fma_f64 v[169:170], v[169:170], v[30:31], -v[32:33]
	scratch_load_b128 v[30:33], off, off offset:832
	v_add_f64_e32 v[175:176], v[177:178], v[181:182]
	v_add_f64_e32 v[173:174], v[173:174], v[179:180]
	v_fma_f64 v[179:180], v[4:5], v[38:39], v[183:184]
	v_fma_f64 v[181:182], v[2:3], v[38:39], -v[40:41]
	ds_load_b128 v[2:5], v1 offset:1616
	s_wait_loadcnt_dscnt 0x801
	v_mul_f64_e32 v[177:178], v[165:166], v[163:164]
	v_mul_f64_e32 v[163:164], v[167:168], v[163:164]
	scratch_load_b128 v[38:41], off, off offset:848
	s_wait_loadcnt_dscnt 0x800
	v_mul_f64_e32 v[183:184], v[2:3], v[36:37]
	v_mul_f64_e32 v[36:37], v[4:5], v[36:37]
	v_add_f64_e32 v[175:176], v[175:176], v[169:170]
	v_add_f64_e32 v[173:174], v[173:174], v[171:172]
	ds_load_b128 v[169:172], v1 offset:1632
	v_fma_f64 v[167:168], v[167:168], v[161:162], v[177:178]
	v_fma_f64 v[165:166], v[165:166], v[161:162], -v[163:164]
	scratch_load_b128 v[161:164], off, off offset:864
	v_add_f64_e32 v[175:176], v[175:176], v[181:182]
	v_add_f64_e32 v[173:174], v[173:174], v[179:180]
	v_fma_f64 v[179:180], v[4:5], v[34:35], v[183:184]
	;; [unrolled: 18-line block ×3, first 2 shown]
	v_fma_f64 v[181:182], v[2:3], v[10:11], -v[12:13]
	ds_load_b128 v[2:5], v1 offset:1680
	s_wait_loadcnt_dscnt 0x801
	v_mul_f64_e32 v[177:178], v[165:166], v[16:17]
	v_mul_f64_e32 v[16:17], v[167:168], v[16:17]
	scratch_load_b128 v[10:13], off, off offset:912
	s_wait_loadcnt_dscnt 0x800
	v_mul_f64_e32 v[183:184], v[2:3], v[20:21]
	v_mul_f64_e32 v[20:21], v[4:5], v[20:21]
	v_add_f64_e32 v[175:176], v[175:176], v[169:170]
	v_add_f64_e32 v[173:174], v[173:174], v[171:172]
	ds_load_b128 v[169:172], v1 offset:1696
	v_fma_f64 v[167:168], v[167:168], v[14:15], v[177:178]
	v_fma_f64 v[14:15], v[165:166], v[14:15], -v[16:17]
	v_add_f64_e32 v[16:17], v[175:176], v[181:182]
	v_add_f64_e32 v[165:166], v[173:174], v[179:180]
	s_wait_loadcnt_dscnt 0x700
	v_mul_f64_e32 v[173:174], v[169:170], v[24:25]
	v_mul_f64_e32 v[24:25], v[171:172], v[24:25]
	v_fma_f64 v[175:176], v[4:5], v[18:19], v[183:184]
	v_fma_f64 v[18:19], v[2:3], v[18:19], -v[20:21]
	v_add_f64_e32 v[20:21], v[16:17], v[14:15]
	v_add_f64_e32 v[165:166], v[165:166], v[167:168]
	ds_load_b128 v[2:5], v1 offset:1712
	ds_load_b128 v[14:17], v1 offset:1728
	v_fma_f64 v[171:172], v[171:172], v[22:23], v[173:174]
	v_fma_f64 v[22:23], v[169:170], v[22:23], -v[24:25]
	s_wait_loadcnt_dscnt 0x601
	v_mul_f64_e32 v[167:168], v[2:3], v[28:29]
	v_mul_f64_e32 v[28:29], v[4:5], v[28:29]
	s_wait_loadcnt_dscnt 0x500
	v_mul_f64_e32 v[24:25], v[14:15], v[32:33]
	v_mul_f64_e32 v[32:33], v[16:17], v[32:33]
	v_add_f64_e32 v[18:19], v[20:21], v[18:19]
	v_add_f64_e32 v[20:21], v[165:166], v[175:176]
	v_fma_f64 v[165:166], v[4:5], v[26:27], v[167:168]
	v_fma_f64 v[26:27], v[2:3], v[26:27], -v[28:29]
	v_fma_f64 v[16:17], v[16:17], v[30:31], v[24:25]
	v_fma_f64 v[14:15], v[14:15], v[30:31], -v[32:33]
	v_add_f64_e32 v[22:23], v[18:19], v[22:23]
	v_add_f64_e32 v[28:29], v[20:21], v[171:172]
	ds_load_b128 v[2:5], v1 offset:1744
	ds_load_b128 v[18:21], v1 offset:1760
	s_wait_loadcnt_dscnt 0x401
	v_mul_f64_e32 v[167:168], v[2:3], v[40:41]
	v_mul_f64_e32 v[40:41], v[4:5], v[40:41]
	v_add_f64_e32 v[22:23], v[22:23], v[26:27]
	v_add_f64_e32 v[24:25], v[28:29], v[165:166]
	s_wait_loadcnt_dscnt 0x300
	v_mul_f64_e32 v[26:27], v[18:19], v[163:164]
	v_mul_f64_e32 v[28:29], v[20:21], v[163:164]
	v_fma_f64 v[30:31], v[4:5], v[38:39], v[167:168]
	v_fma_f64 v[32:33], v[2:3], v[38:39], -v[40:41]
	v_add_f64_e32 v[22:23], v[22:23], v[14:15]
	v_add_f64_e32 v[24:25], v[24:25], v[16:17]
	ds_load_b128 v[2:5], v1 offset:1776
	ds_load_b128 v[14:17], v1 offset:1792
	v_fma_f64 v[20:21], v[20:21], v[161:162], v[26:27]
	v_fma_f64 v[18:19], v[18:19], v[161:162], -v[28:29]
	s_wait_loadcnt_dscnt 0x201
	v_mul_f64_e32 v[38:39], v[2:3], v[36:37]
	v_mul_f64_e32 v[36:37], v[4:5], v[36:37]
	s_wait_loadcnt_dscnt 0x100
	v_mul_f64_e32 v[26:27], v[14:15], v[8:9]
	v_mul_f64_e32 v[8:9], v[16:17], v[8:9]
	v_add_f64_e32 v[22:23], v[22:23], v[32:33]
	v_add_f64_e32 v[24:25], v[24:25], v[30:31]
	v_fma_f64 v[28:29], v[4:5], v[34:35], v[38:39]
	v_fma_f64 v[30:31], v[2:3], v[34:35], -v[36:37]
	ds_load_b128 v[2:5], v1 offset:1808
	v_fma_f64 v[16:17], v[16:17], v[6:7], v[26:27]
	v_fma_f64 v[6:7], v[14:15], v[6:7], -v[8:9]
	v_add_f64_e32 v[18:19], v[22:23], v[18:19]
	v_add_f64_e32 v[20:21], v[24:25], v[20:21]
	s_wait_loadcnt_dscnt 0x0
	v_mul_f64_e32 v[22:23], v[2:3], v[12:13]
	v_mul_f64_e32 v[12:13], v[4:5], v[12:13]
	s_delay_alu instid0(VALU_DEP_4) | instskip(NEXT) | instid1(VALU_DEP_4)
	v_add_f64_e32 v[8:9], v[18:19], v[30:31]
	v_add_f64_e32 v[14:15], v[20:21], v[28:29]
	s_delay_alu instid0(VALU_DEP_4) | instskip(NEXT) | instid1(VALU_DEP_4)
	v_fma_f64 v[4:5], v[4:5], v[10:11], v[22:23]
	v_fma_f64 v[2:3], v[2:3], v[10:11], -v[12:13]
	s_delay_alu instid0(VALU_DEP_4) | instskip(NEXT) | instid1(VALU_DEP_4)
	v_add_f64_e32 v[6:7], v[8:9], v[6:7]
	v_add_f64_e32 v[8:9], v[14:15], v[16:17]
	s_delay_alu instid0(VALU_DEP_2) | instskip(NEXT) | instid1(VALU_DEP_2)
	v_add_f64_e32 v[2:3], v[6:7], v[2:3]
	v_add_f64_e32 v[4:5], v[8:9], v[4:5]
	s_delay_alu instid0(VALU_DEP_2) | instskip(NEXT) | instid1(VALU_DEP_2)
	v_add_f64_e64 v[2:3], v[42:43], -v[2:3]
	v_add_f64_e64 v[4:5], v[44:45], -v[4:5]
	scratch_store_b128 off, v[2:5], off offset:384
	v_cmpx_lt_u32_e32 22, v0
	s_cbranch_execz .LBB56_311
; %bb.310:
	scratch_load_b128 v[5:8], off, s48
	v_dual_mov_b32 v2, v1 :: v_dual_mov_b32 v3, v1
	v_mov_b32_e32 v4, v1
	scratch_store_b128 off, v[1:4], off offset:368
	s_wait_loadcnt 0x0
	ds_store_b128 v160, v[5:8]
.LBB56_311:
	s_wait_alu 0xfffe
	s_or_b32 exec_lo, exec_lo, s0
	s_wait_storecnt_dscnt 0x0
	s_barrier_signal -1
	s_barrier_wait -1
	global_inv scope:SCOPE_SE
	s_clause 0x8
	scratch_load_b128 v[2:5], off, off offset:384
	scratch_load_b128 v[6:9], off, off offset:400
	;; [unrolled: 1-line block ×9, first 2 shown]
	ds_load_b128 v[38:41], v1 offset:1280
	ds_load_b128 v[42:45], v1 offset:1296
	s_clause 0x1
	scratch_load_b128 v[161:164], off, off offset:368
	scratch_load_b128 v[165:168], off, off offset:528
	s_mov_b32 s0, exec_lo
	s_wait_loadcnt_dscnt 0xa01
	v_mul_f64_e32 v[169:170], v[40:41], v[4:5]
	v_mul_f64_e32 v[4:5], v[38:39], v[4:5]
	s_wait_loadcnt_dscnt 0x900
	v_mul_f64_e32 v[173:174], v[42:43], v[8:9]
	v_mul_f64_e32 v[8:9], v[44:45], v[8:9]
	s_delay_alu instid0(VALU_DEP_4) | instskip(NEXT) | instid1(VALU_DEP_4)
	v_fma_f64 v[175:176], v[38:39], v[2:3], -v[169:170]
	v_fma_f64 v[177:178], v[40:41], v[2:3], v[4:5]
	ds_load_b128 v[2:5], v1 offset:1312
	ds_load_b128 v[169:172], v1 offset:1328
	scratch_load_b128 v[38:41], off, off offset:544
	v_fma_f64 v[44:45], v[44:45], v[6:7], v[173:174]
	v_fma_f64 v[42:43], v[42:43], v[6:7], -v[8:9]
	scratch_load_b128 v[6:9], off, off offset:560
	s_wait_loadcnt_dscnt 0xa01
	v_mul_f64_e32 v[179:180], v[2:3], v[12:13]
	v_mul_f64_e32 v[12:13], v[4:5], v[12:13]
	v_add_f64_e32 v[173:174], 0, v[175:176]
	v_add_f64_e32 v[175:176], 0, v[177:178]
	s_wait_loadcnt_dscnt 0x900
	v_mul_f64_e32 v[177:178], v[169:170], v[16:17]
	v_mul_f64_e32 v[16:17], v[171:172], v[16:17]
	v_fma_f64 v[179:180], v[4:5], v[10:11], v[179:180]
	v_fma_f64 v[181:182], v[2:3], v[10:11], -v[12:13]
	ds_load_b128 v[2:5], v1 offset:1344
	scratch_load_b128 v[10:13], off, off offset:576
	v_add_f64_e32 v[173:174], v[173:174], v[42:43]
	v_add_f64_e32 v[175:176], v[175:176], v[44:45]
	ds_load_b128 v[42:45], v1 offset:1360
	v_fma_f64 v[171:172], v[171:172], v[14:15], v[177:178]
	v_fma_f64 v[169:170], v[169:170], v[14:15], -v[16:17]
	scratch_load_b128 v[14:17], off, off offset:592
	s_wait_loadcnt_dscnt 0xa01
	v_mul_f64_e32 v[183:184], v[2:3], v[20:21]
	v_mul_f64_e32 v[20:21], v[4:5], v[20:21]
	s_wait_loadcnt_dscnt 0x900
	v_mul_f64_e32 v[177:178], v[42:43], v[24:25]
	v_mul_f64_e32 v[24:25], v[44:45], v[24:25]
	v_add_f64_e32 v[173:174], v[173:174], v[181:182]
	v_add_f64_e32 v[175:176], v[175:176], v[179:180]
	v_fma_f64 v[179:180], v[4:5], v[18:19], v[183:184]
	v_fma_f64 v[181:182], v[2:3], v[18:19], -v[20:21]
	ds_load_b128 v[2:5], v1 offset:1376
	scratch_load_b128 v[18:21], off, off offset:608
	v_fma_f64 v[44:45], v[44:45], v[22:23], v[177:178]
	v_fma_f64 v[42:43], v[42:43], v[22:23], -v[24:25]
	scratch_load_b128 v[22:25], off, off offset:624
	v_add_f64_e32 v[173:174], v[173:174], v[169:170]
	v_add_f64_e32 v[175:176], v[175:176], v[171:172]
	ds_load_b128 v[169:172], v1 offset:1392
	s_wait_loadcnt_dscnt 0xa01
	v_mul_f64_e32 v[183:184], v[2:3], v[28:29]
	v_mul_f64_e32 v[28:29], v[4:5], v[28:29]
	s_wait_loadcnt_dscnt 0x900
	v_mul_f64_e32 v[177:178], v[169:170], v[32:33]
	v_mul_f64_e32 v[32:33], v[171:172], v[32:33]
	v_add_f64_e32 v[173:174], v[173:174], v[181:182]
	v_add_f64_e32 v[175:176], v[175:176], v[179:180]
	v_fma_f64 v[179:180], v[4:5], v[26:27], v[183:184]
	v_fma_f64 v[181:182], v[2:3], v[26:27], -v[28:29]
	ds_load_b128 v[2:5], v1 offset:1408
	scratch_load_b128 v[26:29], off, off offset:640
	v_fma_f64 v[171:172], v[171:172], v[30:31], v[177:178]
	v_fma_f64 v[169:170], v[169:170], v[30:31], -v[32:33]
	scratch_load_b128 v[30:33], off, off offset:656
	v_add_f64_e32 v[173:174], v[173:174], v[42:43]
	v_add_f64_e32 v[175:176], v[175:176], v[44:45]
	ds_load_b128 v[42:45], v1 offset:1424
	s_wait_loadcnt_dscnt 0xa01
	v_mul_f64_e32 v[183:184], v[2:3], v[36:37]
	v_mul_f64_e32 v[36:37], v[4:5], v[36:37]
	s_wait_loadcnt_dscnt 0x800
	v_mul_f64_e32 v[177:178], v[42:43], v[167:168]
	v_add_f64_e32 v[173:174], v[173:174], v[181:182]
	v_add_f64_e32 v[175:176], v[175:176], v[179:180]
	v_mul_f64_e32 v[179:180], v[44:45], v[167:168]
	v_fma_f64 v[181:182], v[4:5], v[34:35], v[183:184]
	v_fma_f64 v[183:184], v[2:3], v[34:35], -v[36:37]
	ds_load_b128 v[2:5], v1 offset:1440
	scratch_load_b128 v[34:37], off, off offset:672
	v_fma_f64 v[44:45], v[44:45], v[165:166], v[177:178]
	v_add_f64_e32 v[173:174], v[173:174], v[169:170]
	v_add_f64_e32 v[171:172], v[175:176], v[171:172]
	ds_load_b128 v[167:170], v1 offset:1456
	v_fma_f64 v[165:166], v[42:43], v[165:166], -v[179:180]
	s_wait_loadcnt_dscnt 0x801
	v_mul_f64_e32 v[175:176], v[2:3], v[40:41]
	v_mul_f64_e32 v[185:186], v[4:5], v[40:41]
	scratch_load_b128 v[40:43], off, off offset:688
	s_wait_loadcnt_dscnt 0x800
	v_mul_f64_e32 v[179:180], v[167:168], v[8:9]
	v_mul_f64_e32 v[8:9], v[169:170], v[8:9]
	v_add_f64_e32 v[173:174], v[173:174], v[183:184]
	v_add_f64_e32 v[171:172], v[171:172], v[181:182]
	v_fma_f64 v[181:182], v[4:5], v[38:39], v[175:176]
	v_fma_f64 v[38:39], v[2:3], v[38:39], -v[185:186]
	ds_load_b128 v[2:5], v1 offset:1472
	ds_load_b128 v[175:178], v1 offset:1488
	v_fma_f64 v[169:170], v[169:170], v[6:7], v[179:180]
	v_fma_f64 v[167:168], v[167:168], v[6:7], -v[8:9]
	scratch_load_b128 v[6:9], off, off offset:720
	v_add_f64_e32 v[165:166], v[173:174], v[165:166]
	v_add_f64_e32 v[44:45], v[171:172], v[44:45]
	scratch_load_b128 v[171:174], off, off offset:704
	s_wait_loadcnt_dscnt 0x901
	v_mul_f64_e32 v[183:184], v[2:3], v[12:13]
	v_mul_f64_e32 v[12:13], v[4:5], v[12:13]
	s_wait_loadcnt_dscnt 0x800
	v_mul_f64_e32 v[179:180], v[175:176], v[16:17]
	v_mul_f64_e32 v[16:17], v[177:178], v[16:17]
	v_add_f64_e32 v[38:39], v[165:166], v[38:39]
	v_add_f64_e32 v[44:45], v[44:45], v[181:182]
	v_fma_f64 v[181:182], v[4:5], v[10:11], v[183:184]
	v_fma_f64 v[183:184], v[2:3], v[10:11], -v[12:13]
	ds_load_b128 v[2:5], v1 offset:1504
	scratch_load_b128 v[10:13], off, off offset:736
	v_fma_f64 v[177:178], v[177:178], v[14:15], v[179:180]
	v_fma_f64 v[175:176], v[175:176], v[14:15], -v[16:17]
	scratch_load_b128 v[14:17], off, off offset:752
	v_add_f64_e32 v[38:39], v[38:39], v[167:168]
	v_add_f64_e32 v[44:45], v[44:45], v[169:170]
	ds_load_b128 v[165:168], v1 offset:1520
	s_wait_loadcnt_dscnt 0x901
	v_mul_f64_e32 v[169:170], v[2:3], v[20:21]
	v_mul_f64_e32 v[20:21], v[4:5], v[20:21]
	s_wait_loadcnt_dscnt 0x800
	v_mul_f64_e32 v[179:180], v[165:166], v[24:25]
	v_mul_f64_e32 v[24:25], v[167:168], v[24:25]
	v_add_f64_e32 v[38:39], v[38:39], v[183:184]
	v_add_f64_e32 v[44:45], v[44:45], v[181:182]
	v_fma_f64 v[169:170], v[4:5], v[18:19], v[169:170]
	v_fma_f64 v[181:182], v[2:3], v[18:19], -v[20:21]
	ds_load_b128 v[2:5], v1 offset:1536
	scratch_load_b128 v[18:21], off, off offset:768
	v_fma_f64 v[167:168], v[167:168], v[22:23], v[179:180]
	v_fma_f64 v[165:166], v[165:166], v[22:23], -v[24:25]
	scratch_load_b128 v[22:25], off, off offset:784
	v_add_f64_e32 v[38:39], v[38:39], v[175:176]
	v_add_f64_e32 v[44:45], v[44:45], v[177:178]
	ds_load_b128 v[175:178], v1 offset:1552
	s_wait_loadcnt_dscnt 0x901
	v_mul_f64_e32 v[183:184], v[2:3], v[28:29]
	v_mul_f64_e32 v[28:29], v[4:5], v[28:29]
	v_add_f64_e32 v[38:39], v[38:39], v[181:182]
	v_add_f64_e32 v[44:45], v[44:45], v[169:170]
	s_wait_loadcnt_dscnt 0x800
	v_mul_f64_e32 v[169:170], v[175:176], v[32:33]
	v_mul_f64_e32 v[32:33], v[177:178], v[32:33]
	v_fma_f64 v[179:180], v[4:5], v[26:27], v[183:184]
	v_fma_f64 v[181:182], v[2:3], v[26:27], -v[28:29]
	ds_load_b128 v[2:5], v1 offset:1568
	scratch_load_b128 v[26:29], off, off offset:800
	v_add_f64_e32 v[38:39], v[38:39], v[165:166]
	v_add_f64_e32 v[44:45], v[44:45], v[167:168]
	ds_load_b128 v[165:168], v1 offset:1584
	s_wait_loadcnt_dscnt 0x801
	v_mul_f64_e32 v[183:184], v[2:3], v[36:37]
	v_mul_f64_e32 v[36:37], v[4:5], v[36:37]
	v_fma_f64 v[169:170], v[177:178], v[30:31], v[169:170]
	v_fma_f64 v[175:176], v[175:176], v[30:31], -v[32:33]
	scratch_load_b128 v[30:33], off, off offset:816
	s_wait_loadcnt_dscnt 0x800
	v_mul_f64_e32 v[177:178], v[165:166], v[42:43]
	v_add_f64_e32 v[38:39], v[38:39], v[181:182]
	v_add_f64_e32 v[44:45], v[44:45], v[179:180]
	v_mul_f64_e32 v[179:180], v[167:168], v[42:43]
	v_fma_f64 v[181:182], v[4:5], v[34:35], v[183:184]
	v_fma_f64 v[183:184], v[2:3], v[34:35], -v[36:37]
	ds_load_b128 v[2:5], v1 offset:1600
	scratch_load_b128 v[34:37], off, off offset:832
	v_fma_f64 v[167:168], v[167:168], v[40:41], v[177:178]
	v_add_f64_e32 v[38:39], v[38:39], v[175:176]
	v_add_f64_e32 v[169:170], v[44:45], v[169:170]
	ds_load_b128 v[42:45], v1 offset:1616
	v_fma_f64 v[165:166], v[165:166], v[40:41], -v[179:180]
	s_wait_loadcnt_dscnt 0x701
	v_mul_f64_e32 v[175:176], v[2:3], v[173:174]
	v_mul_f64_e32 v[173:174], v[4:5], v[173:174]
	s_wait_dscnt 0x0
	v_mul_f64_e32 v[179:180], v[42:43], v[8:9]
	v_mul_f64_e32 v[8:9], v[44:45], v[8:9]
	v_add_f64_e32 v[177:178], v[38:39], v[183:184]
	v_add_f64_e32 v[169:170], v[169:170], v[181:182]
	scratch_load_b128 v[38:41], off, off offset:848
	v_fma_f64 v[175:176], v[4:5], v[171:172], v[175:176]
	v_fma_f64 v[173:174], v[2:3], v[171:172], -v[173:174]
	ds_load_b128 v[2:5], v1 offset:1632
	v_fma_f64 v[44:45], v[44:45], v[6:7], v[179:180]
	v_fma_f64 v[42:43], v[42:43], v[6:7], -v[8:9]
	scratch_load_b128 v[6:9], off, off offset:880
	v_add_f64_e32 v[177:178], v[177:178], v[165:166]
	v_add_f64_e32 v[181:182], v[169:170], v[167:168]
	scratch_load_b128 v[165:168], off, off offset:864
	ds_load_b128 v[169:172], v1 offset:1648
	s_wait_loadcnt_dscnt 0x901
	v_mul_f64_e32 v[183:184], v[2:3], v[12:13]
	v_mul_f64_e32 v[12:13], v[4:5], v[12:13]
	v_add_f64_e32 v[173:174], v[177:178], v[173:174]
	v_add_f64_e32 v[175:176], v[181:182], v[175:176]
	s_wait_loadcnt_dscnt 0x800
	v_mul_f64_e32 v[177:178], v[169:170], v[16:17]
	v_mul_f64_e32 v[16:17], v[171:172], v[16:17]
	v_fma_f64 v[179:180], v[4:5], v[10:11], v[183:184]
	v_fma_f64 v[181:182], v[2:3], v[10:11], -v[12:13]
	ds_load_b128 v[2:5], v1 offset:1664
	scratch_load_b128 v[10:13], off, off offset:896
	v_add_f64_e32 v[173:174], v[173:174], v[42:43]
	v_add_f64_e32 v[175:176], v[175:176], v[44:45]
	ds_load_b128 v[42:45], v1 offset:1680
	s_wait_loadcnt_dscnt 0x801
	v_mul_f64_e32 v[183:184], v[2:3], v[20:21]
	v_mul_f64_e32 v[20:21], v[4:5], v[20:21]
	v_fma_f64 v[171:172], v[171:172], v[14:15], v[177:178]
	v_fma_f64 v[169:170], v[169:170], v[14:15], -v[16:17]
	scratch_load_b128 v[14:17], off, off offset:912
	s_wait_loadcnt_dscnt 0x800
	v_mul_f64_e32 v[177:178], v[42:43], v[24:25]
	v_mul_f64_e32 v[24:25], v[44:45], v[24:25]
	v_add_f64_e32 v[173:174], v[173:174], v[181:182]
	v_add_f64_e32 v[175:176], v[175:176], v[179:180]
	v_fma_f64 v[179:180], v[4:5], v[18:19], v[183:184]
	v_fma_f64 v[181:182], v[2:3], v[18:19], -v[20:21]
	ds_load_b128 v[2:5], v1 offset:1696
	ds_load_b128 v[18:21], v1 offset:1712
	v_fma_f64 v[44:45], v[44:45], v[22:23], v[177:178]
	v_fma_f64 v[22:23], v[42:43], v[22:23], -v[24:25]
	v_add_f64_e32 v[169:170], v[173:174], v[169:170]
	v_add_f64_e32 v[171:172], v[175:176], v[171:172]
	s_wait_loadcnt_dscnt 0x701
	v_mul_f64_e32 v[173:174], v[2:3], v[28:29]
	v_mul_f64_e32 v[28:29], v[4:5], v[28:29]
	s_delay_alu instid0(VALU_DEP_4) | instskip(NEXT) | instid1(VALU_DEP_4)
	v_add_f64_e32 v[24:25], v[169:170], v[181:182]
	v_add_f64_e32 v[42:43], v[171:172], v[179:180]
	s_wait_loadcnt_dscnt 0x600
	v_mul_f64_e32 v[169:170], v[18:19], v[32:33]
	v_mul_f64_e32 v[32:33], v[20:21], v[32:33]
	v_fma_f64 v[171:172], v[4:5], v[26:27], v[173:174]
	v_fma_f64 v[26:27], v[2:3], v[26:27], -v[28:29]
	v_add_f64_e32 v[28:29], v[24:25], v[22:23]
	v_add_f64_e32 v[42:43], v[42:43], v[44:45]
	ds_load_b128 v[2:5], v1 offset:1728
	ds_load_b128 v[22:25], v1 offset:1744
	v_fma_f64 v[20:21], v[20:21], v[30:31], v[169:170]
	v_fma_f64 v[18:19], v[18:19], v[30:31], -v[32:33]
	s_wait_loadcnt_dscnt 0x501
	v_mul_f64_e32 v[44:45], v[2:3], v[36:37]
	v_mul_f64_e32 v[36:37], v[4:5], v[36:37]
	v_add_f64_e32 v[26:27], v[28:29], v[26:27]
	v_add_f64_e32 v[28:29], v[42:43], v[171:172]
	s_wait_loadcnt_dscnt 0x400
	v_mul_f64_e32 v[30:31], v[22:23], v[40:41]
	v_mul_f64_e32 v[32:33], v[24:25], v[40:41]
	v_fma_f64 v[40:41], v[4:5], v[34:35], v[44:45]
	v_fma_f64 v[34:35], v[2:3], v[34:35], -v[36:37]
	v_add_f64_e32 v[26:27], v[26:27], v[18:19]
	v_add_f64_e32 v[28:29], v[28:29], v[20:21]
	ds_load_b128 v[2:5], v1 offset:1760
	ds_load_b128 v[18:21], v1 offset:1776
	v_fma_f64 v[24:25], v[24:25], v[38:39], v[30:31]
	v_fma_f64 v[22:23], v[22:23], v[38:39], -v[32:33]
	s_wait_loadcnt_dscnt 0x201
	v_mul_f64_e32 v[36:37], v[2:3], v[167:168]
	v_mul_f64_e32 v[42:43], v[4:5], v[167:168]
	s_wait_dscnt 0x0
	v_mul_f64_e32 v[30:31], v[18:19], v[8:9]
	v_mul_f64_e32 v[8:9], v[20:21], v[8:9]
	v_add_f64_e32 v[26:27], v[26:27], v[34:35]
	v_add_f64_e32 v[28:29], v[28:29], v[40:41]
	v_fma_f64 v[32:33], v[4:5], v[165:166], v[36:37]
	v_fma_f64 v[34:35], v[2:3], v[165:166], -v[42:43]
	v_fma_f64 v[20:21], v[20:21], v[6:7], v[30:31]
	v_fma_f64 v[6:7], v[18:19], v[6:7], -v[8:9]
	v_add_f64_e32 v[26:27], v[26:27], v[22:23]
	v_add_f64_e32 v[28:29], v[28:29], v[24:25]
	ds_load_b128 v[2:5], v1 offset:1792
	ds_load_b128 v[22:25], v1 offset:1808
	s_wait_loadcnt_dscnt 0x101
	v_mul_f64_e32 v[36:37], v[2:3], v[12:13]
	v_mul_f64_e32 v[12:13], v[4:5], v[12:13]
	v_add_f64_e32 v[8:9], v[26:27], v[34:35]
	v_add_f64_e32 v[18:19], v[28:29], v[32:33]
	s_wait_loadcnt_dscnt 0x0
	v_mul_f64_e32 v[26:27], v[22:23], v[16:17]
	v_mul_f64_e32 v[16:17], v[24:25], v[16:17]
	v_fma_f64 v[4:5], v[4:5], v[10:11], v[36:37]
	v_fma_f64 v[1:2], v[2:3], v[10:11], -v[12:13]
	v_add_f64_e32 v[6:7], v[8:9], v[6:7]
	v_add_f64_e32 v[8:9], v[18:19], v[20:21]
	v_fma_f64 v[10:11], v[24:25], v[14:15], v[26:27]
	v_fma_f64 v[12:13], v[22:23], v[14:15], -v[16:17]
	s_delay_alu instid0(VALU_DEP_4) | instskip(NEXT) | instid1(VALU_DEP_4)
	v_add_f64_e32 v[1:2], v[6:7], v[1:2]
	v_add_f64_e32 v[3:4], v[8:9], v[4:5]
	s_delay_alu instid0(VALU_DEP_2) | instskip(NEXT) | instid1(VALU_DEP_2)
	v_add_f64_e32 v[1:2], v[1:2], v[12:13]
	v_add_f64_e32 v[3:4], v[3:4], v[10:11]
	s_delay_alu instid0(VALU_DEP_2) | instskip(NEXT) | instid1(VALU_DEP_2)
	v_add_f64_e64 v[1:2], v[161:162], -v[1:2]
	v_add_f64_e64 v[3:4], v[163:164], -v[3:4]
	scratch_store_b128 off, v[1:4], off offset:368
	v_cmpx_lt_u32_e32 21, v0
	s_cbranch_execz .LBB56_313
; %bb.312:
	scratch_load_b128 v[1:4], off, s49
	v_mov_b32_e32 v5, 0
	s_delay_alu instid0(VALU_DEP_1)
	v_dual_mov_b32 v6, v5 :: v_dual_mov_b32 v7, v5
	v_mov_b32_e32 v8, v5
	scratch_store_b128 off, v[5:8], off offset:352
	s_wait_loadcnt 0x0
	ds_store_b128 v160, v[1:4]
.LBB56_313:
	s_wait_alu 0xfffe
	s_or_b32 exec_lo, exec_lo, s0
	s_wait_storecnt_dscnt 0x0
	s_barrier_signal -1
	s_barrier_wait -1
	global_inv scope:SCOPE_SE
	s_clause 0x7
	scratch_load_b128 v[2:5], off, off offset:368
	scratch_load_b128 v[6:9], off, off offset:384
	;; [unrolled: 1-line block ×8, first 2 shown]
	v_mov_b32_e32 v1, 0
	s_mov_b32 s0, exec_lo
	ds_load_b128 v[38:41], v1 offset:1264
	s_clause 0x1
	scratch_load_b128 v[34:37], off, off offset:496
	scratch_load_b128 v[42:45], off, off offset:352
	ds_load_b128 v[161:164], v1 offset:1280
	scratch_load_b128 v[165:168], off, off offset:512
	s_wait_loadcnt_dscnt 0xa01
	v_mul_f64_e32 v[169:170], v[40:41], v[4:5]
	v_mul_f64_e32 v[4:5], v[38:39], v[4:5]
	s_delay_alu instid0(VALU_DEP_2) | instskip(NEXT) | instid1(VALU_DEP_2)
	v_fma_f64 v[175:176], v[38:39], v[2:3], -v[169:170]
	v_fma_f64 v[177:178], v[40:41], v[2:3], v[4:5]
	ds_load_b128 v[2:5], v1 offset:1296
	s_wait_loadcnt_dscnt 0x901
	v_mul_f64_e32 v[173:174], v[161:162], v[8:9]
	v_mul_f64_e32 v[8:9], v[163:164], v[8:9]
	scratch_load_b128 v[38:41], off, off offset:528
	ds_load_b128 v[169:172], v1 offset:1312
	s_wait_loadcnt_dscnt 0x901
	v_mul_f64_e32 v[179:180], v[2:3], v[12:13]
	v_mul_f64_e32 v[12:13], v[4:5], v[12:13]
	v_fma_f64 v[163:164], v[163:164], v[6:7], v[173:174]
	v_fma_f64 v[161:162], v[161:162], v[6:7], -v[8:9]
	v_add_f64_e32 v[173:174], 0, v[175:176]
	v_add_f64_e32 v[175:176], 0, v[177:178]
	scratch_load_b128 v[6:9], off, off offset:544
	v_fma_f64 v[179:180], v[4:5], v[10:11], v[179:180]
	v_fma_f64 v[181:182], v[2:3], v[10:11], -v[12:13]
	ds_load_b128 v[2:5], v1 offset:1328
	s_wait_loadcnt_dscnt 0x901
	v_mul_f64_e32 v[177:178], v[169:170], v[16:17]
	v_mul_f64_e32 v[16:17], v[171:172], v[16:17]
	scratch_load_b128 v[10:13], off, off offset:560
	v_add_f64_e32 v[173:174], v[173:174], v[161:162]
	v_add_f64_e32 v[175:176], v[175:176], v[163:164]
	s_wait_loadcnt_dscnt 0x900
	v_mul_f64_e32 v[183:184], v[2:3], v[20:21]
	v_mul_f64_e32 v[20:21], v[4:5], v[20:21]
	ds_load_b128 v[161:164], v1 offset:1344
	v_fma_f64 v[171:172], v[171:172], v[14:15], v[177:178]
	v_fma_f64 v[169:170], v[169:170], v[14:15], -v[16:17]
	scratch_load_b128 v[14:17], off, off offset:576
	v_add_f64_e32 v[173:174], v[173:174], v[181:182]
	v_add_f64_e32 v[175:176], v[175:176], v[179:180]
	v_fma_f64 v[179:180], v[4:5], v[18:19], v[183:184]
	v_fma_f64 v[181:182], v[2:3], v[18:19], -v[20:21]
	ds_load_b128 v[2:5], v1 offset:1360
	s_wait_loadcnt_dscnt 0x901
	v_mul_f64_e32 v[177:178], v[161:162], v[24:25]
	v_mul_f64_e32 v[24:25], v[163:164], v[24:25]
	scratch_load_b128 v[18:21], off, off offset:592
	s_wait_loadcnt_dscnt 0x900
	v_mul_f64_e32 v[183:184], v[2:3], v[28:29]
	v_mul_f64_e32 v[28:29], v[4:5], v[28:29]
	v_add_f64_e32 v[173:174], v[173:174], v[169:170]
	v_add_f64_e32 v[175:176], v[175:176], v[171:172]
	ds_load_b128 v[169:172], v1 offset:1376
	v_fma_f64 v[163:164], v[163:164], v[22:23], v[177:178]
	v_fma_f64 v[161:162], v[161:162], v[22:23], -v[24:25]
	scratch_load_b128 v[22:25], off, off offset:608
	v_add_f64_e32 v[173:174], v[173:174], v[181:182]
	v_add_f64_e32 v[175:176], v[175:176], v[179:180]
	v_fma_f64 v[179:180], v[4:5], v[26:27], v[183:184]
	v_fma_f64 v[181:182], v[2:3], v[26:27], -v[28:29]
	ds_load_b128 v[2:5], v1 offset:1392
	s_wait_loadcnt_dscnt 0x901
	v_mul_f64_e32 v[177:178], v[169:170], v[32:33]
	v_mul_f64_e32 v[32:33], v[171:172], v[32:33]
	scratch_load_b128 v[26:29], off, off offset:624
	s_wait_loadcnt_dscnt 0x900
	v_mul_f64_e32 v[183:184], v[2:3], v[36:37]
	v_mul_f64_e32 v[36:37], v[4:5], v[36:37]
	v_add_f64_e32 v[173:174], v[173:174], v[161:162]
	v_add_f64_e32 v[175:176], v[175:176], v[163:164]
	ds_load_b128 v[161:164], v1 offset:1408
	v_fma_f64 v[171:172], v[171:172], v[30:31], v[177:178]
	v_fma_f64 v[169:170], v[169:170], v[30:31], -v[32:33]
	scratch_load_b128 v[30:33], off, off offset:640
	v_add_f64_e32 v[173:174], v[173:174], v[181:182]
	v_add_f64_e32 v[175:176], v[175:176], v[179:180]
	v_fma_f64 v[181:182], v[4:5], v[34:35], v[183:184]
	v_fma_f64 v[183:184], v[2:3], v[34:35], -v[36:37]
	ds_load_b128 v[2:5], v1 offset:1424
	s_wait_loadcnt_dscnt 0x801
	v_mul_f64_e32 v[177:178], v[161:162], v[167:168]
	v_mul_f64_e32 v[179:180], v[163:164], v[167:168]
	scratch_load_b128 v[34:37], off, off offset:656
	v_add_f64_e32 v[173:174], v[173:174], v[169:170]
	v_add_f64_e32 v[171:172], v[175:176], v[171:172]
	ds_load_b128 v[167:170], v1 offset:1440
	v_fma_f64 v[177:178], v[163:164], v[165:166], v[177:178]
	v_fma_f64 v[165:166], v[161:162], v[165:166], -v[179:180]
	scratch_load_b128 v[161:164], off, off offset:672
	s_wait_loadcnt_dscnt 0x901
	v_mul_f64_e32 v[175:176], v[2:3], v[40:41]
	v_mul_f64_e32 v[40:41], v[4:5], v[40:41]
	v_add_f64_e32 v[173:174], v[173:174], v[183:184]
	v_add_f64_e32 v[171:172], v[171:172], v[181:182]
	s_delay_alu instid0(VALU_DEP_4) | instskip(NEXT) | instid1(VALU_DEP_4)
	v_fma_f64 v[175:176], v[4:5], v[38:39], v[175:176]
	v_fma_f64 v[181:182], v[2:3], v[38:39], -v[40:41]
	ds_load_b128 v[2:5], v1 offset:1456
	s_wait_loadcnt_dscnt 0x801
	v_mul_f64_e32 v[179:180], v[167:168], v[8:9]
	v_mul_f64_e32 v[8:9], v[169:170], v[8:9]
	scratch_load_b128 v[38:41], off, off offset:688
	s_wait_loadcnt_dscnt 0x800
	v_mul_f64_e32 v[183:184], v[2:3], v[12:13]
	v_add_f64_e32 v[165:166], v[173:174], v[165:166]
	v_add_f64_e32 v[177:178], v[171:172], v[177:178]
	v_mul_f64_e32 v[12:13], v[4:5], v[12:13]
	ds_load_b128 v[171:174], v1 offset:1472
	v_fma_f64 v[169:170], v[169:170], v[6:7], v[179:180]
	v_fma_f64 v[167:168], v[167:168], v[6:7], -v[8:9]
	scratch_load_b128 v[6:9], off, off offset:704
	v_fma_f64 v[179:180], v[4:5], v[10:11], v[183:184]
	v_add_f64_e32 v[165:166], v[165:166], v[181:182]
	v_add_f64_e32 v[175:176], v[177:178], v[175:176]
	v_fma_f64 v[181:182], v[2:3], v[10:11], -v[12:13]
	ds_load_b128 v[2:5], v1 offset:1488
	s_wait_loadcnt_dscnt 0x801
	v_mul_f64_e32 v[177:178], v[171:172], v[16:17]
	v_mul_f64_e32 v[16:17], v[173:174], v[16:17]
	scratch_load_b128 v[10:13], off, off offset:720
	v_add_f64_e32 v[183:184], v[165:166], v[167:168]
	v_add_f64_e32 v[169:170], v[175:176], v[169:170]
	s_wait_loadcnt_dscnt 0x800
	v_mul_f64_e32 v[175:176], v[2:3], v[20:21]
	v_mul_f64_e32 v[20:21], v[4:5], v[20:21]
	v_fma_f64 v[173:174], v[173:174], v[14:15], v[177:178]
	v_fma_f64 v[171:172], v[171:172], v[14:15], -v[16:17]
	ds_load_b128 v[165:168], v1 offset:1504
	scratch_load_b128 v[14:17], off, off offset:736
	v_add_f64_e32 v[177:178], v[183:184], v[181:182]
	v_add_f64_e32 v[169:170], v[169:170], v[179:180]
	v_fma_f64 v[175:176], v[4:5], v[18:19], v[175:176]
	v_fma_f64 v[181:182], v[2:3], v[18:19], -v[20:21]
	ds_load_b128 v[2:5], v1 offset:1520
	s_wait_loadcnt_dscnt 0x801
	v_mul_f64_e32 v[179:180], v[165:166], v[24:25]
	v_mul_f64_e32 v[24:25], v[167:168], v[24:25]
	scratch_load_b128 v[18:21], off, off offset:752
	s_wait_loadcnt_dscnt 0x800
	v_mul_f64_e32 v[183:184], v[2:3], v[28:29]
	v_mul_f64_e32 v[28:29], v[4:5], v[28:29]
	v_add_f64_e32 v[177:178], v[177:178], v[171:172]
	v_add_f64_e32 v[173:174], v[169:170], v[173:174]
	ds_load_b128 v[169:172], v1 offset:1536
	v_fma_f64 v[167:168], v[167:168], v[22:23], v[179:180]
	v_fma_f64 v[165:166], v[165:166], v[22:23], -v[24:25]
	scratch_load_b128 v[22:25], off, off offset:768
	v_fma_f64 v[179:180], v[4:5], v[26:27], v[183:184]
	v_add_f64_e32 v[177:178], v[177:178], v[181:182]
	v_add_f64_e32 v[173:174], v[173:174], v[175:176]
	v_fma_f64 v[181:182], v[2:3], v[26:27], -v[28:29]
	ds_load_b128 v[2:5], v1 offset:1552
	s_wait_loadcnt_dscnt 0x801
	v_mul_f64_e32 v[175:176], v[169:170], v[32:33]
	v_mul_f64_e32 v[32:33], v[171:172], v[32:33]
	scratch_load_b128 v[26:29], off, off offset:784
	s_wait_loadcnt_dscnt 0x800
	v_mul_f64_e32 v[183:184], v[2:3], v[36:37]
	v_mul_f64_e32 v[36:37], v[4:5], v[36:37]
	v_add_f64_e32 v[177:178], v[177:178], v[165:166]
	v_add_f64_e32 v[173:174], v[173:174], v[167:168]
	ds_load_b128 v[165:168], v1 offset:1568
	v_fma_f64 v[171:172], v[171:172], v[30:31], v[175:176]
	v_fma_f64 v[169:170], v[169:170], v[30:31], -v[32:33]
	scratch_load_b128 v[30:33], off, off offset:800
	v_add_f64_e32 v[175:176], v[177:178], v[181:182]
	v_add_f64_e32 v[173:174], v[173:174], v[179:180]
	v_fma_f64 v[179:180], v[4:5], v[34:35], v[183:184]
	v_fma_f64 v[181:182], v[2:3], v[34:35], -v[36:37]
	ds_load_b128 v[2:5], v1 offset:1584
	s_wait_loadcnt_dscnt 0x801
	v_mul_f64_e32 v[177:178], v[165:166], v[163:164]
	v_mul_f64_e32 v[163:164], v[167:168], v[163:164]
	scratch_load_b128 v[34:37], off, off offset:816
	s_wait_loadcnt_dscnt 0x800
	v_mul_f64_e32 v[183:184], v[2:3], v[40:41]
	v_mul_f64_e32 v[40:41], v[4:5], v[40:41]
	v_add_f64_e32 v[175:176], v[175:176], v[169:170]
	v_add_f64_e32 v[173:174], v[173:174], v[171:172]
	ds_load_b128 v[169:172], v1 offset:1600
	v_fma_f64 v[167:168], v[167:168], v[161:162], v[177:178]
	v_fma_f64 v[165:166], v[165:166], v[161:162], -v[163:164]
	scratch_load_b128 v[161:164], off, off offset:832
	v_add_f64_e32 v[175:176], v[175:176], v[181:182]
	v_add_f64_e32 v[173:174], v[173:174], v[179:180]
	v_fma_f64 v[179:180], v[4:5], v[38:39], v[183:184]
	;; [unrolled: 18-line block ×4, first 2 shown]
	v_fma_f64 v[181:182], v[2:3], v[18:19], -v[20:21]
	ds_load_b128 v[2:5], v1 offset:1680
	s_wait_loadcnt_dscnt 0x801
	v_mul_f64_e32 v[177:178], v[169:170], v[24:25]
	v_mul_f64_e32 v[24:25], v[171:172], v[24:25]
	scratch_load_b128 v[18:21], off, off offset:912
	s_wait_loadcnt_dscnt 0x800
	v_mul_f64_e32 v[183:184], v[2:3], v[28:29]
	v_mul_f64_e32 v[28:29], v[4:5], v[28:29]
	v_add_f64_e32 v[175:176], v[175:176], v[165:166]
	v_add_f64_e32 v[173:174], v[173:174], v[167:168]
	ds_load_b128 v[165:168], v1 offset:1696
	v_fma_f64 v[171:172], v[171:172], v[22:23], v[177:178]
	v_fma_f64 v[22:23], v[169:170], v[22:23], -v[24:25]
	v_add_f64_e32 v[24:25], v[175:176], v[181:182]
	v_add_f64_e32 v[169:170], v[173:174], v[179:180]
	s_wait_loadcnt_dscnt 0x700
	v_mul_f64_e32 v[173:174], v[165:166], v[32:33]
	v_mul_f64_e32 v[32:33], v[167:168], v[32:33]
	v_fma_f64 v[175:176], v[4:5], v[26:27], v[183:184]
	v_fma_f64 v[26:27], v[2:3], v[26:27], -v[28:29]
	v_add_f64_e32 v[28:29], v[24:25], v[22:23]
	v_add_f64_e32 v[169:170], v[169:170], v[171:172]
	ds_load_b128 v[2:5], v1 offset:1712
	ds_load_b128 v[22:25], v1 offset:1728
	v_fma_f64 v[167:168], v[167:168], v[30:31], v[173:174]
	v_fma_f64 v[30:31], v[165:166], v[30:31], -v[32:33]
	s_wait_loadcnt_dscnt 0x601
	v_mul_f64_e32 v[171:172], v[2:3], v[36:37]
	v_mul_f64_e32 v[36:37], v[4:5], v[36:37]
	s_wait_loadcnt_dscnt 0x500
	v_mul_f64_e32 v[32:33], v[22:23], v[163:164]
	v_mul_f64_e32 v[163:164], v[24:25], v[163:164]
	v_add_f64_e32 v[26:27], v[28:29], v[26:27]
	v_add_f64_e32 v[28:29], v[169:170], v[175:176]
	v_fma_f64 v[165:166], v[4:5], v[34:35], v[171:172]
	v_fma_f64 v[34:35], v[2:3], v[34:35], -v[36:37]
	v_fma_f64 v[24:25], v[24:25], v[161:162], v[32:33]
	v_fma_f64 v[22:23], v[22:23], v[161:162], -v[163:164]
	v_add_f64_e32 v[30:31], v[26:27], v[30:31]
	v_add_f64_e32 v[36:37], v[28:29], v[167:168]
	ds_load_b128 v[2:5], v1 offset:1744
	ds_load_b128 v[26:29], v1 offset:1760
	s_wait_loadcnt_dscnt 0x401
	v_mul_f64_e32 v[167:168], v[2:3], v[40:41]
	v_mul_f64_e32 v[40:41], v[4:5], v[40:41]
	v_add_f64_e32 v[30:31], v[30:31], v[34:35]
	v_add_f64_e32 v[32:33], v[36:37], v[165:166]
	s_wait_loadcnt_dscnt 0x300
	v_mul_f64_e32 v[34:35], v[26:27], v[8:9]
	v_mul_f64_e32 v[8:9], v[28:29], v[8:9]
	v_fma_f64 v[36:37], v[4:5], v[38:39], v[167:168]
	v_fma_f64 v[38:39], v[2:3], v[38:39], -v[40:41]
	v_add_f64_e32 v[30:31], v[30:31], v[22:23]
	v_add_f64_e32 v[32:33], v[32:33], v[24:25]
	ds_load_b128 v[2:5], v1 offset:1776
	ds_load_b128 v[22:25], v1 offset:1792
	v_fma_f64 v[28:29], v[28:29], v[6:7], v[34:35]
	v_fma_f64 v[6:7], v[26:27], v[6:7], -v[8:9]
	s_wait_loadcnt_dscnt 0x201
	v_mul_f64_e32 v[40:41], v[2:3], v[12:13]
	v_mul_f64_e32 v[12:13], v[4:5], v[12:13]
	v_add_f64_e32 v[8:9], v[30:31], v[38:39]
	v_add_f64_e32 v[26:27], v[32:33], v[36:37]
	s_wait_loadcnt_dscnt 0x100
	v_mul_f64_e32 v[30:31], v[22:23], v[16:17]
	v_mul_f64_e32 v[16:17], v[24:25], v[16:17]
	v_fma_f64 v[32:33], v[4:5], v[10:11], v[40:41]
	v_fma_f64 v[10:11], v[2:3], v[10:11], -v[12:13]
	ds_load_b128 v[2:5], v1 offset:1808
	v_add_f64_e32 v[6:7], v[8:9], v[6:7]
	v_add_f64_e32 v[8:9], v[26:27], v[28:29]
	v_fma_f64 v[24:25], v[24:25], v[14:15], v[30:31]
	v_fma_f64 v[14:15], v[22:23], v[14:15], -v[16:17]
	s_wait_loadcnt_dscnt 0x0
	v_mul_f64_e32 v[12:13], v[2:3], v[20:21]
	v_mul_f64_e32 v[20:21], v[4:5], v[20:21]
	v_add_f64_e32 v[6:7], v[6:7], v[10:11]
	v_add_f64_e32 v[8:9], v[8:9], v[32:33]
	s_delay_alu instid0(VALU_DEP_4) | instskip(NEXT) | instid1(VALU_DEP_4)
	v_fma_f64 v[4:5], v[4:5], v[18:19], v[12:13]
	v_fma_f64 v[2:3], v[2:3], v[18:19], -v[20:21]
	s_delay_alu instid0(VALU_DEP_4) | instskip(NEXT) | instid1(VALU_DEP_4)
	v_add_f64_e32 v[6:7], v[6:7], v[14:15]
	v_add_f64_e32 v[8:9], v[8:9], v[24:25]
	s_delay_alu instid0(VALU_DEP_2) | instskip(NEXT) | instid1(VALU_DEP_2)
	v_add_f64_e32 v[2:3], v[6:7], v[2:3]
	v_add_f64_e32 v[4:5], v[8:9], v[4:5]
	s_delay_alu instid0(VALU_DEP_2) | instskip(NEXT) | instid1(VALU_DEP_2)
	v_add_f64_e64 v[2:3], v[42:43], -v[2:3]
	v_add_f64_e64 v[4:5], v[44:45], -v[4:5]
	scratch_store_b128 off, v[2:5], off offset:352
	v_cmpx_lt_u32_e32 20, v0
	s_cbranch_execz .LBB56_315
; %bb.314:
	scratch_load_b128 v[5:8], off, s50
	v_dual_mov_b32 v2, v1 :: v_dual_mov_b32 v3, v1
	v_mov_b32_e32 v4, v1
	scratch_store_b128 off, v[1:4], off offset:336
	s_wait_loadcnt 0x0
	ds_store_b128 v160, v[5:8]
.LBB56_315:
	s_wait_alu 0xfffe
	s_or_b32 exec_lo, exec_lo, s0
	s_wait_storecnt_dscnt 0x0
	s_barrier_signal -1
	s_barrier_wait -1
	global_inv scope:SCOPE_SE
	s_clause 0x8
	scratch_load_b128 v[2:5], off, off offset:352
	scratch_load_b128 v[6:9], off, off offset:368
	;; [unrolled: 1-line block ×9, first 2 shown]
	ds_load_b128 v[38:41], v1 offset:1248
	ds_load_b128 v[42:45], v1 offset:1264
	s_clause 0x1
	scratch_load_b128 v[161:164], off, off offset:336
	scratch_load_b128 v[165:168], off, off offset:496
	s_mov_b32 s0, exec_lo
	s_wait_loadcnt_dscnt 0xa01
	v_mul_f64_e32 v[169:170], v[40:41], v[4:5]
	v_mul_f64_e32 v[4:5], v[38:39], v[4:5]
	s_wait_loadcnt_dscnt 0x900
	v_mul_f64_e32 v[173:174], v[42:43], v[8:9]
	v_mul_f64_e32 v[8:9], v[44:45], v[8:9]
	s_delay_alu instid0(VALU_DEP_4) | instskip(NEXT) | instid1(VALU_DEP_4)
	v_fma_f64 v[175:176], v[38:39], v[2:3], -v[169:170]
	v_fma_f64 v[177:178], v[40:41], v[2:3], v[4:5]
	ds_load_b128 v[2:5], v1 offset:1280
	ds_load_b128 v[169:172], v1 offset:1296
	scratch_load_b128 v[38:41], off, off offset:512
	v_fma_f64 v[44:45], v[44:45], v[6:7], v[173:174]
	v_fma_f64 v[42:43], v[42:43], v[6:7], -v[8:9]
	scratch_load_b128 v[6:9], off, off offset:528
	s_wait_loadcnt_dscnt 0xa01
	v_mul_f64_e32 v[179:180], v[2:3], v[12:13]
	v_mul_f64_e32 v[12:13], v[4:5], v[12:13]
	v_add_f64_e32 v[173:174], 0, v[175:176]
	v_add_f64_e32 v[175:176], 0, v[177:178]
	s_wait_loadcnt_dscnt 0x900
	v_mul_f64_e32 v[177:178], v[169:170], v[16:17]
	v_mul_f64_e32 v[16:17], v[171:172], v[16:17]
	v_fma_f64 v[179:180], v[4:5], v[10:11], v[179:180]
	v_fma_f64 v[181:182], v[2:3], v[10:11], -v[12:13]
	ds_load_b128 v[2:5], v1 offset:1312
	scratch_load_b128 v[10:13], off, off offset:544
	v_add_f64_e32 v[173:174], v[173:174], v[42:43]
	v_add_f64_e32 v[175:176], v[175:176], v[44:45]
	ds_load_b128 v[42:45], v1 offset:1328
	v_fma_f64 v[171:172], v[171:172], v[14:15], v[177:178]
	v_fma_f64 v[169:170], v[169:170], v[14:15], -v[16:17]
	scratch_load_b128 v[14:17], off, off offset:560
	s_wait_loadcnt_dscnt 0xa01
	v_mul_f64_e32 v[183:184], v[2:3], v[20:21]
	v_mul_f64_e32 v[20:21], v[4:5], v[20:21]
	s_wait_loadcnt_dscnt 0x900
	v_mul_f64_e32 v[177:178], v[42:43], v[24:25]
	v_mul_f64_e32 v[24:25], v[44:45], v[24:25]
	v_add_f64_e32 v[173:174], v[173:174], v[181:182]
	v_add_f64_e32 v[175:176], v[175:176], v[179:180]
	v_fma_f64 v[179:180], v[4:5], v[18:19], v[183:184]
	v_fma_f64 v[181:182], v[2:3], v[18:19], -v[20:21]
	ds_load_b128 v[2:5], v1 offset:1344
	scratch_load_b128 v[18:21], off, off offset:576
	v_fma_f64 v[44:45], v[44:45], v[22:23], v[177:178]
	v_fma_f64 v[42:43], v[42:43], v[22:23], -v[24:25]
	scratch_load_b128 v[22:25], off, off offset:592
	v_add_f64_e32 v[173:174], v[173:174], v[169:170]
	v_add_f64_e32 v[175:176], v[175:176], v[171:172]
	ds_load_b128 v[169:172], v1 offset:1360
	s_wait_loadcnt_dscnt 0xa01
	v_mul_f64_e32 v[183:184], v[2:3], v[28:29]
	v_mul_f64_e32 v[28:29], v[4:5], v[28:29]
	s_wait_loadcnt_dscnt 0x900
	v_mul_f64_e32 v[177:178], v[169:170], v[32:33]
	v_mul_f64_e32 v[32:33], v[171:172], v[32:33]
	v_add_f64_e32 v[173:174], v[173:174], v[181:182]
	v_add_f64_e32 v[175:176], v[175:176], v[179:180]
	v_fma_f64 v[179:180], v[4:5], v[26:27], v[183:184]
	v_fma_f64 v[181:182], v[2:3], v[26:27], -v[28:29]
	ds_load_b128 v[2:5], v1 offset:1376
	scratch_load_b128 v[26:29], off, off offset:608
	v_fma_f64 v[171:172], v[171:172], v[30:31], v[177:178]
	v_fma_f64 v[169:170], v[169:170], v[30:31], -v[32:33]
	scratch_load_b128 v[30:33], off, off offset:624
	v_add_f64_e32 v[173:174], v[173:174], v[42:43]
	v_add_f64_e32 v[175:176], v[175:176], v[44:45]
	ds_load_b128 v[42:45], v1 offset:1392
	s_wait_loadcnt_dscnt 0xa01
	v_mul_f64_e32 v[183:184], v[2:3], v[36:37]
	v_mul_f64_e32 v[36:37], v[4:5], v[36:37]
	s_wait_loadcnt_dscnt 0x800
	v_mul_f64_e32 v[177:178], v[42:43], v[167:168]
	v_add_f64_e32 v[173:174], v[173:174], v[181:182]
	v_add_f64_e32 v[175:176], v[175:176], v[179:180]
	v_mul_f64_e32 v[179:180], v[44:45], v[167:168]
	v_fma_f64 v[181:182], v[4:5], v[34:35], v[183:184]
	v_fma_f64 v[183:184], v[2:3], v[34:35], -v[36:37]
	ds_load_b128 v[2:5], v1 offset:1408
	scratch_load_b128 v[34:37], off, off offset:640
	v_fma_f64 v[44:45], v[44:45], v[165:166], v[177:178]
	v_add_f64_e32 v[173:174], v[173:174], v[169:170]
	v_add_f64_e32 v[171:172], v[175:176], v[171:172]
	ds_load_b128 v[167:170], v1 offset:1424
	v_fma_f64 v[165:166], v[42:43], v[165:166], -v[179:180]
	s_wait_loadcnt_dscnt 0x801
	v_mul_f64_e32 v[175:176], v[2:3], v[40:41]
	v_mul_f64_e32 v[185:186], v[4:5], v[40:41]
	scratch_load_b128 v[40:43], off, off offset:656
	s_wait_loadcnt_dscnt 0x800
	v_mul_f64_e32 v[179:180], v[167:168], v[8:9]
	v_mul_f64_e32 v[8:9], v[169:170], v[8:9]
	v_add_f64_e32 v[173:174], v[173:174], v[183:184]
	v_add_f64_e32 v[171:172], v[171:172], v[181:182]
	v_fma_f64 v[181:182], v[4:5], v[38:39], v[175:176]
	v_fma_f64 v[38:39], v[2:3], v[38:39], -v[185:186]
	ds_load_b128 v[2:5], v1 offset:1440
	ds_load_b128 v[175:178], v1 offset:1456
	v_fma_f64 v[169:170], v[169:170], v[6:7], v[179:180]
	v_fma_f64 v[167:168], v[167:168], v[6:7], -v[8:9]
	scratch_load_b128 v[6:9], off, off offset:688
	v_add_f64_e32 v[165:166], v[173:174], v[165:166]
	v_add_f64_e32 v[44:45], v[171:172], v[44:45]
	scratch_load_b128 v[171:174], off, off offset:672
	s_wait_loadcnt_dscnt 0x901
	v_mul_f64_e32 v[183:184], v[2:3], v[12:13]
	v_mul_f64_e32 v[12:13], v[4:5], v[12:13]
	s_wait_loadcnt_dscnt 0x800
	v_mul_f64_e32 v[179:180], v[175:176], v[16:17]
	v_mul_f64_e32 v[16:17], v[177:178], v[16:17]
	v_add_f64_e32 v[38:39], v[165:166], v[38:39]
	v_add_f64_e32 v[44:45], v[44:45], v[181:182]
	v_fma_f64 v[181:182], v[4:5], v[10:11], v[183:184]
	v_fma_f64 v[183:184], v[2:3], v[10:11], -v[12:13]
	ds_load_b128 v[2:5], v1 offset:1472
	scratch_load_b128 v[10:13], off, off offset:704
	v_fma_f64 v[177:178], v[177:178], v[14:15], v[179:180]
	v_fma_f64 v[175:176], v[175:176], v[14:15], -v[16:17]
	scratch_load_b128 v[14:17], off, off offset:720
	v_add_f64_e32 v[38:39], v[38:39], v[167:168]
	v_add_f64_e32 v[44:45], v[44:45], v[169:170]
	ds_load_b128 v[165:168], v1 offset:1488
	s_wait_loadcnt_dscnt 0x901
	v_mul_f64_e32 v[169:170], v[2:3], v[20:21]
	v_mul_f64_e32 v[20:21], v[4:5], v[20:21]
	s_wait_loadcnt_dscnt 0x800
	v_mul_f64_e32 v[179:180], v[165:166], v[24:25]
	v_mul_f64_e32 v[24:25], v[167:168], v[24:25]
	v_add_f64_e32 v[38:39], v[38:39], v[183:184]
	v_add_f64_e32 v[44:45], v[44:45], v[181:182]
	v_fma_f64 v[169:170], v[4:5], v[18:19], v[169:170]
	v_fma_f64 v[181:182], v[2:3], v[18:19], -v[20:21]
	ds_load_b128 v[2:5], v1 offset:1504
	scratch_load_b128 v[18:21], off, off offset:736
	v_fma_f64 v[167:168], v[167:168], v[22:23], v[179:180]
	v_fma_f64 v[165:166], v[165:166], v[22:23], -v[24:25]
	scratch_load_b128 v[22:25], off, off offset:752
	v_add_f64_e32 v[38:39], v[38:39], v[175:176]
	v_add_f64_e32 v[44:45], v[44:45], v[177:178]
	ds_load_b128 v[175:178], v1 offset:1520
	s_wait_loadcnt_dscnt 0x901
	v_mul_f64_e32 v[183:184], v[2:3], v[28:29]
	v_mul_f64_e32 v[28:29], v[4:5], v[28:29]
	v_add_f64_e32 v[38:39], v[38:39], v[181:182]
	v_add_f64_e32 v[44:45], v[44:45], v[169:170]
	s_wait_loadcnt_dscnt 0x800
	v_mul_f64_e32 v[169:170], v[175:176], v[32:33]
	v_mul_f64_e32 v[32:33], v[177:178], v[32:33]
	v_fma_f64 v[179:180], v[4:5], v[26:27], v[183:184]
	v_fma_f64 v[181:182], v[2:3], v[26:27], -v[28:29]
	ds_load_b128 v[2:5], v1 offset:1536
	scratch_load_b128 v[26:29], off, off offset:768
	v_add_f64_e32 v[38:39], v[38:39], v[165:166]
	v_add_f64_e32 v[44:45], v[44:45], v[167:168]
	ds_load_b128 v[165:168], v1 offset:1552
	s_wait_loadcnt_dscnt 0x801
	v_mul_f64_e32 v[183:184], v[2:3], v[36:37]
	v_mul_f64_e32 v[36:37], v[4:5], v[36:37]
	v_fma_f64 v[169:170], v[177:178], v[30:31], v[169:170]
	v_fma_f64 v[175:176], v[175:176], v[30:31], -v[32:33]
	scratch_load_b128 v[30:33], off, off offset:784
	s_wait_loadcnt_dscnt 0x800
	v_mul_f64_e32 v[177:178], v[165:166], v[42:43]
	v_add_f64_e32 v[38:39], v[38:39], v[181:182]
	v_add_f64_e32 v[44:45], v[44:45], v[179:180]
	v_mul_f64_e32 v[179:180], v[167:168], v[42:43]
	v_fma_f64 v[181:182], v[4:5], v[34:35], v[183:184]
	v_fma_f64 v[183:184], v[2:3], v[34:35], -v[36:37]
	ds_load_b128 v[2:5], v1 offset:1568
	scratch_load_b128 v[34:37], off, off offset:800
	v_fma_f64 v[167:168], v[167:168], v[40:41], v[177:178]
	v_add_f64_e32 v[38:39], v[38:39], v[175:176]
	v_add_f64_e32 v[169:170], v[44:45], v[169:170]
	ds_load_b128 v[42:45], v1 offset:1584
	v_fma_f64 v[165:166], v[165:166], v[40:41], -v[179:180]
	s_wait_loadcnt_dscnt 0x701
	v_mul_f64_e32 v[175:176], v[2:3], v[173:174]
	v_mul_f64_e32 v[173:174], v[4:5], v[173:174]
	s_wait_dscnt 0x0
	v_mul_f64_e32 v[179:180], v[42:43], v[8:9]
	v_mul_f64_e32 v[8:9], v[44:45], v[8:9]
	v_add_f64_e32 v[177:178], v[38:39], v[183:184]
	v_add_f64_e32 v[169:170], v[169:170], v[181:182]
	scratch_load_b128 v[38:41], off, off offset:816
	v_fma_f64 v[175:176], v[4:5], v[171:172], v[175:176]
	v_fma_f64 v[173:174], v[2:3], v[171:172], -v[173:174]
	ds_load_b128 v[2:5], v1 offset:1600
	v_fma_f64 v[44:45], v[44:45], v[6:7], v[179:180]
	v_fma_f64 v[42:43], v[42:43], v[6:7], -v[8:9]
	scratch_load_b128 v[6:9], off, off offset:848
	v_add_f64_e32 v[177:178], v[177:178], v[165:166]
	v_add_f64_e32 v[181:182], v[169:170], v[167:168]
	scratch_load_b128 v[165:168], off, off offset:832
	ds_load_b128 v[169:172], v1 offset:1616
	s_wait_loadcnt_dscnt 0x901
	v_mul_f64_e32 v[183:184], v[2:3], v[12:13]
	v_mul_f64_e32 v[12:13], v[4:5], v[12:13]
	v_add_f64_e32 v[173:174], v[177:178], v[173:174]
	v_add_f64_e32 v[175:176], v[181:182], v[175:176]
	s_wait_loadcnt_dscnt 0x800
	v_mul_f64_e32 v[177:178], v[169:170], v[16:17]
	v_mul_f64_e32 v[16:17], v[171:172], v[16:17]
	v_fma_f64 v[179:180], v[4:5], v[10:11], v[183:184]
	v_fma_f64 v[181:182], v[2:3], v[10:11], -v[12:13]
	ds_load_b128 v[2:5], v1 offset:1632
	scratch_load_b128 v[10:13], off, off offset:864
	v_add_f64_e32 v[173:174], v[173:174], v[42:43]
	v_add_f64_e32 v[175:176], v[175:176], v[44:45]
	ds_load_b128 v[42:45], v1 offset:1648
	s_wait_loadcnt_dscnt 0x801
	v_mul_f64_e32 v[183:184], v[2:3], v[20:21]
	v_mul_f64_e32 v[20:21], v[4:5], v[20:21]
	v_fma_f64 v[171:172], v[171:172], v[14:15], v[177:178]
	v_fma_f64 v[169:170], v[169:170], v[14:15], -v[16:17]
	scratch_load_b128 v[14:17], off, off offset:880
	s_wait_loadcnt_dscnt 0x800
	v_mul_f64_e32 v[177:178], v[42:43], v[24:25]
	v_mul_f64_e32 v[24:25], v[44:45], v[24:25]
	v_add_f64_e32 v[173:174], v[173:174], v[181:182]
	v_add_f64_e32 v[175:176], v[175:176], v[179:180]
	v_fma_f64 v[179:180], v[4:5], v[18:19], v[183:184]
	v_fma_f64 v[181:182], v[2:3], v[18:19], -v[20:21]
	ds_load_b128 v[2:5], v1 offset:1664
	scratch_load_b128 v[18:21], off, off offset:896
	v_fma_f64 v[44:45], v[44:45], v[22:23], v[177:178]
	v_fma_f64 v[42:43], v[42:43], v[22:23], -v[24:25]
	scratch_load_b128 v[22:25], off, off offset:912
	v_add_f64_e32 v[173:174], v[173:174], v[169:170]
	v_add_f64_e32 v[175:176], v[175:176], v[171:172]
	ds_load_b128 v[169:172], v1 offset:1680
	s_wait_loadcnt_dscnt 0x901
	v_mul_f64_e32 v[183:184], v[2:3], v[28:29]
	v_mul_f64_e32 v[28:29], v[4:5], v[28:29]
	s_wait_loadcnt_dscnt 0x800
	v_mul_f64_e32 v[177:178], v[169:170], v[32:33]
	v_mul_f64_e32 v[32:33], v[171:172], v[32:33]
	v_add_f64_e32 v[173:174], v[173:174], v[181:182]
	v_add_f64_e32 v[175:176], v[175:176], v[179:180]
	v_fma_f64 v[179:180], v[4:5], v[26:27], v[183:184]
	v_fma_f64 v[181:182], v[2:3], v[26:27], -v[28:29]
	ds_load_b128 v[2:5], v1 offset:1696
	ds_load_b128 v[26:29], v1 offset:1712
	v_fma_f64 v[171:172], v[171:172], v[30:31], v[177:178]
	v_fma_f64 v[30:31], v[169:170], v[30:31], -v[32:33]
	v_add_f64_e32 v[42:43], v[173:174], v[42:43]
	v_add_f64_e32 v[44:45], v[175:176], v[44:45]
	s_wait_loadcnt_dscnt 0x701
	v_mul_f64_e32 v[173:174], v[2:3], v[36:37]
	v_mul_f64_e32 v[36:37], v[4:5], v[36:37]
	s_delay_alu instid0(VALU_DEP_4) | instskip(NEXT) | instid1(VALU_DEP_4)
	v_add_f64_e32 v[32:33], v[42:43], v[181:182]
	v_add_f64_e32 v[42:43], v[44:45], v[179:180]
	s_delay_alu instid0(VALU_DEP_4) | instskip(NEXT) | instid1(VALU_DEP_4)
	v_fma_f64 v[169:170], v[4:5], v[34:35], v[173:174]
	v_fma_f64 v[34:35], v[2:3], v[34:35], -v[36:37]
	s_wait_loadcnt_dscnt 0x600
	v_mul_f64_e32 v[44:45], v[26:27], v[40:41]
	v_mul_f64_e32 v[40:41], v[28:29], v[40:41]
	v_add_f64_e32 v[36:37], v[32:33], v[30:31]
	v_add_f64_e32 v[42:43], v[42:43], v[171:172]
	ds_load_b128 v[2:5], v1 offset:1728
	ds_load_b128 v[30:33], v1 offset:1744
	v_fma_f64 v[28:29], v[28:29], v[38:39], v[44:45]
	v_fma_f64 v[26:27], v[26:27], v[38:39], -v[40:41]
	s_wait_loadcnt_dscnt 0x401
	v_mul_f64_e32 v[171:172], v[2:3], v[167:168]
	v_mul_f64_e32 v[167:168], v[4:5], v[167:168]
	s_wait_dscnt 0x0
	v_mul_f64_e32 v[38:39], v[30:31], v[8:9]
	v_mul_f64_e32 v[8:9], v[32:33], v[8:9]
	v_add_f64_e32 v[34:35], v[36:37], v[34:35]
	v_add_f64_e32 v[36:37], v[42:43], v[169:170]
	v_fma_f64 v[40:41], v[4:5], v[165:166], v[171:172]
	v_fma_f64 v[42:43], v[2:3], v[165:166], -v[167:168]
	v_fma_f64 v[32:33], v[32:33], v[6:7], v[38:39]
	v_fma_f64 v[6:7], v[30:31], v[6:7], -v[8:9]
	v_add_f64_e32 v[34:35], v[34:35], v[26:27]
	v_add_f64_e32 v[36:37], v[36:37], v[28:29]
	ds_load_b128 v[2:5], v1 offset:1760
	ds_load_b128 v[26:29], v1 offset:1776
	s_wait_loadcnt_dscnt 0x301
	v_mul_f64_e32 v[44:45], v[2:3], v[12:13]
	v_mul_f64_e32 v[12:13], v[4:5], v[12:13]
	v_add_f64_e32 v[8:9], v[34:35], v[42:43]
	v_add_f64_e32 v[30:31], v[36:37], v[40:41]
	s_wait_loadcnt_dscnt 0x200
	v_mul_f64_e32 v[34:35], v[26:27], v[16:17]
	v_mul_f64_e32 v[16:17], v[28:29], v[16:17]
	v_fma_f64 v[36:37], v[4:5], v[10:11], v[44:45]
	v_fma_f64 v[10:11], v[2:3], v[10:11], -v[12:13]
	v_add_f64_e32 v[12:13], v[8:9], v[6:7]
	v_add_f64_e32 v[30:31], v[30:31], v[32:33]
	ds_load_b128 v[2:5], v1 offset:1792
	ds_load_b128 v[6:9], v1 offset:1808
	v_fma_f64 v[28:29], v[28:29], v[14:15], v[34:35]
	v_fma_f64 v[14:15], v[26:27], v[14:15], -v[16:17]
	s_wait_loadcnt_dscnt 0x101
	v_mul_f64_e32 v[32:33], v[2:3], v[20:21]
	v_mul_f64_e32 v[20:21], v[4:5], v[20:21]
	s_wait_loadcnt_dscnt 0x0
	v_mul_f64_e32 v[16:17], v[6:7], v[24:25]
	v_mul_f64_e32 v[24:25], v[8:9], v[24:25]
	v_add_f64_e32 v[10:11], v[12:13], v[10:11]
	v_add_f64_e32 v[12:13], v[30:31], v[36:37]
	v_fma_f64 v[4:5], v[4:5], v[18:19], v[32:33]
	v_fma_f64 v[1:2], v[2:3], v[18:19], -v[20:21]
	v_fma_f64 v[8:9], v[8:9], v[22:23], v[16:17]
	v_fma_f64 v[6:7], v[6:7], v[22:23], -v[24:25]
	v_add_f64_e32 v[10:11], v[10:11], v[14:15]
	v_add_f64_e32 v[12:13], v[12:13], v[28:29]
	s_delay_alu instid0(VALU_DEP_2) | instskip(NEXT) | instid1(VALU_DEP_2)
	v_add_f64_e32 v[1:2], v[10:11], v[1:2]
	v_add_f64_e32 v[3:4], v[12:13], v[4:5]
	s_delay_alu instid0(VALU_DEP_2) | instskip(NEXT) | instid1(VALU_DEP_2)
	;; [unrolled: 3-line block ×3, first 2 shown]
	v_add_f64_e64 v[1:2], v[161:162], -v[1:2]
	v_add_f64_e64 v[3:4], v[163:164], -v[3:4]
	scratch_store_b128 off, v[1:4], off offset:336
	v_cmpx_lt_u32_e32 19, v0
	s_cbranch_execz .LBB56_317
; %bb.316:
	scratch_load_b128 v[1:4], off, s51
	v_mov_b32_e32 v5, 0
	s_delay_alu instid0(VALU_DEP_1)
	v_dual_mov_b32 v6, v5 :: v_dual_mov_b32 v7, v5
	v_mov_b32_e32 v8, v5
	scratch_store_b128 off, v[5:8], off offset:320
	s_wait_loadcnt 0x0
	ds_store_b128 v160, v[1:4]
.LBB56_317:
	s_wait_alu 0xfffe
	s_or_b32 exec_lo, exec_lo, s0
	s_wait_storecnt_dscnt 0x0
	s_barrier_signal -1
	s_barrier_wait -1
	global_inv scope:SCOPE_SE
	s_clause 0x7
	scratch_load_b128 v[2:5], off, off offset:336
	scratch_load_b128 v[6:9], off, off offset:352
	scratch_load_b128 v[10:13], off, off offset:368
	scratch_load_b128 v[14:17], off, off offset:384
	scratch_load_b128 v[18:21], off, off offset:400
	scratch_load_b128 v[22:25], off, off offset:416
	scratch_load_b128 v[26:29], off, off offset:432
	scratch_load_b128 v[30:33], off, off offset:448
	v_mov_b32_e32 v1, 0
	s_mov_b32 s0, exec_lo
	ds_load_b128 v[38:41], v1 offset:1232
	s_clause 0x1
	scratch_load_b128 v[34:37], off, off offset:464
	scratch_load_b128 v[42:45], off, off offset:320
	ds_load_b128 v[161:164], v1 offset:1248
	scratch_load_b128 v[165:168], off, off offset:480
	s_wait_loadcnt_dscnt 0xa01
	v_mul_f64_e32 v[169:170], v[40:41], v[4:5]
	v_mul_f64_e32 v[4:5], v[38:39], v[4:5]
	s_delay_alu instid0(VALU_DEP_2) | instskip(NEXT) | instid1(VALU_DEP_2)
	v_fma_f64 v[175:176], v[38:39], v[2:3], -v[169:170]
	v_fma_f64 v[177:178], v[40:41], v[2:3], v[4:5]
	ds_load_b128 v[2:5], v1 offset:1264
	s_wait_loadcnt_dscnt 0x901
	v_mul_f64_e32 v[173:174], v[161:162], v[8:9]
	v_mul_f64_e32 v[8:9], v[163:164], v[8:9]
	scratch_load_b128 v[38:41], off, off offset:496
	ds_load_b128 v[169:172], v1 offset:1280
	s_wait_loadcnt_dscnt 0x901
	v_mul_f64_e32 v[179:180], v[2:3], v[12:13]
	v_mul_f64_e32 v[12:13], v[4:5], v[12:13]
	v_fma_f64 v[163:164], v[163:164], v[6:7], v[173:174]
	v_fma_f64 v[161:162], v[161:162], v[6:7], -v[8:9]
	v_add_f64_e32 v[173:174], 0, v[175:176]
	v_add_f64_e32 v[175:176], 0, v[177:178]
	scratch_load_b128 v[6:9], off, off offset:512
	v_fma_f64 v[179:180], v[4:5], v[10:11], v[179:180]
	v_fma_f64 v[181:182], v[2:3], v[10:11], -v[12:13]
	ds_load_b128 v[2:5], v1 offset:1296
	s_wait_loadcnt_dscnt 0x901
	v_mul_f64_e32 v[177:178], v[169:170], v[16:17]
	v_mul_f64_e32 v[16:17], v[171:172], v[16:17]
	scratch_load_b128 v[10:13], off, off offset:528
	v_add_f64_e32 v[173:174], v[173:174], v[161:162]
	v_add_f64_e32 v[175:176], v[175:176], v[163:164]
	s_wait_loadcnt_dscnt 0x900
	v_mul_f64_e32 v[183:184], v[2:3], v[20:21]
	v_mul_f64_e32 v[20:21], v[4:5], v[20:21]
	ds_load_b128 v[161:164], v1 offset:1312
	v_fma_f64 v[171:172], v[171:172], v[14:15], v[177:178]
	v_fma_f64 v[169:170], v[169:170], v[14:15], -v[16:17]
	scratch_load_b128 v[14:17], off, off offset:544
	v_add_f64_e32 v[173:174], v[173:174], v[181:182]
	v_add_f64_e32 v[175:176], v[175:176], v[179:180]
	v_fma_f64 v[179:180], v[4:5], v[18:19], v[183:184]
	v_fma_f64 v[181:182], v[2:3], v[18:19], -v[20:21]
	ds_load_b128 v[2:5], v1 offset:1328
	s_wait_loadcnt_dscnt 0x901
	v_mul_f64_e32 v[177:178], v[161:162], v[24:25]
	v_mul_f64_e32 v[24:25], v[163:164], v[24:25]
	scratch_load_b128 v[18:21], off, off offset:560
	s_wait_loadcnt_dscnt 0x900
	v_mul_f64_e32 v[183:184], v[2:3], v[28:29]
	v_mul_f64_e32 v[28:29], v[4:5], v[28:29]
	v_add_f64_e32 v[173:174], v[173:174], v[169:170]
	v_add_f64_e32 v[175:176], v[175:176], v[171:172]
	ds_load_b128 v[169:172], v1 offset:1344
	v_fma_f64 v[163:164], v[163:164], v[22:23], v[177:178]
	v_fma_f64 v[161:162], v[161:162], v[22:23], -v[24:25]
	scratch_load_b128 v[22:25], off, off offset:576
	v_add_f64_e32 v[173:174], v[173:174], v[181:182]
	v_add_f64_e32 v[175:176], v[175:176], v[179:180]
	v_fma_f64 v[179:180], v[4:5], v[26:27], v[183:184]
	v_fma_f64 v[181:182], v[2:3], v[26:27], -v[28:29]
	ds_load_b128 v[2:5], v1 offset:1360
	s_wait_loadcnt_dscnt 0x901
	v_mul_f64_e32 v[177:178], v[169:170], v[32:33]
	v_mul_f64_e32 v[32:33], v[171:172], v[32:33]
	scratch_load_b128 v[26:29], off, off offset:592
	s_wait_loadcnt_dscnt 0x900
	v_mul_f64_e32 v[183:184], v[2:3], v[36:37]
	v_mul_f64_e32 v[36:37], v[4:5], v[36:37]
	v_add_f64_e32 v[173:174], v[173:174], v[161:162]
	v_add_f64_e32 v[175:176], v[175:176], v[163:164]
	ds_load_b128 v[161:164], v1 offset:1376
	v_fma_f64 v[171:172], v[171:172], v[30:31], v[177:178]
	v_fma_f64 v[169:170], v[169:170], v[30:31], -v[32:33]
	scratch_load_b128 v[30:33], off, off offset:608
	v_add_f64_e32 v[173:174], v[173:174], v[181:182]
	v_add_f64_e32 v[175:176], v[175:176], v[179:180]
	v_fma_f64 v[181:182], v[4:5], v[34:35], v[183:184]
	v_fma_f64 v[183:184], v[2:3], v[34:35], -v[36:37]
	ds_load_b128 v[2:5], v1 offset:1392
	s_wait_loadcnt_dscnt 0x801
	v_mul_f64_e32 v[177:178], v[161:162], v[167:168]
	v_mul_f64_e32 v[179:180], v[163:164], v[167:168]
	scratch_load_b128 v[34:37], off, off offset:624
	v_add_f64_e32 v[173:174], v[173:174], v[169:170]
	v_add_f64_e32 v[171:172], v[175:176], v[171:172]
	ds_load_b128 v[167:170], v1 offset:1408
	v_fma_f64 v[177:178], v[163:164], v[165:166], v[177:178]
	v_fma_f64 v[165:166], v[161:162], v[165:166], -v[179:180]
	scratch_load_b128 v[161:164], off, off offset:640
	s_wait_loadcnt_dscnt 0x901
	v_mul_f64_e32 v[175:176], v[2:3], v[40:41]
	v_mul_f64_e32 v[40:41], v[4:5], v[40:41]
	v_add_f64_e32 v[173:174], v[173:174], v[183:184]
	v_add_f64_e32 v[171:172], v[171:172], v[181:182]
	s_delay_alu instid0(VALU_DEP_4) | instskip(NEXT) | instid1(VALU_DEP_4)
	v_fma_f64 v[175:176], v[4:5], v[38:39], v[175:176]
	v_fma_f64 v[181:182], v[2:3], v[38:39], -v[40:41]
	ds_load_b128 v[2:5], v1 offset:1424
	s_wait_loadcnt_dscnt 0x801
	v_mul_f64_e32 v[179:180], v[167:168], v[8:9]
	v_mul_f64_e32 v[8:9], v[169:170], v[8:9]
	scratch_load_b128 v[38:41], off, off offset:656
	s_wait_loadcnt_dscnt 0x800
	v_mul_f64_e32 v[183:184], v[2:3], v[12:13]
	v_add_f64_e32 v[165:166], v[173:174], v[165:166]
	v_add_f64_e32 v[177:178], v[171:172], v[177:178]
	v_mul_f64_e32 v[12:13], v[4:5], v[12:13]
	ds_load_b128 v[171:174], v1 offset:1440
	v_fma_f64 v[169:170], v[169:170], v[6:7], v[179:180]
	v_fma_f64 v[167:168], v[167:168], v[6:7], -v[8:9]
	scratch_load_b128 v[6:9], off, off offset:672
	v_fma_f64 v[179:180], v[4:5], v[10:11], v[183:184]
	v_add_f64_e32 v[165:166], v[165:166], v[181:182]
	v_add_f64_e32 v[175:176], v[177:178], v[175:176]
	v_fma_f64 v[181:182], v[2:3], v[10:11], -v[12:13]
	ds_load_b128 v[2:5], v1 offset:1456
	s_wait_loadcnt_dscnt 0x801
	v_mul_f64_e32 v[177:178], v[171:172], v[16:17]
	v_mul_f64_e32 v[16:17], v[173:174], v[16:17]
	scratch_load_b128 v[10:13], off, off offset:688
	v_add_f64_e32 v[183:184], v[165:166], v[167:168]
	v_add_f64_e32 v[169:170], v[175:176], v[169:170]
	s_wait_loadcnt_dscnt 0x800
	v_mul_f64_e32 v[175:176], v[2:3], v[20:21]
	v_mul_f64_e32 v[20:21], v[4:5], v[20:21]
	v_fma_f64 v[173:174], v[173:174], v[14:15], v[177:178]
	v_fma_f64 v[171:172], v[171:172], v[14:15], -v[16:17]
	ds_load_b128 v[165:168], v1 offset:1472
	scratch_load_b128 v[14:17], off, off offset:704
	v_add_f64_e32 v[177:178], v[183:184], v[181:182]
	v_add_f64_e32 v[169:170], v[169:170], v[179:180]
	v_fma_f64 v[175:176], v[4:5], v[18:19], v[175:176]
	v_fma_f64 v[181:182], v[2:3], v[18:19], -v[20:21]
	ds_load_b128 v[2:5], v1 offset:1488
	s_wait_loadcnt_dscnt 0x801
	v_mul_f64_e32 v[179:180], v[165:166], v[24:25]
	v_mul_f64_e32 v[24:25], v[167:168], v[24:25]
	scratch_load_b128 v[18:21], off, off offset:720
	s_wait_loadcnt_dscnt 0x800
	v_mul_f64_e32 v[183:184], v[2:3], v[28:29]
	v_mul_f64_e32 v[28:29], v[4:5], v[28:29]
	v_add_f64_e32 v[177:178], v[177:178], v[171:172]
	v_add_f64_e32 v[173:174], v[169:170], v[173:174]
	ds_load_b128 v[169:172], v1 offset:1504
	v_fma_f64 v[167:168], v[167:168], v[22:23], v[179:180]
	v_fma_f64 v[165:166], v[165:166], v[22:23], -v[24:25]
	scratch_load_b128 v[22:25], off, off offset:736
	v_fma_f64 v[179:180], v[4:5], v[26:27], v[183:184]
	v_add_f64_e32 v[177:178], v[177:178], v[181:182]
	v_add_f64_e32 v[173:174], v[173:174], v[175:176]
	v_fma_f64 v[181:182], v[2:3], v[26:27], -v[28:29]
	ds_load_b128 v[2:5], v1 offset:1520
	s_wait_loadcnt_dscnt 0x801
	v_mul_f64_e32 v[175:176], v[169:170], v[32:33]
	v_mul_f64_e32 v[32:33], v[171:172], v[32:33]
	scratch_load_b128 v[26:29], off, off offset:752
	s_wait_loadcnt_dscnt 0x800
	v_mul_f64_e32 v[183:184], v[2:3], v[36:37]
	v_mul_f64_e32 v[36:37], v[4:5], v[36:37]
	v_add_f64_e32 v[177:178], v[177:178], v[165:166]
	v_add_f64_e32 v[173:174], v[173:174], v[167:168]
	ds_load_b128 v[165:168], v1 offset:1536
	v_fma_f64 v[171:172], v[171:172], v[30:31], v[175:176]
	v_fma_f64 v[169:170], v[169:170], v[30:31], -v[32:33]
	scratch_load_b128 v[30:33], off, off offset:768
	v_add_f64_e32 v[175:176], v[177:178], v[181:182]
	v_add_f64_e32 v[173:174], v[173:174], v[179:180]
	v_fma_f64 v[179:180], v[4:5], v[34:35], v[183:184]
	v_fma_f64 v[181:182], v[2:3], v[34:35], -v[36:37]
	ds_load_b128 v[2:5], v1 offset:1552
	s_wait_loadcnt_dscnt 0x801
	v_mul_f64_e32 v[177:178], v[165:166], v[163:164]
	v_mul_f64_e32 v[163:164], v[167:168], v[163:164]
	scratch_load_b128 v[34:37], off, off offset:784
	s_wait_loadcnt_dscnt 0x800
	v_mul_f64_e32 v[183:184], v[2:3], v[40:41]
	v_mul_f64_e32 v[40:41], v[4:5], v[40:41]
	v_add_f64_e32 v[175:176], v[175:176], v[169:170]
	v_add_f64_e32 v[173:174], v[173:174], v[171:172]
	ds_load_b128 v[169:172], v1 offset:1568
	v_fma_f64 v[167:168], v[167:168], v[161:162], v[177:178]
	v_fma_f64 v[165:166], v[165:166], v[161:162], -v[163:164]
	scratch_load_b128 v[161:164], off, off offset:800
	v_add_f64_e32 v[175:176], v[175:176], v[181:182]
	v_add_f64_e32 v[173:174], v[173:174], v[179:180]
	v_fma_f64 v[179:180], v[4:5], v[38:39], v[183:184]
	;; [unrolled: 18-line block ×5, first 2 shown]
	v_fma_f64 v[181:182], v[2:3], v[26:27], -v[28:29]
	ds_load_b128 v[2:5], v1 offset:1680
	s_wait_loadcnt_dscnt 0x801
	v_mul_f64_e32 v[177:178], v[165:166], v[32:33]
	v_mul_f64_e32 v[32:33], v[167:168], v[32:33]
	scratch_load_b128 v[26:29], off, off offset:912
	s_wait_loadcnt_dscnt 0x800
	v_mul_f64_e32 v[183:184], v[2:3], v[36:37]
	v_mul_f64_e32 v[36:37], v[4:5], v[36:37]
	v_add_f64_e32 v[175:176], v[175:176], v[169:170]
	v_add_f64_e32 v[173:174], v[173:174], v[171:172]
	ds_load_b128 v[169:172], v1 offset:1696
	v_fma_f64 v[167:168], v[167:168], v[30:31], v[177:178]
	v_fma_f64 v[30:31], v[165:166], v[30:31], -v[32:33]
	v_add_f64_e32 v[32:33], v[175:176], v[181:182]
	v_add_f64_e32 v[165:166], v[173:174], v[179:180]
	s_wait_loadcnt_dscnt 0x700
	v_mul_f64_e32 v[173:174], v[169:170], v[163:164]
	v_mul_f64_e32 v[163:164], v[171:172], v[163:164]
	v_fma_f64 v[175:176], v[4:5], v[34:35], v[183:184]
	v_fma_f64 v[34:35], v[2:3], v[34:35], -v[36:37]
	v_add_f64_e32 v[36:37], v[32:33], v[30:31]
	v_add_f64_e32 v[165:166], v[165:166], v[167:168]
	ds_load_b128 v[2:5], v1 offset:1712
	ds_load_b128 v[30:33], v1 offset:1728
	v_fma_f64 v[171:172], v[171:172], v[161:162], v[173:174]
	v_fma_f64 v[161:162], v[169:170], v[161:162], -v[163:164]
	s_wait_loadcnt_dscnt 0x601
	v_mul_f64_e32 v[167:168], v[2:3], v[40:41]
	v_mul_f64_e32 v[40:41], v[4:5], v[40:41]
	s_wait_loadcnt_dscnt 0x500
	v_mul_f64_e32 v[163:164], v[30:31], v[8:9]
	v_mul_f64_e32 v[8:9], v[32:33], v[8:9]
	v_add_f64_e32 v[34:35], v[36:37], v[34:35]
	v_add_f64_e32 v[36:37], v[165:166], v[175:176]
	v_fma_f64 v[165:166], v[4:5], v[38:39], v[167:168]
	v_fma_f64 v[38:39], v[2:3], v[38:39], -v[40:41]
	v_fma_f64 v[32:33], v[32:33], v[6:7], v[163:164]
	v_fma_f64 v[6:7], v[30:31], v[6:7], -v[8:9]
	v_add_f64_e32 v[40:41], v[34:35], v[161:162]
	v_add_f64_e32 v[161:162], v[36:37], v[171:172]
	ds_load_b128 v[2:5], v1 offset:1744
	ds_load_b128 v[34:37], v1 offset:1760
	s_wait_loadcnt_dscnt 0x401
	v_mul_f64_e32 v[167:168], v[2:3], v[12:13]
	v_mul_f64_e32 v[12:13], v[4:5], v[12:13]
	v_add_f64_e32 v[8:9], v[40:41], v[38:39]
	v_add_f64_e32 v[30:31], v[161:162], v[165:166]
	s_wait_loadcnt_dscnt 0x300
	v_mul_f64_e32 v[38:39], v[34:35], v[16:17]
	v_mul_f64_e32 v[16:17], v[36:37], v[16:17]
	v_fma_f64 v[40:41], v[4:5], v[10:11], v[167:168]
	v_fma_f64 v[10:11], v[2:3], v[10:11], -v[12:13]
	v_add_f64_e32 v[12:13], v[8:9], v[6:7]
	v_add_f64_e32 v[30:31], v[30:31], v[32:33]
	ds_load_b128 v[2:5], v1 offset:1776
	ds_load_b128 v[6:9], v1 offset:1792
	v_fma_f64 v[36:37], v[36:37], v[14:15], v[38:39]
	v_fma_f64 v[14:15], v[34:35], v[14:15], -v[16:17]
	s_wait_loadcnt_dscnt 0x201
	v_mul_f64_e32 v[32:33], v[2:3], v[20:21]
	v_mul_f64_e32 v[20:21], v[4:5], v[20:21]
	s_wait_loadcnt_dscnt 0x100
	v_mul_f64_e32 v[16:17], v[6:7], v[24:25]
	v_mul_f64_e32 v[24:25], v[8:9], v[24:25]
	v_add_f64_e32 v[10:11], v[12:13], v[10:11]
	v_add_f64_e32 v[12:13], v[30:31], v[40:41]
	v_fma_f64 v[30:31], v[4:5], v[18:19], v[32:33]
	v_fma_f64 v[18:19], v[2:3], v[18:19], -v[20:21]
	ds_load_b128 v[2:5], v1 offset:1808
	v_fma_f64 v[8:9], v[8:9], v[22:23], v[16:17]
	v_fma_f64 v[6:7], v[6:7], v[22:23], -v[24:25]
	v_add_f64_e32 v[10:11], v[10:11], v[14:15]
	v_add_f64_e32 v[12:13], v[12:13], v[36:37]
	s_wait_loadcnt_dscnt 0x0
	v_mul_f64_e32 v[14:15], v[2:3], v[28:29]
	v_mul_f64_e32 v[20:21], v[4:5], v[28:29]
	s_delay_alu instid0(VALU_DEP_4) | instskip(NEXT) | instid1(VALU_DEP_4)
	v_add_f64_e32 v[10:11], v[10:11], v[18:19]
	v_add_f64_e32 v[12:13], v[12:13], v[30:31]
	s_delay_alu instid0(VALU_DEP_4) | instskip(NEXT) | instid1(VALU_DEP_4)
	v_fma_f64 v[4:5], v[4:5], v[26:27], v[14:15]
	v_fma_f64 v[2:3], v[2:3], v[26:27], -v[20:21]
	s_delay_alu instid0(VALU_DEP_4) | instskip(NEXT) | instid1(VALU_DEP_4)
	v_add_f64_e32 v[6:7], v[10:11], v[6:7]
	v_add_f64_e32 v[8:9], v[12:13], v[8:9]
	s_delay_alu instid0(VALU_DEP_2) | instskip(NEXT) | instid1(VALU_DEP_2)
	v_add_f64_e32 v[2:3], v[6:7], v[2:3]
	v_add_f64_e32 v[4:5], v[8:9], v[4:5]
	s_delay_alu instid0(VALU_DEP_2) | instskip(NEXT) | instid1(VALU_DEP_2)
	v_add_f64_e64 v[2:3], v[42:43], -v[2:3]
	v_add_f64_e64 v[4:5], v[44:45], -v[4:5]
	scratch_store_b128 off, v[2:5], off offset:320
	v_cmpx_lt_u32_e32 18, v0
	s_cbranch_execz .LBB56_319
; %bb.318:
	scratch_load_b128 v[5:8], off, s52
	v_dual_mov_b32 v2, v1 :: v_dual_mov_b32 v3, v1
	v_mov_b32_e32 v4, v1
	scratch_store_b128 off, v[1:4], off offset:304
	s_wait_loadcnt 0x0
	ds_store_b128 v160, v[5:8]
.LBB56_319:
	s_wait_alu 0xfffe
	s_or_b32 exec_lo, exec_lo, s0
	s_wait_storecnt_dscnt 0x0
	s_barrier_signal -1
	s_barrier_wait -1
	global_inv scope:SCOPE_SE
	s_clause 0x8
	scratch_load_b128 v[2:5], off, off offset:320
	scratch_load_b128 v[6:9], off, off offset:336
	;; [unrolled: 1-line block ×9, first 2 shown]
	ds_load_b128 v[42:45], v1 offset:1216
	ds_load_b128 v[38:41], v1 offset:1232
	s_clause 0x1
	scratch_load_b128 v[161:164], off, off offset:304
	scratch_load_b128 v[165:168], off, off offset:464
	s_mov_b32 s0, exec_lo
	s_wait_loadcnt_dscnt 0xa01
	v_mul_f64_e32 v[169:170], v[44:45], v[4:5]
	v_mul_f64_e32 v[4:5], v[42:43], v[4:5]
	s_wait_loadcnt_dscnt 0x900
	v_mul_f64_e32 v[173:174], v[38:39], v[8:9]
	v_mul_f64_e32 v[8:9], v[40:41], v[8:9]
	s_delay_alu instid0(VALU_DEP_4) | instskip(NEXT) | instid1(VALU_DEP_4)
	v_fma_f64 v[175:176], v[42:43], v[2:3], -v[169:170]
	v_fma_f64 v[177:178], v[44:45], v[2:3], v[4:5]
	ds_load_b128 v[2:5], v1 offset:1248
	ds_load_b128 v[169:172], v1 offset:1264
	scratch_load_b128 v[42:45], off, off offset:480
	v_fma_f64 v[40:41], v[40:41], v[6:7], v[173:174]
	v_fma_f64 v[38:39], v[38:39], v[6:7], -v[8:9]
	scratch_load_b128 v[6:9], off, off offset:496
	s_wait_loadcnt_dscnt 0xa01
	v_mul_f64_e32 v[179:180], v[2:3], v[12:13]
	v_mul_f64_e32 v[12:13], v[4:5], v[12:13]
	v_add_f64_e32 v[173:174], 0, v[175:176]
	v_add_f64_e32 v[175:176], 0, v[177:178]
	s_wait_loadcnt_dscnt 0x900
	v_mul_f64_e32 v[177:178], v[169:170], v[16:17]
	v_mul_f64_e32 v[16:17], v[171:172], v[16:17]
	v_fma_f64 v[179:180], v[4:5], v[10:11], v[179:180]
	v_fma_f64 v[181:182], v[2:3], v[10:11], -v[12:13]
	ds_load_b128 v[2:5], v1 offset:1280
	scratch_load_b128 v[10:13], off, off offset:512
	v_add_f64_e32 v[173:174], v[173:174], v[38:39]
	v_add_f64_e32 v[175:176], v[175:176], v[40:41]
	ds_load_b128 v[38:41], v1 offset:1296
	v_fma_f64 v[171:172], v[171:172], v[14:15], v[177:178]
	v_fma_f64 v[169:170], v[169:170], v[14:15], -v[16:17]
	scratch_load_b128 v[14:17], off, off offset:528
	s_wait_loadcnt_dscnt 0xa01
	v_mul_f64_e32 v[183:184], v[2:3], v[20:21]
	v_mul_f64_e32 v[20:21], v[4:5], v[20:21]
	s_wait_loadcnt_dscnt 0x900
	v_mul_f64_e32 v[177:178], v[38:39], v[24:25]
	v_mul_f64_e32 v[24:25], v[40:41], v[24:25]
	v_add_f64_e32 v[173:174], v[173:174], v[181:182]
	v_add_f64_e32 v[175:176], v[175:176], v[179:180]
	v_fma_f64 v[179:180], v[4:5], v[18:19], v[183:184]
	v_fma_f64 v[181:182], v[2:3], v[18:19], -v[20:21]
	ds_load_b128 v[2:5], v1 offset:1312
	scratch_load_b128 v[18:21], off, off offset:544
	v_fma_f64 v[40:41], v[40:41], v[22:23], v[177:178]
	v_fma_f64 v[38:39], v[38:39], v[22:23], -v[24:25]
	scratch_load_b128 v[22:25], off, off offset:560
	v_add_f64_e32 v[173:174], v[173:174], v[169:170]
	v_add_f64_e32 v[175:176], v[175:176], v[171:172]
	ds_load_b128 v[169:172], v1 offset:1328
	s_wait_loadcnt_dscnt 0xa01
	v_mul_f64_e32 v[183:184], v[2:3], v[28:29]
	v_mul_f64_e32 v[28:29], v[4:5], v[28:29]
	s_wait_loadcnt_dscnt 0x900
	v_mul_f64_e32 v[177:178], v[169:170], v[32:33]
	v_mul_f64_e32 v[32:33], v[171:172], v[32:33]
	v_add_f64_e32 v[173:174], v[173:174], v[181:182]
	v_add_f64_e32 v[175:176], v[175:176], v[179:180]
	v_fma_f64 v[179:180], v[4:5], v[26:27], v[183:184]
	v_fma_f64 v[181:182], v[2:3], v[26:27], -v[28:29]
	ds_load_b128 v[2:5], v1 offset:1344
	scratch_load_b128 v[26:29], off, off offset:576
	v_fma_f64 v[171:172], v[171:172], v[30:31], v[177:178]
	v_fma_f64 v[169:170], v[169:170], v[30:31], -v[32:33]
	scratch_load_b128 v[30:33], off, off offset:592
	v_add_f64_e32 v[173:174], v[173:174], v[38:39]
	v_add_f64_e32 v[175:176], v[175:176], v[40:41]
	ds_load_b128 v[38:41], v1 offset:1360
	s_wait_loadcnt_dscnt 0xa01
	v_mul_f64_e32 v[183:184], v[2:3], v[36:37]
	v_mul_f64_e32 v[36:37], v[4:5], v[36:37]
	s_wait_loadcnt_dscnt 0x800
	v_mul_f64_e32 v[177:178], v[38:39], v[167:168]
	v_add_f64_e32 v[173:174], v[173:174], v[181:182]
	v_add_f64_e32 v[175:176], v[175:176], v[179:180]
	v_mul_f64_e32 v[179:180], v[40:41], v[167:168]
	v_fma_f64 v[181:182], v[4:5], v[34:35], v[183:184]
	v_fma_f64 v[183:184], v[2:3], v[34:35], -v[36:37]
	ds_load_b128 v[2:5], v1 offset:1376
	scratch_load_b128 v[34:37], off, off offset:608
	v_fma_f64 v[177:178], v[40:41], v[165:166], v[177:178]
	v_add_f64_e32 v[173:174], v[173:174], v[169:170]
	v_add_f64_e32 v[171:172], v[175:176], v[171:172]
	ds_load_b128 v[167:170], v1 offset:1392
	v_fma_f64 v[165:166], v[38:39], v[165:166], -v[179:180]
	scratch_load_b128 v[38:41], off, off offset:624
	s_wait_loadcnt_dscnt 0x901
	v_mul_f64_e32 v[175:176], v[2:3], v[44:45]
	v_mul_f64_e32 v[44:45], v[4:5], v[44:45]
	s_wait_loadcnt_dscnt 0x800
	v_mul_f64_e32 v[179:180], v[167:168], v[8:9]
	v_mul_f64_e32 v[8:9], v[169:170], v[8:9]
	v_add_f64_e32 v[173:174], v[173:174], v[183:184]
	v_add_f64_e32 v[171:172], v[171:172], v[181:182]
	v_fma_f64 v[175:176], v[4:5], v[42:43], v[175:176]
	v_fma_f64 v[181:182], v[2:3], v[42:43], -v[44:45]
	ds_load_b128 v[2:5], v1 offset:1408
	scratch_load_b128 v[42:45], off, off offset:640
	v_fma_f64 v[169:170], v[169:170], v[6:7], v[179:180]
	v_fma_f64 v[167:168], v[167:168], v[6:7], -v[8:9]
	scratch_load_b128 v[6:9], off, off offset:656
	v_add_f64_e32 v[165:166], v[173:174], v[165:166]
	v_add_f64_e32 v[177:178], v[171:172], v[177:178]
	ds_load_b128 v[171:174], v1 offset:1424
	s_wait_loadcnt_dscnt 0x901
	v_mul_f64_e32 v[183:184], v[2:3], v[12:13]
	v_mul_f64_e32 v[12:13], v[4:5], v[12:13]
	v_add_f64_e32 v[165:166], v[165:166], v[181:182]
	v_add_f64_e32 v[175:176], v[177:178], v[175:176]
	s_wait_loadcnt_dscnt 0x800
	v_mul_f64_e32 v[177:178], v[171:172], v[16:17]
	v_mul_f64_e32 v[16:17], v[173:174], v[16:17]
	v_fma_f64 v[179:180], v[4:5], v[10:11], v[183:184]
	v_fma_f64 v[181:182], v[2:3], v[10:11], -v[12:13]
	ds_load_b128 v[2:5], v1 offset:1440
	scratch_load_b128 v[10:13], off, off offset:672
	v_add_f64_e32 v[183:184], v[165:166], v[167:168]
	v_add_f64_e32 v[169:170], v[175:176], v[169:170]
	ds_load_b128 v[165:168], v1 offset:1456
	s_wait_loadcnt_dscnt 0x801
	v_mul_f64_e32 v[175:176], v[2:3], v[20:21]
	v_mul_f64_e32 v[20:21], v[4:5], v[20:21]
	v_fma_f64 v[173:174], v[173:174], v[14:15], v[177:178]
	v_fma_f64 v[171:172], v[171:172], v[14:15], -v[16:17]
	scratch_load_b128 v[14:17], off, off offset:688
	v_add_f64_e32 v[177:178], v[183:184], v[181:182]
	v_add_f64_e32 v[169:170], v[169:170], v[179:180]
	s_wait_loadcnt_dscnt 0x800
	v_mul_f64_e32 v[179:180], v[165:166], v[24:25]
	v_mul_f64_e32 v[24:25], v[167:168], v[24:25]
	v_fma_f64 v[175:176], v[4:5], v[18:19], v[175:176]
	v_fma_f64 v[181:182], v[2:3], v[18:19], -v[20:21]
	ds_load_b128 v[2:5], v1 offset:1472
	scratch_load_b128 v[18:21], off, off offset:704
	v_add_f64_e32 v[177:178], v[177:178], v[171:172]
	v_add_f64_e32 v[173:174], v[169:170], v[173:174]
	ds_load_b128 v[169:172], v1 offset:1488
	s_wait_loadcnt_dscnt 0x801
	v_mul_f64_e32 v[183:184], v[2:3], v[28:29]
	v_mul_f64_e32 v[28:29], v[4:5], v[28:29]
	v_fma_f64 v[167:168], v[167:168], v[22:23], v[179:180]
	v_fma_f64 v[165:166], v[165:166], v[22:23], -v[24:25]
	scratch_load_b128 v[22:25], off, off offset:720
	v_add_f64_e32 v[177:178], v[177:178], v[181:182]
	v_add_f64_e32 v[173:174], v[173:174], v[175:176]
	s_wait_loadcnt_dscnt 0x800
	v_mul_f64_e32 v[175:176], v[169:170], v[32:33]
	v_mul_f64_e32 v[32:33], v[171:172], v[32:33]
	v_fma_f64 v[179:180], v[4:5], v[26:27], v[183:184]
	v_fma_f64 v[181:182], v[2:3], v[26:27], -v[28:29]
	ds_load_b128 v[2:5], v1 offset:1504
	scratch_load_b128 v[26:29], off, off offset:736
	v_add_f64_e32 v[177:178], v[177:178], v[165:166]
	v_add_f64_e32 v[173:174], v[173:174], v[167:168]
	ds_load_b128 v[165:168], v1 offset:1520
	s_wait_loadcnt_dscnt 0x801
	v_mul_f64_e32 v[183:184], v[2:3], v[36:37]
	v_mul_f64_e32 v[36:37], v[4:5], v[36:37]
	v_fma_f64 v[171:172], v[171:172], v[30:31], v[175:176]
	v_fma_f64 v[169:170], v[169:170], v[30:31], -v[32:33]
	scratch_load_b128 v[30:33], off, off offset:752
	v_add_f64_e32 v[175:176], v[177:178], v[181:182]
	v_add_f64_e32 v[173:174], v[173:174], v[179:180]
	s_wait_loadcnt_dscnt 0x800
	v_mul_f64_e32 v[177:178], v[165:166], v[40:41]
	v_mul_f64_e32 v[40:41], v[167:168], v[40:41]
	v_fma_f64 v[179:180], v[4:5], v[34:35], v[183:184]
	v_fma_f64 v[181:182], v[2:3], v[34:35], -v[36:37]
	ds_load_b128 v[2:5], v1 offset:1536
	scratch_load_b128 v[34:37], off, off offset:768
	v_add_f64_e32 v[175:176], v[175:176], v[169:170]
	v_add_f64_e32 v[173:174], v[173:174], v[171:172]
	ds_load_b128 v[169:172], v1 offset:1552
	s_wait_loadcnt_dscnt 0x801
	v_mul_f64_e32 v[183:184], v[2:3], v[44:45]
	v_mul_f64_e32 v[44:45], v[4:5], v[44:45]
	v_fma_f64 v[167:168], v[167:168], v[38:39], v[177:178]
	v_fma_f64 v[165:166], v[165:166], v[38:39], -v[40:41]
	scratch_load_b128 v[38:41], off, off offset:784
	s_wait_loadcnt_dscnt 0x800
	v_mul_f64_e32 v[177:178], v[169:170], v[8:9]
	v_mul_f64_e32 v[8:9], v[171:172], v[8:9]
	v_add_f64_e32 v[175:176], v[175:176], v[181:182]
	v_add_f64_e32 v[173:174], v[173:174], v[179:180]
	v_fma_f64 v[179:180], v[4:5], v[42:43], v[183:184]
	v_fma_f64 v[181:182], v[2:3], v[42:43], -v[44:45]
	ds_load_b128 v[2:5], v1 offset:1568
	scratch_load_b128 v[42:45], off, off offset:800
	v_fma_f64 v[171:172], v[171:172], v[6:7], v[177:178]
	v_fma_f64 v[169:170], v[169:170], v[6:7], -v[8:9]
	scratch_load_b128 v[6:9], off, off offset:816
	v_add_f64_e32 v[175:176], v[175:176], v[165:166]
	v_add_f64_e32 v[173:174], v[173:174], v[167:168]
	ds_load_b128 v[165:168], v1 offset:1584
	s_wait_loadcnt_dscnt 0x901
	v_mul_f64_e32 v[183:184], v[2:3], v[12:13]
	v_mul_f64_e32 v[12:13], v[4:5], v[12:13]
	s_wait_loadcnt_dscnt 0x800
	v_mul_f64_e32 v[177:178], v[165:166], v[16:17]
	v_mul_f64_e32 v[16:17], v[167:168], v[16:17]
	v_add_f64_e32 v[175:176], v[175:176], v[181:182]
	v_add_f64_e32 v[173:174], v[173:174], v[179:180]
	v_fma_f64 v[179:180], v[4:5], v[10:11], v[183:184]
	v_fma_f64 v[181:182], v[2:3], v[10:11], -v[12:13]
	ds_load_b128 v[2:5], v1 offset:1600
	scratch_load_b128 v[10:13], off, off offset:832
	v_fma_f64 v[167:168], v[167:168], v[14:15], v[177:178]
	v_fma_f64 v[165:166], v[165:166], v[14:15], -v[16:17]
	scratch_load_b128 v[14:17], off, off offset:848
	v_add_f64_e32 v[175:176], v[175:176], v[169:170]
	v_add_f64_e32 v[173:174], v[173:174], v[171:172]
	ds_load_b128 v[169:172], v1 offset:1616
	s_wait_loadcnt_dscnt 0x901
	v_mul_f64_e32 v[183:184], v[2:3], v[20:21]
	v_mul_f64_e32 v[20:21], v[4:5], v[20:21]
	;; [unrolled: 18-line block ×4, first 2 shown]
	s_wait_loadcnt_dscnt 0x800
	v_mul_f64_e32 v[177:178], v[169:170], v[40:41]
	v_mul_f64_e32 v[40:41], v[171:172], v[40:41]
	v_add_f64_e32 v[175:176], v[175:176], v[181:182]
	v_add_f64_e32 v[173:174], v[173:174], v[179:180]
	v_fma_f64 v[179:180], v[4:5], v[34:35], v[183:184]
	v_fma_f64 v[181:182], v[2:3], v[34:35], -v[36:37]
	ds_load_b128 v[2:5], v1 offset:1696
	ds_load_b128 v[34:37], v1 offset:1712
	v_fma_f64 v[171:172], v[171:172], v[38:39], v[177:178]
	v_fma_f64 v[38:39], v[169:170], v[38:39], -v[40:41]
	v_add_f64_e32 v[165:166], v[175:176], v[165:166]
	v_add_f64_e32 v[167:168], v[173:174], v[167:168]
	s_wait_loadcnt_dscnt 0x701
	v_mul_f64_e32 v[173:174], v[2:3], v[44:45]
	v_mul_f64_e32 v[44:45], v[4:5], v[44:45]
	s_delay_alu instid0(VALU_DEP_4) | instskip(NEXT) | instid1(VALU_DEP_4)
	v_add_f64_e32 v[40:41], v[165:166], v[181:182]
	v_add_f64_e32 v[165:166], v[167:168], v[179:180]
	s_wait_loadcnt_dscnt 0x600
	v_mul_f64_e32 v[167:168], v[34:35], v[8:9]
	v_mul_f64_e32 v[8:9], v[36:37], v[8:9]
	v_fma_f64 v[169:170], v[4:5], v[42:43], v[173:174]
	v_fma_f64 v[42:43], v[2:3], v[42:43], -v[44:45]
	v_add_f64_e32 v[44:45], v[40:41], v[38:39]
	v_add_f64_e32 v[165:166], v[165:166], v[171:172]
	ds_load_b128 v[2:5], v1 offset:1728
	ds_load_b128 v[38:41], v1 offset:1744
	v_fma_f64 v[36:37], v[36:37], v[6:7], v[167:168]
	v_fma_f64 v[6:7], v[34:35], v[6:7], -v[8:9]
	s_wait_loadcnt_dscnt 0x501
	v_mul_f64_e32 v[171:172], v[2:3], v[12:13]
	v_mul_f64_e32 v[12:13], v[4:5], v[12:13]
	v_add_f64_e32 v[8:9], v[44:45], v[42:43]
	v_add_f64_e32 v[34:35], v[165:166], v[169:170]
	s_wait_loadcnt_dscnt 0x400
	v_mul_f64_e32 v[42:43], v[38:39], v[16:17]
	v_mul_f64_e32 v[16:17], v[40:41], v[16:17]
	v_fma_f64 v[44:45], v[4:5], v[10:11], v[171:172]
	v_fma_f64 v[10:11], v[2:3], v[10:11], -v[12:13]
	v_add_f64_e32 v[12:13], v[8:9], v[6:7]
	v_add_f64_e32 v[34:35], v[34:35], v[36:37]
	ds_load_b128 v[2:5], v1 offset:1760
	ds_load_b128 v[6:9], v1 offset:1776
	v_fma_f64 v[40:41], v[40:41], v[14:15], v[42:43]
	v_fma_f64 v[14:15], v[38:39], v[14:15], -v[16:17]
	s_wait_loadcnt_dscnt 0x301
	v_mul_f64_e32 v[36:37], v[2:3], v[20:21]
	v_mul_f64_e32 v[20:21], v[4:5], v[20:21]
	s_wait_loadcnt_dscnt 0x200
	v_mul_f64_e32 v[16:17], v[6:7], v[24:25]
	v_mul_f64_e32 v[24:25], v[8:9], v[24:25]
	v_add_f64_e32 v[10:11], v[12:13], v[10:11]
	v_add_f64_e32 v[12:13], v[34:35], v[44:45]
	v_fma_f64 v[34:35], v[4:5], v[18:19], v[36:37]
	v_fma_f64 v[18:19], v[2:3], v[18:19], -v[20:21]
	v_fma_f64 v[8:9], v[8:9], v[22:23], v[16:17]
	v_fma_f64 v[6:7], v[6:7], v[22:23], -v[24:25]
	v_add_f64_e32 v[14:15], v[10:11], v[14:15]
	v_add_f64_e32 v[20:21], v[12:13], v[40:41]
	ds_load_b128 v[2:5], v1 offset:1792
	ds_load_b128 v[10:13], v1 offset:1808
	s_wait_loadcnt_dscnt 0x101
	v_mul_f64_e32 v[36:37], v[2:3], v[28:29]
	v_mul_f64_e32 v[28:29], v[4:5], v[28:29]
	v_add_f64_e32 v[14:15], v[14:15], v[18:19]
	v_add_f64_e32 v[16:17], v[20:21], v[34:35]
	s_wait_loadcnt_dscnt 0x0
	v_mul_f64_e32 v[18:19], v[10:11], v[32:33]
	v_mul_f64_e32 v[20:21], v[12:13], v[32:33]
	v_fma_f64 v[4:5], v[4:5], v[26:27], v[36:37]
	v_fma_f64 v[1:2], v[2:3], v[26:27], -v[28:29]
	v_add_f64_e32 v[6:7], v[14:15], v[6:7]
	v_add_f64_e32 v[8:9], v[16:17], v[8:9]
	v_fma_f64 v[12:13], v[12:13], v[30:31], v[18:19]
	v_fma_f64 v[10:11], v[10:11], v[30:31], -v[20:21]
	s_delay_alu instid0(VALU_DEP_4) | instskip(NEXT) | instid1(VALU_DEP_4)
	v_add_f64_e32 v[1:2], v[6:7], v[1:2]
	v_add_f64_e32 v[3:4], v[8:9], v[4:5]
	s_delay_alu instid0(VALU_DEP_2) | instskip(NEXT) | instid1(VALU_DEP_2)
	v_add_f64_e32 v[1:2], v[1:2], v[10:11]
	v_add_f64_e32 v[3:4], v[3:4], v[12:13]
	s_delay_alu instid0(VALU_DEP_2) | instskip(NEXT) | instid1(VALU_DEP_2)
	v_add_f64_e64 v[1:2], v[161:162], -v[1:2]
	v_add_f64_e64 v[3:4], v[163:164], -v[3:4]
	scratch_store_b128 off, v[1:4], off offset:304
	v_cmpx_lt_u32_e32 17, v0
	s_cbranch_execz .LBB56_321
; %bb.320:
	scratch_load_b128 v[1:4], off, s53
	v_mov_b32_e32 v5, 0
	s_delay_alu instid0(VALU_DEP_1)
	v_dual_mov_b32 v6, v5 :: v_dual_mov_b32 v7, v5
	v_mov_b32_e32 v8, v5
	scratch_store_b128 off, v[5:8], off offset:288
	s_wait_loadcnt 0x0
	ds_store_b128 v160, v[1:4]
.LBB56_321:
	s_wait_alu 0xfffe
	s_or_b32 exec_lo, exec_lo, s0
	s_wait_storecnt_dscnt 0x0
	s_barrier_signal -1
	s_barrier_wait -1
	global_inv scope:SCOPE_SE
	s_clause 0x7
	scratch_load_b128 v[2:5], off, off offset:304
	scratch_load_b128 v[6:9], off, off offset:320
	;; [unrolled: 1-line block ×8, first 2 shown]
	v_mov_b32_e32 v1, 0
	s_mov_b32 s0, exec_lo
	ds_load_b128 v[38:41], v1 offset:1200
	s_clause 0x1
	scratch_load_b128 v[34:37], off, off offset:432
	scratch_load_b128 v[42:45], off, off offset:288
	ds_load_b128 v[161:164], v1 offset:1216
	scratch_load_b128 v[165:168], off, off offset:448
	s_wait_loadcnt_dscnt 0xa01
	v_mul_f64_e32 v[169:170], v[40:41], v[4:5]
	v_mul_f64_e32 v[4:5], v[38:39], v[4:5]
	s_delay_alu instid0(VALU_DEP_2) | instskip(NEXT) | instid1(VALU_DEP_2)
	v_fma_f64 v[175:176], v[38:39], v[2:3], -v[169:170]
	v_fma_f64 v[177:178], v[40:41], v[2:3], v[4:5]
	ds_load_b128 v[2:5], v1 offset:1232
	s_wait_loadcnt_dscnt 0x901
	v_mul_f64_e32 v[173:174], v[161:162], v[8:9]
	v_mul_f64_e32 v[8:9], v[163:164], v[8:9]
	scratch_load_b128 v[38:41], off, off offset:464
	ds_load_b128 v[169:172], v1 offset:1248
	s_wait_loadcnt_dscnt 0x901
	v_mul_f64_e32 v[179:180], v[2:3], v[12:13]
	v_mul_f64_e32 v[12:13], v[4:5], v[12:13]
	v_fma_f64 v[163:164], v[163:164], v[6:7], v[173:174]
	v_fma_f64 v[161:162], v[161:162], v[6:7], -v[8:9]
	v_add_f64_e32 v[173:174], 0, v[175:176]
	v_add_f64_e32 v[175:176], 0, v[177:178]
	scratch_load_b128 v[6:9], off, off offset:480
	v_fma_f64 v[179:180], v[4:5], v[10:11], v[179:180]
	v_fma_f64 v[181:182], v[2:3], v[10:11], -v[12:13]
	ds_load_b128 v[2:5], v1 offset:1264
	s_wait_loadcnt_dscnt 0x901
	v_mul_f64_e32 v[177:178], v[169:170], v[16:17]
	v_mul_f64_e32 v[16:17], v[171:172], v[16:17]
	scratch_load_b128 v[10:13], off, off offset:496
	v_add_f64_e32 v[173:174], v[173:174], v[161:162]
	v_add_f64_e32 v[175:176], v[175:176], v[163:164]
	s_wait_loadcnt_dscnt 0x900
	v_mul_f64_e32 v[183:184], v[2:3], v[20:21]
	v_mul_f64_e32 v[20:21], v[4:5], v[20:21]
	ds_load_b128 v[161:164], v1 offset:1280
	v_fma_f64 v[171:172], v[171:172], v[14:15], v[177:178]
	v_fma_f64 v[169:170], v[169:170], v[14:15], -v[16:17]
	scratch_load_b128 v[14:17], off, off offset:512
	v_add_f64_e32 v[173:174], v[173:174], v[181:182]
	v_add_f64_e32 v[175:176], v[175:176], v[179:180]
	v_fma_f64 v[179:180], v[4:5], v[18:19], v[183:184]
	v_fma_f64 v[181:182], v[2:3], v[18:19], -v[20:21]
	ds_load_b128 v[2:5], v1 offset:1296
	s_wait_loadcnt_dscnt 0x901
	v_mul_f64_e32 v[177:178], v[161:162], v[24:25]
	v_mul_f64_e32 v[24:25], v[163:164], v[24:25]
	scratch_load_b128 v[18:21], off, off offset:528
	s_wait_loadcnt_dscnt 0x900
	v_mul_f64_e32 v[183:184], v[2:3], v[28:29]
	v_mul_f64_e32 v[28:29], v[4:5], v[28:29]
	v_add_f64_e32 v[173:174], v[173:174], v[169:170]
	v_add_f64_e32 v[175:176], v[175:176], v[171:172]
	ds_load_b128 v[169:172], v1 offset:1312
	v_fma_f64 v[163:164], v[163:164], v[22:23], v[177:178]
	v_fma_f64 v[161:162], v[161:162], v[22:23], -v[24:25]
	scratch_load_b128 v[22:25], off, off offset:544
	v_add_f64_e32 v[173:174], v[173:174], v[181:182]
	v_add_f64_e32 v[175:176], v[175:176], v[179:180]
	v_fma_f64 v[179:180], v[4:5], v[26:27], v[183:184]
	v_fma_f64 v[181:182], v[2:3], v[26:27], -v[28:29]
	ds_load_b128 v[2:5], v1 offset:1328
	s_wait_loadcnt_dscnt 0x901
	v_mul_f64_e32 v[177:178], v[169:170], v[32:33]
	v_mul_f64_e32 v[32:33], v[171:172], v[32:33]
	scratch_load_b128 v[26:29], off, off offset:560
	s_wait_loadcnt_dscnt 0x900
	v_mul_f64_e32 v[183:184], v[2:3], v[36:37]
	v_mul_f64_e32 v[36:37], v[4:5], v[36:37]
	v_add_f64_e32 v[173:174], v[173:174], v[161:162]
	v_add_f64_e32 v[175:176], v[175:176], v[163:164]
	ds_load_b128 v[161:164], v1 offset:1344
	v_fma_f64 v[171:172], v[171:172], v[30:31], v[177:178]
	v_fma_f64 v[169:170], v[169:170], v[30:31], -v[32:33]
	scratch_load_b128 v[30:33], off, off offset:576
	v_add_f64_e32 v[173:174], v[173:174], v[181:182]
	v_add_f64_e32 v[175:176], v[175:176], v[179:180]
	v_fma_f64 v[181:182], v[4:5], v[34:35], v[183:184]
	v_fma_f64 v[183:184], v[2:3], v[34:35], -v[36:37]
	ds_load_b128 v[2:5], v1 offset:1360
	s_wait_loadcnt_dscnt 0x801
	v_mul_f64_e32 v[177:178], v[161:162], v[167:168]
	v_mul_f64_e32 v[179:180], v[163:164], v[167:168]
	scratch_load_b128 v[34:37], off, off offset:592
	v_add_f64_e32 v[173:174], v[173:174], v[169:170]
	v_add_f64_e32 v[171:172], v[175:176], v[171:172]
	ds_load_b128 v[167:170], v1 offset:1376
	v_fma_f64 v[177:178], v[163:164], v[165:166], v[177:178]
	v_fma_f64 v[165:166], v[161:162], v[165:166], -v[179:180]
	scratch_load_b128 v[161:164], off, off offset:608
	s_wait_loadcnt_dscnt 0x901
	v_mul_f64_e32 v[175:176], v[2:3], v[40:41]
	v_mul_f64_e32 v[40:41], v[4:5], v[40:41]
	v_add_f64_e32 v[173:174], v[173:174], v[183:184]
	v_add_f64_e32 v[171:172], v[171:172], v[181:182]
	s_delay_alu instid0(VALU_DEP_4) | instskip(NEXT) | instid1(VALU_DEP_4)
	v_fma_f64 v[175:176], v[4:5], v[38:39], v[175:176]
	v_fma_f64 v[181:182], v[2:3], v[38:39], -v[40:41]
	ds_load_b128 v[2:5], v1 offset:1392
	s_wait_loadcnt_dscnt 0x801
	v_mul_f64_e32 v[179:180], v[167:168], v[8:9]
	v_mul_f64_e32 v[8:9], v[169:170], v[8:9]
	scratch_load_b128 v[38:41], off, off offset:624
	s_wait_loadcnt_dscnt 0x800
	v_mul_f64_e32 v[183:184], v[2:3], v[12:13]
	v_add_f64_e32 v[165:166], v[173:174], v[165:166]
	v_add_f64_e32 v[177:178], v[171:172], v[177:178]
	v_mul_f64_e32 v[12:13], v[4:5], v[12:13]
	ds_load_b128 v[171:174], v1 offset:1408
	v_fma_f64 v[169:170], v[169:170], v[6:7], v[179:180]
	v_fma_f64 v[167:168], v[167:168], v[6:7], -v[8:9]
	scratch_load_b128 v[6:9], off, off offset:640
	v_fma_f64 v[179:180], v[4:5], v[10:11], v[183:184]
	v_add_f64_e32 v[165:166], v[165:166], v[181:182]
	v_add_f64_e32 v[175:176], v[177:178], v[175:176]
	v_fma_f64 v[181:182], v[2:3], v[10:11], -v[12:13]
	ds_load_b128 v[2:5], v1 offset:1424
	s_wait_loadcnt_dscnt 0x801
	v_mul_f64_e32 v[177:178], v[171:172], v[16:17]
	v_mul_f64_e32 v[16:17], v[173:174], v[16:17]
	scratch_load_b128 v[10:13], off, off offset:656
	v_add_f64_e32 v[183:184], v[165:166], v[167:168]
	v_add_f64_e32 v[169:170], v[175:176], v[169:170]
	s_wait_loadcnt_dscnt 0x800
	v_mul_f64_e32 v[175:176], v[2:3], v[20:21]
	v_mul_f64_e32 v[20:21], v[4:5], v[20:21]
	v_fma_f64 v[173:174], v[173:174], v[14:15], v[177:178]
	v_fma_f64 v[171:172], v[171:172], v[14:15], -v[16:17]
	ds_load_b128 v[165:168], v1 offset:1440
	scratch_load_b128 v[14:17], off, off offset:672
	v_add_f64_e32 v[177:178], v[183:184], v[181:182]
	v_add_f64_e32 v[169:170], v[169:170], v[179:180]
	v_fma_f64 v[175:176], v[4:5], v[18:19], v[175:176]
	v_fma_f64 v[181:182], v[2:3], v[18:19], -v[20:21]
	ds_load_b128 v[2:5], v1 offset:1456
	s_wait_loadcnt_dscnt 0x801
	v_mul_f64_e32 v[179:180], v[165:166], v[24:25]
	v_mul_f64_e32 v[24:25], v[167:168], v[24:25]
	scratch_load_b128 v[18:21], off, off offset:688
	s_wait_loadcnt_dscnt 0x800
	v_mul_f64_e32 v[183:184], v[2:3], v[28:29]
	v_mul_f64_e32 v[28:29], v[4:5], v[28:29]
	v_add_f64_e32 v[177:178], v[177:178], v[171:172]
	v_add_f64_e32 v[173:174], v[169:170], v[173:174]
	ds_load_b128 v[169:172], v1 offset:1472
	v_fma_f64 v[167:168], v[167:168], v[22:23], v[179:180]
	v_fma_f64 v[165:166], v[165:166], v[22:23], -v[24:25]
	scratch_load_b128 v[22:25], off, off offset:704
	v_fma_f64 v[179:180], v[4:5], v[26:27], v[183:184]
	v_add_f64_e32 v[177:178], v[177:178], v[181:182]
	v_add_f64_e32 v[173:174], v[173:174], v[175:176]
	v_fma_f64 v[181:182], v[2:3], v[26:27], -v[28:29]
	ds_load_b128 v[2:5], v1 offset:1488
	s_wait_loadcnt_dscnt 0x801
	v_mul_f64_e32 v[175:176], v[169:170], v[32:33]
	v_mul_f64_e32 v[32:33], v[171:172], v[32:33]
	scratch_load_b128 v[26:29], off, off offset:720
	s_wait_loadcnt_dscnt 0x800
	v_mul_f64_e32 v[183:184], v[2:3], v[36:37]
	v_mul_f64_e32 v[36:37], v[4:5], v[36:37]
	v_add_f64_e32 v[177:178], v[177:178], v[165:166]
	v_add_f64_e32 v[173:174], v[173:174], v[167:168]
	ds_load_b128 v[165:168], v1 offset:1504
	v_fma_f64 v[171:172], v[171:172], v[30:31], v[175:176]
	v_fma_f64 v[169:170], v[169:170], v[30:31], -v[32:33]
	scratch_load_b128 v[30:33], off, off offset:736
	v_add_f64_e32 v[175:176], v[177:178], v[181:182]
	v_add_f64_e32 v[173:174], v[173:174], v[179:180]
	v_fma_f64 v[179:180], v[4:5], v[34:35], v[183:184]
	v_fma_f64 v[181:182], v[2:3], v[34:35], -v[36:37]
	ds_load_b128 v[2:5], v1 offset:1520
	s_wait_loadcnt_dscnt 0x801
	v_mul_f64_e32 v[177:178], v[165:166], v[163:164]
	v_mul_f64_e32 v[163:164], v[167:168], v[163:164]
	scratch_load_b128 v[34:37], off, off offset:752
	s_wait_loadcnt_dscnt 0x800
	v_mul_f64_e32 v[183:184], v[2:3], v[40:41]
	v_mul_f64_e32 v[40:41], v[4:5], v[40:41]
	v_add_f64_e32 v[175:176], v[175:176], v[169:170]
	v_add_f64_e32 v[173:174], v[173:174], v[171:172]
	ds_load_b128 v[169:172], v1 offset:1536
	v_fma_f64 v[167:168], v[167:168], v[161:162], v[177:178]
	v_fma_f64 v[165:166], v[165:166], v[161:162], -v[163:164]
	scratch_load_b128 v[161:164], off, off offset:768
	v_add_f64_e32 v[175:176], v[175:176], v[181:182]
	v_add_f64_e32 v[173:174], v[173:174], v[179:180]
	v_fma_f64 v[179:180], v[4:5], v[38:39], v[183:184]
	;; [unrolled: 18-line block ×6, first 2 shown]
	v_fma_f64 v[183:184], v[2:3], v[34:35], -v[36:37]
	ds_load_b128 v[2:5], v1 offset:1680
	s_wait_loadcnt_dscnt 0x801
	v_mul_f64_e32 v[177:178], v[169:170], v[163:164]
	v_mul_f64_e32 v[179:180], v[171:172], v[163:164]
	scratch_load_b128 v[34:37], off, off offset:912
	v_add_f64_e32 v[175:176], v[175:176], v[165:166]
	v_add_f64_e32 v[167:168], v[173:174], v[167:168]
	s_wait_loadcnt_dscnt 0x800
	v_mul_f64_e32 v[173:174], v[2:3], v[40:41]
	v_mul_f64_e32 v[40:41], v[4:5], v[40:41]
	ds_load_b128 v[163:166], v1 offset:1696
	v_fma_f64 v[171:172], v[171:172], v[161:162], v[177:178]
	v_fma_f64 v[161:162], v[169:170], v[161:162], -v[179:180]
	v_add_f64_e32 v[169:170], v[175:176], v[183:184]
	v_add_f64_e32 v[167:168], v[167:168], v[181:182]
	s_wait_loadcnt_dscnt 0x700
	v_mul_f64_e32 v[175:176], v[163:164], v[8:9]
	v_mul_f64_e32 v[8:9], v[165:166], v[8:9]
	v_fma_f64 v[173:174], v[4:5], v[38:39], v[173:174]
	v_fma_f64 v[177:178], v[2:3], v[38:39], -v[40:41]
	ds_load_b128 v[2:5], v1 offset:1712
	ds_load_b128 v[38:41], v1 offset:1728
	v_add_f64_e32 v[161:162], v[169:170], v[161:162]
	v_add_f64_e32 v[167:168], v[167:168], v[171:172]
	s_wait_loadcnt_dscnt 0x601
	v_mul_f64_e32 v[169:170], v[2:3], v[12:13]
	v_mul_f64_e32 v[12:13], v[4:5], v[12:13]
	v_fma_f64 v[165:166], v[165:166], v[6:7], v[175:176]
	v_fma_f64 v[6:7], v[163:164], v[6:7], -v[8:9]
	s_wait_loadcnt_dscnt 0x500
	v_mul_f64_e32 v[163:164], v[38:39], v[16:17]
	v_mul_f64_e32 v[16:17], v[40:41], v[16:17]
	v_add_f64_e32 v[8:9], v[161:162], v[177:178]
	v_add_f64_e32 v[161:162], v[167:168], v[173:174]
	v_fma_f64 v[167:168], v[4:5], v[10:11], v[169:170]
	v_fma_f64 v[10:11], v[2:3], v[10:11], -v[12:13]
	v_fma_f64 v[40:41], v[40:41], v[14:15], v[163:164]
	v_fma_f64 v[14:15], v[38:39], v[14:15], -v[16:17]
	v_add_f64_e32 v[12:13], v[8:9], v[6:7]
	v_add_f64_e32 v[161:162], v[161:162], v[165:166]
	ds_load_b128 v[2:5], v1 offset:1744
	ds_load_b128 v[6:9], v1 offset:1760
	s_wait_loadcnt_dscnt 0x401
	v_mul_f64_e32 v[165:166], v[2:3], v[20:21]
	v_mul_f64_e32 v[20:21], v[4:5], v[20:21]
	s_wait_loadcnt_dscnt 0x300
	v_mul_f64_e32 v[16:17], v[6:7], v[24:25]
	v_mul_f64_e32 v[24:25], v[8:9], v[24:25]
	v_add_f64_e32 v[10:11], v[12:13], v[10:11]
	v_add_f64_e32 v[12:13], v[161:162], v[167:168]
	v_fma_f64 v[38:39], v[4:5], v[18:19], v[165:166]
	v_fma_f64 v[18:19], v[2:3], v[18:19], -v[20:21]
	v_fma_f64 v[8:9], v[8:9], v[22:23], v[16:17]
	v_fma_f64 v[6:7], v[6:7], v[22:23], -v[24:25]
	v_add_f64_e32 v[14:15], v[10:11], v[14:15]
	v_add_f64_e32 v[20:21], v[12:13], v[40:41]
	ds_load_b128 v[2:5], v1 offset:1776
	ds_load_b128 v[10:13], v1 offset:1792
	s_wait_loadcnt_dscnt 0x201
	v_mul_f64_e32 v[40:41], v[2:3], v[28:29]
	v_mul_f64_e32 v[28:29], v[4:5], v[28:29]
	v_add_f64_e32 v[14:15], v[14:15], v[18:19]
	v_add_f64_e32 v[16:17], v[20:21], v[38:39]
	s_wait_loadcnt_dscnt 0x100
	v_mul_f64_e32 v[18:19], v[10:11], v[32:33]
	v_mul_f64_e32 v[20:21], v[12:13], v[32:33]
	v_fma_f64 v[22:23], v[4:5], v[26:27], v[40:41]
	v_fma_f64 v[24:25], v[2:3], v[26:27], -v[28:29]
	ds_load_b128 v[2:5], v1 offset:1808
	v_add_f64_e32 v[6:7], v[14:15], v[6:7]
	v_add_f64_e32 v[8:9], v[16:17], v[8:9]
	v_fma_f64 v[12:13], v[12:13], v[30:31], v[18:19]
	v_fma_f64 v[10:11], v[10:11], v[30:31], -v[20:21]
	s_wait_loadcnt_dscnt 0x0
	v_mul_f64_e32 v[14:15], v[2:3], v[36:37]
	v_mul_f64_e32 v[16:17], v[4:5], v[36:37]
	v_add_f64_e32 v[6:7], v[6:7], v[24:25]
	v_add_f64_e32 v[8:9], v[8:9], v[22:23]
	s_delay_alu instid0(VALU_DEP_4) | instskip(NEXT) | instid1(VALU_DEP_4)
	v_fma_f64 v[4:5], v[4:5], v[34:35], v[14:15]
	v_fma_f64 v[2:3], v[2:3], v[34:35], -v[16:17]
	s_delay_alu instid0(VALU_DEP_4) | instskip(NEXT) | instid1(VALU_DEP_4)
	v_add_f64_e32 v[6:7], v[6:7], v[10:11]
	v_add_f64_e32 v[8:9], v[8:9], v[12:13]
	s_delay_alu instid0(VALU_DEP_2) | instskip(NEXT) | instid1(VALU_DEP_2)
	v_add_f64_e32 v[2:3], v[6:7], v[2:3]
	v_add_f64_e32 v[4:5], v[8:9], v[4:5]
	s_delay_alu instid0(VALU_DEP_2) | instskip(NEXT) | instid1(VALU_DEP_2)
	v_add_f64_e64 v[2:3], v[42:43], -v[2:3]
	v_add_f64_e64 v[4:5], v[44:45], -v[4:5]
	scratch_store_b128 off, v[2:5], off offset:288
	v_cmpx_lt_u32_e32 16, v0
	s_cbranch_execz .LBB56_323
; %bb.322:
	scratch_load_b128 v[5:8], off, s54
	v_dual_mov_b32 v2, v1 :: v_dual_mov_b32 v3, v1
	v_mov_b32_e32 v4, v1
	scratch_store_b128 off, v[1:4], off offset:272
	s_wait_loadcnt 0x0
	ds_store_b128 v160, v[5:8]
.LBB56_323:
	s_wait_alu 0xfffe
	s_or_b32 exec_lo, exec_lo, s0
	s_wait_storecnt_dscnt 0x0
	s_barrier_signal -1
	s_barrier_wait -1
	global_inv scope:SCOPE_SE
	s_clause 0x8
	scratch_load_b128 v[2:5], off, off offset:288
	scratch_load_b128 v[6:9], off, off offset:304
	;; [unrolled: 1-line block ×9, first 2 shown]
	ds_load_b128 v[42:45], v1 offset:1184
	ds_load_b128 v[38:41], v1 offset:1200
	s_clause 0x1
	scratch_load_b128 v[161:164], off, off offset:272
	scratch_load_b128 v[165:168], off, off offset:432
	s_mov_b32 s0, exec_lo
	s_wait_loadcnt_dscnt 0xa01
	v_mul_f64_e32 v[169:170], v[44:45], v[4:5]
	v_mul_f64_e32 v[4:5], v[42:43], v[4:5]
	s_wait_loadcnt_dscnt 0x900
	v_mul_f64_e32 v[173:174], v[38:39], v[8:9]
	v_mul_f64_e32 v[8:9], v[40:41], v[8:9]
	s_delay_alu instid0(VALU_DEP_4) | instskip(NEXT) | instid1(VALU_DEP_4)
	v_fma_f64 v[175:176], v[42:43], v[2:3], -v[169:170]
	v_fma_f64 v[177:178], v[44:45], v[2:3], v[4:5]
	ds_load_b128 v[2:5], v1 offset:1216
	ds_load_b128 v[169:172], v1 offset:1232
	scratch_load_b128 v[42:45], off, off offset:448
	v_fma_f64 v[40:41], v[40:41], v[6:7], v[173:174]
	v_fma_f64 v[38:39], v[38:39], v[6:7], -v[8:9]
	scratch_load_b128 v[6:9], off, off offset:464
	s_wait_loadcnt_dscnt 0xa01
	v_mul_f64_e32 v[179:180], v[2:3], v[12:13]
	v_mul_f64_e32 v[12:13], v[4:5], v[12:13]
	v_add_f64_e32 v[173:174], 0, v[175:176]
	v_add_f64_e32 v[175:176], 0, v[177:178]
	s_wait_loadcnt_dscnt 0x900
	v_mul_f64_e32 v[177:178], v[169:170], v[16:17]
	v_mul_f64_e32 v[16:17], v[171:172], v[16:17]
	v_fma_f64 v[179:180], v[4:5], v[10:11], v[179:180]
	v_fma_f64 v[181:182], v[2:3], v[10:11], -v[12:13]
	ds_load_b128 v[2:5], v1 offset:1248
	scratch_load_b128 v[10:13], off, off offset:480
	v_add_f64_e32 v[173:174], v[173:174], v[38:39]
	v_add_f64_e32 v[175:176], v[175:176], v[40:41]
	ds_load_b128 v[38:41], v1 offset:1264
	v_fma_f64 v[171:172], v[171:172], v[14:15], v[177:178]
	v_fma_f64 v[169:170], v[169:170], v[14:15], -v[16:17]
	scratch_load_b128 v[14:17], off, off offset:496
	s_wait_loadcnt_dscnt 0xa01
	v_mul_f64_e32 v[183:184], v[2:3], v[20:21]
	v_mul_f64_e32 v[20:21], v[4:5], v[20:21]
	s_wait_loadcnt_dscnt 0x900
	v_mul_f64_e32 v[177:178], v[38:39], v[24:25]
	v_mul_f64_e32 v[24:25], v[40:41], v[24:25]
	v_add_f64_e32 v[173:174], v[173:174], v[181:182]
	v_add_f64_e32 v[175:176], v[175:176], v[179:180]
	v_fma_f64 v[179:180], v[4:5], v[18:19], v[183:184]
	v_fma_f64 v[181:182], v[2:3], v[18:19], -v[20:21]
	ds_load_b128 v[2:5], v1 offset:1280
	scratch_load_b128 v[18:21], off, off offset:512
	v_fma_f64 v[40:41], v[40:41], v[22:23], v[177:178]
	v_fma_f64 v[38:39], v[38:39], v[22:23], -v[24:25]
	scratch_load_b128 v[22:25], off, off offset:528
	v_add_f64_e32 v[173:174], v[173:174], v[169:170]
	v_add_f64_e32 v[175:176], v[175:176], v[171:172]
	ds_load_b128 v[169:172], v1 offset:1296
	s_wait_loadcnt_dscnt 0xa01
	v_mul_f64_e32 v[183:184], v[2:3], v[28:29]
	v_mul_f64_e32 v[28:29], v[4:5], v[28:29]
	s_wait_loadcnt_dscnt 0x900
	v_mul_f64_e32 v[177:178], v[169:170], v[32:33]
	v_mul_f64_e32 v[32:33], v[171:172], v[32:33]
	v_add_f64_e32 v[173:174], v[173:174], v[181:182]
	v_add_f64_e32 v[175:176], v[175:176], v[179:180]
	v_fma_f64 v[179:180], v[4:5], v[26:27], v[183:184]
	v_fma_f64 v[181:182], v[2:3], v[26:27], -v[28:29]
	ds_load_b128 v[2:5], v1 offset:1312
	scratch_load_b128 v[26:29], off, off offset:544
	v_fma_f64 v[171:172], v[171:172], v[30:31], v[177:178]
	v_fma_f64 v[169:170], v[169:170], v[30:31], -v[32:33]
	scratch_load_b128 v[30:33], off, off offset:560
	v_add_f64_e32 v[173:174], v[173:174], v[38:39]
	v_add_f64_e32 v[175:176], v[175:176], v[40:41]
	ds_load_b128 v[38:41], v1 offset:1328
	s_wait_loadcnt_dscnt 0xa01
	v_mul_f64_e32 v[183:184], v[2:3], v[36:37]
	v_mul_f64_e32 v[36:37], v[4:5], v[36:37]
	s_wait_loadcnt_dscnt 0x800
	v_mul_f64_e32 v[177:178], v[38:39], v[167:168]
	v_add_f64_e32 v[173:174], v[173:174], v[181:182]
	v_add_f64_e32 v[175:176], v[175:176], v[179:180]
	v_mul_f64_e32 v[179:180], v[40:41], v[167:168]
	v_fma_f64 v[181:182], v[4:5], v[34:35], v[183:184]
	v_fma_f64 v[183:184], v[2:3], v[34:35], -v[36:37]
	ds_load_b128 v[2:5], v1 offset:1344
	scratch_load_b128 v[34:37], off, off offset:576
	v_fma_f64 v[177:178], v[40:41], v[165:166], v[177:178]
	v_add_f64_e32 v[173:174], v[173:174], v[169:170]
	v_add_f64_e32 v[171:172], v[175:176], v[171:172]
	ds_load_b128 v[167:170], v1 offset:1360
	v_fma_f64 v[165:166], v[38:39], v[165:166], -v[179:180]
	scratch_load_b128 v[38:41], off, off offset:592
	s_wait_loadcnt_dscnt 0x901
	v_mul_f64_e32 v[175:176], v[2:3], v[44:45]
	v_mul_f64_e32 v[44:45], v[4:5], v[44:45]
	s_wait_loadcnt_dscnt 0x800
	v_mul_f64_e32 v[179:180], v[167:168], v[8:9]
	v_mul_f64_e32 v[8:9], v[169:170], v[8:9]
	v_add_f64_e32 v[173:174], v[173:174], v[183:184]
	v_add_f64_e32 v[171:172], v[171:172], v[181:182]
	v_fma_f64 v[175:176], v[4:5], v[42:43], v[175:176]
	v_fma_f64 v[181:182], v[2:3], v[42:43], -v[44:45]
	ds_load_b128 v[2:5], v1 offset:1376
	scratch_load_b128 v[42:45], off, off offset:608
	v_fma_f64 v[169:170], v[169:170], v[6:7], v[179:180]
	v_fma_f64 v[167:168], v[167:168], v[6:7], -v[8:9]
	scratch_load_b128 v[6:9], off, off offset:624
	v_add_f64_e32 v[165:166], v[173:174], v[165:166]
	v_add_f64_e32 v[177:178], v[171:172], v[177:178]
	ds_load_b128 v[171:174], v1 offset:1392
	s_wait_loadcnt_dscnt 0x901
	v_mul_f64_e32 v[183:184], v[2:3], v[12:13]
	v_mul_f64_e32 v[12:13], v[4:5], v[12:13]
	v_add_f64_e32 v[165:166], v[165:166], v[181:182]
	v_add_f64_e32 v[175:176], v[177:178], v[175:176]
	s_wait_loadcnt_dscnt 0x800
	v_mul_f64_e32 v[177:178], v[171:172], v[16:17]
	v_mul_f64_e32 v[16:17], v[173:174], v[16:17]
	v_fma_f64 v[179:180], v[4:5], v[10:11], v[183:184]
	v_fma_f64 v[181:182], v[2:3], v[10:11], -v[12:13]
	ds_load_b128 v[2:5], v1 offset:1408
	scratch_load_b128 v[10:13], off, off offset:640
	v_add_f64_e32 v[183:184], v[165:166], v[167:168]
	v_add_f64_e32 v[169:170], v[175:176], v[169:170]
	ds_load_b128 v[165:168], v1 offset:1424
	s_wait_loadcnt_dscnt 0x801
	v_mul_f64_e32 v[175:176], v[2:3], v[20:21]
	v_mul_f64_e32 v[20:21], v[4:5], v[20:21]
	v_fma_f64 v[173:174], v[173:174], v[14:15], v[177:178]
	v_fma_f64 v[171:172], v[171:172], v[14:15], -v[16:17]
	scratch_load_b128 v[14:17], off, off offset:656
	v_add_f64_e32 v[177:178], v[183:184], v[181:182]
	v_add_f64_e32 v[169:170], v[169:170], v[179:180]
	s_wait_loadcnt_dscnt 0x800
	v_mul_f64_e32 v[179:180], v[165:166], v[24:25]
	v_mul_f64_e32 v[24:25], v[167:168], v[24:25]
	v_fma_f64 v[175:176], v[4:5], v[18:19], v[175:176]
	v_fma_f64 v[181:182], v[2:3], v[18:19], -v[20:21]
	ds_load_b128 v[2:5], v1 offset:1440
	scratch_load_b128 v[18:21], off, off offset:672
	v_add_f64_e32 v[177:178], v[177:178], v[171:172]
	v_add_f64_e32 v[173:174], v[169:170], v[173:174]
	ds_load_b128 v[169:172], v1 offset:1456
	s_wait_loadcnt_dscnt 0x801
	v_mul_f64_e32 v[183:184], v[2:3], v[28:29]
	v_mul_f64_e32 v[28:29], v[4:5], v[28:29]
	v_fma_f64 v[167:168], v[167:168], v[22:23], v[179:180]
	v_fma_f64 v[165:166], v[165:166], v[22:23], -v[24:25]
	scratch_load_b128 v[22:25], off, off offset:688
	;; [unrolled: 18-line block ×4, first 2 shown]
	s_wait_loadcnt_dscnt 0x800
	v_mul_f64_e32 v[177:178], v[169:170], v[8:9]
	v_mul_f64_e32 v[8:9], v[171:172], v[8:9]
	v_add_f64_e32 v[175:176], v[175:176], v[181:182]
	v_add_f64_e32 v[173:174], v[173:174], v[179:180]
	v_fma_f64 v[179:180], v[4:5], v[42:43], v[183:184]
	v_fma_f64 v[181:182], v[2:3], v[42:43], -v[44:45]
	ds_load_b128 v[2:5], v1 offset:1536
	scratch_load_b128 v[42:45], off, off offset:768
	v_fma_f64 v[171:172], v[171:172], v[6:7], v[177:178]
	v_fma_f64 v[169:170], v[169:170], v[6:7], -v[8:9]
	scratch_load_b128 v[6:9], off, off offset:784
	v_add_f64_e32 v[175:176], v[175:176], v[165:166]
	v_add_f64_e32 v[173:174], v[173:174], v[167:168]
	ds_load_b128 v[165:168], v1 offset:1552
	s_wait_loadcnt_dscnt 0x901
	v_mul_f64_e32 v[183:184], v[2:3], v[12:13]
	v_mul_f64_e32 v[12:13], v[4:5], v[12:13]
	s_wait_loadcnt_dscnt 0x800
	v_mul_f64_e32 v[177:178], v[165:166], v[16:17]
	v_mul_f64_e32 v[16:17], v[167:168], v[16:17]
	v_add_f64_e32 v[175:176], v[175:176], v[181:182]
	v_add_f64_e32 v[173:174], v[173:174], v[179:180]
	v_fma_f64 v[179:180], v[4:5], v[10:11], v[183:184]
	v_fma_f64 v[181:182], v[2:3], v[10:11], -v[12:13]
	ds_load_b128 v[2:5], v1 offset:1568
	scratch_load_b128 v[10:13], off, off offset:800
	v_fma_f64 v[167:168], v[167:168], v[14:15], v[177:178]
	v_fma_f64 v[165:166], v[165:166], v[14:15], -v[16:17]
	scratch_load_b128 v[14:17], off, off offset:816
	v_add_f64_e32 v[175:176], v[175:176], v[169:170]
	v_add_f64_e32 v[173:174], v[173:174], v[171:172]
	ds_load_b128 v[169:172], v1 offset:1584
	s_wait_loadcnt_dscnt 0x901
	v_mul_f64_e32 v[183:184], v[2:3], v[20:21]
	v_mul_f64_e32 v[20:21], v[4:5], v[20:21]
	;; [unrolled: 18-line block ×5, first 2 shown]
	s_wait_loadcnt_dscnt 0x800
	v_mul_f64_e32 v[177:178], v[165:166], v[8:9]
	v_mul_f64_e32 v[8:9], v[167:168], v[8:9]
	v_add_f64_e32 v[175:176], v[175:176], v[181:182]
	v_add_f64_e32 v[173:174], v[173:174], v[179:180]
	v_fma_f64 v[179:180], v[4:5], v[42:43], v[183:184]
	v_fma_f64 v[181:182], v[2:3], v[42:43], -v[44:45]
	ds_load_b128 v[2:5], v1 offset:1696
	ds_load_b128 v[42:45], v1 offset:1712
	v_fma_f64 v[167:168], v[167:168], v[6:7], v[177:178]
	v_fma_f64 v[6:7], v[165:166], v[6:7], -v[8:9]
	v_add_f64_e32 v[169:170], v[175:176], v[169:170]
	v_add_f64_e32 v[171:172], v[173:174], v[171:172]
	s_wait_loadcnt_dscnt 0x701
	v_mul_f64_e32 v[173:174], v[2:3], v[12:13]
	v_mul_f64_e32 v[12:13], v[4:5], v[12:13]
	s_delay_alu instid0(VALU_DEP_4) | instskip(NEXT) | instid1(VALU_DEP_4)
	v_add_f64_e32 v[8:9], v[169:170], v[181:182]
	v_add_f64_e32 v[165:166], v[171:172], v[179:180]
	s_wait_loadcnt_dscnt 0x600
	v_mul_f64_e32 v[169:170], v[42:43], v[16:17]
	v_mul_f64_e32 v[16:17], v[44:45], v[16:17]
	v_fma_f64 v[171:172], v[4:5], v[10:11], v[173:174]
	v_fma_f64 v[10:11], v[2:3], v[10:11], -v[12:13]
	v_add_f64_e32 v[12:13], v[8:9], v[6:7]
	v_add_f64_e32 v[165:166], v[165:166], v[167:168]
	ds_load_b128 v[2:5], v1 offset:1728
	ds_load_b128 v[6:9], v1 offset:1744
	v_fma_f64 v[44:45], v[44:45], v[14:15], v[169:170]
	v_fma_f64 v[14:15], v[42:43], v[14:15], -v[16:17]
	s_wait_loadcnt_dscnt 0x501
	v_mul_f64_e32 v[167:168], v[2:3], v[20:21]
	v_mul_f64_e32 v[20:21], v[4:5], v[20:21]
	s_wait_loadcnt_dscnt 0x400
	v_mul_f64_e32 v[16:17], v[6:7], v[24:25]
	v_mul_f64_e32 v[24:25], v[8:9], v[24:25]
	v_add_f64_e32 v[10:11], v[12:13], v[10:11]
	v_add_f64_e32 v[12:13], v[165:166], v[171:172]
	v_fma_f64 v[42:43], v[4:5], v[18:19], v[167:168]
	v_fma_f64 v[18:19], v[2:3], v[18:19], -v[20:21]
	v_fma_f64 v[8:9], v[8:9], v[22:23], v[16:17]
	v_fma_f64 v[6:7], v[6:7], v[22:23], -v[24:25]
	v_add_f64_e32 v[14:15], v[10:11], v[14:15]
	v_add_f64_e32 v[20:21], v[12:13], v[44:45]
	ds_load_b128 v[2:5], v1 offset:1760
	ds_load_b128 v[10:13], v1 offset:1776
	s_wait_loadcnt_dscnt 0x301
	v_mul_f64_e32 v[44:45], v[2:3], v[28:29]
	v_mul_f64_e32 v[28:29], v[4:5], v[28:29]
	v_add_f64_e32 v[14:15], v[14:15], v[18:19]
	v_add_f64_e32 v[16:17], v[20:21], v[42:43]
	s_wait_loadcnt_dscnt 0x200
	v_mul_f64_e32 v[18:19], v[10:11], v[32:33]
	v_mul_f64_e32 v[20:21], v[12:13], v[32:33]
	v_fma_f64 v[22:23], v[4:5], v[26:27], v[44:45]
	v_fma_f64 v[24:25], v[2:3], v[26:27], -v[28:29]
	v_add_f64_e32 v[14:15], v[14:15], v[6:7]
	v_add_f64_e32 v[16:17], v[16:17], v[8:9]
	ds_load_b128 v[2:5], v1 offset:1792
	ds_load_b128 v[6:9], v1 offset:1808
	v_fma_f64 v[12:13], v[12:13], v[30:31], v[18:19]
	v_fma_f64 v[10:11], v[10:11], v[30:31], -v[20:21]
	s_wait_loadcnt_dscnt 0x101
	v_mul_f64_e32 v[26:27], v[2:3], v[36:37]
	v_mul_f64_e32 v[28:29], v[4:5], v[36:37]
	s_wait_loadcnt_dscnt 0x0
	v_mul_f64_e32 v[18:19], v[6:7], v[40:41]
	v_mul_f64_e32 v[20:21], v[8:9], v[40:41]
	v_add_f64_e32 v[14:15], v[14:15], v[24:25]
	v_add_f64_e32 v[16:17], v[16:17], v[22:23]
	v_fma_f64 v[4:5], v[4:5], v[34:35], v[26:27]
	v_fma_f64 v[1:2], v[2:3], v[34:35], -v[28:29]
	v_fma_f64 v[8:9], v[8:9], v[38:39], v[18:19]
	v_fma_f64 v[6:7], v[6:7], v[38:39], -v[20:21]
	v_add_f64_e32 v[10:11], v[14:15], v[10:11]
	v_add_f64_e32 v[12:13], v[16:17], v[12:13]
	s_delay_alu instid0(VALU_DEP_2) | instskip(NEXT) | instid1(VALU_DEP_2)
	v_add_f64_e32 v[1:2], v[10:11], v[1:2]
	v_add_f64_e32 v[3:4], v[12:13], v[4:5]
	s_delay_alu instid0(VALU_DEP_2) | instskip(NEXT) | instid1(VALU_DEP_2)
	;; [unrolled: 3-line block ×3, first 2 shown]
	v_add_f64_e64 v[1:2], v[161:162], -v[1:2]
	v_add_f64_e64 v[3:4], v[163:164], -v[3:4]
	scratch_store_b128 off, v[1:4], off offset:272
	v_cmpx_lt_u32_e32 15, v0
	s_cbranch_execz .LBB56_325
; %bb.324:
	scratch_load_b128 v[1:4], off, s55
	v_mov_b32_e32 v5, 0
	s_delay_alu instid0(VALU_DEP_1)
	v_dual_mov_b32 v6, v5 :: v_dual_mov_b32 v7, v5
	v_mov_b32_e32 v8, v5
	scratch_store_b128 off, v[5:8], off offset:256
	s_wait_loadcnt 0x0
	ds_store_b128 v160, v[1:4]
.LBB56_325:
	s_wait_alu 0xfffe
	s_or_b32 exec_lo, exec_lo, s0
	s_wait_storecnt_dscnt 0x0
	s_barrier_signal -1
	s_barrier_wait -1
	global_inv scope:SCOPE_SE
	s_clause 0x7
	scratch_load_b128 v[2:5], off, off offset:272
	scratch_load_b128 v[6:9], off, off offset:288
	;; [unrolled: 1-line block ×8, first 2 shown]
	v_mov_b32_e32 v1, 0
	s_mov_b32 s0, exec_lo
	ds_load_b128 v[38:41], v1 offset:1168
	s_clause 0x1
	scratch_load_b128 v[34:37], off, off offset:400
	scratch_load_b128 v[42:45], off, off offset:256
	ds_load_b128 v[161:164], v1 offset:1184
	scratch_load_b128 v[165:168], off, off offset:416
	s_wait_loadcnt_dscnt 0xa01
	v_mul_f64_e32 v[169:170], v[40:41], v[4:5]
	v_mul_f64_e32 v[4:5], v[38:39], v[4:5]
	s_delay_alu instid0(VALU_DEP_2) | instskip(NEXT) | instid1(VALU_DEP_2)
	v_fma_f64 v[175:176], v[38:39], v[2:3], -v[169:170]
	v_fma_f64 v[177:178], v[40:41], v[2:3], v[4:5]
	ds_load_b128 v[2:5], v1 offset:1200
	s_wait_loadcnt_dscnt 0x901
	v_mul_f64_e32 v[173:174], v[161:162], v[8:9]
	v_mul_f64_e32 v[8:9], v[163:164], v[8:9]
	scratch_load_b128 v[38:41], off, off offset:432
	ds_load_b128 v[169:172], v1 offset:1216
	s_wait_loadcnt_dscnt 0x901
	v_mul_f64_e32 v[179:180], v[2:3], v[12:13]
	v_mul_f64_e32 v[12:13], v[4:5], v[12:13]
	v_fma_f64 v[163:164], v[163:164], v[6:7], v[173:174]
	v_fma_f64 v[161:162], v[161:162], v[6:7], -v[8:9]
	v_add_f64_e32 v[173:174], 0, v[175:176]
	v_add_f64_e32 v[175:176], 0, v[177:178]
	scratch_load_b128 v[6:9], off, off offset:448
	v_fma_f64 v[179:180], v[4:5], v[10:11], v[179:180]
	v_fma_f64 v[181:182], v[2:3], v[10:11], -v[12:13]
	ds_load_b128 v[2:5], v1 offset:1232
	s_wait_loadcnt_dscnt 0x901
	v_mul_f64_e32 v[177:178], v[169:170], v[16:17]
	v_mul_f64_e32 v[16:17], v[171:172], v[16:17]
	scratch_load_b128 v[10:13], off, off offset:464
	v_add_f64_e32 v[173:174], v[173:174], v[161:162]
	v_add_f64_e32 v[175:176], v[175:176], v[163:164]
	s_wait_loadcnt_dscnt 0x900
	v_mul_f64_e32 v[183:184], v[2:3], v[20:21]
	v_mul_f64_e32 v[20:21], v[4:5], v[20:21]
	ds_load_b128 v[161:164], v1 offset:1248
	v_fma_f64 v[171:172], v[171:172], v[14:15], v[177:178]
	v_fma_f64 v[169:170], v[169:170], v[14:15], -v[16:17]
	scratch_load_b128 v[14:17], off, off offset:480
	v_add_f64_e32 v[173:174], v[173:174], v[181:182]
	v_add_f64_e32 v[175:176], v[175:176], v[179:180]
	v_fma_f64 v[179:180], v[4:5], v[18:19], v[183:184]
	v_fma_f64 v[181:182], v[2:3], v[18:19], -v[20:21]
	ds_load_b128 v[2:5], v1 offset:1264
	s_wait_loadcnt_dscnt 0x901
	v_mul_f64_e32 v[177:178], v[161:162], v[24:25]
	v_mul_f64_e32 v[24:25], v[163:164], v[24:25]
	scratch_load_b128 v[18:21], off, off offset:496
	s_wait_loadcnt_dscnt 0x900
	v_mul_f64_e32 v[183:184], v[2:3], v[28:29]
	v_mul_f64_e32 v[28:29], v[4:5], v[28:29]
	v_add_f64_e32 v[173:174], v[173:174], v[169:170]
	v_add_f64_e32 v[175:176], v[175:176], v[171:172]
	ds_load_b128 v[169:172], v1 offset:1280
	v_fma_f64 v[163:164], v[163:164], v[22:23], v[177:178]
	v_fma_f64 v[161:162], v[161:162], v[22:23], -v[24:25]
	scratch_load_b128 v[22:25], off, off offset:512
	v_add_f64_e32 v[173:174], v[173:174], v[181:182]
	v_add_f64_e32 v[175:176], v[175:176], v[179:180]
	v_fma_f64 v[179:180], v[4:5], v[26:27], v[183:184]
	v_fma_f64 v[181:182], v[2:3], v[26:27], -v[28:29]
	ds_load_b128 v[2:5], v1 offset:1296
	s_wait_loadcnt_dscnt 0x901
	v_mul_f64_e32 v[177:178], v[169:170], v[32:33]
	v_mul_f64_e32 v[32:33], v[171:172], v[32:33]
	scratch_load_b128 v[26:29], off, off offset:528
	s_wait_loadcnt_dscnt 0x900
	v_mul_f64_e32 v[183:184], v[2:3], v[36:37]
	v_mul_f64_e32 v[36:37], v[4:5], v[36:37]
	v_add_f64_e32 v[173:174], v[173:174], v[161:162]
	v_add_f64_e32 v[175:176], v[175:176], v[163:164]
	ds_load_b128 v[161:164], v1 offset:1312
	v_fma_f64 v[171:172], v[171:172], v[30:31], v[177:178]
	v_fma_f64 v[169:170], v[169:170], v[30:31], -v[32:33]
	scratch_load_b128 v[30:33], off, off offset:544
	v_add_f64_e32 v[173:174], v[173:174], v[181:182]
	v_add_f64_e32 v[175:176], v[175:176], v[179:180]
	v_fma_f64 v[181:182], v[4:5], v[34:35], v[183:184]
	v_fma_f64 v[183:184], v[2:3], v[34:35], -v[36:37]
	ds_load_b128 v[2:5], v1 offset:1328
	s_wait_loadcnt_dscnt 0x801
	v_mul_f64_e32 v[177:178], v[161:162], v[167:168]
	v_mul_f64_e32 v[179:180], v[163:164], v[167:168]
	scratch_load_b128 v[34:37], off, off offset:560
	v_add_f64_e32 v[173:174], v[173:174], v[169:170]
	v_add_f64_e32 v[171:172], v[175:176], v[171:172]
	ds_load_b128 v[167:170], v1 offset:1344
	v_fma_f64 v[177:178], v[163:164], v[165:166], v[177:178]
	v_fma_f64 v[165:166], v[161:162], v[165:166], -v[179:180]
	scratch_load_b128 v[161:164], off, off offset:576
	s_wait_loadcnt_dscnt 0x901
	v_mul_f64_e32 v[175:176], v[2:3], v[40:41]
	v_mul_f64_e32 v[40:41], v[4:5], v[40:41]
	v_add_f64_e32 v[173:174], v[173:174], v[183:184]
	v_add_f64_e32 v[171:172], v[171:172], v[181:182]
	s_delay_alu instid0(VALU_DEP_4) | instskip(NEXT) | instid1(VALU_DEP_4)
	v_fma_f64 v[175:176], v[4:5], v[38:39], v[175:176]
	v_fma_f64 v[181:182], v[2:3], v[38:39], -v[40:41]
	ds_load_b128 v[2:5], v1 offset:1360
	s_wait_loadcnt_dscnt 0x801
	v_mul_f64_e32 v[179:180], v[167:168], v[8:9]
	v_mul_f64_e32 v[8:9], v[169:170], v[8:9]
	scratch_load_b128 v[38:41], off, off offset:592
	s_wait_loadcnt_dscnt 0x800
	v_mul_f64_e32 v[183:184], v[2:3], v[12:13]
	v_add_f64_e32 v[165:166], v[173:174], v[165:166]
	v_add_f64_e32 v[177:178], v[171:172], v[177:178]
	v_mul_f64_e32 v[12:13], v[4:5], v[12:13]
	ds_load_b128 v[171:174], v1 offset:1376
	v_fma_f64 v[169:170], v[169:170], v[6:7], v[179:180]
	v_fma_f64 v[167:168], v[167:168], v[6:7], -v[8:9]
	scratch_load_b128 v[6:9], off, off offset:608
	v_fma_f64 v[179:180], v[4:5], v[10:11], v[183:184]
	v_add_f64_e32 v[165:166], v[165:166], v[181:182]
	v_add_f64_e32 v[175:176], v[177:178], v[175:176]
	v_fma_f64 v[181:182], v[2:3], v[10:11], -v[12:13]
	ds_load_b128 v[2:5], v1 offset:1392
	s_wait_loadcnt_dscnt 0x801
	v_mul_f64_e32 v[177:178], v[171:172], v[16:17]
	v_mul_f64_e32 v[16:17], v[173:174], v[16:17]
	scratch_load_b128 v[10:13], off, off offset:624
	v_add_f64_e32 v[183:184], v[165:166], v[167:168]
	v_add_f64_e32 v[169:170], v[175:176], v[169:170]
	s_wait_loadcnt_dscnt 0x800
	v_mul_f64_e32 v[175:176], v[2:3], v[20:21]
	v_mul_f64_e32 v[20:21], v[4:5], v[20:21]
	v_fma_f64 v[173:174], v[173:174], v[14:15], v[177:178]
	v_fma_f64 v[171:172], v[171:172], v[14:15], -v[16:17]
	ds_load_b128 v[165:168], v1 offset:1408
	scratch_load_b128 v[14:17], off, off offset:640
	v_add_f64_e32 v[177:178], v[183:184], v[181:182]
	v_add_f64_e32 v[169:170], v[169:170], v[179:180]
	v_fma_f64 v[175:176], v[4:5], v[18:19], v[175:176]
	v_fma_f64 v[181:182], v[2:3], v[18:19], -v[20:21]
	ds_load_b128 v[2:5], v1 offset:1424
	s_wait_loadcnt_dscnt 0x801
	v_mul_f64_e32 v[179:180], v[165:166], v[24:25]
	v_mul_f64_e32 v[24:25], v[167:168], v[24:25]
	scratch_load_b128 v[18:21], off, off offset:656
	s_wait_loadcnt_dscnt 0x800
	v_mul_f64_e32 v[183:184], v[2:3], v[28:29]
	v_mul_f64_e32 v[28:29], v[4:5], v[28:29]
	v_add_f64_e32 v[177:178], v[177:178], v[171:172]
	v_add_f64_e32 v[173:174], v[169:170], v[173:174]
	ds_load_b128 v[169:172], v1 offset:1440
	v_fma_f64 v[167:168], v[167:168], v[22:23], v[179:180]
	v_fma_f64 v[165:166], v[165:166], v[22:23], -v[24:25]
	scratch_load_b128 v[22:25], off, off offset:672
	v_fma_f64 v[179:180], v[4:5], v[26:27], v[183:184]
	v_add_f64_e32 v[177:178], v[177:178], v[181:182]
	v_add_f64_e32 v[173:174], v[173:174], v[175:176]
	v_fma_f64 v[181:182], v[2:3], v[26:27], -v[28:29]
	ds_load_b128 v[2:5], v1 offset:1456
	s_wait_loadcnt_dscnt 0x801
	v_mul_f64_e32 v[175:176], v[169:170], v[32:33]
	v_mul_f64_e32 v[32:33], v[171:172], v[32:33]
	scratch_load_b128 v[26:29], off, off offset:688
	s_wait_loadcnt_dscnt 0x800
	v_mul_f64_e32 v[183:184], v[2:3], v[36:37]
	v_mul_f64_e32 v[36:37], v[4:5], v[36:37]
	v_add_f64_e32 v[177:178], v[177:178], v[165:166]
	v_add_f64_e32 v[173:174], v[173:174], v[167:168]
	ds_load_b128 v[165:168], v1 offset:1472
	v_fma_f64 v[171:172], v[171:172], v[30:31], v[175:176]
	v_fma_f64 v[169:170], v[169:170], v[30:31], -v[32:33]
	scratch_load_b128 v[30:33], off, off offset:704
	v_add_f64_e32 v[175:176], v[177:178], v[181:182]
	v_add_f64_e32 v[173:174], v[173:174], v[179:180]
	v_fma_f64 v[179:180], v[4:5], v[34:35], v[183:184]
	v_fma_f64 v[181:182], v[2:3], v[34:35], -v[36:37]
	ds_load_b128 v[2:5], v1 offset:1488
	s_wait_loadcnt_dscnt 0x801
	v_mul_f64_e32 v[177:178], v[165:166], v[163:164]
	v_mul_f64_e32 v[163:164], v[167:168], v[163:164]
	scratch_load_b128 v[34:37], off, off offset:720
	s_wait_loadcnt_dscnt 0x800
	v_mul_f64_e32 v[183:184], v[2:3], v[40:41]
	v_mul_f64_e32 v[40:41], v[4:5], v[40:41]
	v_add_f64_e32 v[175:176], v[175:176], v[169:170]
	v_add_f64_e32 v[173:174], v[173:174], v[171:172]
	ds_load_b128 v[169:172], v1 offset:1504
	v_fma_f64 v[167:168], v[167:168], v[161:162], v[177:178]
	v_fma_f64 v[165:166], v[165:166], v[161:162], -v[163:164]
	scratch_load_b128 v[161:164], off, off offset:736
	v_add_f64_e32 v[175:176], v[175:176], v[181:182]
	v_add_f64_e32 v[173:174], v[173:174], v[179:180]
	v_fma_f64 v[179:180], v[4:5], v[38:39], v[183:184]
	;; [unrolled: 18-line block ×6, first 2 shown]
	v_fma_f64 v[183:184], v[2:3], v[34:35], -v[36:37]
	ds_load_b128 v[2:5], v1 offset:1648
	s_wait_loadcnt_dscnt 0x801
	v_mul_f64_e32 v[177:178], v[169:170], v[163:164]
	v_mul_f64_e32 v[179:180], v[171:172], v[163:164]
	scratch_load_b128 v[34:37], off, off offset:880
	v_add_f64_e32 v[175:176], v[175:176], v[165:166]
	v_add_f64_e32 v[167:168], v[173:174], v[167:168]
	s_wait_loadcnt_dscnt 0x800
	v_mul_f64_e32 v[173:174], v[2:3], v[40:41]
	v_mul_f64_e32 v[40:41], v[4:5], v[40:41]
	ds_load_b128 v[163:166], v1 offset:1664
	v_fma_f64 v[171:172], v[171:172], v[161:162], v[177:178]
	v_fma_f64 v[161:162], v[169:170], v[161:162], -v[179:180]
	v_add_f64_e32 v[175:176], v[175:176], v[183:184]
	v_add_f64_e32 v[177:178], v[167:168], v[181:182]
	scratch_load_b128 v[167:170], off, off offset:896
	v_fma_f64 v[181:182], v[4:5], v[38:39], v[173:174]
	v_fma_f64 v[183:184], v[2:3], v[38:39], -v[40:41]
	ds_load_b128 v[2:5], v1 offset:1680
	s_wait_loadcnt_dscnt 0x801
	v_mul_f64_e32 v[179:180], v[163:164], v[8:9]
	v_mul_f64_e32 v[8:9], v[165:166], v[8:9]
	scratch_load_b128 v[38:41], off, off offset:912
	v_add_f64_e32 v[161:162], v[175:176], v[161:162]
	v_add_f64_e32 v[175:176], v[177:178], v[171:172]
	s_wait_loadcnt_dscnt 0x800
	v_mul_f64_e32 v[177:178], v[2:3], v[12:13]
	v_mul_f64_e32 v[12:13], v[4:5], v[12:13]
	ds_load_b128 v[171:174], v1 offset:1696
	v_fma_f64 v[165:166], v[165:166], v[6:7], v[179:180]
	v_fma_f64 v[6:7], v[163:164], v[6:7], -v[8:9]
	s_wait_loadcnt_dscnt 0x700
	v_mul_f64_e32 v[163:164], v[171:172], v[16:17]
	v_mul_f64_e32 v[16:17], v[173:174], v[16:17]
	v_add_f64_e32 v[8:9], v[161:162], v[183:184]
	v_add_f64_e32 v[161:162], v[175:176], v[181:182]
	v_fma_f64 v[175:176], v[4:5], v[10:11], v[177:178]
	v_fma_f64 v[10:11], v[2:3], v[10:11], -v[12:13]
	v_fma_f64 v[163:164], v[173:174], v[14:15], v[163:164]
	v_fma_f64 v[14:15], v[171:172], v[14:15], -v[16:17]
	v_add_f64_e32 v[12:13], v[8:9], v[6:7]
	v_add_f64_e32 v[161:162], v[161:162], v[165:166]
	ds_load_b128 v[2:5], v1 offset:1712
	ds_load_b128 v[6:9], v1 offset:1728
	s_wait_loadcnt_dscnt 0x601
	v_mul_f64_e32 v[165:166], v[2:3], v[20:21]
	v_mul_f64_e32 v[20:21], v[4:5], v[20:21]
	s_wait_loadcnt_dscnt 0x500
	v_mul_f64_e32 v[16:17], v[6:7], v[24:25]
	v_mul_f64_e32 v[24:25], v[8:9], v[24:25]
	v_add_f64_e32 v[10:11], v[12:13], v[10:11]
	v_add_f64_e32 v[12:13], v[161:162], v[175:176]
	v_fma_f64 v[161:162], v[4:5], v[18:19], v[165:166]
	v_fma_f64 v[18:19], v[2:3], v[18:19], -v[20:21]
	v_fma_f64 v[8:9], v[8:9], v[22:23], v[16:17]
	v_fma_f64 v[6:7], v[6:7], v[22:23], -v[24:25]
	v_add_f64_e32 v[14:15], v[10:11], v[14:15]
	v_add_f64_e32 v[20:21], v[12:13], v[163:164]
	ds_load_b128 v[2:5], v1 offset:1744
	ds_load_b128 v[10:13], v1 offset:1760
	s_wait_loadcnt_dscnt 0x401
	v_mul_f64_e32 v[163:164], v[2:3], v[28:29]
	v_mul_f64_e32 v[28:29], v[4:5], v[28:29]
	v_add_f64_e32 v[14:15], v[14:15], v[18:19]
	v_add_f64_e32 v[16:17], v[20:21], v[161:162]
	s_wait_loadcnt_dscnt 0x300
	v_mul_f64_e32 v[18:19], v[10:11], v[32:33]
	v_mul_f64_e32 v[20:21], v[12:13], v[32:33]
	v_fma_f64 v[22:23], v[4:5], v[26:27], v[163:164]
	v_fma_f64 v[24:25], v[2:3], v[26:27], -v[28:29]
	v_add_f64_e32 v[14:15], v[14:15], v[6:7]
	v_add_f64_e32 v[16:17], v[16:17], v[8:9]
	ds_load_b128 v[2:5], v1 offset:1776
	ds_load_b128 v[6:9], v1 offset:1792
	v_fma_f64 v[12:13], v[12:13], v[30:31], v[18:19]
	v_fma_f64 v[10:11], v[10:11], v[30:31], -v[20:21]
	s_wait_loadcnt_dscnt 0x201
	v_mul_f64_e32 v[26:27], v[2:3], v[36:37]
	v_mul_f64_e32 v[28:29], v[4:5], v[36:37]
	v_add_f64_e32 v[14:15], v[14:15], v[24:25]
	v_add_f64_e32 v[16:17], v[16:17], v[22:23]
	s_wait_loadcnt_dscnt 0x100
	v_mul_f64_e32 v[18:19], v[6:7], v[169:170]
	v_mul_f64_e32 v[20:21], v[8:9], v[169:170]
	v_fma_f64 v[22:23], v[4:5], v[34:35], v[26:27]
	v_fma_f64 v[24:25], v[2:3], v[34:35], -v[28:29]
	ds_load_b128 v[2:5], v1 offset:1808
	v_add_f64_e32 v[10:11], v[14:15], v[10:11]
	v_add_f64_e32 v[12:13], v[16:17], v[12:13]
	s_wait_loadcnt_dscnt 0x0
	v_mul_f64_e32 v[14:15], v[2:3], v[40:41]
	v_mul_f64_e32 v[16:17], v[4:5], v[40:41]
	v_fma_f64 v[8:9], v[8:9], v[167:168], v[18:19]
	v_fma_f64 v[6:7], v[6:7], v[167:168], -v[20:21]
	v_add_f64_e32 v[10:11], v[10:11], v[24:25]
	v_add_f64_e32 v[12:13], v[12:13], v[22:23]
	v_fma_f64 v[4:5], v[4:5], v[38:39], v[14:15]
	v_fma_f64 v[2:3], v[2:3], v[38:39], -v[16:17]
	s_delay_alu instid0(VALU_DEP_4) | instskip(NEXT) | instid1(VALU_DEP_4)
	v_add_f64_e32 v[6:7], v[10:11], v[6:7]
	v_add_f64_e32 v[8:9], v[12:13], v[8:9]
	s_delay_alu instid0(VALU_DEP_2) | instskip(NEXT) | instid1(VALU_DEP_2)
	v_add_f64_e32 v[2:3], v[6:7], v[2:3]
	v_add_f64_e32 v[4:5], v[8:9], v[4:5]
	s_delay_alu instid0(VALU_DEP_2) | instskip(NEXT) | instid1(VALU_DEP_2)
	v_add_f64_e64 v[2:3], v[42:43], -v[2:3]
	v_add_f64_e64 v[4:5], v[44:45], -v[4:5]
	scratch_store_b128 off, v[2:5], off offset:256
	v_cmpx_lt_u32_e32 14, v0
	s_cbranch_execz .LBB56_327
; %bb.326:
	scratch_load_b128 v[5:8], off, s56
	v_dual_mov_b32 v2, v1 :: v_dual_mov_b32 v3, v1
	v_mov_b32_e32 v4, v1
	scratch_store_b128 off, v[1:4], off offset:240
	s_wait_loadcnt 0x0
	ds_store_b128 v160, v[5:8]
.LBB56_327:
	s_wait_alu 0xfffe
	s_or_b32 exec_lo, exec_lo, s0
	s_wait_storecnt_dscnt 0x0
	s_barrier_signal -1
	s_barrier_wait -1
	global_inv scope:SCOPE_SE
	s_clause 0x8
	scratch_load_b128 v[2:5], off, off offset:256
	scratch_load_b128 v[6:9], off, off offset:272
	;; [unrolled: 1-line block ×9, first 2 shown]
	ds_load_b128 v[42:45], v1 offset:1152
	ds_load_b128 v[38:41], v1 offset:1168
	s_clause 0x1
	scratch_load_b128 v[161:164], off, off offset:240
	scratch_load_b128 v[165:168], off, off offset:400
	s_mov_b32 s0, exec_lo
	s_wait_loadcnt_dscnt 0xa01
	v_mul_f64_e32 v[169:170], v[44:45], v[4:5]
	v_mul_f64_e32 v[4:5], v[42:43], v[4:5]
	s_wait_loadcnt_dscnt 0x900
	v_mul_f64_e32 v[173:174], v[38:39], v[8:9]
	v_mul_f64_e32 v[8:9], v[40:41], v[8:9]
	s_delay_alu instid0(VALU_DEP_4) | instskip(NEXT) | instid1(VALU_DEP_4)
	v_fma_f64 v[175:176], v[42:43], v[2:3], -v[169:170]
	v_fma_f64 v[177:178], v[44:45], v[2:3], v[4:5]
	ds_load_b128 v[2:5], v1 offset:1184
	ds_load_b128 v[169:172], v1 offset:1200
	scratch_load_b128 v[42:45], off, off offset:416
	v_fma_f64 v[40:41], v[40:41], v[6:7], v[173:174]
	v_fma_f64 v[38:39], v[38:39], v[6:7], -v[8:9]
	scratch_load_b128 v[6:9], off, off offset:432
	s_wait_loadcnt_dscnt 0xa01
	v_mul_f64_e32 v[179:180], v[2:3], v[12:13]
	v_mul_f64_e32 v[12:13], v[4:5], v[12:13]
	v_add_f64_e32 v[173:174], 0, v[175:176]
	v_add_f64_e32 v[175:176], 0, v[177:178]
	s_wait_loadcnt_dscnt 0x900
	v_mul_f64_e32 v[177:178], v[169:170], v[16:17]
	v_mul_f64_e32 v[16:17], v[171:172], v[16:17]
	v_fma_f64 v[179:180], v[4:5], v[10:11], v[179:180]
	v_fma_f64 v[181:182], v[2:3], v[10:11], -v[12:13]
	ds_load_b128 v[2:5], v1 offset:1216
	scratch_load_b128 v[10:13], off, off offset:448
	v_add_f64_e32 v[173:174], v[173:174], v[38:39]
	v_add_f64_e32 v[175:176], v[175:176], v[40:41]
	ds_load_b128 v[38:41], v1 offset:1232
	v_fma_f64 v[171:172], v[171:172], v[14:15], v[177:178]
	v_fma_f64 v[169:170], v[169:170], v[14:15], -v[16:17]
	scratch_load_b128 v[14:17], off, off offset:464
	s_wait_loadcnt_dscnt 0xa01
	v_mul_f64_e32 v[183:184], v[2:3], v[20:21]
	v_mul_f64_e32 v[20:21], v[4:5], v[20:21]
	s_wait_loadcnt_dscnt 0x900
	v_mul_f64_e32 v[177:178], v[38:39], v[24:25]
	v_mul_f64_e32 v[24:25], v[40:41], v[24:25]
	v_add_f64_e32 v[173:174], v[173:174], v[181:182]
	v_add_f64_e32 v[175:176], v[175:176], v[179:180]
	v_fma_f64 v[179:180], v[4:5], v[18:19], v[183:184]
	v_fma_f64 v[181:182], v[2:3], v[18:19], -v[20:21]
	ds_load_b128 v[2:5], v1 offset:1248
	scratch_load_b128 v[18:21], off, off offset:480
	v_fma_f64 v[40:41], v[40:41], v[22:23], v[177:178]
	v_fma_f64 v[38:39], v[38:39], v[22:23], -v[24:25]
	scratch_load_b128 v[22:25], off, off offset:496
	v_add_f64_e32 v[173:174], v[173:174], v[169:170]
	v_add_f64_e32 v[175:176], v[175:176], v[171:172]
	ds_load_b128 v[169:172], v1 offset:1264
	s_wait_loadcnt_dscnt 0xa01
	v_mul_f64_e32 v[183:184], v[2:3], v[28:29]
	v_mul_f64_e32 v[28:29], v[4:5], v[28:29]
	s_wait_loadcnt_dscnt 0x900
	v_mul_f64_e32 v[177:178], v[169:170], v[32:33]
	v_mul_f64_e32 v[32:33], v[171:172], v[32:33]
	v_add_f64_e32 v[173:174], v[173:174], v[181:182]
	v_add_f64_e32 v[175:176], v[175:176], v[179:180]
	v_fma_f64 v[179:180], v[4:5], v[26:27], v[183:184]
	v_fma_f64 v[181:182], v[2:3], v[26:27], -v[28:29]
	ds_load_b128 v[2:5], v1 offset:1280
	scratch_load_b128 v[26:29], off, off offset:512
	v_fma_f64 v[171:172], v[171:172], v[30:31], v[177:178]
	v_fma_f64 v[169:170], v[169:170], v[30:31], -v[32:33]
	scratch_load_b128 v[30:33], off, off offset:528
	v_add_f64_e32 v[173:174], v[173:174], v[38:39]
	v_add_f64_e32 v[175:176], v[175:176], v[40:41]
	ds_load_b128 v[38:41], v1 offset:1296
	s_wait_loadcnt_dscnt 0xa01
	v_mul_f64_e32 v[183:184], v[2:3], v[36:37]
	v_mul_f64_e32 v[36:37], v[4:5], v[36:37]
	s_wait_loadcnt_dscnt 0x800
	v_mul_f64_e32 v[177:178], v[38:39], v[167:168]
	v_add_f64_e32 v[173:174], v[173:174], v[181:182]
	v_add_f64_e32 v[175:176], v[175:176], v[179:180]
	v_mul_f64_e32 v[179:180], v[40:41], v[167:168]
	v_fma_f64 v[181:182], v[4:5], v[34:35], v[183:184]
	v_fma_f64 v[183:184], v[2:3], v[34:35], -v[36:37]
	ds_load_b128 v[2:5], v1 offset:1312
	scratch_load_b128 v[34:37], off, off offset:544
	v_fma_f64 v[177:178], v[40:41], v[165:166], v[177:178]
	v_add_f64_e32 v[173:174], v[173:174], v[169:170]
	v_add_f64_e32 v[171:172], v[175:176], v[171:172]
	ds_load_b128 v[167:170], v1 offset:1328
	v_fma_f64 v[165:166], v[38:39], v[165:166], -v[179:180]
	scratch_load_b128 v[38:41], off, off offset:560
	s_wait_loadcnt_dscnt 0x901
	v_mul_f64_e32 v[175:176], v[2:3], v[44:45]
	v_mul_f64_e32 v[44:45], v[4:5], v[44:45]
	s_wait_loadcnt_dscnt 0x800
	v_mul_f64_e32 v[179:180], v[167:168], v[8:9]
	v_mul_f64_e32 v[8:9], v[169:170], v[8:9]
	v_add_f64_e32 v[173:174], v[173:174], v[183:184]
	v_add_f64_e32 v[171:172], v[171:172], v[181:182]
	v_fma_f64 v[175:176], v[4:5], v[42:43], v[175:176]
	v_fma_f64 v[181:182], v[2:3], v[42:43], -v[44:45]
	ds_load_b128 v[2:5], v1 offset:1344
	scratch_load_b128 v[42:45], off, off offset:576
	v_fma_f64 v[169:170], v[169:170], v[6:7], v[179:180]
	v_fma_f64 v[167:168], v[167:168], v[6:7], -v[8:9]
	scratch_load_b128 v[6:9], off, off offset:592
	v_add_f64_e32 v[165:166], v[173:174], v[165:166]
	v_add_f64_e32 v[177:178], v[171:172], v[177:178]
	ds_load_b128 v[171:174], v1 offset:1360
	s_wait_loadcnt_dscnt 0x901
	v_mul_f64_e32 v[183:184], v[2:3], v[12:13]
	v_mul_f64_e32 v[12:13], v[4:5], v[12:13]
	v_add_f64_e32 v[165:166], v[165:166], v[181:182]
	v_add_f64_e32 v[175:176], v[177:178], v[175:176]
	s_wait_loadcnt_dscnt 0x800
	v_mul_f64_e32 v[177:178], v[171:172], v[16:17]
	v_mul_f64_e32 v[16:17], v[173:174], v[16:17]
	v_fma_f64 v[179:180], v[4:5], v[10:11], v[183:184]
	v_fma_f64 v[181:182], v[2:3], v[10:11], -v[12:13]
	ds_load_b128 v[2:5], v1 offset:1376
	scratch_load_b128 v[10:13], off, off offset:608
	v_add_f64_e32 v[183:184], v[165:166], v[167:168]
	v_add_f64_e32 v[169:170], v[175:176], v[169:170]
	ds_load_b128 v[165:168], v1 offset:1392
	s_wait_loadcnt_dscnt 0x801
	v_mul_f64_e32 v[175:176], v[2:3], v[20:21]
	v_mul_f64_e32 v[20:21], v[4:5], v[20:21]
	v_fma_f64 v[173:174], v[173:174], v[14:15], v[177:178]
	v_fma_f64 v[171:172], v[171:172], v[14:15], -v[16:17]
	scratch_load_b128 v[14:17], off, off offset:624
	v_add_f64_e32 v[177:178], v[183:184], v[181:182]
	v_add_f64_e32 v[169:170], v[169:170], v[179:180]
	s_wait_loadcnt_dscnt 0x800
	v_mul_f64_e32 v[179:180], v[165:166], v[24:25]
	v_mul_f64_e32 v[24:25], v[167:168], v[24:25]
	v_fma_f64 v[175:176], v[4:5], v[18:19], v[175:176]
	v_fma_f64 v[181:182], v[2:3], v[18:19], -v[20:21]
	ds_load_b128 v[2:5], v1 offset:1408
	scratch_load_b128 v[18:21], off, off offset:640
	v_add_f64_e32 v[177:178], v[177:178], v[171:172]
	v_add_f64_e32 v[173:174], v[169:170], v[173:174]
	ds_load_b128 v[169:172], v1 offset:1424
	s_wait_loadcnt_dscnt 0x801
	v_mul_f64_e32 v[183:184], v[2:3], v[28:29]
	v_mul_f64_e32 v[28:29], v[4:5], v[28:29]
	v_fma_f64 v[167:168], v[167:168], v[22:23], v[179:180]
	v_fma_f64 v[165:166], v[165:166], v[22:23], -v[24:25]
	scratch_load_b128 v[22:25], off, off offset:656
	;; [unrolled: 18-line block ×4, first 2 shown]
	s_wait_loadcnt_dscnt 0x800
	v_mul_f64_e32 v[177:178], v[169:170], v[8:9]
	v_mul_f64_e32 v[8:9], v[171:172], v[8:9]
	v_add_f64_e32 v[175:176], v[175:176], v[181:182]
	v_add_f64_e32 v[173:174], v[173:174], v[179:180]
	v_fma_f64 v[179:180], v[4:5], v[42:43], v[183:184]
	v_fma_f64 v[181:182], v[2:3], v[42:43], -v[44:45]
	ds_load_b128 v[2:5], v1 offset:1504
	scratch_load_b128 v[42:45], off, off offset:736
	v_fma_f64 v[171:172], v[171:172], v[6:7], v[177:178]
	v_fma_f64 v[169:170], v[169:170], v[6:7], -v[8:9]
	scratch_load_b128 v[6:9], off, off offset:752
	v_add_f64_e32 v[175:176], v[175:176], v[165:166]
	v_add_f64_e32 v[173:174], v[173:174], v[167:168]
	ds_load_b128 v[165:168], v1 offset:1520
	s_wait_loadcnt_dscnt 0x901
	v_mul_f64_e32 v[183:184], v[2:3], v[12:13]
	v_mul_f64_e32 v[12:13], v[4:5], v[12:13]
	s_wait_loadcnt_dscnt 0x800
	v_mul_f64_e32 v[177:178], v[165:166], v[16:17]
	v_mul_f64_e32 v[16:17], v[167:168], v[16:17]
	v_add_f64_e32 v[175:176], v[175:176], v[181:182]
	v_add_f64_e32 v[173:174], v[173:174], v[179:180]
	v_fma_f64 v[179:180], v[4:5], v[10:11], v[183:184]
	v_fma_f64 v[181:182], v[2:3], v[10:11], -v[12:13]
	ds_load_b128 v[2:5], v1 offset:1536
	scratch_load_b128 v[10:13], off, off offset:768
	v_fma_f64 v[167:168], v[167:168], v[14:15], v[177:178]
	v_fma_f64 v[165:166], v[165:166], v[14:15], -v[16:17]
	scratch_load_b128 v[14:17], off, off offset:784
	v_add_f64_e32 v[175:176], v[175:176], v[169:170]
	v_add_f64_e32 v[173:174], v[173:174], v[171:172]
	ds_load_b128 v[169:172], v1 offset:1552
	s_wait_loadcnt_dscnt 0x901
	v_mul_f64_e32 v[183:184], v[2:3], v[20:21]
	v_mul_f64_e32 v[20:21], v[4:5], v[20:21]
	;; [unrolled: 18-line block ×6, first 2 shown]
	s_wait_loadcnt_dscnt 0x800
	v_mul_f64_e32 v[177:178], v[169:170], v[16:17]
	v_mul_f64_e32 v[16:17], v[171:172], v[16:17]
	v_add_f64_e32 v[175:176], v[175:176], v[181:182]
	v_add_f64_e32 v[173:174], v[173:174], v[179:180]
	v_fma_f64 v[179:180], v[4:5], v[10:11], v[183:184]
	v_fma_f64 v[181:182], v[2:3], v[10:11], -v[12:13]
	ds_load_b128 v[2:5], v1 offset:1696
	ds_load_b128 v[10:13], v1 offset:1712
	v_fma_f64 v[171:172], v[171:172], v[14:15], v[177:178]
	v_fma_f64 v[14:15], v[169:170], v[14:15], -v[16:17]
	v_add_f64_e32 v[165:166], v[175:176], v[165:166]
	v_add_f64_e32 v[167:168], v[173:174], v[167:168]
	s_wait_loadcnt_dscnt 0x701
	v_mul_f64_e32 v[173:174], v[2:3], v[20:21]
	v_mul_f64_e32 v[20:21], v[4:5], v[20:21]
	s_delay_alu instid0(VALU_DEP_4) | instskip(NEXT) | instid1(VALU_DEP_4)
	v_add_f64_e32 v[16:17], v[165:166], v[181:182]
	v_add_f64_e32 v[165:166], v[167:168], v[179:180]
	s_wait_loadcnt_dscnt 0x600
	v_mul_f64_e32 v[167:168], v[10:11], v[24:25]
	v_mul_f64_e32 v[24:25], v[12:13], v[24:25]
	v_fma_f64 v[169:170], v[4:5], v[18:19], v[173:174]
	v_fma_f64 v[18:19], v[2:3], v[18:19], -v[20:21]
	v_add_f64_e32 v[20:21], v[16:17], v[14:15]
	v_add_f64_e32 v[165:166], v[165:166], v[171:172]
	ds_load_b128 v[2:5], v1 offset:1728
	ds_load_b128 v[14:17], v1 offset:1744
	v_fma_f64 v[12:13], v[12:13], v[22:23], v[167:168]
	v_fma_f64 v[10:11], v[10:11], v[22:23], -v[24:25]
	s_wait_loadcnt_dscnt 0x501
	v_mul_f64_e32 v[171:172], v[2:3], v[28:29]
	v_mul_f64_e32 v[28:29], v[4:5], v[28:29]
	s_wait_loadcnt_dscnt 0x400
	v_mul_f64_e32 v[22:23], v[14:15], v[32:33]
	v_mul_f64_e32 v[24:25], v[16:17], v[32:33]
	v_add_f64_e32 v[18:19], v[20:21], v[18:19]
	v_add_f64_e32 v[20:21], v[165:166], v[169:170]
	v_fma_f64 v[32:33], v[4:5], v[26:27], v[171:172]
	v_fma_f64 v[26:27], v[2:3], v[26:27], -v[28:29]
	v_fma_f64 v[16:17], v[16:17], v[30:31], v[22:23]
	v_fma_f64 v[14:15], v[14:15], v[30:31], -v[24:25]
	v_add_f64_e32 v[18:19], v[18:19], v[10:11]
	v_add_f64_e32 v[20:21], v[20:21], v[12:13]
	ds_load_b128 v[2:5], v1 offset:1760
	ds_load_b128 v[10:13], v1 offset:1776
	s_wait_loadcnt_dscnt 0x301
	v_mul_f64_e32 v[28:29], v[2:3], v[36:37]
	v_mul_f64_e32 v[36:37], v[4:5], v[36:37]
	s_wait_loadcnt_dscnt 0x200
	v_mul_f64_e32 v[22:23], v[10:11], v[40:41]
	v_mul_f64_e32 v[24:25], v[12:13], v[40:41]
	v_add_f64_e32 v[18:19], v[18:19], v[26:27]
	v_add_f64_e32 v[20:21], v[20:21], v[32:33]
	v_fma_f64 v[26:27], v[4:5], v[34:35], v[28:29]
	v_fma_f64 v[28:29], v[2:3], v[34:35], -v[36:37]
	v_fma_f64 v[12:13], v[12:13], v[38:39], v[22:23]
	v_fma_f64 v[10:11], v[10:11], v[38:39], -v[24:25]
	v_add_f64_e32 v[18:19], v[18:19], v[14:15]
	v_add_f64_e32 v[20:21], v[20:21], v[16:17]
	ds_load_b128 v[2:5], v1 offset:1792
	ds_load_b128 v[14:17], v1 offset:1808
	s_wait_loadcnt_dscnt 0x101
	v_mul_f64_e32 v[30:31], v[2:3], v[44:45]
	v_mul_f64_e32 v[32:33], v[4:5], v[44:45]
	s_wait_loadcnt_dscnt 0x0
	v_mul_f64_e32 v[22:23], v[14:15], v[8:9]
	v_mul_f64_e32 v[8:9], v[16:17], v[8:9]
	v_add_f64_e32 v[18:19], v[18:19], v[28:29]
	v_add_f64_e32 v[20:21], v[20:21], v[26:27]
	v_fma_f64 v[4:5], v[4:5], v[42:43], v[30:31]
	v_fma_f64 v[1:2], v[2:3], v[42:43], -v[32:33]
	v_fma_f64 v[16:17], v[16:17], v[6:7], v[22:23]
	v_fma_f64 v[6:7], v[14:15], v[6:7], -v[8:9]
	v_add_f64_e32 v[10:11], v[18:19], v[10:11]
	v_add_f64_e32 v[12:13], v[20:21], v[12:13]
	s_delay_alu instid0(VALU_DEP_2) | instskip(NEXT) | instid1(VALU_DEP_2)
	v_add_f64_e32 v[1:2], v[10:11], v[1:2]
	v_add_f64_e32 v[3:4], v[12:13], v[4:5]
	s_delay_alu instid0(VALU_DEP_2) | instskip(NEXT) | instid1(VALU_DEP_2)
	;; [unrolled: 3-line block ×3, first 2 shown]
	v_add_f64_e64 v[1:2], v[161:162], -v[1:2]
	v_add_f64_e64 v[3:4], v[163:164], -v[3:4]
	scratch_store_b128 off, v[1:4], off offset:240
	v_cmpx_lt_u32_e32 13, v0
	s_cbranch_execz .LBB56_329
; %bb.328:
	scratch_load_b128 v[1:4], off, s57
	v_mov_b32_e32 v5, 0
	s_delay_alu instid0(VALU_DEP_1)
	v_dual_mov_b32 v6, v5 :: v_dual_mov_b32 v7, v5
	v_mov_b32_e32 v8, v5
	scratch_store_b128 off, v[5:8], off offset:224
	s_wait_loadcnt 0x0
	ds_store_b128 v160, v[1:4]
.LBB56_329:
	s_wait_alu 0xfffe
	s_or_b32 exec_lo, exec_lo, s0
	s_wait_storecnt_dscnt 0x0
	s_barrier_signal -1
	s_barrier_wait -1
	global_inv scope:SCOPE_SE
	s_clause 0x7
	scratch_load_b128 v[2:5], off, off offset:240
	scratch_load_b128 v[6:9], off, off offset:256
	;; [unrolled: 1-line block ×8, first 2 shown]
	v_mov_b32_e32 v1, 0
	s_mov_b32 s0, exec_lo
	ds_load_b128 v[38:41], v1 offset:1136
	s_clause 0x1
	scratch_load_b128 v[34:37], off, off offset:368
	scratch_load_b128 v[42:45], off, off offset:224
	ds_load_b128 v[161:164], v1 offset:1152
	scratch_load_b128 v[165:168], off, off offset:384
	s_wait_loadcnt_dscnt 0xa01
	v_mul_f64_e32 v[169:170], v[40:41], v[4:5]
	v_mul_f64_e32 v[4:5], v[38:39], v[4:5]
	s_delay_alu instid0(VALU_DEP_2) | instskip(NEXT) | instid1(VALU_DEP_2)
	v_fma_f64 v[175:176], v[38:39], v[2:3], -v[169:170]
	v_fma_f64 v[177:178], v[40:41], v[2:3], v[4:5]
	ds_load_b128 v[2:5], v1 offset:1168
	s_wait_loadcnt_dscnt 0x901
	v_mul_f64_e32 v[173:174], v[161:162], v[8:9]
	v_mul_f64_e32 v[8:9], v[163:164], v[8:9]
	scratch_load_b128 v[38:41], off, off offset:400
	ds_load_b128 v[169:172], v1 offset:1184
	s_wait_loadcnt_dscnt 0x901
	v_mul_f64_e32 v[179:180], v[2:3], v[12:13]
	v_mul_f64_e32 v[12:13], v[4:5], v[12:13]
	v_fma_f64 v[163:164], v[163:164], v[6:7], v[173:174]
	v_fma_f64 v[161:162], v[161:162], v[6:7], -v[8:9]
	v_add_f64_e32 v[173:174], 0, v[175:176]
	v_add_f64_e32 v[175:176], 0, v[177:178]
	scratch_load_b128 v[6:9], off, off offset:416
	v_fma_f64 v[179:180], v[4:5], v[10:11], v[179:180]
	v_fma_f64 v[181:182], v[2:3], v[10:11], -v[12:13]
	ds_load_b128 v[2:5], v1 offset:1200
	s_wait_loadcnt_dscnt 0x901
	v_mul_f64_e32 v[177:178], v[169:170], v[16:17]
	v_mul_f64_e32 v[16:17], v[171:172], v[16:17]
	scratch_load_b128 v[10:13], off, off offset:432
	v_add_f64_e32 v[173:174], v[173:174], v[161:162]
	v_add_f64_e32 v[175:176], v[175:176], v[163:164]
	s_wait_loadcnt_dscnt 0x900
	v_mul_f64_e32 v[183:184], v[2:3], v[20:21]
	v_mul_f64_e32 v[20:21], v[4:5], v[20:21]
	ds_load_b128 v[161:164], v1 offset:1216
	v_fma_f64 v[171:172], v[171:172], v[14:15], v[177:178]
	v_fma_f64 v[169:170], v[169:170], v[14:15], -v[16:17]
	scratch_load_b128 v[14:17], off, off offset:448
	v_add_f64_e32 v[173:174], v[173:174], v[181:182]
	v_add_f64_e32 v[175:176], v[175:176], v[179:180]
	v_fma_f64 v[179:180], v[4:5], v[18:19], v[183:184]
	v_fma_f64 v[181:182], v[2:3], v[18:19], -v[20:21]
	ds_load_b128 v[2:5], v1 offset:1232
	s_wait_loadcnt_dscnt 0x901
	v_mul_f64_e32 v[177:178], v[161:162], v[24:25]
	v_mul_f64_e32 v[24:25], v[163:164], v[24:25]
	scratch_load_b128 v[18:21], off, off offset:464
	s_wait_loadcnt_dscnt 0x900
	v_mul_f64_e32 v[183:184], v[2:3], v[28:29]
	v_mul_f64_e32 v[28:29], v[4:5], v[28:29]
	v_add_f64_e32 v[173:174], v[173:174], v[169:170]
	v_add_f64_e32 v[175:176], v[175:176], v[171:172]
	ds_load_b128 v[169:172], v1 offset:1248
	v_fma_f64 v[163:164], v[163:164], v[22:23], v[177:178]
	v_fma_f64 v[161:162], v[161:162], v[22:23], -v[24:25]
	scratch_load_b128 v[22:25], off, off offset:480
	v_add_f64_e32 v[173:174], v[173:174], v[181:182]
	v_add_f64_e32 v[175:176], v[175:176], v[179:180]
	v_fma_f64 v[179:180], v[4:5], v[26:27], v[183:184]
	v_fma_f64 v[181:182], v[2:3], v[26:27], -v[28:29]
	ds_load_b128 v[2:5], v1 offset:1264
	s_wait_loadcnt_dscnt 0x901
	v_mul_f64_e32 v[177:178], v[169:170], v[32:33]
	v_mul_f64_e32 v[32:33], v[171:172], v[32:33]
	scratch_load_b128 v[26:29], off, off offset:496
	s_wait_loadcnt_dscnt 0x900
	v_mul_f64_e32 v[183:184], v[2:3], v[36:37]
	v_mul_f64_e32 v[36:37], v[4:5], v[36:37]
	v_add_f64_e32 v[173:174], v[173:174], v[161:162]
	v_add_f64_e32 v[175:176], v[175:176], v[163:164]
	ds_load_b128 v[161:164], v1 offset:1280
	v_fma_f64 v[171:172], v[171:172], v[30:31], v[177:178]
	v_fma_f64 v[169:170], v[169:170], v[30:31], -v[32:33]
	scratch_load_b128 v[30:33], off, off offset:512
	v_add_f64_e32 v[173:174], v[173:174], v[181:182]
	v_add_f64_e32 v[175:176], v[175:176], v[179:180]
	v_fma_f64 v[181:182], v[4:5], v[34:35], v[183:184]
	v_fma_f64 v[183:184], v[2:3], v[34:35], -v[36:37]
	ds_load_b128 v[2:5], v1 offset:1296
	s_wait_loadcnt_dscnt 0x801
	v_mul_f64_e32 v[177:178], v[161:162], v[167:168]
	v_mul_f64_e32 v[179:180], v[163:164], v[167:168]
	scratch_load_b128 v[34:37], off, off offset:528
	v_add_f64_e32 v[173:174], v[173:174], v[169:170]
	v_add_f64_e32 v[171:172], v[175:176], v[171:172]
	ds_load_b128 v[167:170], v1 offset:1312
	v_fma_f64 v[177:178], v[163:164], v[165:166], v[177:178]
	v_fma_f64 v[165:166], v[161:162], v[165:166], -v[179:180]
	scratch_load_b128 v[161:164], off, off offset:544
	s_wait_loadcnt_dscnt 0x901
	v_mul_f64_e32 v[175:176], v[2:3], v[40:41]
	v_mul_f64_e32 v[40:41], v[4:5], v[40:41]
	v_add_f64_e32 v[173:174], v[173:174], v[183:184]
	v_add_f64_e32 v[171:172], v[171:172], v[181:182]
	s_delay_alu instid0(VALU_DEP_4) | instskip(NEXT) | instid1(VALU_DEP_4)
	v_fma_f64 v[175:176], v[4:5], v[38:39], v[175:176]
	v_fma_f64 v[181:182], v[2:3], v[38:39], -v[40:41]
	ds_load_b128 v[2:5], v1 offset:1328
	s_wait_loadcnt_dscnt 0x801
	v_mul_f64_e32 v[179:180], v[167:168], v[8:9]
	v_mul_f64_e32 v[8:9], v[169:170], v[8:9]
	scratch_load_b128 v[38:41], off, off offset:560
	s_wait_loadcnt_dscnt 0x800
	v_mul_f64_e32 v[183:184], v[2:3], v[12:13]
	v_add_f64_e32 v[165:166], v[173:174], v[165:166]
	v_add_f64_e32 v[177:178], v[171:172], v[177:178]
	v_mul_f64_e32 v[12:13], v[4:5], v[12:13]
	ds_load_b128 v[171:174], v1 offset:1344
	v_fma_f64 v[169:170], v[169:170], v[6:7], v[179:180]
	v_fma_f64 v[167:168], v[167:168], v[6:7], -v[8:9]
	scratch_load_b128 v[6:9], off, off offset:576
	v_fma_f64 v[179:180], v[4:5], v[10:11], v[183:184]
	v_add_f64_e32 v[165:166], v[165:166], v[181:182]
	v_add_f64_e32 v[175:176], v[177:178], v[175:176]
	v_fma_f64 v[181:182], v[2:3], v[10:11], -v[12:13]
	ds_load_b128 v[2:5], v1 offset:1360
	s_wait_loadcnt_dscnt 0x801
	v_mul_f64_e32 v[177:178], v[171:172], v[16:17]
	v_mul_f64_e32 v[16:17], v[173:174], v[16:17]
	scratch_load_b128 v[10:13], off, off offset:592
	v_add_f64_e32 v[183:184], v[165:166], v[167:168]
	v_add_f64_e32 v[169:170], v[175:176], v[169:170]
	s_wait_loadcnt_dscnt 0x800
	v_mul_f64_e32 v[175:176], v[2:3], v[20:21]
	v_mul_f64_e32 v[20:21], v[4:5], v[20:21]
	v_fma_f64 v[173:174], v[173:174], v[14:15], v[177:178]
	v_fma_f64 v[171:172], v[171:172], v[14:15], -v[16:17]
	ds_load_b128 v[165:168], v1 offset:1376
	scratch_load_b128 v[14:17], off, off offset:608
	v_add_f64_e32 v[177:178], v[183:184], v[181:182]
	v_add_f64_e32 v[169:170], v[169:170], v[179:180]
	v_fma_f64 v[175:176], v[4:5], v[18:19], v[175:176]
	v_fma_f64 v[181:182], v[2:3], v[18:19], -v[20:21]
	ds_load_b128 v[2:5], v1 offset:1392
	s_wait_loadcnt_dscnt 0x801
	v_mul_f64_e32 v[179:180], v[165:166], v[24:25]
	v_mul_f64_e32 v[24:25], v[167:168], v[24:25]
	scratch_load_b128 v[18:21], off, off offset:624
	s_wait_loadcnt_dscnt 0x800
	v_mul_f64_e32 v[183:184], v[2:3], v[28:29]
	v_mul_f64_e32 v[28:29], v[4:5], v[28:29]
	v_add_f64_e32 v[177:178], v[177:178], v[171:172]
	v_add_f64_e32 v[173:174], v[169:170], v[173:174]
	ds_load_b128 v[169:172], v1 offset:1408
	v_fma_f64 v[167:168], v[167:168], v[22:23], v[179:180]
	v_fma_f64 v[165:166], v[165:166], v[22:23], -v[24:25]
	scratch_load_b128 v[22:25], off, off offset:640
	v_fma_f64 v[179:180], v[4:5], v[26:27], v[183:184]
	v_add_f64_e32 v[177:178], v[177:178], v[181:182]
	v_add_f64_e32 v[173:174], v[173:174], v[175:176]
	v_fma_f64 v[181:182], v[2:3], v[26:27], -v[28:29]
	ds_load_b128 v[2:5], v1 offset:1424
	s_wait_loadcnt_dscnt 0x801
	v_mul_f64_e32 v[175:176], v[169:170], v[32:33]
	v_mul_f64_e32 v[32:33], v[171:172], v[32:33]
	scratch_load_b128 v[26:29], off, off offset:656
	s_wait_loadcnt_dscnt 0x800
	v_mul_f64_e32 v[183:184], v[2:3], v[36:37]
	v_mul_f64_e32 v[36:37], v[4:5], v[36:37]
	v_add_f64_e32 v[177:178], v[177:178], v[165:166]
	v_add_f64_e32 v[173:174], v[173:174], v[167:168]
	ds_load_b128 v[165:168], v1 offset:1440
	v_fma_f64 v[171:172], v[171:172], v[30:31], v[175:176]
	v_fma_f64 v[169:170], v[169:170], v[30:31], -v[32:33]
	scratch_load_b128 v[30:33], off, off offset:672
	v_add_f64_e32 v[175:176], v[177:178], v[181:182]
	v_add_f64_e32 v[173:174], v[173:174], v[179:180]
	v_fma_f64 v[179:180], v[4:5], v[34:35], v[183:184]
	v_fma_f64 v[181:182], v[2:3], v[34:35], -v[36:37]
	ds_load_b128 v[2:5], v1 offset:1456
	s_wait_loadcnt_dscnt 0x801
	v_mul_f64_e32 v[177:178], v[165:166], v[163:164]
	v_mul_f64_e32 v[163:164], v[167:168], v[163:164]
	scratch_load_b128 v[34:37], off, off offset:688
	s_wait_loadcnt_dscnt 0x800
	v_mul_f64_e32 v[183:184], v[2:3], v[40:41]
	v_mul_f64_e32 v[40:41], v[4:5], v[40:41]
	v_add_f64_e32 v[175:176], v[175:176], v[169:170]
	v_add_f64_e32 v[173:174], v[173:174], v[171:172]
	ds_load_b128 v[169:172], v1 offset:1472
	v_fma_f64 v[167:168], v[167:168], v[161:162], v[177:178]
	v_fma_f64 v[165:166], v[165:166], v[161:162], -v[163:164]
	scratch_load_b128 v[161:164], off, off offset:704
	v_add_f64_e32 v[175:176], v[175:176], v[181:182]
	v_add_f64_e32 v[173:174], v[173:174], v[179:180]
	v_fma_f64 v[179:180], v[4:5], v[38:39], v[183:184]
	;; [unrolled: 18-line block ×6, first 2 shown]
	v_fma_f64 v[183:184], v[2:3], v[34:35], -v[36:37]
	ds_load_b128 v[2:5], v1 offset:1616
	s_wait_loadcnt_dscnt 0x801
	v_mul_f64_e32 v[177:178], v[169:170], v[163:164]
	v_mul_f64_e32 v[179:180], v[171:172], v[163:164]
	scratch_load_b128 v[34:37], off, off offset:848
	v_add_f64_e32 v[175:176], v[175:176], v[165:166]
	v_add_f64_e32 v[167:168], v[173:174], v[167:168]
	s_wait_loadcnt_dscnt 0x800
	v_mul_f64_e32 v[173:174], v[2:3], v[40:41]
	v_mul_f64_e32 v[40:41], v[4:5], v[40:41]
	ds_load_b128 v[163:166], v1 offset:1632
	v_fma_f64 v[171:172], v[171:172], v[161:162], v[177:178]
	v_fma_f64 v[161:162], v[169:170], v[161:162], -v[179:180]
	v_add_f64_e32 v[175:176], v[175:176], v[183:184]
	v_add_f64_e32 v[177:178], v[167:168], v[181:182]
	scratch_load_b128 v[167:170], off, off offset:864
	v_fma_f64 v[181:182], v[4:5], v[38:39], v[173:174]
	v_fma_f64 v[183:184], v[2:3], v[38:39], -v[40:41]
	ds_load_b128 v[2:5], v1 offset:1648
	s_wait_loadcnt_dscnt 0x801
	v_mul_f64_e32 v[179:180], v[163:164], v[8:9]
	v_mul_f64_e32 v[8:9], v[165:166], v[8:9]
	scratch_load_b128 v[38:41], off, off offset:880
	v_add_f64_e32 v[161:162], v[175:176], v[161:162]
	v_add_f64_e32 v[175:176], v[177:178], v[171:172]
	s_wait_loadcnt_dscnt 0x800
	v_mul_f64_e32 v[177:178], v[2:3], v[12:13]
	v_mul_f64_e32 v[12:13], v[4:5], v[12:13]
	ds_load_b128 v[171:174], v1 offset:1664
	v_fma_f64 v[165:166], v[165:166], v[6:7], v[179:180]
	v_fma_f64 v[163:164], v[163:164], v[6:7], -v[8:9]
	scratch_load_b128 v[6:9], off, off offset:896
	v_add_f64_e32 v[161:162], v[161:162], v[183:184]
	v_add_f64_e32 v[175:176], v[175:176], v[181:182]
	v_fma_f64 v[177:178], v[4:5], v[10:11], v[177:178]
	v_fma_f64 v[181:182], v[2:3], v[10:11], -v[12:13]
	ds_load_b128 v[2:5], v1 offset:1680
	s_wait_loadcnt_dscnt 0x801
	v_mul_f64_e32 v[179:180], v[171:172], v[16:17]
	v_mul_f64_e32 v[16:17], v[173:174], v[16:17]
	scratch_load_b128 v[10:13], off, off offset:912
	v_add_f64_e32 v[183:184], v[161:162], v[163:164]
	v_add_f64_e32 v[165:166], v[175:176], v[165:166]
	s_wait_loadcnt_dscnt 0x800
	v_mul_f64_e32 v[175:176], v[2:3], v[20:21]
	v_mul_f64_e32 v[20:21], v[4:5], v[20:21]
	ds_load_b128 v[161:164], v1 offset:1696
	v_fma_f64 v[173:174], v[173:174], v[14:15], v[179:180]
	v_fma_f64 v[14:15], v[171:172], v[14:15], -v[16:17]
	s_wait_loadcnt_dscnt 0x700
	v_mul_f64_e32 v[171:172], v[161:162], v[24:25]
	v_mul_f64_e32 v[24:25], v[163:164], v[24:25]
	v_add_f64_e32 v[16:17], v[183:184], v[181:182]
	v_add_f64_e32 v[165:166], v[165:166], v[177:178]
	v_fma_f64 v[175:176], v[4:5], v[18:19], v[175:176]
	v_fma_f64 v[18:19], v[2:3], v[18:19], -v[20:21]
	v_fma_f64 v[163:164], v[163:164], v[22:23], v[171:172]
	v_fma_f64 v[22:23], v[161:162], v[22:23], -v[24:25]
	v_add_f64_e32 v[20:21], v[16:17], v[14:15]
	v_add_f64_e32 v[165:166], v[165:166], v[173:174]
	ds_load_b128 v[2:5], v1 offset:1712
	ds_load_b128 v[14:17], v1 offset:1728
	s_wait_loadcnt_dscnt 0x601
	v_mul_f64_e32 v[173:174], v[2:3], v[28:29]
	v_mul_f64_e32 v[28:29], v[4:5], v[28:29]
	s_wait_loadcnt_dscnt 0x500
	v_mul_f64_e32 v[24:25], v[14:15], v[32:33]
	v_mul_f64_e32 v[32:33], v[16:17], v[32:33]
	v_add_f64_e32 v[18:19], v[20:21], v[18:19]
	v_add_f64_e32 v[20:21], v[165:166], v[175:176]
	v_fma_f64 v[161:162], v[4:5], v[26:27], v[173:174]
	v_fma_f64 v[26:27], v[2:3], v[26:27], -v[28:29]
	v_fma_f64 v[16:17], v[16:17], v[30:31], v[24:25]
	v_fma_f64 v[14:15], v[14:15], v[30:31], -v[32:33]
	v_add_f64_e32 v[22:23], v[18:19], v[22:23]
	v_add_f64_e32 v[28:29], v[20:21], v[163:164]
	ds_load_b128 v[2:5], v1 offset:1744
	ds_load_b128 v[18:21], v1 offset:1760
	s_wait_loadcnt_dscnt 0x401
	v_mul_f64_e32 v[163:164], v[2:3], v[36:37]
	v_mul_f64_e32 v[36:37], v[4:5], v[36:37]
	v_add_f64_e32 v[22:23], v[22:23], v[26:27]
	v_add_f64_e32 v[24:25], v[28:29], v[161:162]
	s_wait_loadcnt_dscnt 0x300
	v_mul_f64_e32 v[26:27], v[18:19], v[169:170]
	v_mul_f64_e32 v[28:29], v[20:21], v[169:170]
	v_fma_f64 v[30:31], v[4:5], v[34:35], v[163:164]
	v_fma_f64 v[32:33], v[2:3], v[34:35], -v[36:37]
	v_add_f64_e32 v[22:23], v[22:23], v[14:15]
	v_add_f64_e32 v[24:25], v[24:25], v[16:17]
	ds_load_b128 v[2:5], v1 offset:1776
	ds_load_b128 v[14:17], v1 offset:1792
	v_fma_f64 v[20:21], v[20:21], v[167:168], v[26:27]
	v_fma_f64 v[18:19], v[18:19], v[167:168], -v[28:29]
	s_wait_loadcnt_dscnt 0x201
	v_mul_f64_e32 v[34:35], v[2:3], v[40:41]
	v_mul_f64_e32 v[36:37], v[4:5], v[40:41]
	s_wait_loadcnt_dscnt 0x100
	v_mul_f64_e32 v[26:27], v[14:15], v[8:9]
	v_mul_f64_e32 v[8:9], v[16:17], v[8:9]
	v_add_f64_e32 v[22:23], v[22:23], v[32:33]
	v_add_f64_e32 v[24:25], v[24:25], v[30:31]
	v_fma_f64 v[28:29], v[4:5], v[38:39], v[34:35]
	v_fma_f64 v[30:31], v[2:3], v[38:39], -v[36:37]
	ds_load_b128 v[2:5], v1 offset:1808
	v_fma_f64 v[16:17], v[16:17], v[6:7], v[26:27]
	v_fma_f64 v[6:7], v[14:15], v[6:7], -v[8:9]
	v_add_f64_e32 v[18:19], v[22:23], v[18:19]
	v_add_f64_e32 v[20:21], v[24:25], v[20:21]
	s_wait_loadcnt_dscnt 0x0
	v_mul_f64_e32 v[22:23], v[2:3], v[12:13]
	v_mul_f64_e32 v[12:13], v[4:5], v[12:13]
	s_delay_alu instid0(VALU_DEP_4) | instskip(NEXT) | instid1(VALU_DEP_4)
	v_add_f64_e32 v[8:9], v[18:19], v[30:31]
	v_add_f64_e32 v[14:15], v[20:21], v[28:29]
	s_delay_alu instid0(VALU_DEP_4) | instskip(NEXT) | instid1(VALU_DEP_4)
	v_fma_f64 v[4:5], v[4:5], v[10:11], v[22:23]
	v_fma_f64 v[2:3], v[2:3], v[10:11], -v[12:13]
	s_delay_alu instid0(VALU_DEP_4) | instskip(NEXT) | instid1(VALU_DEP_4)
	v_add_f64_e32 v[6:7], v[8:9], v[6:7]
	v_add_f64_e32 v[8:9], v[14:15], v[16:17]
	s_delay_alu instid0(VALU_DEP_2) | instskip(NEXT) | instid1(VALU_DEP_2)
	v_add_f64_e32 v[2:3], v[6:7], v[2:3]
	v_add_f64_e32 v[4:5], v[8:9], v[4:5]
	s_delay_alu instid0(VALU_DEP_2) | instskip(NEXT) | instid1(VALU_DEP_2)
	v_add_f64_e64 v[2:3], v[42:43], -v[2:3]
	v_add_f64_e64 v[4:5], v[44:45], -v[4:5]
	scratch_store_b128 off, v[2:5], off offset:224
	v_cmpx_lt_u32_e32 12, v0
	s_cbranch_execz .LBB56_331
; %bb.330:
	scratch_load_b128 v[5:8], off, s58
	v_dual_mov_b32 v2, v1 :: v_dual_mov_b32 v3, v1
	v_mov_b32_e32 v4, v1
	scratch_store_b128 off, v[1:4], off offset:208
	s_wait_loadcnt 0x0
	ds_store_b128 v160, v[5:8]
.LBB56_331:
	s_wait_alu 0xfffe
	s_or_b32 exec_lo, exec_lo, s0
	s_wait_storecnt_dscnt 0x0
	s_barrier_signal -1
	s_barrier_wait -1
	global_inv scope:SCOPE_SE
	s_clause 0x8
	scratch_load_b128 v[2:5], off, off offset:224
	scratch_load_b128 v[6:9], off, off offset:240
	;; [unrolled: 1-line block ×9, first 2 shown]
	ds_load_b128 v[42:45], v1 offset:1120
	ds_load_b128 v[38:41], v1 offset:1136
	s_clause 0x1
	scratch_load_b128 v[161:164], off, off offset:208
	scratch_load_b128 v[165:168], off, off offset:368
	s_mov_b32 s0, exec_lo
	s_wait_loadcnt_dscnt 0xa01
	v_mul_f64_e32 v[169:170], v[44:45], v[4:5]
	v_mul_f64_e32 v[4:5], v[42:43], v[4:5]
	s_wait_loadcnt_dscnt 0x900
	v_mul_f64_e32 v[173:174], v[38:39], v[8:9]
	v_mul_f64_e32 v[8:9], v[40:41], v[8:9]
	s_delay_alu instid0(VALU_DEP_4) | instskip(NEXT) | instid1(VALU_DEP_4)
	v_fma_f64 v[175:176], v[42:43], v[2:3], -v[169:170]
	v_fma_f64 v[177:178], v[44:45], v[2:3], v[4:5]
	ds_load_b128 v[2:5], v1 offset:1152
	ds_load_b128 v[169:172], v1 offset:1168
	scratch_load_b128 v[42:45], off, off offset:384
	v_fma_f64 v[40:41], v[40:41], v[6:7], v[173:174]
	v_fma_f64 v[38:39], v[38:39], v[6:7], -v[8:9]
	scratch_load_b128 v[6:9], off, off offset:400
	s_wait_loadcnt_dscnt 0xa01
	v_mul_f64_e32 v[179:180], v[2:3], v[12:13]
	v_mul_f64_e32 v[12:13], v[4:5], v[12:13]
	v_add_f64_e32 v[173:174], 0, v[175:176]
	v_add_f64_e32 v[175:176], 0, v[177:178]
	s_wait_loadcnt_dscnt 0x900
	v_mul_f64_e32 v[177:178], v[169:170], v[16:17]
	v_mul_f64_e32 v[16:17], v[171:172], v[16:17]
	v_fma_f64 v[179:180], v[4:5], v[10:11], v[179:180]
	v_fma_f64 v[181:182], v[2:3], v[10:11], -v[12:13]
	ds_load_b128 v[2:5], v1 offset:1184
	scratch_load_b128 v[10:13], off, off offset:416
	v_add_f64_e32 v[173:174], v[173:174], v[38:39]
	v_add_f64_e32 v[175:176], v[175:176], v[40:41]
	ds_load_b128 v[38:41], v1 offset:1200
	v_fma_f64 v[171:172], v[171:172], v[14:15], v[177:178]
	v_fma_f64 v[169:170], v[169:170], v[14:15], -v[16:17]
	scratch_load_b128 v[14:17], off, off offset:432
	s_wait_loadcnt_dscnt 0xa01
	v_mul_f64_e32 v[183:184], v[2:3], v[20:21]
	v_mul_f64_e32 v[20:21], v[4:5], v[20:21]
	s_wait_loadcnt_dscnt 0x900
	v_mul_f64_e32 v[177:178], v[38:39], v[24:25]
	v_mul_f64_e32 v[24:25], v[40:41], v[24:25]
	v_add_f64_e32 v[173:174], v[173:174], v[181:182]
	v_add_f64_e32 v[175:176], v[175:176], v[179:180]
	v_fma_f64 v[179:180], v[4:5], v[18:19], v[183:184]
	v_fma_f64 v[181:182], v[2:3], v[18:19], -v[20:21]
	ds_load_b128 v[2:5], v1 offset:1216
	scratch_load_b128 v[18:21], off, off offset:448
	v_fma_f64 v[40:41], v[40:41], v[22:23], v[177:178]
	v_fma_f64 v[38:39], v[38:39], v[22:23], -v[24:25]
	scratch_load_b128 v[22:25], off, off offset:464
	v_add_f64_e32 v[173:174], v[173:174], v[169:170]
	v_add_f64_e32 v[175:176], v[175:176], v[171:172]
	ds_load_b128 v[169:172], v1 offset:1232
	s_wait_loadcnt_dscnt 0xa01
	v_mul_f64_e32 v[183:184], v[2:3], v[28:29]
	v_mul_f64_e32 v[28:29], v[4:5], v[28:29]
	s_wait_loadcnt_dscnt 0x900
	v_mul_f64_e32 v[177:178], v[169:170], v[32:33]
	v_mul_f64_e32 v[32:33], v[171:172], v[32:33]
	v_add_f64_e32 v[173:174], v[173:174], v[181:182]
	v_add_f64_e32 v[175:176], v[175:176], v[179:180]
	v_fma_f64 v[179:180], v[4:5], v[26:27], v[183:184]
	v_fma_f64 v[181:182], v[2:3], v[26:27], -v[28:29]
	ds_load_b128 v[2:5], v1 offset:1248
	scratch_load_b128 v[26:29], off, off offset:480
	v_fma_f64 v[171:172], v[171:172], v[30:31], v[177:178]
	v_fma_f64 v[169:170], v[169:170], v[30:31], -v[32:33]
	scratch_load_b128 v[30:33], off, off offset:496
	v_add_f64_e32 v[173:174], v[173:174], v[38:39]
	v_add_f64_e32 v[175:176], v[175:176], v[40:41]
	ds_load_b128 v[38:41], v1 offset:1264
	s_wait_loadcnt_dscnt 0xa01
	v_mul_f64_e32 v[183:184], v[2:3], v[36:37]
	v_mul_f64_e32 v[36:37], v[4:5], v[36:37]
	s_wait_loadcnt_dscnt 0x800
	v_mul_f64_e32 v[177:178], v[38:39], v[167:168]
	v_add_f64_e32 v[173:174], v[173:174], v[181:182]
	v_add_f64_e32 v[175:176], v[175:176], v[179:180]
	v_mul_f64_e32 v[179:180], v[40:41], v[167:168]
	v_fma_f64 v[181:182], v[4:5], v[34:35], v[183:184]
	v_fma_f64 v[183:184], v[2:3], v[34:35], -v[36:37]
	ds_load_b128 v[2:5], v1 offset:1280
	scratch_load_b128 v[34:37], off, off offset:512
	v_fma_f64 v[177:178], v[40:41], v[165:166], v[177:178]
	v_add_f64_e32 v[173:174], v[173:174], v[169:170]
	v_add_f64_e32 v[171:172], v[175:176], v[171:172]
	ds_load_b128 v[167:170], v1 offset:1296
	v_fma_f64 v[165:166], v[38:39], v[165:166], -v[179:180]
	scratch_load_b128 v[38:41], off, off offset:528
	s_wait_loadcnt_dscnt 0x901
	v_mul_f64_e32 v[175:176], v[2:3], v[44:45]
	v_mul_f64_e32 v[44:45], v[4:5], v[44:45]
	s_wait_loadcnt_dscnt 0x800
	v_mul_f64_e32 v[179:180], v[167:168], v[8:9]
	v_mul_f64_e32 v[8:9], v[169:170], v[8:9]
	v_add_f64_e32 v[173:174], v[173:174], v[183:184]
	v_add_f64_e32 v[171:172], v[171:172], v[181:182]
	v_fma_f64 v[175:176], v[4:5], v[42:43], v[175:176]
	v_fma_f64 v[181:182], v[2:3], v[42:43], -v[44:45]
	ds_load_b128 v[2:5], v1 offset:1312
	scratch_load_b128 v[42:45], off, off offset:544
	v_fma_f64 v[169:170], v[169:170], v[6:7], v[179:180]
	v_fma_f64 v[167:168], v[167:168], v[6:7], -v[8:9]
	scratch_load_b128 v[6:9], off, off offset:560
	v_add_f64_e32 v[165:166], v[173:174], v[165:166]
	v_add_f64_e32 v[177:178], v[171:172], v[177:178]
	ds_load_b128 v[171:174], v1 offset:1328
	s_wait_loadcnt_dscnt 0x901
	v_mul_f64_e32 v[183:184], v[2:3], v[12:13]
	v_mul_f64_e32 v[12:13], v[4:5], v[12:13]
	v_add_f64_e32 v[165:166], v[165:166], v[181:182]
	v_add_f64_e32 v[175:176], v[177:178], v[175:176]
	s_wait_loadcnt_dscnt 0x800
	v_mul_f64_e32 v[177:178], v[171:172], v[16:17]
	v_mul_f64_e32 v[16:17], v[173:174], v[16:17]
	v_fma_f64 v[179:180], v[4:5], v[10:11], v[183:184]
	v_fma_f64 v[181:182], v[2:3], v[10:11], -v[12:13]
	ds_load_b128 v[2:5], v1 offset:1344
	scratch_load_b128 v[10:13], off, off offset:576
	v_add_f64_e32 v[183:184], v[165:166], v[167:168]
	v_add_f64_e32 v[169:170], v[175:176], v[169:170]
	ds_load_b128 v[165:168], v1 offset:1360
	s_wait_loadcnt_dscnt 0x801
	v_mul_f64_e32 v[175:176], v[2:3], v[20:21]
	v_mul_f64_e32 v[20:21], v[4:5], v[20:21]
	v_fma_f64 v[173:174], v[173:174], v[14:15], v[177:178]
	v_fma_f64 v[171:172], v[171:172], v[14:15], -v[16:17]
	scratch_load_b128 v[14:17], off, off offset:592
	v_add_f64_e32 v[177:178], v[183:184], v[181:182]
	v_add_f64_e32 v[169:170], v[169:170], v[179:180]
	s_wait_loadcnt_dscnt 0x800
	v_mul_f64_e32 v[179:180], v[165:166], v[24:25]
	v_mul_f64_e32 v[24:25], v[167:168], v[24:25]
	v_fma_f64 v[175:176], v[4:5], v[18:19], v[175:176]
	v_fma_f64 v[181:182], v[2:3], v[18:19], -v[20:21]
	ds_load_b128 v[2:5], v1 offset:1376
	scratch_load_b128 v[18:21], off, off offset:608
	v_add_f64_e32 v[177:178], v[177:178], v[171:172]
	v_add_f64_e32 v[173:174], v[169:170], v[173:174]
	ds_load_b128 v[169:172], v1 offset:1392
	s_wait_loadcnt_dscnt 0x801
	v_mul_f64_e32 v[183:184], v[2:3], v[28:29]
	v_mul_f64_e32 v[28:29], v[4:5], v[28:29]
	v_fma_f64 v[167:168], v[167:168], v[22:23], v[179:180]
	v_fma_f64 v[165:166], v[165:166], v[22:23], -v[24:25]
	scratch_load_b128 v[22:25], off, off offset:624
	;; [unrolled: 18-line block ×4, first 2 shown]
	s_wait_loadcnt_dscnt 0x800
	v_mul_f64_e32 v[177:178], v[169:170], v[8:9]
	v_mul_f64_e32 v[8:9], v[171:172], v[8:9]
	v_add_f64_e32 v[175:176], v[175:176], v[181:182]
	v_add_f64_e32 v[173:174], v[173:174], v[179:180]
	v_fma_f64 v[179:180], v[4:5], v[42:43], v[183:184]
	v_fma_f64 v[181:182], v[2:3], v[42:43], -v[44:45]
	ds_load_b128 v[2:5], v1 offset:1472
	scratch_load_b128 v[42:45], off, off offset:704
	v_fma_f64 v[171:172], v[171:172], v[6:7], v[177:178]
	v_fma_f64 v[169:170], v[169:170], v[6:7], -v[8:9]
	scratch_load_b128 v[6:9], off, off offset:720
	v_add_f64_e32 v[175:176], v[175:176], v[165:166]
	v_add_f64_e32 v[173:174], v[173:174], v[167:168]
	ds_load_b128 v[165:168], v1 offset:1488
	s_wait_loadcnt_dscnt 0x901
	v_mul_f64_e32 v[183:184], v[2:3], v[12:13]
	v_mul_f64_e32 v[12:13], v[4:5], v[12:13]
	s_wait_loadcnt_dscnt 0x800
	v_mul_f64_e32 v[177:178], v[165:166], v[16:17]
	v_mul_f64_e32 v[16:17], v[167:168], v[16:17]
	v_add_f64_e32 v[175:176], v[175:176], v[181:182]
	v_add_f64_e32 v[173:174], v[173:174], v[179:180]
	v_fma_f64 v[179:180], v[4:5], v[10:11], v[183:184]
	v_fma_f64 v[181:182], v[2:3], v[10:11], -v[12:13]
	ds_load_b128 v[2:5], v1 offset:1504
	scratch_load_b128 v[10:13], off, off offset:736
	v_fma_f64 v[167:168], v[167:168], v[14:15], v[177:178]
	v_fma_f64 v[165:166], v[165:166], v[14:15], -v[16:17]
	scratch_load_b128 v[14:17], off, off offset:752
	v_add_f64_e32 v[175:176], v[175:176], v[169:170]
	v_add_f64_e32 v[173:174], v[173:174], v[171:172]
	ds_load_b128 v[169:172], v1 offset:1520
	s_wait_loadcnt_dscnt 0x901
	v_mul_f64_e32 v[183:184], v[2:3], v[20:21]
	v_mul_f64_e32 v[20:21], v[4:5], v[20:21]
	;; [unrolled: 18-line block ×7, first 2 shown]
	s_wait_loadcnt_dscnt 0x800
	v_mul_f64_e32 v[177:178], v[165:166], v[24:25]
	v_mul_f64_e32 v[24:25], v[167:168], v[24:25]
	v_add_f64_e32 v[175:176], v[175:176], v[181:182]
	v_add_f64_e32 v[173:174], v[173:174], v[179:180]
	v_fma_f64 v[179:180], v[4:5], v[18:19], v[183:184]
	v_fma_f64 v[181:182], v[2:3], v[18:19], -v[20:21]
	ds_load_b128 v[2:5], v1 offset:1696
	ds_load_b128 v[18:21], v1 offset:1712
	v_fma_f64 v[167:168], v[167:168], v[22:23], v[177:178]
	v_fma_f64 v[22:23], v[165:166], v[22:23], -v[24:25]
	v_add_f64_e32 v[169:170], v[175:176], v[169:170]
	v_add_f64_e32 v[171:172], v[173:174], v[171:172]
	s_wait_loadcnt_dscnt 0x701
	v_mul_f64_e32 v[173:174], v[2:3], v[28:29]
	v_mul_f64_e32 v[28:29], v[4:5], v[28:29]
	s_delay_alu instid0(VALU_DEP_4) | instskip(NEXT) | instid1(VALU_DEP_4)
	v_add_f64_e32 v[24:25], v[169:170], v[181:182]
	v_add_f64_e32 v[165:166], v[171:172], v[179:180]
	s_wait_loadcnt_dscnt 0x600
	v_mul_f64_e32 v[169:170], v[18:19], v[32:33]
	v_mul_f64_e32 v[32:33], v[20:21], v[32:33]
	v_fma_f64 v[171:172], v[4:5], v[26:27], v[173:174]
	v_fma_f64 v[26:27], v[2:3], v[26:27], -v[28:29]
	v_add_f64_e32 v[28:29], v[24:25], v[22:23]
	v_add_f64_e32 v[165:166], v[165:166], v[167:168]
	ds_load_b128 v[2:5], v1 offset:1728
	ds_load_b128 v[22:25], v1 offset:1744
	v_fma_f64 v[20:21], v[20:21], v[30:31], v[169:170]
	v_fma_f64 v[18:19], v[18:19], v[30:31], -v[32:33]
	s_wait_loadcnt_dscnt 0x501
	v_mul_f64_e32 v[167:168], v[2:3], v[36:37]
	v_mul_f64_e32 v[36:37], v[4:5], v[36:37]
	s_wait_loadcnt_dscnt 0x400
	v_mul_f64_e32 v[30:31], v[22:23], v[40:41]
	v_mul_f64_e32 v[32:33], v[24:25], v[40:41]
	v_add_f64_e32 v[26:27], v[28:29], v[26:27]
	v_add_f64_e32 v[28:29], v[165:166], v[171:172]
	v_fma_f64 v[40:41], v[4:5], v[34:35], v[167:168]
	v_fma_f64 v[34:35], v[2:3], v[34:35], -v[36:37]
	v_fma_f64 v[24:25], v[24:25], v[38:39], v[30:31]
	v_fma_f64 v[22:23], v[22:23], v[38:39], -v[32:33]
	v_add_f64_e32 v[26:27], v[26:27], v[18:19]
	v_add_f64_e32 v[28:29], v[28:29], v[20:21]
	ds_load_b128 v[2:5], v1 offset:1760
	ds_load_b128 v[18:21], v1 offset:1776
	s_wait_loadcnt_dscnt 0x301
	v_mul_f64_e32 v[36:37], v[2:3], v[44:45]
	v_mul_f64_e32 v[44:45], v[4:5], v[44:45]
	s_wait_loadcnt_dscnt 0x200
	v_mul_f64_e32 v[30:31], v[18:19], v[8:9]
	v_mul_f64_e32 v[8:9], v[20:21], v[8:9]
	v_add_f64_e32 v[26:27], v[26:27], v[34:35]
	v_add_f64_e32 v[28:29], v[28:29], v[40:41]
	v_fma_f64 v[32:33], v[4:5], v[42:43], v[36:37]
	v_fma_f64 v[34:35], v[2:3], v[42:43], -v[44:45]
	v_fma_f64 v[20:21], v[20:21], v[6:7], v[30:31]
	v_fma_f64 v[6:7], v[18:19], v[6:7], -v[8:9]
	v_add_f64_e32 v[26:27], v[26:27], v[22:23]
	v_add_f64_e32 v[28:29], v[28:29], v[24:25]
	ds_load_b128 v[2:5], v1 offset:1792
	ds_load_b128 v[22:25], v1 offset:1808
	s_wait_loadcnt_dscnt 0x101
	v_mul_f64_e32 v[36:37], v[2:3], v[12:13]
	v_mul_f64_e32 v[12:13], v[4:5], v[12:13]
	v_add_f64_e32 v[8:9], v[26:27], v[34:35]
	v_add_f64_e32 v[18:19], v[28:29], v[32:33]
	s_wait_loadcnt_dscnt 0x0
	v_mul_f64_e32 v[26:27], v[22:23], v[16:17]
	v_mul_f64_e32 v[16:17], v[24:25], v[16:17]
	v_fma_f64 v[4:5], v[4:5], v[10:11], v[36:37]
	v_fma_f64 v[1:2], v[2:3], v[10:11], -v[12:13]
	v_add_f64_e32 v[6:7], v[8:9], v[6:7]
	v_add_f64_e32 v[8:9], v[18:19], v[20:21]
	v_fma_f64 v[10:11], v[24:25], v[14:15], v[26:27]
	v_fma_f64 v[12:13], v[22:23], v[14:15], -v[16:17]
	s_delay_alu instid0(VALU_DEP_4) | instskip(NEXT) | instid1(VALU_DEP_4)
	v_add_f64_e32 v[1:2], v[6:7], v[1:2]
	v_add_f64_e32 v[3:4], v[8:9], v[4:5]
	s_delay_alu instid0(VALU_DEP_2) | instskip(NEXT) | instid1(VALU_DEP_2)
	v_add_f64_e32 v[1:2], v[1:2], v[12:13]
	v_add_f64_e32 v[3:4], v[3:4], v[10:11]
	s_delay_alu instid0(VALU_DEP_2) | instskip(NEXT) | instid1(VALU_DEP_2)
	v_add_f64_e64 v[1:2], v[161:162], -v[1:2]
	v_add_f64_e64 v[3:4], v[163:164], -v[3:4]
	scratch_store_b128 off, v[1:4], off offset:208
	v_cmpx_lt_u32_e32 11, v0
	s_cbranch_execz .LBB56_333
; %bb.332:
	scratch_load_b128 v[1:4], off, s59
	v_mov_b32_e32 v5, 0
	s_delay_alu instid0(VALU_DEP_1)
	v_dual_mov_b32 v6, v5 :: v_dual_mov_b32 v7, v5
	v_mov_b32_e32 v8, v5
	scratch_store_b128 off, v[5:8], off offset:192
	s_wait_loadcnt 0x0
	ds_store_b128 v160, v[1:4]
.LBB56_333:
	s_wait_alu 0xfffe
	s_or_b32 exec_lo, exec_lo, s0
	s_wait_storecnt_dscnt 0x0
	s_barrier_signal -1
	s_barrier_wait -1
	global_inv scope:SCOPE_SE
	s_clause 0x7
	scratch_load_b128 v[2:5], off, off offset:208
	scratch_load_b128 v[6:9], off, off offset:224
	;; [unrolled: 1-line block ×8, first 2 shown]
	v_mov_b32_e32 v1, 0
	s_mov_b32 s0, exec_lo
	ds_load_b128 v[38:41], v1 offset:1104
	s_clause 0x1
	scratch_load_b128 v[34:37], off, off offset:336
	scratch_load_b128 v[42:45], off, off offset:192
	ds_load_b128 v[161:164], v1 offset:1120
	scratch_load_b128 v[165:168], off, off offset:352
	s_wait_loadcnt_dscnt 0xa01
	v_mul_f64_e32 v[169:170], v[40:41], v[4:5]
	v_mul_f64_e32 v[4:5], v[38:39], v[4:5]
	s_delay_alu instid0(VALU_DEP_2) | instskip(NEXT) | instid1(VALU_DEP_2)
	v_fma_f64 v[175:176], v[38:39], v[2:3], -v[169:170]
	v_fma_f64 v[177:178], v[40:41], v[2:3], v[4:5]
	ds_load_b128 v[2:5], v1 offset:1136
	s_wait_loadcnt_dscnt 0x901
	v_mul_f64_e32 v[173:174], v[161:162], v[8:9]
	v_mul_f64_e32 v[8:9], v[163:164], v[8:9]
	scratch_load_b128 v[38:41], off, off offset:368
	ds_load_b128 v[169:172], v1 offset:1152
	s_wait_loadcnt_dscnt 0x901
	v_mul_f64_e32 v[179:180], v[2:3], v[12:13]
	v_mul_f64_e32 v[12:13], v[4:5], v[12:13]
	v_fma_f64 v[163:164], v[163:164], v[6:7], v[173:174]
	v_fma_f64 v[161:162], v[161:162], v[6:7], -v[8:9]
	v_add_f64_e32 v[173:174], 0, v[175:176]
	v_add_f64_e32 v[175:176], 0, v[177:178]
	scratch_load_b128 v[6:9], off, off offset:384
	v_fma_f64 v[179:180], v[4:5], v[10:11], v[179:180]
	v_fma_f64 v[181:182], v[2:3], v[10:11], -v[12:13]
	ds_load_b128 v[2:5], v1 offset:1168
	s_wait_loadcnt_dscnt 0x901
	v_mul_f64_e32 v[177:178], v[169:170], v[16:17]
	v_mul_f64_e32 v[16:17], v[171:172], v[16:17]
	scratch_load_b128 v[10:13], off, off offset:400
	v_add_f64_e32 v[173:174], v[173:174], v[161:162]
	v_add_f64_e32 v[175:176], v[175:176], v[163:164]
	s_wait_loadcnt_dscnt 0x900
	v_mul_f64_e32 v[183:184], v[2:3], v[20:21]
	v_mul_f64_e32 v[20:21], v[4:5], v[20:21]
	ds_load_b128 v[161:164], v1 offset:1184
	v_fma_f64 v[171:172], v[171:172], v[14:15], v[177:178]
	v_fma_f64 v[169:170], v[169:170], v[14:15], -v[16:17]
	scratch_load_b128 v[14:17], off, off offset:416
	v_add_f64_e32 v[173:174], v[173:174], v[181:182]
	v_add_f64_e32 v[175:176], v[175:176], v[179:180]
	v_fma_f64 v[179:180], v[4:5], v[18:19], v[183:184]
	v_fma_f64 v[181:182], v[2:3], v[18:19], -v[20:21]
	ds_load_b128 v[2:5], v1 offset:1200
	s_wait_loadcnt_dscnt 0x901
	v_mul_f64_e32 v[177:178], v[161:162], v[24:25]
	v_mul_f64_e32 v[24:25], v[163:164], v[24:25]
	scratch_load_b128 v[18:21], off, off offset:432
	s_wait_loadcnt_dscnt 0x900
	v_mul_f64_e32 v[183:184], v[2:3], v[28:29]
	v_mul_f64_e32 v[28:29], v[4:5], v[28:29]
	v_add_f64_e32 v[173:174], v[173:174], v[169:170]
	v_add_f64_e32 v[175:176], v[175:176], v[171:172]
	ds_load_b128 v[169:172], v1 offset:1216
	v_fma_f64 v[163:164], v[163:164], v[22:23], v[177:178]
	v_fma_f64 v[161:162], v[161:162], v[22:23], -v[24:25]
	scratch_load_b128 v[22:25], off, off offset:448
	v_add_f64_e32 v[173:174], v[173:174], v[181:182]
	v_add_f64_e32 v[175:176], v[175:176], v[179:180]
	v_fma_f64 v[179:180], v[4:5], v[26:27], v[183:184]
	v_fma_f64 v[181:182], v[2:3], v[26:27], -v[28:29]
	ds_load_b128 v[2:5], v1 offset:1232
	s_wait_loadcnt_dscnt 0x901
	v_mul_f64_e32 v[177:178], v[169:170], v[32:33]
	v_mul_f64_e32 v[32:33], v[171:172], v[32:33]
	scratch_load_b128 v[26:29], off, off offset:464
	s_wait_loadcnt_dscnt 0x900
	v_mul_f64_e32 v[183:184], v[2:3], v[36:37]
	v_mul_f64_e32 v[36:37], v[4:5], v[36:37]
	v_add_f64_e32 v[173:174], v[173:174], v[161:162]
	v_add_f64_e32 v[175:176], v[175:176], v[163:164]
	ds_load_b128 v[161:164], v1 offset:1248
	v_fma_f64 v[171:172], v[171:172], v[30:31], v[177:178]
	v_fma_f64 v[169:170], v[169:170], v[30:31], -v[32:33]
	scratch_load_b128 v[30:33], off, off offset:480
	v_add_f64_e32 v[173:174], v[173:174], v[181:182]
	v_add_f64_e32 v[175:176], v[175:176], v[179:180]
	v_fma_f64 v[181:182], v[4:5], v[34:35], v[183:184]
	v_fma_f64 v[183:184], v[2:3], v[34:35], -v[36:37]
	ds_load_b128 v[2:5], v1 offset:1264
	s_wait_loadcnt_dscnt 0x801
	v_mul_f64_e32 v[177:178], v[161:162], v[167:168]
	v_mul_f64_e32 v[179:180], v[163:164], v[167:168]
	scratch_load_b128 v[34:37], off, off offset:496
	v_add_f64_e32 v[173:174], v[173:174], v[169:170]
	v_add_f64_e32 v[171:172], v[175:176], v[171:172]
	ds_load_b128 v[167:170], v1 offset:1280
	v_fma_f64 v[177:178], v[163:164], v[165:166], v[177:178]
	v_fma_f64 v[165:166], v[161:162], v[165:166], -v[179:180]
	scratch_load_b128 v[161:164], off, off offset:512
	s_wait_loadcnt_dscnt 0x901
	v_mul_f64_e32 v[175:176], v[2:3], v[40:41]
	v_mul_f64_e32 v[40:41], v[4:5], v[40:41]
	v_add_f64_e32 v[173:174], v[173:174], v[183:184]
	v_add_f64_e32 v[171:172], v[171:172], v[181:182]
	s_delay_alu instid0(VALU_DEP_4) | instskip(NEXT) | instid1(VALU_DEP_4)
	v_fma_f64 v[175:176], v[4:5], v[38:39], v[175:176]
	v_fma_f64 v[181:182], v[2:3], v[38:39], -v[40:41]
	ds_load_b128 v[2:5], v1 offset:1296
	s_wait_loadcnt_dscnt 0x801
	v_mul_f64_e32 v[179:180], v[167:168], v[8:9]
	v_mul_f64_e32 v[8:9], v[169:170], v[8:9]
	scratch_load_b128 v[38:41], off, off offset:528
	s_wait_loadcnt_dscnt 0x800
	v_mul_f64_e32 v[183:184], v[2:3], v[12:13]
	v_add_f64_e32 v[165:166], v[173:174], v[165:166]
	v_add_f64_e32 v[177:178], v[171:172], v[177:178]
	v_mul_f64_e32 v[12:13], v[4:5], v[12:13]
	ds_load_b128 v[171:174], v1 offset:1312
	v_fma_f64 v[169:170], v[169:170], v[6:7], v[179:180]
	v_fma_f64 v[167:168], v[167:168], v[6:7], -v[8:9]
	scratch_load_b128 v[6:9], off, off offset:544
	v_fma_f64 v[179:180], v[4:5], v[10:11], v[183:184]
	v_add_f64_e32 v[165:166], v[165:166], v[181:182]
	v_add_f64_e32 v[175:176], v[177:178], v[175:176]
	v_fma_f64 v[181:182], v[2:3], v[10:11], -v[12:13]
	ds_load_b128 v[2:5], v1 offset:1328
	s_wait_loadcnt_dscnt 0x801
	v_mul_f64_e32 v[177:178], v[171:172], v[16:17]
	v_mul_f64_e32 v[16:17], v[173:174], v[16:17]
	scratch_load_b128 v[10:13], off, off offset:560
	v_add_f64_e32 v[183:184], v[165:166], v[167:168]
	v_add_f64_e32 v[169:170], v[175:176], v[169:170]
	s_wait_loadcnt_dscnt 0x800
	v_mul_f64_e32 v[175:176], v[2:3], v[20:21]
	v_mul_f64_e32 v[20:21], v[4:5], v[20:21]
	v_fma_f64 v[173:174], v[173:174], v[14:15], v[177:178]
	v_fma_f64 v[171:172], v[171:172], v[14:15], -v[16:17]
	ds_load_b128 v[165:168], v1 offset:1344
	scratch_load_b128 v[14:17], off, off offset:576
	v_add_f64_e32 v[177:178], v[183:184], v[181:182]
	v_add_f64_e32 v[169:170], v[169:170], v[179:180]
	v_fma_f64 v[175:176], v[4:5], v[18:19], v[175:176]
	v_fma_f64 v[181:182], v[2:3], v[18:19], -v[20:21]
	ds_load_b128 v[2:5], v1 offset:1360
	s_wait_loadcnt_dscnt 0x801
	v_mul_f64_e32 v[179:180], v[165:166], v[24:25]
	v_mul_f64_e32 v[24:25], v[167:168], v[24:25]
	scratch_load_b128 v[18:21], off, off offset:592
	s_wait_loadcnt_dscnt 0x800
	v_mul_f64_e32 v[183:184], v[2:3], v[28:29]
	v_mul_f64_e32 v[28:29], v[4:5], v[28:29]
	v_add_f64_e32 v[177:178], v[177:178], v[171:172]
	v_add_f64_e32 v[173:174], v[169:170], v[173:174]
	ds_load_b128 v[169:172], v1 offset:1376
	v_fma_f64 v[167:168], v[167:168], v[22:23], v[179:180]
	v_fma_f64 v[165:166], v[165:166], v[22:23], -v[24:25]
	scratch_load_b128 v[22:25], off, off offset:608
	v_fma_f64 v[179:180], v[4:5], v[26:27], v[183:184]
	v_add_f64_e32 v[177:178], v[177:178], v[181:182]
	v_add_f64_e32 v[173:174], v[173:174], v[175:176]
	v_fma_f64 v[181:182], v[2:3], v[26:27], -v[28:29]
	ds_load_b128 v[2:5], v1 offset:1392
	s_wait_loadcnt_dscnt 0x801
	v_mul_f64_e32 v[175:176], v[169:170], v[32:33]
	v_mul_f64_e32 v[32:33], v[171:172], v[32:33]
	scratch_load_b128 v[26:29], off, off offset:624
	s_wait_loadcnt_dscnt 0x800
	v_mul_f64_e32 v[183:184], v[2:3], v[36:37]
	v_mul_f64_e32 v[36:37], v[4:5], v[36:37]
	v_add_f64_e32 v[177:178], v[177:178], v[165:166]
	v_add_f64_e32 v[173:174], v[173:174], v[167:168]
	ds_load_b128 v[165:168], v1 offset:1408
	v_fma_f64 v[171:172], v[171:172], v[30:31], v[175:176]
	v_fma_f64 v[169:170], v[169:170], v[30:31], -v[32:33]
	scratch_load_b128 v[30:33], off, off offset:640
	v_add_f64_e32 v[175:176], v[177:178], v[181:182]
	v_add_f64_e32 v[173:174], v[173:174], v[179:180]
	v_fma_f64 v[179:180], v[4:5], v[34:35], v[183:184]
	v_fma_f64 v[181:182], v[2:3], v[34:35], -v[36:37]
	ds_load_b128 v[2:5], v1 offset:1424
	s_wait_loadcnt_dscnt 0x801
	v_mul_f64_e32 v[177:178], v[165:166], v[163:164]
	v_mul_f64_e32 v[163:164], v[167:168], v[163:164]
	scratch_load_b128 v[34:37], off, off offset:656
	s_wait_loadcnt_dscnt 0x800
	v_mul_f64_e32 v[183:184], v[2:3], v[40:41]
	v_mul_f64_e32 v[40:41], v[4:5], v[40:41]
	v_add_f64_e32 v[175:176], v[175:176], v[169:170]
	v_add_f64_e32 v[173:174], v[173:174], v[171:172]
	ds_load_b128 v[169:172], v1 offset:1440
	v_fma_f64 v[167:168], v[167:168], v[161:162], v[177:178]
	v_fma_f64 v[165:166], v[165:166], v[161:162], -v[163:164]
	scratch_load_b128 v[161:164], off, off offset:672
	v_add_f64_e32 v[175:176], v[175:176], v[181:182]
	v_add_f64_e32 v[173:174], v[173:174], v[179:180]
	v_fma_f64 v[179:180], v[4:5], v[38:39], v[183:184]
	;; [unrolled: 18-line block ×6, first 2 shown]
	v_fma_f64 v[183:184], v[2:3], v[34:35], -v[36:37]
	ds_load_b128 v[2:5], v1 offset:1584
	s_wait_loadcnt_dscnt 0x801
	v_mul_f64_e32 v[177:178], v[169:170], v[163:164]
	v_mul_f64_e32 v[179:180], v[171:172], v[163:164]
	scratch_load_b128 v[34:37], off, off offset:816
	v_add_f64_e32 v[175:176], v[175:176], v[165:166]
	v_add_f64_e32 v[167:168], v[173:174], v[167:168]
	s_wait_loadcnt_dscnt 0x800
	v_mul_f64_e32 v[173:174], v[2:3], v[40:41]
	v_mul_f64_e32 v[40:41], v[4:5], v[40:41]
	ds_load_b128 v[163:166], v1 offset:1600
	v_fma_f64 v[171:172], v[171:172], v[161:162], v[177:178]
	v_fma_f64 v[161:162], v[169:170], v[161:162], -v[179:180]
	v_add_f64_e32 v[175:176], v[175:176], v[183:184]
	v_add_f64_e32 v[177:178], v[167:168], v[181:182]
	scratch_load_b128 v[167:170], off, off offset:832
	v_fma_f64 v[181:182], v[4:5], v[38:39], v[173:174]
	v_fma_f64 v[183:184], v[2:3], v[38:39], -v[40:41]
	ds_load_b128 v[2:5], v1 offset:1616
	s_wait_loadcnt_dscnt 0x801
	v_mul_f64_e32 v[179:180], v[163:164], v[8:9]
	v_mul_f64_e32 v[8:9], v[165:166], v[8:9]
	scratch_load_b128 v[38:41], off, off offset:848
	v_add_f64_e32 v[161:162], v[175:176], v[161:162]
	v_add_f64_e32 v[175:176], v[177:178], v[171:172]
	s_wait_loadcnt_dscnt 0x800
	v_mul_f64_e32 v[177:178], v[2:3], v[12:13]
	v_mul_f64_e32 v[12:13], v[4:5], v[12:13]
	ds_load_b128 v[171:174], v1 offset:1632
	v_fma_f64 v[165:166], v[165:166], v[6:7], v[179:180]
	v_fma_f64 v[163:164], v[163:164], v[6:7], -v[8:9]
	scratch_load_b128 v[6:9], off, off offset:864
	v_add_f64_e32 v[161:162], v[161:162], v[183:184]
	v_add_f64_e32 v[175:176], v[175:176], v[181:182]
	v_fma_f64 v[177:178], v[4:5], v[10:11], v[177:178]
	v_fma_f64 v[181:182], v[2:3], v[10:11], -v[12:13]
	ds_load_b128 v[2:5], v1 offset:1648
	s_wait_loadcnt_dscnt 0x801
	v_mul_f64_e32 v[179:180], v[171:172], v[16:17]
	v_mul_f64_e32 v[16:17], v[173:174], v[16:17]
	scratch_load_b128 v[10:13], off, off offset:880
	v_add_f64_e32 v[183:184], v[161:162], v[163:164]
	v_add_f64_e32 v[165:166], v[175:176], v[165:166]
	s_wait_loadcnt_dscnt 0x800
	v_mul_f64_e32 v[175:176], v[2:3], v[20:21]
	v_mul_f64_e32 v[20:21], v[4:5], v[20:21]
	ds_load_b128 v[161:164], v1 offset:1664
	v_fma_f64 v[173:174], v[173:174], v[14:15], v[179:180]
	v_fma_f64 v[171:172], v[171:172], v[14:15], -v[16:17]
	scratch_load_b128 v[14:17], off, off offset:896
	v_add_f64_e32 v[179:180], v[183:184], v[181:182]
	v_add_f64_e32 v[165:166], v[165:166], v[177:178]
	v_fma_f64 v[175:176], v[4:5], v[18:19], v[175:176]
	v_fma_f64 v[181:182], v[2:3], v[18:19], -v[20:21]
	ds_load_b128 v[2:5], v1 offset:1680
	s_wait_loadcnt_dscnt 0x801
	v_mul_f64_e32 v[177:178], v[161:162], v[24:25]
	v_mul_f64_e32 v[24:25], v[163:164], v[24:25]
	scratch_load_b128 v[18:21], off, off offset:912
	s_wait_loadcnt_dscnt 0x800
	v_mul_f64_e32 v[183:184], v[2:3], v[28:29]
	v_mul_f64_e32 v[28:29], v[4:5], v[28:29]
	v_add_f64_e32 v[179:180], v[179:180], v[171:172]
	v_add_f64_e32 v[165:166], v[165:166], v[173:174]
	ds_load_b128 v[171:174], v1 offset:1696
	v_fma_f64 v[163:164], v[163:164], v[22:23], v[177:178]
	v_fma_f64 v[22:23], v[161:162], v[22:23], -v[24:25]
	v_add_f64_e32 v[24:25], v[179:180], v[181:182]
	v_add_f64_e32 v[161:162], v[165:166], v[175:176]
	s_wait_loadcnt_dscnt 0x700
	v_mul_f64_e32 v[165:166], v[171:172], v[32:33]
	v_mul_f64_e32 v[32:33], v[173:174], v[32:33]
	v_fma_f64 v[175:176], v[4:5], v[26:27], v[183:184]
	v_fma_f64 v[26:27], v[2:3], v[26:27], -v[28:29]
	v_add_f64_e32 v[28:29], v[24:25], v[22:23]
	v_add_f64_e32 v[161:162], v[161:162], v[163:164]
	ds_load_b128 v[2:5], v1 offset:1712
	ds_load_b128 v[22:25], v1 offset:1728
	v_fma_f64 v[165:166], v[173:174], v[30:31], v[165:166]
	v_fma_f64 v[30:31], v[171:172], v[30:31], -v[32:33]
	s_wait_loadcnt_dscnt 0x601
	v_mul_f64_e32 v[163:164], v[2:3], v[36:37]
	v_mul_f64_e32 v[36:37], v[4:5], v[36:37]
	v_add_f64_e32 v[26:27], v[28:29], v[26:27]
	v_add_f64_e32 v[28:29], v[161:162], v[175:176]
	s_wait_loadcnt_dscnt 0x500
	v_mul_f64_e32 v[32:33], v[22:23], v[169:170]
	v_mul_f64_e32 v[161:162], v[24:25], v[169:170]
	v_fma_f64 v[163:164], v[4:5], v[34:35], v[163:164]
	v_fma_f64 v[34:35], v[2:3], v[34:35], -v[36:37]
	v_add_f64_e32 v[30:31], v[26:27], v[30:31]
	v_add_f64_e32 v[36:37], v[28:29], v[165:166]
	ds_load_b128 v[2:5], v1 offset:1744
	ds_load_b128 v[26:29], v1 offset:1760
	v_fma_f64 v[24:25], v[24:25], v[167:168], v[32:33]
	v_fma_f64 v[22:23], v[22:23], v[167:168], -v[161:162]
	s_wait_loadcnt_dscnt 0x401
	v_mul_f64_e32 v[165:166], v[2:3], v[40:41]
	v_mul_f64_e32 v[40:41], v[4:5], v[40:41]
	;; [unrolled: 16-line block ×3, first 2 shown]
	v_add_f64_e32 v[8:9], v[30:31], v[38:39]
	v_add_f64_e32 v[26:27], v[32:33], v[36:37]
	s_wait_loadcnt_dscnt 0x100
	v_mul_f64_e32 v[30:31], v[22:23], v[16:17]
	v_mul_f64_e32 v[16:17], v[24:25], v[16:17]
	v_fma_f64 v[32:33], v[4:5], v[10:11], v[40:41]
	v_fma_f64 v[10:11], v[2:3], v[10:11], -v[12:13]
	ds_load_b128 v[2:5], v1 offset:1808
	v_add_f64_e32 v[6:7], v[8:9], v[6:7]
	v_add_f64_e32 v[8:9], v[26:27], v[28:29]
	v_fma_f64 v[24:25], v[24:25], v[14:15], v[30:31]
	v_fma_f64 v[14:15], v[22:23], v[14:15], -v[16:17]
	s_wait_loadcnt_dscnt 0x0
	v_mul_f64_e32 v[12:13], v[2:3], v[20:21]
	v_mul_f64_e32 v[20:21], v[4:5], v[20:21]
	v_add_f64_e32 v[6:7], v[6:7], v[10:11]
	v_add_f64_e32 v[8:9], v[8:9], v[32:33]
	s_delay_alu instid0(VALU_DEP_4) | instskip(NEXT) | instid1(VALU_DEP_4)
	v_fma_f64 v[4:5], v[4:5], v[18:19], v[12:13]
	v_fma_f64 v[2:3], v[2:3], v[18:19], -v[20:21]
	s_delay_alu instid0(VALU_DEP_4) | instskip(NEXT) | instid1(VALU_DEP_4)
	v_add_f64_e32 v[6:7], v[6:7], v[14:15]
	v_add_f64_e32 v[8:9], v[8:9], v[24:25]
	s_delay_alu instid0(VALU_DEP_2) | instskip(NEXT) | instid1(VALU_DEP_2)
	v_add_f64_e32 v[2:3], v[6:7], v[2:3]
	v_add_f64_e32 v[4:5], v[8:9], v[4:5]
	s_delay_alu instid0(VALU_DEP_2) | instskip(NEXT) | instid1(VALU_DEP_2)
	v_add_f64_e64 v[2:3], v[42:43], -v[2:3]
	v_add_f64_e64 v[4:5], v[44:45], -v[4:5]
	scratch_store_b128 off, v[2:5], off offset:192
	v_cmpx_lt_u32_e32 10, v0
	s_cbranch_execz .LBB56_335
; %bb.334:
	scratch_load_b128 v[5:8], off, s60
	v_dual_mov_b32 v2, v1 :: v_dual_mov_b32 v3, v1
	v_mov_b32_e32 v4, v1
	scratch_store_b128 off, v[1:4], off offset:176
	s_wait_loadcnt 0x0
	ds_store_b128 v160, v[5:8]
.LBB56_335:
	s_wait_alu 0xfffe
	s_or_b32 exec_lo, exec_lo, s0
	s_wait_storecnt_dscnt 0x0
	s_barrier_signal -1
	s_barrier_wait -1
	global_inv scope:SCOPE_SE
	s_clause 0x8
	scratch_load_b128 v[2:5], off, off offset:192
	scratch_load_b128 v[6:9], off, off offset:208
	;; [unrolled: 1-line block ×9, first 2 shown]
	ds_load_b128 v[42:45], v1 offset:1088
	ds_load_b128 v[38:41], v1 offset:1104
	s_clause 0x1
	scratch_load_b128 v[161:164], off, off offset:176
	scratch_load_b128 v[165:168], off, off offset:336
	s_mov_b32 s0, exec_lo
	s_wait_loadcnt_dscnt 0xa01
	v_mul_f64_e32 v[169:170], v[44:45], v[4:5]
	v_mul_f64_e32 v[4:5], v[42:43], v[4:5]
	s_wait_loadcnt_dscnt 0x900
	v_mul_f64_e32 v[173:174], v[38:39], v[8:9]
	v_mul_f64_e32 v[8:9], v[40:41], v[8:9]
	s_delay_alu instid0(VALU_DEP_4) | instskip(NEXT) | instid1(VALU_DEP_4)
	v_fma_f64 v[175:176], v[42:43], v[2:3], -v[169:170]
	v_fma_f64 v[177:178], v[44:45], v[2:3], v[4:5]
	ds_load_b128 v[2:5], v1 offset:1120
	ds_load_b128 v[169:172], v1 offset:1136
	scratch_load_b128 v[42:45], off, off offset:352
	v_fma_f64 v[40:41], v[40:41], v[6:7], v[173:174]
	v_fma_f64 v[38:39], v[38:39], v[6:7], -v[8:9]
	scratch_load_b128 v[6:9], off, off offset:368
	s_wait_loadcnt_dscnt 0xa01
	v_mul_f64_e32 v[179:180], v[2:3], v[12:13]
	v_mul_f64_e32 v[12:13], v[4:5], v[12:13]
	v_add_f64_e32 v[173:174], 0, v[175:176]
	v_add_f64_e32 v[175:176], 0, v[177:178]
	s_wait_loadcnt_dscnt 0x900
	v_mul_f64_e32 v[177:178], v[169:170], v[16:17]
	v_mul_f64_e32 v[16:17], v[171:172], v[16:17]
	v_fma_f64 v[179:180], v[4:5], v[10:11], v[179:180]
	v_fma_f64 v[181:182], v[2:3], v[10:11], -v[12:13]
	ds_load_b128 v[2:5], v1 offset:1152
	scratch_load_b128 v[10:13], off, off offset:384
	v_add_f64_e32 v[173:174], v[173:174], v[38:39]
	v_add_f64_e32 v[175:176], v[175:176], v[40:41]
	ds_load_b128 v[38:41], v1 offset:1168
	v_fma_f64 v[171:172], v[171:172], v[14:15], v[177:178]
	v_fma_f64 v[169:170], v[169:170], v[14:15], -v[16:17]
	scratch_load_b128 v[14:17], off, off offset:400
	s_wait_loadcnt_dscnt 0xa01
	v_mul_f64_e32 v[183:184], v[2:3], v[20:21]
	v_mul_f64_e32 v[20:21], v[4:5], v[20:21]
	s_wait_loadcnt_dscnt 0x900
	v_mul_f64_e32 v[177:178], v[38:39], v[24:25]
	v_mul_f64_e32 v[24:25], v[40:41], v[24:25]
	v_add_f64_e32 v[173:174], v[173:174], v[181:182]
	v_add_f64_e32 v[175:176], v[175:176], v[179:180]
	v_fma_f64 v[179:180], v[4:5], v[18:19], v[183:184]
	v_fma_f64 v[181:182], v[2:3], v[18:19], -v[20:21]
	ds_load_b128 v[2:5], v1 offset:1184
	scratch_load_b128 v[18:21], off, off offset:416
	v_fma_f64 v[40:41], v[40:41], v[22:23], v[177:178]
	v_fma_f64 v[38:39], v[38:39], v[22:23], -v[24:25]
	scratch_load_b128 v[22:25], off, off offset:432
	v_add_f64_e32 v[173:174], v[173:174], v[169:170]
	v_add_f64_e32 v[175:176], v[175:176], v[171:172]
	ds_load_b128 v[169:172], v1 offset:1200
	s_wait_loadcnt_dscnt 0xa01
	v_mul_f64_e32 v[183:184], v[2:3], v[28:29]
	v_mul_f64_e32 v[28:29], v[4:5], v[28:29]
	s_wait_loadcnt_dscnt 0x900
	v_mul_f64_e32 v[177:178], v[169:170], v[32:33]
	v_mul_f64_e32 v[32:33], v[171:172], v[32:33]
	v_add_f64_e32 v[173:174], v[173:174], v[181:182]
	v_add_f64_e32 v[175:176], v[175:176], v[179:180]
	v_fma_f64 v[179:180], v[4:5], v[26:27], v[183:184]
	v_fma_f64 v[181:182], v[2:3], v[26:27], -v[28:29]
	ds_load_b128 v[2:5], v1 offset:1216
	scratch_load_b128 v[26:29], off, off offset:448
	v_fma_f64 v[171:172], v[171:172], v[30:31], v[177:178]
	v_fma_f64 v[169:170], v[169:170], v[30:31], -v[32:33]
	scratch_load_b128 v[30:33], off, off offset:464
	v_add_f64_e32 v[173:174], v[173:174], v[38:39]
	v_add_f64_e32 v[175:176], v[175:176], v[40:41]
	ds_load_b128 v[38:41], v1 offset:1232
	s_wait_loadcnt_dscnt 0xa01
	v_mul_f64_e32 v[183:184], v[2:3], v[36:37]
	v_mul_f64_e32 v[36:37], v[4:5], v[36:37]
	s_wait_loadcnt_dscnt 0x800
	v_mul_f64_e32 v[177:178], v[38:39], v[167:168]
	v_add_f64_e32 v[173:174], v[173:174], v[181:182]
	v_add_f64_e32 v[175:176], v[175:176], v[179:180]
	v_mul_f64_e32 v[179:180], v[40:41], v[167:168]
	v_fma_f64 v[181:182], v[4:5], v[34:35], v[183:184]
	v_fma_f64 v[183:184], v[2:3], v[34:35], -v[36:37]
	ds_load_b128 v[2:5], v1 offset:1248
	scratch_load_b128 v[34:37], off, off offset:480
	v_fma_f64 v[177:178], v[40:41], v[165:166], v[177:178]
	v_add_f64_e32 v[173:174], v[173:174], v[169:170]
	v_add_f64_e32 v[171:172], v[175:176], v[171:172]
	ds_load_b128 v[167:170], v1 offset:1264
	v_fma_f64 v[165:166], v[38:39], v[165:166], -v[179:180]
	scratch_load_b128 v[38:41], off, off offset:496
	s_wait_loadcnt_dscnt 0x901
	v_mul_f64_e32 v[175:176], v[2:3], v[44:45]
	v_mul_f64_e32 v[44:45], v[4:5], v[44:45]
	s_wait_loadcnt_dscnt 0x800
	v_mul_f64_e32 v[179:180], v[167:168], v[8:9]
	v_mul_f64_e32 v[8:9], v[169:170], v[8:9]
	v_add_f64_e32 v[173:174], v[173:174], v[183:184]
	v_add_f64_e32 v[171:172], v[171:172], v[181:182]
	v_fma_f64 v[175:176], v[4:5], v[42:43], v[175:176]
	v_fma_f64 v[181:182], v[2:3], v[42:43], -v[44:45]
	ds_load_b128 v[2:5], v1 offset:1280
	scratch_load_b128 v[42:45], off, off offset:512
	v_fma_f64 v[169:170], v[169:170], v[6:7], v[179:180]
	v_fma_f64 v[167:168], v[167:168], v[6:7], -v[8:9]
	scratch_load_b128 v[6:9], off, off offset:528
	v_add_f64_e32 v[165:166], v[173:174], v[165:166]
	v_add_f64_e32 v[177:178], v[171:172], v[177:178]
	ds_load_b128 v[171:174], v1 offset:1296
	s_wait_loadcnt_dscnt 0x901
	v_mul_f64_e32 v[183:184], v[2:3], v[12:13]
	v_mul_f64_e32 v[12:13], v[4:5], v[12:13]
	v_add_f64_e32 v[165:166], v[165:166], v[181:182]
	v_add_f64_e32 v[175:176], v[177:178], v[175:176]
	s_wait_loadcnt_dscnt 0x800
	v_mul_f64_e32 v[177:178], v[171:172], v[16:17]
	v_mul_f64_e32 v[16:17], v[173:174], v[16:17]
	v_fma_f64 v[179:180], v[4:5], v[10:11], v[183:184]
	v_fma_f64 v[181:182], v[2:3], v[10:11], -v[12:13]
	ds_load_b128 v[2:5], v1 offset:1312
	scratch_load_b128 v[10:13], off, off offset:544
	v_add_f64_e32 v[183:184], v[165:166], v[167:168]
	v_add_f64_e32 v[169:170], v[175:176], v[169:170]
	ds_load_b128 v[165:168], v1 offset:1328
	s_wait_loadcnt_dscnt 0x801
	v_mul_f64_e32 v[175:176], v[2:3], v[20:21]
	v_mul_f64_e32 v[20:21], v[4:5], v[20:21]
	v_fma_f64 v[173:174], v[173:174], v[14:15], v[177:178]
	v_fma_f64 v[171:172], v[171:172], v[14:15], -v[16:17]
	scratch_load_b128 v[14:17], off, off offset:560
	v_add_f64_e32 v[177:178], v[183:184], v[181:182]
	v_add_f64_e32 v[169:170], v[169:170], v[179:180]
	s_wait_loadcnt_dscnt 0x800
	v_mul_f64_e32 v[179:180], v[165:166], v[24:25]
	v_mul_f64_e32 v[24:25], v[167:168], v[24:25]
	v_fma_f64 v[175:176], v[4:5], v[18:19], v[175:176]
	v_fma_f64 v[181:182], v[2:3], v[18:19], -v[20:21]
	ds_load_b128 v[2:5], v1 offset:1344
	scratch_load_b128 v[18:21], off, off offset:576
	v_add_f64_e32 v[177:178], v[177:178], v[171:172]
	v_add_f64_e32 v[173:174], v[169:170], v[173:174]
	ds_load_b128 v[169:172], v1 offset:1360
	s_wait_loadcnt_dscnt 0x801
	v_mul_f64_e32 v[183:184], v[2:3], v[28:29]
	v_mul_f64_e32 v[28:29], v[4:5], v[28:29]
	v_fma_f64 v[167:168], v[167:168], v[22:23], v[179:180]
	v_fma_f64 v[165:166], v[165:166], v[22:23], -v[24:25]
	scratch_load_b128 v[22:25], off, off offset:592
	;; [unrolled: 18-line block ×4, first 2 shown]
	s_wait_loadcnt_dscnt 0x800
	v_mul_f64_e32 v[177:178], v[169:170], v[8:9]
	v_mul_f64_e32 v[8:9], v[171:172], v[8:9]
	v_add_f64_e32 v[175:176], v[175:176], v[181:182]
	v_add_f64_e32 v[173:174], v[173:174], v[179:180]
	v_fma_f64 v[179:180], v[4:5], v[42:43], v[183:184]
	v_fma_f64 v[181:182], v[2:3], v[42:43], -v[44:45]
	ds_load_b128 v[2:5], v1 offset:1440
	scratch_load_b128 v[42:45], off, off offset:672
	v_fma_f64 v[171:172], v[171:172], v[6:7], v[177:178]
	v_fma_f64 v[169:170], v[169:170], v[6:7], -v[8:9]
	scratch_load_b128 v[6:9], off, off offset:688
	v_add_f64_e32 v[175:176], v[175:176], v[165:166]
	v_add_f64_e32 v[173:174], v[173:174], v[167:168]
	ds_load_b128 v[165:168], v1 offset:1456
	s_wait_loadcnt_dscnt 0x901
	v_mul_f64_e32 v[183:184], v[2:3], v[12:13]
	v_mul_f64_e32 v[12:13], v[4:5], v[12:13]
	s_wait_loadcnt_dscnt 0x800
	v_mul_f64_e32 v[177:178], v[165:166], v[16:17]
	v_mul_f64_e32 v[16:17], v[167:168], v[16:17]
	v_add_f64_e32 v[175:176], v[175:176], v[181:182]
	v_add_f64_e32 v[173:174], v[173:174], v[179:180]
	v_fma_f64 v[179:180], v[4:5], v[10:11], v[183:184]
	v_fma_f64 v[181:182], v[2:3], v[10:11], -v[12:13]
	ds_load_b128 v[2:5], v1 offset:1472
	scratch_load_b128 v[10:13], off, off offset:704
	v_fma_f64 v[167:168], v[167:168], v[14:15], v[177:178]
	v_fma_f64 v[165:166], v[165:166], v[14:15], -v[16:17]
	scratch_load_b128 v[14:17], off, off offset:720
	v_add_f64_e32 v[175:176], v[175:176], v[169:170]
	v_add_f64_e32 v[173:174], v[173:174], v[171:172]
	ds_load_b128 v[169:172], v1 offset:1488
	s_wait_loadcnt_dscnt 0x901
	v_mul_f64_e32 v[183:184], v[2:3], v[20:21]
	v_mul_f64_e32 v[20:21], v[4:5], v[20:21]
	;; [unrolled: 18-line block ×8, first 2 shown]
	s_wait_loadcnt_dscnt 0x800
	v_mul_f64_e32 v[177:178], v[169:170], v[32:33]
	v_mul_f64_e32 v[32:33], v[171:172], v[32:33]
	v_add_f64_e32 v[175:176], v[175:176], v[181:182]
	v_add_f64_e32 v[173:174], v[173:174], v[179:180]
	v_fma_f64 v[179:180], v[4:5], v[26:27], v[183:184]
	v_fma_f64 v[181:182], v[2:3], v[26:27], -v[28:29]
	ds_load_b128 v[2:5], v1 offset:1696
	ds_load_b128 v[26:29], v1 offset:1712
	v_fma_f64 v[171:172], v[171:172], v[30:31], v[177:178]
	v_fma_f64 v[30:31], v[169:170], v[30:31], -v[32:33]
	v_add_f64_e32 v[165:166], v[175:176], v[165:166]
	v_add_f64_e32 v[167:168], v[173:174], v[167:168]
	s_wait_loadcnt_dscnt 0x701
	v_mul_f64_e32 v[173:174], v[2:3], v[36:37]
	v_mul_f64_e32 v[36:37], v[4:5], v[36:37]
	s_delay_alu instid0(VALU_DEP_4) | instskip(NEXT) | instid1(VALU_DEP_4)
	v_add_f64_e32 v[32:33], v[165:166], v[181:182]
	v_add_f64_e32 v[165:166], v[167:168], v[179:180]
	s_wait_loadcnt_dscnt 0x600
	v_mul_f64_e32 v[167:168], v[26:27], v[40:41]
	v_mul_f64_e32 v[40:41], v[28:29], v[40:41]
	v_fma_f64 v[169:170], v[4:5], v[34:35], v[173:174]
	v_fma_f64 v[34:35], v[2:3], v[34:35], -v[36:37]
	v_add_f64_e32 v[36:37], v[32:33], v[30:31]
	v_add_f64_e32 v[165:166], v[165:166], v[171:172]
	ds_load_b128 v[2:5], v1 offset:1728
	ds_load_b128 v[30:33], v1 offset:1744
	v_fma_f64 v[28:29], v[28:29], v[38:39], v[167:168]
	v_fma_f64 v[26:27], v[26:27], v[38:39], -v[40:41]
	s_wait_loadcnt_dscnt 0x501
	v_mul_f64_e32 v[171:172], v[2:3], v[44:45]
	v_mul_f64_e32 v[44:45], v[4:5], v[44:45]
	s_wait_loadcnt_dscnt 0x400
	v_mul_f64_e32 v[38:39], v[30:31], v[8:9]
	v_mul_f64_e32 v[8:9], v[32:33], v[8:9]
	v_add_f64_e32 v[34:35], v[36:37], v[34:35]
	v_add_f64_e32 v[36:37], v[165:166], v[169:170]
	v_fma_f64 v[40:41], v[4:5], v[42:43], v[171:172]
	v_fma_f64 v[42:43], v[2:3], v[42:43], -v[44:45]
	v_fma_f64 v[32:33], v[32:33], v[6:7], v[38:39]
	v_fma_f64 v[6:7], v[30:31], v[6:7], -v[8:9]
	v_add_f64_e32 v[34:35], v[34:35], v[26:27]
	v_add_f64_e32 v[36:37], v[36:37], v[28:29]
	ds_load_b128 v[2:5], v1 offset:1760
	ds_load_b128 v[26:29], v1 offset:1776
	s_wait_loadcnt_dscnt 0x301
	v_mul_f64_e32 v[44:45], v[2:3], v[12:13]
	v_mul_f64_e32 v[12:13], v[4:5], v[12:13]
	v_add_f64_e32 v[8:9], v[34:35], v[42:43]
	v_add_f64_e32 v[30:31], v[36:37], v[40:41]
	s_wait_loadcnt_dscnt 0x200
	v_mul_f64_e32 v[34:35], v[26:27], v[16:17]
	v_mul_f64_e32 v[16:17], v[28:29], v[16:17]
	v_fma_f64 v[36:37], v[4:5], v[10:11], v[44:45]
	v_fma_f64 v[10:11], v[2:3], v[10:11], -v[12:13]
	v_add_f64_e32 v[12:13], v[8:9], v[6:7]
	v_add_f64_e32 v[30:31], v[30:31], v[32:33]
	ds_load_b128 v[2:5], v1 offset:1792
	ds_load_b128 v[6:9], v1 offset:1808
	v_fma_f64 v[28:29], v[28:29], v[14:15], v[34:35]
	v_fma_f64 v[14:15], v[26:27], v[14:15], -v[16:17]
	s_wait_loadcnt_dscnt 0x101
	v_mul_f64_e32 v[32:33], v[2:3], v[20:21]
	v_mul_f64_e32 v[20:21], v[4:5], v[20:21]
	s_wait_loadcnt_dscnt 0x0
	v_mul_f64_e32 v[16:17], v[6:7], v[24:25]
	v_mul_f64_e32 v[24:25], v[8:9], v[24:25]
	v_add_f64_e32 v[10:11], v[12:13], v[10:11]
	v_add_f64_e32 v[12:13], v[30:31], v[36:37]
	v_fma_f64 v[4:5], v[4:5], v[18:19], v[32:33]
	v_fma_f64 v[1:2], v[2:3], v[18:19], -v[20:21]
	v_fma_f64 v[8:9], v[8:9], v[22:23], v[16:17]
	v_fma_f64 v[6:7], v[6:7], v[22:23], -v[24:25]
	v_add_f64_e32 v[10:11], v[10:11], v[14:15]
	v_add_f64_e32 v[12:13], v[12:13], v[28:29]
	s_delay_alu instid0(VALU_DEP_2) | instskip(NEXT) | instid1(VALU_DEP_2)
	v_add_f64_e32 v[1:2], v[10:11], v[1:2]
	v_add_f64_e32 v[3:4], v[12:13], v[4:5]
	s_delay_alu instid0(VALU_DEP_2) | instskip(NEXT) | instid1(VALU_DEP_2)
	;; [unrolled: 3-line block ×3, first 2 shown]
	v_add_f64_e64 v[1:2], v[161:162], -v[1:2]
	v_add_f64_e64 v[3:4], v[163:164], -v[3:4]
	scratch_store_b128 off, v[1:4], off offset:176
	v_cmpx_lt_u32_e32 9, v0
	s_cbranch_execz .LBB56_337
; %bb.336:
	scratch_load_b128 v[1:4], off, s61
	v_mov_b32_e32 v5, 0
	s_delay_alu instid0(VALU_DEP_1)
	v_dual_mov_b32 v6, v5 :: v_dual_mov_b32 v7, v5
	v_mov_b32_e32 v8, v5
	scratch_store_b128 off, v[5:8], off offset:160
	s_wait_loadcnt 0x0
	ds_store_b128 v160, v[1:4]
.LBB56_337:
	s_wait_alu 0xfffe
	s_or_b32 exec_lo, exec_lo, s0
	s_wait_storecnt_dscnt 0x0
	s_barrier_signal -1
	s_barrier_wait -1
	global_inv scope:SCOPE_SE
	s_clause 0x7
	scratch_load_b128 v[2:5], off, off offset:176
	scratch_load_b128 v[6:9], off, off offset:192
	;; [unrolled: 1-line block ×8, first 2 shown]
	v_mov_b32_e32 v1, 0
	s_mov_b32 s0, exec_lo
	ds_load_b128 v[38:41], v1 offset:1072
	s_clause 0x1
	scratch_load_b128 v[34:37], off, off offset:304
	scratch_load_b128 v[42:45], off, off offset:160
	ds_load_b128 v[161:164], v1 offset:1088
	scratch_load_b128 v[165:168], off, off offset:320
	s_wait_loadcnt_dscnt 0xa01
	v_mul_f64_e32 v[169:170], v[40:41], v[4:5]
	v_mul_f64_e32 v[4:5], v[38:39], v[4:5]
	s_delay_alu instid0(VALU_DEP_2) | instskip(NEXT) | instid1(VALU_DEP_2)
	v_fma_f64 v[175:176], v[38:39], v[2:3], -v[169:170]
	v_fma_f64 v[177:178], v[40:41], v[2:3], v[4:5]
	ds_load_b128 v[2:5], v1 offset:1104
	s_wait_loadcnt_dscnt 0x901
	v_mul_f64_e32 v[173:174], v[161:162], v[8:9]
	v_mul_f64_e32 v[8:9], v[163:164], v[8:9]
	scratch_load_b128 v[38:41], off, off offset:336
	ds_load_b128 v[169:172], v1 offset:1120
	s_wait_loadcnt_dscnt 0x901
	v_mul_f64_e32 v[179:180], v[2:3], v[12:13]
	v_mul_f64_e32 v[12:13], v[4:5], v[12:13]
	v_fma_f64 v[163:164], v[163:164], v[6:7], v[173:174]
	v_fma_f64 v[161:162], v[161:162], v[6:7], -v[8:9]
	v_add_f64_e32 v[173:174], 0, v[175:176]
	v_add_f64_e32 v[175:176], 0, v[177:178]
	scratch_load_b128 v[6:9], off, off offset:352
	v_fma_f64 v[179:180], v[4:5], v[10:11], v[179:180]
	v_fma_f64 v[181:182], v[2:3], v[10:11], -v[12:13]
	ds_load_b128 v[2:5], v1 offset:1136
	s_wait_loadcnt_dscnt 0x901
	v_mul_f64_e32 v[177:178], v[169:170], v[16:17]
	v_mul_f64_e32 v[16:17], v[171:172], v[16:17]
	scratch_load_b128 v[10:13], off, off offset:368
	v_add_f64_e32 v[173:174], v[173:174], v[161:162]
	v_add_f64_e32 v[175:176], v[175:176], v[163:164]
	s_wait_loadcnt_dscnt 0x900
	v_mul_f64_e32 v[183:184], v[2:3], v[20:21]
	v_mul_f64_e32 v[20:21], v[4:5], v[20:21]
	ds_load_b128 v[161:164], v1 offset:1152
	v_fma_f64 v[171:172], v[171:172], v[14:15], v[177:178]
	v_fma_f64 v[169:170], v[169:170], v[14:15], -v[16:17]
	scratch_load_b128 v[14:17], off, off offset:384
	v_add_f64_e32 v[173:174], v[173:174], v[181:182]
	v_add_f64_e32 v[175:176], v[175:176], v[179:180]
	v_fma_f64 v[179:180], v[4:5], v[18:19], v[183:184]
	v_fma_f64 v[181:182], v[2:3], v[18:19], -v[20:21]
	ds_load_b128 v[2:5], v1 offset:1168
	s_wait_loadcnt_dscnt 0x901
	v_mul_f64_e32 v[177:178], v[161:162], v[24:25]
	v_mul_f64_e32 v[24:25], v[163:164], v[24:25]
	scratch_load_b128 v[18:21], off, off offset:400
	s_wait_loadcnt_dscnt 0x900
	v_mul_f64_e32 v[183:184], v[2:3], v[28:29]
	v_mul_f64_e32 v[28:29], v[4:5], v[28:29]
	v_add_f64_e32 v[173:174], v[173:174], v[169:170]
	v_add_f64_e32 v[175:176], v[175:176], v[171:172]
	ds_load_b128 v[169:172], v1 offset:1184
	v_fma_f64 v[163:164], v[163:164], v[22:23], v[177:178]
	v_fma_f64 v[161:162], v[161:162], v[22:23], -v[24:25]
	scratch_load_b128 v[22:25], off, off offset:416
	v_add_f64_e32 v[173:174], v[173:174], v[181:182]
	v_add_f64_e32 v[175:176], v[175:176], v[179:180]
	v_fma_f64 v[179:180], v[4:5], v[26:27], v[183:184]
	v_fma_f64 v[181:182], v[2:3], v[26:27], -v[28:29]
	ds_load_b128 v[2:5], v1 offset:1200
	s_wait_loadcnt_dscnt 0x901
	v_mul_f64_e32 v[177:178], v[169:170], v[32:33]
	v_mul_f64_e32 v[32:33], v[171:172], v[32:33]
	scratch_load_b128 v[26:29], off, off offset:432
	s_wait_loadcnt_dscnt 0x900
	v_mul_f64_e32 v[183:184], v[2:3], v[36:37]
	v_mul_f64_e32 v[36:37], v[4:5], v[36:37]
	v_add_f64_e32 v[173:174], v[173:174], v[161:162]
	v_add_f64_e32 v[175:176], v[175:176], v[163:164]
	ds_load_b128 v[161:164], v1 offset:1216
	v_fma_f64 v[171:172], v[171:172], v[30:31], v[177:178]
	v_fma_f64 v[169:170], v[169:170], v[30:31], -v[32:33]
	scratch_load_b128 v[30:33], off, off offset:448
	v_add_f64_e32 v[173:174], v[173:174], v[181:182]
	v_add_f64_e32 v[175:176], v[175:176], v[179:180]
	v_fma_f64 v[181:182], v[4:5], v[34:35], v[183:184]
	v_fma_f64 v[183:184], v[2:3], v[34:35], -v[36:37]
	ds_load_b128 v[2:5], v1 offset:1232
	s_wait_loadcnt_dscnt 0x801
	v_mul_f64_e32 v[177:178], v[161:162], v[167:168]
	v_mul_f64_e32 v[179:180], v[163:164], v[167:168]
	scratch_load_b128 v[34:37], off, off offset:464
	v_add_f64_e32 v[173:174], v[173:174], v[169:170]
	v_add_f64_e32 v[171:172], v[175:176], v[171:172]
	ds_load_b128 v[167:170], v1 offset:1248
	v_fma_f64 v[177:178], v[163:164], v[165:166], v[177:178]
	v_fma_f64 v[165:166], v[161:162], v[165:166], -v[179:180]
	scratch_load_b128 v[161:164], off, off offset:480
	s_wait_loadcnt_dscnt 0x901
	v_mul_f64_e32 v[175:176], v[2:3], v[40:41]
	v_mul_f64_e32 v[40:41], v[4:5], v[40:41]
	v_add_f64_e32 v[173:174], v[173:174], v[183:184]
	v_add_f64_e32 v[171:172], v[171:172], v[181:182]
	s_delay_alu instid0(VALU_DEP_4) | instskip(NEXT) | instid1(VALU_DEP_4)
	v_fma_f64 v[175:176], v[4:5], v[38:39], v[175:176]
	v_fma_f64 v[181:182], v[2:3], v[38:39], -v[40:41]
	ds_load_b128 v[2:5], v1 offset:1264
	s_wait_loadcnt_dscnt 0x801
	v_mul_f64_e32 v[179:180], v[167:168], v[8:9]
	v_mul_f64_e32 v[8:9], v[169:170], v[8:9]
	scratch_load_b128 v[38:41], off, off offset:496
	s_wait_loadcnt_dscnt 0x800
	v_mul_f64_e32 v[183:184], v[2:3], v[12:13]
	v_add_f64_e32 v[165:166], v[173:174], v[165:166]
	v_add_f64_e32 v[177:178], v[171:172], v[177:178]
	v_mul_f64_e32 v[12:13], v[4:5], v[12:13]
	ds_load_b128 v[171:174], v1 offset:1280
	v_fma_f64 v[169:170], v[169:170], v[6:7], v[179:180]
	v_fma_f64 v[167:168], v[167:168], v[6:7], -v[8:9]
	scratch_load_b128 v[6:9], off, off offset:512
	v_fma_f64 v[179:180], v[4:5], v[10:11], v[183:184]
	v_add_f64_e32 v[165:166], v[165:166], v[181:182]
	v_add_f64_e32 v[175:176], v[177:178], v[175:176]
	v_fma_f64 v[181:182], v[2:3], v[10:11], -v[12:13]
	ds_load_b128 v[2:5], v1 offset:1296
	s_wait_loadcnt_dscnt 0x801
	v_mul_f64_e32 v[177:178], v[171:172], v[16:17]
	v_mul_f64_e32 v[16:17], v[173:174], v[16:17]
	scratch_load_b128 v[10:13], off, off offset:528
	v_add_f64_e32 v[183:184], v[165:166], v[167:168]
	v_add_f64_e32 v[169:170], v[175:176], v[169:170]
	s_wait_loadcnt_dscnt 0x800
	v_mul_f64_e32 v[175:176], v[2:3], v[20:21]
	v_mul_f64_e32 v[20:21], v[4:5], v[20:21]
	v_fma_f64 v[173:174], v[173:174], v[14:15], v[177:178]
	v_fma_f64 v[171:172], v[171:172], v[14:15], -v[16:17]
	ds_load_b128 v[165:168], v1 offset:1312
	scratch_load_b128 v[14:17], off, off offset:544
	v_add_f64_e32 v[177:178], v[183:184], v[181:182]
	v_add_f64_e32 v[169:170], v[169:170], v[179:180]
	v_fma_f64 v[175:176], v[4:5], v[18:19], v[175:176]
	v_fma_f64 v[181:182], v[2:3], v[18:19], -v[20:21]
	ds_load_b128 v[2:5], v1 offset:1328
	s_wait_loadcnt_dscnt 0x801
	v_mul_f64_e32 v[179:180], v[165:166], v[24:25]
	v_mul_f64_e32 v[24:25], v[167:168], v[24:25]
	scratch_load_b128 v[18:21], off, off offset:560
	s_wait_loadcnt_dscnt 0x800
	v_mul_f64_e32 v[183:184], v[2:3], v[28:29]
	v_mul_f64_e32 v[28:29], v[4:5], v[28:29]
	v_add_f64_e32 v[177:178], v[177:178], v[171:172]
	v_add_f64_e32 v[173:174], v[169:170], v[173:174]
	ds_load_b128 v[169:172], v1 offset:1344
	v_fma_f64 v[167:168], v[167:168], v[22:23], v[179:180]
	v_fma_f64 v[165:166], v[165:166], v[22:23], -v[24:25]
	scratch_load_b128 v[22:25], off, off offset:576
	v_fma_f64 v[179:180], v[4:5], v[26:27], v[183:184]
	v_add_f64_e32 v[177:178], v[177:178], v[181:182]
	v_add_f64_e32 v[173:174], v[173:174], v[175:176]
	v_fma_f64 v[181:182], v[2:3], v[26:27], -v[28:29]
	ds_load_b128 v[2:5], v1 offset:1360
	s_wait_loadcnt_dscnt 0x801
	v_mul_f64_e32 v[175:176], v[169:170], v[32:33]
	v_mul_f64_e32 v[32:33], v[171:172], v[32:33]
	scratch_load_b128 v[26:29], off, off offset:592
	s_wait_loadcnt_dscnt 0x800
	v_mul_f64_e32 v[183:184], v[2:3], v[36:37]
	v_mul_f64_e32 v[36:37], v[4:5], v[36:37]
	v_add_f64_e32 v[177:178], v[177:178], v[165:166]
	v_add_f64_e32 v[173:174], v[173:174], v[167:168]
	ds_load_b128 v[165:168], v1 offset:1376
	v_fma_f64 v[171:172], v[171:172], v[30:31], v[175:176]
	v_fma_f64 v[169:170], v[169:170], v[30:31], -v[32:33]
	scratch_load_b128 v[30:33], off, off offset:608
	v_add_f64_e32 v[175:176], v[177:178], v[181:182]
	v_add_f64_e32 v[173:174], v[173:174], v[179:180]
	v_fma_f64 v[179:180], v[4:5], v[34:35], v[183:184]
	v_fma_f64 v[181:182], v[2:3], v[34:35], -v[36:37]
	ds_load_b128 v[2:5], v1 offset:1392
	s_wait_loadcnt_dscnt 0x801
	v_mul_f64_e32 v[177:178], v[165:166], v[163:164]
	v_mul_f64_e32 v[163:164], v[167:168], v[163:164]
	scratch_load_b128 v[34:37], off, off offset:624
	s_wait_loadcnt_dscnt 0x800
	v_mul_f64_e32 v[183:184], v[2:3], v[40:41]
	v_mul_f64_e32 v[40:41], v[4:5], v[40:41]
	v_add_f64_e32 v[175:176], v[175:176], v[169:170]
	v_add_f64_e32 v[173:174], v[173:174], v[171:172]
	ds_load_b128 v[169:172], v1 offset:1408
	v_fma_f64 v[167:168], v[167:168], v[161:162], v[177:178]
	v_fma_f64 v[165:166], v[165:166], v[161:162], -v[163:164]
	scratch_load_b128 v[161:164], off, off offset:640
	v_add_f64_e32 v[175:176], v[175:176], v[181:182]
	v_add_f64_e32 v[173:174], v[173:174], v[179:180]
	v_fma_f64 v[179:180], v[4:5], v[38:39], v[183:184]
	;; [unrolled: 18-line block ×6, first 2 shown]
	v_fma_f64 v[183:184], v[2:3], v[34:35], -v[36:37]
	ds_load_b128 v[2:5], v1 offset:1552
	s_wait_loadcnt_dscnt 0x801
	v_mul_f64_e32 v[177:178], v[169:170], v[163:164]
	v_mul_f64_e32 v[179:180], v[171:172], v[163:164]
	scratch_load_b128 v[34:37], off, off offset:784
	v_add_f64_e32 v[175:176], v[175:176], v[165:166]
	v_add_f64_e32 v[167:168], v[173:174], v[167:168]
	s_wait_loadcnt_dscnt 0x800
	v_mul_f64_e32 v[173:174], v[2:3], v[40:41]
	v_mul_f64_e32 v[40:41], v[4:5], v[40:41]
	ds_load_b128 v[163:166], v1 offset:1568
	v_fma_f64 v[171:172], v[171:172], v[161:162], v[177:178]
	v_fma_f64 v[161:162], v[169:170], v[161:162], -v[179:180]
	v_add_f64_e32 v[175:176], v[175:176], v[183:184]
	v_add_f64_e32 v[177:178], v[167:168], v[181:182]
	scratch_load_b128 v[167:170], off, off offset:800
	v_fma_f64 v[181:182], v[4:5], v[38:39], v[173:174]
	v_fma_f64 v[183:184], v[2:3], v[38:39], -v[40:41]
	ds_load_b128 v[2:5], v1 offset:1584
	s_wait_loadcnt_dscnt 0x801
	v_mul_f64_e32 v[179:180], v[163:164], v[8:9]
	v_mul_f64_e32 v[8:9], v[165:166], v[8:9]
	scratch_load_b128 v[38:41], off, off offset:816
	v_add_f64_e32 v[161:162], v[175:176], v[161:162]
	v_add_f64_e32 v[175:176], v[177:178], v[171:172]
	s_wait_loadcnt_dscnt 0x800
	v_mul_f64_e32 v[177:178], v[2:3], v[12:13]
	v_mul_f64_e32 v[12:13], v[4:5], v[12:13]
	ds_load_b128 v[171:174], v1 offset:1600
	v_fma_f64 v[165:166], v[165:166], v[6:7], v[179:180]
	v_fma_f64 v[163:164], v[163:164], v[6:7], -v[8:9]
	scratch_load_b128 v[6:9], off, off offset:832
	v_add_f64_e32 v[161:162], v[161:162], v[183:184]
	v_add_f64_e32 v[175:176], v[175:176], v[181:182]
	v_fma_f64 v[177:178], v[4:5], v[10:11], v[177:178]
	v_fma_f64 v[181:182], v[2:3], v[10:11], -v[12:13]
	ds_load_b128 v[2:5], v1 offset:1616
	s_wait_loadcnt_dscnt 0x801
	v_mul_f64_e32 v[179:180], v[171:172], v[16:17]
	v_mul_f64_e32 v[16:17], v[173:174], v[16:17]
	scratch_load_b128 v[10:13], off, off offset:848
	v_add_f64_e32 v[183:184], v[161:162], v[163:164]
	v_add_f64_e32 v[165:166], v[175:176], v[165:166]
	s_wait_loadcnt_dscnt 0x800
	v_mul_f64_e32 v[175:176], v[2:3], v[20:21]
	v_mul_f64_e32 v[20:21], v[4:5], v[20:21]
	ds_load_b128 v[161:164], v1 offset:1632
	v_fma_f64 v[173:174], v[173:174], v[14:15], v[179:180]
	v_fma_f64 v[171:172], v[171:172], v[14:15], -v[16:17]
	scratch_load_b128 v[14:17], off, off offset:864
	v_add_f64_e32 v[179:180], v[183:184], v[181:182]
	v_add_f64_e32 v[165:166], v[165:166], v[177:178]
	v_fma_f64 v[175:176], v[4:5], v[18:19], v[175:176]
	v_fma_f64 v[181:182], v[2:3], v[18:19], -v[20:21]
	ds_load_b128 v[2:5], v1 offset:1648
	s_wait_loadcnt_dscnt 0x801
	v_mul_f64_e32 v[177:178], v[161:162], v[24:25]
	v_mul_f64_e32 v[24:25], v[163:164], v[24:25]
	scratch_load_b128 v[18:21], off, off offset:880
	s_wait_loadcnt_dscnt 0x800
	v_mul_f64_e32 v[183:184], v[2:3], v[28:29]
	v_mul_f64_e32 v[28:29], v[4:5], v[28:29]
	v_add_f64_e32 v[179:180], v[179:180], v[171:172]
	v_add_f64_e32 v[165:166], v[165:166], v[173:174]
	ds_load_b128 v[171:174], v1 offset:1664
	v_fma_f64 v[163:164], v[163:164], v[22:23], v[177:178]
	v_fma_f64 v[161:162], v[161:162], v[22:23], -v[24:25]
	scratch_load_b128 v[22:25], off, off offset:896
	v_add_f64_e32 v[177:178], v[179:180], v[181:182]
	v_add_f64_e32 v[165:166], v[165:166], v[175:176]
	v_fma_f64 v[179:180], v[4:5], v[26:27], v[183:184]
	v_fma_f64 v[181:182], v[2:3], v[26:27], -v[28:29]
	ds_load_b128 v[2:5], v1 offset:1680
	s_wait_loadcnt_dscnt 0x801
	v_mul_f64_e32 v[175:176], v[171:172], v[32:33]
	v_mul_f64_e32 v[32:33], v[173:174], v[32:33]
	scratch_load_b128 v[26:29], off, off offset:912
	s_wait_loadcnt_dscnt 0x800
	v_mul_f64_e32 v[183:184], v[2:3], v[36:37]
	v_mul_f64_e32 v[36:37], v[4:5], v[36:37]
	v_add_f64_e32 v[177:178], v[177:178], v[161:162]
	v_add_f64_e32 v[165:166], v[165:166], v[163:164]
	ds_load_b128 v[161:164], v1 offset:1696
	v_fma_f64 v[173:174], v[173:174], v[30:31], v[175:176]
	v_fma_f64 v[30:31], v[171:172], v[30:31], -v[32:33]
	v_fma_f64 v[175:176], v[4:5], v[34:35], v[183:184]
	v_fma_f64 v[34:35], v[2:3], v[34:35], -v[36:37]
	v_add_f64_e32 v[32:33], v[177:178], v[181:182]
	v_add_f64_e32 v[165:166], v[165:166], v[179:180]
	s_wait_loadcnt_dscnt 0x700
	v_mul_f64_e32 v[171:172], v[161:162], v[169:170]
	v_mul_f64_e32 v[169:170], v[163:164], v[169:170]
	s_delay_alu instid0(VALU_DEP_4) | instskip(NEXT) | instid1(VALU_DEP_4)
	v_add_f64_e32 v[36:37], v[32:33], v[30:31]
	v_add_f64_e32 v[165:166], v[165:166], v[173:174]
	ds_load_b128 v[2:5], v1 offset:1712
	ds_load_b128 v[30:33], v1 offset:1728
	v_fma_f64 v[163:164], v[163:164], v[167:168], v[171:172]
	v_fma_f64 v[161:162], v[161:162], v[167:168], -v[169:170]
	s_wait_loadcnt_dscnt 0x601
	v_mul_f64_e32 v[173:174], v[2:3], v[40:41]
	v_mul_f64_e32 v[40:41], v[4:5], v[40:41]
	v_add_f64_e32 v[34:35], v[36:37], v[34:35]
	v_add_f64_e32 v[36:37], v[165:166], v[175:176]
	s_wait_loadcnt_dscnt 0x500
	v_mul_f64_e32 v[165:166], v[30:31], v[8:9]
	v_mul_f64_e32 v[8:9], v[32:33], v[8:9]
	v_fma_f64 v[167:168], v[4:5], v[38:39], v[173:174]
	v_fma_f64 v[38:39], v[2:3], v[38:39], -v[40:41]
	v_add_f64_e32 v[40:41], v[34:35], v[161:162]
	v_add_f64_e32 v[161:162], v[36:37], v[163:164]
	ds_load_b128 v[2:5], v1 offset:1744
	ds_load_b128 v[34:37], v1 offset:1760
	v_fma_f64 v[32:33], v[32:33], v[6:7], v[165:166]
	v_fma_f64 v[6:7], v[30:31], v[6:7], -v[8:9]
	s_wait_loadcnt_dscnt 0x401
	v_mul_f64_e32 v[163:164], v[2:3], v[12:13]
	v_mul_f64_e32 v[12:13], v[4:5], v[12:13]
	v_add_f64_e32 v[8:9], v[40:41], v[38:39]
	v_add_f64_e32 v[30:31], v[161:162], v[167:168]
	s_wait_loadcnt_dscnt 0x300
	v_mul_f64_e32 v[38:39], v[34:35], v[16:17]
	v_mul_f64_e32 v[16:17], v[36:37], v[16:17]
	v_fma_f64 v[40:41], v[4:5], v[10:11], v[163:164]
	v_fma_f64 v[10:11], v[2:3], v[10:11], -v[12:13]
	v_add_f64_e32 v[12:13], v[8:9], v[6:7]
	v_add_f64_e32 v[30:31], v[30:31], v[32:33]
	ds_load_b128 v[2:5], v1 offset:1776
	ds_load_b128 v[6:9], v1 offset:1792
	v_fma_f64 v[36:37], v[36:37], v[14:15], v[38:39]
	v_fma_f64 v[14:15], v[34:35], v[14:15], -v[16:17]
	s_wait_loadcnt_dscnt 0x201
	v_mul_f64_e32 v[32:33], v[2:3], v[20:21]
	v_mul_f64_e32 v[20:21], v[4:5], v[20:21]
	s_wait_loadcnt_dscnt 0x100
	v_mul_f64_e32 v[16:17], v[6:7], v[24:25]
	v_mul_f64_e32 v[24:25], v[8:9], v[24:25]
	v_add_f64_e32 v[10:11], v[12:13], v[10:11]
	v_add_f64_e32 v[12:13], v[30:31], v[40:41]
	v_fma_f64 v[30:31], v[4:5], v[18:19], v[32:33]
	v_fma_f64 v[18:19], v[2:3], v[18:19], -v[20:21]
	ds_load_b128 v[2:5], v1 offset:1808
	v_fma_f64 v[8:9], v[8:9], v[22:23], v[16:17]
	v_fma_f64 v[6:7], v[6:7], v[22:23], -v[24:25]
	v_add_f64_e32 v[10:11], v[10:11], v[14:15]
	v_add_f64_e32 v[12:13], v[12:13], v[36:37]
	s_wait_loadcnt_dscnt 0x0
	v_mul_f64_e32 v[14:15], v[2:3], v[28:29]
	v_mul_f64_e32 v[20:21], v[4:5], v[28:29]
	s_delay_alu instid0(VALU_DEP_4) | instskip(NEXT) | instid1(VALU_DEP_4)
	v_add_f64_e32 v[10:11], v[10:11], v[18:19]
	v_add_f64_e32 v[12:13], v[12:13], v[30:31]
	s_delay_alu instid0(VALU_DEP_4) | instskip(NEXT) | instid1(VALU_DEP_4)
	v_fma_f64 v[4:5], v[4:5], v[26:27], v[14:15]
	v_fma_f64 v[2:3], v[2:3], v[26:27], -v[20:21]
	s_delay_alu instid0(VALU_DEP_4) | instskip(NEXT) | instid1(VALU_DEP_4)
	v_add_f64_e32 v[6:7], v[10:11], v[6:7]
	v_add_f64_e32 v[8:9], v[12:13], v[8:9]
	s_delay_alu instid0(VALU_DEP_2) | instskip(NEXT) | instid1(VALU_DEP_2)
	v_add_f64_e32 v[2:3], v[6:7], v[2:3]
	v_add_f64_e32 v[4:5], v[8:9], v[4:5]
	s_delay_alu instid0(VALU_DEP_2) | instskip(NEXT) | instid1(VALU_DEP_2)
	v_add_f64_e64 v[2:3], v[42:43], -v[2:3]
	v_add_f64_e64 v[4:5], v[44:45], -v[4:5]
	scratch_store_b128 off, v[2:5], off offset:160
	v_cmpx_lt_u32_e32 8, v0
	s_cbranch_execz .LBB56_339
; %bb.338:
	scratch_load_b128 v[5:8], off, s62
	v_dual_mov_b32 v2, v1 :: v_dual_mov_b32 v3, v1
	v_mov_b32_e32 v4, v1
	scratch_store_b128 off, v[1:4], off offset:144
	s_wait_loadcnt 0x0
	ds_store_b128 v160, v[5:8]
.LBB56_339:
	s_wait_alu 0xfffe
	s_or_b32 exec_lo, exec_lo, s0
	s_wait_storecnt_dscnt 0x0
	s_barrier_signal -1
	s_barrier_wait -1
	global_inv scope:SCOPE_SE
	s_clause 0x8
	scratch_load_b128 v[2:5], off, off offset:160
	scratch_load_b128 v[6:9], off, off offset:176
	;; [unrolled: 1-line block ×9, first 2 shown]
	ds_load_b128 v[42:45], v1 offset:1056
	ds_load_b128 v[38:41], v1 offset:1072
	s_clause 0x1
	scratch_load_b128 v[161:164], off, off offset:144
	scratch_load_b128 v[165:168], off, off offset:304
	s_mov_b32 s0, exec_lo
	s_wait_loadcnt_dscnt 0xa01
	v_mul_f64_e32 v[169:170], v[44:45], v[4:5]
	v_mul_f64_e32 v[4:5], v[42:43], v[4:5]
	s_wait_loadcnt_dscnt 0x900
	v_mul_f64_e32 v[173:174], v[38:39], v[8:9]
	v_mul_f64_e32 v[8:9], v[40:41], v[8:9]
	s_delay_alu instid0(VALU_DEP_4) | instskip(NEXT) | instid1(VALU_DEP_4)
	v_fma_f64 v[175:176], v[42:43], v[2:3], -v[169:170]
	v_fma_f64 v[177:178], v[44:45], v[2:3], v[4:5]
	ds_load_b128 v[2:5], v1 offset:1088
	ds_load_b128 v[169:172], v1 offset:1104
	scratch_load_b128 v[42:45], off, off offset:320
	v_fma_f64 v[40:41], v[40:41], v[6:7], v[173:174]
	v_fma_f64 v[38:39], v[38:39], v[6:7], -v[8:9]
	scratch_load_b128 v[6:9], off, off offset:336
	s_wait_loadcnt_dscnt 0xa01
	v_mul_f64_e32 v[179:180], v[2:3], v[12:13]
	v_mul_f64_e32 v[12:13], v[4:5], v[12:13]
	v_add_f64_e32 v[173:174], 0, v[175:176]
	v_add_f64_e32 v[175:176], 0, v[177:178]
	s_wait_loadcnt_dscnt 0x900
	v_mul_f64_e32 v[177:178], v[169:170], v[16:17]
	v_mul_f64_e32 v[16:17], v[171:172], v[16:17]
	v_fma_f64 v[179:180], v[4:5], v[10:11], v[179:180]
	v_fma_f64 v[181:182], v[2:3], v[10:11], -v[12:13]
	ds_load_b128 v[2:5], v1 offset:1120
	scratch_load_b128 v[10:13], off, off offset:352
	v_add_f64_e32 v[173:174], v[173:174], v[38:39]
	v_add_f64_e32 v[175:176], v[175:176], v[40:41]
	ds_load_b128 v[38:41], v1 offset:1136
	v_fma_f64 v[171:172], v[171:172], v[14:15], v[177:178]
	v_fma_f64 v[169:170], v[169:170], v[14:15], -v[16:17]
	scratch_load_b128 v[14:17], off, off offset:368
	s_wait_loadcnt_dscnt 0xa01
	v_mul_f64_e32 v[183:184], v[2:3], v[20:21]
	v_mul_f64_e32 v[20:21], v[4:5], v[20:21]
	s_wait_loadcnt_dscnt 0x900
	v_mul_f64_e32 v[177:178], v[38:39], v[24:25]
	v_mul_f64_e32 v[24:25], v[40:41], v[24:25]
	v_add_f64_e32 v[173:174], v[173:174], v[181:182]
	v_add_f64_e32 v[175:176], v[175:176], v[179:180]
	v_fma_f64 v[179:180], v[4:5], v[18:19], v[183:184]
	v_fma_f64 v[181:182], v[2:3], v[18:19], -v[20:21]
	ds_load_b128 v[2:5], v1 offset:1152
	scratch_load_b128 v[18:21], off, off offset:384
	v_fma_f64 v[40:41], v[40:41], v[22:23], v[177:178]
	v_fma_f64 v[38:39], v[38:39], v[22:23], -v[24:25]
	scratch_load_b128 v[22:25], off, off offset:400
	v_add_f64_e32 v[173:174], v[173:174], v[169:170]
	v_add_f64_e32 v[175:176], v[175:176], v[171:172]
	ds_load_b128 v[169:172], v1 offset:1168
	s_wait_loadcnt_dscnt 0xa01
	v_mul_f64_e32 v[183:184], v[2:3], v[28:29]
	v_mul_f64_e32 v[28:29], v[4:5], v[28:29]
	s_wait_loadcnt_dscnt 0x900
	v_mul_f64_e32 v[177:178], v[169:170], v[32:33]
	v_mul_f64_e32 v[32:33], v[171:172], v[32:33]
	v_add_f64_e32 v[173:174], v[173:174], v[181:182]
	v_add_f64_e32 v[175:176], v[175:176], v[179:180]
	v_fma_f64 v[179:180], v[4:5], v[26:27], v[183:184]
	v_fma_f64 v[181:182], v[2:3], v[26:27], -v[28:29]
	ds_load_b128 v[2:5], v1 offset:1184
	scratch_load_b128 v[26:29], off, off offset:416
	v_fma_f64 v[171:172], v[171:172], v[30:31], v[177:178]
	v_fma_f64 v[169:170], v[169:170], v[30:31], -v[32:33]
	scratch_load_b128 v[30:33], off, off offset:432
	v_add_f64_e32 v[173:174], v[173:174], v[38:39]
	v_add_f64_e32 v[175:176], v[175:176], v[40:41]
	ds_load_b128 v[38:41], v1 offset:1200
	s_wait_loadcnt_dscnt 0xa01
	v_mul_f64_e32 v[183:184], v[2:3], v[36:37]
	v_mul_f64_e32 v[36:37], v[4:5], v[36:37]
	s_wait_loadcnt_dscnt 0x800
	v_mul_f64_e32 v[177:178], v[38:39], v[167:168]
	v_add_f64_e32 v[173:174], v[173:174], v[181:182]
	v_add_f64_e32 v[175:176], v[175:176], v[179:180]
	v_mul_f64_e32 v[179:180], v[40:41], v[167:168]
	v_fma_f64 v[181:182], v[4:5], v[34:35], v[183:184]
	v_fma_f64 v[183:184], v[2:3], v[34:35], -v[36:37]
	ds_load_b128 v[2:5], v1 offset:1216
	scratch_load_b128 v[34:37], off, off offset:448
	v_fma_f64 v[177:178], v[40:41], v[165:166], v[177:178]
	v_add_f64_e32 v[173:174], v[173:174], v[169:170]
	v_add_f64_e32 v[171:172], v[175:176], v[171:172]
	ds_load_b128 v[167:170], v1 offset:1232
	v_fma_f64 v[165:166], v[38:39], v[165:166], -v[179:180]
	scratch_load_b128 v[38:41], off, off offset:464
	s_wait_loadcnt_dscnt 0x901
	v_mul_f64_e32 v[175:176], v[2:3], v[44:45]
	v_mul_f64_e32 v[44:45], v[4:5], v[44:45]
	s_wait_loadcnt_dscnt 0x800
	v_mul_f64_e32 v[179:180], v[167:168], v[8:9]
	v_mul_f64_e32 v[8:9], v[169:170], v[8:9]
	v_add_f64_e32 v[173:174], v[173:174], v[183:184]
	v_add_f64_e32 v[171:172], v[171:172], v[181:182]
	v_fma_f64 v[175:176], v[4:5], v[42:43], v[175:176]
	v_fma_f64 v[181:182], v[2:3], v[42:43], -v[44:45]
	ds_load_b128 v[2:5], v1 offset:1248
	scratch_load_b128 v[42:45], off, off offset:480
	v_fma_f64 v[169:170], v[169:170], v[6:7], v[179:180]
	v_fma_f64 v[167:168], v[167:168], v[6:7], -v[8:9]
	scratch_load_b128 v[6:9], off, off offset:496
	v_add_f64_e32 v[165:166], v[173:174], v[165:166]
	v_add_f64_e32 v[177:178], v[171:172], v[177:178]
	ds_load_b128 v[171:174], v1 offset:1264
	s_wait_loadcnt_dscnt 0x901
	v_mul_f64_e32 v[183:184], v[2:3], v[12:13]
	v_mul_f64_e32 v[12:13], v[4:5], v[12:13]
	v_add_f64_e32 v[165:166], v[165:166], v[181:182]
	v_add_f64_e32 v[175:176], v[177:178], v[175:176]
	s_wait_loadcnt_dscnt 0x800
	v_mul_f64_e32 v[177:178], v[171:172], v[16:17]
	v_mul_f64_e32 v[16:17], v[173:174], v[16:17]
	v_fma_f64 v[179:180], v[4:5], v[10:11], v[183:184]
	v_fma_f64 v[181:182], v[2:3], v[10:11], -v[12:13]
	ds_load_b128 v[2:5], v1 offset:1280
	scratch_load_b128 v[10:13], off, off offset:512
	v_add_f64_e32 v[183:184], v[165:166], v[167:168]
	v_add_f64_e32 v[169:170], v[175:176], v[169:170]
	ds_load_b128 v[165:168], v1 offset:1296
	s_wait_loadcnt_dscnt 0x801
	v_mul_f64_e32 v[175:176], v[2:3], v[20:21]
	v_mul_f64_e32 v[20:21], v[4:5], v[20:21]
	v_fma_f64 v[173:174], v[173:174], v[14:15], v[177:178]
	v_fma_f64 v[171:172], v[171:172], v[14:15], -v[16:17]
	scratch_load_b128 v[14:17], off, off offset:528
	v_add_f64_e32 v[177:178], v[183:184], v[181:182]
	v_add_f64_e32 v[169:170], v[169:170], v[179:180]
	s_wait_loadcnt_dscnt 0x800
	v_mul_f64_e32 v[179:180], v[165:166], v[24:25]
	v_mul_f64_e32 v[24:25], v[167:168], v[24:25]
	v_fma_f64 v[175:176], v[4:5], v[18:19], v[175:176]
	v_fma_f64 v[181:182], v[2:3], v[18:19], -v[20:21]
	ds_load_b128 v[2:5], v1 offset:1312
	scratch_load_b128 v[18:21], off, off offset:544
	v_add_f64_e32 v[177:178], v[177:178], v[171:172]
	v_add_f64_e32 v[173:174], v[169:170], v[173:174]
	ds_load_b128 v[169:172], v1 offset:1328
	s_wait_loadcnt_dscnt 0x801
	v_mul_f64_e32 v[183:184], v[2:3], v[28:29]
	v_mul_f64_e32 v[28:29], v[4:5], v[28:29]
	v_fma_f64 v[167:168], v[167:168], v[22:23], v[179:180]
	v_fma_f64 v[165:166], v[165:166], v[22:23], -v[24:25]
	scratch_load_b128 v[22:25], off, off offset:560
	;; [unrolled: 18-line block ×4, first 2 shown]
	s_wait_loadcnt_dscnt 0x800
	v_mul_f64_e32 v[177:178], v[169:170], v[8:9]
	v_mul_f64_e32 v[8:9], v[171:172], v[8:9]
	v_add_f64_e32 v[175:176], v[175:176], v[181:182]
	v_add_f64_e32 v[173:174], v[173:174], v[179:180]
	v_fma_f64 v[179:180], v[4:5], v[42:43], v[183:184]
	v_fma_f64 v[181:182], v[2:3], v[42:43], -v[44:45]
	ds_load_b128 v[2:5], v1 offset:1408
	scratch_load_b128 v[42:45], off, off offset:640
	v_fma_f64 v[171:172], v[171:172], v[6:7], v[177:178]
	v_fma_f64 v[169:170], v[169:170], v[6:7], -v[8:9]
	scratch_load_b128 v[6:9], off, off offset:656
	v_add_f64_e32 v[175:176], v[175:176], v[165:166]
	v_add_f64_e32 v[173:174], v[173:174], v[167:168]
	ds_load_b128 v[165:168], v1 offset:1424
	s_wait_loadcnt_dscnt 0x901
	v_mul_f64_e32 v[183:184], v[2:3], v[12:13]
	v_mul_f64_e32 v[12:13], v[4:5], v[12:13]
	s_wait_loadcnt_dscnt 0x800
	v_mul_f64_e32 v[177:178], v[165:166], v[16:17]
	v_mul_f64_e32 v[16:17], v[167:168], v[16:17]
	v_add_f64_e32 v[175:176], v[175:176], v[181:182]
	v_add_f64_e32 v[173:174], v[173:174], v[179:180]
	v_fma_f64 v[179:180], v[4:5], v[10:11], v[183:184]
	v_fma_f64 v[181:182], v[2:3], v[10:11], -v[12:13]
	ds_load_b128 v[2:5], v1 offset:1440
	scratch_load_b128 v[10:13], off, off offset:672
	v_fma_f64 v[167:168], v[167:168], v[14:15], v[177:178]
	v_fma_f64 v[165:166], v[165:166], v[14:15], -v[16:17]
	scratch_load_b128 v[14:17], off, off offset:688
	v_add_f64_e32 v[175:176], v[175:176], v[169:170]
	v_add_f64_e32 v[173:174], v[173:174], v[171:172]
	ds_load_b128 v[169:172], v1 offset:1456
	s_wait_loadcnt_dscnt 0x901
	v_mul_f64_e32 v[183:184], v[2:3], v[20:21]
	v_mul_f64_e32 v[20:21], v[4:5], v[20:21]
	s_wait_loadcnt_dscnt 0x800
	v_mul_f64_e32 v[177:178], v[169:170], v[24:25]
	v_mul_f64_e32 v[24:25], v[171:172], v[24:25]
	v_add_f64_e32 v[175:176], v[175:176], v[181:182]
	v_add_f64_e32 v[173:174], v[173:174], v[179:180]
	v_fma_f64 v[179:180], v[4:5], v[18:19], v[183:184]
	v_fma_f64 v[181:182], v[2:3], v[18:19], -v[20:21]
	ds_load_b128 v[2:5], v1 offset:1472
	scratch_load_b128 v[18:21], off, off offset:704
	v_fma_f64 v[171:172], v[171:172], v[22:23], v[177:178]
	v_fma_f64 v[169:170], v[169:170], v[22:23], -v[24:25]
	scratch_load_b128 v[22:25], off, off offset:720
	v_add_f64_e32 v[175:176], v[175:176], v[165:166]
	v_add_f64_e32 v[173:174], v[173:174], v[167:168]
	ds_load_b128 v[165:168], v1 offset:1488
	s_wait_loadcnt_dscnt 0x901
	v_mul_f64_e32 v[183:184], v[2:3], v[28:29]
	v_mul_f64_e32 v[28:29], v[4:5], v[28:29]
	s_wait_loadcnt_dscnt 0x800
	v_mul_f64_e32 v[177:178], v[165:166], v[32:33]
	v_mul_f64_e32 v[32:33], v[167:168], v[32:33]
	v_add_f64_e32 v[175:176], v[175:176], v[181:182]
	v_add_f64_e32 v[173:174], v[173:174], v[179:180]
	v_fma_f64 v[179:180], v[4:5], v[26:27], v[183:184]
	v_fma_f64 v[181:182], v[2:3], v[26:27], -v[28:29]
	ds_load_b128 v[2:5], v1 offset:1504
	scratch_load_b128 v[26:29], off, off offset:736
	v_fma_f64 v[167:168], v[167:168], v[30:31], v[177:178]
	v_fma_f64 v[165:166], v[165:166], v[30:31], -v[32:33]
	scratch_load_b128 v[30:33], off, off offset:752
	v_add_f64_e32 v[175:176], v[175:176], v[169:170]
	v_add_f64_e32 v[173:174], v[173:174], v[171:172]
	ds_load_b128 v[169:172], v1 offset:1520
	s_wait_loadcnt_dscnt 0x901
	v_mul_f64_e32 v[183:184], v[2:3], v[36:37]
	v_mul_f64_e32 v[36:37], v[4:5], v[36:37]
	s_wait_loadcnt_dscnt 0x800
	v_mul_f64_e32 v[177:178], v[169:170], v[40:41]
	v_mul_f64_e32 v[40:41], v[171:172], v[40:41]
	v_add_f64_e32 v[175:176], v[175:176], v[181:182]
	v_add_f64_e32 v[173:174], v[173:174], v[179:180]
	v_fma_f64 v[179:180], v[4:5], v[34:35], v[183:184]
	v_fma_f64 v[181:182], v[2:3], v[34:35], -v[36:37]
	ds_load_b128 v[2:5], v1 offset:1536
	scratch_load_b128 v[34:37], off, off offset:768
	v_fma_f64 v[171:172], v[171:172], v[38:39], v[177:178]
	v_fma_f64 v[169:170], v[169:170], v[38:39], -v[40:41]
	scratch_load_b128 v[38:41], off, off offset:784
	v_add_f64_e32 v[175:176], v[175:176], v[165:166]
	v_add_f64_e32 v[173:174], v[173:174], v[167:168]
	ds_load_b128 v[165:168], v1 offset:1552
	s_wait_loadcnt_dscnt 0x901
	v_mul_f64_e32 v[183:184], v[2:3], v[44:45]
	v_mul_f64_e32 v[44:45], v[4:5], v[44:45]
	s_wait_loadcnt_dscnt 0x800
	v_mul_f64_e32 v[177:178], v[165:166], v[8:9]
	v_mul_f64_e32 v[8:9], v[167:168], v[8:9]
	v_add_f64_e32 v[175:176], v[175:176], v[181:182]
	v_add_f64_e32 v[173:174], v[173:174], v[179:180]
	v_fma_f64 v[179:180], v[4:5], v[42:43], v[183:184]
	v_fma_f64 v[181:182], v[2:3], v[42:43], -v[44:45]
	ds_load_b128 v[2:5], v1 offset:1568
	scratch_load_b128 v[42:45], off, off offset:800
	v_fma_f64 v[167:168], v[167:168], v[6:7], v[177:178]
	v_fma_f64 v[165:166], v[165:166], v[6:7], -v[8:9]
	scratch_load_b128 v[6:9], off, off offset:816
	v_add_f64_e32 v[175:176], v[175:176], v[169:170]
	v_add_f64_e32 v[173:174], v[173:174], v[171:172]
	ds_load_b128 v[169:172], v1 offset:1584
	s_wait_loadcnt_dscnt 0x901
	v_mul_f64_e32 v[183:184], v[2:3], v[12:13]
	v_mul_f64_e32 v[12:13], v[4:5], v[12:13]
	s_wait_loadcnt_dscnt 0x800
	v_mul_f64_e32 v[177:178], v[169:170], v[16:17]
	v_mul_f64_e32 v[16:17], v[171:172], v[16:17]
	v_add_f64_e32 v[175:176], v[175:176], v[181:182]
	v_add_f64_e32 v[173:174], v[173:174], v[179:180]
	v_fma_f64 v[179:180], v[4:5], v[10:11], v[183:184]
	v_fma_f64 v[181:182], v[2:3], v[10:11], -v[12:13]
	ds_load_b128 v[2:5], v1 offset:1600
	scratch_load_b128 v[10:13], off, off offset:832
	v_fma_f64 v[171:172], v[171:172], v[14:15], v[177:178]
	v_fma_f64 v[169:170], v[169:170], v[14:15], -v[16:17]
	scratch_load_b128 v[14:17], off, off offset:848
	v_add_f64_e32 v[175:176], v[175:176], v[165:166]
	v_add_f64_e32 v[173:174], v[173:174], v[167:168]
	ds_load_b128 v[165:168], v1 offset:1616
	s_wait_loadcnt_dscnt 0x901
	v_mul_f64_e32 v[183:184], v[2:3], v[20:21]
	v_mul_f64_e32 v[20:21], v[4:5], v[20:21]
	s_wait_loadcnt_dscnt 0x800
	v_mul_f64_e32 v[177:178], v[165:166], v[24:25]
	v_mul_f64_e32 v[24:25], v[167:168], v[24:25]
	v_add_f64_e32 v[175:176], v[175:176], v[181:182]
	v_add_f64_e32 v[173:174], v[173:174], v[179:180]
	v_fma_f64 v[179:180], v[4:5], v[18:19], v[183:184]
	v_fma_f64 v[181:182], v[2:3], v[18:19], -v[20:21]
	ds_load_b128 v[2:5], v1 offset:1632
	scratch_load_b128 v[18:21], off, off offset:864
	v_fma_f64 v[167:168], v[167:168], v[22:23], v[177:178]
	v_fma_f64 v[165:166], v[165:166], v[22:23], -v[24:25]
	scratch_load_b128 v[22:25], off, off offset:880
	v_add_f64_e32 v[175:176], v[175:176], v[169:170]
	v_add_f64_e32 v[173:174], v[173:174], v[171:172]
	ds_load_b128 v[169:172], v1 offset:1648
	s_wait_loadcnt_dscnt 0x901
	v_mul_f64_e32 v[183:184], v[2:3], v[28:29]
	v_mul_f64_e32 v[28:29], v[4:5], v[28:29]
	s_wait_loadcnt_dscnt 0x800
	v_mul_f64_e32 v[177:178], v[169:170], v[32:33]
	v_mul_f64_e32 v[32:33], v[171:172], v[32:33]
	v_add_f64_e32 v[175:176], v[175:176], v[181:182]
	v_add_f64_e32 v[173:174], v[173:174], v[179:180]
	v_fma_f64 v[179:180], v[4:5], v[26:27], v[183:184]
	v_fma_f64 v[181:182], v[2:3], v[26:27], -v[28:29]
	ds_load_b128 v[2:5], v1 offset:1664
	scratch_load_b128 v[26:29], off, off offset:896
	v_fma_f64 v[171:172], v[171:172], v[30:31], v[177:178]
	v_fma_f64 v[169:170], v[169:170], v[30:31], -v[32:33]
	scratch_load_b128 v[30:33], off, off offset:912
	v_add_f64_e32 v[175:176], v[175:176], v[165:166]
	v_add_f64_e32 v[173:174], v[173:174], v[167:168]
	ds_load_b128 v[165:168], v1 offset:1680
	s_wait_loadcnt_dscnt 0x901
	v_mul_f64_e32 v[183:184], v[2:3], v[36:37]
	v_mul_f64_e32 v[36:37], v[4:5], v[36:37]
	s_wait_loadcnt_dscnt 0x800
	v_mul_f64_e32 v[177:178], v[165:166], v[40:41]
	v_mul_f64_e32 v[40:41], v[167:168], v[40:41]
	v_add_f64_e32 v[175:176], v[175:176], v[181:182]
	v_add_f64_e32 v[173:174], v[173:174], v[179:180]
	v_fma_f64 v[179:180], v[4:5], v[34:35], v[183:184]
	v_fma_f64 v[181:182], v[2:3], v[34:35], -v[36:37]
	ds_load_b128 v[2:5], v1 offset:1696
	ds_load_b128 v[34:37], v1 offset:1712
	v_fma_f64 v[167:168], v[167:168], v[38:39], v[177:178]
	v_fma_f64 v[38:39], v[165:166], v[38:39], -v[40:41]
	v_add_f64_e32 v[169:170], v[175:176], v[169:170]
	v_add_f64_e32 v[171:172], v[173:174], v[171:172]
	s_wait_loadcnt_dscnt 0x701
	v_mul_f64_e32 v[173:174], v[2:3], v[44:45]
	v_mul_f64_e32 v[44:45], v[4:5], v[44:45]
	s_delay_alu instid0(VALU_DEP_4) | instskip(NEXT) | instid1(VALU_DEP_4)
	v_add_f64_e32 v[40:41], v[169:170], v[181:182]
	v_add_f64_e32 v[165:166], v[171:172], v[179:180]
	s_wait_loadcnt_dscnt 0x600
	v_mul_f64_e32 v[169:170], v[34:35], v[8:9]
	v_mul_f64_e32 v[8:9], v[36:37], v[8:9]
	v_fma_f64 v[171:172], v[4:5], v[42:43], v[173:174]
	v_fma_f64 v[42:43], v[2:3], v[42:43], -v[44:45]
	v_add_f64_e32 v[44:45], v[40:41], v[38:39]
	v_add_f64_e32 v[165:166], v[165:166], v[167:168]
	ds_load_b128 v[2:5], v1 offset:1728
	ds_load_b128 v[38:41], v1 offset:1744
	v_fma_f64 v[36:37], v[36:37], v[6:7], v[169:170]
	v_fma_f64 v[6:7], v[34:35], v[6:7], -v[8:9]
	s_wait_loadcnt_dscnt 0x501
	v_mul_f64_e32 v[167:168], v[2:3], v[12:13]
	v_mul_f64_e32 v[12:13], v[4:5], v[12:13]
	v_add_f64_e32 v[8:9], v[44:45], v[42:43]
	v_add_f64_e32 v[34:35], v[165:166], v[171:172]
	s_wait_loadcnt_dscnt 0x400
	v_mul_f64_e32 v[42:43], v[38:39], v[16:17]
	v_mul_f64_e32 v[16:17], v[40:41], v[16:17]
	v_fma_f64 v[44:45], v[4:5], v[10:11], v[167:168]
	v_fma_f64 v[10:11], v[2:3], v[10:11], -v[12:13]
	v_add_f64_e32 v[12:13], v[8:9], v[6:7]
	v_add_f64_e32 v[34:35], v[34:35], v[36:37]
	ds_load_b128 v[2:5], v1 offset:1760
	ds_load_b128 v[6:9], v1 offset:1776
	v_fma_f64 v[40:41], v[40:41], v[14:15], v[42:43]
	v_fma_f64 v[14:15], v[38:39], v[14:15], -v[16:17]
	s_wait_loadcnt_dscnt 0x301
	v_mul_f64_e32 v[36:37], v[2:3], v[20:21]
	v_mul_f64_e32 v[20:21], v[4:5], v[20:21]
	s_wait_loadcnt_dscnt 0x200
	v_mul_f64_e32 v[16:17], v[6:7], v[24:25]
	v_mul_f64_e32 v[24:25], v[8:9], v[24:25]
	v_add_f64_e32 v[10:11], v[12:13], v[10:11]
	v_add_f64_e32 v[12:13], v[34:35], v[44:45]
	v_fma_f64 v[34:35], v[4:5], v[18:19], v[36:37]
	v_fma_f64 v[18:19], v[2:3], v[18:19], -v[20:21]
	v_fma_f64 v[8:9], v[8:9], v[22:23], v[16:17]
	v_fma_f64 v[6:7], v[6:7], v[22:23], -v[24:25]
	v_add_f64_e32 v[14:15], v[10:11], v[14:15]
	v_add_f64_e32 v[20:21], v[12:13], v[40:41]
	ds_load_b128 v[2:5], v1 offset:1792
	ds_load_b128 v[10:13], v1 offset:1808
	s_wait_loadcnt_dscnt 0x101
	v_mul_f64_e32 v[36:37], v[2:3], v[28:29]
	v_mul_f64_e32 v[28:29], v[4:5], v[28:29]
	v_add_f64_e32 v[14:15], v[14:15], v[18:19]
	v_add_f64_e32 v[16:17], v[20:21], v[34:35]
	s_wait_loadcnt_dscnt 0x0
	v_mul_f64_e32 v[18:19], v[10:11], v[32:33]
	v_mul_f64_e32 v[20:21], v[12:13], v[32:33]
	v_fma_f64 v[4:5], v[4:5], v[26:27], v[36:37]
	v_fma_f64 v[1:2], v[2:3], v[26:27], -v[28:29]
	v_add_f64_e32 v[6:7], v[14:15], v[6:7]
	v_add_f64_e32 v[8:9], v[16:17], v[8:9]
	v_fma_f64 v[12:13], v[12:13], v[30:31], v[18:19]
	v_fma_f64 v[10:11], v[10:11], v[30:31], -v[20:21]
	s_delay_alu instid0(VALU_DEP_4) | instskip(NEXT) | instid1(VALU_DEP_4)
	v_add_f64_e32 v[1:2], v[6:7], v[1:2]
	v_add_f64_e32 v[3:4], v[8:9], v[4:5]
	s_delay_alu instid0(VALU_DEP_2) | instskip(NEXT) | instid1(VALU_DEP_2)
	v_add_f64_e32 v[1:2], v[1:2], v[10:11]
	v_add_f64_e32 v[3:4], v[3:4], v[12:13]
	s_delay_alu instid0(VALU_DEP_2) | instskip(NEXT) | instid1(VALU_DEP_2)
	v_add_f64_e64 v[1:2], v[161:162], -v[1:2]
	v_add_f64_e64 v[3:4], v[163:164], -v[3:4]
	scratch_store_b128 off, v[1:4], off offset:144
	v_cmpx_lt_u32_e32 7, v0
	s_cbranch_execz .LBB56_341
; %bb.340:
	scratch_load_b128 v[1:4], off, s63
	v_mov_b32_e32 v5, 0
	s_delay_alu instid0(VALU_DEP_1)
	v_dual_mov_b32 v6, v5 :: v_dual_mov_b32 v7, v5
	v_mov_b32_e32 v8, v5
	scratch_store_b128 off, v[5:8], off offset:128
	s_wait_loadcnt 0x0
	ds_store_b128 v160, v[1:4]
.LBB56_341:
	s_wait_alu 0xfffe
	s_or_b32 exec_lo, exec_lo, s0
	s_wait_storecnt_dscnt 0x0
	s_barrier_signal -1
	s_barrier_wait -1
	global_inv scope:SCOPE_SE
	s_clause 0x7
	scratch_load_b128 v[2:5], off, off offset:144
	scratch_load_b128 v[6:9], off, off offset:160
	;; [unrolled: 1-line block ×8, first 2 shown]
	v_mov_b32_e32 v1, 0
	s_mov_b32 s0, exec_lo
	ds_load_b128 v[38:41], v1 offset:1040
	s_clause 0x1
	scratch_load_b128 v[34:37], off, off offset:272
	scratch_load_b128 v[42:45], off, off offset:128
	ds_load_b128 v[161:164], v1 offset:1056
	scratch_load_b128 v[165:168], off, off offset:288
	s_wait_loadcnt_dscnt 0xa01
	v_mul_f64_e32 v[169:170], v[40:41], v[4:5]
	v_mul_f64_e32 v[4:5], v[38:39], v[4:5]
	s_delay_alu instid0(VALU_DEP_2) | instskip(NEXT) | instid1(VALU_DEP_2)
	v_fma_f64 v[175:176], v[38:39], v[2:3], -v[169:170]
	v_fma_f64 v[177:178], v[40:41], v[2:3], v[4:5]
	ds_load_b128 v[2:5], v1 offset:1072
	s_wait_loadcnt_dscnt 0x901
	v_mul_f64_e32 v[173:174], v[161:162], v[8:9]
	v_mul_f64_e32 v[8:9], v[163:164], v[8:9]
	scratch_load_b128 v[38:41], off, off offset:304
	ds_load_b128 v[169:172], v1 offset:1088
	s_wait_loadcnt_dscnt 0x901
	v_mul_f64_e32 v[179:180], v[2:3], v[12:13]
	v_mul_f64_e32 v[12:13], v[4:5], v[12:13]
	v_fma_f64 v[163:164], v[163:164], v[6:7], v[173:174]
	v_fma_f64 v[161:162], v[161:162], v[6:7], -v[8:9]
	v_add_f64_e32 v[173:174], 0, v[175:176]
	v_add_f64_e32 v[175:176], 0, v[177:178]
	scratch_load_b128 v[6:9], off, off offset:320
	v_fma_f64 v[179:180], v[4:5], v[10:11], v[179:180]
	v_fma_f64 v[181:182], v[2:3], v[10:11], -v[12:13]
	ds_load_b128 v[2:5], v1 offset:1104
	s_wait_loadcnt_dscnt 0x901
	v_mul_f64_e32 v[177:178], v[169:170], v[16:17]
	v_mul_f64_e32 v[16:17], v[171:172], v[16:17]
	scratch_load_b128 v[10:13], off, off offset:336
	v_add_f64_e32 v[173:174], v[173:174], v[161:162]
	v_add_f64_e32 v[175:176], v[175:176], v[163:164]
	s_wait_loadcnt_dscnt 0x900
	v_mul_f64_e32 v[183:184], v[2:3], v[20:21]
	v_mul_f64_e32 v[20:21], v[4:5], v[20:21]
	ds_load_b128 v[161:164], v1 offset:1120
	v_fma_f64 v[171:172], v[171:172], v[14:15], v[177:178]
	v_fma_f64 v[169:170], v[169:170], v[14:15], -v[16:17]
	scratch_load_b128 v[14:17], off, off offset:352
	v_add_f64_e32 v[173:174], v[173:174], v[181:182]
	v_add_f64_e32 v[175:176], v[175:176], v[179:180]
	v_fma_f64 v[179:180], v[4:5], v[18:19], v[183:184]
	v_fma_f64 v[181:182], v[2:3], v[18:19], -v[20:21]
	ds_load_b128 v[2:5], v1 offset:1136
	s_wait_loadcnt_dscnt 0x901
	v_mul_f64_e32 v[177:178], v[161:162], v[24:25]
	v_mul_f64_e32 v[24:25], v[163:164], v[24:25]
	scratch_load_b128 v[18:21], off, off offset:368
	s_wait_loadcnt_dscnt 0x900
	v_mul_f64_e32 v[183:184], v[2:3], v[28:29]
	v_mul_f64_e32 v[28:29], v[4:5], v[28:29]
	v_add_f64_e32 v[173:174], v[173:174], v[169:170]
	v_add_f64_e32 v[175:176], v[175:176], v[171:172]
	ds_load_b128 v[169:172], v1 offset:1152
	v_fma_f64 v[163:164], v[163:164], v[22:23], v[177:178]
	v_fma_f64 v[161:162], v[161:162], v[22:23], -v[24:25]
	scratch_load_b128 v[22:25], off, off offset:384
	v_add_f64_e32 v[173:174], v[173:174], v[181:182]
	v_add_f64_e32 v[175:176], v[175:176], v[179:180]
	v_fma_f64 v[179:180], v[4:5], v[26:27], v[183:184]
	v_fma_f64 v[181:182], v[2:3], v[26:27], -v[28:29]
	ds_load_b128 v[2:5], v1 offset:1168
	s_wait_loadcnt_dscnt 0x901
	v_mul_f64_e32 v[177:178], v[169:170], v[32:33]
	v_mul_f64_e32 v[32:33], v[171:172], v[32:33]
	scratch_load_b128 v[26:29], off, off offset:400
	s_wait_loadcnt_dscnt 0x900
	v_mul_f64_e32 v[183:184], v[2:3], v[36:37]
	v_mul_f64_e32 v[36:37], v[4:5], v[36:37]
	v_add_f64_e32 v[173:174], v[173:174], v[161:162]
	v_add_f64_e32 v[175:176], v[175:176], v[163:164]
	ds_load_b128 v[161:164], v1 offset:1184
	v_fma_f64 v[171:172], v[171:172], v[30:31], v[177:178]
	v_fma_f64 v[169:170], v[169:170], v[30:31], -v[32:33]
	scratch_load_b128 v[30:33], off, off offset:416
	v_add_f64_e32 v[173:174], v[173:174], v[181:182]
	v_add_f64_e32 v[175:176], v[175:176], v[179:180]
	v_fma_f64 v[181:182], v[4:5], v[34:35], v[183:184]
	v_fma_f64 v[183:184], v[2:3], v[34:35], -v[36:37]
	ds_load_b128 v[2:5], v1 offset:1200
	s_wait_loadcnt_dscnt 0x801
	v_mul_f64_e32 v[177:178], v[161:162], v[167:168]
	v_mul_f64_e32 v[179:180], v[163:164], v[167:168]
	scratch_load_b128 v[34:37], off, off offset:432
	v_add_f64_e32 v[173:174], v[173:174], v[169:170]
	v_add_f64_e32 v[171:172], v[175:176], v[171:172]
	ds_load_b128 v[167:170], v1 offset:1216
	v_fma_f64 v[177:178], v[163:164], v[165:166], v[177:178]
	v_fma_f64 v[165:166], v[161:162], v[165:166], -v[179:180]
	scratch_load_b128 v[161:164], off, off offset:448
	s_wait_loadcnt_dscnt 0x901
	v_mul_f64_e32 v[175:176], v[2:3], v[40:41]
	v_mul_f64_e32 v[40:41], v[4:5], v[40:41]
	v_add_f64_e32 v[173:174], v[173:174], v[183:184]
	v_add_f64_e32 v[171:172], v[171:172], v[181:182]
	s_delay_alu instid0(VALU_DEP_4) | instskip(NEXT) | instid1(VALU_DEP_4)
	v_fma_f64 v[175:176], v[4:5], v[38:39], v[175:176]
	v_fma_f64 v[181:182], v[2:3], v[38:39], -v[40:41]
	ds_load_b128 v[2:5], v1 offset:1232
	s_wait_loadcnt_dscnt 0x801
	v_mul_f64_e32 v[179:180], v[167:168], v[8:9]
	v_mul_f64_e32 v[8:9], v[169:170], v[8:9]
	scratch_load_b128 v[38:41], off, off offset:464
	s_wait_loadcnt_dscnt 0x800
	v_mul_f64_e32 v[183:184], v[2:3], v[12:13]
	v_add_f64_e32 v[165:166], v[173:174], v[165:166]
	v_add_f64_e32 v[177:178], v[171:172], v[177:178]
	v_mul_f64_e32 v[12:13], v[4:5], v[12:13]
	ds_load_b128 v[171:174], v1 offset:1248
	v_fma_f64 v[169:170], v[169:170], v[6:7], v[179:180]
	v_fma_f64 v[167:168], v[167:168], v[6:7], -v[8:9]
	scratch_load_b128 v[6:9], off, off offset:480
	v_fma_f64 v[179:180], v[4:5], v[10:11], v[183:184]
	v_add_f64_e32 v[165:166], v[165:166], v[181:182]
	v_add_f64_e32 v[175:176], v[177:178], v[175:176]
	v_fma_f64 v[181:182], v[2:3], v[10:11], -v[12:13]
	ds_load_b128 v[2:5], v1 offset:1264
	s_wait_loadcnt_dscnt 0x801
	v_mul_f64_e32 v[177:178], v[171:172], v[16:17]
	v_mul_f64_e32 v[16:17], v[173:174], v[16:17]
	scratch_load_b128 v[10:13], off, off offset:496
	v_add_f64_e32 v[183:184], v[165:166], v[167:168]
	v_add_f64_e32 v[169:170], v[175:176], v[169:170]
	s_wait_loadcnt_dscnt 0x800
	v_mul_f64_e32 v[175:176], v[2:3], v[20:21]
	v_mul_f64_e32 v[20:21], v[4:5], v[20:21]
	v_fma_f64 v[173:174], v[173:174], v[14:15], v[177:178]
	v_fma_f64 v[171:172], v[171:172], v[14:15], -v[16:17]
	ds_load_b128 v[165:168], v1 offset:1280
	scratch_load_b128 v[14:17], off, off offset:512
	v_add_f64_e32 v[177:178], v[183:184], v[181:182]
	v_add_f64_e32 v[169:170], v[169:170], v[179:180]
	v_fma_f64 v[175:176], v[4:5], v[18:19], v[175:176]
	v_fma_f64 v[181:182], v[2:3], v[18:19], -v[20:21]
	ds_load_b128 v[2:5], v1 offset:1296
	s_wait_loadcnt_dscnt 0x801
	v_mul_f64_e32 v[179:180], v[165:166], v[24:25]
	v_mul_f64_e32 v[24:25], v[167:168], v[24:25]
	scratch_load_b128 v[18:21], off, off offset:528
	s_wait_loadcnt_dscnt 0x800
	v_mul_f64_e32 v[183:184], v[2:3], v[28:29]
	v_mul_f64_e32 v[28:29], v[4:5], v[28:29]
	v_add_f64_e32 v[177:178], v[177:178], v[171:172]
	v_add_f64_e32 v[173:174], v[169:170], v[173:174]
	ds_load_b128 v[169:172], v1 offset:1312
	v_fma_f64 v[167:168], v[167:168], v[22:23], v[179:180]
	v_fma_f64 v[165:166], v[165:166], v[22:23], -v[24:25]
	scratch_load_b128 v[22:25], off, off offset:544
	v_fma_f64 v[179:180], v[4:5], v[26:27], v[183:184]
	v_add_f64_e32 v[177:178], v[177:178], v[181:182]
	v_add_f64_e32 v[173:174], v[173:174], v[175:176]
	v_fma_f64 v[181:182], v[2:3], v[26:27], -v[28:29]
	ds_load_b128 v[2:5], v1 offset:1328
	s_wait_loadcnt_dscnt 0x801
	v_mul_f64_e32 v[175:176], v[169:170], v[32:33]
	v_mul_f64_e32 v[32:33], v[171:172], v[32:33]
	scratch_load_b128 v[26:29], off, off offset:560
	s_wait_loadcnt_dscnt 0x800
	v_mul_f64_e32 v[183:184], v[2:3], v[36:37]
	v_mul_f64_e32 v[36:37], v[4:5], v[36:37]
	v_add_f64_e32 v[177:178], v[177:178], v[165:166]
	v_add_f64_e32 v[173:174], v[173:174], v[167:168]
	ds_load_b128 v[165:168], v1 offset:1344
	v_fma_f64 v[171:172], v[171:172], v[30:31], v[175:176]
	v_fma_f64 v[169:170], v[169:170], v[30:31], -v[32:33]
	scratch_load_b128 v[30:33], off, off offset:576
	v_add_f64_e32 v[175:176], v[177:178], v[181:182]
	v_add_f64_e32 v[173:174], v[173:174], v[179:180]
	v_fma_f64 v[179:180], v[4:5], v[34:35], v[183:184]
	v_fma_f64 v[181:182], v[2:3], v[34:35], -v[36:37]
	ds_load_b128 v[2:5], v1 offset:1360
	s_wait_loadcnt_dscnt 0x801
	v_mul_f64_e32 v[177:178], v[165:166], v[163:164]
	v_mul_f64_e32 v[163:164], v[167:168], v[163:164]
	scratch_load_b128 v[34:37], off, off offset:592
	s_wait_loadcnt_dscnt 0x800
	v_mul_f64_e32 v[183:184], v[2:3], v[40:41]
	v_mul_f64_e32 v[40:41], v[4:5], v[40:41]
	v_add_f64_e32 v[175:176], v[175:176], v[169:170]
	v_add_f64_e32 v[173:174], v[173:174], v[171:172]
	ds_load_b128 v[169:172], v1 offset:1376
	v_fma_f64 v[167:168], v[167:168], v[161:162], v[177:178]
	v_fma_f64 v[165:166], v[165:166], v[161:162], -v[163:164]
	scratch_load_b128 v[161:164], off, off offset:608
	v_add_f64_e32 v[175:176], v[175:176], v[181:182]
	v_add_f64_e32 v[173:174], v[173:174], v[179:180]
	v_fma_f64 v[179:180], v[4:5], v[38:39], v[183:184]
	;; [unrolled: 18-line block ×6, first 2 shown]
	v_fma_f64 v[183:184], v[2:3], v[34:35], -v[36:37]
	ds_load_b128 v[2:5], v1 offset:1520
	s_wait_loadcnt_dscnt 0x801
	v_mul_f64_e32 v[177:178], v[169:170], v[163:164]
	v_mul_f64_e32 v[179:180], v[171:172], v[163:164]
	scratch_load_b128 v[34:37], off, off offset:752
	v_add_f64_e32 v[175:176], v[175:176], v[165:166]
	v_add_f64_e32 v[167:168], v[173:174], v[167:168]
	s_wait_loadcnt_dscnt 0x800
	v_mul_f64_e32 v[173:174], v[2:3], v[40:41]
	v_mul_f64_e32 v[40:41], v[4:5], v[40:41]
	ds_load_b128 v[163:166], v1 offset:1536
	v_fma_f64 v[171:172], v[171:172], v[161:162], v[177:178]
	v_fma_f64 v[161:162], v[169:170], v[161:162], -v[179:180]
	v_add_f64_e32 v[175:176], v[175:176], v[183:184]
	v_add_f64_e32 v[177:178], v[167:168], v[181:182]
	scratch_load_b128 v[167:170], off, off offset:768
	v_fma_f64 v[181:182], v[4:5], v[38:39], v[173:174]
	v_fma_f64 v[183:184], v[2:3], v[38:39], -v[40:41]
	ds_load_b128 v[2:5], v1 offset:1552
	s_wait_loadcnt_dscnt 0x801
	v_mul_f64_e32 v[179:180], v[163:164], v[8:9]
	v_mul_f64_e32 v[8:9], v[165:166], v[8:9]
	scratch_load_b128 v[38:41], off, off offset:784
	v_add_f64_e32 v[161:162], v[175:176], v[161:162]
	v_add_f64_e32 v[175:176], v[177:178], v[171:172]
	s_wait_loadcnt_dscnt 0x800
	v_mul_f64_e32 v[177:178], v[2:3], v[12:13]
	v_mul_f64_e32 v[12:13], v[4:5], v[12:13]
	ds_load_b128 v[171:174], v1 offset:1568
	v_fma_f64 v[165:166], v[165:166], v[6:7], v[179:180]
	v_fma_f64 v[163:164], v[163:164], v[6:7], -v[8:9]
	scratch_load_b128 v[6:9], off, off offset:800
	v_add_f64_e32 v[161:162], v[161:162], v[183:184]
	v_add_f64_e32 v[175:176], v[175:176], v[181:182]
	v_fma_f64 v[177:178], v[4:5], v[10:11], v[177:178]
	v_fma_f64 v[181:182], v[2:3], v[10:11], -v[12:13]
	ds_load_b128 v[2:5], v1 offset:1584
	s_wait_loadcnt_dscnt 0x801
	v_mul_f64_e32 v[179:180], v[171:172], v[16:17]
	v_mul_f64_e32 v[16:17], v[173:174], v[16:17]
	scratch_load_b128 v[10:13], off, off offset:816
	v_add_f64_e32 v[183:184], v[161:162], v[163:164]
	v_add_f64_e32 v[165:166], v[175:176], v[165:166]
	s_wait_loadcnt_dscnt 0x800
	v_mul_f64_e32 v[175:176], v[2:3], v[20:21]
	v_mul_f64_e32 v[20:21], v[4:5], v[20:21]
	ds_load_b128 v[161:164], v1 offset:1600
	v_fma_f64 v[173:174], v[173:174], v[14:15], v[179:180]
	v_fma_f64 v[171:172], v[171:172], v[14:15], -v[16:17]
	scratch_load_b128 v[14:17], off, off offset:832
	v_add_f64_e32 v[179:180], v[183:184], v[181:182]
	v_add_f64_e32 v[165:166], v[165:166], v[177:178]
	v_fma_f64 v[175:176], v[4:5], v[18:19], v[175:176]
	v_fma_f64 v[181:182], v[2:3], v[18:19], -v[20:21]
	ds_load_b128 v[2:5], v1 offset:1616
	s_wait_loadcnt_dscnt 0x801
	v_mul_f64_e32 v[177:178], v[161:162], v[24:25]
	v_mul_f64_e32 v[24:25], v[163:164], v[24:25]
	scratch_load_b128 v[18:21], off, off offset:848
	s_wait_loadcnt_dscnt 0x800
	v_mul_f64_e32 v[183:184], v[2:3], v[28:29]
	v_mul_f64_e32 v[28:29], v[4:5], v[28:29]
	v_add_f64_e32 v[179:180], v[179:180], v[171:172]
	v_add_f64_e32 v[165:166], v[165:166], v[173:174]
	ds_load_b128 v[171:174], v1 offset:1632
	v_fma_f64 v[163:164], v[163:164], v[22:23], v[177:178]
	v_fma_f64 v[161:162], v[161:162], v[22:23], -v[24:25]
	scratch_load_b128 v[22:25], off, off offset:864
	v_add_f64_e32 v[177:178], v[179:180], v[181:182]
	v_add_f64_e32 v[165:166], v[165:166], v[175:176]
	v_fma_f64 v[179:180], v[4:5], v[26:27], v[183:184]
	v_fma_f64 v[181:182], v[2:3], v[26:27], -v[28:29]
	ds_load_b128 v[2:5], v1 offset:1648
	s_wait_loadcnt_dscnt 0x801
	v_mul_f64_e32 v[175:176], v[171:172], v[32:33]
	v_mul_f64_e32 v[32:33], v[173:174], v[32:33]
	scratch_load_b128 v[26:29], off, off offset:880
	s_wait_loadcnt_dscnt 0x800
	v_mul_f64_e32 v[183:184], v[2:3], v[36:37]
	v_mul_f64_e32 v[36:37], v[4:5], v[36:37]
	v_add_f64_e32 v[177:178], v[177:178], v[161:162]
	v_add_f64_e32 v[165:166], v[165:166], v[163:164]
	ds_load_b128 v[161:164], v1 offset:1664
	v_fma_f64 v[173:174], v[173:174], v[30:31], v[175:176]
	v_fma_f64 v[171:172], v[171:172], v[30:31], -v[32:33]
	scratch_load_b128 v[30:33], off, off offset:896
	v_add_f64_e32 v[175:176], v[177:178], v[181:182]
	v_add_f64_e32 v[165:166], v[165:166], v[179:180]
	v_fma_f64 v[181:182], v[4:5], v[34:35], v[183:184]
	v_fma_f64 v[183:184], v[2:3], v[34:35], -v[36:37]
	ds_load_b128 v[2:5], v1 offset:1680
	scratch_load_b128 v[34:37], off, off offset:912
	s_wait_loadcnt_dscnt 0x901
	v_mul_f64_e32 v[177:178], v[161:162], v[169:170]
	v_mul_f64_e32 v[179:180], v[163:164], v[169:170]
	v_add_f64_e32 v[175:176], v[175:176], v[171:172]
	v_add_f64_e32 v[165:166], v[165:166], v[173:174]
	s_wait_loadcnt_dscnt 0x800
	v_mul_f64_e32 v[173:174], v[2:3], v[40:41]
	v_mul_f64_e32 v[40:41], v[4:5], v[40:41]
	ds_load_b128 v[169:172], v1 offset:1696
	v_fma_f64 v[163:164], v[163:164], v[167:168], v[177:178]
	v_fma_f64 v[161:162], v[161:162], v[167:168], -v[179:180]
	v_add_f64_e32 v[167:168], v[175:176], v[183:184]
	v_add_f64_e32 v[165:166], v[165:166], v[181:182]
	s_wait_loadcnt_dscnt 0x700
	v_mul_f64_e32 v[175:176], v[169:170], v[8:9]
	v_mul_f64_e32 v[8:9], v[171:172], v[8:9]
	v_fma_f64 v[173:174], v[4:5], v[38:39], v[173:174]
	v_fma_f64 v[177:178], v[2:3], v[38:39], -v[40:41]
	ds_load_b128 v[2:5], v1 offset:1712
	ds_load_b128 v[38:41], v1 offset:1728
	v_add_f64_e32 v[161:162], v[167:168], v[161:162]
	v_add_f64_e32 v[163:164], v[165:166], v[163:164]
	s_wait_loadcnt_dscnt 0x601
	v_mul_f64_e32 v[165:166], v[2:3], v[12:13]
	v_mul_f64_e32 v[12:13], v[4:5], v[12:13]
	v_fma_f64 v[167:168], v[171:172], v[6:7], v[175:176]
	v_fma_f64 v[6:7], v[169:170], v[6:7], -v[8:9]
	v_add_f64_e32 v[8:9], v[161:162], v[177:178]
	v_add_f64_e32 v[161:162], v[163:164], v[173:174]
	s_wait_loadcnt_dscnt 0x500
	v_mul_f64_e32 v[163:164], v[38:39], v[16:17]
	v_mul_f64_e32 v[16:17], v[40:41], v[16:17]
	v_fma_f64 v[165:166], v[4:5], v[10:11], v[165:166]
	v_fma_f64 v[10:11], v[2:3], v[10:11], -v[12:13]
	v_add_f64_e32 v[12:13], v[8:9], v[6:7]
	v_add_f64_e32 v[161:162], v[161:162], v[167:168]
	ds_load_b128 v[2:5], v1 offset:1744
	ds_load_b128 v[6:9], v1 offset:1760
	v_fma_f64 v[40:41], v[40:41], v[14:15], v[163:164]
	v_fma_f64 v[14:15], v[38:39], v[14:15], -v[16:17]
	s_wait_loadcnt_dscnt 0x401
	v_mul_f64_e32 v[167:168], v[2:3], v[20:21]
	v_mul_f64_e32 v[20:21], v[4:5], v[20:21]
	s_wait_loadcnt_dscnt 0x300
	v_mul_f64_e32 v[16:17], v[6:7], v[24:25]
	v_mul_f64_e32 v[24:25], v[8:9], v[24:25]
	v_add_f64_e32 v[10:11], v[12:13], v[10:11]
	v_add_f64_e32 v[12:13], v[161:162], v[165:166]
	v_fma_f64 v[38:39], v[4:5], v[18:19], v[167:168]
	v_fma_f64 v[18:19], v[2:3], v[18:19], -v[20:21]
	v_fma_f64 v[8:9], v[8:9], v[22:23], v[16:17]
	v_fma_f64 v[6:7], v[6:7], v[22:23], -v[24:25]
	v_add_f64_e32 v[14:15], v[10:11], v[14:15]
	v_add_f64_e32 v[20:21], v[12:13], v[40:41]
	ds_load_b128 v[2:5], v1 offset:1776
	ds_load_b128 v[10:13], v1 offset:1792
	s_wait_loadcnt_dscnt 0x201
	v_mul_f64_e32 v[40:41], v[2:3], v[28:29]
	v_mul_f64_e32 v[28:29], v[4:5], v[28:29]
	v_add_f64_e32 v[14:15], v[14:15], v[18:19]
	v_add_f64_e32 v[16:17], v[20:21], v[38:39]
	s_wait_loadcnt_dscnt 0x100
	v_mul_f64_e32 v[18:19], v[10:11], v[32:33]
	v_mul_f64_e32 v[20:21], v[12:13], v[32:33]
	v_fma_f64 v[22:23], v[4:5], v[26:27], v[40:41]
	v_fma_f64 v[24:25], v[2:3], v[26:27], -v[28:29]
	ds_load_b128 v[2:5], v1 offset:1808
	v_add_f64_e32 v[6:7], v[14:15], v[6:7]
	v_add_f64_e32 v[8:9], v[16:17], v[8:9]
	v_fma_f64 v[12:13], v[12:13], v[30:31], v[18:19]
	v_fma_f64 v[10:11], v[10:11], v[30:31], -v[20:21]
	s_wait_loadcnt_dscnt 0x0
	v_mul_f64_e32 v[14:15], v[2:3], v[36:37]
	v_mul_f64_e32 v[16:17], v[4:5], v[36:37]
	v_add_f64_e32 v[6:7], v[6:7], v[24:25]
	v_add_f64_e32 v[8:9], v[8:9], v[22:23]
	s_delay_alu instid0(VALU_DEP_4) | instskip(NEXT) | instid1(VALU_DEP_4)
	v_fma_f64 v[4:5], v[4:5], v[34:35], v[14:15]
	v_fma_f64 v[2:3], v[2:3], v[34:35], -v[16:17]
	s_delay_alu instid0(VALU_DEP_4) | instskip(NEXT) | instid1(VALU_DEP_4)
	v_add_f64_e32 v[6:7], v[6:7], v[10:11]
	v_add_f64_e32 v[8:9], v[8:9], v[12:13]
	s_delay_alu instid0(VALU_DEP_2) | instskip(NEXT) | instid1(VALU_DEP_2)
	v_add_f64_e32 v[2:3], v[6:7], v[2:3]
	v_add_f64_e32 v[4:5], v[8:9], v[4:5]
	s_delay_alu instid0(VALU_DEP_2) | instskip(NEXT) | instid1(VALU_DEP_2)
	v_add_f64_e64 v[2:3], v[42:43], -v[2:3]
	v_add_f64_e64 v[4:5], v[44:45], -v[4:5]
	scratch_store_b128 off, v[2:5], off offset:128
	v_cmpx_lt_u32_e32 6, v0
	s_cbranch_execz .LBB56_343
; %bb.342:
	scratch_load_b128 v[5:8], off, s64
	v_dual_mov_b32 v2, v1 :: v_dual_mov_b32 v3, v1
	v_mov_b32_e32 v4, v1
	scratch_store_b128 off, v[1:4], off offset:112
	s_wait_loadcnt 0x0
	ds_store_b128 v160, v[5:8]
.LBB56_343:
	s_wait_alu 0xfffe
	s_or_b32 exec_lo, exec_lo, s0
	s_wait_storecnt_dscnt 0x0
	s_barrier_signal -1
	s_barrier_wait -1
	global_inv scope:SCOPE_SE
	s_clause 0x8
	scratch_load_b128 v[2:5], off, off offset:128
	scratch_load_b128 v[6:9], off, off offset:144
	;; [unrolled: 1-line block ×9, first 2 shown]
	ds_load_b128 v[42:45], v1 offset:1024
	ds_load_b128 v[38:41], v1 offset:1040
	s_clause 0x1
	scratch_load_b128 v[161:164], off, off offset:112
	scratch_load_b128 v[165:168], off, off offset:272
	s_mov_b32 s0, exec_lo
	s_wait_loadcnt_dscnt 0xa01
	v_mul_f64_e32 v[169:170], v[44:45], v[4:5]
	v_mul_f64_e32 v[4:5], v[42:43], v[4:5]
	s_wait_loadcnt_dscnt 0x900
	v_mul_f64_e32 v[173:174], v[38:39], v[8:9]
	v_mul_f64_e32 v[8:9], v[40:41], v[8:9]
	s_delay_alu instid0(VALU_DEP_4) | instskip(NEXT) | instid1(VALU_DEP_4)
	v_fma_f64 v[175:176], v[42:43], v[2:3], -v[169:170]
	v_fma_f64 v[177:178], v[44:45], v[2:3], v[4:5]
	ds_load_b128 v[2:5], v1 offset:1056
	ds_load_b128 v[169:172], v1 offset:1072
	scratch_load_b128 v[42:45], off, off offset:288
	v_fma_f64 v[40:41], v[40:41], v[6:7], v[173:174]
	v_fma_f64 v[38:39], v[38:39], v[6:7], -v[8:9]
	scratch_load_b128 v[6:9], off, off offset:304
	s_wait_loadcnt_dscnt 0xa01
	v_mul_f64_e32 v[179:180], v[2:3], v[12:13]
	v_mul_f64_e32 v[12:13], v[4:5], v[12:13]
	v_add_f64_e32 v[173:174], 0, v[175:176]
	v_add_f64_e32 v[175:176], 0, v[177:178]
	s_wait_loadcnt_dscnt 0x900
	v_mul_f64_e32 v[177:178], v[169:170], v[16:17]
	v_mul_f64_e32 v[16:17], v[171:172], v[16:17]
	v_fma_f64 v[179:180], v[4:5], v[10:11], v[179:180]
	v_fma_f64 v[181:182], v[2:3], v[10:11], -v[12:13]
	ds_load_b128 v[2:5], v1 offset:1088
	scratch_load_b128 v[10:13], off, off offset:320
	v_add_f64_e32 v[173:174], v[173:174], v[38:39]
	v_add_f64_e32 v[175:176], v[175:176], v[40:41]
	ds_load_b128 v[38:41], v1 offset:1104
	v_fma_f64 v[171:172], v[171:172], v[14:15], v[177:178]
	v_fma_f64 v[169:170], v[169:170], v[14:15], -v[16:17]
	scratch_load_b128 v[14:17], off, off offset:336
	s_wait_loadcnt_dscnt 0xa01
	v_mul_f64_e32 v[183:184], v[2:3], v[20:21]
	v_mul_f64_e32 v[20:21], v[4:5], v[20:21]
	s_wait_loadcnt_dscnt 0x900
	v_mul_f64_e32 v[177:178], v[38:39], v[24:25]
	v_mul_f64_e32 v[24:25], v[40:41], v[24:25]
	v_add_f64_e32 v[173:174], v[173:174], v[181:182]
	v_add_f64_e32 v[175:176], v[175:176], v[179:180]
	v_fma_f64 v[179:180], v[4:5], v[18:19], v[183:184]
	v_fma_f64 v[181:182], v[2:3], v[18:19], -v[20:21]
	ds_load_b128 v[2:5], v1 offset:1120
	scratch_load_b128 v[18:21], off, off offset:352
	v_fma_f64 v[40:41], v[40:41], v[22:23], v[177:178]
	v_fma_f64 v[38:39], v[38:39], v[22:23], -v[24:25]
	scratch_load_b128 v[22:25], off, off offset:368
	v_add_f64_e32 v[173:174], v[173:174], v[169:170]
	v_add_f64_e32 v[175:176], v[175:176], v[171:172]
	ds_load_b128 v[169:172], v1 offset:1136
	s_wait_loadcnt_dscnt 0xa01
	v_mul_f64_e32 v[183:184], v[2:3], v[28:29]
	v_mul_f64_e32 v[28:29], v[4:5], v[28:29]
	s_wait_loadcnt_dscnt 0x900
	v_mul_f64_e32 v[177:178], v[169:170], v[32:33]
	v_mul_f64_e32 v[32:33], v[171:172], v[32:33]
	v_add_f64_e32 v[173:174], v[173:174], v[181:182]
	v_add_f64_e32 v[175:176], v[175:176], v[179:180]
	v_fma_f64 v[179:180], v[4:5], v[26:27], v[183:184]
	v_fma_f64 v[181:182], v[2:3], v[26:27], -v[28:29]
	ds_load_b128 v[2:5], v1 offset:1152
	scratch_load_b128 v[26:29], off, off offset:384
	v_fma_f64 v[171:172], v[171:172], v[30:31], v[177:178]
	v_fma_f64 v[169:170], v[169:170], v[30:31], -v[32:33]
	scratch_load_b128 v[30:33], off, off offset:400
	v_add_f64_e32 v[173:174], v[173:174], v[38:39]
	v_add_f64_e32 v[175:176], v[175:176], v[40:41]
	ds_load_b128 v[38:41], v1 offset:1168
	s_wait_loadcnt_dscnt 0xa01
	v_mul_f64_e32 v[183:184], v[2:3], v[36:37]
	v_mul_f64_e32 v[36:37], v[4:5], v[36:37]
	s_wait_loadcnt_dscnt 0x800
	v_mul_f64_e32 v[177:178], v[38:39], v[167:168]
	v_add_f64_e32 v[173:174], v[173:174], v[181:182]
	v_add_f64_e32 v[175:176], v[175:176], v[179:180]
	v_mul_f64_e32 v[179:180], v[40:41], v[167:168]
	v_fma_f64 v[181:182], v[4:5], v[34:35], v[183:184]
	v_fma_f64 v[183:184], v[2:3], v[34:35], -v[36:37]
	ds_load_b128 v[2:5], v1 offset:1184
	scratch_load_b128 v[34:37], off, off offset:416
	v_fma_f64 v[177:178], v[40:41], v[165:166], v[177:178]
	v_add_f64_e32 v[173:174], v[173:174], v[169:170]
	v_add_f64_e32 v[171:172], v[175:176], v[171:172]
	ds_load_b128 v[167:170], v1 offset:1200
	v_fma_f64 v[165:166], v[38:39], v[165:166], -v[179:180]
	scratch_load_b128 v[38:41], off, off offset:432
	s_wait_loadcnt_dscnt 0x901
	v_mul_f64_e32 v[175:176], v[2:3], v[44:45]
	v_mul_f64_e32 v[44:45], v[4:5], v[44:45]
	s_wait_loadcnt_dscnt 0x800
	v_mul_f64_e32 v[179:180], v[167:168], v[8:9]
	v_mul_f64_e32 v[8:9], v[169:170], v[8:9]
	v_add_f64_e32 v[173:174], v[173:174], v[183:184]
	v_add_f64_e32 v[171:172], v[171:172], v[181:182]
	v_fma_f64 v[175:176], v[4:5], v[42:43], v[175:176]
	v_fma_f64 v[181:182], v[2:3], v[42:43], -v[44:45]
	ds_load_b128 v[2:5], v1 offset:1216
	scratch_load_b128 v[42:45], off, off offset:448
	v_fma_f64 v[169:170], v[169:170], v[6:7], v[179:180]
	v_fma_f64 v[167:168], v[167:168], v[6:7], -v[8:9]
	scratch_load_b128 v[6:9], off, off offset:464
	v_add_f64_e32 v[165:166], v[173:174], v[165:166]
	v_add_f64_e32 v[177:178], v[171:172], v[177:178]
	ds_load_b128 v[171:174], v1 offset:1232
	s_wait_loadcnt_dscnt 0x901
	v_mul_f64_e32 v[183:184], v[2:3], v[12:13]
	v_mul_f64_e32 v[12:13], v[4:5], v[12:13]
	v_add_f64_e32 v[165:166], v[165:166], v[181:182]
	v_add_f64_e32 v[175:176], v[177:178], v[175:176]
	s_wait_loadcnt_dscnt 0x800
	v_mul_f64_e32 v[177:178], v[171:172], v[16:17]
	v_mul_f64_e32 v[16:17], v[173:174], v[16:17]
	v_fma_f64 v[179:180], v[4:5], v[10:11], v[183:184]
	v_fma_f64 v[181:182], v[2:3], v[10:11], -v[12:13]
	ds_load_b128 v[2:5], v1 offset:1248
	scratch_load_b128 v[10:13], off, off offset:480
	v_add_f64_e32 v[183:184], v[165:166], v[167:168]
	v_add_f64_e32 v[169:170], v[175:176], v[169:170]
	ds_load_b128 v[165:168], v1 offset:1264
	s_wait_loadcnt_dscnt 0x801
	v_mul_f64_e32 v[175:176], v[2:3], v[20:21]
	v_mul_f64_e32 v[20:21], v[4:5], v[20:21]
	v_fma_f64 v[173:174], v[173:174], v[14:15], v[177:178]
	v_fma_f64 v[171:172], v[171:172], v[14:15], -v[16:17]
	scratch_load_b128 v[14:17], off, off offset:496
	v_add_f64_e32 v[177:178], v[183:184], v[181:182]
	v_add_f64_e32 v[169:170], v[169:170], v[179:180]
	s_wait_loadcnt_dscnt 0x800
	v_mul_f64_e32 v[179:180], v[165:166], v[24:25]
	v_mul_f64_e32 v[24:25], v[167:168], v[24:25]
	v_fma_f64 v[175:176], v[4:5], v[18:19], v[175:176]
	v_fma_f64 v[181:182], v[2:3], v[18:19], -v[20:21]
	ds_load_b128 v[2:5], v1 offset:1280
	scratch_load_b128 v[18:21], off, off offset:512
	v_add_f64_e32 v[177:178], v[177:178], v[171:172]
	v_add_f64_e32 v[173:174], v[169:170], v[173:174]
	ds_load_b128 v[169:172], v1 offset:1296
	s_wait_loadcnt_dscnt 0x801
	v_mul_f64_e32 v[183:184], v[2:3], v[28:29]
	v_mul_f64_e32 v[28:29], v[4:5], v[28:29]
	v_fma_f64 v[167:168], v[167:168], v[22:23], v[179:180]
	v_fma_f64 v[165:166], v[165:166], v[22:23], -v[24:25]
	scratch_load_b128 v[22:25], off, off offset:528
	;; [unrolled: 18-line block ×4, first 2 shown]
	s_wait_loadcnt_dscnt 0x800
	v_mul_f64_e32 v[177:178], v[169:170], v[8:9]
	v_mul_f64_e32 v[8:9], v[171:172], v[8:9]
	v_add_f64_e32 v[175:176], v[175:176], v[181:182]
	v_add_f64_e32 v[173:174], v[173:174], v[179:180]
	v_fma_f64 v[179:180], v[4:5], v[42:43], v[183:184]
	v_fma_f64 v[181:182], v[2:3], v[42:43], -v[44:45]
	ds_load_b128 v[2:5], v1 offset:1376
	scratch_load_b128 v[42:45], off, off offset:608
	v_fma_f64 v[171:172], v[171:172], v[6:7], v[177:178]
	v_fma_f64 v[169:170], v[169:170], v[6:7], -v[8:9]
	scratch_load_b128 v[6:9], off, off offset:624
	v_add_f64_e32 v[175:176], v[175:176], v[165:166]
	v_add_f64_e32 v[173:174], v[173:174], v[167:168]
	ds_load_b128 v[165:168], v1 offset:1392
	s_wait_loadcnt_dscnt 0x901
	v_mul_f64_e32 v[183:184], v[2:3], v[12:13]
	v_mul_f64_e32 v[12:13], v[4:5], v[12:13]
	s_wait_loadcnt_dscnt 0x800
	v_mul_f64_e32 v[177:178], v[165:166], v[16:17]
	v_mul_f64_e32 v[16:17], v[167:168], v[16:17]
	v_add_f64_e32 v[175:176], v[175:176], v[181:182]
	v_add_f64_e32 v[173:174], v[173:174], v[179:180]
	v_fma_f64 v[179:180], v[4:5], v[10:11], v[183:184]
	v_fma_f64 v[181:182], v[2:3], v[10:11], -v[12:13]
	ds_load_b128 v[2:5], v1 offset:1408
	scratch_load_b128 v[10:13], off, off offset:640
	v_fma_f64 v[167:168], v[167:168], v[14:15], v[177:178]
	v_fma_f64 v[165:166], v[165:166], v[14:15], -v[16:17]
	scratch_load_b128 v[14:17], off, off offset:656
	v_add_f64_e32 v[175:176], v[175:176], v[169:170]
	v_add_f64_e32 v[173:174], v[173:174], v[171:172]
	ds_load_b128 v[169:172], v1 offset:1424
	s_wait_loadcnt_dscnt 0x901
	v_mul_f64_e32 v[183:184], v[2:3], v[20:21]
	v_mul_f64_e32 v[20:21], v[4:5], v[20:21]
	;; [unrolled: 18-line block ×10, first 2 shown]
	s_wait_loadcnt_dscnt 0x800
	v_mul_f64_e32 v[177:178], v[169:170], v[8:9]
	v_mul_f64_e32 v[8:9], v[171:172], v[8:9]
	v_add_f64_e32 v[175:176], v[175:176], v[181:182]
	v_add_f64_e32 v[173:174], v[173:174], v[179:180]
	v_fma_f64 v[179:180], v[4:5], v[42:43], v[183:184]
	v_fma_f64 v[181:182], v[2:3], v[42:43], -v[44:45]
	ds_load_b128 v[2:5], v1 offset:1696
	ds_load_b128 v[42:45], v1 offset:1712
	v_fma_f64 v[171:172], v[171:172], v[6:7], v[177:178]
	v_fma_f64 v[6:7], v[169:170], v[6:7], -v[8:9]
	v_add_f64_e32 v[165:166], v[175:176], v[165:166]
	v_add_f64_e32 v[167:168], v[173:174], v[167:168]
	s_wait_loadcnt_dscnt 0x701
	v_mul_f64_e32 v[173:174], v[2:3], v[12:13]
	v_mul_f64_e32 v[12:13], v[4:5], v[12:13]
	s_delay_alu instid0(VALU_DEP_4) | instskip(NEXT) | instid1(VALU_DEP_4)
	v_add_f64_e32 v[8:9], v[165:166], v[181:182]
	v_add_f64_e32 v[165:166], v[167:168], v[179:180]
	s_wait_loadcnt_dscnt 0x600
	v_mul_f64_e32 v[167:168], v[42:43], v[16:17]
	v_mul_f64_e32 v[16:17], v[44:45], v[16:17]
	v_fma_f64 v[169:170], v[4:5], v[10:11], v[173:174]
	v_fma_f64 v[10:11], v[2:3], v[10:11], -v[12:13]
	v_add_f64_e32 v[12:13], v[8:9], v[6:7]
	v_add_f64_e32 v[165:166], v[165:166], v[171:172]
	ds_load_b128 v[2:5], v1 offset:1728
	ds_load_b128 v[6:9], v1 offset:1744
	v_fma_f64 v[44:45], v[44:45], v[14:15], v[167:168]
	v_fma_f64 v[14:15], v[42:43], v[14:15], -v[16:17]
	s_wait_loadcnt_dscnt 0x501
	v_mul_f64_e32 v[171:172], v[2:3], v[20:21]
	v_mul_f64_e32 v[20:21], v[4:5], v[20:21]
	s_wait_loadcnt_dscnt 0x400
	v_mul_f64_e32 v[16:17], v[6:7], v[24:25]
	v_mul_f64_e32 v[24:25], v[8:9], v[24:25]
	v_add_f64_e32 v[10:11], v[12:13], v[10:11]
	v_add_f64_e32 v[12:13], v[165:166], v[169:170]
	v_fma_f64 v[42:43], v[4:5], v[18:19], v[171:172]
	v_fma_f64 v[18:19], v[2:3], v[18:19], -v[20:21]
	v_fma_f64 v[8:9], v[8:9], v[22:23], v[16:17]
	v_fma_f64 v[6:7], v[6:7], v[22:23], -v[24:25]
	v_add_f64_e32 v[14:15], v[10:11], v[14:15]
	v_add_f64_e32 v[20:21], v[12:13], v[44:45]
	ds_load_b128 v[2:5], v1 offset:1760
	ds_load_b128 v[10:13], v1 offset:1776
	s_wait_loadcnt_dscnt 0x301
	v_mul_f64_e32 v[44:45], v[2:3], v[28:29]
	v_mul_f64_e32 v[28:29], v[4:5], v[28:29]
	v_add_f64_e32 v[14:15], v[14:15], v[18:19]
	v_add_f64_e32 v[16:17], v[20:21], v[42:43]
	s_wait_loadcnt_dscnt 0x200
	v_mul_f64_e32 v[18:19], v[10:11], v[32:33]
	v_mul_f64_e32 v[20:21], v[12:13], v[32:33]
	v_fma_f64 v[22:23], v[4:5], v[26:27], v[44:45]
	v_fma_f64 v[24:25], v[2:3], v[26:27], -v[28:29]
	v_add_f64_e32 v[14:15], v[14:15], v[6:7]
	v_add_f64_e32 v[16:17], v[16:17], v[8:9]
	ds_load_b128 v[2:5], v1 offset:1792
	ds_load_b128 v[6:9], v1 offset:1808
	v_fma_f64 v[12:13], v[12:13], v[30:31], v[18:19]
	v_fma_f64 v[10:11], v[10:11], v[30:31], -v[20:21]
	s_wait_loadcnt_dscnt 0x101
	v_mul_f64_e32 v[26:27], v[2:3], v[36:37]
	v_mul_f64_e32 v[28:29], v[4:5], v[36:37]
	s_wait_loadcnt_dscnt 0x0
	v_mul_f64_e32 v[18:19], v[6:7], v[40:41]
	v_mul_f64_e32 v[20:21], v[8:9], v[40:41]
	v_add_f64_e32 v[14:15], v[14:15], v[24:25]
	v_add_f64_e32 v[16:17], v[16:17], v[22:23]
	v_fma_f64 v[4:5], v[4:5], v[34:35], v[26:27]
	v_fma_f64 v[1:2], v[2:3], v[34:35], -v[28:29]
	v_fma_f64 v[8:9], v[8:9], v[38:39], v[18:19]
	v_fma_f64 v[6:7], v[6:7], v[38:39], -v[20:21]
	v_add_f64_e32 v[10:11], v[14:15], v[10:11]
	v_add_f64_e32 v[12:13], v[16:17], v[12:13]
	s_delay_alu instid0(VALU_DEP_2) | instskip(NEXT) | instid1(VALU_DEP_2)
	v_add_f64_e32 v[1:2], v[10:11], v[1:2]
	v_add_f64_e32 v[3:4], v[12:13], v[4:5]
	s_delay_alu instid0(VALU_DEP_2) | instskip(NEXT) | instid1(VALU_DEP_2)
	;; [unrolled: 3-line block ×3, first 2 shown]
	v_add_f64_e64 v[1:2], v[161:162], -v[1:2]
	v_add_f64_e64 v[3:4], v[163:164], -v[3:4]
	scratch_store_b128 off, v[1:4], off offset:112
	v_cmpx_lt_u32_e32 5, v0
	s_cbranch_execz .LBB56_345
; %bb.344:
	scratch_load_b128 v[1:4], off, s65
	v_mov_b32_e32 v5, 0
	s_delay_alu instid0(VALU_DEP_1)
	v_dual_mov_b32 v6, v5 :: v_dual_mov_b32 v7, v5
	v_mov_b32_e32 v8, v5
	scratch_store_b128 off, v[5:8], off offset:96
	s_wait_loadcnt 0x0
	ds_store_b128 v160, v[1:4]
.LBB56_345:
	s_wait_alu 0xfffe
	s_or_b32 exec_lo, exec_lo, s0
	s_wait_storecnt_dscnt 0x0
	s_barrier_signal -1
	s_barrier_wait -1
	global_inv scope:SCOPE_SE
	s_clause 0x7
	scratch_load_b128 v[2:5], off, off offset:112
	scratch_load_b128 v[6:9], off, off offset:128
	;; [unrolled: 1-line block ×8, first 2 shown]
	v_mov_b32_e32 v1, 0
	s_mov_b32 s0, exec_lo
	ds_load_b128 v[38:41], v1 offset:1008
	s_clause 0x1
	scratch_load_b128 v[34:37], off, off offset:240
	scratch_load_b128 v[42:45], off, off offset:96
	ds_load_b128 v[161:164], v1 offset:1024
	scratch_load_b128 v[165:168], off, off offset:256
	s_wait_loadcnt_dscnt 0xa01
	v_mul_f64_e32 v[169:170], v[40:41], v[4:5]
	v_mul_f64_e32 v[4:5], v[38:39], v[4:5]
	s_delay_alu instid0(VALU_DEP_2) | instskip(NEXT) | instid1(VALU_DEP_2)
	v_fma_f64 v[175:176], v[38:39], v[2:3], -v[169:170]
	v_fma_f64 v[177:178], v[40:41], v[2:3], v[4:5]
	ds_load_b128 v[2:5], v1 offset:1040
	s_wait_loadcnt_dscnt 0x901
	v_mul_f64_e32 v[173:174], v[161:162], v[8:9]
	v_mul_f64_e32 v[8:9], v[163:164], v[8:9]
	scratch_load_b128 v[38:41], off, off offset:272
	ds_load_b128 v[169:172], v1 offset:1056
	s_wait_loadcnt_dscnt 0x901
	v_mul_f64_e32 v[179:180], v[2:3], v[12:13]
	v_mul_f64_e32 v[12:13], v[4:5], v[12:13]
	v_fma_f64 v[163:164], v[163:164], v[6:7], v[173:174]
	v_fma_f64 v[161:162], v[161:162], v[6:7], -v[8:9]
	v_add_f64_e32 v[173:174], 0, v[175:176]
	v_add_f64_e32 v[175:176], 0, v[177:178]
	scratch_load_b128 v[6:9], off, off offset:288
	v_fma_f64 v[179:180], v[4:5], v[10:11], v[179:180]
	v_fma_f64 v[181:182], v[2:3], v[10:11], -v[12:13]
	ds_load_b128 v[2:5], v1 offset:1072
	s_wait_loadcnt_dscnt 0x901
	v_mul_f64_e32 v[177:178], v[169:170], v[16:17]
	v_mul_f64_e32 v[16:17], v[171:172], v[16:17]
	scratch_load_b128 v[10:13], off, off offset:304
	v_add_f64_e32 v[173:174], v[173:174], v[161:162]
	v_add_f64_e32 v[175:176], v[175:176], v[163:164]
	s_wait_loadcnt_dscnt 0x900
	v_mul_f64_e32 v[183:184], v[2:3], v[20:21]
	v_mul_f64_e32 v[20:21], v[4:5], v[20:21]
	ds_load_b128 v[161:164], v1 offset:1088
	v_fma_f64 v[171:172], v[171:172], v[14:15], v[177:178]
	v_fma_f64 v[169:170], v[169:170], v[14:15], -v[16:17]
	scratch_load_b128 v[14:17], off, off offset:320
	v_add_f64_e32 v[173:174], v[173:174], v[181:182]
	v_add_f64_e32 v[175:176], v[175:176], v[179:180]
	v_fma_f64 v[179:180], v[4:5], v[18:19], v[183:184]
	v_fma_f64 v[181:182], v[2:3], v[18:19], -v[20:21]
	ds_load_b128 v[2:5], v1 offset:1104
	s_wait_loadcnt_dscnt 0x901
	v_mul_f64_e32 v[177:178], v[161:162], v[24:25]
	v_mul_f64_e32 v[24:25], v[163:164], v[24:25]
	scratch_load_b128 v[18:21], off, off offset:336
	s_wait_loadcnt_dscnt 0x900
	v_mul_f64_e32 v[183:184], v[2:3], v[28:29]
	v_mul_f64_e32 v[28:29], v[4:5], v[28:29]
	v_add_f64_e32 v[173:174], v[173:174], v[169:170]
	v_add_f64_e32 v[175:176], v[175:176], v[171:172]
	ds_load_b128 v[169:172], v1 offset:1120
	v_fma_f64 v[163:164], v[163:164], v[22:23], v[177:178]
	v_fma_f64 v[161:162], v[161:162], v[22:23], -v[24:25]
	scratch_load_b128 v[22:25], off, off offset:352
	v_add_f64_e32 v[173:174], v[173:174], v[181:182]
	v_add_f64_e32 v[175:176], v[175:176], v[179:180]
	v_fma_f64 v[179:180], v[4:5], v[26:27], v[183:184]
	v_fma_f64 v[181:182], v[2:3], v[26:27], -v[28:29]
	ds_load_b128 v[2:5], v1 offset:1136
	s_wait_loadcnt_dscnt 0x901
	v_mul_f64_e32 v[177:178], v[169:170], v[32:33]
	v_mul_f64_e32 v[32:33], v[171:172], v[32:33]
	scratch_load_b128 v[26:29], off, off offset:368
	s_wait_loadcnt_dscnt 0x900
	v_mul_f64_e32 v[183:184], v[2:3], v[36:37]
	v_mul_f64_e32 v[36:37], v[4:5], v[36:37]
	v_add_f64_e32 v[173:174], v[173:174], v[161:162]
	v_add_f64_e32 v[175:176], v[175:176], v[163:164]
	ds_load_b128 v[161:164], v1 offset:1152
	v_fma_f64 v[171:172], v[171:172], v[30:31], v[177:178]
	v_fma_f64 v[169:170], v[169:170], v[30:31], -v[32:33]
	scratch_load_b128 v[30:33], off, off offset:384
	v_add_f64_e32 v[173:174], v[173:174], v[181:182]
	v_add_f64_e32 v[175:176], v[175:176], v[179:180]
	v_fma_f64 v[181:182], v[4:5], v[34:35], v[183:184]
	v_fma_f64 v[183:184], v[2:3], v[34:35], -v[36:37]
	ds_load_b128 v[2:5], v1 offset:1168
	s_wait_loadcnt_dscnt 0x801
	v_mul_f64_e32 v[177:178], v[161:162], v[167:168]
	v_mul_f64_e32 v[179:180], v[163:164], v[167:168]
	scratch_load_b128 v[34:37], off, off offset:400
	v_add_f64_e32 v[173:174], v[173:174], v[169:170]
	v_add_f64_e32 v[171:172], v[175:176], v[171:172]
	ds_load_b128 v[167:170], v1 offset:1184
	v_fma_f64 v[177:178], v[163:164], v[165:166], v[177:178]
	v_fma_f64 v[165:166], v[161:162], v[165:166], -v[179:180]
	scratch_load_b128 v[161:164], off, off offset:416
	s_wait_loadcnt_dscnt 0x901
	v_mul_f64_e32 v[175:176], v[2:3], v[40:41]
	v_mul_f64_e32 v[40:41], v[4:5], v[40:41]
	v_add_f64_e32 v[173:174], v[173:174], v[183:184]
	v_add_f64_e32 v[171:172], v[171:172], v[181:182]
	s_delay_alu instid0(VALU_DEP_4) | instskip(NEXT) | instid1(VALU_DEP_4)
	v_fma_f64 v[175:176], v[4:5], v[38:39], v[175:176]
	v_fma_f64 v[181:182], v[2:3], v[38:39], -v[40:41]
	ds_load_b128 v[2:5], v1 offset:1200
	s_wait_loadcnt_dscnt 0x801
	v_mul_f64_e32 v[179:180], v[167:168], v[8:9]
	v_mul_f64_e32 v[8:9], v[169:170], v[8:9]
	scratch_load_b128 v[38:41], off, off offset:432
	s_wait_loadcnt_dscnt 0x800
	v_mul_f64_e32 v[183:184], v[2:3], v[12:13]
	v_add_f64_e32 v[165:166], v[173:174], v[165:166]
	v_add_f64_e32 v[177:178], v[171:172], v[177:178]
	v_mul_f64_e32 v[12:13], v[4:5], v[12:13]
	ds_load_b128 v[171:174], v1 offset:1216
	v_fma_f64 v[169:170], v[169:170], v[6:7], v[179:180]
	v_fma_f64 v[167:168], v[167:168], v[6:7], -v[8:9]
	scratch_load_b128 v[6:9], off, off offset:448
	v_fma_f64 v[179:180], v[4:5], v[10:11], v[183:184]
	v_add_f64_e32 v[165:166], v[165:166], v[181:182]
	v_add_f64_e32 v[175:176], v[177:178], v[175:176]
	v_fma_f64 v[181:182], v[2:3], v[10:11], -v[12:13]
	ds_load_b128 v[2:5], v1 offset:1232
	s_wait_loadcnt_dscnt 0x801
	v_mul_f64_e32 v[177:178], v[171:172], v[16:17]
	v_mul_f64_e32 v[16:17], v[173:174], v[16:17]
	scratch_load_b128 v[10:13], off, off offset:464
	v_add_f64_e32 v[183:184], v[165:166], v[167:168]
	v_add_f64_e32 v[169:170], v[175:176], v[169:170]
	s_wait_loadcnt_dscnt 0x800
	v_mul_f64_e32 v[175:176], v[2:3], v[20:21]
	v_mul_f64_e32 v[20:21], v[4:5], v[20:21]
	v_fma_f64 v[173:174], v[173:174], v[14:15], v[177:178]
	v_fma_f64 v[171:172], v[171:172], v[14:15], -v[16:17]
	ds_load_b128 v[165:168], v1 offset:1248
	scratch_load_b128 v[14:17], off, off offset:480
	v_add_f64_e32 v[177:178], v[183:184], v[181:182]
	v_add_f64_e32 v[169:170], v[169:170], v[179:180]
	v_fma_f64 v[175:176], v[4:5], v[18:19], v[175:176]
	v_fma_f64 v[181:182], v[2:3], v[18:19], -v[20:21]
	ds_load_b128 v[2:5], v1 offset:1264
	s_wait_loadcnt_dscnt 0x801
	v_mul_f64_e32 v[179:180], v[165:166], v[24:25]
	v_mul_f64_e32 v[24:25], v[167:168], v[24:25]
	scratch_load_b128 v[18:21], off, off offset:496
	s_wait_loadcnt_dscnt 0x800
	v_mul_f64_e32 v[183:184], v[2:3], v[28:29]
	v_mul_f64_e32 v[28:29], v[4:5], v[28:29]
	v_add_f64_e32 v[177:178], v[177:178], v[171:172]
	v_add_f64_e32 v[173:174], v[169:170], v[173:174]
	ds_load_b128 v[169:172], v1 offset:1280
	v_fma_f64 v[167:168], v[167:168], v[22:23], v[179:180]
	v_fma_f64 v[165:166], v[165:166], v[22:23], -v[24:25]
	scratch_load_b128 v[22:25], off, off offset:512
	v_fma_f64 v[179:180], v[4:5], v[26:27], v[183:184]
	v_add_f64_e32 v[177:178], v[177:178], v[181:182]
	v_add_f64_e32 v[173:174], v[173:174], v[175:176]
	v_fma_f64 v[181:182], v[2:3], v[26:27], -v[28:29]
	ds_load_b128 v[2:5], v1 offset:1296
	s_wait_loadcnt_dscnt 0x801
	v_mul_f64_e32 v[175:176], v[169:170], v[32:33]
	v_mul_f64_e32 v[32:33], v[171:172], v[32:33]
	scratch_load_b128 v[26:29], off, off offset:528
	s_wait_loadcnt_dscnt 0x800
	v_mul_f64_e32 v[183:184], v[2:3], v[36:37]
	v_mul_f64_e32 v[36:37], v[4:5], v[36:37]
	v_add_f64_e32 v[177:178], v[177:178], v[165:166]
	v_add_f64_e32 v[173:174], v[173:174], v[167:168]
	ds_load_b128 v[165:168], v1 offset:1312
	v_fma_f64 v[171:172], v[171:172], v[30:31], v[175:176]
	v_fma_f64 v[169:170], v[169:170], v[30:31], -v[32:33]
	scratch_load_b128 v[30:33], off, off offset:544
	v_add_f64_e32 v[175:176], v[177:178], v[181:182]
	v_add_f64_e32 v[173:174], v[173:174], v[179:180]
	v_fma_f64 v[179:180], v[4:5], v[34:35], v[183:184]
	v_fma_f64 v[181:182], v[2:3], v[34:35], -v[36:37]
	ds_load_b128 v[2:5], v1 offset:1328
	s_wait_loadcnt_dscnt 0x801
	v_mul_f64_e32 v[177:178], v[165:166], v[163:164]
	v_mul_f64_e32 v[163:164], v[167:168], v[163:164]
	scratch_load_b128 v[34:37], off, off offset:560
	s_wait_loadcnt_dscnt 0x800
	v_mul_f64_e32 v[183:184], v[2:3], v[40:41]
	v_mul_f64_e32 v[40:41], v[4:5], v[40:41]
	v_add_f64_e32 v[175:176], v[175:176], v[169:170]
	v_add_f64_e32 v[173:174], v[173:174], v[171:172]
	ds_load_b128 v[169:172], v1 offset:1344
	v_fma_f64 v[167:168], v[167:168], v[161:162], v[177:178]
	v_fma_f64 v[165:166], v[165:166], v[161:162], -v[163:164]
	scratch_load_b128 v[161:164], off, off offset:576
	v_add_f64_e32 v[175:176], v[175:176], v[181:182]
	v_add_f64_e32 v[173:174], v[173:174], v[179:180]
	v_fma_f64 v[179:180], v[4:5], v[38:39], v[183:184]
	;; [unrolled: 18-line block ×6, first 2 shown]
	v_fma_f64 v[183:184], v[2:3], v[34:35], -v[36:37]
	ds_load_b128 v[2:5], v1 offset:1488
	s_wait_loadcnt_dscnt 0x801
	v_mul_f64_e32 v[177:178], v[169:170], v[163:164]
	v_mul_f64_e32 v[179:180], v[171:172], v[163:164]
	scratch_load_b128 v[34:37], off, off offset:720
	v_add_f64_e32 v[175:176], v[175:176], v[165:166]
	v_add_f64_e32 v[167:168], v[173:174], v[167:168]
	s_wait_loadcnt_dscnt 0x800
	v_mul_f64_e32 v[173:174], v[2:3], v[40:41]
	v_mul_f64_e32 v[40:41], v[4:5], v[40:41]
	ds_load_b128 v[163:166], v1 offset:1504
	v_fma_f64 v[171:172], v[171:172], v[161:162], v[177:178]
	v_fma_f64 v[161:162], v[169:170], v[161:162], -v[179:180]
	v_add_f64_e32 v[175:176], v[175:176], v[183:184]
	v_add_f64_e32 v[177:178], v[167:168], v[181:182]
	scratch_load_b128 v[167:170], off, off offset:736
	v_fma_f64 v[181:182], v[4:5], v[38:39], v[173:174]
	v_fma_f64 v[183:184], v[2:3], v[38:39], -v[40:41]
	ds_load_b128 v[2:5], v1 offset:1520
	s_wait_loadcnt_dscnt 0x801
	v_mul_f64_e32 v[179:180], v[163:164], v[8:9]
	v_mul_f64_e32 v[8:9], v[165:166], v[8:9]
	scratch_load_b128 v[38:41], off, off offset:752
	v_add_f64_e32 v[161:162], v[175:176], v[161:162]
	v_add_f64_e32 v[175:176], v[177:178], v[171:172]
	s_wait_loadcnt_dscnt 0x800
	v_mul_f64_e32 v[177:178], v[2:3], v[12:13]
	v_mul_f64_e32 v[12:13], v[4:5], v[12:13]
	ds_load_b128 v[171:174], v1 offset:1536
	v_fma_f64 v[165:166], v[165:166], v[6:7], v[179:180]
	v_fma_f64 v[163:164], v[163:164], v[6:7], -v[8:9]
	scratch_load_b128 v[6:9], off, off offset:768
	v_add_f64_e32 v[161:162], v[161:162], v[183:184]
	v_add_f64_e32 v[175:176], v[175:176], v[181:182]
	v_fma_f64 v[177:178], v[4:5], v[10:11], v[177:178]
	v_fma_f64 v[181:182], v[2:3], v[10:11], -v[12:13]
	ds_load_b128 v[2:5], v1 offset:1552
	s_wait_loadcnt_dscnt 0x801
	v_mul_f64_e32 v[179:180], v[171:172], v[16:17]
	v_mul_f64_e32 v[16:17], v[173:174], v[16:17]
	scratch_load_b128 v[10:13], off, off offset:784
	v_add_f64_e32 v[183:184], v[161:162], v[163:164]
	v_add_f64_e32 v[165:166], v[175:176], v[165:166]
	s_wait_loadcnt_dscnt 0x800
	v_mul_f64_e32 v[175:176], v[2:3], v[20:21]
	v_mul_f64_e32 v[20:21], v[4:5], v[20:21]
	ds_load_b128 v[161:164], v1 offset:1568
	v_fma_f64 v[173:174], v[173:174], v[14:15], v[179:180]
	v_fma_f64 v[171:172], v[171:172], v[14:15], -v[16:17]
	scratch_load_b128 v[14:17], off, off offset:800
	v_add_f64_e32 v[179:180], v[183:184], v[181:182]
	v_add_f64_e32 v[165:166], v[165:166], v[177:178]
	v_fma_f64 v[175:176], v[4:5], v[18:19], v[175:176]
	v_fma_f64 v[181:182], v[2:3], v[18:19], -v[20:21]
	ds_load_b128 v[2:5], v1 offset:1584
	s_wait_loadcnt_dscnt 0x801
	v_mul_f64_e32 v[177:178], v[161:162], v[24:25]
	v_mul_f64_e32 v[24:25], v[163:164], v[24:25]
	scratch_load_b128 v[18:21], off, off offset:816
	s_wait_loadcnt_dscnt 0x800
	v_mul_f64_e32 v[183:184], v[2:3], v[28:29]
	v_mul_f64_e32 v[28:29], v[4:5], v[28:29]
	v_add_f64_e32 v[179:180], v[179:180], v[171:172]
	v_add_f64_e32 v[165:166], v[165:166], v[173:174]
	ds_load_b128 v[171:174], v1 offset:1600
	v_fma_f64 v[163:164], v[163:164], v[22:23], v[177:178]
	v_fma_f64 v[161:162], v[161:162], v[22:23], -v[24:25]
	scratch_load_b128 v[22:25], off, off offset:832
	v_add_f64_e32 v[177:178], v[179:180], v[181:182]
	v_add_f64_e32 v[165:166], v[165:166], v[175:176]
	v_fma_f64 v[179:180], v[4:5], v[26:27], v[183:184]
	v_fma_f64 v[181:182], v[2:3], v[26:27], -v[28:29]
	ds_load_b128 v[2:5], v1 offset:1616
	s_wait_loadcnt_dscnt 0x801
	v_mul_f64_e32 v[175:176], v[171:172], v[32:33]
	v_mul_f64_e32 v[32:33], v[173:174], v[32:33]
	scratch_load_b128 v[26:29], off, off offset:848
	s_wait_loadcnt_dscnt 0x800
	v_mul_f64_e32 v[183:184], v[2:3], v[36:37]
	v_mul_f64_e32 v[36:37], v[4:5], v[36:37]
	v_add_f64_e32 v[177:178], v[177:178], v[161:162]
	v_add_f64_e32 v[165:166], v[165:166], v[163:164]
	ds_load_b128 v[161:164], v1 offset:1632
	v_fma_f64 v[173:174], v[173:174], v[30:31], v[175:176]
	v_fma_f64 v[171:172], v[171:172], v[30:31], -v[32:33]
	scratch_load_b128 v[30:33], off, off offset:864
	v_add_f64_e32 v[175:176], v[177:178], v[181:182]
	v_add_f64_e32 v[165:166], v[165:166], v[179:180]
	v_fma_f64 v[181:182], v[4:5], v[34:35], v[183:184]
	v_fma_f64 v[183:184], v[2:3], v[34:35], -v[36:37]
	ds_load_b128 v[2:5], v1 offset:1648
	scratch_load_b128 v[34:37], off, off offset:880
	s_wait_loadcnt_dscnt 0x901
	v_mul_f64_e32 v[177:178], v[161:162], v[169:170]
	v_mul_f64_e32 v[179:180], v[163:164], v[169:170]
	v_add_f64_e32 v[175:176], v[175:176], v[171:172]
	v_add_f64_e32 v[165:166], v[165:166], v[173:174]
	s_wait_loadcnt_dscnt 0x800
	v_mul_f64_e32 v[173:174], v[2:3], v[40:41]
	v_mul_f64_e32 v[40:41], v[4:5], v[40:41]
	ds_load_b128 v[169:172], v1 offset:1664
	v_fma_f64 v[177:178], v[163:164], v[167:168], v[177:178]
	v_fma_f64 v[167:168], v[161:162], v[167:168], -v[179:180]
	scratch_load_b128 v[161:164], off, off offset:896
	v_add_f64_e32 v[175:176], v[175:176], v[183:184]
	v_add_f64_e32 v[165:166], v[165:166], v[181:182]
	v_fma_f64 v[173:174], v[4:5], v[38:39], v[173:174]
	v_fma_f64 v[181:182], v[2:3], v[38:39], -v[40:41]
	ds_load_b128 v[2:5], v1 offset:1680
	s_wait_loadcnt_dscnt 0x801
	v_mul_f64_e32 v[179:180], v[169:170], v[8:9]
	v_mul_f64_e32 v[8:9], v[171:172], v[8:9]
	scratch_load_b128 v[38:41], off, off offset:912
	s_wait_loadcnt_dscnt 0x800
	v_mul_f64_e32 v[183:184], v[2:3], v[12:13]
	v_mul_f64_e32 v[12:13], v[4:5], v[12:13]
	v_add_f64_e32 v[175:176], v[175:176], v[167:168]
	v_add_f64_e32 v[177:178], v[165:166], v[177:178]
	ds_load_b128 v[165:168], v1 offset:1696
	v_fma_f64 v[171:172], v[171:172], v[6:7], v[179:180]
	v_fma_f64 v[6:7], v[169:170], v[6:7], -v[8:9]
	v_add_f64_e32 v[8:9], v[175:176], v[181:182]
	v_add_f64_e32 v[169:170], v[177:178], v[173:174]
	s_wait_loadcnt_dscnt 0x700
	v_mul_f64_e32 v[173:174], v[165:166], v[16:17]
	v_mul_f64_e32 v[16:17], v[167:168], v[16:17]
	v_fma_f64 v[175:176], v[4:5], v[10:11], v[183:184]
	v_fma_f64 v[10:11], v[2:3], v[10:11], -v[12:13]
	v_add_f64_e32 v[12:13], v[8:9], v[6:7]
	v_add_f64_e32 v[169:170], v[169:170], v[171:172]
	ds_load_b128 v[2:5], v1 offset:1712
	ds_load_b128 v[6:9], v1 offset:1728
	v_fma_f64 v[167:168], v[167:168], v[14:15], v[173:174]
	v_fma_f64 v[14:15], v[165:166], v[14:15], -v[16:17]
	s_wait_loadcnt_dscnt 0x601
	v_mul_f64_e32 v[171:172], v[2:3], v[20:21]
	v_mul_f64_e32 v[20:21], v[4:5], v[20:21]
	s_wait_loadcnt_dscnt 0x500
	v_mul_f64_e32 v[16:17], v[6:7], v[24:25]
	v_mul_f64_e32 v[24:25], v[8:9], v[24:25]
	v_add_f64_e32 v[10:11], v[12:13], v[10:11]
	v_add_f64_e32 v[12:13], v[169:170], v[175:176]
	v_fma_f64 v[165:166], v[4:5], v[18:19], v[171:172]
	v_fma_f64 v[18:19], v[2:3], v[18:19], -v[20:21]
	v_fma_f64 v[8:9], v[8:9], v[22:23], v[16:17]
	v_fma_f64 v[6:7], v[6:7], v[22:23], -v[24:25]
	v_add_f64_e32 v[14:15], v[10:11], v[14:15]
	v_add_f64_e32 v[20:21], v[12:13], v[167:168]
	ds_load_b128 v[2:5], v1 offset:1744
	ds_load_b128 v[10:13], v1 offset:1760
	s_wait_loadcnt_dscnt 0x401
	v_mul_f64_e32 v[167:168], v[2:3], v[28:29]
	v_mul_f64_e32 v[28:29], v[4:5], v[28:29]
	v_add_f64_e32 v[14:15], v[14:15], v[18:19]
	v_add_f64_e32 v[16:17], v[20:21], v[165:166]
	s_wait_loadcnt_dscnt 0x300
	v_mul_f64_e32 v[18:19], v[10:11], v[32:33]
	v_mul_f64_e32 v[20:21], v[12:13], v[32:33]
	v_fma_f64 v[22:23], v[4:5], v[26:27], v[167:168]
	v_fma_f64 v[24:25], v[2:3], v[26:27], -v[28:29]
	v_add_f64_e32 v[14:15], v[14:15], v[6:7]
	v_add_f64_e32 v[16:17], v[16:17], v[8:9]
	ds_load_b128 v[2:5], v1 offset:1776
	ds_load_b128 v[6:9], v1 offset:1792
	v_fma_f64 v[12:13], v[12:13], v[30:31], v[18:19]
	v_fma_f64 v[10:11], v[10:11], v[30:31], -v[20:21]
	s_wait_loadcnt_dscnt 0x201
	v_mul_f64_e32 v[26:27], v[2:3], v[36:37]
	v_mul_f64_e32 v[28:29], v[4:5], v[36:37]
	s_wait_loadcnt_dscnt 0x100
	v_mul_f64_e32 v[18:19], v[6:7], v[163:164]
	v_mul_f64_e32 v[20:21], v[8:9], v[163:164]
	v_add_f64_e32 v[14:15], v[14:15], v[24:25]
	v_add_f64_e32 v[16:17], v[16:17], v[22:23]
	v_fma_f64 v[22:23], v[4:5], v[34:35], v[26:27]
	v_fma_f64 v[24:25], v[2:3], v[34:35], -v[28:29]
	ds_load_b128 v[2:5], v1 offset:1808
	v_fma_f64 v[8:9], v[8:9], v[161:162], v[18:19]
	v_fma_f64 v[6:7], v[6:7], v[161:162], -v[20:21]
	v_add_f64_e32 v[10:11], v[14:15], v[10:11]
	v_add_f64_e32 v[12:13], v[16:17], v[12:13]
	s_wait_loadcnt_dscnt 0x0
	v_mul_f64_e32 v[14:15], v[2:3], v[40:41]
	v_mul_f64_e32 v[16:17], v[4:5], v[40:41]
	s_delay_alu instid0(VALU_DEP_4) | instskip(NEXT) | instid1(VALU_DEP_4)
	v_add_f64_e32 v[10:11], v[10:11], v[24:25]
	v_add_f64_e32 v[12:13], v[12:13], v[22:23]
	s_delay_alu instid0(VALU_DEP_4) | instskip(NEXT) | instid1(VALU_DEP_4)
	v_fma_f64 v[4:5], v[4:5], v[38:39], v[14:15]
	v_fma_f64 v[2:3], v[2:3], v[38:39], -v[16:17]
	s_delay_alu instid0(VALU_DEP_4) | instskip(NEXT) | instid1(VALU_DEP_4)
	v_add_f64_e32 v[6:7], v[10:11], v[6:7]
	v_add_f64_e32 v[8:9], v[12:13], v[8:9]
	s_delay_alu instid0(VALU_DEP_2) | instskip(NEXT) | instid1(VALU_DEP_2)
	v_add_f64_e32 v[2:3], v[6:7], v[2:3]
	v_add_f64_e32 v[4:5], v[8:9], v[4:5]
	s_delay_alu instid0(VALU_DEP_2) | instskip(NEXT) | instid1(VALU_DEP_2)
	v_add_f64_e64 v[2:3], v[42:43], -v[2:3]
	v_add_f64_e64 v[4:5], v[44:45], -v[4:5]
	scratch_store_b128 off, v[2:5], off offset:96
	v_cmpx_lt_u32_e32 4, v0
	s_cbranch_execz .LBB56_347
; %bb.346:
	scratch_load_b128 v[5:8], off, s25
	v_dual_mov_b32 v2, v1 :: v_dual_mov_b32 v3, v1
	v_mov_b32_e32 v4, v1
	scratch_store_b128 off, v[1:4], off offset:80
	s_wait_loadcnt 0x0
	ds_store_b128 v160, v[5:8]
.LBB56_347:
	s_wait_alu 0xfffe
	s_or_b32 exec_lo, exec_lo, s0
	s_wait_storecnt_dscnt 0x0
	s_barrier_signal -1
	s_barrier_wait -1
	global_inv scope:SCOPE_SE
	s_clause 0x8
	scratch_load_b128 v[2:5], off, off offset:96
	scratch_load_b128 v[6:9], off, off offset:112
	scratch_load_b128 v[10:13], off, off offset:128
	scratch_load_b128 v[14:17], off, off offset:144
	scratch_load_b128 v[18:21], off, off offset:160
	scratch_load_b128 v[22:25], off, off offset:176
	scratch_load_b128 v[26:29], off, off offset:192
	scratch_load_b128 v[30:33], off, off offset:208
	scratch_load_b128 v[34:37], off, off offset:224
	ds_load_b128 v[42:45], v1 offset:992
	ds_load_b128 v[38:41], v1 offset:1008
	s_clause 0x1
	scratch_load_b128 v[161:164], off, off offset:80
	scratch_load_b128 v[165:168], off, off offset:240
	s_mov_b32 s0, exec_lo
	s_wait_loadcnt_dscnt 0xa01
	v_mul_f64_e32 v[169:170], v[44:45], v[4:5]
	v_mul_f64_e32 v[4:5], v[42:43], v[4:5]
	s_wait_loadcnt_dscnt 0x900
	v_mul_f64_e32 v[173:174], v[38:39], v[8:9]
	v_mul_f64_e32 v[8:9], v[40:41], v[8:9]
	s_delay_alu instid0(VALU_DEP_4) | instskip(NEXT) | instid1(VALU_DEP_4)
	v_fma_f64 v[175:176], v[42:43], v[2:3], -v[169:170]
	v_fma_f64 v[177:178], v[44:45], v[2:3], v[4:5]
	ds_load_b128 v[2:5], v1 offset:1024
	ds_load_b128 v[169:172], v1 offset:1040
	scratch_load_b128 v[42:45], off, off offset:256
	v_fma_f64 v[40:41], v[40:41], v[6:7], v[173:174]
	v_fma_f64 v[38:39], v[38:39], v[6:7], -v[8:9]
	scratch_load_b128 v[6:9], off, off offset:272
	s_wait_loadcnt_dscnt 0xa01
	v_mul_f64_e32 v[179:180], v[2:3], v[12:13]
	v_mul_f64_e32 v[12:13], v[4:5], v[12:13]
	v_add_f64_e32 v[173:174], 0, v[175:176]
	v_add_f64_e32 v[175:176], 0, v[177:178]
	s_wait_loadcnt_dscnt 0x900
	v_mul_f64_e32 v[177:178], v[169:170], v[16:17]
	v_mul_f64_e32 v[16:17], v[171:172], v[16:17]
	v_fma_f64 v[179:180], v[4:5], v[10:11], v[179:180]
	v_fma_f64 v[181:182], v[2:3], v[10:11], -v[12:13]
	ds_load_b128 v[2:5], v1 offset:1056
	scratch_load_b128 v[10:13], off, off offset:288
	v_add_f64_e32 v[173:174], v[173:174], v[38:39]
	v_add_f64_e32 v[175:176], v[175:176], v[40:41]
	ds_load_b128 v[38:41], v1 offset:1072
	v_fma_f64 v[171:172], v[171:172], v[14:15], v[177:178]
	v_fma_f64 v[169:170], v[169:170], v[14:15], -v[16:17]
	scratch_load_b128 v[14:17], off, off offset:304
	s_wait_loadcnt_dscnt 0xa01
	v_mul_f64_e32 v[183:184], v[2:3], v[20:21]
	v_mul_f64_e32 v[20:21], v[4:5], v[20:21]
	s_wait_loadcnt_dscnt 0x900
	v_mul_f64_e32 v[177:178], v[38:39], v[24:25]
	v_mul_f64_e32 v[24:25], v[40:41], v[24:25]
	v_add_f64_e32 v[173:174], v[173:174], v[181:182]
	v_add_f64_e32 v[175:176], v[175:176], v[179:180]
	v_fma_f64 v[179:180], v[4:5], v[18:19], v[183:184]
	v_fma_f64 v[181:182], v[2:3], v[18:19], -v[20:21]
	ds_load_b128 v[2:5], v1 offset:1088
	scratch_load_b128 v[18:21], off, off offset:320
	v_fma_f64 v[40:41], v[40:41], v[22:23], v[177:178]
	v_fma_f64 v[38:39], v[38:39], v[22:23], -v[24:25]
	scratch_load_b128 v[22:25], off, off offset:336
	v_add_f64_e32 v[173:174], v[173:174], v[169:170]
	v_add_f64_e32 v[175:176], v[175:176], v[171:172]
	ds_load_b128 v[169:172], v1 offset:1104
	s_wait_loadcnt_dscnt 0xa01
	v_mul_f64_e32 v[183:184], v[2:3], v[28:29]
	v_mul_f64_e32 v[28:29], v[4:5], v[28:29]
	s_wait_loadcnt_dscnt 0x900
	v_mul_f64_e32 v[177:178], v[169:170], v[32:33]
	v_mul_f64_e32 v[32:33], v[171:172], v[32:33]
	v_add_f64_e32 v[173:174], v[173:174], v[181:182]
	v_add_f64_e32 v[175:176], v[175:176], v[179:180]
	v_fma_f64 v[179:180], v[4:5], v[26:27], v[183:184]
	v_fma_f64 v[181:182], v[2:3], v[26:27], -v[28:29]
	ds_load_b128 v[2:5], v1 offset:1120
	scratch_load_b128 v[26:29], off, off offset:352
	v_fma_f64 v[171:172], v[171:172], v[30:31], v[177:178]
	v_fma_f64 v[169:170], v[169:170], v[30:31], -v[32:33]
	scratch_load_b128 v[30:33], off, off offset:368
	v_add_f64_e32 v[173:174], v[173:174], v[38:39]
	v_add_f64_e32 v[175:176], v[175:176], v[40:41]
	ds_load_b128 v[38:41], v1 offset:1136
	s_wait_loadcnt_dscnt 0xa01
	v_mul_f64_e32 v[183:184], v[2:3], v[36:37]
	v_mul_f64_e32 v[36:37], v[4:5], v[36:37]
	s_wait_loadcnt_dscnt 0x800
	v_mul_f64_e32 v[177:178], v[38:39], v[167:168]
	v_add_f64_e32 v[173:174], v[173:174], v[181:182]
	v_add_f64_e32 v[175:176], v[175:176], v[179:180]
	v_mul_f64_e32 v[179:180], v[40:41], v[167:168]
	v_fma_f64 v[181:182], v[4:5], v[34:35], v[183:184]
	v_fma_f64 v[183:184], v[2:3], v[34:35], -v[36:37]
	ds_load_b128 v[2:5], v1 offset:1152
	scratch_load_b128 v[34:37], off, off offset:384
	v_fma_f64 v[177:178], v[40:41], v[165:166], v[177:178]
	v_add_f64_e32 v[173:174], v[173:174], v[169:170]
	v_add_f64_e32 v[171:172], v[175:176], v[171:172]
	ds_load_b128 v[167:170], v1 offset:1168
	v_fma_f64 v[165:166], v[38:39], v[165:166], -v[179:180]
	scratch_load_b128 v[38:41], off, off offset:400
	s_wait_loadcnt_dscnt 0x901
	v_mul_f64_e32 v[175:176], v[2:3], v[44:45]
	v_mul_f64_e32 v[44:45], v[4:5], v[44:45]
	s_wait_loadcnt_dscnt 0x800
	v_mul_f64_e32 v[179:180], v[167:168], v[8:9]
	v_mul_f64_e32 v[8:9], v[169:170], v[8:9]
	v_add_f64_e32 v[173:174], v[173:174], v[183:184]
	v_add_f64_e32 v[171:172], v[171:172], v[181:182]
	v_fma_f64 v[175:176], v[4:5], v[42:43], v[175:176]
	v_fma_f64 v[181:182], v[2:3], v[42:43], -v[44:45]
	ds_load_b128 v[2:5], v1 offset:1184
	scratch_load_b128 v[42:45], off, off offset:416
	v_fma_f64 v[169:170], v[169:170], v[6:7], v[179:180]
	v_fma_f64 v[167:168], v[167:168], v[6:7], -v[8:9]
	scratch_load_b128 v[6:9], off, off offset:432
	v_add_f64_e32 v[165:166], v[173:174], v[165:166]
	v_add_f64_e32 v[177:178], v[171:172], v[177:178]
	ds_load_b128 v[171:174], v1 offset:1200
	s_wait_loadcnt_dscnt 0x901
	v_mul_f64_e32 v[183:184], v[2:3], v[12:13]
	v_mul_f64_e32 v[12:13], v[4:5], v[12:13]
	v_add_f64_e32 v[165:166], v[165:166], v[181:182]
	v_add_f64_e32 v[175:176], v[177:178], v[175:176]
	s_wait_loadcnt_dscnt 0x800
	v_mul_f64_e32 v[177:178], v[171:172], v[16:17]
	v_mul_f64_e32 v[16:17], v[173:174], v[16:17]
	v_fma_f64 v[179:180], v[4:5], v[10:11], v[183:184]
	v_fma_f64 v[181:182], v[2:3], v[10:11], -v[12:13]
	ds_load_b128 v[2:5], v1 offset:1216
	scratch_load_b128 v[10:13], off, off offset:448
	v_add_f64_e32 v[183:184], v[165:166], v[167:168]
	v_add_f64_e32 v[169:170], v[175:176], v[169:170]
	ds_load_b128 v[165:168], v1 offset:1232
	s_wait_loadcnt_dscnt 0x801
	v_mul_f64_e32 v[175:176], v[2:3], v[20:21]
	v_mul_f64_e32 v[20:21], v[4:5], v[20:21]
	v_fma_f64 v[173:174], v[173:174], v[14:15], v[177:178]
	v_fma_f64 v[171:172], v[171:172], v[14:15], -v[16:17]
	scratch_load_b128 v[14:17], off, off offset:464
	v_add_f64_e32 v[177:178], v[183:184], v[181:182]
	v_add_f64_e32 v[169:170], v[169:170], v[179:180]
	s_wait_loadcnt_dscnt 0x800
	v_mul_f64_e32 v[179:180], v[165:166], v[24:25]
	v_mul_f64_e32 v[24:25], v[167:168], v[24:25]
	v_fma_f64 v[175:176], v[4:5], v[18:19], v[175:176]
	v_fma_f64 v[181:182], v[2:3], v[18:19], -v[20:21]
	ds_load_b128 v[2:5], v1 offset:1248
	scratch_load_b128 v[18:21], off, off offset:480
	v_add_f64_e32 v[177:178], v[177:178], v[171:172]
	v_add_f64_e32 v[173:174], v[169:170], v[173:174]
	ds_load_b128 v[169:172], v1 offset:1264
	s_wait_loadcnt_dscnt 0x801
	v_mul_f64_e32 v[183:184], v[2:3], v[28:29]
	v_mul_f64_e32 v[28:29], v[4:5], v[28:29]
	v_fma_f64 v[167:168], v[167:168], v[22:23], v[179:180]
	v_fma_f64 v[165:166], v[165:166], v[22:23], -v[24:25]
	scratch_load_b128 v[22:25], off, off offset:496
	;; [unrolled: 18-line block ×4, first 2 shown]
	s_wait_loadcnt_dscnt 0x800
	v_mul_f64_e32 v[177:178], v[169:170], v[8:9]
	v_mul_f64_e32 v[8:9], v[171:172], v[8:9]
	v_add_f64_e32 v[175:176], v[175:176], v[181:182]
	v_add_f64_e32 v[173:174], v[173:174], v[179:180]
	v_fma_f64 v[179:180], v[4:5], v[42:43], v[183:184]
	v_fma_f64 v[181:182], v[2:3], v[42:43], -v[44:45]
	ds_load_b128 v[2:5], v1 offset:1344
	scratch_load_b128 v[42:45], off, off offset:576
	v_fma_f64 v[171:172], v[171:172], v[6:7], v[177:178]
	v_fma_f64 v[169:170], v[169:170], v[6:7], -v[8:9]
	scratch_load_b128 v[6:9], off, off offset:592
	v_add_f64_e32 v[175:176], v[175:176], v[165:166]
	v_add_f64_e32 v[173:174], v[173:174], v[167:168]
	ds_load_b128 v[165:168], v1 offset:1360
	s_wait_loadcnt_dscnt 0x901
	v_mul_f64_e32 v[183:184], v[2:3], v[12:13]
	v_mul_f64_e32 v[12:13], v[4:5], v[12:13]
	s_wait_loadcnt_dscnt 0x800
	v_mul_f64_e32 v[177:178], v[165:166], v[16:17]
	v_mul_f64_e32 v[16:17], v[167:168], v[16:17]
	v_add_f64_e32 v[175:176], v[175:176], v[181:182]
	v_add_f64_e32 v[173:174], v[173:174], v[179:180]
	v_fma_f64 v[179:180], v[4:5], v[10:11], v[183:184]
	v_fma_f64 v[181:182], v[2:3], v[10:11], -v[12:13]
	ds_load_b128 v[2:5], v1 offset:1376
	scratch_load_b128 v[10:13], off, off offset:608
	v_fma_f64 v[167:168], v[167:168], v[14:15], v[177:178]
	v_fma_f64 v[165:166], v[165:166], v[14:15], -v[16:17]
	scratch_load_b128 v[14:17], off, off offset:624
	v_add_f64_e32 v[175:176], v[175:176], v[169:170]
	v_add_f64_e32 v[173:174], v[173:174], v[171:172]
	ds_load_b128 v[169:172], v1 offset:1392
	s_wait_loadcnt_dscnt 0x901
	v_mul_f64_e32 v[183:184], v[2:3], v[20:21]
	v_mul_f64_e32 v[20:21], v[4:5], v[20:21]
	;; [unrolled: 18-line block ×11, first 2 shown]
	s_wait_loadcnt_dscnt 0x800
	v_mul_f64_e32 v[177:178], v[165:166], v[16:17]
	v_mul_f64_e32 v[16:17], v[167:168], v[16:17]
	v_add_f64_e32 v[175:176], v[175:176], v[181:182]
	v_add_f64_e32 v[173:174], v[173:174], v[179:180]
	v_fma_f64 v[179:180], v[4:5], v[10:11], v[183:184]
	v_fma_f64 v[181:182], v[2:3], v[10:11], -v[12:13]
	ds_load_b128 v[2:5], v1 offset:1696
	ds_load_b128 v[10:13], v1 offset:1712
	v_fma_f64 v[167:168], v[167:168], v[14:15], v[177:178]
	v_fma_f64 v[14:15], v[165:166], v[14:15], -v[16:17]
	v_add_f64_e32 v[169:170], v[175:176], v[169:170]
	v_add_f64_e32 v[171:172], v[173:174], v[171:172]
	s_wait_loadcnt_dscnt 0x701
	v_mul_f64_e32 v[173:174], v[2:3], v[20:21]
	v_mul_f64_e32 v[20:21], v[4:5], v[20:21]
	s_delay_alu instid0(VALU_DEP_4) | instskip(NEXT) | instid1(VALU_DEP_4)
	v_add_f64_e32 v[16:17], v[169:170], v[181:182]
	v_add_f64_e32 v[165:166], v[171:172], v[179:180]
	s_wait_loadcnt_dscnt 0x600
	v_mul_f64_e32 v[169:170], v[10:11], v[24:25]
	v_mul_f64_e32 v[24:25], v[12:13], v[24:25]
	v_fma_f64 v[171:172], v[4:5], v[18:19], v[173:174]
	v_fma_f64 v[18:19], v[2:3], v[18:19], -v[20:21]
	v_add_f64_e32 v[20:21], v[16:17], v[14:15]
	v_add_f64_e32 v[165:166], v[165:166], v[167:168]
	ds_load_b128 v[2:5], v1 offset:1728
	ds_load_b128 v[14:17], v1 offset:1744
	v_fma_f64 v[12:13], v[12:13], v[22:23], v[169:170]
	v_fma_f64 v[10:11], v[10:11], v[22:23], -v[24:25]
	s_wait_loadcnt_dscnt 0x501
	v_mul_f64_e32 v[167:168], v[2:3], v[28:29]
	v_mul_f64_e32 v[28:29], v[4:5], v[28:29]
	s_wait_loadcnt_dscnt 0x400
	v_mul_f64_e32 v[22:23], v[14:15], v[32:33]
	v_mul_f64_e32 v[24:25], v[16:17], v[32:33]
	v_add_f64_e32 v[18:19], v[20:21], v[18:19]
	v_add_f64_e32 v[20:21], v[165:166], v[171:172]
	v_fma_f64 v[32:33], v[4:5], v[26:27], v[167:168]
	v_fma_f64 v[26:27], v[2:3], v[26:27], -v[28:29]
	v_fma_f64 v[16:17], v[16:17], v[30:31], v[22:23]
	v_fma_f64 v[14:15], v[14:15], v[30:31], -v[24:25]
	v_add_f64_e32 v[18:19], v[18:19], v[10:11]
	v_add_f64_e32 v[20:21], v[20:21], v[12:13]
	ds_load_b128 v[2:5], v1 offset:1760
	ds_load_b128 v[10:13], v1 offset:1776
	s_wait_loadcnt_dscnt 0x301
	v_mul_f64_e32 v[28:29], v[2:3], v[36:37]
	v_mul_f64_e32 v[36:37], v[4:5], v[36:37]
	s_wait_loadcnt_dscnt 0x200
	v_mul_f64_e32 v[22:23], v[10:11], v[40:41]
	v_mul_f64_e32 v[24:25], v[12:13], v[40:41]
	v_add_f64_e32 v[18:19], v[18:19], v[26:27]
	v_add_f64_e32 v[20:21], v[20:21], v[32:33]
	v_fma_f64 v[26:27], v[4:5], v[34:35], v[28:29]
	v_fma_f64 v[28:29], v[2:3], v[34:35], -v[36:37]
	v_fma_f64 v[12:13], v[12:13], v[38:39], v[22:23]
	v_fma_f64 v[10:11], v[10:11], v[38:39], -v[24:25]
	v_add_f64_e32 v[18:19], v[18:19], v[14:15]
	v_add_f64_e32 v[20:21], v[20:21], v[16:17]
	ds_load_b128 v[2:5], v1 offset:1792
	ds_load_b128 v[14:17], v1 offset:1808
	s_wait_loadcnt_dscnt 0x101
	v_mul_f64_e32 v[30:31], v[2:3], v[44:45]
	v_mul_f64_e32 v[32:33], v[4:5], v[44:45]
	s_wait_loadcnt_dscnt 0x0
	v_mul_f64_e32 v[22:23], v[14:15], v[8:9]
	v_mul_f64_e32 v[8:9], v[16:17], v[8:9]
	v_add_f64_e32 v[18:19], v[18:19], v[28:29]
	v_add_f64_e32 v[20:21], v[20:21], v[26:27]
	v_fma_f64 v[4:5], v[4:5], v[42:43], v[30:31]
	v_fma_f64 v[1:2], v[2:3], v[42:43], -v[32:33]
	v_fma_f64 v[16:17], v[16:17], v[6:7], v[22:23]
	v_fma_f64 v[6:7], v[14:15], v[6:7], -v[8:9]
	v_add_f64_e32 v[10:11], v[18:19], v[10:11]
	v_add_f64_e32 v[12:13], v[20:21], v[12:13]
	s_delay_alu instid0(VALU_DEP_2) | instskip(NEXT) | instid1(VALU_DEP_2)
	v_add_f64_e32 v[1:2], v[10:11], v[1:2]
	v_add_f64_e32 v[3:4], v[12:13], v[4:5]
	s_delay_alu instid0(VALU_DEP_2) | instskip(NEXT) | instid1(VALU_DEP_2)
	;; [unrolled: 3-line block ×3, first 2 shown]
	v_add_f64_e64 v[1:2], v[161:162], -v[1:2]
	v_add_f64_e64 v[3:4], v[163:164], -v[3:4]
	scratch_store_b128 off, v[1:4], off offset:80
	v_cmpx_lt_u32_e32 3, v0
	s_cbranch_execz .LBB56_349
; %bb.348:
	scratch_load_b128 v[1:4], off, s26
	v_mov_b32_e32 v5, 0
	s_delay_alu instid0(VALU_DEP_1)
	v_dual_mov_b32 v6, v5 :: v_dual_mov_b32 v7, v5
	v_mov_b32_e32 v8, v5
	scratch_store_b128 off, v[5:8], off offset:64
	s_wait_loadcnt 0x0
	ds_store_b128 v160, v[1:4]
.LBB56_349:
	s_wait_alu 0xfffe
	s_or_b32 exec_lo, exec_lo, s0
	s_wait_storecnt_dscnt 0x0
	s_barrier_signal -1
	s_barrier_wait -1
	global_inv scope:SCOPE_SE
	s_clause 0x7
	scratch_load_b128 v[2:5], off, off offset:80
	scratch_load_b128 v[6:9], off, off offset:96
	;; [unrolled: 1-line block ×8, first 2 shown]
	v_mov_b32_e32 v1, 0
	s_mov_b32 s0, exec_lo
	ds_load_b128 v[38:41], v1 offset:976
	s_clause 0x1
	scratch_load_b128 v[34:37], off, off offset:208
	scratch_load_b128 v[42:45], off, off offset:64
	ds_load_b128 v[161:164], v1 offset:992
	scratch_load_b128 v[165:168], off, off offset:224
	s_wait_loadcnt_dscnt 0xa01
	v_mul_f64_e32 v[169:170], v[40:41], v[4:5]
	v_mul_f64_e32 v[4:5], v[38:39], v[4:5]
	s_delay_alu instid0(VALU_DEP_2) | instskip(NEXT) | instid1(VALU_DEP_2)
	v_fma_f64 v[175:176], v[38:39], v[2:3], -v[169:170]
	v_fma_f64 v[177:178], v[40:41], v[2:3], v[4:5]
	ds_load_b128 v[2:5], v1 offset:1008
	s_wait_loadcnt_dscnt 0x901
	v_mul_f64_e32 v[173:174], v[161:162], v[8:9]
	v_mul_f64_e32 v[8:9], v[163:164], v[8:9]
	scratch_load_b128 v[38:41], off, off offset:240
	ds_load_b128 v[169:172], v1 offset:1024
	s_wait_loadcnt_dscnt 0x901
	v_mul_f64_e32 v[179:180], v[2:3], v[12:13]
	v_mul_f64_e32 v[12:13], v[4:5], v[12:13]
	v_fma_f64 v[163:164], v[163:164], v[6:7], v[173:174]
	v_fma_f64 v[161:162], v[161:162], v[6:7], -v[8:9]
	v_add_f64_e32 v[173:174], 0, v[175:176]
	v_add_f64_e32 v[175:176], 0, v[177:178]
	scratch_load_b128 v[6:9], off, off offset:256
	v_fma_f64 v[179:180], v[4:5], v[10:11], v[179:180]
	v_fma_f64 v[181:182], v[2:3], v[10:11], -v[12:13]
	ds_load_b128 v[2:5], v1 offset:1040
	s_wait_loadcnt_dscnt 0x901
	v_mul_f64_e32 v[177:178], v[169:170], v[16:17]
	v_mul_f64_e32 v[16:17], v[171:172], v[16:17]
	scratch_load_b128 v[10:13], off, off offset:272
	v_add_f64_e32 v[173:174], v[173:174], v[161:162]
	v_add_f64_e32 v[175:176], v[175:176], v[163:164]
	s_wait_loadcnt_dscnt 0x900
	v_mul_f64_e32 v[183:184], v[2:3], v[20:21]
	v_mul_f64_e32 v[20:21], v[4:5], v[20:21]
	ds_load_b128 v[161:164], v1 offset:1056
	v_fma_f64 v[171:172], v[171:172], v[14:15], v[177:178]
	v_fma_f64 v[169:170], v[169:170], v[14:15], -v[16:17]
	scratch_load_b128 v[14:17], off, off offset:288
	v_add_f64_e32 v[173:174], v[173:174], v[181:182]
	v_add_f64_e32 v[175:176], v[175:176], v[179:180]
	v_fma_f64 v[179:180], v[4:5], v[18:19], v[183:184]
	v_fma_f64 v[181:182], v[2:3], v[18:19], -v[20:21]
	ds_load_b128 v[2:5], v1 offset:1072
	s_wait_loadcnt_dscnt 0x901
	v_mul_f64_e32 v[177:178], v[161:162], v[24:25]
	v_mul_f64_e32 v[24:25], v[163:164], v[24:25]
	scratch_load_b128 v[18:21], off, off offset:304
	s_wait_loadcnt_dscnt 0x900
	v_mul_f64_e32 v[183:184], v[2:3], v[28:29]
	v_mul_f64_e32 v[28:29], v[4:5], v[28:29]
	v_add_f64_e32 v[173:174], v[173:174], v[169:170]
	v_add_f64_e32 v[175:176], v[175:176], v[171:172]
	ds_load_b128 v[169:172], v1 offset:1088
	v_fma_f64 v[163:164], v[163:164], v[22:23], v[177:178]
	v_fma_f64 v[161:162], v[161:162], v[22:23], -v[24:25]
	scratch_load_b128 v[22:25], off, off offset:320
	v_add_f64_e32 v[173:174], v[173:174], v[181:182]
	v_add_f64_e32 v[175:176], v[175:176], v[179:180]
	v_fma_f64 v[179:180], v[4:5], v[26:27], v[183:184]
	v_fma_f64 v[181:182], v[2:3], v[26:27], -v[28:29]
	ds_load_b128 v[2:5], v1 offset:1104
	s_wait_loadcnt_dscnt 0x901
	v_mul_f64_e32 v[177:178], v[169:170], v[32:33]
	v_mul_f64_e32 v[32:33], v[171:172], v[32:33]
	scratch_load_b128 v[26:29], off, off offset:336
	s_wait_loadcnt_dscnt 0x900
	v_mul_f64_e32 v[183:184], v[2:3], v[36:37]
	v_mul_f64_e32 v[36:37], v[4:5], v[36:37]
	v_add_f64_e32 v[173:174], v[173:174], v[161:162]
	v_add_f64_e32 v[175:176], v[175:176], v[163:164]
	ds_load_b128 v[161:164], v1 offset:1120
	v_fma_f64 v[171:172], v[171:172], v[30:31], v[177:178]
	v_fma_f64 v[169:170], v[169:170], v[30:31], -v[32:33]
	scratch_load_b128 v[30:33], off, off offset:352
	v_add_f64_e32 v[173:174], v[173:174], v[181:182]
	v_add_f64_e32 v[175:176], v[175:176], v[179:180]
	v_fma_f64 v[181:182], v[4:5], v[34:35], v[183:184]
	v_fma_f64 v[183:184], v[2:3], v[34:35], -v[36:37]
	ds_load_b128 v[2:5], v1 offset:1136
	s_wait_loadcnt_dscnt 0x801
	v_mul_f64_e32 v[177:178], v[161:162], v[167:168]
	v_mul_f64_e32 v[179:180], v[163:164], v[167:168]
	scratch_load_b128 v[34:37], off, off offset:368
	v_add_f64_e32 v[173:174], v[173:174], v[169:170]
	v_add_f64_e32 v[171:172], v[175:176], v[171:172]
	ds_load_b128 v[167:170], v1 offset:1152
	v_fma_f64 v[177:178], v[163:164], v[165:166], v[177:178]
	v_fma_f64 v[165:166], v[161:162], v[165:166], -v[179:180]
	scratch_load_b128 v[161:164], off, off offset:384
	s_wait_loadcnt_dscnt 0x901
	v_mul_f64_e32 v[175:176], v[2:3], v[40:41]
	v_mul_f64_e32 v[40:41], v[4:5], v[40:41]
	v_add_f64_e32 v[173:174], v[173:174], v[183:184]
	v_add_f64_e32 v[171:172], v[171:172], v[181:182]
	s_delay_alu instid0(VALU_DEP_4) | instskip(NEXT) | instid1(VALU_DEP_4)
	v_fma_f64 v[175:176], v[4:5], v[38:39], v[175:176]
	v_fma_f64 v[181:182], v[2:3], v[38:39], -v[40:41]
	ds_load_b128 v[2:5], v1 offset:1168
	s_wait_loadcnt_dscnt 0x801
	v_mul_f64_e32 v[179:180], v[167:168], v[8:9]
	v_mul_f64_e32 v[8:9], v[169:170], v[8:9]
	scratch_load_b128 v[38:41], off, off offset:400
	s_wait_loadcnt_dscnt 0x800
	v_mul_f64_e32 v[183:184], v[2:3], v[12:13]
	v_add_f64_e32 v[165:166], v[173:174], v[165:166]
	v_add_f64_e32 v[177:178], v[171:172], v[177:178]
	v_mul_f64_e32 v[12:13], v[4:5], v[12:13]
	ds_load_b128 v[171:174], v1 offset:1184
	v_fma_f64 v[169:170], v[169:170], v[6:7], v[179:180]
	v_fma_f64 v[167:168], v[167:168], v[6:7], -v[8:9]
	scratch_load_b128 v[6:9], off, off offset:416
	v_fma_f64 v[179:180], v[4:5], v[10:11], v[183:184]
	v_add_f64_e32 v[165:166], v[165:166], v[181:182]
	v_add_f64_e32 v[175:176], v[177:178], v[175:176]
	v_fma_f64 v[181:182], v[2:3], v[10:11], -v[12:13]
	ds_load_b128 v[2:5], v1 offset:1200
	s_wait_loadcnt_dscnt 0x801
	v_mul_f64_e32 v[177:178], v[171:172], v[16:17]
	v_mul_f64_e32 v[16:17], v[173:174], v[16:17]
	scratch_load_b128 v[10:13], off, off offset:432
	v_add_f64_e32 v[183:184], v[165:166], v[167:168]
	v_add_f64_e32 v[169:170], v[175:176], v[169:170]
	s_wait_loadcnt_dscnt 0x800
	v_mul_f64_e32 v[175:176], v[2:3], v[20:21]
	v_mul_f64_e32 v[20:21], v[4:5], v[20:21]
	v_fma_f64 v[173:174], v[173:174], v[14:15], v[177:178]
	v_fma_f64 v[171:172], v[171:172], v[14:15], -v[16:17]
	ds_load_b128 v[165:168], v1 offset:1216
	scratch_load_b128 v[14:17], off, off offset:448
	v_add_f64_e32 v[177:178], v[183:184], v[181:182]
	v_add_f64_e32 v[169:170], v[169:170], v[179:180]
	v_fma_f64 v[175:176], v[4:5], v[18:19], v[175:176]
	v_fma_f64 v[181:182], v[2:3], v[18:19], -v[20:21]
	ds_load_b128 v[2:5], v1 offset:1232
	s_wait_loadcnt_dscnt 0x801
	v_mul_f64_e32 v[179:180], v[165:166], v[24:25]
	v_mul_f64_e32 v[24:25], v[167:168], v[24:25]
	scratch_load_b128 v[18:21], off, off offset:464
	s_wait_loadcnt_dscnt 0x800
	v_mul_f64_e32 v[183:184], v[2:3], v[28:29]
	v_mul_f64_e32 v[28:29], v[4:5], v[28:29]
	v_add_f64_e32 v[177:178], v[177:178], v[171:172]
	v_add_f64_e32 v[173:174], v[169:170], v[173:174]
	ds_load_b128 v[169:172], v1 offset:1248
	v_fma_f64 v[167:168], v[167:168], v[22:23], v[179:180]
	v_fma_f64 v[165:166], v[165:166], v[22:23], -v[24:25]
	scratch_load_b128 v[22:25], off, off offset:480
	v_fma_f64 v[179:180], v[4:5], v[26:27], v[183:184]
	v_add_f64_e32 v[177:178], v[177:178], v[181:182]
	v_add_f64_e32 v[173:174], v[173:174], v[175:176]
	v_fma_f64 v[181:182], v[2:3], v[26:27], -v[28:29]
	ds_load_b128 v[2:5], v1 offset:1264
	s_wait_loadcnt_dscnt 0x801
	v_mul_f64_e32 v[175:176], v[169:170], v[32:33]
	v_mul_f64_e32 v[32:33], v[171:172], v[32:33]
	scratch_load_b128 v[26:29], off, off offset:496
	s_wait_loadcnt_dscnt 0x800
	v_mul_f64_e32 v[183:184], v[2:3], v[36:37]
	v_mul_f64_e32 v[36:37], v[4:5], v[36:37]
	v_add_f64_e32 v[177:178], v[177:178], v[165:166]
	v_add_f64_e32 v[173:174], v[173:174], v[167:168]
	ds_load_b128 v[165:168], v1 offset:1280
	v_fma_f64 v[171:172], v[171:172], v[30:31], v[175:176]
	v_fma_f64 v[169:170], v[169:170], v[30:31], -v[32:33]
	scratch_load_b128 v[30:33], off, off offset:512
	v_add_f64_e32 v[175:176], v[177:178], v[181:182]
	v_add_f64_e32 v[173:174], v[173:174], v[179:180]
	v_fma_f64 v[179:180], v[4:5], v[34:35], v[183:184]
	v_fma_f64 v[181:182], v[2:3], v[34:35], -v[36:37]
	ds_load_b128 v[2:5], v1 offset:1296
	s_wait_loadcnt_dscnt 0x801
	v_mul_f64_e32 v[177:178], v[165:166], v[163:164]
	v_mul_f64_e32 v[163:164], v[167:168], v[163:164]
	scratch_load_b128 v[34:37], off, off offset:528
	s_wait_loadcnt_dscnt 0x800
	v_mul_f64_e32 v[183:184], v[2:3], v[40:41]
	v_mul_f64_e32 v[40:41], v[4:5], v[40:41]
	v_add_f64_e32 v[175:176], v[175:176], v[169:170]
	v_add_f64_e32 v[173:174], v[173:174], v[171:172]
	ds_load_b128 v[169:172], v1 offset:1312
	v_fma_f64 v[167:168], v[167:168], v[161:162], v[177:178]
	v_fma_f64 v[165:166], v[165:166], v[161:162], -v[163:164]
	scratch_load_b128 v[161:164], off, off offset:544
	v_add_f64_e32 v[175:176], v[175:176], v[181:182]
	v_add_f64_e32 v[173:174], v[173:174], v[179:180]
	v_fma_f64 v[179:180], v[4:5], v[38:39], v[183:184]
	;; [unrolled: 18-line block ×6, first 2 shown]
	v_fma_f64 v[183:184], v[2:3], v[34:35], -v[36:37]
	ds_load_b128 v[2:5], v1 offset:1456
	s_wait_loadcnt_dscnt 0x801
	v_mul_f64_e32 v[177:178], v[169:170], v[163:164]
	v_mul_f64_e32 v[179:180], v[171:172], v[163:164]
	scratch_load_b128 v[34:37], off, off offset:688
	v_add_f64_e32 v[175:176], v[175:176], v[165:166]
	v_add_f64_e32 v[167:168], v[173:174], v[167:168]
	s_wait_loadcnt_dscnt 0x800
	v_mul_f64_e32 v[173:174], v[2:3], v[40:41]
	v_mul_f64_e32 v[40:41], v[4:5], v[40:41]
	ds_load_b128 v[163:166], v1 offset:1472
	v_fma_f64 v[171:172], v[171:172], v[161:162], v[177:178]
	v_fma_f64 v[161:162], v[169:170], v[161:162], -v[179:180]
	v_add_f64_e32 v[175:176], v[175:176], v[183:184]
	v_add_f64_e32 v[177:178], v[167:168], v[181:182]
	scratch_load_b128 v[167:170], off, off offset:704
	v_fma_f64 v[181:182], v[4:5], v[38:39], v[173:174]
	v_fma_f64 v[183:184], v[2:3], v[38:39], -v[40:41]
	ds_load_b128 v[2:5], v1 offset:1488
	s_wait_loadcnt_dscnt 0x801
	v_mul_f64_e32 v[179:180], v[163:164], v[8:9]
	v_mul_f64_e32 v[8:9], v[165:166], v[8:9]
	scratch_load_b128 v[38:41], off, off offset:720
	v_add_f64_e32 v[161:162], v[175:176], v[161:162]
	v_add_f64_e32 v[175:176], v[177:178], v[171:172]
	s_wait_loadcnt_dscnt 0x800
	v_mul_f64_e32 v[177:178], v[2:3], v[12:13]
	v_mul_f64_e32 v[12:13], v[4:5], v[12:13]
	ds_load_b128 v[171:174], v1 offset:1504
	v_fma_f64 v[165:166], v[165:166], v[6:7], v[179:180]
	v_fma_f64 v[163:164], v[163:164], v[6:7], -v[8:9]
	scratch_load_b128 v[6:9], off, off offset:736
	v_add_f64_e32 v[161:162], v[161:162], v[183:184]
	v_add_f64_e32 v[175:176], v[175:176], v[181:182]
	v_fma_f64 v[177:178], v[4:5], v[10:11], v[177:178]
	v_fma_f64 v[181:182], v[2:3], v[10:11], -v[12:13]
	ds_load_b128 v[2:5], v1 offset:1520
	s_wait_loadcnt_dscnt 0x801
	v_mul_f64_e32 v[179:180], v[171:172], v[16:17]
	v_mul_f64_e32 v[16:17], v[173:174], v[16:17]
	scratch_load_b128 v[10:13], off, off offset:752
	v_add_f64_e32 v[183:184], v[161:162], v[163:164]
	v_add_f64_e32 v[165:166], v[175:176], v[165:166]
	s_wait_loadcnt_dscnt 0x800
	v_mul_f64_e32 v[175:176], v[2:3], v[20:21]
	v_mul_f64_e32 v[20:21], v[4:5], v[20:21]
	ds_load_b128 v[161:164], v1 offset:1536
	v_fma_f64 v[173:174], v[173:174], v[14:15], v[179:180]
	v_fma_f64 v[171:172], v[171:172], v[14:15], -v[16:17]
	scratch_load_b128 v[14:17], off, off offset:768
	v_add_f64_e32 v[179:180], v[183:184], v[181:182]
	v_add_f64_e32 v[165:166], v[165:166], v[177:178]
	v_fma_f64 v[175:176], v[4:5], v[18:19], v[175:176]
	v_fma_f64 v[181:182], v[2:3], v[18:19], -v[20:21]
	ds_load_b128 v[2:5], v1 offset:1552
	s_wait_loadcnt_dscnt 0x801
	v_mul_f64_e32 v[177:178], v[161:162], v[24:25]
	v_mul_f64_e32 v[24:25], v[163:164], v[24:25]
	scratch_load_b128 v[18:21], off, off offset:784
	s_wait_loadcnt_dscnt 0x800
	v_mul_f64_e32 v[183:184], v[2:3], v[28:29]
	v_mul_f64_e32 v[28:29], v[4:5], v[28:29]
	v_add_f64_e32 v[179:180], v[179:180], v[171:172]
	v_add_f64_e32 v[165:166], v[165:166], v[173:174]
	ds_load_b128 v[171:174], v1 offset:1568
	v_fma_f64 v[163:164], v[163:164], v[22:23], v[177:178]
	v_fma_f64 v[161:162], v[161:162], v[22:23], -v[24:25]
	scratch_load_b128 v[22:25], off, off offset:800
	v_add_f64_e32 v[177:178], v[179:180], v[181:182]
	v_add_f64_e32 v[165:166], v[165:166], v[175:176]
	v_fma_f64 v[179:180], v[4:5], v[26:27], v[183:184]
	v_fma_f64 v[181:182], v[2:3], v[26:27], -v[28:29]
	ds_load_b128 v[2:5], v1 offset:1584
	s_wait_loadcnt_dscnt 0x801
	v_mul_f64_e32 v[175:176], v[171:172], v[32:33]
	v_mul_f64_e32 v[32:33], v[173:174], v[32:33]
	scratch_load_b128 v[26:29], off, off offset:816
	s_wait_loadcnt_dscnt 0x800
	v_mul_f64_e32 v[183:184], v[2:3], v[36:37]
	v_mul_f64_e32 v[36:37], v[4:5], v[36:37]
	v_add_f64_e32 v[177:178], v[177:178], v[161:162]
	v_add_f64_e32 v[165:166], v[165:166], v[163:164]
	ds_load_b128 v[161:164], v1 offset:1600
	v_fma_f64 v[173:174], v[173:174], v[30:31], v[175:176]
	v_fma_f64 v[171:172], v[171:172], v[30:31], -v[32:33]
	scratch_load_b128 v[30:33], off, off offset:832
	v_add_f64_e32 v[175:176], v[177:178], v[181:182]
	v_add_f64_e32 v[165:166], v[165:166], v[179:180]
	v_fma_f64 v[181:182], v[4:5], v[34:35], v[183:184]
	v_fma_f64 v[183:184], v[2:3], v[34:35], -v[36:37]
	ds_load_b128 v[2:5], v1 offset:1616
	scratch_load_b128 v[34:37], off, off offset:848
	s_wait_loadcnt_dscnt 0x901
	v_mul_f64_e32 v[177:178], v[161:162], v[169:170]
	v_mul_f64_e32 v[179:180], v[163:164], v[169:170]
	v_add_f64_e32 v[175:176], v[175:176], v[171:172]
	v_add_f64_e32 v[165:166], v[165:166], v[173:174]
	s_wait_loadcnt_dscnt 0x800
	v_mul_f64_e32 v[173:174], v[2:3], v[40:41]
	v_mul_f64_e32 v[40:41], v[4:5], v[40:41]
	ds_load_b128 v[169:172], v1 offset:1632
	v_fma_f64 v[177:178], v[163:164], v[167:168], v[177:178]
	v_fma_f64 v[167:168], v[161:162], v[167:168], -v[179:180]
	scratch_load_b128 v[161:164], off, off offset:864
	v_add_f64_e32 v[175:176], v[175:176], v[183:184]
	v_add_f64_e32 v[165:166], v[165:166], v[181:182]
	v_fma_f64 v[173:174], v[4:5], v[38:39], v[173:174]
	v_fma_f64 v[181:182], v[2:3], v[38:39], -v[40:41]
	ds_load_b128 v[2:5], v1 offset:1648
	s_wait_loadcnt_dscnt 0x801
	v_mul_f64_e32 v[179:180], v[169:170], v[8:9]
	v_mul_f64_e32 v[8:9], v[171:172], v[8:9]
	scratch_load_b128 v[38:41], off, off offset:880
	s_wait_loadcnt_dscnt 0x800
	v_mul_f64_e32 v[183:184], v[2:3], v[12:13]
	v_mul_f64_e32 v[12:13], v[4:5], v[12:13]
	v_add_f64_e32 v[175:176], v[175:176], v[167:168]
	v_add_f64_e32 v[177:178], v[165:166], v[177:178]
	ds_load_b128 v[165:168], v1 offset:1664
	v_fma_f64 v[171:172], v[171:172], v[6:7], v[179:180]
	v_fma_f64 v[169:170], v[169:170], v[6:7], -v[8:9]
	scratch_load_b128 v[6:9], off, off offset:896
	v_fma_f64 v[179:180], v[4:5], v[10:11], v[183:184]
	v_add_f64_e32 v[175:176], v[175:176], v[181:182]
	v_add_f64_e32 v[173:174], v[177:178], v[173:174]
	v_fma_f64 v[181:182], v[2:3], v[10:11], -v[12:13]
	ds_load_b128 v[2:5], v1 offset:1680
	s_wait_loadcnt_dscnt 0x801
	v_mul_f64_e32 v[177:178], v[165:166], v[16:17]
	v_mul_f64_e32 v[16:17], v[167:168], v[16:17]
	scratch_load_b128 v[10:13], off, off offset:912
	s_wait_loadcnt_dscnt 0x800
	v_mul_f64_e32 v[183:184], v[2:3], v[20:21]
	v_mul_f64_e32 v[20:21], v[4:5], v[20:21]
	v_add_f64_e32 v[175:176], v[175:176], v[169:170]
	v_add_f64_e32 v[173:174], v[173:174], v[171:172]
	ds_load_b128 v[169:172], v1 offset:1696
	v_fma_f64 v[167:168], v[167:168], v[14:15], v[177:178]
	v_fma_f64 v[14:15], v[165:166], v[14:15], -v[16:17]
	v_add_f64_e32 v[16:17], v[175:176], v[181:182]
	v_add_f64_e32 v[165:166], v[173:174], v[179:180]
	s_wait_loadcnt_dscnt 0x700
	v_mul_f64_e32 v[173:174], v[169:170], v[24:25]
	v_mul_f64_e32 v[24:25], v[171:172], v[24:25]
	v_fma_f64 v[175:176], v[4:5], v[18:19], v[183:184]
	v_fma_f64 v[18:19], v[2:3], v[18:19], -v[20:21]
	v_add_f64_e32 v[20:21], v[16:17], v[14:15]
	v_add_f64_e32 v[165:166], v[165:166], v[167:168]
	ds_load_b128 v[2:5], v1 offset:1712
	ds_load_b128 v[14:17], v1 offset:1728
	v_fma_f64 v[171:172], v[171:172], v[22:23], v[173:174]
	v_fma_f64 v[22:23], v[169:170], v[22:23], -v[24:25]
	s_wait_loadcnt_dscnt 0x601
	v_mul_f64_e32 v[167:168], v[2:3], v[28:29]
	v_mul_f64_e32 v[28:29], v[4:5], v[28:29]
	s_wait_loadcnt_dscnt 0x500
	v_mul_f64_e32 v[24:25], v[14:15], v[32:33]
	v_mul_f64_e32 v[32:33], v[16:17], v[32:33]
	v_add_f64_e32 v[18:19], v[20:21], v[18:19]
	v_add_f64_e32 v[20:21], v[165:166], v[175:176]
	v_fma_f64 v[165:166], v[4:5], v[26:27], v[167:168]
	v_fma_f64 v[26:27], v[2:3], v[26:27], -v[28:29]
	v_fma_f64 v[16:17], v[16:17], v[30:31], v[24:25]
	v_fma_f64 v[14:15], v[14:15], v[30:31], -v[32:33]
	v_add_f64_e32 v[22:23], v[18:19], v[22:23]
	v_add_f64_e32 v[28:29], v[20:21], v[171:172]
	ds_load_b128 v[2:5], v1 offset:1744
	ds_load_b128 v[18:21], v1 offset:1760
	s_wait_loadcnt_dscnt 0x401
	v_mul_f64_e32 v[167:168], v[2:3], v[36:37]
	v_mul_f64_e32 v[36:37], v[4:5], v[36:37]
	v_add_f64_e32 v[22:23], v[22:23], v[26:27]
	v_add_f64_e32 v[24:25], v[28:29], v[165:166]
	s_wait_loadcnt_dscnt 0x300
	v_mul_f64_e32 v[26:27], v[18:19], v[163:164]
	v_mul_f64_e32 v[28:29], v[20:21], v[163:164]
	v_fma_f64 v[30:31], v[4:5], v[34:35], v[167:168]
	v_fma_f64 v[32:33], v[2:3], v[34:35], -v[36:37]
	v_add_f64_e32 v[22:23], v[22:23], v[14:15]
	v_add_f64_e32 v[24:25], v[24:25], v[16:17]
	ds_load_b128 v[2:5], v1 offset:1776
	ds_load_b128 v[14:17], v1 offset:1792
	v_fma_f64 v[20:21], v[20:21], v[161:162], v[26:27]
	v_fma_f64 v[18:19], v[18:19], v[161:162], -v[28:29]
	s_wait_loadcnt_dscnt 0x201
	v_mul_f64_e32 v[34:35], v[2:3], v[40:41]
	v_mul_f64_e32 v[36:37], v[4:5], v[40:41]
	s_wait_loadcnt_dscnt 0x100
	v_mul_f64_e32 v[26:27], v[14:15], v[8:9]
	v_mul_f64_e32 v[8:9], v[16:17], v[8:9]
	v_add_f64_e32 v[22:23], v[22:23], v[32:33]
	v_add_f64_e32 v[24:25], v[24:25], v[30:31]
	v_fma_f64 v[28:29], v[4:5], v[38:39], v[34:35]
	v_fma_f64 v[30:31], v[2:3], v[38:39], -v[36:37]
	ds_load_b128 v[2:5], v1 offset:1808
	v_fma_f64 v[16:17], v[16:17], v[6:7], v[26:27]
	v_fma_f64 v[6:7], v[14:15], v[6:7], -v[8:9]
	v_add_f64_e32 v[18:19], v[22:23], v[18:19]
	v_add_f64_e32 v[20:21], v[24:25], v[20:21]
	s_wait_loadcnt_dscnt 0x0
	v_mul_f64_e32 v[22:23], v[2:3], v[12:13]
	v_mul_f64_e32 v[12:13], v[4:5], v[12:13]
	s_delay_alu instid0(VALU_DEP_4) | instskip(NEXT) | instid1(VALU_DEP_4)
	v_add_f64_e32 v[8:9], v[18:19], v[30:31]
	v_add_f64_e32 v[14:15], v[20:21], v[28:29]
	s_delay_alu instid0(VALU_DEP_4) | instskip(NEXT) | instid1(VALU_DEP_4)
	v_fma_f64 v[4:5], v[4:5], v[10:11], v[22:23]
	v_fma_f64 v[2:3], v[2:3], v[10:11], -v[12:13]
	s_delay_alu instid0(VALU_DEP_4) | instskip(NEXT) | instid1(VALU_DEP_4)
	v_add_f64_e32 v[6:7], v[8:9], v[6:7]
	v_add_f64_e32 v[8:9], v[14:15], v[16:17]
	s_delay_alu instid0(VALU_DEP_2) | instskip(NEXT) | instid1(VALU_DEP_2)
	v_add_f64_e32 v[2:3], v[6:7], v[2:3]
	v_add_f64_e32 v[4:5], v[8:9], v[4:5]
	s_delay_alu instid0(VALU_DEP_2) | instskip(NEXT) | instid1(VALU_DEP_2)
	v_add_f64_e64 v[2:3], v[42:43], -v[2:3]
	v_add_f64_e64 v[4:5], v[44:45], -v[4:5]
	scratch_store_b128 off, v[2:5], off offset:64
	v_cmpx_lt_u32_e32 2, v0
	s_cbranch_execz .LBB56_351
; %bb.350:
	scratch_load_b128 v[5:8], off, s28
	v_dual_mov_b32 v2, v1 :: v_dual_mov_b32 v3, v1
	v_mov_b32_e32 v4, v1
	scratch_store_b128 off, v[1:4], off offset:48
	s_wait_loadcnt 0x0
	ds_store_b128 v160, v[5:8]
.LBB56_351:
	s_wait_alu 0xfffe
	s_or_b32 exec_lo, exec_lo, s0
	s_wait_storecnt_dscnt 0x0
	s_barrier_signal -1
	s_barrier_wait -1
	global_inv scope:SCOPE_SE
	s_clause 0x8
	scratch_load_b128 v[2:5], off, off offset:64
	scratch_load_b128 v[6:9], off, off offset:80
	;; [unrolled: 1-line block ×9, first 2 shown]
	ds_load_b128 v[42:45], v1 offset:960
	ds_load_b128 v[38:41], v1 offset:976
	s_clause 0x1
	scratch_load_b128 v[161:164], off, off offset:48
	scratch_load_b128 v[165:168], off, off offset:208
	s_mov_b32 s0, exec_lo
	s_wait_loadcnt_dscnt 0xa01
	v_mul_f64_e32 v[169:170], v[44:45], v[4:5]
	v_mul_f64_e32 v[4:5], v[42:43], v[4:5]
	s_wait_loadcnt_dscnt 0x900
	v_mul_f64_e32 v[173:174], v[38:39], v[8:9]
	v_mul_f64_e32 v[8:9], v[40:41], v[8:9]
	s_delay_alu instid0(VALU_DEP_4) | instskip(NEXT) | instid1(VALU_DEP_4)
	v_fma_f64 v[175:176], v[42:43], v[2:3], -v[169:170]
	v_fma_f64 v[177:178], v[44:45], v[2:3], v[4:5]
	ds_load_b128 v[2:5], v1 offset:992
	ds_load_b128 v[169:172], v1 offset:1008
	scratch_load_b128 v[42:45], off, off offset:224
	v_fma_f64 v[40:41], v[40:41], v[6:7], v[173:174]
	v_fma_f64 v[38:39], v[38:39], v[6:7], -v[8:9]
	scratch_load_b128 v[6:9], off, off offset:240
	s_wait_loadcnt_dscnt 0xa01
	v_mul_f64_e32 v[179:180], v[2:3], v[12:13]
	v_mul_f64_e32 v[12:13], v[4:5], v[12:13]
	v_add_f64_e32 v[173:174], 0, v[175:176]
	v_add_f64_e32 v[175:176], 0, v[177:178]
	s_wait_loadcnt_dscnt 0x900
	v_mul_f64_e32 v[177:178], v[169:170], v[16:17]
	v_mul_f64_e32 v[16:17], v[171:172], v[16:17]
	v_fma_f64 v[179:180], v[4:5], v[10:11], v[179:180]
	v_fma_f64 v[181:182], v[2:3], v[10:11], -v[12:13]
	ds_load_b128 v[2:5], v1 offset:1024
	scratch_load_b128 v[10:13], off, off offset:256
	v_add_f64_e32 v[173:174], v[173:174], v[38:39]
	v_add_f64_e32 v[175:176], v[175:176], v[40:41]
	ds_load_b128 v[38:41], v1 offset:1040
	v_fma_f64 v[171:172], v[171:172], v[14:15], v[177:178]
	v_fma_f64 v[169:170], v[169:170], v[14:15], -v[16:17]
	scratch_load_b128 v[14:17], off, off offset:272
	s_wait_loadcnt_dscnt 0xa01
	v_mul_f64_e32 v[183:184], v[2:3], v[20:21]
	v_mul_f64_e32 v[20:21], v[4:5], v[20:21]
	s_wait_loadcnt_dscnt 0x900
	v_mul_f64_e32 v[177:178], v[38:39], v[24:25]
	v_mul_f64_e32 v[24:25], v[40:41], v[24:25]
	v_add_f64_e32 v[173:174], v[173:174], v[181:182]
	v_add_f64_e32 v[175:176], v[175:176], v[179:180]
	v_fma_f64 v[179:180], v[4:5], v[18:19], v[183:184]
	v_fma_f64 v[181:182], v[2:3], v[18:19], -v[20:21]
	ds_load_b128 v[2:5], v1 offset:1056
	scratch_load_b128 v[18:21], off, off offset:288
	v_fma_f64 v[40:41], v[40:41], v[22:23], v[177:178]
	v_fma_f64 v[38:39], v[38:39], v[22:23], -v[24:25]
	scratch_load_b128 v[22:25], off, off offset:304
	v_add_f64_e32 v[173:174], v[173:174], v[169:170]
	v_add_f64_e32 v[175:176], v[175:176], v[171:172]
	ds_load_b128 v[169:172], v1 offset:1072
	s_wait_loadcnt_dscnt 0xa01
	v_mul_f64_e32 v[183:184], v[2:3], v[28:29]
	v_mul_f64_e32 v[28:29], v[4:5], v[28:29]
	s_wait_loadcnt_dscnt 0x900
	v_mul_f64_e32 v[177:178], v[169:170], v[32:33]
	v_mul_f64_e32 v[32:33], v[171:172], v[32:33]
	v_add_f64_e32 v[173:174], v[173:174], v[181:182]
	v_add_f64_e32 v[175:176], v[175:176], v[179:180]
	v_fma_f64 v[179:180], v[4:5], v[26:27], v[183:184]
	v_fma_f64 v[181:182], v[2:3], v[26:27], -v[28:29]
	ds_load_b128 v[2:5], v1 offset:1088
	scratch_load_b128 v[26:29], off, off offset:320
	v_fma_f64 v[171:172], v[171:172], v[30:31], v[177:178]
	v_fma_f64 v[169:170], v[169:170], v[30:31], -v[32:33]
	scratch_load_b128 v[30:33], off, off offset:336
	v_add_f64_e32 v[173:174], v[173:174], v[38:39]
	v_add_f64_e32 v[175:176], v[175:176], v[40:41]
	ds_load_b128 v[38:41], v1 offset:1104
	s_wait_loadcnt_dscnt 0xa01
	v_mul_f64_e32 v[183:184], v[2:3], v[36:37]
	v_mul_f64_e32 v[36:37], v[4:5], v[36:37]
	s_wait_loadcnt_dscnt 0x800
	v_mul_f64_e32 v[177:178], v[38:39], v[167:168]
	v_add_f64_e32 v[173:174], v[173:174], v[181:182]
	v_add_f64_e32 v[175:176], v[175:176], v[179:180]
	v_mul_f64_e32 v[179:180], v[40:41], v[167:168]
	v_fma_f64 v[181:182], v[4:5], v[34:35], v[183:184]
	v_fma_f64 v[183:184], v[2:3], v[34:35], -v[36:37]
	ds_load_b128 v[2:5], v1 offset:1120
	scratch_load_b128 v[34:37], off, off offset:352
	v_fma_f64 v[177:178], v[40:41], v[165:166], v[177:178]
	v_add_f64_e32 v[173:174], v[173:174], v[169:170]
	v_add_f64_e32 v[171:172], v[175:176], v[171:172]
	ds_load_b128 v[167:170], v1 offset:1136
	v_fma_f64 v[165:166], v[38:39], v[165:166], -v[179:180]
	scratch_load_b128 v[38:41], off, off offset:368
	s_wait_loadcnt_dscnt 0x901
	v_mul_f64_e32 v[175:176], v[2:3], v[44:45]
	v_mul_f64_e32 v[44:45], v[4:5], v[44:45]
	s_wait_loadcnt_dscnt 0x800
	v_mul_f64_e32 v[179:180], v[167:168], v[8:9]
	v_mul_f64_e32 v[8:9], v[169:170], v[8:9]
	v_add_f64_e32 v[173:174], v[173:174], v[183:184]
	v_add_f64_e32 v[171:172], v[171:172], v[181:182]
	v_fma_f64 v[175:176], v[4:5], v[42:43], v[175:176]
	v_fma_f64 v[181:182], v[2:3], v[42:43], -v[44:45]
	ds_load_b128 v[2:5], v1 offset:1152
	scratch_load_b128 v[42:45], off, off offset:384
	v_fma_f64 v[169:170], v[169:170], v[6:7], v[179:180]
	v_fma_f64 v[167:168], v[167:168], v[6:7], -v[8:9]
	scratch_load_b128 v[6:9], off, off offset:400
	v_add_f64_e32 v[165:166], v[173:174], v[165:166]
	v_add_f64_e32 v[177:178], v[171:172], v[177:178]
	ds_load_b128 v[171:174], v1 offset:1168
	s_wait_loadcnt_dscnt 0x901
	v_mul_f64_e32 v[183:184], v[2:3], v[12:13]
	v_mul_f64_e32 v[12:13], v[4:5], v[12:13]
	v_add_f64_e32 v[165:166], v[165:166], v[181:182]
	v_add_f64_e32 v[175:176], v[177:178], v[175:176]
	s_wait_loadcnt_dscnt 0x800
	v_mul_f64_e32 v[177:178], v[171:172], v[16:17]
	v_mul_f64_e32 v[16:17], v[173:174], v[16:17]
	v_fma_f64 v[179:180], v[4:5], v[10:11], v[183:184]
	v_fma_f64 v[181:182], v[2:3], v[10:11], -v[12:13]
	ds_load_b128 v[2:5], v1 offset:1184
	scratch_load_b128 v[10:13], off, off offset:416
	v_add_f64_e32 v[183:184], v[165:166], v[167:168]
	v_add_f64_e32 v[169:170], v[175:176], v[169:170]
	ds_load_b128 v[165:168], v1 offset:1200
	s_wait_loadcnt_dscnt 0x801
	v_mul_f64_e32 v[175:176], v[2:3], v[20:21]
	v_mul_f64_e32 v[20:21], v[4:5], v[20:21]
	v_fma_f64 v[173:174], v[173:174], v[14:15], v[177:178]
	v_fma_f64 v[171:172], v[171:172], v[14:15], -v[16:17]
	scratch_load_b128 v[14:17], off, off offset:432
	v_add_f64_e32 v[177:178], v[183:184], v[181:182]
	v_add_f64_e32 v[169:170], v[169:170], v[179:180]
	s_wait_loadcnt_dscnt 0x800
	v_mul_f64_e32 v[179:180], v[165:166], v[24:25]
	v_mul_f64_e32 v[24:25], v[167:168], v[24:25]
	v_fma_f64 v[175:176], v[4:5], v[18:19], v[175:176]
	v_fma_f64 v[181:182], v[2:3], v[18:19], -v[20:21]
	ds_load_b128 v[2:5], v1 offset:1216
	scratch_load_b128 v[18:21], off, off offset:448
	v_add_f64_e32 v[177:178], v[177:178], v[171:172]
	v_add_f64_e32 v[173:174], v[169:170], v[173:174]
	ds_load_b128 v[169:172], v1 offset:1232
	s_wait_loadcnt_dscnt 0x801
	v_mul_f64_e32 v[183:184], v[2:3], v[28:29]
	v_mul_f64_e32 v[28:29], v[4:5], v[28:29]
	v_fma_f64 v[167:168], v[167:168], v[22:23], v[179:180]
	v_fma_f64 v[165:166], v[165:166], v[22:23], -v[24:25]
	scratch_load_b128 v[22:25], off, off offset:464
	;; [unrolled: 18-line block ×4, first 2 shown]
	s_wait_loadcnt_dscnt 0x800
	v_mul_f64_e32 v[177:178], v[169:170], v[8:9]
	v_mul_f64_e32 v[8:9], v[171:172], v[8:9]
	v_add_f64_e32 v[175:176], v[175:176], v[181:182]
	v_add_f64_e32 v[173:174], v[173:174], v[179:180]
	v_fma_f64 v[179:180], v[4:5], v[42:43], v[183:184]
	v_fma_f64 v[181:182], v[2:3], v[42:43], -v[44:45]
	ds_load_b128 v[2:5], v1 offset:1312
	scratch_load_b128 v[42:45], off, off offset:544
	v_fma_f64 v[171:172], v[171:172], v[6:7], v[177:178]
	v_fma_f64 v[169:170], v[169:170], v[6:7], -v[8:9]
	scratch_load_b128 v[6:9], off, off offset:560
	v_add_f64_e32 v[175:176], v[175:176], v[165:166]
	v_add_f64_e32 v[173:174], v[173:174], v[167:168]
	ds_load_b128 v[165:168], v1 offset:1328
	s_wait_loadcnt_dscnt 0x901
	v_mul_f64_e32 v[183:184], v[2:3], v[12:13]
	v_mul_f64_e32 v[12:13], v[4:5], v[12:13]
	s_wait_loadcnt_dscnt 0x800
	v_mul_f64_e32 v[177:178], v[165:166], v[16:17]
	v_mul_f64_e32 v[16:17], v[167:168], v[16:17]
	v_add_f64_e32 v[175:176], v[175:176], v[181:182]
	v_add_f64_e32 v[173:174], v[173:174], v[179:180]
	v_fma_f64 v[179:180], v[4:5], v[10:11], v[183:184]
	v_fma_f64 v[181:182], v[2:3], v[10:11], -v[12:13]
	ds_load_b128 v[2:5], v1 offset:1344
	scratch_load_b128 v[10:13], off, off offset:576
	v_fma_f64 v[167:168], v[167:168], v[14:15], v[177:178]
	v_fma_f64 v[165:166], v[165:166], v[14:15], -v[16:17]
	scratch_load_b128 v[14:17], off, off offset:592
	v_add_f64_e32 v[175:176], v[175:176], v[169:170]
	v_add_f64_e32 v[173:174], v[173:174], v[171:172]
	ds_load_b128 v[169:172], v1 offset:1360
	s_wait_loadcnt_dscnt 0x901
	v_mul_f64_e32 v[183:184], v[2:3], v[20:21]
	v_mul_f64_e32 v[20:21], v[4:5], v[20:21]
	;; [unrolled: 18-line block ×12, first 2 shown]
	s_wait_loadcnt_dscnt 0x800
	v_mul_f64_e32 v[177:178], v[169:170], v[24:25]
	v_mul_f64_e32 v[24:25], v[171:172], v[24:25]
	v_add_f64_e32 v[175:176], v[175:176], v[181:182]
	v_add_f64_e32 v[173:174], v[173:174], v[179:180]
	v_fma_f64 v[179:180], v[4:5], v[18:19], v[183:184]
	v_fma_f64 v[181:182], v[2:3], v[18:19], -v[20:21]
	ds_load_b128 v[2:5], v1 offset:1696
	ds_load_b128 v[18:21], v1 offset:1712
	v_fma_f64 v[171:172], v[171:172], v[22:23], v[177:178]
	v_fma_f64 v[22:23], v[169:170], v[22:23], -v[24:25]
	v_add_f64_e32 v[165:166], v[175:176], v[165:166]
	v_add_f64_e32 v[167:168], v[173:174], v[167:168]
	s_wait_loadcnt_dscnt 0x701
	v_mul_f64_e32 v[173:174], v[2:3], v[28:29]
	v_mul_f64_e32 v[28:29], v[4:5], v[28:29]
	s_delay_alu instid0(VALU_DEP_4) | instskip(NEXT) | instid1(VALU_DEP_4)
	v_add_f64_e32 v[24:25], v[165:166], v[181:182]
	v_add_f64_e32 v[165:166], v[167:168], v[179:180]
	s_wait_loadcnt_dscnt 0x600
	v_mul_f64_e32 v[167:168], v[18:19], v[32:33]
	v_mul_f64_e32 v[32:33], v[20:21], v[32:33]
	v_fma_f64 v[169:170], v[4:5], v[26:27], v[173:174]
	v_fma_f64 v[26:27], v[2:3], v[26:27], -v[28:29]
	v_add_f64_e32 v[28:29], v[24:25], v[22:23]
	v_add_f64_e32 v[165:166], v[165:166], v[171:172]
	ds_load_b128 v[2:5], v1 offset:1728
	ds_load_b128 v[22:25], v1 offset:1744
	v_fma_f64 v[20:21], v[20:21], v[30:31], v[167:168]
	v_fma_f64 v[18:19], v[18:19], v[30:31], -v[32:33]
	s_wait_loadcnt_dscnt 0x501
	v_mul_f64_e32 v[171:172], v[2:3], v[36:37]
	v_mul_f64_e32 v[36:37], v[4:5], v[36:37]
	s_wait_loadcnt_dscnt 0x400
	v_mul_f64_e32 v[30:31], v[22:23], v[40:41]
	v_mul_f64_e32 v[32:33], v[24:25], v[40:41]
	v_add_f64_e32 v[26:27], v[28:29], v[26:27]
	v_add_f64_e32 v[28:29], v[165:166], v[169:170]
	v_fma_f64 v[40:41], v[4:5], v[34:35], v[171:172]
	v_fma_f64 v[34:35], v[2:3], v[34:35], -v[36:37]
	v_fma_f64 v[24:25], v[24:25], v[38:39], v[30:31]
	v_fma_f64 v[22:23], v[22:23], v[38:39], -v[32:33]
	v_add_f64_e32 v[26:27], v[26:27], v[18:19]
	v_add_f64_e32 v[28:29], v[28:29], v[20:21]
	ds_load_b128 v[2:5], v1 offset:1760
	ds_load_b128 v[18:21], v1 offset:1776
	s_wait_loadcnt_dscnt 0x301
	v_mul_f64_e32 v[36:37], v[2:3], v[44:45]
	v_mul_f64_e32 v[44:45], v[4:5], v[44:45]
	s_wait_loadcnt_dscnt 0x200
	v_mul_f64_e32 v[30:31], v[18:19], v[8:9]
	v_mul_f64_e32 v[8:9], v[20:21], v[8:9]
	v_add_f64_e32 v[26:27], v[26:27], v[34:35]
	v_add_f64_e32 v[28:29], v[28:29], v[40:41]
	v_fma_f64 v[32:33], v[4:5], v[42:43], v[36:37]
	v_fma_f64 v[34:35], v[2:3], v[42:43], -v[44:45]
	v_fma_f64 v[20:21], v[20:21], v[6:7], v[30:31]
	v_fma_f64 v[6:7], v[18:19], v[6:7], -v[8:9]
	v_add_f64_e32 v[26:27], v[26:27], v[22:23]
	v_add_f64_e32 v[28:29], v[28:29], v[24:25]
	ds_load_b128 v[2:5], v1 offset:1792
	ds_load_b128 v[22:25], v1 offset:1808
	s_wait_loadcnt_dscnt 0x101
	v_mul_f64_e32 v[36:37], v[2:3], v[12:13]
	v_mul_f64_e32 v[12:13], v[4:5], v[12:13]
	v_add_f64_e32 v[8:9], v[26:27], v[34:35]
	v_add_f64_e32 v[18:19], v[28:29], v[32:33]
	s_wait_loadcnt_dscnt 0x0
	v_mul_f64_e32 v[26:27], v[22:23], v[16:17]
	v_mul_f64_e32 v[16:17], v[24:25], v[16:17]
	v_fma_f64 v[4:5], v[4:5], v[10:11], v[36:37]
	v_fma_f64 v[1:2], v[2:3], v[10:11], -v[12:13]
	v_add_f64_e32 v[6:7], v[8:9], v[6:7]
	v_add_f64_e32 v[8:9], v[18:19], v[20:21]
	v_fma_f64 v[10:11], v[24:25], v[14:15], v[26:27]
	v_fma_f64 v[12:13], v[22:23], v[14:15], -v[16:17]
	s_delay_alu instid0(VALU_DEP_4) | instskip(NEXT) | instid1(VALU_DEP_4)
	v_add_f64_e32 v[1:2], v[6:7], v[1:2]
	v_add_f64_e32 v[3:4], v[8:9], v[4:5]
	s_delay_alu instid0(VALU_DEP_2) | instskip(NEXT) | instid1(VALU_DEP_2)
	v_add_f64_e32 v[1:2], v[1:2], v[12:13]
	v_add_f64_e32 v[3:4], v[3:4], v[10:11]
	s_delay_alu instid0(VALU_DEP_2) | instskip(NEXT) | instid1(VALU_DEP_2)
	v_add_f64_e64 v[1:2], v[161:162], -v[1:2]
	v_add_f64_e64 v[3:4], v[163:164], -v[3:4]
	scratch_store_b128 off, v[1:4], off offset:48
	v_cmpx_lt_u32_e32 1, v0
	s_cbranch_execz .LBB56_353
; %bb.352:
	scratch_load_b128 v[1:4], off, s30
	v_mov_b32_e32 v5, 0
	s_delay_alu instid0(VALU_DEP_1)
	v_dual_mov_b32 v6, v5 :: v_dual_mov_b32 v7, v5
	v_mov_b32_e32 v8, v5
	scratch_store_b128 off, v[5:8], off offset:32
	s_wait_loadcnt 0x0
	ds_store_b128 v160, v[1:4]
.LBB56_353:
	s_wait_alu 0xfffe
	s_or_b32 exec_lo, exec_lo, s0
	s_wait_storecnt_dscnt 0x0
	s_barrier_signal -1
	s_barrier_wait -1
	global_inv scope:SCOPE_SE
	s_clause 0x7
	scratch_load_b128 v[2:5], off, off offset:48
	scratch_load_b128 v[6:9], off, off offset:64
	scratch_load_b128 v[10:13], off, off offset:80
	scratch_load_b128 v[14:17], off, off offset:96
	scratch_load_b128 v[18:21], off, off offset:112
	scratch_load_b128 v[22:25], off, off offset:128
	scratch_load_b128 v[26:29], off, off offset:144
	scratch_load_b128 v[30:33], off, off offset:160
	v_mov_b32_e32 v1, 0
	s_mov_b32 s0, exec_lo
	ds_load_b128 v[38:41], v1 offset:944
	s_clause 0x1
	scratch_load_b128 v[34:37], off, off offset:176
	scratch_load_b128 v[42:45], off, off offset:32
	ds_load_b128 v[161:164], v1 offset:960
	scratch_load_b128 v[165:168], off, off offset:192
	s_wait_loadcnt_dscnt 0xa01
	v_mul_f64_e32 v[169:170], v[40:41], v[4:5]
	v_mul_f64_e32 v[4:5], v[38:39], v[4:5]
	s_delay_alu instid0(VALU_DEP_2) | instskip(NEXT) | instid1(VALU_DEP_2)
	v_fma_f64 v[175:176], v[38:39], v[2:3], -v[169:170]
	v_fma_f64 v[177:178], v[40:41], v[2:3], v[4:5]
	ds_load_b128 v[2:5], v1 offset:976
	s_wait_loadcnt_dscnt 0x901
	v_mul_f64_e32 v[173:174], v[161:162], v[8:9]
	v_mul_f64_e32 v[8:9], v[163:164], v[8:9]
	scratch_load_b128 v[38:41], off, off offset:208
	ds_load_b128 v[169:172], v1 offset:992
	s_wait_loadcnt_dscnt 0x901
	v_mul_f64_e32 v[179:180], v[2:3], v[12:13]
	v_mul_f64_e32 v[12:13], v[4:5], v[12:13]
	v_fma_f64 v[163:164], v[163:164], v[6:7], v[173:174]
	v_fma_f64 v[161:162], v[161:162], v[6:7], -v[8:9]
	v_add_f64_e32 v[173:174], 0, v[175:176]
	v_add_f64_e32 v[175:176], 0, v[177:178]
	scratch_load_b128 v[6:9], off, off offset:224
	v_fma_f64 v[179:180], v[4:5], v[10:11], v[179:180]
	v_fma_f64 v[181:182], v[2:3], v[10:11], -v[12:13]
	ds_load_b128 v[2:5], v1 offset:1008
	s_wait_loadcnt_dscnt 0x901
	v_mul_f64_e32 v[177:178], v[169:170], v[16:17]
	v_mul_f64_e32 v[16:17], v[171:172], v[16:17]
	scratch_load_b128 v[10:13], off, off offset:240
	v_add_f64_e32 v[173:174], v[173:174], v[161:162]
	v_add_f64_e32 v[175:176], v[175:176], v[163:164]
	s_wait_loadcnt_dscnt 0x900
	v_mul_f64_e32 v[183:184], v[2:3], v[20:21]
	v_mul_f64_e32 v[20:21], v[4:5], v[20:21]
	ds_load_b128 v[161:164], v1 offset:1024
	v_fma_f64 v[171:172], v[171:172], v[14:15], v[177:178]
	v_fma_f64 v[169:170], v[169:170], v[14:15], -v[16:17]
	scratch_load_b128 v[14:17], off, off offset:256
	v_add_f64_e32 v[173:174], v[173:174], v[181:182]
	v_add_f64_e32 v[175:176], v[175:176], v[179:180]
	v_fma_f64 v[179:180], v[4:5], v[18:19], v[183:184]
	v_fma_f64 v[181:182], v[2:3], v[18:19], -v[20:21]
	ds_load_b128 v[2:5], v1 offset:1040
	s_wait_loadcnt_dscnt 0x901
	v_mul_f64_e32 v[177:178], v[161:162], v[24:25]
	v_mul_f64_e32 v[24:25], v[163:164], v[24:25]
	scratch_load_b128 v[18:21], off, off offset:272
	s_wait_loadcnt_dscnt 0x900
	v_mul_f64_e32 v[183:184], v[2:3], v[28:29]
	v_mul_f64_e32 v[28:29], v[4:5], v[28:29]
	v_add_f64_e32 v[173:174], v[173:174], v[169:170]
	v_add_f64_e32 v[175:176], v[175:176], v[171:172]
	ds_load_b128 v[169:172], v1 offset:1056
	v_fma_f64 v[163:164], v[163:164], v[22:23], v[177:178]
	v_fma_f64 v[161:162], v[161:162], v[22:23], -v[24:25]
	scratch_load_b128 v[22:25], off, off offset:288
	v_add_f64_e32 v[173:174], v[173:174], v[181:182]
	v_add_f64_e32 v[175:176], v[175:176], v[179:180]
	v_fma_f64 v[179:180], v[4:5], v[26:27], v[183:184]
	v_fma_f64 v[181:182], v[2:3], v[26:27], -v[28:29]
	ds_load_b128 v[2:5], v1 offset:1072
	s_wait_loadcnt_dscnt 0x901
	v_mul_f64_e32 v[177:178], v[169:170], v[32:33]
	v_mul_f64_e32 v[32:33], v[171:172], v[32:33]
	scratch_load_b128 v[26:29], off, off offset:304
	s_wait_loadcnt_dscnt 0x900
	v_mul_f64_e32 v[183:184], v[2:3], v[36:37]
	v_mul_f64_e32 v[36:37], v[4:5], v[36:37]
	v_add_f64_e32 v[173:174], v[173:174], v[161:162]
	v_add_f64_e32 v[175:176], v[175:176], v[163:164]
	ds_load_b128 v[161:164], v1 offset:1088
	v_fma_f64 v[171:172], v[171:172], v[30:31], v[177:178]
	v_fma_f64 v[169:170], v[169:170], v[30:31], -v[32:33]
	scratch_load_b128 v[30:33], off, off offset:320
	v_add_f64_e32 v[173:174], v[173:174], v[181:182]
	v_add_f64_e32 v[175:176], v[175:176], v[179:180]
	v_fma_f64 v[181:182], v[4:5], v[34:35], v[183:184]
	v_fma_f64 v[183:184], v[2:3], v[34:35], -v[36:37]
	ds_load_b128 v[2:5], v1 offset:1104
	s_wait_loadcnt_dscnt 0x801
	v_mul_f64_e32 v[177:178], v[161:162], v[167:168]
	v_mul_f64_e32 v[179:180], v[163:164], v[167:168]
	scratch_load_b128 v[34:37], off, off offset:336
	v_add_f64_e32 v[173:174], v[173:174], v[169:170]
	v_add_f64_e32 v[171:172], v[175:176], v[171:172]
	ds_load_b128 v[167:170], v1 offset:1120
	v_fma_f64 v[177:178], v[163:164], v[165:166], v[177:178]
	v_fma_f64 v[165:166], v[161:162], v[165:166], -v[179:180]
	scratch_load_b128 v[161:164], off, off offset:352
	s_wait_loadcnt_dscnt 0x901
	v_mul_f64_e32 v[175:176], v[2:3], v[40:41]
	v_mul_f64_e32 v[40:41], v[4:5], v[40:41]
	v_add_f64_e32 v[173:174], v[173:174], v[183:184]
	v_add_f64_e32 v[171:172], v[171:172], v[181:182]
	s_delay_alu instid0(VALU_DEP_4) | instskip(NEXT) | instid1(VALU_DEP_4)
	v_fma_f64 v[175:176], v[4:5], v[38:39], v[175:176]
	v_fma_f64 v[181:182], v[2:3], v[38:39], -v[40:41]
	ds_load_b128 v[2:5], v1 offset:1136
	s_wait_loadcnt_dscnt 0x801
	v_mul_f64_e32 v[179:180], v[167:168], v[8:9]
	v_mul_f64_e32 v[8:9], v[169:170], v[8:9]
	scratch_load_b128 v[38:41], off, off offset:368
	s_wait_loadcnt_dscnt 0x800
	v_mul_f64_e32 v[183:184], v[2:3], v[12:13]
	v_add_f64_e32 v[165:166], v[173:174], v[165:166]
	v_add_f64_e32 v[177:178], v[171:172], v[177:178]
	v_mul_f64_e32 v[12:13], v[4:5], v[12:13]
	ds_load_b128 v[171:174], v1 offset:1152
	v_fma_f64 v[169:170], v[169:170], v[6:7], v[179:180]
	v_fma_f64 v[167:168], v[167:168], v[6:7], -v[8:9]
	scratch_load_b128 v[6:9], off, off offset:384
	v_fma_f64 v[179:180], v[4:5], v[10:11], v[183:184]
	v_add_f64_e32 v[165:166], v[165:166], v[181:182]
	v_add_f64_e32 v[175:176], v[177:178], v[175:176]
	v_fma_f64 v[181:182], v[2:3], v[10:11], -v[12:13]
	ds_load_b128 v[2:5], v1 offset:1168
	s_wait_loadcnt_dscnt 0x801
	v_mul_f64_e32 v[177:178], v[171:172], v[16:17]
	v_mul_f64_e32 v[16:17], v[173:174], v[16:17]
	scratch_load_b128 v[10:13], off, off offset:400
	v_add_f64_e32 v[183:184], v[165:166], v[167:168]
	v_add_f64_e32 v[169:170], v[175:176], v[169:170]
	s_wait_loadcnt_dscnt 0x800
	v_mul_f64_e32 v[175:176], v[2:3], v[20:21]
	v_mul_f64_e32 v[20:21], v[4:5], v[20:21]
	v_fma_f64 v[173:174], v[173:174], v[14:15], v[177:178]
	v_fma_f64 v[171:172], v[171:172], v[14:15], -v[16:17]
	ds_load_b128 v[165:168], v1 offset:1184
	scratch_load_b128 v[14:17], off, off offset:416
	v_add_f64_e32 v[177:178], v[183:184], v[181:182]
	v_add_f64_e32 v[169:170], v[169:170], v[179:180]
	v_fma_f64 v[175:176], v[4:5], v[18:19], v[175:176]
	v_fma_f64 v[181:182], v[2:3], v[18:19], -v[20:21]
	ds_load_b128 v[2:5], v1 offset:1200
	s_wait_loadcnt_dscnt 0x801
	v_mul_f64_e32 v[179:180], v[165:166], v[24:25]
	v_mul_f64_e32 v[24:25], v[167:168], v[24:25]
	scratch_load_b128 v[18:21], off, off offset:432
	s_wait_loadcnt_dscnt 0x800
	v_mul_f64_e32 v[183:184], v[2:3], v[28:29]
	v_mul_f64_e32 v[28:29], v[4:5], v[28:29]
	v_add_f64_e32 v[177:178], v[177:178], v[171:172]
	v_add_f64_e32 v[173:174], v[169:170], v[173:174]
	ds_load_b128 v[169:172], v1 offset:1216
	v_fma_f64 v[167:168], v[167:168], v[22:23], v[179:180]
	v_fma_f64 v[165:166], v[165:166], v[22:23], -v[24:25]
	scratch_load_b128 v[22:25], off, off offset:448
	v_fma_f64 v[179:180], v[4:5], v[26:27], v[183:184]
	v_add_f64_e32 v[177:178], v[177:178], v[181:182]
	v_add_f64_e32 v[173:174], v[173:174], v[175:176]
	v_fma_f64 v[181:182], v[2:3], v[26:27], -v[28:29]
	ds_load_b128 v[2:5], v1 offset:1232
	s_wait_loadcnt_dscnt 0x801
	v_mul_f64_e32 v[175:176], v[169:170], v[32:33]
	v_mul_f64_e32 v[32:33], v[171:172], v[32:33]
	scratch_load_b128 v[26:29], off, off offset:464
	s_wait_loadcnt_dscnt 0x800
	v_mul_f64_e32 v[183:184], v[2:3], v[36:37]
	v_mul_f64_e32 v[36:37], v[4:5], v[36:37]
	v_add_f64_e32 v[177:178], v[177:178], v[165:166]
	v_add_f64_e32 v[173:174], v[173:174], v[167:168]
	ds_load_b128 v[165:168], v1 offset:1248
	v_fma_f64 v[171:172], v[171:172], v[30:31], v[175:176]
	v_fma_f64 v[169:170], v[169:170], v[30:31], -v[32:33]
	scratch_load_b128 v[30:33], off, off offset:480
	v_add_f64_e32 v[175:176], v[177:178], v[181:182]
	v_add_f64_e32 v[173:174], v[173:174], v[179:180]
	v_fma_f64 v[179:180], v[4:5], v[34:35], v[183:184]
	v_fma_f64 v[181:182], v[2:3], v[34:35], -v[36:37]
	ds_load_b128 v[2:5], v1 offset:1264
	s_wait_loadcnt_dscnt 0x801
	v_mul_f64_e32 v[177:178], v[165:166], v[163:164]
	v_mul_f64_e32 v[163:164], v[167:168], v[163:164]
	scratch_load_b128 v[34:37], off, off offset:496
	s_wait_loadcnt_dscnt 0x800
	v_mul_f64_e32 v[183:184], v[2:3], v[40:41]
	v_mul_f64_e32 v[40:41], v[4:5], v[40:41]
	v_add_f64_e32 v[175:176], v[175:176], v[169:170]
	v_add_f64_e32 v[173:174], v[173:174], v[171:172]
	ds_load_b128 v[169:172], v1 offset:1280
	v_fma_f64 v[167:168], v[167:168], v[161:162], v[177:178]
	v_fma_f64 v[165:166], v[165:166], v[161:162], -v[163:164]
	scratch_load_b128 v[161:164], off, off offset:512
	v_add_f64_e32 v[175:176], v[175:176], v[181:182]
	v_add_f64_e32 v[173:174], v[173:174], v[179:180]
	v_fma_f64 v[179:180], v[4:5], v[38:39], v[183:184]
	;; [unrolled: 18-line block ×6, first 2 shown]
	v_fma_f64 v[183:184], v[2:3], v[34:35], -v[36:37]
	ds_load_b128 v[2:5], v1 offset:1424
	s_wait_loadcnt_dscnt 0x801
	v_mul_f64_e32 v[177:178], v[169:170], v[163:164]
	v_mul_f64_e32 v[179:180], v[171:172], v[163:164]
	scratch_load_b128 v[34:37], off, off offset:656
	v_add_f64_e32 v[175:176], v[175:176], v[165:166]
	v_add_f64_e32 v[167:168], v[173:174], v[167:168]
	s_wait_loadcnt_dscnt 0x800
	v_mul_f64_e32 v[173:174], v[2:3], v[40:41]
	v_mul_f64_e32 v[40:41], v[4:5], v[40:41]
	ds_load_b128 v[163:166], v1 offset:1440
	v_fma_f64 v[171:172], v[171:172], v[161:162], v[177:178]
	v_fma_f64 v[161:162], v[169:170], v[161:162], -v[179:180]
	v_add_f64_e32 v[175:176], v[175:176], v[183:184]
	v_add_f64_e32 v[177:178], v[167:168], v[181:182]
	scratch_load_b128 v[167:170], off, off offset:672
	v_fma_f64 v[181:182], v[4:5], v[38:39], v[173:174]
	v_fma_f64 v[183:184], v[2:3], v[38:39], -v[40:41]
	ds_load_b128 v[2:5], v1 offset:1456
	s_wait_loadcnt_dscnt 0x801
	v_mul_f64_e32 v[179:180], v[163:164], v[8:9]
	v_mul_f64_e32 v[8:9], v[165:166], v[8:9]
	scratch_load_b128 v[38:41], off, off offset:688
	v_add_f64_e32 v[161:162], v[175:176], v[161:162]
	v_add_f64_e32 v[175:176], v[177:178], v[171:172]
	s_wait_loadcnt_dscnt 0x800
	v_mul_f64_e32 v[177:178], v[2:3], v[12:13]
	v_mul_f64_e32 v[12:13], v[4:5], v[12:13]
	ds_load_b128 v[171:174], v1 offset:1472
	v_fma_f64 v[165:166], v[165:166], v[6:7], v[179:180]
	v_fma_f64 v[163:164], v[163:164], v[6:7], -v[8:9]
	scratch_load_b128 v[6:9], off, off offset:704
	v_add_f64_e32 v[161:162], v[161:162], v[183:184]
	v_add_f64_e32 v[175:176], v[175:176], v[181:182]
	v_fma_f64 v[177:178], v[4:5], v[10:11], v[177:178]
	v_fma_f64 v[181:182], v[2:3], v[10:11], -v[12:13]
	ds_load_b128 v[2:5], v1 offset:1488
	s_wait_loadcnt_dscnt 0x801
	v_mul_f64_e32 v[179:180], v[171:172], v[16:17]
	v_mul_f64_e32 v[16:17], v[173:174], v[16:17]
	scratch_load_b128 v[10:13], off, off offset:720
	v_add_f64_e32 v[183:184], v[161:162], v[163:164]
	v_add_f64_e32 v[165:166], v[175:176], v[165:166]
	s_wait_loadcnt_dscnt 0x800
	v_mul_f64_e32 v[175:176], v[2:3], v[20:21]
	v_mul_f64_e32 v[20:21], v[4:5], v[20:21]
	ds_load_b128 v[161:164], v1 offset:1504
	v_fma_f64 v[173:174], v[173:174], v[14:15], v[179:180]
	v_fma_f64 v[171:172], v[171:172], v[14:15], -v[16:17]
	scratch_load_b128 v[14:17], off, off offset:736
	v_add_f64_e32 v[179:180], v[183:184], v[181:182]
	v_add_f64_e32 v[165:166], v[165:166], v[177:178]
	v_fma_f64 v[175:176], v[4:5], v[18:19], v[175:176]
	v_fma_f64 v[181:182], v[2:3], v[18:19], -v[20:21]
	ds_load_b128 v[2:5], v1 offset:1520
	s_wait_loadcnt_dscnt 0x801
	v_mul_f64_e32 v[177:178], v[161:162], v[24:25]
	v_mul_f64_e32 v[24:25], v[163:164], v[24:25]
	scratch_load_b128 v[18:21], off, off offset:752
	s_wait_loadcnt_dscnt 0x800
	v_mul_f64_e32 v[183:184], v[2:3], v[28:29]
	v_mul_f64_e32 v[28:29], v[4:5], v[28:29]
	v_add_f64_e32 v[179:180], v[179:180], v[171:172]
	v_add_f64_e32 v[165:166], v[165:166], v[173:174]
	ds_load_b128 v[171:174], v1 offset:1536
	v_fma_f64 v[163:164], v[163:164], v[22:23], v[177:178]
	v_fma_f64 v[161:162], v[161:162], v[22:23], -v[24:25]
	scratch_load_b128 v[22:25], off, off offset:768
	v_add_f64_e32 v[177:178], v[179:180], v[181:182]
	v_add_f64_e32 v[165:166], v[165:166], v[175:176]
	v_fma_f64 v[179:180], v[4:5], v[26:27], v[183:184]
	v_fma_f64 v[181:182], v[2:3], v[26:27], -v[28:29]
	ds_load_b128 v[2:5], v1 offset:1552
	s_wait_loadcnt_dscnt 0x801
	v_mul_f64_e32 v[175:176], v[171:172], v[32:33]
	v_mul_f64_e32 v[32:33], v[173:174], v[32:33]
	scratch_load_b128 v[26:29], off, off offset:784
	s_wait_loadcnt_dscnt 0x800
	v_mul_f64_e32 v[183:184], v[2:3], v[36:37]
	v_mul_f64_e32 v[36:37], v[4:5], v[36:37]
	v_add_f64_e32 v[177:178], v[177:178], v[161:162]
	v_add_f64_e32 v[165:166], v[165:166], v[163:164]
	ds_load_b128 v[161:164], v1 offset:1568
	v_fma_f64 v[173:174], v[173:174], v[30:31], v[175:176]
	v_fma_f64 v[171:172], v[171:172], v[30:31], -v[32:33]
	scratch_load_b128 v[30:33], off, off offset:800
	v_add_f64_e32 v[175:176], v[177:178], v[181:182]
	v_add_f64_e32 v[165:166], v[165:166], v[179:180]
	v_fma_f64 v[181:182], v[4:5], v[34:35], v[183:184]
	v_fma_f64 v[183:184], v[2:3], v[34:35], -v[36:37]
	ds_load_b128 v[2:5], v1 offset:1584
	scratch_load_b128 v[34:37], off, off offset:816
	s_wait_loadcnt_dscnt 0x901
	v_mul_f64_e32 v[177:178], v[161:162], v[169:170]
	v_mul_f64_e32 v[179:180], v[163:164], v[169:170]
	v_add_f64_e32 v[175:176], v[175:176], v[171:172]
	v_add_f64_e32 v[165:166], v[165:166], v[173:174]
	s_wait_loadcnt_dscnt 0x800
	v_mul_f64_e32 v[173:174], v[2:3], v[40:41]
	v_mul_f64_e32 v[40:41], v[4:5], v[40:41]
	ds_load_b128 v[169:172], v1 offset:1600
	v_fma_f64 v[177:178], v[163:164], v[167:168], v[177:178]
	v_fma_f64 v[167:168], v[161:162], v[167:168], -v[179:180]
	scratch_load_b128 v[161:164], off, off offset:832
	v_add_f64_e32 v[175:176], v[175:176], v[183:184]
	v_add_f64_e32 v[165:166], v[165:166], v[181:182]
	v_fma_f64 v[173:174], v[4:5], v[38:39], v[173:174]
	v_fma_f64 v[181:182], v[2:3], v[38:39], -v[40:41]
	ds_load_b128 v[2:5], v1 offset:1616
	s_wait_loadcnt_dscnt 0x801
	v_mul_f64_e32 v[179:180], v[169:170], v[8:9]
	v_mul_f64_e32 v[8:9], v[171:172], v[8:9]
	scratch_load_b128 v[38:41], off, off offset:848
	s_wait_loadcnt_dscnt 0x800
	v_mul_f64_e32 v[183:184], v[2:3], v[12:13]
	v_mul_f64_e32 v[12:13], v[4:5], v[12:13]
	v_add_f64_e32 v[175:176], v[175:176], v[167:168]
	v_add_f64_e32 v[177:178], v[165:166], v[177:178]
	ds_load_b128 v[165:168], v1 offset:1632
	v_fma_f64 v[171:172], v[171:172], v[6:7], v[179:180]
	v_fma_f64 v[169:170], v[169:170], v[6:7], -v[8:9]
	scratch_load_b128 v[6:9], off, off offset:864
	v_fma_f64 v[179:180], v[4:5], v[10:11], v[183:184]
	v_add_f64_e32 v[175:176], v[175:176], v[181:182]
	v_add_f64_e32 v[173:174], v[177:178], v[173:174]
	v_fma_f64 v[181:182], v[2:3], v[10:11], -v[12:13]
	ds_load_b128 v[2:5], v1 offset:1648
	s_wait_loadcnt_dscnt 0x801
	v_mul_f64_e32 v[177:178], v[165:166], v[16:17]
	v_mul_f64_e32 v[16:17], v[167:168], v[16:17]
	scratch_load_b128 v[10:13], off, off offset:880
	s_wait_loadcnt_dscnt 0x800
	v_mul_f64_e32 v[183:184], v[2:3], v[20:21]
	v_mul_f64_e32 v[20:21], v[4:5], v[20:21]
	v_add_f64_e32 v[175:176], v[175:176], v[169:170]
	v_add_f64_e32 v[173:174], v[173:174], v[171:172]
	ds_load_b128 v[169:172], v1 offset:1664
	v_fma_f64 v[167:168], v[167:168], v[14:15], v[177:178]
	v_fma_f64 v[165:166], v[165:166], v[14:15], -v[16:17]
	scratch_load_b128 v[14:17], off, off offset:896
	v_add_f64_e32 v[175:176], v[175:176], v[181:182]
	v_add_f64_e32 v[173:174], v[173:174], v[179:180]
	v_fma_f64 v[179:180], v[4:5], v[18:19], v[183:184]
	v_fma_f64 v[181:182], v[2:3], v[18:19], -v[20:21]
	ds_load_b128 v[2:5], v1 offset:1680
	s_wait_loadcnt_dscnt 0x801
	v_mul_f64_e32 v[177:178], v[169:170], v[24:25]
	v_mul_f64_e32 v[24:25], v[171:172], v[24:25]
	scratch_load_b128 v[18:21], off, off offset:912
	s_wait_loadcnt_dscnt 0x800
	v_mul_f64_e32 v[183:184], v[2:3], v[28:29]
	v_mul_f64_e32 v[28:29], v[4:5], v[28:29]
	v_add_f64_e32 v[175:176], v[175:176], v[165:166]
	v_add_f64_e32 v[173:174], v[173:174], v[167:168]
	ds_load_b128 v[165:168], v1 offset:1696
	v_fma_f64 v[171:172], v[171:172], v[22:23], v[177:178]
	v_fma_f64 v[22:23], v[169:170], v[22:23], -v[24:25]
	v_add_f64_e32 v[24:25], v[175:176], v[181:182]
	v_add_f64_e32 v[169:170], v[173:174], v[179:180]
	s_wait_loadcnt_dscnt 0x700
	v_mul_f64_e32 v[173:174], v[165:166], v[32:33]
	v_mul_f64_e32 v[32:33], v[167:168], v[32:33]
	v_fma_f64 v[175:176], v[4:5], v[26:27], v[183:184]
	v_fma_f64 v[26:27], v[2:3], v[26:27], -v[28:29]
	v_add_f64_e32 v[28:29], v[24:25], v[22:23]
	v_add_f64_e32 v[169:170], v[169:170], v[171:172]
	ds_load_b128 v[2:5], v1 offset:1712
	ds_load_b128 v[22:25], v1 offset:1728
	v_fma_f64 v[167:168], v[167:168], v[30:31], v[173:174]
	v_fma_f64 v[30:31], v[165:166], v[30:31], -v[32:33]
	s_wait_loadcnt_dscnt 0x601
	v_mul_f64_e32 v[171:172], v[2:3], v[36:37]
	v_mul_f64_e32 v[36:37], v[4:5], v[36:37]
	s_wait_loadcnt_dscnt 0x500
	v_mul_f64_e32 v[32:33], v[22:23], v[163:164]
	v_mul_f64_e32 v[163:164], v[24:25], v[163:164]
	v_add_f64_e32 v[26:27], v[28:29], v[26:27]
	v_add_f64_e32 v[28:29], v[169:170], v[175:176]
	v_fma_f64 v[165:166], v[4:5], v[34:35], v[171:172]
	v_fma_f64 v[34:35], v[2:3], v[34:35], -v[36:37]
	v_fma_f64 v[24:25], v[24:25], v[161:162], v[32:33]
	v_fma_f64 v[22:23], v[22:23], v[161:162], -v[163:164]
	v_add_f64_e32 v[30:31], v[26:27], v[30:31]
	v_add_f64_e32 v[36:37], v[28:29], v[167:168]
	ds_load_b128 v[2:5], v1 offset:1744
	ds_load_b128 v[26:29], v1 offset:1760
	s_wait_loadcnt_dscnt 0x401
	v_mul_f64_e32 v[167:168], v[2:3], v[40:41]
	v_mul_f64_e32 v[40:41], v[4:5], v[40:41]
	v_add_f64_e32 v[30:31], v[30:31], v[34:35]
	v_add_f64_e32 v[32:33], v[36:37], v[165:166]
	s_wait_loadcnt_dscnt 0x300
	v_mul_f64_e32 v[34:35], v[26:27], v[8:9]
	v_mul_f64_e32 v[8:9], v[28:29], v[8:9]
	v_fma_f64 v[36:37], v[4:5], v[38:39], v[167:168]
	v_fma_f64 v[38:39], v[2:3], v[38:39], -v[40:41]
	v_add_f64_e32 v[30:31], v[30:31], v[22:23]
	v_add_f64_e32 v[32:33], v[32:33], v[24:25]
	ds_load_b128 v[2:5], v1 offset:1776
	ds_load_b128 v[22:25], v1 offset:1792
	v_fma_f64 v[28:29], v[28:29], v[6:7], v[34:35]
	v_fma_f64 v[6:7], v[26:27], v[6:7], -v[8:9]
	s_wait_loadcnt_dscnt 0x201
	v_mul_f64_e32 v[40:41], v[2:3], v[12:13]
	v_mul_f64_e32 v[12:13], v[4:5], v[12:13]
	v_add_f64_e32 v[8:9], v[30:31], v[38:39]
	v_add_f64_e32 v[26:27], v[32:33], v[36:37]
	s_wait_loadcnt_dscnt 0x100
	v_mul_f64_e32 v[30:31], v[22:23], v[16:17]
	v_mul_f64_e32 v[16:17], v[24:25], v[16:17]
	v_fma_f64 v[32:33], v[4:5], v[10:11], v[40:41]
	v_fma_f64 v[10:11], v[2:3], v[10:11], -v[12:13]
	ds_load_b128 v[2:5], v1 offset:1808
	v_add_f64_e32 v[6:7], v[8:9], v[6:7]
	v_add_f64_e32 v[8:9], v[26:27], v[28:29]
	v_fma_f64 v[24:25], v[24:25], v[14:15], v[30:31]
	v_fma_f64 v[14:15], v[22:23], v[14:15], -v[16:17]
	s_wait_loadcnt_dscnt 0x0
	v_mul_f64_e32 v[12:13], v[2:3], v[20:21]
	v_mul_f64_e32 v[20:21], v[4:5], v[20:21]
	v_add_f64_e32 v[6:7], v[6:7], v[10:11]
	v_add_f64_e32 v[8:9], v[8:9], v[32:33]
	s_delay_alu instid0(VALU_DEP_4) | instskip(NEXT) | instid1(VALU_DEP_4)
	v_fma_f64 v[4:5], v[4:5], v[18:19], v[12:13]
	v_fma_f64 v[2:3], v[2:3], v[18:19], -v[20:21]
	s_delay_alu instid0(VALU_DEP_4) | instskip(NEXT) | instid1(VALU_DEP_4)
	v_add_f64_e32 v[6:7], v[6:7], v[14:15]
	v_add_f64_e32 v[8:9], v[8:9], v[24:25]
	s_delay_alu instid0(VALU_DEP_2) | instskip(NEXT) | instid1(VALU_DEP_2)
	v_add_f64_e32 v[2:3], v[6:7], v[2:3]
	v_add_f64_e32 v[4:5], v[8:9], v[4:5]
	s_delay_alu instid0(VALU_DEP_2) | instskip(NEXT) | instid1(VALU_DEP_2)
	v_add_f64_e64 v[2:3], v[42:43], -v[2:3]
	v_add_f64_e64 v[4:5], v[44:45], -v[4:5]
	scratch_store_b128 off, v[2:5], off offset:32
	v_cmpx_ne_u32_e32 0, v0
	s_cbranch_execz .LBB56_355
; %bb.354:
	scratch_load_b128 v[5:8], off, off offset:16
	v_dual_mov_b32 v2, v1 :: v_dual_mov_b32 v3, v1
	v_mov_b32_e32 v4, v1
	scratch_store_b128 off, v[1:4], off offset:16
	s_wait_loadcnt 0x0
	ds_store_b128 v160, v[5:8]
.LBB56_355:
	s_wait_alu 0xfffe
	s_or_b32 exec_lo, exec_lo, s0
	s_wait_storecnt_dscnt 0x0
	s_barrier_signal -1
	s_barrier_wait -1
	global_inv scope:SCOPE_SE
	s_clause 0x8
	scratch_load_b128 v[2:5], off, off offset:32
	scratch_load_b128 v[6:9], off, off offset:48
	;; [unrolled: 1-line block ×9, first 2 shown]
	ds_load_b128 v[42:45], v1 offset:928
	ds_load_b128 v[38:41], v1 offset:944
	s_clause 0x1
	scratch_load_b128 v[160:163], off, off offset:16
	scratch_load_b128 v[164:167], off, off offset:176
	s_and_b32 vcc_lo, exec_lo, s18
	s_wait_loadcnt_dscnt 0xa01
	v_mul_f64_e32 v[168:169], v[44:45], v[4:5]
	v_mul_f64_e32 v[4:5], v[42:43], v[4:5]
	s_wait_loadcnt_dscnt 0x900
	v_mul_f64_e32 v[172:173], v[38:39], v[8:9]
	v_mul_f64_e32 v[8:9], v[40:41], v[8:9]
	s_delay_alu instid0(VALU_DEP_4) | instskip(NEXT) | instid1(VALU_DEP_4)
	v_fma_f64 v[174:175], v[42:43], v[2:3], -v[168:169]
	v_fma_f64 v[176:177], v[44:45], v[2:3], v[4:5]
	ds_load_b128 v[2:5], v1 offset:960
	ds_load_b128 v[168:171], v1 offset:976
	scratch_load_b128 v[42:45], off, off offset:192
	v_fma_f64 v[40:41], v[40:41], v[6:7], v[172:173]
	v_fma_f64 v[38:39], v[38:39], v[6:7], -v[8:9]
	scratch_load_b128 v[6:9], off, off offset:208
	s_wait_loadcnt_dscnt 0xa01
	v_mul_f64_e32 v[178:179], v[2:3], v[12:13]
	v_mul_f64_e32 v[12:13], v[4:5], v[12:13]
	v_add_f64_e32 v[172:173], 0, v[174:175]
	v_add_f64_e32 v[174:175], 0, v[176:177]
	s_wait_loadcnt_dscnt 0x900
	v_mul_f64_e32 v[176:177], v[168:169], v[16:17]
	v_mul_f64_e32 v[16:17], v[170:171], v[16:17]
	v_fma_f64 v[178:179], v[4:5], v[10:11], v[178:179]
	v_fma_f64 v[180:181], v[2:3], v[10:11], -v[12:13]
	ds_load_b128 v[2:5], v1 offset:992
	scratch_load_b128 v[10:13], off, off offset:224
	v_add_f64_e32 v[172:173], v[172:173], v[38:39]
	v_add_f64_e32 v[174:175], v[174:175], v[40:41]
	ds_load_b128 v[38:41], v1 offset:1008
	v_fma_f64 v[170:171], v[170:171], v[14:15], v[176:177]
	v_fma_f64 v[168:169], v[168:169], v[14:15], -v[16:17]
	scratch_load_b128 v[14:17], off, off offset:240
	s_wait_loadcnt_dscnt 0xa01
	v_mul_f64_e32 v[182:183], v[2:3], v[20:21]
	v_mul_f64_e32 v[20:21], v[4:5], v[20:21]
	s_wait_loadcnt_dscnt 0x900
	v_mul_f64_e32 v[176:177], v[38:39], v[24:25]
	v_mul_f64_e32 v[24:25], v[40:41], v[24:25]
	v_add_f64_e32 v[172:173], v[172:173], v[180:181]
	v_add_f64_e32 v[174:175], v[174:175], v[178:179]
	v_fma_f64 v[178:179], v[4:5], v[18:19], v[182:183]
	v_fma_f64 v[180:181], v[2:3], v[18:19], -v[20:21]
	ds_load_b128 v[2:5], v1 offset:1024
	scratch_load_b128 v[18:21], off, off offset:256
	v_fma_f64 v[40:41], v[40:41], v[22:23], v[176:177]
	v_fma_f64 v[38:39], v[38:39], v[22:23], -v[24:25]
	scratch_load_b128 v[22:25], off, off offset:272
	v_add_f64_e32 v[172:173], v[172:173], v[168:169]
	v_add_f64_e32 v[174:175], v[174:175], v[170:171]
	ds_load_b128 v[168:171], v1 offset:1040
	s_wait_loadcnt_dscnt 0xa01
	v_mul_f64_e32 v[182:183], v[2:3], v[28:29]
	v_mul_f64_e32 v[28:29], v[4:5], v[28:29]
	s_wait_loadcnt_dscnt 0x900
	v_mul_f64_e32 v[176:177], v[168:169], v[32:33]
	v_mul_f64_e32 v[32:33], v[170:171], v[32:33]
	v_add_f64_e32 v[172:173], v[172:173], v[180:181]
	v_add_f64_e32 v[174:175], v[174:175], v[178:179]
	v_fma_f64 v[178:179], v[4:5], v[26:27], v[182:183]
	v_fma_f64 v[180:181], v[2:3], v[26:27], -v[28:29]
	ds_load_b128 v[2:5], v1 offset:1056
	scratch_load_b128 v[26:29], off, off offset:288
	v_fma_f64 v[170:171], v[170:171], v[30:31], v[176:177]
	v_fma_f64 v[168:169], v[168:169], v[30:31], -v[32:33]
	scratch_load_b128 v[30:33], off, off offset:304
	v_add_f64_e32 v[172:173], v[172:173], v[38:39]
	v_add_f64_e32 v[174:175], v[174:175], v[40:41]
	ds_load_b128 v[38:41], v1 offset:1072
	s_wait_loadcnt_dscnt 0xa01
	v_mul_f64_e32 v[182:183], v[2:3], v[36:37]
	v_mul_f64_e32 v[36:37], v[4:5], v[36:37]
	s_wait_loadcnt_dscnt 0x800
	v_mul_f64_e32 v[176:177], v[38:39], v[166:167]
	v_add_f64_e32 v[172:173], v[172:173], v[180:181]
	v_add_f64_e32 v[174:175], v[174:175], v[178:179]
	v_mul_f64_e32 v[178:179], v[40:41], v[166:167]
	v_fma_f64 v[180:181], v[4:5], v[34:35], v[182:183]
	v_fma_f64 v[182:183], v[2:3], v[34:35], -v[36:37]
	ds_load_b128 v[2:5], v1 offset:1088
	scratch_load_b128 v[34:37], off, off offset:320
	v_fma_f64 v[176:177], v[40:41], v[164:165], v[176:177]
	v_add_f64_e32 v[172:173], v[172:173], v[168:169]
	v_add_f64_e32 v[170:171], v[174:175], v[170:171]
	ds_load_b128 v[166:169], v1 offset:1104
	v_fma_f64 v[164:165], v[38:39], v[164:165], -v[178:179]
	scratch_load_b128 v[38:41], off, off offset:336
	s_wait_loadcnt_dscnt 0x901
	v_mul_f64_e32 v[174:175], v[2:3], v[44:45]
	v_mul_f64_e32 v[44:45], v[4:5], v[44:45]
	s_wait_loadcnt_dscnt 0x800
	v_mul_f64_e32 v[178:179], v[166:167], v[8:9]
	v_mul_f64_e32 v[8:9], v[168:169], v[8:9]
	v_add_f64_e32 v[172:173], v[172:173], v[182:183]
	v_add_f64_e32 v[170:171], v[170:171], v[180:181]
	v_fma_f64 v[174:175], v[4:5], v[42:43], v[174:175]
	v_fma_f64 v[180:181], v[2:3], v[42:43], -v[44:45]
	ds_load_b128 v[2:5], v1 offset:1120
	scratch_load_b128 v[42:45], off, off offset:352
	v_fma_f64 v[168:169], v[168:169], v[6:7], v[178:179]
	v_fma_f64 v[166:167], v[166:167], v[6:7], -v[8:9]
	scratch_load_b128 v[6:9], off, off offset:368
	v_add_f64_e32 v[164:165], v[172:173], v[164:165]
	v_add_f64_e32 v[176:177], v[170:171], v[176:177]
	ds_load_b128 v[170:173], v1 offset:1136
	s_wait_loadcnt_dscnt 0x901
	v_mul_f64_e32 v[182:183], v[2:3], v[12:13]
	v_mul_f64_e32 v[12:13], v[4:5], v[12:13]
	v_add_f64_e32 v[164:165], v[164:165], v[180:181]
	v_add_f64_e32 v[174:175], v[176:177], v[174:175]
	s_wait_loadcnt_dscnt 0x800
	v_mul_f64_e32 v[176:177], v[170:171], v[16:17]
	v_mul_f64_e32 v[16:17], v[172:173], v[16:17]
	v_fma_f64 v[178:179], v[4:5], v[10:11], v[182:183]
	v_fma_f64 v[180:181], v[2:3], v[10:11], -v[12:13]
	ds_load_b128 v[2:5], v1 offset:1152
	scratch_load_b128 v[10:13], off, off offset:384
	v_add_f64_e32 v[182:183], v[164:165], v[166:167]
	v_add_f64_e32 v[168:169], v[174:175], v[168:169]
	ds_load_b128 v[164:167], v1 offset:1168
	s_wait_loadcnt_dscnt 0x801
	v_mul_f64_e32 v[174:175], v[2:3], v[20:21]
	v_mul_f64_e32 v[20:21], v[4:5], v[20:21]
	v_fma_f64 v[172:173], v[172:173], v[14:15], v[176:177]
	v_fma_f64 v[170:171], v[170:171], v[14:15], -v[16:17]
	scratch_load_b128 v[14:17], off, off offset:400
	v_add_f64_e32 v[176:177], v[182:183], v[180:181]
	v_add_f64_e32 v[168:169], v[168:169], v[178:179]
	s_wait_loadcnt_dscnt 0x800
	v_mul_f64_e32 v[178:179], v[164:165], v[24:25]
	v_mul_f64_e32 v[24:25], v[166:167], v[24:25]
	v_fma_f64 v[174:175], v[4:5], v[18:19], v[174:175]
	v_fma_f64 v[180:181], v[2:3], v[18:19], -v[20:21]
	ds_load_b128 v[2:5], v1 offset:1184
	scratch_load_b128 v[18:21], off, off offset:416
	v_add_f64_e32 v[176:177], v[176:177], v[170:171]
	v_add_f64_e32 v[172:173], v[168:169], v[172:173]
	ds_load_b128 v[168:171], v1 offset:1200
	s_wait_loadcnt_dscnt 0x801
	v_mul_f64_e32 v[182:183], v[2:3], v[28:29]
	v_mul_f64_e32 v[28:29], v[4:5], v[28:29]
	v_fma_f64 v[166:167], v[166:167], v[22:23], v[178:179]
	v_fma_f64 v[164:165], v[164:165], v[22:23], -v[24:25]
	scratch_load_b128 v[22:25], off, off offset:432
	;; [unrolled: 18-line block ×4, first 2 shown]
	s_wait_loadcnt_dscnt 0x800
	v_mul_f64_e32 v[176:177], v[168:169], v[8:9]
	v_mul_f64_e32 v[8:9], v[170:171], v[8:9]
	v_add_f64_e32 v[174:175], v[174:175], v[180:181]
	v_add_f64_e32 v[172:173], v[172:173], v[178:179]
	v_fma_f64 v[178:179], v[4:5], v[42:43], v[182:183]
	v_fma_f64 v[180:181], v[2:3], v[42:43], -v[44:45]
	ds_load_b128 v[2:5], v1 offset:1280
	scratch_load_b128 v[42:45], off, off offset:512
	v_fma_f64 v[170:171], v[170:171], v[6:7], v[176:177]
	v_fma_f64 v[168:169], v[168:169], v[6:7], -v[8:9]
	scratch_load_b128 v[6:9], off, off offset:528
	v_add_f64_e32 v[174:175], v[174:175], v[164:165]
	v_add_f64_e32 v[172:173], v[172:173], v[166:167]
	ds_load_b128 v[164:167], v1 offset:1296
	s_wait_loadcnt_dscnt 0x901
	v_mul_f64_e32 v[182:183], v[2:3], v[12:13]
	v_mul_f64_e32 v[12:13], v[4:5], v[12:13]
	s_wait_loadcnt_dscnt 0x800
	v_mul_f64_e32 v[176:177], v[164:165], v[16:17]
	v_mul_f64_e32 v[16:17], v[166:167], v[16:17]
	v_add_f64_e32 v[174:175], v[174:175], v[180:181]
	v_add_f64_e32 v[172:173], v[172:173], v[178:179]
	v_fma_f64 v[178:179], v[4:5], v[10:11], v[182:183]
	v_fma_f64 v[180:181], v[2:3], v[10:11], -v[12:13]
	ds_load_b128 v[2:5], v1 offset:1312
	scratch_load_b128 v[10:13], off, off offset:544
	v_fma_f64 v[166:167], v[166:167], v[14:15], v[176:177]
	v_fma_f64 v[164:165], v[164:165], v[14:15], -v[16:17]
	scratch_load_b128 v[14:17], off, off offset:560
	v_add_f64_e32 v[174:175], v[174:175], v[168:169]
	v_add_f64_e32 v[172:173], v[172:173], v[170:171]
	ds_load_b128 v[168:171], v1 offset:1328
	s_wait_loadcnt_dscnt 0x901
	v_mul_f64_e32 v[182:183], v[2:3], v[20:21]
	v_mul_f64_e32 v[20:21], v[4:5], v[20:21]
	;; [unrolled: 18-line block ×13, first 2 shown]
	s_wait_loadcnt_dscnt 0x800
	v_mul_f64_e32 v[176:177], v[164:165], v[32:33]
	v_mul_f64_e32 v[32:33], v[166:167], v[32:33]
	v_add_f64_e32 v[174:175], v[174:175], v[180:181]
	v_add_f64_e32 v[172:173], v[172:173], v[178:179]
	v_fma_f64 v[178:179], v[4:5], v[26:27], v[182:183]
	v_fma_f64 v[180:181], v[2:3], v[26:27], -v[28:29]
	ds_load_b128 v[2:5], v1 offset:1696
	ds_load_b128 v[26:29], v1 offset:1712
	v_fma_f64 v[166:167], v[166:167], v[30:31], v[176:177]
	v_fma_f64 v[30:31], v[164:165], v[30:31], -v[32:33]
	v_add_f64_e32 v[168:169], v[174:175], v[168:169]
	v_add_f64_e32 v[170:171], v[172:173], v[170:171]
	s_wait_loadcnt_dscnt 0x701
	v_mul_f64_e32 v[172:173], v[2:3], v[36:37]
	v_mul_f64_e32 v[36:37], v[4:5], v[36:37]
	s_delay_alu instid0(VALU_DEP_4) | instskip(NEXT) | instid1(VALU_DEP_4)
	v_add_f64_e32 v[32:33], v[168:169], v[180:181]
	v_add_f64_e32 v[164:165], v[170:171], v[178:179]
	s_wait_loadcnt_dscnt 0x600
	v_mul_f64_e32 v[168:169], v[26:27], v[40:41]
	v_mul_f64_e32 v[40:41], v[28:29], v[40:41]
	v_fma_f64 v[170:171], v[4:5], v[34:35], v[172:173]
	v_fma_f64 v[34:35], v[2:3], v[34:35], -v[36:37]
	v_add_f64_e32 v[36:37], v[32:33], v[30:31]
	v_add_f64_e32 v[164:165], v[164:165], v[166:167]
	ds_load_b128 v[2:5], v1 offset:1728
	ds_load_b128 v[30:33], v1 offset:1744
	v_fma_f64 v[28:29], v[28:29], v[38:39], v[168:169]
	v_fma_f64 v[26:27], v[26:27], v[38:39], -v[40:41]
	s_wait_loadcnt_dscnt 0x501
	v_mul_f64_e32 v[166:167], v[2:3], v[44:45]
	v_mul_f64_e32 v[44:45], v[4:5], v[44:45]
	s_wait_loadcnt_dscnt 0x400
	v_mul_f64_e32 v[38:39], v[30:31], v[8:9]
	v_mul_f64_e32 v[8:9], v[32:33], v[8:9]
	v_add_f64_e32 v[34:35], v[36:37], v[34:35]
	v_add_f64_e32 v[36:37], v[164:165], v[170:171]
	v_fma_f64 v[40:41], v[4:5], v[42:43], v[166:167]
	v_fma_f64 v[42:43], v[2:3], v[42:43], -v[44:45]
	v_fma_f64 v[32:33], v[32:33], v[6:7], v[38:39]
	v_fma_f64 v[6:7], v[30:31], v[6:7], -v[8:9]
	v_add_f64_e32 v[34:35], v[34:35], v[26:27]
	v_add_f64_e32 v[36:37], v[36:37], v[28:29]
	ds_load_b128 v[2:5], v1 offset:1760
	ds_load_b128 v[26:29], v1 offset:1776
	s_wait_loadcnt_dscnt 0x301
	v_mul_f64_e32 v[44:45], v[2:3], v[12:13]
	v_mul_f64_e32 v[12:13], v[4:5], v[12:13]
	v_add_f64_e32 v[8:9], v[34:35], v[42:43]
	v_add_f64_e32 v[30:31], v[36:37], v[40:41]
	s_wait_loadcnt_dscnt 0x200
	v_mul_f64_e32 v[34:35], v[26:27], v[16:17]
	v_mul_f64_e32 v[16:17], v[28:29], v[16:17]
	v_fma_f64 v[36:37], v[4:5], v[10:11], v[44:45]
	v_fma_f64 v[10:11], v[2:3], v[10:11], -v[12:13]
	v_add_f64_e32 v[12:13], v[8:9], v[6:7]
	v_add_f64_e32 v[30:31], v[30:31], v[32:33]
	ds_load_b128 v[2:5], v1 offset:1792
	ds_load_b128 v[6:9], v1 offset:1808
	v_fma_f64 v[28:29], v[28:29], v[14:15], v[34:35]
	v_fma_f64 v[14:15], v[26:27], v[14:15], -v[16:17]
	s_wait_loadcnt_dscnt 0x101
	v_mul_f64_e32 v[0:1], v[2:3], v[20:21]
	v_mul_f64_e32 v[20:21], v[4:5], v[20:21]
	s_wait_loadcnt_dscnt 0x0
	v_mul_f64_e32 v[16:17], v[6:7], v[24:25]
	v_mul_f64_e32 v[24:25], v[8:9], v[24:25]
	v_add_f64_e32 v[10:11], v[12:13], v[10:11]
	v_add_f64_e32 v[12:13], v[30:31], v[36:37]
	v_fma_f64 v[0:1], v[4:5], v[18:19], v[0:1]
	v_fma_f64 v[2:3], v[2:3], v[18:19], -v[20:21]
	v_fma_f64 v[8:9], v[8:9], v[22:23], v[16:17]
	v_fma_f64 v[6:7], v[6:7], v[22:23], -v[24:25]
	v_add_f64_e32 v[4:5], v[10:11], v[14:15]
	v_add_f64_e32 v[10:11], v[12:13], v[28:29]
	s_delay_alu instid0(VALU_DEP_2) | instskip(NEXT) | instid1(VALU_DEP_2)
	v_add_f64_e32 v[2:3], v[4:5], v[2:3]
	v_add_f64_e32 v[0:1], v[10:11], v[0:1]
	s_delay_alu instid0(VALU_DEP_2) | instskip(NEXT) | instid1(VALU_DEP_2)
	;; [unrolled: 3-line block ×3, first 2 shown]
	v_add_f64_e64 v[0:1], v[160:161], -v[2:3]
	v_add_f64_e64 v[2:3], v[162:163], -v[4:5]
	scratch_store_b128 off, v[0:3], off offset:16
	s_wait_alu 0xfffe
	s_cbranch_vccz .LBB56_468
; %bb.356:
	v_mov_b32_e32 v0, 0
	global_load_b32 v1, v0, s[2:3] offset:220
	s_wait_loadcnt 0x0
	v_cmp_ne_u32_e32 vcc_lo, 56, v1
	s_cbranch_vccz .LBB56_358
; %bb.357:
	v_lshlrev_b32_e32 v1, 4, v1
	s_delay_alu instid0(VALU_DEP_1)
	v_add_nc_u32_e32 v9, 16, v1
	s_clause 0x1
	scratch_load_b128 v[1:4], v9, off offset:-16
	scratch_load_b128 v[5:8], off, s19
	s_wait_loadcnt 0x1
	scratch_store_b128 off, v[1:4], s19
	s_wait_loadcnt 0x0
	scratch_store_b128 v9, v[5:8], off offset:-16
.LBB56_358:
	global_load_b32 v0, v0, s[2:3] offset:216
	s_wait_loadcnt 0x0
	v_cmp_eq_u32_e32 vcc_lo, 55, v0
	s_cbranch_vccnz .LBB56_360
; %bb.359:
	v_lshlrev_b32_e32 v0, 4, v0
	s_delay_alu instid0(VALU_DEP_1)
	v_add_nc_u32_e32 v8, 16, v0
	s_clause 0x1
	scratch_load_b128 v[0:3], v8, off offset:-16
	scratch_load_b128 v[4:7], off, s21
	s_wait_loadcnt 0x1
	scratch_store_b128 off, v[0:3], s21
	s_wait_loadcnt 0x0
	scratch_store_b128 v8, v[4:7], off offset:-16
.LBB56_360:
	v_mov_b32_e32 v0, 0
	global_load_b32 v1, v0, s[2:3] offset:212
	s_wait_loadcnt 0x0
	v_cmp_eq_u32_e32 vcc_lo, 54, v1
	s_cbranch_vccnz .LBB56_362
; %bb.361:
	v_lshlrev_b32_e32 v1, 4, v1
	s_delay_alu instid0(VALU_DEP_1)
	v_add_nc_u32_e32 v9, 16, v1
	s_clause 0x1
	scratch_load_b128 v[1:4], v9, off offset:-16
	scratch_load_b128 v[5:8], off, s4
	s_wait_loadcnt 0x1
	scratch_store_b128 off, v[1:4], s4
	s_wait_loadcnt 0x0
	scratch_store_b128 v9, v[5:8], off offset:-16
.LBB56_362:
	global_load_b32 v0, v0, s[2:3] offset:208
	s_wait_loadcnt 0x0
	v_cmp_eq_u32_e32 vcc_lo, 53, v0
	s_cbranch_vccnz .LBB56_364
; %bb.363:
	v_lshlrev_b32_e32 v0, 4, v0
	s_delay_alu instid0(VALU_DEP_1)
	v_add_nc_u32_e32 v8, 16, v0
	s_clause 0x1
	scratch_load_b128 v[0:3], v8, off offset:-16
	scratch_load_b128 v[4:7], off, s5
	s_wait_loadcnt 0x1
	scratch_store_b128 off, v[0:3], s5
	s_wait_loadcnt 0x0
	scratch_store_b128 v8, v[4:7], off offset:-16
.LBB56_364:
	v_mov_b32_e32 v0, 0
	global_load_b32 v1, v0, s[2:3] offset:204
	s_wait_loadcnt 0x0
	v_cmp_eq_u32_e32 vcc_lo, 52, v1
	s_cbranch_vccnz .LBB56_366
; %bb.365:
	v_lshlrev_b32_e32 v1, 4, v1
	s_delay_alu instid0(VALU_DEP_1)
	v_add_nc_u32_e32 v9, 16, v1
	s_clause 0x1
	scratch_load_b128 v[1:4], v9, off offset:-16
	scratch_load_b128 v[5:8], off, s8
	s_wait_loadcnt 0x1
	scratch_store_b128 off, v[1:4], s8
	s_wait_loadcnt 0x0
	scratch_store_b128 v9, v[5:8], off offset:-16
.LBB56_366:
	;; [unrolled: 33-line block ×27, first 2 shown]
	global_load_b32 v0, v0, s[2:3]
	s_wait_loadcnt 0x0
	v_cmp_eq_u32_e32 vcc_lo, 1, v0
	s_cbranch_vccnz .LBB56_468
; %bb.467:
	v_lshlrev_b32_e32 v0, 4, v0
	s_delay_alu instid0(VALU_DEP_1)
	v_add_nc_u32_e32 v8, 16, v0
	scratch_load_b128 v[0:3], v8, off offset:-16
	scratch_load_b128 v[4:7], off, off offset:16
	s_wait_loadcnt 0x1
	scratch_store_b128 off, v[0:3], off offset:16
	s_wait_loadcnt 0x0
	scratch_store_b128 v8, v[4:7], off offset:-16
.LBB56_468:
	scratch_load_b128 v[0:3], off, off offset:16
	s_clause 0x10
	scratch_load_b128 v[4:7], off, s30
	scratch_load_b128 v[8:11], off, s28
	;; [unrolled: 1-line block ×17, first 2 shown]
	s_wait_loadcnt 0x11
	global_store_b128 v[46:47], v[0:3], off
	scratch_load_b128 v[0:3], off, s52
	s_wait_loadcnt 0x11
	global_store_b128 v[48:49], v[4:7], off
	s_clause 0x1
	scratch_load_b128 v[4:7], off, s51
	scratch_load_b128 v[44:47], off, s50
	s_wait_loadcnt 0x12
	global_store_b128 v[50:51], v[8:11], off
	s_clause 0x1
	scratch_load_b128 v[8:11], off, s49
	scratch_load_b128 v[48:51], off, s48
	s_wait_loadcnt 0x13
	global_store_b128 v[52:53], v[12:15], off
	s_wait_loadcnt 0x12
	global_store_b128 v[54:55], v[16:19], off
	s_clause 0x2
	scratch_load_b128 v[12:15], off, s47
	scratch_load_b128 v[16:19], off, s46
	scratch_load_b128 v[52:55], off, s45
	s_wait_loadcnt 0x14
	global_store_b128 v[56:57], v[20:23], off
	s_wait_loadcnt 0x13
	global_store_b128 v[58:59], v[24:27], off
	s_clause 0x2
	scratch_load_b128 v[20:23], off, s44
	;; [unrolled: 8-line block ×3, first 2 shown]
	scratch_load_b128 v[32:35], off, s40
	s_wait_loadcnt 0x15
	global_store_b128 v[64:65], v[36:39], off
	s_clause 0x1
	scratch_load_b128 v[36:39], off, s39
	scratch_load_b128 v[60:63], off, s38
	s_wait_loadcnt 0x16
	global_store_b128 v[66:67], v[40:43], off
	s_clause 0x1
	scratch_load_b128 v[40:43], off, s37
	scratch_load_b128 v[64:67], off, s36
	s_wait_loadcnt 0x17
	global_store_b128 v[68:69], v[160:163], off
	s_wait_loadcnt 0x16
	global_store_b128 v[70:71], v[164:167], off
	s_clause 0x1
	scratch_load_b128 v[68:71], off, s35
	scratch_load_b128 v[160:163], off, s34
	s_wait_loadcnt 0x17
	global_store_b128 v[72:73], v[168:171], off
	s_clause 0x1
	scratch_load_b128 v[164:167], off, s33
	scratch_load_b128 v[168:171], off, s31
	s_wait_loadcnt 0x18
	global_store_b128 v[74:75], v[172:175], off
	s_clause 0x1
	scratch_load_b128 v[72:75], off, s29
	scratch_load_b128 v[172:175], off, s27
	s_wait_loadcnt 0x19
	global_store_b128 v[76:77], v[176:179], off
	s_wait_loadcnt 0x18
	global_store_b128 v[80:81], v[180:183], off
	s_clause 0x1
	scratch_load_b128 v[176:179], off, s24
	;; [unrolled: 17-line block ×4, first 2 shown]
	scratch_load_b128 v[16:19], off, s21
	s_wait_loadcnt 0x1d
	global_store_b128 v[96:97], v[52:55], off
	s_clause 0x1
	scratch_load_b128 v[52:55], off, s19
	scratch_load_b128 v[92:95], off, s14
	s_wait_loadcnt 0x1e
	global_store_b128 v[98:99], v[20:23], off
	s_wait_loadcnt 0x1d
	global_store_b128 v[100:101], v[24:27], off
	;; [unrolled: 2-line block ×31, first 2 shown]
	s_nop 0
	s_sendmsg sendmsg(MSG_DEALLOC_VGPRS)
	s_endpgm
	.section	.rodata,"a",@progbits
	.p2align	6, 0x0
	.amdhsa_kernel _ZN9rocsolver6v33100L18getri_kernel_smallILi57E19rocblas_complex_numIdEPS3_EEvT1_iilPiilS6_bb
		.amdhsa_group_segment_fixed_size 1832
		.amdhsa_private_segment_fixed_size 944
		.amdhsa_kernarg_size 60
		.amdhsa_user_sgpr_count 2
		.amdhsa_user_sgpr_dispatch_ptr 0
		.amdhsa_user_sgpr_queue_ptr 0
		.amdhsa_user_sgpr_kernarg_segment_ptr 1
		.amdhsa_user_sgpr_dispatch_id 0
		.amdhsa_user_sgpr_private_segment_size 0
		.amdhsa_wavefront_size32 1
		.amdhsa_uses_dynamic_stack 0
		.amdhsa_enable_private_segment 1
		.amdhsa_system_sgpr_workgroup_id_x 1
		.amdhsa_system_sgpr_workgroup_id_y 0
		.amdhsa_system_sgpr_workgroup_id_z 0
		.amdhsa_system_sgpr_workgroup_info 0
		.amdhsa_system_vgpr_workitem_id 0
		.amdhsa_next_free_vgpr 202
		.amdhsa_next_free_sgpr 92
		.amdhsa_reserve_vcc 1
		.amdhsa_float_round_mode_32 0
		.amdhsa_float_round_mode_16_64 0
		.amdhsa_float_denorm_mode_32 3
		.amdhsa_float_denorm_mode_16_64 3
		.amdhsa_fp16_overflow 0
		.amdhsa_workgroup_processor_mode 1
		.amdhsa_memory_ordered 1
		.amdhsa_forward_progress 1
		.amdhsa_inst_pref_size 255
		.amdhsa_round_robin_scheduling 0
		.amdhsa_exception_fp_ieee_invalid_op 0
		.amdhsa_exception_fp_denorm_src 0
		.amdhsa_exception_fp_ieee_div_zero 0
		.amdhsa_exception_fp_ieee_overflow 0
		.amdhsa_exception_fp_ieee_underflow 0
		.amdhsa_exception_fp_ieee_inexact 0
		.amdhsa_exception_int_div_zero 0
	.end_amdhsa_kernel
	.section	.text._ZN9rocsolver6v33100L18getri_kernel_smallILi57E19rocblas_complex_numIdEPS3_EEvT1_iilPiilS6_bb,"axG",@progbits,_ZN9rocsolver6v33100L18getri_kernel_smallILi57E19rocblas_complex_numIdEPS3_EEvT1_iilPiilS6_bb,comdat
.Lfunc_end56:
	.size	_ZN9rocsolver6v33100L18getri_kernel_smallILi57E19rocblas_complex_numIdEPS3_EEvT1_iilPiilS6_bb, .Lfunc_end56-_ZN9rocsolver6v33100L18getri_kernel_smallILi57E19rocblas_complex_numIdEPS3_EEvT1_iilPiilS6_bb
                                        ; -- End function
	.set _ZN9rocsolver6v33100L18getri_kernel_smallILi57E19rocblas_complex_numIdEPS3_EEvT1_iilPiilS6_bb.num_vgpr, 202
	.set _ZN9rocsolver6v33100L18getri_kernel_smallILi57E19rocblas_complex_numIdEPS3_EEvT1_iilPiilS6_bb.num_agpr, 0
	.set _ZN9rocsolver6v33100L18getri_kernel_smallILi57E19rocblas_complex_numIdEPS3_EEvT1_iilPiilS6_bb.numbered_sgpr, 92
	.set _ZN9rocsolver6v33100L18getri_kernel_smallILi57E19rocblas_complex_numIdEPS3_EEvT1_iilPiilS6_bb.num_named_barrier, 0
	.set _ZN9rocsolver6v33100L18getri_kernel_smallILi57E19rocblas_complex_numIdEPS3_EEvT1_iilPiilS6_bb.private_seg_size, 944
	.set _ZN9rocsolver6v33100L18getri_kernel_smallILi57E19rocblas_complex_numIdEPS3_EEvT1_iilPiilS6_bb.uses_vcc, 1
	.set _ZN9rocsolver6v33100L18getri_kernel_smallILi57E19rocblas_complex_numIdEPS3_EEvT1_iilPiilS6_bb.uses_flat_scratch, 1
	.set _ZN9rocsolver6v33100L18getri_kernel_smallILi57E19rocblas_complex_numIdEPS3_EEvT1_iilPiilS6_bb.has_dyn_sized_stack, 0
	.set _ZN9rocsolver6v33100L18getri_kernel_smallILi57E19rocblas_complex_numIdEPS3_EEvT1_iilPiilS6_bb.has_recursion, 0
	.set _ZN9rocsolver6v33100L18getri_kernel_smallILi57E19rocblas_complex_numIdEPS3_EEvT1_iilPiilS6_bb.has_indirect_call, 0
	.section	.AMDGPU.csdata,"",@progbits
; Kernel info:
; codeLenInByte = 127588
; TotalNumSgprs: 94
; NumVgprs: 202
; ScratchSize: 944
; MemoryBound: 0
; FloatMode: 240
; IeeeMode: 1
; LDSByteSize: 1832 bytes/workgroup (compile time only)
; SGPRBlocks: 0
; VGPRBlocks: 25
; NumSGPRsForWavesPerEU: 94
; NumVGPRsForWavesPerEU: 202
; Occupancy: 7
; WaveLimiterHint : 1
; COMPUTE_PGM_RSRC2:SCRATCH_EN: 1
; COMPUTE_PGM_RSRC2:USER_SGPR: 2
; COMPUTE_PGM_RSRC2:TRAP_HANDLER: 0
; COMPUTE_PGM_RSRC2:TGID_X_EN: 1
; COMPUTE_PGM_RSRC2:TGID_Y_EN: 0
; COMPUTE_PGM_RSRC2:TGID_Z_EN: 0
; COMPUTE_PGM_RSRC2:TIDIG_COMP_CNT: 0
	.section	.text._ZN9rocsolver6v33100L18getri_kernel_smallILi58E19rocblas_complex_numIdEPS3_EEvT1_iilPiilS6_bb,"axG",@progbits,_ZN9rocsolver6v33100L18getri_kernel_smallILi58E19rocblas_complex_numIdEPS3_EEvT1_iilPiilS6_bb,comdat
	.globl	_ZN9rocsolver6v33100L18getri_kernel_smallILi58E19rocblas_complex_numIdEPS3_EEvT1_iilPiilS6_bb ; -- Begin function _ZN9rocsolver6v33100L18getri_kernel_smallILi58E19rocblas_complex_numIdEPS3_EEvT1_iilPiilS6_bb
	.p2align	8
	.type	_ZN9rocsolver6v33100L18getri_kernel_smallILi58E19rocblas_complex_numIdEPS3_EEvT1_iilPiilS6_bb,@function
_ZN9rocsolver6v33100L18getri_kernel_smallILi58E19rocblas_complex_numIdEPS3_EEvT1_iilPiilS6_bb: ; @_ZN9rocsolver6v33100L18getri_kernel_smallILi58E19rocblas_complex_numIdEPS3_EEvT1_iilPiilS6_bb
; %bb.0:
	s_mov_b32 s2, exec_lo
	v_cmpx_gt_u32_e32 58, v0
	s_cbranch_execz .LBB57_246
; %bb.1:
	s_clause 0x2
	s_load_b32 s2, s[0:1], 0x38
	s_load_b128 s[12:15], s[0:1], 0x10
	s_load_b128 s[4:7], s[0:1], 0x28
	s_mov_b32 s16, ttmp9
	s_wait_kmcnt 0x0
	s_bitcmp1_b32 s2, 8
	s_cselect_b32 s18, -1, 0
	s_bfe_u32 s2, s2, 0x10008
	s_ashr_i32 s17, ttmp9, 31
	s_cmp_eq_u32 s2, 0
                                        ; implicit-def: $sgpr2_sgpr3
	s_cbranch_scc1 .LBB57_3
; %bb.2:
	s_load_b32 s2, s[0:1], 0x20
	s_mul_u64 s[4:5], s[4:5], s[16:17]
	s_delay_alu instid0(SALU_CYCLE_1) | instskip(NEXT) | instid1(SALU_CYCLE_1)
	s_lshl_b64 s[4:5], s[4:5], 2
	s_add_nc_u64 s[4:5], s[14:15], s[4:5]
	s_wait_kmcnt 0x0
	s_ashr_i32 s3, s2, 31
	s_delay_alu instid0(SALU_CYCLE_1) | instskip(NEXT) | instid1(SALU_CYCLE_1)
	s_lshl_b64 s[2:3], s[2:3], 2
	s_add_nc_u64 s[2:3], s[4:5], s[2:3]
.LBB57_3:
	s_clause 0x1
	s_load_b128 s[8:11], s[0:1], 0x0
	s_load_b32 s67, s[0:1], 0x38
	s_mul_u64 s[0:1], s[12:13], s[16:17]
	v_lshlrev_b32_e32 v13, 4, v0
	s_lshl_b64 s[0:1], s[0:1], 4
	s_movk_i32 s12, 0xd0
	s_movk_i32 s13, 0xe0
	s_movk_i32 s14, 0xf0
	s_movk_i32 s15, 0x100
	s_movk_i32 s19, 0x110
	s_movk_i32 s20, 0x120
	s_movk_i32 s21, 0x130
	s_movk_i32 s22, 0x140
	s_movk_i32 s23, 0x150
	s_movk_i32 s24, 0x160
	s_movk_i32 s25, 0x170
	s_movk_i32 s26, 0x180
	s_movk_i32 s27, 0x190
	s_movk_i32 s28, 0x1a0
	s_movk_i32 s29, 0x1b0
	s_wait_kmcnt 0x0
	v_add3_u32 v5, s11, s11, v0
	s_ashr_i32 s5, s10, 31
	s_mov_b32 s4, s10
	s_add_nc_u64 s[0:1], s[8:9], s[0:1]
	s_lshl_b64 s[4:5], s[4:5], 4
	v_add_nc_u32_e32 v7, s11, v5
	v_ashrrev_i32_e32 v6, 31, v5
	s_add_nc_u64 s[0:1], s[0:1], s[4:5]
	s_ashr_i32 s9, s11, 31
	v_add_co_u32 v46, s4, s0, v13
	v_add_nc_u32_e32 v9, s11, v7
	v_ashrrev_i32_e32 v8, 31, v7
	s_mov_b32 s8, s11
	v_lshlrev_b64_e32 v[11:12], 4, v[5:6]
	v_add_co_ci_u32_e64 v47, null, s1, 0, s4
	v_add_nc_u32_e32 v16, s11, v9
	s_lshl_b64 s[8:9], s[8:9], 4
	v_lshlrev_b64_e32 v[14:15], 4, v[7:8]
	v_add_co_u32 v48, vcc_lo, v46, s8
	s_delay_alu instid0(VALU_DEP_1)
	v_add_co_ci_u32_e64 v49, null, s9, v47, vcc_lo
	v_add_co_u32 v50, vcc_lo, s0, v11
	v_ashrrev_i32_e32 v17, 31, v16
	v_add_nc_u32_e32 v11, s11, v16
	s_wait_alu 0xfffd
	v_add_co_ci_u32_e64 v51, null, s1, v12, vcc_lo
	v_add_co_u32 v52, vcc_lo, s0, v14
	s_wait_alu 0xfffd
	v_add_co_ci_u32_e64 v53, null, s1, v15, vcc_lo
	v_lshlrev_b64_e32 v[14:15], 4, v[16:17]
	v_add_nc_u32_e32 v16, s11, v11
	v_ashrrev_i32_e32 v10, 31, v9
	v_ashrrev_i32_e32 v12, 31, v11
	s_clause 0x1
	global_load_b128 v[1:4], v13, s[0:1]
	global_load_b128 v[5:8], v[48:49], off
	v_add_nc_u32_e32 v20, s11, v16
	v_lshlrev_b64_e32 v[9:10], 4, v[9:10]
	v_ashrrev_i32_e32 v17, 31, v16
	v_lshlrev_b64_e32 v[18:19], 4, v[11:12]
	s_movk_i32 s4, 0x70
	v_add_nc_u32_e32 v22, s11, v20
	v_ashrrev_i32_e32 v21, 31, v20
	v_add_co_u32 v54, vcc_lo, s0, v9
	s_wait_alu 0xfffd
	v_add_co_ci_u32_e64 v55, null, s1, v10, vcc_lo
	v_add_co_u32 v56, vcc_lo, s0, v14
	v_add_nc_u32_e32 v28, s11, v22
	s_wait_alu 0xfffd
	v_add_co_ci_u32_e64 v57, null, s1, v15, vcc_lo
	v_lshlrev_b64_e32 v[14:15], 4, v[16:17]
	v_ashrrev_i32_e32 v23, 31, v22
	v_lshlrev_b64_e32 v[26:27], 4, v[20:21]
	v_add_nc_u32_e32 v32, s11, v28
	v_add_co_u32 v58, vcc_lo, s0, v18
	s_delay_alu instid0(VALU_DEP_4)
	v_lshlrev_b64_e32 v[30:31], 4, v[22:23]
	s_wait_alu 0xfffd
	v_add_co_ci_u32_e64 v59, null, s1, v19, vcc_lo
	v_add_co_u32 v60, vcc_lo, s0, v14
	global_load_b128 v[9:12], v[50:51], off
	s_wait_alu 0xfffd
	v_add_co_ci_u32_e64 v61, null, s1, v15, vcc_lo
	s_clause 0x1
	global_load_b128 v[14:17], v[52:53], off
	global_load_b128 v[18:21], v[54:55], off
	v_ashrrev_i32_e32 v29, 31, v28
	v_ashrrev_i32_e32 v33, 31, v32
	v_add_co_u32 v62, vcc_lo, s0, v26
	s_wait_alu 0xfffd
	v_add_co_ci_u32_e64 v63, null, s1, v27, vcc_lo
	v_add_nc_u32_e32 v40, s11, v32
	v_add_co_u32 v64, vcc_lo, s0, v30
	global_load_b128 v[22:25], v[56:57], off
	v_lshlrev_b64_e32 v[38:39], 4, v[28:29]
	s_wait_alu 0xfffd
	v_add_co_ci_u32_e64 v65, null, s1, v31, vcc_lo
	v_lshlrev_b64_e32 v[42:43], 4, v[32:33]
	s_clause 0x1
	global_load_b128 v[26:29], v[58:59], off
	global_load_b128 v[30:33], v[60:61], off
	v_add_nc_u32_e32 v44, s11, v40
	global_load_b128 v[34:37], v[62:63], off
	v_add_co_u32 v66, vcc_lo, s0, v38
	s_wait_alu 0xfffd
	v_add_co_ci_u32_e64 v67, null, s1, v39, vcc_lo
	v_ashrrev_i32_e32 v45, 31, v44
	v_add_co_u32 v68, vcc_lo, s0, v42
	v_add_nc_u32_e32 v72, s11, v44
	s_wait_alu 0xfffd
	v_add_co_ci_u32_e64 v69, null, s1, v43, vcc_lo
	v_lshlrev_b64_e32 v[74:75], 4, v[44:45]
	global_load_b128 v[42:45], v[66:67], off
	v_ashrrev_i32_e32 v41, 31, v40
	v_add_nc_u32_e32 v78, s11, v72
	v_ashrrev_i32_e32 v73, 31, v72
	s_movk_i32 s5, 0x80
	s_movk_i32 s8, 0x90
	v_lshlrev_b64_e32 v[70:71], 4, v[40:41]
	v_ashrrev_i32_e32 v79, 31, v78
	v_lshlrev_b64_e32 v[76:77], 4, v[72:73]
	global_load_b128 v[38:41], v[64:65], off
	s_movk_i32 s9, 0xa0
	s_movk_i32 s10, 0xb0
	v_add_co_u32 v70, vcc_lo, s0, v70
	s_wait_alu 0xfffd
	v_add_co_ci_u32_e64 v71, null, s1, v71, vcc_lo
	v_add_co_u32 v72, vcc_lo, s0, v74
	s_wait_alu 0xfffd
	v_add_co_ci_u32_e64 v73, null, s1, v75, vcc_lo
	v_lshlrev_b64_e32 v[74:75], 4, v[78:79]
	v_add_nc_u32_e32 v78, s11, v78
	s_clause 0x2
	global_load_b128 v[124:127], v[68:69], off
	global_load_b128 v[128:131], v[70:71], off
	;; [unrolled: 1-line block ×3, first 2 shown]
	v_add_co_u32 v76, vcc_lo, s0, v76
	v_add_nc_u32_e32 v80, s11, v78
	s_wait_alu 0xfffd
	v_add_co_ci_u32_e64 v77, null, s1, v77, vcc_lo
	v_add_co_u32 v74, vcc_lo, s0, v74
	s_delay_alu instid0(VALU_DEP_3)
	v_add_nc_u32_e32 v82, s11, v80
	s_wait_alu 0xfffd
	v_add_co_ci_u32_e64 v75, null, s1, v75, vcc_lo
	s_clause 0x1
	global_load_b128 v[136:139], v[76:77], off
	global_load_b128 v[140:143], v[74:75], off
	v_add_nc_u32_e32 v84, s11, v82
	v_ashrrev_i32_e32 v79, 31, v78
	v_ashrrev_i32_e32 v81, 31, v80
	;; [unrolled: 1-line block ×3, first 2 shown]
	s_movk_i32 s30, 0x1c0
	v_add_nc_u32_e32 v86, s11, v84
	v_lshlrev_b64_e32 v[78:79], 4, v[78:79]
	v_ashrrev_i32_e32 v85, 31, v84
	v_lshlrev_b64_e32 v[80:81], 4, v[80:81]
	v_lshlrev_b64_e32 v[82:83], 4, v[82:83]
	v_add_nc_u32_e32 v88, s11, v86
	v_ashrrev_i32_e32 v87, 31, v86
	v_add_co_u32 v78, vcc_lo, s0, v78
	s_wait_alu 0xfffd
	v_add_co_ci_u32_e64 v79, null, s1, v79, vcc_lo
	v_add_nc_u32_e32 v90, s11, v88
	v_ashrrev_i32_e32 v89, 31, v88
	v_lshlrev_b64_e32 v[84:85], 4, v[84:85]
	global_load_b128 v[144:147], v[78:79], off
	v_add_co_u32 v80, vcc_lo, s0, v80
	v_add_nc_u32_e32 v92, s11, v90
	v_ashrrev_i32_e32 v91, 31, v90
	v_lshlrev_b64_e32 v[86:87], 4, v[86:87]
	s_wait_alu 0xfffd
	v_add_co_ci_u32_e64 v81, null, s1, v81, vcc_lo
	v_add_nc_u32_e32 v94, s11, v92
	v_ashrrev_i32_e32 v93, 31, v92
	v_add_co_u32 v82, vcc_lo, s0, v82
	v_lshlrev_b64_e32 v[88:89], 4, v[88:89]
	s_delay_alu instid0(VALU_DEP_4)
	v_add_nc_u32_e32 v96, s11, v94
	v_ashrrev_i32_e32 v95, 31, v94
	s_wait_alu 0xfffd
	v_add_co_ci_u32_e64 v83, null, s1, v83, vcc_lo
	v_add_co_u32 v84, vcc_lo, s0, v84
	v_add_nc_u32_e32 v98, s11, v96
	v_lshlrev_b64_e32 v[90:91], 4, v[90:91]
	v_ashrrev_i32_e32 v97, 31, v96
	s_wait_alu 0xfffd
	v_add_co_ci_u32_e64 v85, null, s1, v85, vcc_lo
	v_add_nc_u32_e32 v100, s11, v98
	v_add_co_u32 v86, vcc_lo, s0, v86
	v_lshlrev_b64_e32 v[92:93], 4, v[92:93]
	v_ashrrev_i32_e32 v99, 31, v98
	s_delay_alu instid0(VALU_DEP_4) | instskip(SKIP_3) | instid1(VALU_DEP_3)
	v_add_nc_u32_e32 v102, s11, v100
	s_wait_alu 0xfffd
	v_add_co_ci_u32_e64 v87, null, s1, v87, vcc_lo
	v_add_co_u32 v88, vcc_lo, s0, v88
	v_add_nc_u32_e32 v104, s11, v102
	v_lshlrev_b64_e32 v[94:95], 4, v[94:95]
	v_ashrrev_i32_e32 v101, 31, v100
	s_clause 0x1
	global_load_b128 v[148:151], v[80:81], off
	global_load_b128 v[152:155], v[82:83], off
	s_wait_alu 0xfffd
	v_add_co_ci_u32_e64 v89, null, s1, v89, vcc_lo
	v_add_nc_u32_e32 v106, s11, v104
	v_add_co_u32 v90, vcc_lo, s0, v90
	v_lshlrev_b64_e32 v[96:97], 4, v[96:97]
	v_ashrrev_i32_e32 v103, 31, v102
	s_delay_alu instid0(VALU_DEP_4) | instskip(SKIP_3) | instid1(VALU_DEP_3)
	v_add_nc_u32_e32 v108, s11, v106
	s_wait_alu 0xfffd
	v_add_co_ci_u32_e64 v91, null, s1, v91, vcc_lo
	v_add_co_u32 v92, vcc_lo, s0, v92
	v_add_nc_u32_e32 v110, s11, v108
	v_lshlrev_b64_e32 v[98:99], 4, v[98:99]
	v_ashrrev_i32_e32 v105, 31, v104
	s_wait_alu 0xfffd
	v_add_co_ci_u32_e64 v93, null, s1, v93, vcc_lo
	v_add_nc_u32_e32 v112, s11, v110
	v_add_co_u32 v94, vcc_lo, s0, v94
	v_lshlrev_b64_e32 v[100:101], 4, v[100:101]
	v_ashrrev_i32_e32 v107, 31, v106
	s_delay_alu instid0(VALU_DEP_4)
	v_add_nc_u32_e32 v114, s11, v112
	s_wait_alu 0xfffd
	v_add_co_ci_u32_e64 v95, null, s1, v95, vcc_lo
	v_add_co_u32 v96, vcc_lo, s0, v96
	v_lshlrev_b64_e32 v[102:103], 4, v[102:103]
	v_add_nc_u32_e32 v116, s11, v114
	v_ashrrev_i32_e32 v109, 31, v108
	s_wait_alu 0xfffd
	v_add_co_ci_u32_e64 v97, null, s1, v97, vcc_lo
	v_add_co_u32 v98, vcc_lo, s0, v98
	v_lshlrev_b64_e32 v[104:105], 4, v[104:105]
	v_ashrrev_i32_e32 v111, 31, v110
	s_clause 0x1
	global_load_b128 v[156:159], v[84:85], off
	global_load_b128 v[160:163], v[86:87], off
	s_wait_alu 0xfffd
	v_add_co_ci_u32_e64 v99, null, s1, v99, vcc_lo
	v_add_co_u32 v100, vcc_lo, s0, v100
	v_lshlrev_b64_e32 v[106:107], 4, v[106:107]
	v_ashrrev_i32_e32 v113, 31, v112
	v_add_nc_u32_e32 v118, s11, v116
	s_wait_alu 0xfffd
	v_add_co_ci_u32_e64 v101, null, s1, v101, vcc_lo
	v_add_co_u32 v102, vcc_lo, s0, v102
	v_lshlrev_b64_e32 v[108:109], 4, v[108:109]
	v_ashrrev_i32_e32 v115, 31, v114
	s_wait_alu 0xfffd
	v_add_co_ci_u32_e64 v103, null, s1, v103, vcc_lo
	v_add_co_u32 v104, vcc_lo, s0, v104
	v_lshlrev_b64_e32 v[110:111], 4, v[110:111]
	s_wait_alu 0xfffd
	v_add_co_ci_u32_e64 v105, null, s1, v105, vcc_lo
	v_add_co_u32 v106, vcc_lo, s0, v106
	v_lshlrev_b64_e32 v[112:113], 4, v[112:113]
	v_add_nc_u32_e32 v120, s11, v118
	v_ashrrev_i32_e32 v117, 31, v116
	s_wait_alu 0xfffd
	v_add_co_ci_u32_e64 v107, null, s1, v107, vcc_lo
	v_add_co_u32 v108, vcc_lo, s0, v108
	v_lshlrev_b64_e32 v[114:115], 4, v[114:115]
	s_wait_alu 0xfffd
	v_add_co_ci_u32_e64 v109, null, s1, v109, vcc_lo
	v_add_co_u32 v110, vcc_lo, s0, v110
	v_ashrrev_i32_e32 v119, 31, v118
	s_clause 0x7
	global_load_b128 v[164:167], v[88:89], off
	global_load_b128 v[168:171], v[90:91], off
	;; [unrolled: 1-line block ×8, first 2 shown]
	v_add_nc_u32_e32 v122, s11, v120
	s_wait_alu 0xfffd
	v_add_co_ci_u32_e64 v111, null, s1, v111, vcc_lo
	v_add_co_u32 v112, vcc_lo, s0, v112
	v_ashrrev_i32_e32 v121, 31, v120
	s_wait_alu 0xfffd
	v_add_co_ci_u32_e64 v113, null, s1, v113, vcc_lo
	v_add_co_u32 v114, vcc_lo, s0, v114
	v_lshlrev_b64_e32 v[118:119], 4, v[118:119]
	s_wait_alu 0xfffd
	v_add_co_ci_u32_e64 v115, null, s1, v115, vcc_lo
	v_ashrrev_i32_e32 v123, 31, v122
	s_movk_i32 s31, 0x1d0
	s_movk_i32 s33, 0x1e0
	;; [unrolled: 1-line block ×29, first 2 shown]
	s_wait_alu 0xfffe
	s_add_co_i32 s64, s4, 16
	s_add_co_i32 s63, s5, 16
	s_add_co_i32 s62, s8, 16
	s_add_co_i32 s61, s9, 16
	s_add_co_i32 s60, s10, 16
	s_add_co_i32 s58, s12, 16
	s_add_co_i32 s57, s13, 16
	s_add_co_i32 s56, s14, 16
	s_add_co_i32 s55, s15, 16
	s_add_co_i32 s49, s19, 16
	s_add_co_i32 s47, s20, 16
	s_add_co_i32 s48, s21, 16
	s_add_co_i32 s46, s22, 16
	s_add_co_i32 s44, s23, 16
	s_add_co_i32 s45, s24, 16
	s_add_co_i32 s43, s25, 16
	s_add_co_i32 s41, s26, 16
	s_add_co_i32 s42, s27, 16
	s_add_co_i32 s39, s28, 16
	s_add_co_i32 s35, s29, 16
	s_add_co_i32 s36, s30, 16
	s_add_co_i32 s30, s31, 16
	s_add_co_i32 s31, s33, 16
	s_add_co_i32 s26, s34, 16
	s_add_co_i32 s27, s37, 16
	s_wait_loadcnt 0x1c
	scratch_store_b128 off, v[1:4], off offset:16
	s_wait_loadcnt 0x1b
	scratch_store_b128 off, v[5:8], off offset:32
	s_clause 0x1
	global_load_b128 v[1:4], v[104:105], off
	global_load_b128 v[5:8], v[106:107], off
	s_add_co_i32 s22, s38, 16
	s_add_co_i32 s23, s40, 16
	;; [unrolled: 1-line block ×24, first 2 shown]
	s_mov_b32 s53, 32
	s_mov_b32 s52, 48
	;; [unrolled: 1-line block ×3, first 2 shown]
	s_wait_loadcnt 0x1c
	scratch_store_b128 off, v[9:12], off offset:48
	s_wait_loadcnt 0x1b
	scratch_store_b128 off, v[14:17], off offset:64
	;; [unrolled: 2-line block ×3, first 2 shown]
	v_lshlrev_b64_e32 v[18:19], 4, v[116:117]
	s_clause 0x1
	global_load_b128 v[9:12], v[108:109], off
	global_load_b128 v[14:17], v[110:111], off
	s_movk_i32 s50, 0x50
	v_add_co_u32 v116, vcc_lo, s0, v18
	s_wait_alu 0xfffd
	v_add_co_ci_u32_e64 v117, null, s1, v19, vcc_lo
	s_wait_loadcnt 0x1b
	scratch_store_b128 off, v[22:25], off offset:96
	s_wait_loadcnt 0x1a
	scratch_store_b128 off, v[26:29], off offset:112
	s_wait_loadcnt 0x19
	scratch_store_b128 off, v[30:33], off offset:128
	v_lshlrev_b64_e32 v[30:31], 4, v[120:121]
	s_clause 0x1
	global_load_b128 v[18:21], v[112:113], off
	global_load_b128 v[22:25], v[114:115], off
	s_wait_loadcnt 0x1a
	scratch_store_b128 off, v[34:37], off offset:144
	v_add_nc_u32_e32 v34, s11, v122
	v_add_co_u32 v118, vcc_lo, s0, v118
	v_lshlrev_b64_e32 v[32:33], 4, v[122:123]
	s_wait_alu 0xfffd
	v_add_co_ci_u32_e64 v119, null, s1, v119, vcc_lo
	v_add_co_u32 v120, vcc_lo, s0, v30
	s_wait_alu 0xfffd
	v_add_co_ci_u32_e64 v121, null, s1, v31, vcc_lo
	v_ashrrev_i32_e32 v35, 31, v34
	v_add_co_u32 v122, vcc_lo, s0, v32
	global_load_b128 v[26:29], v[116:117], off
	s_wait_alu 0xfffd
	v_add_co_ci_u32_e64 v123, null, s1, v33, vcc_lo
	global_load_b128 v[30:33], v[118:119], off
	v_add_nc_u32_e32 v200, s11, v34
	s_wait_loadcnt 0x1b
	scratch_store_b128 off, v[42:45], off offset:176
	v_lshlrev_b64_e32 v[42:43], 4, v[34:35]
	global_load_b128 v[34:37], v[120:121], off
	s_wait_loadcnt 0x1b
	scratch_store_b128 off, v[38:41], off offset:160
	v_ashrrev_i32_e32 v201, 31, v200
	global_load_b128 v[38:41], v[122:123], off
	v_lshlrev_b64_e32 v[44:45], 4, v[200:201]
	s_wait_loadcnt 0x1b
	scratch_store_b128 off, v[124:127], off offset:192
	s_wait_loadcnt 0x1a
	scratch_store_b128 off, v[128:131], off offset:208
	;; [unrolled: 2-line block ×3, first 2 shown]
	v_add_nc_u32_e32 v128, s11, v200
	v_add_co_u32 v124, vcc_lo, s0, v42
	s_wait_alu 0xfffd
	v_add_co_ci_u32_e64 v125, null, s1, v43, vcc_lo
	s_delay_alu instid0(VALU_DEP_3)
	v_add_nc_u32_e32 v130, s11, v128
	v_ashrrev_i32_e32 v129, 31, v128
	v_add_co_u32 v126, vcc_lo, s0, v44
	s_wait_alu 0xfffd
	v_add_co_ci_u32_e64 v127, null, s1, v45, vcc_lo
	v_add_nc_u32_e32 v132, s11, v130
	s_wait_loadcnt 0x18
	scratch_store_b128 off, v[136:139], off offset:240
	s_wait_loadcnt 0x17
	scratch_store_b128 off, v[140:143], off offset:256
	v_ashrrev_i32_e32 v131, 31, v130
	v_lshlrev_b64_e32 v[128:129], 4, v[128:129]
	v_add_nc_u32_e32 v134, s11, v132
	v_ashrrev_i32_e32 v133, 31, v132
	s_clause 0x1
	global_load_b128 v[42:45], v[124:125], off
	global_load_b128 v[196:199], v[126:127], off
	v_lshlrev_b64_e32 v[130:131], 4, v[130:131]
	v_add_nc_u32_e32 v136, s11, v134
	v_ashrrev_i32_e32 v135, 31, v134
	v_lshlrev_b64_e32 v[132:133], 4, v[132:133]
	v_add_co_u32 v128, vcc_lo, s0, v128
	s_delay_alu instid0(VALU_DEP_4)
	v_add_nc_u32_e32 v138, s11, v136
	v_ashrrev_i32_e32 v137, 31, v136
	v_lshlrev_b64_e32 v[134:135], 4, v[134:135]
	s_wait_alu 0xfffd
	v_add_co_ci_u32_e64 v129, null, s1, v129, vcc_lo
	v_add_nc_u32_e32 v140, s11, v138
	s_wait_loadcnt 0x18
	scratch_store_b128 off, v[144:147], off offset:272
	v_ashrrev_i32_e32 v139, 31, v138
	v_add_co_u32 v130, vcc_lo, s0, v130
	v_add_nc_u32_e32 v142, s11, v140
	v_ashrrev_i32_e32 v141, 31, v140
	v_lshlrev_b64_e32 v[136:137], 4, v[136:137]
	s_wait_alu 0xfffd
	v_add_co_ci_u32_e64 v131, null, s1, v131, vcc_lo
	v_add_nc_u32_e32 v144, s11, v142
	v_ashrrev_i32_e32 v143, 31, v142
	v_add_co_u32 v132, vcc_lo, s0, v132
	v_lshlrev_b64_e32 v[138:139], 4, v[138:139]
	s_delay_alu instid0(VALU_DEP_4)
	v_add_nc_u32_e32 v146, s11, v144
	v_ashrrev_i32_e32 v145, 31, v144
	s_wait_alu 0xfffd
	v_add_co_ci_u32_e64 v133, null, s1, v133, vcc_lo
	v_add_co_u32 v134, vcc_lo, s0, v134
	v_lshlrev_b64_e32 v[140:141], 4, v[140:141]
	v_ashrrev_i32_e32 v147, 31, v146
	s_wait_alu 0xfffd
	v_add_co_ci_u32_e64 v135, null, s1, v135, vcc_lo
	v_add_co_u32 v136, vcc_lo, s0, v136
	v_lshlrev_b64_e32 v[142:143], 4, v[142:143]
	s_wait_alu 0xfffd
	v_add_co_ci_u32_e64 v137, null, s1, v137, vcc_lo
	v_add_co_u32 v138, vcc_lo, s0, v138
	v_lshlrev_b64_e32 v[144:145], 4, v[144:145]
	s_wait_alu 0xfffd
	v_add_co_ci_u32_e64 v139, null, s1, v139, vcc_lo
	v_add_co_u32 v140, vcc_lo, s0, v140
	s_wait_loadcnt 0x17
	scratch_store_b128 off, v[148:151], off offset:288
	v_add_nc_u32_e32 v148, s11, v146
	s_wait_loadcnt 0x16
	scratch_store_b128 off, v[152:155], off offset:304
	s_wait_loadcnt 0x15
	scratch_store_b128 off, v[156:159], off offset:320
	v_add_nc_u32_e32 v150, s11, v148
	v_ashrrev_i32_e32 v149, 31, v148
	v_lshlrev_b64_e32 v[146:147], 4, v[146:147]
	s_wait_alu 0xfffd
	v_add_co_ci_u32_e64 v141, null, s1, v141, vcc_lo
	v_add_nc_u32_e32 v152, s11, v150
	v_ashrrev_i32_e32 v151, 31, v150
	v_add_co_u32 v142, vcc_lo, s0, v142
	v_lshlrev_b64_e32 v[148:149], 4, v[148:149]
	s_delay_alu instid0(VALU_DEP_4)
	v_add_nc_u32_e32 v154, s11, v152
	v_ashrrev_i32_e32 v153, 31, v152
	s_wait_alu 0xfffd
	v_add_co_ci_u32_e64 v143, null, s1, v143, vcc_lo
	v_add_co_u32 v144, vcc_lo, s0, v144
	v_add_nc_u32_e32 v156, s11, v154
	v_lshlrev_b64_e32 v[150:151], 4, v[150:151]
	s_clause 0x1
	global_load_b128 v[200:203], v[128:129], off
	global_load_b128 v[204:207], v[130:131], off
	s_wait_loadcnt 0x16
	scratch_store_b128 off, v[160:163], off offset:336
	s_wait_loadcnt 0x15
	scratch_store_b128 off, v[164:167], off offset:352
	;; [unrolled: 2-line block ×3, first 2 shown]
	v_add_nc_u32_e32 v158, s11, v156
	v_ashrrev_i32_e32 v155, 31, v154
	s_clause 0x1
	global_load_b128 v[162:165], v[132:133], off
	global_load_b128 v[166:169], v[134:135], off
	s_wait_loadcnt 0x15
	scratch_store_b128 off, v[172:175], off offset:384
	s_wait_loadcnt 0x14
	scratch_store_b128 off, v[176:179], off offset:400
	;; [unrolled: 2-line block ×3, first 2 shown]
	s_wait_alu 0xfffd
	v_add_co_ci_u32_e64 v145, null, s1, v145, vcc_lo
	v_add_co_u32 v146, vcc_lo, s0, v146
	v_add_nc_u32_e32 v160, s11, v158
	s_clause 0x1
	global_load_b128 v[170:173], v[136:137], off
	global_load_b128 v[174:177], v[138:139], off
	s_wait_loadcnt 0x14
	scratch_store_b128 off, v[184:187], off offset:432
	s_wait_loadcnt 0x13
	scratch_store_b128 off, v[188:191], off offset:448
	;; [unrolled: 2-line block ×3, first 2 shown]
	v_ashrrev_i32_e32 v157, 31, v156
	s_clause 0x1
	global_load_b128 v[178:181], v[140:141], off
	global_load_b128 v[182:185], v[142:143], off
	s_wait_alu 0xfffd
	v_add_co_ci_u32_e64 v147, null, s1, v147, vcc_lo
	v_add_co_u32 v148, vcc_lo, s0, v148
	v_ashrrev_i32_e32 v159, 31, v158
	s_wait_alu 0xfffd
	v_add_co_ci_u32_e64 v149, null, s1, v149, vcc_lo
	v_add_co_u32 v150, vcc_lo, s0, v150
	v_lshlrev_b64_e32 v[154:155], 4, v[154:155]
	v_ashrrev_i32_e32 v161, 31, v160
	s_wait_alu 0xfffd
	v_add_co_ci_u32_e64 v151, null, s1, v151, vcc_lo
	v_lshlrev_b64_e32 v[158:159], 4, v[158:159]
	s_movk_i32 s11, 0xc0
	s_wait_alu 0xfffe
	s_add_co_i32 s59, s11, 16
	s_add_co_i32 s11, s73, 16
	s_wait_loadcnt 0x13
	scratch_store_b128 off, v[1:4], off offset:480
	s_wait_loadcnt 0x12
	scratch_store_b128 off, v[5:8], off offset:496
	;; [unrolled: 2-line block ×3, first 2 shown]
	v_lshlrev_b64_e32 v[9:10], 4, v[152:153]
	s_clause 0x1
	global_load_b128 v[1:4], v[144:145], off
	global_load_b128 v[5:8], v[146:147], off
	s_wait_loadcnt 0x12
	scratch_store_b128 off, v[14:17], off offset:528
	s_wait_loadcnt 0x11
	scratch_store_b128 off, v[18:21], off offset:544
	;; [unrolled: 2-line block ×3, first 2 shown]
	v_lshlrev_b64_e32 v[18:19], 4, v[156:157]
	v_add_co_u32 v152, vcc_lo, s0, v9
	s_wait_alu 0xfffd
	v_add_co_ci_u32_e64 v153, null, s1, v10, vcc_lo
	s_clause 0x1
	global_load_b128 v[9:12], v[148:149], off
	global_load_b128 v[14:17], v[150:151], off
	v_add_co_u32 v154, vcc_lo, s0, v154
	s_wait_alu 0xfffd
	v_add_co_ci_u32_e64 v155, null, s1, v155, vcc_lo
	v_add_co_u32 v156, vcc_lo, s0, v18
	s_wait_alu 0xfffd
	v_add_co_ci_u32_e64 v157, null, s1, v19, vcc_lo
	s_wait_loadcnt 0x11
	scratch_store_b128 off, v[26:29], off offset:576
	s_wait_loadcnt 0x10
	scratch_store_b128 off, v[30:33], off offset:592
	;; [unrolled: 2-line block ×3, first 2 shown]
	v_lshlrev_b64_e32 v[30:31], 4, v[160:161]
	v_add_co_u32 v158, vcc_lo, s0, v158
	s_wait_alu 0xfffd
	v_add_co_ci_u32_e64 v159, null, s1, v159, vcc_lo
	s_clause 0x1
	global_load_b128 v[18:21], v[152:153], off
	global_load_b128 v[22:25], v[154:155], off
	v_add_co_u32 v160, vcc_lo, s0, v30
	s_wait_alu 0xfffd
	v_add_co_ci_u32_e64 v161, null, s1, v31, vcc_lo
	s_clause 0x1
	global_load_b128 v[26:29], v[156:157], off
	global_load_b128 v[30:33], v[158:159], off
	s_movk_i32 s0, 0x50
	global_load_b128 v[34:37], v[160:161], off
	s_movk_i32 s1, 0x60
	s_wait_alu 0xfffe
	s_add_co_i32 s66, s0, 16
	s_add_co_i32 s65, s1, 16
	s_bitcmp0_b32 s67, 0
	s_mov_b32 s1, -1
	s_wait_loadcnt 0x13
	scratch_store_b128 off, v[38:41], off offset:624
	s_wait_loadcnt 0x12
	scratch_store_b128 off, v[42:45], off offset:640
	s_wait_loadcnt 0x11
	scratch_store_b128 off, v[196:199], off offset:656
	s_wait_loadcnt 0x10
	scratch_store_b128 off, v[200:203], off offset:672
	s_wait_loadcnt 0xf
	scratch_store_b128 off, v[204:207], off offset:688
	s_wait_loadcnt 0xe
	scratch_store_b128 off, v[162:165], off offset:704
	s_wait_loadcnt 0xd
	scratch_store_b128 off, v[166:169], off offset:720
	s_wait_loadcnt 0xc
	scratch_store_b128 off, v[170:173], off offset:736
	s_wait_loadcnt 0xb
	scratch_store_b128 off, v[174:177], off offset:752
	s_wait_loadcnt 0xa
	scratch_store_b128 off, v[178:181], off offset:768
	s_wait_loadcnt 0x9
	scratch_store_b128 off, v[182:185], off offset:784
	s_wait_loadcnt 0x8
	scratch_store_b128 off, v[1:4], off offset:800
	s_wait_loadcnt 0x7
	scratch_store_b128 off, v[5:8], off offset:816
	s_wait_loadcnt 0x6
	scratch_store_b128 off, v[9:12], off offset:832
	s_wait_loadcnt 0x5
	scratch_store_b128 off, v[14:17], off offset:848
	s_wait_loadcnt 0x4
	scratch_store_b128 off, v[18:21], off offset:864
	s_wait_loadcnt 0x3
	scratch_store_b128 off, v[22:25], off offset:880
	s_wait_loadcnt 0x2
	scratch_store_b128 off, v[26:29], off offset:896
	s_wait_loadcnt 0x1
	scratch_store_b128 off, v[30:33], off offset:912
	s_wait_loadcnt 0x0
	scratch_store_b128 off, v[34:37], off offset:928
	s_cbranch_scc1 .LBB57_244
; %bb.4:
	v_cmp_eq_u32_e64 s0, 0, v0
	s_and_saveexec_b32 s1, s0
; %bb.5:
	v_mov_b32_e32 v1, 0
	ds_store_b32 v1, v1 offset:1856
; %bb.6:
	s_wait_alu 0xfffe
	s_or_b32 exec_lo, exec_lo, s1
	s_wait_storecnt_dscnt 0x0
	s_barrier_signal -1
	s_barrier_wait -1
	global_inv scope:SCOPE_SE
	scratch_load_b128 v[1:4], v13, off offset:16
	s_wait_loadcnt 0x0
	v_cmp_eq_f64_e32 vcc_lo, 0, v[1:2]
	v_cmp_eq_f64_e64 s1, 0, v[3:4]
	s_and_b32 s1, vcc_lo, s1
	s_wait_alu 0xfffe
	s_and_saveexec_b32 s67, s1
	s_cbranch_execz .LBB57_10
; %bb.7:
	v_mov_b32_e32 v1, 0
	s_mov_b32 s68, 0
	ds_load_b32 v2, v1 offset:1856
	s_wait_dscnt 0x0
	v_readfirstlane_b32 s1, v2
	v_add_nc_u32_e32 v2, 1, v0
	s_cmp_eq_u32 s1, 0
	s_delay_alu instid0(VALU_DEP_1) | instskip(SKIP_1) | instid1(SALU_CYCLE_1)
	v_cmp_gt_i32_e32 vcc_lo, s1, v2
	s_cselect_b32 s69, -1, 0
	s_or_b32 s69, s69, vcc_lo
	s_delay_alu instid0(SALU_CYCLE_1)
	s_and_b32 exec_lo, exec_lo, s69
	s_cbranch_execz .LBB57_10
; %bb.8:
	v_mov_b32_e32 v3, s1
.LBB57_9:                               ; =>This Inner Loop Header: Depth=1
	ds_cmpstore_rtn_b32 v3, v1, v2, v3 offset:1856
	s_wait_dscnt 0x0
	v_cmp_ne_u32_e32 vcc_lo, 0, v3
	v_cmp_le_i32_e64 s1, v3, v2
	s_and_b32 s1, vcc_lo, s1
	s_wait_alu 0xfffe
	s_and_b32 s1, exec_lo, s1
	s_wait_alu 0xfffe
	s_or_b32 s68, s1, s68
	s_delay_alu instid0(SALU_CYCLE_1)
	s_and_not1_b32 exec_lo, exec_lo, s68
	s_cbranch_execnz .LBB57_9
.LBB57_10:
	s_or_b32 exec_lo, exec_lo, s67
	v_mov_b32_e32 v1, 0
	s_barrier_signal -1
	s_barrier_wait -1
	global_inv scope:SCOPE_SE
	ds_load_b32 v2, v1 offset:1856
	s_and_saveexec_b32 s1, s0
	s_cbranch_execz .LBB57_12
; %bb.11:
	s_lshl_b64 s[68:69], s[16:17], 2
	s_delay_alu instid0(SALU_CYCLE_1)
	s_add_nc_u64 s[68:69], s[6:7], s[68:69]
	s_wait_dscnt 0x0
	global_store_b32 v1, v2, s[68:69]
.LBB57_12:
	s_wait_alu 0xfffe
	s_or_b32 exec_lo, exec_lo, s1
	s_wait_dscnt 0x0
	v_cmp_ne_u32_e32 vcc_lo, 0, v2
	s_mov_b32 s1, 0
	s_cbranch_vccnz .LBB57_244
; %bb.13:
	v_add_nc_u32_e32 v14, 16, v13
                                        ; implicit-def: $vgpr1_vgpr2
                                        ; implicit-def: $vgpr9_vgpr10
	scratch_load_b128 v[5:8], v14, off
	s_wait_loadcnt 0x0
	v_cmp_ngt_f64_e64 s1, |v[5:6]|, |v[7:8]|
	s_wait_alu 0xfffe
	s_and_saveexec_b32 s67, s1
	s_delay_alu instid0(SALU_CYCLE_1)
	s_xor_b32 s1, exec_lo, s67
	s_cbranch_execz .LBB57_15
; %bb.14:
	v_div_scale_f64 v[1:2], null, v[7:8], v[7:8], v[5:6]
	v_div_scale_f64 v[11:12], vcc_lo, v[5:6], v[7:8], v[5:6]
	s_delay_alu instid0(VALU_DEP_2) | instskip(NEXT) | instid1(TRANS32_DEP_1)
	v_rcp_f64_e32 v[3:4], v[1:2]
	v_fma_f64 v[9:10], -v[1:2], v[3:4], 1.0
	s_delay_alu instid0(VALU_DEP_1) | instskip(NEXT) | instid1(VALU_DEP_1)
	v_fma_f64 v[3:4], v[3:4], v[9:10], v[3:4]
	v_fma_f64 v[9:10], -v[1:2], v[3:4], 1.0
	s_delay_alu instid0(VALU_DEP_1) | instskip(NEXT) | instid1(VALU_DEP_1)
	v_fma_f64 v[3:4], v[3:4], v[9:10], v[3:4]
	v_mul_f64_e32 v[9:10], v[11:12], v[3:4]
	s_delay_alu instid0(VALU_DEP_1) | instskip(SKIP_1) | instid1(VALU_DEP_1)
	v_fma_f64 v[1:2], -v[1:2], v[9:10], v[11:12]
	s_wait_alu 0xfffd
	v_div_fmas_f64 v[1:2], v[1:2], v[3:4], v[9:10]
	s_delay_alu instid0(VALU_DEP_1) | instskip(NEXT) | instid1(VALU_DEP_1)
	v_div_fixup_f64 v[1:2], v[1:2], v[7:8], v[5:6]
	v_fma_f64 v[3:4], v[5:6], v[1:2], v[7:8]
	s_delay_alu instid0(VALU_DEP_1) | instskip(SKIP_1) | instid1(VALU_DEP_2)
	v_div_scale_f64 v[5:6], null, v[3:4], v[3:4], 1.0
	v_div_scale_f64 v[11:12], vcc_lo, 1.0, v[3:4], 1.0
	v_rcp_f64_e32 v[7:8], v[5:6]
	s_delay_alu instid0(TRANS32_DEP_1) | instskip(NEXT) | instid1(VALU_DEP_1)
	v_fma_f64 v[9:10], -v[5:6], v[7:8], 1.0
	v_fma_f64 v[7:8], v[7:8], v[9:10], v[7:8]
	s_delay_alu instid0(VALU_DEP_1) | instskip(NEXT) | instid1(VALU_DEP_1)
	v_fma_f64 v[9:10], -v[5:6], v[7:8], 1.0
	v_fma_f64 v[7:8], v[7:8], v[9:10], v[7:8]
	s_delay_alu instid0(VALU_DEP_1) | instskip(NEXT) | instid1(VALU_DEP_1)
	v_mul_f64_e32 v[9:10], v[11:12], v[7:8]
	v_fma_f64 v[5:6], -v[5:6], v[9:10], v[11:12]
	s_wait_alu 0xfffd
	s_delay_alu instid0(VALU_DEP_1) | instskip(NEXT) | instid1(VALU_DEP_1)
	v_div_fmas_f64 v[5:6], v[5:6], v[7:8], v[9:10]
	v_div_fixup_f64 v[3:4], v[5:6], v[3:4], 1.0
                                        ; implicit-def: $vgpr5_vgpr6
	s_delay_alu instid0(VALU_DEP_1) | instskip(SKIP_1) | instid1(VALU_DEP_2)
	v_mul_f64_e32 v[1:2], v[1:2], v[3:4]
	v_xor_b32_e32 v4, 0x80000000, v4
	v_xor_b32_e32 v10, 0x80000000, v2
	s_delay_alu instid0(VALU_DEP_3)
	v_mov_b32_e32 v9, v1
.LBB57_15:
	s_wait_alu 0xfffe
	s_and_not1_saveexec_b32 s1, s1
	s_cbranch_execz .LBB57_17
; %bb.16:
	v_div_scale_f64 v[1:2], null, v[5:6], v[5:6], v[7:8]
	v_div_scale_f64 v[11:12], vcc_lo, v[7:8], v[5:6], v[7:8]
	s_delay_alu instid0(VALU_DEP_2) | instskip(NEXT) | instid1(TRANS32_DEP_1)
	v_rcp_f64_e32 v[3:4], v[1:2]
	v_fma_f64 v[9:10], -v[1:2], v[3:4], 1.0
	s_delay_alu instid0(VALU_DEP_1) | instskip(NEXT) | instid1(VALU_DEP_1)
	v_fma_f64 v[3:4], v[3:4], v[9:10], v[3:4]
	v_fma_f64 v[9:10], -v[1:2], v[3:4], 1.0
	s_delay_alu instid0(VALU_DEP_1) | instskip(NEXT) | instid1(VALU_DEP_1)
	v_fma_f64 v[3:4], v[3:4], v[9:10], v[3:4]
	v_mul_f64_e32 v[9:10], v[11:12], v[3:4]
	s_delay_alu instid0(VALU_DEP_1) | instskip(SKIP_1) | instid1(VALU_DEP_1)
	v_fma_f64 v[1:2], -v[1:2], v[9:10], v[11:12]
	s_wait_alu 0xfffd
	v_div_fmas_f64 v[1:2], v[1:2], v[3:4], v[9:10]
	s_delay_alu instid0(VALU_DEP_1) | instskip(NEXT) | instid1(VALU_DEP_1)
	v_div_fixup_f64 v[3:4], v[1:2], v[5:6], v[7:8]
	v_fma_f64 v[1:2], v[7:8], v[3:4], v[5:6]
	s_delay_alu instid0(VALU_DEP_1) | instskip(NEXT) | instid1(VALU_DEP_1)
	v_div_scale_f64 v[5:6], null, v[1:2], v[1:2], 1.0
	v_rcp_f64_e32 v[7:8], v[5:6]
	s_delay_alu instid0(TRANS32_DEP_1) | instskip(NEXT) | instid1(VALU_DEP_1)
	v_fma_f64 v[9:10], -v[5:6], v[7:8], 1.0
	v_fma_f64 v[7:8], v[7:8], v[9:10], v[7:8]
	s_delay_alu instid0(VALU_DEP_1) | instskip(NEXT) | instid1(VALU_DEP_1)
	v_fma_f64 v[9:10], -v[5:6], v[7:8], 1.0
	v_fma_f64 v[7:8], v[7:8], v[9:10], v[7:8]
	v_div_scale_f64 v[9:10], vcc_lo, 1.0, v[1:2], 1.0
	s_delay_alu instid0(VALU_DEP_1) | instskip(NEXT) | instid1(VALU_DEP_1)
	v_mul_f64_e32 v[11:12], v[9:10], v[7:8]
	v_fma_f64 v[5:6], -v[5:6], v[11:12], v[9:10]
	s_wait_alu 0xfffd
	s_delay_alu instid0(VALU_DEP_1) | instskip(NEXT) | instid1(VALU_DEP_1)
	v_div_fmas_f64 v[5:6], v[5:6], v[7:8], v[11:12]
	v_div_fixup_f64 v[1:2], v[5:6], v[1:2], 1.0
	s_delay_alu instid0(VALU_DEP_1)
	v_mul_f64_e64 v[3:4], v[3:4], -v[1:2]
	v_xor_b32_e32 v10, 0x80000000, v2
	v_mov_b32_e32 v9, v1
.LBB57_17:
	s_wait_alu 0xfffe
	s_or_b32 exec_lo, exec_lo, s1
	scratch_store_b128 v14, v[1:4], off
	scratch_load_b128 v[15:18], off, s53
	v_xor_b32_e32 v12, 0x80000000, v4
	v_mov_b32_e32 v11, v3
	v_add_nc_u32_e32 v5, 0x3a0, v13
	ds_store_b128 v13, v[9:12]
	s_wait_loadcnt 0x0
	ds_store_b128 v13, v[15:18] offset:928
	s_wait_storecnt_dscnt 0x0
	s_barrier_signal -1
	s_barrier_wait -1
	global_inv scope:SCOPE_SE
	s_and_saveexec_b32 s1, s0
	s_cbranch_execz .LBB57_19
; %bb.18:
	scratch_load_b128 v[1:4], v14, off
	ds_load_b128 v[6:9], v5
	v_mov_b32_e32 v10, 0
	ds_load_b128 v[15:18], v10 offset:16
	s_wait_loadcnt_dscnt 0x1
	v_mul_f64_e32 v[10:11], v[6:7], v[3:4]
	v_mul_f64_e32 v[3:4], v[8:9], v[3:4]
	s_delay_alu instid0(VALU_DEP_2) | instskip(NEXT) | instid1(VALU_DEP_2)
	v_fma_f64 v[8:9], v[8:9], v[1:2], v[10:11]
	v_fma_f64 v[1:2], v[6:7], v[1:2], -v[3:4]
	s_delay_alu instid0(VALU_DEP_2) | instskip(NEXT) | instid1(VALU_DEP_2)
	v_add_f64_e32 v[3:4], 0, v[8:9]
	v_add_f64_e32 v[1:2], 0, v[1:2]
	s_wait_dscnt 0x0
	s_delay_alu instid0(VALU_DEP_2) | instskip(NEXT) | instid1(VALU_DEP_2)
	v_mul_f64_e32 v[6:7], v[3:4], v[17:18]
	v_mul_f64_e32 v[8:9], v[1:2], v[17:18]
	s_delay_alu instid0(VALU_DEP_2) | instskip(NEXT) | instid1(VALU_DEP_2)
	v_fma_f64 v[1:2], v[1:2], v[15:16], -v[6:7]
	v_fma_f64 v[3:4], v[3:4], v[15:16], v[8:9]
	scratch_store_b128 off, v[1:4], off offset:32
.LBB57_19:
	s_wait_alu 0xfffe
	s_or_b32 exec_lo, exec_lo, s1
	s_wait_loadcnt 0x0
	s_wait_storecnt 0x0
	s_barrier_signal -1
	s_barrier_wait -1
	global_inv scope:SCOPE_SE
	scratch_load_b128 v[1:4], off, s52
	s_mov_b32 s1, exec_lo
	s_wait_loadcnt 0x0
	ds_store_b128 v5, v[1:4]
	s_wait_dscnt 0x0
	s_barrier_signal -1
	s_barrier_wait -1
	global_inv scope:SCOPE_SE
	v_cmpx_gt_u32_e32 2, v0
	s_cbranch_execz .LBB57_23
; %bb.20:
	scratch_load_b128 v[1:4], v14, off
	ds_load_b128 v[6:9], v5
	s_wait_loadcnt_dscnt 0x0
	v_mul_f64_e32 v[10:11], v[8:9], v[3:4]
	v_mul_f64_e32 v[3:4], v[6:7], v[3:4]
	s_delay_alu instid0(VALU_DEP_2) | instskip(NEXT) | instid1(VALU_DEP_2)
	v_fma_f64 v[6:7], v[6:7], v[1:2], -v[10:11]
	v_fma_f64 v[3:4], v[8:9], v[1:2], v[3:4]
	s_delay_alu instid0(VALU_DEP_2) | instskip(NEXT) | instid1(VALU_DEP_2)
	v_add_f64_e32 v[1:2], 0, v[6:7]
	v_add_f64_e32 v[3:4], 0, v[3:4]
	s_and_saveexec_b32 s67, s0
	s_cbranch_execz .LBB57_22
; %bb.21:
	scratch_load_b128 v[6:9], off, off offset:32
	v_mov_b32_e32 v10, 0
	ds_load_b128 v[15:18], v10 offset:944
	s_wait_loadcnt_dscnt 0x0
	v_mul_f64_e32 v[10:11], v[15:16], v[8:9]
	v_mul_f64_e32 v[8:9], v[17:18], v[8:9]
	s_delay_alu instid0(VALU_DEP_2) | instskip(NEXT) | instid1(VALU_DEP_2)
	v_fma_f64 v[10:11], v[17:18], v[6:7], v[10:11]
	v_fma_f64 v[6:7], v[15:16], v[6:7], -v[8:9]
	s_delay_alu instid0(VALU_DEP_2) | instskip(NEXT) | instid1(VALU_DEP_2)
	v_add_f64_e32 v[3:4], v[3:4], v[10:11]
	v_add_f64_e32 v[1:2], v[1:2], v[6:7]
.LBB57_22:
	s_or_b32 exec_lo, exec_lo, s67
	v_mov_b32_e32 v6, 0
	ds_load_b128 v[6:9], v6 offset:32
	s_wait_dscnt 0x0
	v_mul_f64_e32 v[10:11], v[3:4], v[8:9]
	v_mul_f64_e32 v[8:9], v[1:2], v[8:9]
	s_delay_alu instid0(VALU_DEP_2) | instskip(NEXT) | instid1(VALU_DEP_2)
	v_fma_f64 v[1:2], v[1:2], v[6:7], -v[10:11]
	v_fma_f64 v[3:4], v[3:4], v[6:7], v[8:9]
	scratch_store_b128 off, v[1:4], off offset:48
.LBB57_23:
	s_wait_alu 0xfffe
	s_or_b32 exec_lo, exec_lo, s1
	s_wait_loadcnt 0x0
	s_wait_storecnt 0x0
	s_barrier_signal -1
	s_barrier_wait -1
	global_inv scope:SCOPE_SE
	scratch_load_b128 v[1:4], off, s51
	v_add_nc_u32_e32 v6, -1, v0
	s_mov_b32 s0, exec_lo
	s_wait_loadcnt 0x0
	ds_store_b128 v5, v[1:4]
	s_wait_dscnt 0x0
	s_barrier_signal -1
	s_barrier_wait -1
	global_inv scope:SCOPE_SE
	v_cmpx_gt_u32_e32 3, v0
	s_cbranch_execz .LBB57_27
; %bb.24:
	v_dual_mov_b32 v1, 0 :: v_dual_add_nc_u32 v8, 0x3a0, v13
	v_mov_b32_e32 v3, 0
	v_dual_mov_b32 v2, 0 :: v_dual_add_nc_u32 v7, -1, v0
	v_mov_b32_e32 v4, 0
	v_or_b32_e32 v9, 8, v14
	s_mov_b32 s1, 0
.LBB57_25:                              ; =>This Inner Loop Header: Depth=1
	scratch_load_b128 v[15:18], v9, off offset:-8
	ds_load_b128 v[19:22], v8
	v_add_nc_u32_e32 v7, 1, v7
	v_add_nc_u32_e32 v8, 16, v8
	v_add_nc_u32_e32 v9, 16, v9
	s_delay_alu instid0(VALU_DEP_3)
	v_cmp_lt_u32_e32 vcc_lo, 1, v7
	s_wait_alu 0xfffe
	s_or_b32 s1, vcc_lo, s1
	s_wait_loadcnt_dscnt 0x0
	v_mul_f64_e32 v[10:11], v[21:22], v[17:18]
	v_mul_f64_e32 v[17:18], v[19:20], v[17:18]
	s_delay_alu instid0(VALU_DEP_2) | instskip(NEXT) | instid1(VALU_DEP_2)
	v_fma_f64 v[10:11], v[19:20], v[15:16], -v[10:11]
	v_fma_f64 v[15:16], v[21:22], v[15:16], v[17:18]
	s_delay_alu instid0(VALU_DEP_2) | instskip(NEXT) | instid1(VALU_DEP_2)
	v_add_f64_e32 v[3:4], v[3:4], v[10:11]
	v_add_f64_e32 v[1:2], v[1:2], v[15:16]
	s_wait_alu 0xfffe
	s_and_not1_b32 exec_lo, exec_lo, s1
	s_cbranch_execnz .LBB57_25
; %bb.26:
	s_or_b32 exec_lo, exec_lo, s1
	v_mov_b32_e32 v7, 0
	ds_load_b128 v[7:10], v7 offset:48
	s_wait_dscnt 0x0
	v_mul_f64_e32 v[11:12], v[1:2], v[9:10]
	v_mul_f64_e32 v[15:16], v[3:4], v[9:10]
	s_delay_alu instid0(VALU_DEP_2) | instskip(NEXT) | instid1(VALU_DEP_2)
	v_fma_f64 v[9:10], v[3:4], v[7:8], -v[11:12]
	v_fma_f64 v[11:12], v[1:2], v[7:8], v[15:16]
	scratch_store_b128 off, v[9:12], off offset:64
.LBB57_27:
	s_wait_alu 0xfffe
	s_or_b32 exec_lo, exec_lo, s0
	s_wait_loadcnt 0x0
	s_wait_storecnt 0x0
	s_barrier_signal -1
	s_barrier_wait -1
	global_inv scope:SCOPE_SE
	scratch_load_b128 v[1:4], off, s50
	s_mov_b32 s0, exec_lo
	s_wait_loadcnt 0x0
	ds_store_b128 v5, v[1:4]
	s_wait_dscnt 0x0
	s_barrier_signal -1
	s_barrier_wait -1
	global_inv scope:SCOPE_SE
	v_cmpx_gt_u32_e32 4, v0
	s_cbranch_execz .LBB57_31
; %bb.28:
	v_dual_mov_b32 v1, 0 :: v_dual_add_nc_u32 v8, 0x3a0, v13
	v_mov_b32_e32 v3, 0
	v_dual_mov_b32 v2, 0 :: v_dual_add_nc_u32 v7, -1, v0
	v_mov_b32_e32 v4, 0
	v_or_b32_e32 v9, 8, v14
	s_mov_b32 s1, 0
.LBB57_29:                              ; =>This Inner Loop Header: Depth=1
	scratch_load_b128 v[15:18], v9, off offset:-8
	ds_load_b128 v[19:22], v8
	v_add_nc_u32_e32 v7, 1, v7
	v_add_nc_u32_e32 v8, 16, v8
	v_add_nc_u32_e32 v9, 16, v9
	s_delay_alu instid0(VALU_DEP_3)
	v_cmp_lt_u32_e32 vcc_lo, 2, v7
	s_wait_alu 0xfffe
	s_or_b32 s1, vcc_lo, s1
	s_wait_loadcnt_dscnt 0x0
	v_mul_f64_e32 v[10:11], v[21:22], v[17:18]
	v_mul_f64_e32 v[17:18], v[19:20], v[17:18]
	s_delay_alu instid0(VALU_DEP_2) | instskip(NEXT) | instid1(VALU_DEP_2)
	v_fma_f64 v[10:11], v[19:20], v[15:16], -v[10:11]
	v_fma_f64 v[15:16], v[21:22], v[15:16], v[17:18]
	s_delay_alu instid0(VALU_DEP_2) | instskip(NEXT) | instid1(VALU_DEP_2)
	v_add_f64_e32 v[3:4], v[3:4], v[10:11]
	v_add_f64_e32 v[1:2], v[1:2], v[15:16]
	s_wait_alu 0xfffe
	s_and_not1_b32 exec_lo, exec_lo, s1
	s_cbranch_execnz .LBB57_29
; %bb.30:
	s_or_b32 exec_lo, exec_lo, s1
	v_mov_b32_e32 v7, 0
	ds_load_b128 v[7:10], v7 offset:64
	s_wait_dscnt 0x0
	v_mul_f64_e32 v[11:12], v[1:2], v[9:10]
	v_mul_f64_e32 v[15:16], v[3:4], v[9:10]
	s_delay_alu instid0(VALU_DEP_2) | instskip(NEXT) | instid1(VALU_DEP_2)
	v_fma_f64 v[9:10], v[3:4], v[7:8], -v[11:12]
	v_fma_f64 v[11:12], v[1:2], v[7:8], v[15:16]
	scratch_store_b128 off, v[9:12], off offset:80
.LBB57_31:
	s_wait_alu 0xfffe
	s_or_b32 exec_lo, exec_lo, s0
	s_wait_loadcnt 0x0
	s_wait_storecnt 0x0
	s_barrier_signal -1
	s_barrier_wait -1
	global_inv scope:SCOPE_SE
	scratch_load_b128 v[1:4], off, s66
	;; [unrolled: 58-line block ×19, first 2 shown]
	s_mov_b32 s0, exec_lo
	s_wait_loadcnt 0x0
	ds_store_b128 v5, v[1:4]
	s_wait_dscnt 0x0
	s_barrier_signal -1
	s_barrier_wait -1
	global_inv scope:SCOPE_SE
	v_cmpx_gt_u32_e32 22, v0
	s_cbranch_execz .LBB57_103
; %bb.100:
	v_dual_mov_b32 v1, 0 :: v_dual_add_nc_u32 v8, 0x3a0, v13
	v_mov_b32_e32 v3, 0
	v_dual_mov_b32 v2, 0 :: v_dual_add_nc_u32 v7, -1, v0
	v_mov_b32_e32 v4, 0
	v_or_b32_e32 v9, 8, v14
	s_mov_b32 s1, 0
.LBB57_101:                             ; =>This Inner Loop Header: Depth=1
	scratch_load_b128 v[15:18], v9, off offset:-8
	ds_load_b128 v[19:22], v8
	v_add_nc_u32_e32 v7, 1, v7
	v_add_nc_u32_e32 v8, 16, v8
	v_add_nc_u32_e32 v9, 16, v9
	s_delay_alu instid0(VALU_DEP_3)
	v_cmp_lt_u32_e32 vcc_lo, 20, v7
	s_wait_alu 0xfffe
	s_or_b32 s1, vcc_lo, s1
	s_wait_loadcnt_dscnt 0x0
	v_mul_f64_e32 v[10:11], v[21:22], v[17:18]
	v_mul_f64_e32 v[17:18], v[19:20], v[17:18]
	s_delay_alu instid0(VALU_DEP_2) | instskip(NEXT) | instid1(VALU_DEP_2)
	v_fma_f64 v[10:11], v[19:20], v[15:16], -v[10:11]
	v_fma_f64 v[15:16], v[21:22], v[15:16], v[17:18]
	s_delay_alu instid0(VALU_DEP_2) | instskip(NEXT) | instid1(VALU_DEP_2)
	v_add_f64_e32 v[3:4], v[3:4], v[10:11]
	v_add_f64_e32 v[1:2], v[1:2], v[15:16]
	s_wait_alu 0xfffe
	s_and_not1_b32 exec_lo, exec_lo, s1
	s_cbranch_execnz .LBB57_101
; %bb.102:
	s_or_b32 exec_lo, exec_lo, s1
	v_mov_b32_e32 v7, 0
	ds_load_b128 v[7:10], v7 offset:352
	s_wait_dscnt 0x0
	v_mul_f64_e32 v[11:12], v[1:2], v[9:10]
	v_mul_f64_e32 v[15:16], v[3:4], v[9:10]
	s_delay_alu instid0(VALU_DEP_2) | instskip(NEXT) | instid1(VALU_DEP_2)
	v_fma_f64 v[9:10], v[3:4], v[7:8], -v[11:12]
	v_fma_f64 v[11:12], v[1:2], v[7:8], v[15:16]
	scratch_store_b128 off, v[9:12], off offset:368
.LBB57_103:
	s_wait_alu 0xfffe
	s_or_b32 exec_lo, exec_lo, s0
	s_wait_loadcnt 0x0
	s_wait_storecnt 0x0
	s_barrier_signal -1
	s_barrier_wait -1
	global_inv scope:SCOPE_SE
	scratch_load_b128 v[1:4], off, s43
	s_mov_b32 s0, exec_lo
	s_wait_loadcnt 0x0
	ds_store_b128 v5, v[1:4]
	s_wait_dscnt 0x0
	s_barrier_signal -1
	s_barrier_wait -1
	global_inv scope:SCOPE_SE
	v_cmpx_gt_u32_e32 23, v0
	s_cbranch_execz .LBB57_107
; %bb.104:
	v_dual_mov_b32 v1, 0 :: v_dual_add_nc_u32 v8, 0x3a0, v13
	v_mov_b32_e32 v3, 0
	v_dual_mov_b32 v2, 0 :: v_dual_add_nc_u32 v7, -1, v0
	v_mov_b32_e32 v4, 0
	v_or_b32_e32 v9, 8, v14
	s_mov_b32 s1, 0
.LBB57_105:                             ; =>This Inner Loop Header: Depth=1
	scratch_load_b128 v[15:18], v9, off offset:-8
	ds_load_b128 v[19:22], v8
	v_add_nc_u32_e32 v7, 1, v7
	v_add_nc_u32_e32 v8, 16, v8
	v_add_nc_u32_e32 v9, 16, v9
	s_delay_alu instid0(VALU_DEP_3)
	v_cmp_lt_u32_e32 vcc_lo, 21, v7
	s_wait_alu 0xfffe
	s_or_b32 s1, vcc_lo, s1
	s_wait_loadcnt_dscnt 0x0
	v_mul_f64_e32 v[10:11], v[21:22], v[17:18]
	v_mul_f64_e32 v[17:18], v[19:20], v[17:18]
	s_delay_alu instid0(VALU_DEP_2) | instskip(NEXT) | instid1(VALU_DEP_2)
	v_fma_f64 v[10:11], v[19:20], v[15:16], -v[10:11]
	v_fma_f64 v[15:16], v[21:22], v[15:16], v[17:18]
	s_delay_alu instid0(VALU_DEP_2) | instskip(NEXT) | instid1(VALU_DEP_2)
	v_add_f64_e32 v[3:4], v[3:4], v[10:11]
	v_add_f64_e32 v[1:2], v[1:2], v[15:16]
	s_wait_alu 0xfffe
	s_and_not1_b32 exec_lo, exec_lo, s1
	s_cbranch_execnz .LBB57_105
; %bb.106:
	s_or_b32 exec_lo, exec_lo, s1
	v_mov_b32_e32 v7, 0
	ds_load_b128 v[7:10], v7 offset:368
	s_wait_dscnt 0x0
	v_mul_f64_e32 v[11:12], v[1:2], v[9:10]
	v_mul_f64_e32 v[15:16], v[3:4], v[9:10]
	s_delay_alu instid0(VALU_DEP_2) | instskip(NEXT) | instid1(VALU_DEP_2)
	v_fma_f64 v[9:10], v[3:4], v[7:8], -v[11:12]
	v_fma_f64 v[11:12], v[1:2], v[7:8], v[15:16]
	scratch_store_b128 off, v[9:12], off offset:384
.LBB57_107:
	s_wait_alu 0xfffe
	s_or_b32 exec_lo, exec_lo, s0
	s_wait_loadcnt 0x0
	s_wait_storecnt 0x0
	s_barrier_signal -1
	s_barrier_wait -1
	global_inv scope:SCOPE_SE
	scratch_load_b128 v[1:4], off, s41
	;; [unrolled: 58-line block ×35, first 2 shown]
	s_mov_b32 s0, exec_lo
	s_wait_loadcnt 0x0
	ds_store_b128 v5, v[1:4]
	s_wait_dscnt 0x0
	s_barrier_signal -1
	s_barrier_wait -1
	global_inv scope:SCOPE_SE
	v_cmpx_ne_u32_e32 57, v0
	s_cbranch_execz .LBB57_243
; %bb.240:
	v_mov_b32_e32 v1, 0
	v_dual_mov_b32 v2, 0 :: v_dual_mov_b32 v3, 0
	v_mov_b32_e32 v4, 0
	v_or_b32_e32 v7, 8, v14
	s_mov_b32 s1, 0
.LBB57_241:                             ; =>This Inner Loop Header: Depth=1
	scratch_load_b128 v[8:11], v7, off offset:-8
	ds_load_b128 v[12:15], v5
	v_add_nc_u32_e32 v6, 1, v6
	v_add_nc_u32_e32 v5, 16, v5
	;; [unrolled: 1-line block ×3, first 2 shown]
	s_delay_alu instid0(VALU_DEP_3)
	v_cmp_lt_u32_e32 vcc_lo, 55, v6
	s_wait_alu 0xfffe
	s_or_b32 s1, vcc_lo, s1
	s_wait_loadcnt_dscnt 0x0
	v_mul_f64_e32 v[16:17], v[14:15], v[10:11]
	v_mul_f64_e32 v[10:11], v[12:13], v[10:11]
	s_delay_alu instid0(VALU_DEP_2) | instskip(NEXT) | instid1(VALU_DEP_2)
	v_fma_f64 v[12:13], v[12:13], v[8:9], -v[16:17]
	v_fma_f64 v[8:9], v[14:15], v[8:9], v[10:11]
	s_delay_alu instid0(VALU_DEP_2) | instskip(NEXT) | instid1(VALU_DEP_2)
	v_add_f64_e32 v[3:4], v[3:4], v[12:13]
	v_add_f64_e32 v[1:2], v[1:2], v[8:9]
	s_wait_alu 0xfffe
	s_and_not1_b32 exec_lo, exec_lo, s1
	s_cbranch_execnz .LBB57_241
; %bb.242:
	s_or_b32 exec_lo, exec_lo, s1
	v_mov_b32_e32 v5, 0
	ds_load_b128 v[5:8], v5 offset:912
	s_wait_dscnt 0x0
	v_mul_f64_e32 v[9:10], v[1:2], v[7:8]
	v_mul_f64_e32 v[7:8], v[3:4], v[7:8]
	s_delay_alu instid0(VALU_DEP_2) | instskip(NEXT) | instid1(VALU_DEP_2)
	v_fma_f64 v[3:4], v[3:4], v[5:6], -v[9:10]
	v_fma_f64 v[5:6], v[1:2], v[5:6], v[7:8]
	scratch_store_b128 off, v[3:6], off offset:928
.LBB57_243:
	s_wait_alu 0xfffe
	s_or_b32 exec_lo, exec_lo, s0
	s_mov_b32 s1, -1
	s_wait_loadcnt 0x0
	s_wait_storecnt 0x0
	s_barrier_signal -1
	s_barrier_wait -1
	global_inv scope:SCOPE_SE
.LBB57_244:
	s_wait_alu 0xfffe
	s_and_b32 vcc_lo, exec_lo, s1
	s_wait_alu 0xfffe
	s_cbranch_vccz .LBB57_246
; %bb.245:
	v_mov_b32_e32 v1, 0
	s_lshl_b64 s[0:1], s[16:17], 2
	s_wait_alu 0xfffe
	s_add_nc_u64 s[0:1], s[6:7], s[0:1]
	global_load_b32 v1, v1, s[0:1]
	s_wait_loadcnt 0x0
	v_cmp_ne_u32_e32 vcc_lo, 0, v1
	s_cbranch_vccz .LBB57_247
.LBB57_246:
	s_nop 0
	s_sendmsg sendmsg(MSG_DEALLOC_VGPRS)
	s_endpgm
.LBB57_247:
	v_lshl_add_u32 v162, v0, 4, 0x3a0
	s_mov_b32 s0, exec_lo
	v_cmpx_eq_u32_e32 57, v0
	s_cbranch_execz .LBB57_249
; %bb.248:
	scratch_load_b128 v[1:4], off, s25
	v_mov_b32_e32 v5, 0
	s_delay_alu instid0(VALU_DEP_1)
	v_dual_mov_b32 v6, v5 :: v_dual_mov_b32 v7, v5
	v_mov_b32_e32 v8, v5
	scratch_store_b128 off, v[5:8], off offset:912
	s_wait_loadcnt 0x0
	ds_store_b128 v162, v[1:4]
.LBB57_249:
	s_wait_alu 0xfffe
	s_or_b32 exec_lo, exec_lo, s0
	s_wait_storecnt_dscnt 0x0
	s_barrier_signal -1
	s_barrier_wait -1
	global_inv scope:SCOPE_SE
	s_clause 0x1
	scratch_load_b128 v[2:5], off, off offset:928
	scratch_load_b128 v[6:9], off, off offset:912
	v_mov_b32_e32 v1, 0
	s_mov_b32 s0, exec_lo
	ds_load_b128 v[10:13], v1 offset:1840
	s_wait_loadcnt_dscnt 0x100
	v_mul_f64_e32 v[14:15], v[12:13], v[4:5]
	v_mul_f64_e32 v[4:5], v[10:11], v[4:5]
	s_delay_alu instid0(VALU_DEP_2) | instskip(NEXT) | instid1(VALU_DEP_2)
	v_fma_f64 v[10:11], v[10:11], v[2:3], -v[14:15]
	v_fma_f64 v[2:3], v[12:13], v[2:3], v[4:5]
	s_delay_alu instid0(VALU_DEP_2) | instskip(NEXT) | instid1(VALU_DEP_2)
	v_add_f64_e32 v[4:5], 0, v[10:11]
	v_add_f64_e32 v[10:11], 0, v[2:3]
	s_wait_loadcnt 0x0
	s_delay_alu instid0(VALU_DEP_2) | instskip(NEXT) | instid1(VALU_DEP_2)
	v_add_f64_e64 v[2:3], v[6:7], -v[4:5]
	v_add_f64_e64 v[4:5], v[8:9], -v[10:11]
	scratch_store_b128 off, v[2:5], off offset:912
	v_cmpx_lt_u32_e32 55, v0
	s_cbranch_execz .LBB57_251
; %bb.250:
	scratch_load_b128 v[5:8], off, s24
	v_dual_mov_b32 v2, v1 :: v_dual_mov_b32 v3, v1
	v_mov_b32_e32 v4, v1
	scratch_store_b128 off, v[1:4], off offset:896
	s_wait_loadcnt 0x0
	ds_store_b128 v162, v[5:8]
.LBB57_251:
	s_wait_alu 0xfffe
	s_or_b32 exec_lo, exec_lo, s0
	s_wait_storecnt_dscnt 0x0
	s_barrier_signal -1
	s_barrier_wait -1
	global_inv scope:SCOPE_SE
	s_clause 0x2
	scratch_load_b128 v[2:5], off, off offset:912
	scratch_load_b128 v[6:9], off, off offset:928
	;; [unrolled: 1-line block ×3, first 2 shown]
	ds_load_b128 v[14:17], v1 offset:1824
	ds_load_b128 v[18:21], v1 offset:1840
	s_mov_b32 s0, exec_lo
	s_wait_loadcnt_dscnt 0x201
	v_mul_f64_e32 v[22:23], v[16:17], v[4:5]
	v_mul_f64_e32 v[4:5], v[14:15], v[4:5]
	s_wait_loadcnt_dscnt 0x100
	v_mul_f64_e32 v[24:25], v[18:19], v[8:9]
	v_mul_f64_e32 v[8:9], v[20:21], v[8:9]
	s_delay_alu instid0(VALU_DEP_4) | instskip(NEXT) | instid1(VALU_DEP_4)
	v_fma_f64 v[14:15], v[14:15], v[2:3], -v[22:23]
	v_fma_f64 v[1:2], v[16:17], v[2:3], v[4:5]
	s_delay_alu instid0(VALU_DEP_4) | instskip(NEXT) | instid1(VALU_DEP_4)
	v_fma_f64 v[3:4], v[20:21], v[6:7], v[24:25]
	v_fma_f64 v[5:6], v[18:19], v[6:7], -v[8:9]
	s_delay_alu instid0(VALU_DEP_4) | instskip(NEXT) | instid1(VALU_DEP_4)
	v_add_f64_e32 v[7:8], 0, v[14:15]
	v_add_f64_e32 v[1:2], 0, v[1:2]
	s_delay_alu instid0(VALU_DEP_2) | instskip(NEXT) | instid1(VALU_DEP_2)
	v_add_f64_e32 v[5:6], v[7:8], v[5:6]
	v_add_f64_e32 v[3:4], v[1:2], v[3:4]
	s_wait_loadcnt 0x0
	s_delay_alu instid0(VALU_DEP_2) | instskip(NEXT) | instid1(VALU_DEP_2)
	v_add_f64_e64 v[1:2], v[10:11], -v[5:6]
	v_add_f64_e64 v[3:4], v[12:13], -v[3:4]
	scratch_store_b128 off, v[1:4], off offset:896
	v_cmpx_lt_u32_e32 54, v0
	s_cbranch_execz .LBB57_253
; %bb.252:
	scratch_load_b128 v[1:4], off, s29
	v_mov_b32_e32 v5, 0
	s_delay_alu instid0(VALU_DEP_1)
	v_dual_mov_b32 v6, v5 :: v_dual_mov_b32 v7, v5
	v_mov_b32_e32 v8, v5
	scratch_store_b128 off, v[5:8], off offset:880
	s_wait_loadcnt 0x0
	ds_store_b128 v162, v[1:4]
.LBB57_253:
	s_wait_alu 0xfffe
	s_or_b32 exec_lo, exec_lo, s0
	s_wait_storecnt_dscnt 0x0
	s_barrier_signal -1
	s_barrier_wait -1
	global_inv scope:SCOPE_SE
	s_clause 0x3
	scratch_load_b128 v[2:5], off, off offset:896
	scratch_load_b128 v[6:9], off, off offset:912
	;; [unrolled: 1-line block ×4, first 2 shown]
	v_mov_b32_e32 v1, 0
	ds_load_b128 v[18:21], v1 offset:1808
	ds_load_b128 v[22:25], v1 offset:1824
	s_mov_b32 s0, exec_lo
	s_wait_loadcnt_dscnt 0x301
	v_mul_f64_e32 v[26:27], v[20:21], v[4:5]
	v_mul_f64_e32 v[4:5], v[18:19], v[4:5]
	s_wait_loadcnt_dscnt 0x200
	v_mul_f64_e32 v[28:29], v[22:23], v[8:9]
	v_mul_f64_e32 v[8:9], v[24:25], v[8:9]
	s_delay_alu instid0(VALU_DEP_4) | instskip(NEXT) | instid1(VALU_DEP_4)
	v_fma_f64 v[18:19], v[18:19], v[2:3], -v[26:27]
	v_fma_f64 v[20:21], v[20:21], v[2:3], v[4:5]
	ds_load_b128 v[2:5], v1 offset:1840
	v_fma_f64 v[24:25], v[24:25], v[6:7], v[28:29]
	v_fma_f64 v[6:7], v[22:23], v[6:7], -v[8:9]
	s_wait_loadcnt_dscnt 0x100
	v_mul_f64_e32 v[26:27], v[2:3], v[12:13]
	v_mul_f64_e32 v[12:13], v[4:5], v[12:13]
	v_add_f64_e32 v[8:9], 0, v[18:19]
	v_add_f64_e32 v[18:19], 0, v[20:21]
	s_delay_alu instid0(VALU_DEP_4) | instskip(NEXT) | instid1(VALU_DEP_4)
	v_fma_f64 v[4:5], v[4:5], v[10:11], v[26:27]
	v_fma_f64 v[2:3], v[2:3], v[10:11], -v[12:13]
	s_delay_alu instid0(VALU_DEP_4) | instskip(NEXT) | instid1(VALU_DEP_4)
	v_add_f64_e32 v[6:7], v[8:9], v[6:7]
	v_add_f64_e32 v[8:9], v[18:19], v[24:25]
	s_delay_alu instid0(VALU_DEP_2) | instskip(NEXT) | instid1(VALU_DEP_2)
	v_add_f64_e32 v[2:3], v[6:7], v[2:3]
	v_add_f64_e32 v[4:5], v[8:9], v[4:5]
	s_wait_loadcnt 0x0
	s_delay_alu instid0(VALU_DEP_2) | instskip(NEXT) | instid1(VALU_DEP_2)
	v_add_f64_e64 v[2:3], v[14:15], -v[2:3]
	v_add_f64_e64 v[4:5], v[16:17], -v[4:5]
	scratch_store_b128 off, v[2:5], off offset:880
	v_cmpx_lt_u32_e32 53, v0
	s_cbranch_execz .LBB57_255
; %bb.254:
	scratch_load_b128 v[5:8], off, s28
	v_dual_mov_b32 v2, v1 :: v_dual_mov_b32 v3, v1
	v_mov_b32_e32 v4, v1
	scratch_store_b128 off, v[1:4], off offset:864
	s_wait_loadcnt 0x0
	ds_store_b128 v162, v[5:8]
.LBB57_255:
	s_wait_alu 0xfffe
	s_or_b32 exec_lo, exec_lo, s0
	s_wait_storecnt_dscnt 0x0
	s_barrier_signal -1
	s_barrier_wait -1
	global_inv scope:SCOPE_SE
	s_clause 0x4
	scratch_load_b128 v[2:5], off, off offset:880
	scratch_load_b128 v[6:9], off, off offset:896
	;; [unrolled: 1-line block ×5, first 2 shown]
	ds_load_b128 v[22:25], v1 offset:1792
	ds_load_b128 v[26:29], v1 offset:1808
	s_mov_b32 s0, exec_lo
	s_wait_loadcnt_dscnt 0x401
	v_mul_f64_e32 v[30:31], v[24:25], v[4:5]
	v_mul_f64_e32 v[4:5], v[22:23], v[4:5]
	s_wait_loadcnt_dscnt 0x300
	v_mul_f64_e32 v[32:33], v[26:27], v[8:9]
	v_mul_f64_e32 v[8:9], v[28:29], v[8:9]
	s_delay_alu instid0(VALU_DEP_4) | instskip(NEXT) | instid1(VALU_DEP_4)
	v_fma_f64 v[30:31], v[22:23], v[2:3], -v[30:31]
	v_fma_f64 v[34:35], v[24:25], v[2:3], v[4:5]
	ds_load_b128 v[2:5], v1 offset:1824
	ds_load_b128 v[22:25], v1 offset:1840
	v_fma_f64 v[28:29], v[28:29], v[6:7], v[32:33]
	v_fma_f64 v[6:7], v[26:27], v[6:7], -v[8:9]
	s_wait_loadcnt_dscnt 0x201
	v_mul_f64_e32 v[36:37], v[2:3], v[12:13]
	v_mul_f64_e32 v[12:13], v[4:5], v[12:13]
	v_add_f64_e32 v[8:9], 0, v[30:31]
	v_add_f64_e32 v[26:27], 0, v[34:35]
	s_wait_loadcnt_dscnt 0x100
	v_mul_f64_e32 v[30:31], v[22:23], v[16:17]
	v_mul_f64_e32 v[16:17], v[24:25], v[16:17]
	v_fma_f64 v[4:5], v[4:5], v[10:11], v[36:37]
	v_fma_f64 v[1:2], v[2:3], v[10:11], -v[12:13]
	v_add_f64_e32 v[6:7], v[8:9], v[6:7]
	v_add_f64_e32 v[8:9], v[26:27], v[28:29]
	v_fma_f64 v[10:11], v[24:25], v[14:15], v[30:31]
	v_fma_f64 v[12:13], v[22:23], v[14:15], -v[16:17]
	s_delay_alu instid0(VALU_DEP_4) | instskip(NEXT) | instid1(VALU_DEP_4)
	v_add_f64_e32 v[1:2], v[6:7], v[1:2]
	v_add_f64_e32 v[3:4], v[8:9], v[4:5]
	s_delay_alu instid0(VALU_DEP_2) | instskip(NEXT) | instid1(VALU_DEP_2)
	v_add_f64_e32 v[1:2], v[1:2], v[12:13]
	v_add_f64_e32 v[3:4], v[3:4], v[10:11]
	s_wait_loadcnt 0x0
	s_delay_alu instid0(VALU_DEP_2) | instskip(NEXT) | instid1(VALU_DEP_2)
	v_add_f64_e64 v[1:2], v[18:19], -v[1:2]
	v_add_f64_e64 v[3:4], v[20:21], -v[3:4]
	scratch_store_b128 off, v[1:4], off offset:864
	v_cmpx_lt_u32_e32 52, v0
	s_cbranch_execz .LBB57_257
; %bb.256:
	scratch_load_b128 v[1:4], off, s34
	v_mov_b32_e32 v5, 0
	s_delay_alu instid0(VALU_DEP_1)
	v_dual_mov_b32 v6, v5 :: v_dual_mov_b32 v7, v5
	v_mov_b32_e32 v8, v5
	scratch_store_b128 off, v[5:8], off offset:848
	s_wait_loadcnt 0x0
	ds_store_b128 v162, v[1:4]
.LBB57_257:
	s_wait_alu 0xfffe
	s_or_b32 exec_lo, exec_lo, s0
	s_wait_storecnt_dscnt 0x0
	s_barrier_signal -1
	s_barrier_wait -1
	global_inv scope:SCOPE_SE
	s_clause 0x5
	scratch_load_b128 v[2:5], off, off offset:864
	scratch_load_b128 v[6:9], off, off offset:880
	scratch_load_b128 v[10:13], off, off offset:896
	scratch_load_b128 v[14:17], off, off offset:912
	scratch_load_b128 v[18:21], off, off offset:928
	scratch_load_b128 v[22:25], off, off offset:848
	v_mov_b32_e32 v1, 0
	ds_load_b128 v[26:29], v1 offset:1776
	ds_load_b128 v[30:33], v1 offset:1792
	s_mov_b32 s0, exec_lo
	s_wait_loadcnt_dscnt 0x501
	v_mul_f64_e32 v[34:35], v[28:29], v[4:5]
	v_mul_f64_e32 v[4:5], v[26:27], v[4:5]
	s_wait_loadcnt_dscnt 0x400
	v_mul_f64_e32 v[36:37], v[30:31], v[8:9]
	v_mul_f64_e32 v[8:9], v[32:33], v[8:9]
	s_delay_alu instid0(VALU_DEP_4) | instskip(NEXT) | instid1(VALU_DEP_4)
	v_fma_f64 v[34:35], v[26:27], v[2:3], -v[34:35]
	v_fma_f64 v[38:39], v[28:29], v[2:3], v[4:5]
	ds_load_b128 v[2:5], v1 offset:1808
	ds_load_b128 v[26:29], v1 offset:1824
	v_fma_f64 v[32:33], v[32:33], v[6:7], v[36:37]
	v_fma_f64 v[6:7], v[30:31], v[6:7], -v[8:9]
	s_wait_loadcnt_dscnt 0x301
	v_mul_f64_e32 v[40:41], v[2:3], v[12:13]
	v_mul_f64_e32 v[12:13], v[4:5], v[12:13]
	v_add_f64_e32 v[8:9], 0, v[34:35]
	v_add_f64_e32 v[30:31], 0, v[38:39]
	s_wait_loadcnt_dscnt 0x200
	v_mul_f64_e32 v[34:35], v[26:27], v[16:17]
	v_mul_f64_e32 v[16:17], v[28:29], v[16:17]
	v_fma_f64 v[36:37], v[4:5], v[10:11], v[40:41]
	v_fma_f64 v[10:11], v[2:3], v[10:11], -v[12:13]
	ds_load_b128 v[2:5], v1 offset:1840
	v_add_f64_e32 v[6:7], v[8:9], v[6:7]
	v_add_f64_e32 v[8:9], v[30:31], v[32:33]
	v_fma_f64 v[28:29], v[28:29], v[14:15], v[34:35]
	v_fma_f64 v[14:15], v[26:27], v[14:15], -v[16:17]
	s_wait_loadcnt_dscnt 0x100
	v_mul_f64_e32 v[12:13], v[2:3], v[20:21]
	v_mul_f64_e32 v[20:21], v[4:5], v[20:21]
	v_add_f64_e32 v[6:7], v[6:7], v[10:11]
	v_add_f64_e32 v[8:9], v[8:9], v[36:37]
	s_delay_alu instid0(VALU_DEP_4) | instskip(NEXT) | instid1(VALU_DEP_4)
	v_fma_f64 v[4:5], v[4:5], v[18:19], v[12:13]
	v_fma_f64 v[2:3], v[2:3], v[18:19], -v[20:21]
	s_delay_alu instid0(VALU_DEP_4) | instskip(NEXT) | instid1(VALU_DEP_4)
	v_add_f64_e32 v[6:7], v[6:7], v[14:15]
	v_add_f64_e32 v[8:9], v[8:9], v[28:29]
	s_delay_alu instid0(VALU_DEP_2) | instskip(NEXT) | instid1(VALU_DEP_2)
	v_add_f64_e32 v[2:3], v[6:7], v[2:3]
	v_add_f64_e32 v[4:5], v[8:9], v[4:5]
	s_wait_loadcnt 0x0
	s_delay_alu instid0(VALU_DEP_2) | instskip(NEXT) | instid1(VALU_DEP_2)
	v_add_f64_e64 v[2:3], v[22:23], -v[2:3]
	v_add_f64_e64 v[4:5], v[24:25], -v[4:5]
	scratch_store_b128 off, v[2:5], off offset:848
	v_cmpx_lt_u32_e32 51, v0
	s_cbranch_execz .LBB57_259
; %bb.258:
	scratch_load_b128 v[5:8], off, s33
	v_dual_mov_b32 v2, v1 :: v_dual_mov_b32 v3, v1
	v_mov_b32_e32 v4, v1
	scratch_store_b128 off, v[1:4], off offset:832
	s_wait_loadcnt 0x0
	ds_store_b128 v162, v[5:8]
.LBB57_259:
	s_wait_alu 0xfffe
	s_or_b32 exec_lo, exec_lo, s0
	s_wait_storecnt_dscnt 0x0
	s_barrier_signal -1
	s_barrier_wait -1
	global_inv scope:SCOPE_SE
	s_clause 0x5
	scratch_load_b128 v[2:5], off, off offset:848
	scratch_load_b128 v[6:9], off, off offset:864
	;; [unrolled: 1-line block ×6, first 2 shown]
	ds_load_b128 v[26:29], v1 offset:1760
	ds_load_b128 v[34:37], v1 offset:1776
	scratch_load_b128 v[30:33], off, off offset:832
	s_mov_b32 s0, exec_lo
	s_wait_loadcnt_dscnt 0x601
	v_mul_f64_e32 v[38:39], v[28:29], v[4:5]
	v_mul_f64_e32 v[4:5], v[26:27], v[4:5]
	s_wait_loadcnt_dscnt 0x500
	v_mul_f64_e32 v[40:41], v[34:35], v[8:9]
	v_mul_f64_e32 v[8:9], v[36:37], v[8:9]
	s_delay_alu instid0(VALU_DEP_4) | instskip(NEXT) | instid1(VALU_DEP_4)
	v_fma_f64 v[38:39], v[26:27], v[2:3], -v[38:39]
	v_fma_f64 v[42:43], v[28:29], v[2:3], v[4:5]
	ds_load_b128 v[2:5], v1 offset:1792
	ds_load_b128 v[26:29], v1 offset:1808
	v_fma_f64 v[36:37], v[36:37], v[6:7], v[40:41]
	v_fma_f64 v[6:7], v[34:35], v[6:7], -v[8:9]
	s_wait_loadcnt_dscnt 0x401
	v_mul_f64_e32 v[44:45], v[2:3], v[12:13]
	v_mul_f64_e32 v[12:13], v[4:5], v[12:13]
	v_add_f64_e32 v[8:9], 0, v[38:39]
	v_add_f64_e32 v[34:35], 0, v[42:43]
	s_wait_loadcnt_dscnt 0x300
	v_mul_f64_e32 v[38:39], v[26:27], v[16:17]
	v_mul_f64_e32 v[16:17], v[28:29], v[16:17]
	v_fma_f64 v[40:41], v[4:5], v[10:11], v[44:45]
	v_fma_f64 v[10:11], v[2:3], v[10:11], -v[12:13]
	v_add_f64_e32 v[12:13], v[8:9], v[6:7]
	v_add_f64_e32 v[34:35], v[34:35], v[36:37]
	ds_load_b128 v[2:5], v1 offset:1824
	ds_load_b128 v[6:9], v1 offset:1840
	v_fma_f64 v[28:29], v[28:29], v[14:15], v[38:39]
	v_fma_f64 v[14:15], v[26:27], v[14:15], -v[16:17]
	s_wait_loadcnt_dscnt 0x201
	v_mul_f64_e32 v[36:37], v[2:3], v[20:21]
	v_mul_f64_e32 v[20:21], v[4:5], v[20:21]
	s_wait_loadcnt_dscnt 0x100
	v_mul_f64_e32 v[16:17], v[6:7], v[24:25]
	v_mul_f64_e32 v[24:25], v[8:9], v[24:25]
	v_add_f64_e32 v[10:11], v[12:13], v[10:11]
	v_add_f64_e32 v[12:13], v[34:35], v[40:41]
	v_fma_f64 v[4:5], v[4:5], v[18:19], v[36:37]
	v_fma_f64 v[1:2], v[2:3], v[18:19], -v[20:21]
	v_fma_f64 v[8:9], v[8:9], v[22:23], v[16:17]
	v_fma_f64 v[6:7], v[6:7], v[22:23], -v[24:25]
	v_add_f64_e32 v[10:11], v[10:11], v[14:15]
	v_add_f64_e32 v[12:13], v[12:13], v[28:29]
	s_delay_alu instid0(VALU_DEP_2) | instskip(NEXT) | instid1(VALU_DEP_2)
	v_add_f64_e32 v[1:2], v[10:11], v[1:2]
	v_add_f64_e32 v[3:4], v[12:13], v[4:5]
	s_delay_alu instid0(VALU_DEP_2) | instskip(NEXT) | instid1(VALU_DEP_2)
	v_add_f64_e32 v[1:2], v[1:2], v[6:7]
	v_add_f64_e32 v[3:4], v[3:4], v[8:9]
	s_wait_loadcnt 0x0
	s_delay_alu instid0(VALU_DEP_2) | instskip(NEXT) | instid1(VALU_DEP_2)
	v_add_f64_e64 v[1:2], v[30:31], -v[1:2]
	v_add_f64_e64 v[3:4], v[32:33], -v[3:4]
	scratch_store_b128 off, v[1:4], off offset:832
	v_cmpx_lt_u32_e32 50, v0
	s_cbranch_execz .LBB57_261
; %bb.260:
	scratch_load_b128 v[1:4], off, s38
	v_mov_b32_e32 v5, 0
	s_delay_alu instid0(VALU_DEP_1)
	v_dual_mov_b32 v6, v5 :: v_dual_mov_b32 v7, v5
	v_mov_b32_e32 v8, v5
	scratch_store_b128 off, v[5:8], off offset:816
	s_wait_loadcnt 0x0
	ds_store_b128 v162, v[1:4]
.LBB57_261:
	s_wait_alu 0xfffe
	s_or_b32 exec_lo, exec_lo, s0
	s_wait_storecnt_dscnt 0x0
	s_barrier_signal -1
	s_barrier_wait -1
	global_inv scope:SCOPE_SE
	s_clause 0x6
	scratch_load_b128 v[2:5], off, off offset:832
	scratch_load_b128 v[6:9], off, off offset:848
	;; [unrolled: 1-line block ×7, first 2 shown]
	v_mov_b32_e32 v1, 0
	scratch_load_b128 v[38:41], off, off offset:816
	s_mov_b32 s0, exec_lo
	ds_load_b128 v[30:33], v1 offset:1744
	ds_load_b128 v[34:37], v1 offset:1760
	s_wait_loadcnt_dscnt 0x701
	v_mul_f64_e32 v[42:43], v[32:33], v[4:5]
	v_mul_f64_e32 v[4:5], v[30:31], v[4:5]
	s_wait_loadcnt_dscnt 0x600
	v_mul_f64_e32 v[44:45], v[34:35], v[8:9]
	v_mul_f64_e32 v[8:9], v[36:37], v[8:9]
	s_delay_alu instid0(VALU_DEP_4) | instskip(NEXT) | instid1(VALU_DEP_4)
	v_fma_f64 v[30:31], v[30:31], v[2:3], -v[42:43]
	v_fma_f64 v[32:33], v[32:33], v[2:3], v[4:5]
	ds_load_b128 v[2:5], v1 offset:1776
	v_fma_f64 v[36:37], v[36:37], v[6:7], v[44:45]
	v_fma_f64 v[34:35], v[34:35], v[6:7], -v[8:9]
	ds_load_b128 v[6:9], v1 offset:1792
	s_wait_loadcnt_dscnt 0x501
	v_mul_f64_e32 v[42:43], v[2:3], v[12:13]
	v_mul_f64_e32 v[12:13], v[4:5], v[12:13]
	s_wait_loadcnt_dscnt 0x400
	v_mul_f64_e32 v[44:45], v[6:7], v[16:17]
	v_mul_f64_e32 v[16:17], v[8:9], v[16:17]
	v_add_f64_e32 v[30:31], 0, v[30:31]
	v_add_f64_e32 v[32:33], 0, v[32:33]
	v_fma_f64 v[42:43], v[4:5], v[10:11], v[42:43]
	v_fma_f64 v[10:11], v[2:3], v[10:11], -v[12:13]
	ds_load_b128 v[2:5], v1 offset:1808
	v_add_f64_e32 v[12:13], v[30:31], v[34:35]
	v_add_f64_e32 v[30:31], v[32:33], v[36:37]
	v_fma_f64 v[34:35], v[8:9], v[14:15], v[44:45]
	v_fma_f64 v[14:15], v[6:7], v[14:15], -v[16:17]
	ds_load_b128 v[6:9], v1 offset:1824
	s_wait_loadcnt_dscnt 0x301
	v_mul_f64_e32 v[32:33], v[2:3], v[20:21]
	v_mul_f64_e32 v[20:21], v[4:5], v[20:21]
	s_wait_loadcnt_dscnt 0x200
	v_mul_f64_e32 v[16:17], v[6:7], v[24:25]
	v_mul_f64_e32 v[24:25], v[8:9], v[24:25]
	v_add_f64_e32 v[10:11], v[12:13], v[10:11]
	v_add_f64_e32 v[12:13], v[30:31], v[42:43]
	v_fma_f64 v[30:31], v[4:5], v[18:19], v[32:33]
	v_fma_f64 v[18:19], v[2:3], v[18:19], -v[20:21]
	ds_load_b128 v[2:5], v1 offset:1840
	v_fma_f64 v[8:9], v[8:9], v[22:23], v[16:17]
	v_fma_f64 v[6:7], v[6:7], v[22:23], -v[24:25]
	s_wait_loadcnt_dscnt 0x100
	v_mul_f64_e32 v[20:21], v[4:5], v[28:29]
	v_add_f64_e32 v[10:11], v[10:11], v[14:15]
	v_add_f64_e32 v[12:13], v[12:13], v[34:35]
	v_mul_f64_e32 v[14:15], v[2:3], v[28:29]
	s_delay_alu instid0(VALU_DEP_4) | instskip(NEXT) | instid1(VALU_DEP_4)
	v_fma_f64 v[2:3], v[2:3], v[26:27], -v[20:21]
	v_add_f64_e32 v[10:11], v[10:11], v[18:19]
	s_delay_alu instid0(VALU_DEP_4) | instskip(NEXT) | instid1(VALU_DEP_4)
	v_add_f64_e32 v[12:13], v[12:13], v[30:31]
	v_fma_f64 v[4:5], v[4:5], v[26:27], v[14:15]
	s_delay_alu instid0(VALU_DEP_3) | instskip(NEXT) | instid1(VALU_DEP_3)
	v_add_f64_e32 v[6:7], v[10:11], v[6:7]
	v_add_f64_e32 v[8:9], v[12:13], v[8:9]
	s_delay_alu instid0(VALU_DEP_2) | instskip(NEXT) | instid1(VALU_DEP_2)
	v_add_f64_e32 v[2:3], v[6:7], v[2:3]
	v_add_f64_e32 v[4:5], v[8:9], v[4:5]
	s_wait_loadcnt 0x0
	s_delay_alu instid0(VALU_DEP_2) | instskip(NEXT) | instid1(VALU_DEP_2)
	v_add_f64_e64 v[2:3], v[38:39], -v[2:3]
	v_add_f64_e64 v[4:5], v[40:41], -v[4:5]
	scratch_store_b128 off, v[2:5], off offset:816
	v_cmpx_lt_u32_e32 49, v0
	s_cbranch_execz .LBB57_263
; %bb.262:
	scratch_load_b128 v[5:8], off, s37
	v_dual_mov_b32 v2, v1 :: v_dual_mov_b32 v3, v1
	v_mov_b32_e32 v4, v1
	scratch_store_b128 off, v[1:4], off offset:800
	s_wait_loadcnt 0x0
	ds_store_b128 v162, v[5:8]
.LBB57_263:
	s_wait_alu 0xfffe
	s_or_b32 exec_lo, exec_lo, s0
	s_wait_storecnt_dscnt 0x0
	s_barrier_signal -1
	s_barrier_wait -1
	global_inv scope:SCOPE_SE
	s_clause 0x7
	scratch_load_b128 v[2:5], off, off offset:816
	scratch_load_b128 v[6:9], off, off offset:832
	scratch_load_b128 v[10:13], off, off offset:848
	scratch_load_b128 v[14:17], off, off offset:864
	scratch_load_b128 v[18:21], off, off offset:880
	scratch_load_b128 v[22:25], off, off offset:896
	scratch_load_b128 v[26:29], off, off offset:912
	scratch_load_b128 v[30:33], off, off offset:928
	ds_load_b128 v[34:37], v1 offset:1728
	ds_load_b128 v[38:41], v1 offset:1744
	s_mov_b32 s0, exec_lo
	s_wait_loadcnt_dscnt 0x701
	v_mul_f64_e32 v[42:43], v[36:37], v[4:5]
	v_mul_f64_e32 v[4:5], v[34:35], v[4:5]
	s_wait_loadcnt_dscnt 0x600
	v_mul_f64_e32 v[44:45], v[38:39], v[8:9]
	v_mul_f64_e32 v[8:9], v[40:41], v[8:9]
	s_delay_alu instid0(VALU_DEP_4) | instskip(NEXT) | instid1(VALU_DEP_4)
	v_fma_f64 v[42:43], v[34:35], v[2:3], -v[42:43]
	v_fma_f64 v[163:164], v[36:37], v[2:3], v[4:5]
	ds_load_b128 v[2:5], v1 offset:1760
	scratch_load_b128 v[34:37], off, off offset:800
	v_fma_f64 v[40:41], v[40:41], v[6:7], v[44:45]
	v_fma_f64 v[38:39], v[38:39], v[6:7], -v[8:9]
	ds_load_b128 v[6:9], v1 offset:1776
	s_wait_loadcnt_dscnt 0x601
	v_mul_f64_e32 v[165:166], v[2:3], v[12:13]
	v_mul_f64_e32 v[12:13], v[4:5], v[12:13]
	v_add_f64_e32 v[42:43], 0, v[42:43]
	v_add_f64_e32 v[44:45], 0, v[163:164]
	s_wait_loadcnt_dscnt 0x500
	v_mul_f64_e32 v[163:164], v[6:7], v[16:17]
	v_mul_f64_e32 v[16:17], v[8:9], v[16:17]
	v_fma_f64 v[165:166], v[4:5], v[10:11], v[165:166]
	v_fma_f64 v[10:11], v[2:3], v[10:11], -v[12:13]
	ds_load_b128 v[2:5], v1 offset:1792
	v_add_f64_e32 v[12:13], v[42:43], v[38:39]
	v_add_f64_e32 v[38:39], v[44:45], v[40:41]
	v_fma_f64 v[42:43], v[8:9], v[14:15], v[163:164]
	v_fma_f64 v[14:15], v[6:7], v[14:15], -v[16:17]
	ds_load_b128 v[6:9], v1 offset:1808
	s_wait_loadcnt_dscnt 0x401
	v_mul_f64_e32 v[40:41], v[2:3], v[20:21]
	v_mul_f64_e32 v[20:21], v[4:5], v[20:21]
	s_wait_loadcnt_dscnt 0x300
	v_mul_f64_e32 v[16:17], v[6:7], v[24:25]
	v_mul_f64_e32 v[24:25], v[8:9], v[24:25]
	v_add_f64_e32 v[10:11], v[12:13], v[10:11]
	v_add_f64_e32 v[12:13], v[38:39], v[165:166]
	v_fma_f64 v[38:39], v[4:5], v[18:19], v[40:41]
	v_fma_f64 v[18:19], v[2:3], v[18:19], -v[20:21]
	ds_load_b128 v[2:5], v1 offset:1824
	v_fma_f64 v[16:17], v[8:9], v[22:23], v[16:17]
	v_fma_f64 v[22:23], v[6:7], v[22:23], -v[24:25]
	ds_load_b128 v[6:9], v1 offset:1840
	s_wait_loadcnt_dscnt 0x201
	v_mul_f64_e32 v[20:21], v[4:5], v[28:29]
	v_add_f64_e32 v[10:11], v[10:11], v[14:15]
	v_add_f64_e32 v[12:13], v[12:13], v[42:43]
	v_mul_f64_e32 v[14:15], v[2:3], v[28:29]
	s_wait_loadcnt_dscnt 0x100
	v_mul_f64_e32 v[24:25], v[8:9], v[32:33]
	v_fma_f64 v[1:2], v[2:3], v[26:27], -v[20:21]
	v_add_f64_e32 v[10:11], v[10:11], v[18:19]
	v_add_f64_e32 v[12:13], v[12:13], v[38:39]
	v_mul_f64_e32 v[18:19], v[6:7], v[32:33]
	v_fma_f64 v[4:5], v[4:5], v[26:27], v[14:15]
	v_fma_f64 v[6:7], v[6:7], v[30:31], -v[24:25]
	v_add_f64_e32 v[10:11], v[10:11], v[22:23]
	v_add_f64_e32 v[12:13], v[12:13], v[16:17]
	v_fma_f64 v[8:9], v[8:9], v[30:31], v[18:19]
	s_delay_alu instid0(VALU_DEP_3) | instskip(NEXT) | instid1(VALU_DEP_3)
	v_add_f64_e32 v[1:2], v[10:11], v[1:2]
	v_add_f64_e32 v[3:4], v[12:13], v[4:5]
	s_delay_alu instid0(VALU_DEP_2) | instskip(NEXT) | instid1(VALU_DEP_2)
	v_add_f64_e32 v[1:2], v[1:2], v[6:7]
	v_add_f64_e32 v[3:4], v[3:4], v[8:9]
	s_wait_loadcnt 0x0
	s_delay_alu instid0(VALU_DEP_2) | instskip(NEXT) | instid1(VALU_DEP_2)
	v_add_f64_e64 v[1:2], v[34:35], -v[1:2]
	v_add_f64_e64 v[3:4], v[36:37], -v[3:4]
	scratch_store_b128 off, v[1:4], off offset:800
	v_cmpx_lt_u32_e32 48, v0
	s_cbranch_execz .LBB57_265
; %bb.264:
	scratch_load_b128 v[1:4], off, s40
	v_mov_b32_e32 v5, 0
	s_delay_alu instid0(VALU_DEP_1)
	v_dual_mov_b32 v6, v5 :: v_dual_mov_b32 v7, v5
	v_mov_b32_e32 v8, v5
	scratch_store_b128 off, v[5:8], off offset:784
	s_wait_loadcnt 0x0
	ds_store_b128 v162, v[1:4]
.LBB57_265:
	s_wait_alu 0xfffe
	s_or_b32 exec_lo, exec_lo, s0
	s_wait_storecnt_dscnt 0x0
	s_barrier_signal -1
	s_barrier_wait -1
	global_inv scope:SCOPE_SE
	s_clause 0x7
	scratch_load_b128 v[2:5], off, off offset:800
	scratch_load_b128 v[6:9], off, off offset:816
	;; [unrolled: 1-line block ×8, first 2 shown]
	v_mov_b32_e32 v1, 0
	s_mov_b32 s0, exec_lo
	ds_load_b128 v[34:37], v1 offset:1712
	s_clause 0x1
	scratch_load_b128 v[38:41], off, off offset:928
	scratch_load_b128 v[42:45], off, off offset:784
	ds_load_b128 v[163:166], v1 offset:1728
	s_wait_loadcnt_dscnt 0x901
	v_mul_f64_e32 v[167:168], v[36:37], v[4:5]
	v_mul_f64_e32 v[4:5], v[34:35], v[4:5]
	s_wait_loadcnt_dscnt 0x800
	v_mul_f64_e32 v[169:170], v[163:164], v[8:9]
	v_mul_f64_e32 v[8:9], v[165:166], v[8:9]
	s_delay_alu instid0(VALU_DEP_4) | instskip(NEXT) | instid1(VALU_DEP_4)
	v_fma_f64 v[167:168], v[34:35], v[2:3], -v[167:168]
	v_fma_f64 v[171:172], v[36:37], v[2:3], v[4:5]
	ds_load_b128 v[2:5], v1 offset:1744
	ds_load_b128 v[34:37], v1 offset:1760
	v_fma_f64 v[165:166], v[165:166], v[6:7], v[169:170]
	v_fma_f64 v[6:7], v[163:164], v[6:7], -v[8:9]
	s_wait_loadcnt_dscnt 0x701
	v_mul_f64_e32 v[173:174], v[2:3], v[12:13]
	v_mul_f64_e32 v[12:13], v[4:5], v[12:13]
	v_add_f64_e32 v[8:9], 0, v[167:168]
	v_add_f64_e32 v[163:164], 0, v[171:172]
	s_wait_loadcnt_dscnt 0x600
	v_mul_f64_e32 v[167:168], v[34:35], v[16:17]
	v_mul_f64_e32 v[16:17], v[36:37], v[16:17]
	v_fma_f64 v[169:170], v[4:5], v[10:11], v[173:174]
	v_fma_f64 v[10:11], v[2:3], v[10:11], -v[12:13]
	v_add_f64_e32 v[12:13], v[8:9], v[6:7]
	v_add_f64_e32 v[163:164], v[163:164], v[165:166]
	ds_load_b128 v[2:5], v1 offset:1776
	ds_load_b128 v[6:9], v1 offset:1792
	v_fma_f64 v[36:37], v[36:37], v[14:15], v[167:168]
	v_fma_f64 v[14:15], v[34:35], v[14:15], -v[16:17]
	s_wait_loadcnt_dscnt 0x501
	v_mul_f64_e32 v[165:166], v[2:3], v[20:21]
	v_mul_f64_e32 v[20:21], v[4:5], v[20:21]
	s_wait_loadcnt_dscnt 0x400
	v_mul_f64_e32 v[16:17], v[6:7], v[24:25]
	v_mul_f64_e32 v[24:25], v[8:9], v[24:25]
	v_add_f64_e32 v[10:11], v[12:13], v[10:11]
	v_add_f64_e32 v[12:13], v[163:164], v[169:170]
	v_fma_f64 v[34:35], v[4:5], v[18:19], v[165:166]
	v_fma_f64 v[18:19], v[2:3], v[18:19], -v[20:21]
	v_fma_f64 v[8:9], v[8:9], v[22:23], v[16:17]
	v_fma_f64 v[6:7], v[6:7], v[22:23], -v[24:25]
	v_add_f64_e32 v[14:15], v[10:11], v[14:15]
	v_add_f64_e32 v[20:21], v[12:13], v[36:37]
	ds_load_b128 v[2:5], v1 offset:1808
	ds_load_b128 v[10:13], v1 offset:1824
	s_wait_loadcnt_dscnt 0x301
	v_mul_f64_e32 v[36:37], v[2:3], v[28:29]
	v_mul_f64_e32 v[28:29], v[4:5], v[28:29]
	v_add_f64_e32 v[14:15], v[14:15], v[18:19]
	v_add_f64_e32 v[16:17], v[20:21], v[34:35]
	s_wait_loadcnt_dscnt 0x200
	v_mul_f64_e32 v[18:19], v[10:11], v[32:33]
	v_mul_f64_e32 v[20:21], v[12:13], v[32:33]
	v_fma_f64 v[22:23], v[4:5], v[26:27], v[36:37]
	v_fma_f64 v[24:25], v[2:3], v[26:27], -v[28:29]
	ds_load_b128 v[2:5], v1 offset:1840
	v_add_f64_e32 v[6:7], v[14:15], v[6:7]
	v_add_f64_e32 v[8:9], v[16:17], v[8:9]
	v_fma_f64 v[12:13], v[12:13], v[30:31], v[18:19]
	v_fma_f64 v[10:11], v[10:11], v[30:31], -v[20:21]
	s_wait_loadcnt_dscnt 0x100
	v_mul_f64_e32 v[14:15], v[2:3], v[40:41]
	v_mul_f64_e32 v[16:17], v[4:5], v[40:41]
	v_add_f64_e32 v[6:7], v[6:7], v[24:25]
	v_add_f64_e32 v[8:9], v[8:9], v[22:23]
	s_delay_alu instid0(VALU_DEP_4) | instskip(NEXT) | instid1(VALU_DEP_4)
	v_fma_f64 v[4:5], v[4:5], v[38:39], v[14:15]
	v_fma_f64 v[2:3], v[2:3], v[38:39], -v[16:17]
	s_delay_alu instid0(VALU_DEP_4) | instskip(NEXT) | instid1(VALU_DEP_4)
	v_add_f64_e32 v[6:7], v[6:7], v[10:11]
	v_add_f64_e32 v[8:9], v[8:9], v[12:13]
	s_delay_alu instid0(VALU_DEP_2) | instskip(NEXT) | instid1(VALU_DEP_2)
	v_add_f64_e32 v[2:3], v[6:7], v[2:3]
	v_add_f64_e32 v[4:5], v[8:9], v[4:5]
	s_wait_loadcnt 0x0
	s_delay_alu instid0(VALU_DEP_2) | instskip(NEXT) | instid1(VALU_DEP_2)
	v_add_f64_e64 v[2:3], v[42:43], -v[2:3]
	v_add_f64_e64 v[4:5], v[44:45], -v[4:5]
	scratch_store_b128 off, v[2:5], off offset:784
	v_cmpx_lt_u32_e32 47, v0
	s_cbranch_execz .LBB57_267
; %bb.266:
	scratch_load_b128 v[5:8], off, s4
	v_dual_mov_b32 v2, v1 :: v_dual_mov_b32 v3, v1
	v_mov_b32_e32 v4, v1
	scratch_store_b128 off, v[1:4], off offset:768
	s_wait_loadcnt 0x0
	ds_store_b128 v162, v[5:8]
.LBB57_267:
	s_wait_alu 0xfffe
	s_or_b32 exec_lo, exec_lo, s0
	s_wait_storecnt_dscnt 0x0
	s_barrier_signal -1
	s_barrier_wait -1
	global_inv scope:SCOPE_SE
	s_clause 0x8
	scratch_load_b128 v[2:5], off, off offset:784
	scratch_load_b128 v[6:9], off, off offset:800
	scratch_load_b128 v[10:13], off, off offset:816
	scratch_load_b128 v[14:17], off, off offset:832
	scratch_load_b128 v[18:21], off, off offset:848
	scratch_load_b128 v[22:25], off, off offset:864
	scratch_load_b128 v[26:29], off, off offset:880
	scratch_load_b128 v[30:33], off, off offset:896
	scratch_load_b128 v[34:37], off, off offset:912
	ds_load_b128 v[38:41], v1 offset:1696
	ds_load_b128 v[42:45], v1 offset:1712
	s_clause 0x1
	scratch_load_b128 v[163:166], off, off offset:768
	scratch_load_b128 v[167:170], off, off offset:928
	s_mov_b32 s0, exec_lo
	s_wait_loadcnt_dscnt 0xa01
	v_mul_f64_e32 v[171:172], v[40:41], v[4:5]
	v_mul_f64_e32 v[4:5], v[38:39], v[4:5]
	s_wait_loadcnt_dscnt 0x900
	v_mul_f64_e32 v[173:174], v[42:43], v[8:9]
	v_mul_f64_e32 v[8:9], v[44:45], v[8:9]
	s_delay_alu instid0(VALU_DEP_4) | instskip(NEXT) | instid1(VALU_DEP_4)
	v_fma_f64 v[171:172], v[38:39], v[2:3], -v[171:172]
	v_fma_f64 v[175:176], v[40:41], v[2:3], v[4:5]
	ds_load_b128 v[2:5], v1 offset:1728
	ds_load_b128 v[38:41], v1 offset:1744
	v_fma_f64 v[44:45], v[44:45], v[6:7], v[173:174]
	v_fma_f64 v[6:7], v[42:43], v[6:7], -v[8:9]
	s_wait_loadcnt_dscnt 0x801
	v_mul_f64_e32 v[177:178], v[2:3], v[12:13]
	v_mul_f64_e32 v[12:13], v[4:5], v[12:13]
	v_add_f64_e32 v[8:9], 0, v[171:172]
	v_add_f64_e32 v[42:43], 0, v[175:176]
	s_wait_loadcnt_dscnt 0x700
	v_mul_f64_e32 v[171:172], v[38:39], v[16:17]
	v_mul_f64_e32 v[16:17], v[40:41], v[16:17]
	v_fma_f64 v[173:174], v[4:5], v[10:11], v[177:178]
	v_fma_f64 v[10:11], v[2:3], v[10:11], -v[12:13]
	v_add_f64_e32 v[12:13], v[8:9], v[6:7]
	v_add_f64_e32 v[42:43], v[42:43], v[44:45]
	ds_load_b128 v[2:5], v1 offset:1760
	ds_load_b128 v[6:9], v1 offset:1776
	v_fma_f64 v[40:41], v[40:41], v[14:15], v[171:172]
	v_fma_f64 v[14:15], v[38:39], v[14:15], -v[16:17]
	s_wait_loadcnt_dscnt 0x601
	v_mul_f64_e32 v[44:45], v[2:3], v[20:21]
	v_mul_f64_e32 v[20:21], v[4:5], v[20:21]
	s_wait_loadcnt_dscnt 0x500
	v_mul_f64_e32 v[16:17], v[6:7], v[24:25]
	v_mul_f64_e32 v[24:25], v[8:9], v[24:25]
	v_add_f64_e32 v[10:11], v[12:13], v[10:11]
	v_add_f64_e32 v[12:13], v[42:43], v[173:174]
	v_fma_f64 v[38:39], v[4:5], v[18:19], v[44:45]
	v_fma_f64 v[18:19], v[2:3], v[18:19], -v[20:21]
	v_fma_f64 v[8:9], v[8:9], v[22:23], v[16:17]
	v_fma_f64 v[6:7], v[6:7], v[22:23], -v[24:25]
	v_add_f64_e32 v[14:15], v[10:11], v[14:15]
	v_add_f64_e32 v[20:21], v[12:13], v[40:41]
	ds_load_b128 v[2:5], v1 offset:1792
	ds_load_b128 v[10:13], v1 offset:1808
	s_wait_loadcnt_dscnt 0x401
	v_mul_f64_e32 v[40:41], v[2:3], v[28:29]
	v_mul_f64_e32 v[28:29], v[4:5], v[28:29]
	v_add_f64_e32 v[14:15], v[14:15], v[18:19]
	v_add_f64_e32 v[16:17], v[20:21], v[38:39]
	s_wait_loadcnt_dscnt 0x300
	v_mul_f64_e32 v[18:19], v[10:11], v[32:33]
	v_mul_f64_e32 v[20:21], v[12:13], v[32:33]
	v_fma_f64 v[22:23], v[4:5], v[26:27], v[40:41]
	v_fma_f64 v[24:25], v[2:3], v[26:27], -v[28:29]
	v_add_f64_e32 v[14:15], v[14:15], v[6:7]
	v_add_f64_e32 v[16:17], v[16:17], v[8:9]
	ds_load_b128 v[2:5], v1 offset:1824
	ds_load_b128 v[6:9], v1 offset:1840
	v_fma_f64 v[12:13], v[12:13], v[30:31], v[18:19]
	v_fma_f64 v[10:11], v[10:11], v[30:31], -v[20:21]
	s_wait_loadcnt_dscnt 0x201
	v_mul_f64_e32 v[26:27], v[2:3], v[36:37]
	v_mul_f64_e32 v[28:29], v[4:5], v[36:37]
	s_wait_loadcnt_dscnt 0x0
	v_mul_f64_e32 v[18:19], v[6:7], v[169:170]
	v_mul_f64_e32 v[20:21], v[8:9], v[169:170]
	v_add_f64_e32 v[14:15], v[14:15], v[24:25]
	v_add_f64_e32 v[16:17], v[16:17], v[22:23]
	v_fma_f64 v[4:5], v[4:5], v[34:35], v[26:27]
	v_fma_f64 v[1:2], v[2:3], v[34:35], -v[28:29]
	v_fma_f64 v[8:9], v[8:9], v[167:168], v[18:19]
	v_fma_f64 v[6:7], v[6:7], v[167:168], -v[20:21]
	v_add_f64_e32 v[10:11], v[14:15], v[10:11]
	v_add_f64_e32 v[12:13], v[16:17], v[12:13]
	s_delay_alu instid0(VALU_DEP_2) | instskip(NEXT) | instid1(VALU_DEP_2)
	v_add_f64_e32 v[1:2], v[10:11], v[1:2]
	v_add_f64_e32 v[3:4], v[12:13], v[4:5]
	s_delay_alu instid0(VALU_DEP_2) | instskip(NEXT) | instid1(VALU_DEP_2)
	;; [unrolled: 3-line block ×3, first 2 shown]
	v_add_f64_e64 v[1:2], v[163:164], -v[1:2]
	v_add_f64_e64 v[3:4], v[165:166], -v[3:4]
	scratch_store_b128 off, v[1:4], off offset:768
	v_cmpx_lt_u32_e32 46, v0
	s_cbranch_execz .LBB57_269
; %bb.268:
	scratch_load_b128 v[1:4], off, s8
	v_mov_b32_e32 v5, 0
	s_delay_alu instid0(VALU_DEP_1)
	v_dual_mov_b32 v6, v5 :: v_dual_mov_b32 v7, v5
	v_mov_b32_e32 v8, v5
	scratch_store_b128 off, v[5:8], off offset:752
	s_wait_loadcnt 0x0
	ds_store_b128 v162, v[1:4]
.LBB57_269:
	s_wait_alu 0xfffe
	s_or_b32 exec_lo, exec_lo, s0
	s_wait_storecnt_dscnt 0x0
	s_barrier_signal -1
	s_barrier_wait -1
	global_inv scope:SCOPE_SE
	s_clause 0x7
	scratch_load_b128 v[2:5], off, off offset:768
	scratch_load_b128 v[6:9], off, off offset:784
	;; [unrolled: 1-line block ×8, first 2 shown]
	v_mov_b32_e32 v1, 0
	s_mov_b32 s0, exec_lo
	ds_load_b128 v[34:37], v1 offset:1680
	s_clause 0x1
	scratch_load_b128 v[38:41], off, off offset:896
	scratch_load_b128 v[42:45], off, off offset:752
	ds_load_b128 v[163:166], v1 offset:1696
	scratch_load_b128 v[167:170], off, off offset:912
	s_wait_loadcnt_dscnt 0xa01
	v_mul_f64_e32 v[171:172], v[36:37], v[4:5]
	v_mul_f64_e32 v[4:5], v[34:35], v[4:5]
	s_delay_alu instid0(VALU_DEP_2) | instskip(NEXT) | instid1(VALU_DEP_2)
	v_fma_f64 v[177:178], v[34:35], v[2:3], -v[171:172]
	v_fma_f64 v[179:180], v[36:37], v[2:3], v[4:5]
	ds_load_b128 v[2:5], v1 offset:1712
	s_wait_loadcnt_dscnt 0x901
	v_mul_f64_e32 v[175:176], v[163:164], v[8:9]
	v_mul_f64_e32 v[8:9], v[165:166], v[8:9]
	scratch_load_b128 v[34:37], off, off offset:928
	ds_load_b128 v[171:174], v1 offset:1728
	s_wait_loadcnt_dscnt 0x901
	v_mul_f64_e32 v[181:182], v[2:3], v[12:13]
	v_mul_f64_e32 v[12:13], v[4:5], v[12:13]
	v_fma_f64 v[165:166], v[165:166], v[6:7], v[175:176]
	v_fma_f64 v[6:7], v[163:164], v[6:7], -v[8:9]
	v_add_f64_e32 v[8:9], 0, v[177:178]
	v_add_f64_e32 v[163:164], 0, v[179:180]
	s_wait_loadcnt_dscnt 0x800
	v_mul_f64_e32 v[175:176], v[171:172], v[16:17]
	v_mul_f64_e32 v[16:17], v[173:174], v[16:17]
	v_fma_f64 v[177:178], v[4:5], v[10:11], v[181:182]
	v_fma_f64 v[10:11], v[2:3], v[10:11], -v[12:13]
	v_add_f64_e32 v[12:13], v[8:9], v[6:7]
	v_add_f64_e32 v[163:164], v[163:164], v[165:166]
	ds_load_b128 v[2:5], v1 offset:1744
	ds_load_b128 v[6:9], v1 offset:1760
	v_fma_f64 v[173:174], v[173:174], v[14:15], v[175:176]
	v_fma_f64 v[14:15], v[171:172], v[14:15], -v[16:17]
	s_wait_loadcnt_dscnt 0x701
	v_mul_f64_e32 v[165:166], v[2:3], v[20:21]
	v_mul_f64_e32 v[20:21], v[4:5], v[20:21]
	s_wait_loadcnt_dscnt 0x600
	v_mul_f64_e32 v[16:17], v[6:7], v[24:25]
	v_mul_f64_e32 v[24:25], v[8:9], v[24:25]
	v_add_f64_e32 v[10:11], v[12:13], v[10:11]
	v_add_f64_e32 v[12:13], v[163:164], v[177:178]
	v_fma_f64 v[163:164], v[4:5], v[18:19], v[165:166]
	v_fma_f64 v[18:19], v[2:3], v[18:19], -v[20:21]
	v_fma_f64 v[8:9], v[8:9], v[22:23], v[16:17]
	v_fma_f64 v[6:7], v[6:7], v[22:23], -v[24:25]
	v_add_f64_e32 v[14:15], v[10:11], v[14:15]
	v_add_f64_e32 v[20:21], v[12:13], v[173:174]
	ds_load_b128 v[2:5], v1 offset:1776
	ds_load_b128 v[10:13], v1 offset:1792
	s_wait_loadcnt_dscnt 0x501
	v_mul_f64_e32 v[165:166], v[2:3], v[28:29]
	v_mul_f64_e32 v[28:29], v[4:5], v[28:29]
	v_add_f64_e32 v[14:15], v[14:15], v[18:19]
	v_add_f64_e32 v[16:17], v[20:21], v[163:164]
	s_wait_loadcnt_dscnt 0x400
	v_mul_f64_e32 v[18:19], v[10:11], v[32:33]
	v_mul_f64_e32 v[20:21], v[12:13], v[32:33]
	v_fma_f64 v[22:23], v[4:5], v[26:27], v[165:166]
	v_fma_f64 v[24:25], v[2:3], v[26:27], -v[28:29]
	v_add_f64_e32 v[14:15], v[14:15], v[6:7]
	v_add_f64_e32 v[16:17], v[16:17], v[8:9]
	ds_load_b128 v[2:5], v1 offset:1808
	ds_load_b128 v[6:9], v1 offset:1824
	v_fma_f64 v[12:13], v[12:13], v[30:31], v[18:19]
	v_fma_f64 v[10:11], v[10:11], v[30:31], -v[20:21]
	s_wait_loadcnt_dscnt 0x301
	v_mul_f64_e32 v[26:27], v[2:3], v[40:41]
	v_mul_f64_e32 v[28:29], v[4:5], v[40:41]
	s_wait_loadcnt_dscnt 0x100
	v_mul_f64_e32 v[18:19], v[6:7], v[169:170]
	v_mul_f64_e32 v[20:21], v[8:9], v[169:170]
	v_add_f64_e32 v[14:15], v[14:15], v[24:25]
	v_add_f64_e32 v[16:17], v[16:17], v[22:23]
	v_fma_f64 v[22:23], v[4:5], v[38:39], v[26:27]
	v_fma_f64 v[24:25], v[2:3], v[38:39], -v[28:29]
	ds_load_b128 v[2:5], v1 offset:1840
	v_fma_f64 v[8:9], v[8:9], v[167:168], v[18:19]
	v_fma_f64 v[6:7], v[6:7], v[167:168], -v[20:21]
	v_add_f64_e32 v[10:11], v[14:15], v[10:11]
	v_add_f64_e32 v[12:13], v[16:17], v[12:13]
	s_wait_loadcnt_dscnt 0x0
	v_mul_f64_e32 v[14:15], v[2:3], v[36:37]
	v_mul_f64_e32 v[16:17], v[4:5], v[36:37]
	s_delay_alu instid0(VALU_DEP_4) | instskip(NEXT) | instid1(VALU_DEP_4)
	v_add_f64_e32 v[10:11], v[10:11], v[24:25]
	v_add_f64_e32 v[12:13], v[12:13], v[22:23]
	s_delay_alu instid0(VALU_DEP_4) | instskip(NEXT) | instid1(VALU_DEP_4)
	v_fma_f64 v[4:5], v[4:5], v[34:35], v[14:15]
	v_fma_f64 v[2:3], v[2:3], v[34:35], -v[16:17]
	s_delay_alu instid0(VALU_DEP_4) | instskip(NEXT) | instid1(VALU_DEP_4)
	v_add_f64_e32 v[6:7], v[10:11], v[6:7]
	v_add_f64_e32 v[8:9], v[12:13], v[8:9]
	s_delay_alu instid0(VALU_DEP_2) | instskip(NEXT) | instid1(VALU_DEP_2)
	v_add_f64_e32 v[2:3], v[6:7], v[2:3]
	v_add_f64_e32 v[4:5], v[8:9], v[4:5]
	s_delay_alu instid0(VALU_DEP_2) | instskip(NEXT) | instid1(VALU_DEP_2)
	v_add_f64_e64 v[2:3], v[42:43], -v[2:3]
	v_add_f64_e64 v[4:5], v[44:45], -v[4:5]
	scratch_store_b128 off, v[2:5], off offset:752
	v_cmpx_lt_u32_e32 45, v0
	s_cbranch_execz .LBB57_271
; %bb.270:
	scratch_load_b128 v[5:8], off, s5
	v_dual_mov_b32 v2, v1 :: v_dual_mov_b32 v3, v1
	v_mov_b32_e32 v4, v1
	scratch_store_b128 off, v[1:4], off offset:736
	s_wait_loadcnt 0x0
	ds_store_b128 v162, v[5:8]
.LBB57_271:
	s_wait_alu 0xfffe
	s_or_b32 exec_lo, exec_lo, s0
	s_wait_storecnt_dscnt 0x0
	s_barrier_signal -1
	s_barrier_wait -1
	global_inv scope:SCOPE_SE
	s_clause 0x8
	scratch_load_b128 v[2:5], off, off offset:752
	scratch_load_b128 v[6:9], off, off offset:768
	;; [unrolled: 1-line block ×9, first 2 shown]
	ds_load_b128 v[38:41], v1 offset:1664
	ds_load_b128 v[42:45], v1 offset:1680
	s_clause 0x1
	scratch_load_b128 v[163:166], off, off offset:736
	scratch_load_b128 v[167:170], off, off offset:896
	s_mov_b32 s0, exec_lo
	s_wait_loadcnt_dscnt 0xa01
	v_mul_f64_e32 v[171:172], v[40:41], v[4:5]
	v_mul_f64_e32 v[4:5], v[38:39], v[4:5]
	s_wait_loadcnt_dscnt 0x900
	v_mul_f64_e32 v[175:176], v[42:43], v[8:9]
	v_mul_f64_e32 v[8:9], v[44:45], v[8:9]
	s_delay_alu instid0(VALU_DEP_4) | instskip(NEXT) | instid1(VALU_DEP_4)
	v_fma_f64 v[177:178], v[38:39], v[2:3], -v[171:172]
	v_fma_f64 v[179:180], v[40:41], v[2:3], v[4:5]
	ds_load_b128 v[2:5], v1 offset:1696
	ds_load_b128 v[171:174], v1 offset:1712
	scratch_load_b128 v[38:41], off, off offset:912
	v_fma_f64 v[44:45], v[44:45], v[6:7], v[175:176]
	v_fma_f64 v[42:43], v[42:43], v[6:7], -v[8:9]
	scratch_load_b128 v[6:9], off, off offset:928
	s_wait_loadcnt_dscnt 0xa01
	v_mul_f64_e32 v[181:182], v[2:3], v[12:13]
	v_mul_f64_e32 v[12:13], v[4:5], v[12:13]
	v_add_f64_e32 v[175:176], 0, v[177:178]
	v_add_f64_e32 v[177:178], 0, v[179:180]
	s_wait_loadcnt_dscnt 0x900
	v_mul_f64_e32 v[179:180], v[171:172], v[16:17]
	v_mul_f64_e32 v[16:17], v[173:174], v[16:17]
	v_fma_f64 v[181:182], v[4:5], v[10:11], v[181:182]
	v_fma_f64 v[183:184], v[2:3], v[10:11], -v[12:13]
	ds_load_b128 v[2:5], v1 offset:1728
	ds_load_b128 v[10:13], v1 offset:1744
	v_add_f64_e32 v[42:43], v[175:176], v[42:43]
	v_add_f64_e32 v[44:45], v[177:178], v[44:45]
	v_fma_f64 v[173:174], v[173:174], v[14:15], v[179:180]
	v_fma_f64 v[14:15], v[171:172], v[14:15], -v[16:17]
	s_wait_loadcnt_dscnt 0x801
	v_mul_f64_e32 v[175:176], v[2:3], v[20:21]
	v_mul_f64_e32 v[20:21], v[4:5], v[20:21]
	v_add_f64_e32 v[16:17], v[42:43], v[183:184]
	v_add_f64_e32 v[42:43], v[44:45], v[181:182]
	s_wait_loadcnt_dscnt 0x700
	v_mul_f64_e32 v[44:45], v[10:11], v[24:25]
	v_mul_f64_e32 v[24:25], v[12:13], v[24:25]
	v_fma_f64 v[171:172], v[4:5], v[18:19], v[175:176]
	v_fma_f64 v[18:19], v[2:3], v[18:19], -v[20:21]
	v_add_f64_e32 v[20:21], v[16:17], v[14:15]
	v_add_f64_e32 v[42:43], v[42:43], v[173:174]
	ds_load_b128 v[2:5], v1 offset:1760
	ds_load_b128 v[14:17], v1 offset:1776
	v_fma_f64 v[12:13], v[12:13], v[22:23], v[44:45]
	v_fma_f64 v[10:11], v[10:11], v[22:23], -v[24:25]
	s_wait_loadcnt_dscnt 0x601
	v_mul_f64_e32 v[173:174], v[2:3], v[28:29]
	v_mul_f64_e32 v[28:29], v[4:5], v[28:29]
	s_wait_loadcnt_dscnt 0x500
	v_mul_f64_e32 v[22:23], v[14:15], v[32:33]
	v_mul_f64_e32 v[24:25], v[16:17], v[32:33]
	v_add_f64_e32 v[18:19], v[20:21], v[18:19]
	v_add_f64_e32 v[20:21], v[42:43], v[171:172]
	v_fma_f64 v[32:33], v[4:5], v[26:27], v[173:174]
	v_fma_f64 v[26:27], v[2:3], v[26:27], -v[28:29]
	v_fma_f64 v[16:17], v[16:17], v[30:31], v[22:23]
	v_fma_f64 v[14:15], v[14:15], v[30:31], -v[24:25]
	v_add_f64_e32 v[18:19], v[18:19], v[10:11]
	v_add_f64_e32 v[20:21], v[20:21], v[12:13]
	ds_load_b128 v[2:5], v1 offset:1792
	ds_load_b128 v[10:13], v1 offset:1808
	s_wait_loadcnt_dscnt 0x401
	v_mul_f64_e32 v[28:29], v[2:3], v[36:37]
	v_mul_f64_e32 v[36:37], v[4:5], v[36:37]
	s_wait_loadcnt_dscnt 0x200
	v_mul_f64_e32 v[22:23], v[10:11], v[169:170]
	v_mul_f64_e32 v[24:25], v[12:13], v[169:170]
	v_add_f64_e32 v[18:19], v[18:19], v[26:27]
	v_add_f64_e32 v[20:21], v[20:21], v[32:33]
	v_fma_f64 v[26:27], v[4:5], v[34:35], v[28:29]
	v_fma_f64 v[28:29], v[2:3], v[34:35], -v[36:37]
	v_fma_f64 v[12:13], v[12:13], v[167:168], v[22:23]
	v_fma_f64 v[10:11], v[10:11], v[167:168], -v[24:25]
	v_add_f64_e32 v[18:19], v[18:19], v[14:15]
	v_add_f64_e32 v[20:21], v[20:21], v[16:17]
	ds_load_b128 v[2:5], v1 offset:1824
	ds_load_b128 v[14:17], v1 offset:1840
	s_wait_loadcnt_dscnt 0x101
	v_mul_f64_e32 v[30:31], v[2:3], v[40:41]
	v_mul_f64_e32 v[32:33], v[4:5], v[40:41]
	s_wait_loadcnt_dscnt 0x0
	v_mul_f64_e32 v[22:23], v[14:15], v[8:9]
	v_mul_f64_e32 v[8:9], v[16:17], v[8:9]
	v_add_f64_e32 v[18:19], v[18:19], v[28:29]
	v_add_f64_e32 v[20:21], v[20:21], v[26:27]
	v_fma_f64 v[4:5], v[4:5], v[38:39], v[30:31]
	v_fma_f64 v[1:2], v[2:3], v[38:39], -v[32:33]
	v_fma_f64 v[16:17], v[16:17], v[6:7], v[22:23]
	v_fma_f64 v[6:7], v[14:15], v[6:7], -v[8:9]
	v_add_f64_e32 v[10:11], v[18:19], v[10:11]
	v_add_f64_e32 v[12:13], v[20:21], v[12:13]
	s_delay_alu instid0(VALU_DEP_2) | instskip(NEXT) | instid1(VALU_DEP_2)
	v_add_f64_e32 v[1:2], v[10:11], v[1:2]
	v_add_f64_e32 v[3:4], v[12:13], v[4:5]
	s_delay_alu instid0(VALU_DEP_2) | instskip(NEXT) | instid1(VALU_DEP_2)
	;; [unrolled: 3-line block ×3, first 2 shown]
	v_add_f64_e64 v[1:2], v[163:164], -v[1:2]
	v_add_f64_e64 v[3:4], v[165:166], -v[3:4]
	scratch_store_b128 off, v[1:4], off offset:736
	v_cmpx_lt_u32_e32 44, v0
	s_cbranch_execz .LBB57_273
; %bb.272:
	scratch_load_b128 v[1:4], off, s10
	v_mov_b32_e32 v5, 0
	s_delay_alu instid0(VALU_DEP_1)
	v_dual_mov_b32 v6, v5 :: v_dual_mov_b32 v7, v5
	v_mov_b32_e32 v8, v5
	scratch_store_b128 off, v[5:8], off offset:720
	s_wait_loadcnt 0x0
	ds_store_b128 v162, v[1:4]
.LBB57_273:
	s_wait_alu 0xfffe
	s_or_b32 exec_lo, exec_lo, s0
	s_wait_storecnt_dscnt 0x0
	s_barrier_signal -1
	s_barrier_wait -1
	global_inv scope:SCOPE_SE
	s_clause 0x7
	scratch_load_b128 v[2:5], off, off offset:736
	scratch_load_b128 v[6:9], off, off offset:752
	scratch_load_b128 v[10:13], off, off offset:768
	scratch_load_b128 v[14:17], off, off offset:784
	scratch_load_b128 v[18:21], off, off offset:800
	scratch_load_b128 v[22:25], off, off offset:816
	scratch_load_b128 v[26:29], off, off offset:832
	scratch_load_b128 v[30:33], off, off offset:848
	v_mov_b32_e32 v1, 0
	s_mov_b32 s0, exec_lo
	ds_load_b128 v[34:37], v1 offset:1648
	s_clause 0x1
	scratch_load_b128 v[38:41], off, off offset:864
	scratch_load_b128 v[42:45], off, off offset:720
	ds_load_b128 v[163:166], v1 offset:1664
	scratch_load_b128 v[167:170], off, off offset:880
	s_wait_loadcnt_dscnt 0xa01
	v_mul_f64_e32 v[171:172], v[36:37], v[4:5]
	v_mul_f64_e32 v[4:5], v[34:35], v[4:5]
	s_delay_alu instid0(VALU_DEP_2) | instskip(NEXT) | instid1(VALU_DEP_2)
	v_fma_f64 v[177:178], v[34:35], v[2:3], -v[171:172]
	v_fma_f64 v[179:180], v[36:37], v[2:3], v[4:5]
	ds_load_b128 v[2:5], v1 offset:1680
	s_wait_loadcnt_dscnt 0x901
	v_mul_f64_e32 v[175:176], v[163:164], v[8:9]
	v_mul_f64_e32 v[8:9], v[165:166], v[8:9]
	scratch_load_b128 v[34:37], off, off offset:896
	ds_load_b128 v[171:174], v1 offset:1696
	s_wait_loadcnt_dscnt 0x901
	v_mul_f64_e32 v[181:182], v[2:3], v[12:13]
	v_mul_f64_e32 v[12:13], v[4:5], v[12:13]
	v_fma_f64 v[165:166], v[165:166], v[6:7], v[175:176]
	v_fma_f64 v[163:164], v[163:164], v[6:7], -v[8:9]
	v_add_f64_e32 v[175:176], 0, v[177:178]
	v_add_f64_e32 v[177:178], 0, v[179:180]
	scratch_load_b128 v[6:9], off, off offset:912
	v_fma_f64 v[181:182], v[4:5], v[10:11], v[181:182]
	v_fma_f64 v[183:184], v[2:3], v[10:11], -v[12:13]
	ds_load_b128 v[2:5], v1 offset:1712
	s_wait_loadcnt_dscnt 0x901
	v_mul_f64_e32 v[179:180], v[171:172], v[16:17]
	v_mul_f64_e32 v[16:17], v[173:174], v[16:17]
	scratch_load_b128 v[10:13], off, off offset:928
	v_add_f64_e32 v[175:176], v[175:176], v[163:164]
	v_add_f64_e32 v[177:178], v[177:178], v[165:166]
	s_wait_loadcnt_dscnt 0x900
	v_mul_f64_e32 v[185:186], v[2:3], v[20:21]
	v_mul_f64_e32 v[20:21], v[4:5], v[20:21]
	ds_load_b128 v[163:166], v1 offset:1728
	v_fma_f64 v[173:174], v[173:174], v[14:15], v[179:180]
	v_fma_f64 v[14:15], v[171:172], v[14:15], -v[16:17]
	v_add_f64_e32 v[16:17], v[175:176], v[183:184]
	v_add_f64_e32 v[171:172], v[177:178], v[181:182]
	s_wait_loadcnt_dscnt 0x800
	v_mul_f64_e32 v[175:176], v[163:164], v[24:25]
	v_mul_f64_e32 v[24:25], v[165:166], v[24:25]
	v_fma_f64 v[177:178], v[4:5], v[18:19], v[185:186]
	v_fma_f64 v[18:19], v[2:3], v[18:19], -v[20:21]
	v_add_f64_e32 v[20:21], v[16:17], v[14:15]
	v_add_f64_e32 v[171:172], v[171:172], v[173:174]
	ds_load_b128 v[2:5], v1 offset:1744
	ds_load_b128 v[14:17], v1 offset:1760
	v_fma_f64 v[165:166], v[165:166], v[22:23], v[175:176]
	v_fma_f64 v[22:23], v[163:164], v[22:23], -v[24:25]
	s_wait_loadcnt_dscnt 0x701
	v_mul_f64_e32 v[173:174], v[2:3], v[28:29]
	v_mul_f64_e32 v[28:29], v[4:5], v[28:29]
	s_wait_loadcnt_dscnt 0x600
	v_mul_f64_e32 v[24:25], v[14:15], v[32:33]
	v_mul_f64_e32 v[32:33], v[16:17], v[32:33]
	v_add_f64_e32 v[18:19], v[20:21], v[18:19]
	v_add_f64_e32 v[20:21], v[171:172], v[177:178]
	v_fma_f64 v[163:164], v[4:5], v[26:27], v[173:174]
	v_fma_f64 v[26:27], v[2:3], v[26:27], -v[28:29]
	v_fma_f64 v[16:17], v[16:17], v[30:31], v[24:25]
	v_fma_f64 v[14:15], v[14:15], v[30:31], -v[32:33]
	v_add_f64_e32 v[22:23], v[18:19], v[22:23]
	v_add_f64_e32 v[28:29], v[20:21], v[165:166]
	ds_load_b128 v[2:5], v1 offset:1776
	ds_load_b128 v[18:21], v1 offset:1792
	s_wait_loadcnt_dscnt 0x501
	v_mul_f64_e32 v[165:166], v[2:3], v[40:41]
	v_mul_f64_e32 v[40:41], v[4:5], v[40:41]
	v_add_f64_e32 v[22:23], v[22:23], v[26:27]
	v_add_f64_e32 v[24:25], v[28:29], v[163:164]
	s_wait_loadcnt_dscnt 0x300
	v_mul_f64_e32 v[26:27], v[18:19], v[169:170]
	v_mul_f64_e32 v[28:29], v[20:21], v[169:170]
	v_fma_f64 v[30:31], v[4:5], v[38:39], v[165:166]
	v_fma_f64 v[32:33], v[2:3], v[38:39], -v[40:41]
	v_add_f64_e32 v[22:23], v[22:23], v[14:15]
	v_add_f64_e32 v[24:25], v[24:25], v[16:17]
	ds_load_b128 v[2:5], v1 offset:1808
	ds_load_b128 v[14:17], v1 offset:1824
	v_fma_f64 v[20:21], v[20:21], v[167:168], v[26:27]
	v_fma_f64 v[18:19], v[18:19], v[167:168], -v[28:29]
	s_wait_loadcnt_dscnt 0x201
	v_mul_f64_e32 v[38:39], v[2:3], v[36:37]
	v_mul_f64_e32 v[36:37], v[4:5], v[36:37]
	v_add_f64_e32 v[22:23], v[22:23], v[32:33]
	v_add_f64_e32 v[24:25], v[24:25], v[30:31]
	s_wait_loadcnt_dscnt 0x100
	v_mul_f64_e32 v[26:27], v[14:15], v[8:9]
	v_mul_f64_e32 v[8:9], v[16:17], v[8:9]
	v_fma_f64 v[28:29], v[4:5], v[34:35], v[38:39]
	v_fma_f64 v[30:31], v[2:3], v[34:35], -v[36:37]
	ds_load_b128 v[2:5], v1 offset:1840
	v_add_f64_e32 v[18:19], v[22:23], v[18:19]
	v_add_f64_e32 v[20:21], v[24:25], v[20:21]
	s_wait_loadcnt_dscnt 0x0
	v_mul_f64_e32 v[22:23], v[2:3], v[12:13]
	v_mul_f64_e32 v[12:13], v[4:5], v[12:13]
	v_fma_f64 v[16:17], v[16:17], v[6:7], v[26:27]
	v_fma_f64 v[6:7], v[14:15], v[6:7], -v[8:9]
	v_add_f64_e32 v[8:9], v[18:19], v[30:31]
	v_add_f64_e32 v[14:15], v[20:21], v[28:29]
	v_fma_f64 v[4:5], v[4:5], v[10:11], v[22:23]
	v_fma_f64 v[2:3], v[2:3], v[10:11], -v[12:13]
	s_delay_alu instid0(VALU_DEP_4) | instskip(NEXT) | instid1(VALU_DEP_4)
	v_add_f64_e32 v[6:7], v[8:9], v[6:7]
	v_add_f64_e32 v[8:9], v[14:15], v[16:17]
	s_delay_alu instid0(VALU_DEP_2) | instskip(NEXT) | instid1(VALU_DEP_2)
	v_add_f64_e32 v[2:3], v[6:7], v[2:3]
	v_add_f64_e32 v[4:5], v[8:9], v[4:5]
	s_delay_alu instid0(VALU_DEP_2) | instskip(NEXT) | instid1(VALU_DEP_2)
	v_add_f64_e64 v[2:3], v[42:43], -v[2:3]
	v_add_f64_e64 v[4:5], v[44:45], -v[4:5]
	scratch_store_b128 off, v[2:5], off offset:720
	v_cmpx_lt_u32_e32 43, v0
	s_cbranch_execz .LBB57_275
; %bb.274:
	scratch_load_b128 v[5:8], off, s9
	v_dual_mov_b32 v2, v1 :: v_dual_mov_b32 v3, v1
	v_mov_b32_e32 v4, v1
	scratch_store_b128 off, v[1:4], off offset:704
	s_wait_loadcnt 0x0
	ds_store_b128 v162, v[5:8]
.LBB57_275:
	s_wait_alu 0xfffe
	s_or_b32 exec_lo, exec_lo, s0
	s_wait_storecnt_dscnt 0x0
	s_barrier_signal -1
	s_barrier_wait -1
	global_inv scope:SCOPE_SE
	s_clause 0x8
	scratch_load_b128 v[2:5], off, off offset:720
	scratch_load_b128 v[6:9], off, off offset:736
	;; [unrolled: 1-line block ×9, first 2 shown]
	ds_load_b128 v[38:41], v1 offset:1632
	ds_load_b128 v[42:45], v1 offset:1648
	s_clause 0x1
	scratch_load_b128 v[163:166], off, off offset:704
	scratch_load_b128 v[167:170], off, off offset:864
	s_mov_b32 s0, exec_lo
	s_wait_loadcnt_dscnt 0xa01
	v_mul_f64_e32 v[171:172], v[40:41], v[4:5]
	v_mul_f64_e32 v[4:5], v[38:39], v[4:5]
	s_wait_loadcnt_dscnt 0x900
	v_mul_f64_e32 v[175:176], v[42:43], v[8:9]
	v_mul_f64_e32 v[8:9], v[44:45], v[8:9]
	s_delay_alu instid0(VALU_DEP_4) | instskip(NEXT) | instid1(VALU_DEP_4)
	v_fma_f64 v[177:178], v[38:39], v[2:3], -v[171:172]
	v_fma_f64 v[179:180], v[40:41], v[2:3], v[4:5]
	ds_load_b128 v[2:5], v1 offset:1664
	ds_load_b128 v[171:174], v1 offset:1680
	scratch_load_b128 v[38:41], off, off offset:880
	v_fma_f64 v[44:45], v[44:45], v[6:7], v[175:176]
	v_fma_f64 v[42:43], v[42:43], v[6:7], -v[8:9]
	scratch_load_b128 v[6:9], off, off offset:896
	s_wait_loadcnt_dscnt 0xa01
	v_mul_f64_e32 v[181:182], v[2:3], v[12:13]
	v_mul_f64_e32 v[12:13], v[4:5], v[12:13]
	v_add_f64_e32 v[175:176], 0, v[177:178]
	v_add_f64_e32 v[177:178], 0, v[179:180]
	s_wait_loadcnt_dscnt 0x900
	v_mul_f64_e32 v[179:180], v[171:172], v[16:17]
	v_mul_f64_e32 v[16:17], v[173:174], v[16:17]
	v_fma_f64 v[181:182], v[4:5], v[10:11], v[181:182]
	v_fma_f64 v[183:184], v[2:3], v[10:11], -v[12:13]
	ds_load_b128 v[2:5], v1 offset:1696
	scratch_load_b128 v[10:13], off, off offset:912
	v_add_f64_e32 v[175:176], v[175:176], v[42:43]
	v_add_f64_e32 v[177:178], v[177:178], v[44:45]
	ds_load_b128 v[42:45], v1 offset:1712
	v_fma_f64 v[173:174], v[173:174], v[14:15], v[179:180]
	v_fma_f64 v[171:172], v[171:172], v[14:15], -v[16:17]
	scratch_load_b128 v[14:17], off, off offset:928
	s_wait_loadcnt_dscnt 0xa01
	v_mul_f64_e32 v[185:186], v[2:3], v[20:21]
	v_mul_f64_e32 v[20:21], v[4:5], v[20:21]
	s_wait_loadcnt_dscnt 0x900
	v_mul_f64_e32 v[179:180], v[42:43], v[24:25]
	v_mul_f64_e32 v[24:25], v[44:45], v[24:25]
	v_add_f64_e32 v[175:176], v[175:176], v[183:184]
	v_add_f64_e32 v[177:178], v[177:178], v[181:182]
	v_fma_f64 v[181:182], v[4:5], v[18:19], v[185:186]
	v_fma_f64 v[183:184], v[2:3], v[18:19], -v[20:21]
	ds_load_b128 v[2:5], v1 offset:1728
	ds_load_b128 v[18:21], v1 offset:1744
	v_fma_f64 v[44:45], v[44:45], v[22:23], v[179:180]
	v_fma_f64 v[22:23], v[42:43], v[22:23], -v[24:25]
	v_add_f64_e32 v[171:172], v[175:176], v[171:172]
	v_add_f64_e32 v[173:174], v[177:178], v[173:174]
	s_wait_loadcnt_dscnt 0x801
	v_mul_f64_e32 v[175:176], v[2:3], v[28:29]
	v_mul_f64_e32 v[28:29], v[4:5], v[28:29]
	s_delay_alu instid0(VALU_DEP_4) | instskip(NEXT) | instid1(VALU_DEP_4)
	v_add_f64_e32 v[24:25], v[171:172], v[183:184]
	v_add_f64_e32 v[42:43], v[173:174], v[181:182]
	s_wait_loadcnt_dscnt 0x700
	v_mul_f64_e32 v[171:172], v[18:19], v[32:33]
	v_mul_f64_e32 v[32:33], v[20:21], v[32:33]
	v_fma_f64 v[173:174], v[4:5], v[26:27], v[175:176]
	v_fma_f64 v[26:27], v[2:3], v[26:27], -v[28:29]
	v_add_f64_e32 v[28:29], v[24:25], v[22:23]
	v_add_f64_e32 v[42:43], v[42:43], v[44:45]
	ds_load_b128 v[2:5], v1 offset:1760
	ds_load_b128 v[22:25], v1 offset:1776
	v_fma_f64 v[20:21], v[20:21], v[30:31], v[171:172]
	v_fma_f64 v[18:19], v[18:19], v[30:31], -v[32:33]
	s_wait_loadcnt_dscnt 0x601
	v_mul_f64_e32 v[44:45], v[2:3], v[36:37]
	v_mul_f64_e32 v[36:37], v[4:5], v[36:37]
	s_wait_loadcnt_dscnt 0x400
	v_mul_f64_e32 v[30:31], v[22:23], v[169:170]
	v_mul_f64_e32 v[32:33], v[24:25], v[169:170]
	v_add_f64_e32 v[26:27], v[28:29], v[26:27]
	v_add_f64_e32 v[28:29], v[42:43], v[173:174]
	v_fma_f64 v[42:43], v[4:5], v[34:35], v[44:45]
	v_fma_f64 v[34:35], v[2:3], v[34:35], -v[36:37]
	v_fma_f64 v[24:25], v[24:25], v[167:168], v[30:31]
	v_fma_f64 v[22:23], v[22:23], v[167:168], -v[32:33]
	v_add_f64_e32 v[26:27], v[26:27], v[18:19]
	v_add_f64_e32 v[28:29], v[28:29], v[20:21]
	ds_load_b128 v[2:5], v1 offset:1792
	ds_load_b128 v[18:21], v1 offset:1808
	s_wait_loadcnt_dscnt 0x301
	v_mul_f64_e32 v[36:37], v[2:3], v[40:41]
	v_mul_f64_e32 v[40:41], v[4:5], v[40:41]
	s_wait_loadcnt_dscnt 0x200
	v_mul_f64_e32 v[30:31], v[18:19], v[8:9]
	v_mul_f64_e32 v[8:9], v[20:21], v[8:9]
	v_add_f64_e32 v[26:27], v[26:27], v[34:35]
	v_add_f64_e32 v[28:29], v[28:29], v[42:43]
	v_fma_f64 v[32:33], v[4:5], v[38:39], v[36:37]
	v_fma_f64 v[34:35], v[2:3], v[38:39], -v[40:41]
	v_fma_f64 v[20:21], v[20:21], v[6:7], v[30:31]
	v_fma_f64 v[6:7], v[18:19], v[6:7], -v[8:9]
	v_add_f64_e32 v[26:27], v[26:27], v[22:23]
	v_add_f64_e32 v[28:29], v[28:29], v[24:25]
	ds_load_b128 v[2:5], v1 offset:1824
	ds_load_b128 v[22:25], v1 offset:1840
	s_wait_loadcnt_dscnt 0x101
	v_mul_f64_e32 v[36:37], v[2:3], v[12:13]
	v_mul_f64_e32 v[12:13], v[4:5], v[12:13]
	v_add_f64_e32 v[8:9], v[26:27], v[34:35]
	v_add_f64_e32 v[18:19], v[28:29], v[32:33]
	s_wait_loadcnt_dscnt 0x0
	v_mul_f64_e32 v[26:27], v[22:23], v[16:17]
	v_mul_f64_e32 v[16:17], v[24:25], v[16:17]
	v_fma_f64 v[4:5], v[4:5], v[10:11], v[36:37]
	v_fma_f64 v[1:2], v[2:3], v[10:11], -v[12:13]
	v_add_f64_e32 v[6:7], v[8:9], v[6:7]
	v_add_f64_e32 v[8:9], v[18:19], v[20:21]
	v_fma_f64 v[10:11], v[24:25], v[14:15], v[26:27]
	v_fma_f64 v[12:13], v[22:23], v[14:15], -v[16:17]
	s_delay_alu instid0(VALU_DEP_4) | instskip(NEXT) | instid1(VALU_DEP_4)
	v_add_f64_e32 v[1:2], v[6:7], v[1:2]
	v_add_f64_e32 v[3:4], v[8:9], v[4:5]
	s_delay_alu instid0(VALU_DEP_2) | instskip(NEXT) | instid1(VALU_DEP_2)
	v_add_f64_e32 v[1:2], v[1:2], v[12:13]
	v_add_f64_e32 v[3:4], v[3:4], v[10:11]
	s_delay_alu instid0(VALU_DEP_2) | instskip(NEXT) | instid1(VALU_DEP_2)
	v_add_f64_e64 v[1:2], v[163:164], -v[1:2]
	v_add_f64_e64 v[3:4], v[165:166], -v[3:4]
	scratch_store_b128 off, v[1:4], off offset:704
	v_cmpx_lt_u32_e32 42, v0
	s_cbranch_execz .LBB57_277
; %bb.276:
	scratch_load_b128 v[1:4], off, s12
	v_mov_b32_e32 v5, 0
	s_delay_alu instid0(VALU_DEP_1)
	v_dual_mov_b32 v6, v5 :: v_dual_mov_b32 v7, v5
	v_mov_b32_e32 v8, v5
	scratch_store_b128 off, v[5:8], off offset:688
	s_wait_loadcnt 0x0
	ds_store_b128 v162, v[1:4]
.LBB57_277:
	s_wait_alu 0xfffe
	s_or_b32 exec_lo, exec_lo, s0
	s_wait_storecnt_dscnt 0x0
	s_barrier_signal -1
	s_barrier_wait -1
	global_inv scope:SCOPE_SE
	s_clause 0x7
	scratch_load_b128 v[2:5], off, off offset:704
	scratch_load_b128 v[6:9], off, off offset:720
	;; [unrolled: 1-line block ×8, first 2 shown]
	v_mov_b32_e32 v1, 0
	s_mov_b32 s0, exec_lo
	ds_load_b128 v[34:37], v1 offset:1616
	s_clause 0x1
	scratch_load_b128 v[38:41], off, off offset:832
	scratch_load_b128 v[42:45], off, off offset:688
	ds_load_b128 v[163:166], v1 offset:1632
	scratch_load_b128 v[167:170], off, off offset:848
	s_wait_loadcnt_dscnt 0xa01
	v_mul_f64_e32 v[171:172], v[36:37], v[4:5]
	v_mul_f64_e32 v[4:5], v[34:35], v[4:5]
	s_delay_alu instid0(VALU_DEP_2) | instskip(NEXT) | instid1(VALU_DEP_2)
	v_fma_f64 v[177:178], v[34:35], v[2:3], -v[171:172]
	v_fma_f64 v[179:180], v[36:37], v[2:3], v[4:5]
	ds_load_b128 v[2:5], v1 offset:1648
	s_wait_loadcnt_dscnt 0x901
	v_mul_f64_e32 v[175:176], v[163:164], v[8:9]
	v_mul_f64_e32 v[8:9], v[165:166], v[8:9]
	scratch_load_b128 v[34:37], off, off offset:864
	ds_load_b128 v[171:174], v1 offset:1664
	s_wait_loadcnt_dscnt 0x901
	v_mul_f64_e32 v[181:182], v[2:3], v[12:13]
	v_mul_f64_e32 v[12:13], v[4:5], v[12:13]
	v_fma_f64 v[165:166], v[165:166], v[6:7], v[175:176]
	v_fma_f64 v[163:164], v[163:164], v[6:7], -v[8:9]
	v_add_f64_e32 v[175:176], 0, v[177:178]
	v_add_f64_e32 v[177:178], 0, v[179:180]
	scratch_load_b128 v[6:9], off, off offset:880
	v_fma_f64 v[181:182], v[4:5], v[10:11], v[181:182]
	v_fma_f64 v[183:184], v[2:3], v[10:11], -v[12:13]
	ds_load_b128 v[2:5], v1 offset:1680
	s_wait_loadcnt_dscnt 0x901
	v_mul_f64_e32 v[179:180], v[171:172], v[16:17]
	v_mul_f64_e32 v[16:17], v[173:174], v[16:17]
	scratch_load_b128 v[10:13], off, off offset:896
	v_add_f64_e32 v[175:176], v[175:176], v[163:164]
	v_add_f64_e32 v[177:178], v[177:178], v[165:166]
	s_wait_loadcnt_dscnt 0x900
	v_mul_f64_e32 v[185:186], v[2:3], v[20:21]
	v_mul_f64_e32 v[20:21], v[4:5], v[20:21]
	ds_load_b128 v[163:166], v1 offset:1696
	v_fma_f64 v[173:174], v[173:174], v[14:15], v[179:180]
	v_fma_f64 v[171:172], v[171:172], v[14:15], -v[16:17]
	scratch_load_b128 v[14:17], off, off offset:912
	v_add_f64_e32 v[175:176], v[175:176], v[183:184]
	v_add_f64_e32 v[177:178], v[177:178], v[181:182]
	v_fma_f64 v[181:182], v[4:5], v[18:19], v[185:186]
	v_fma_f64 v[183:184], v[2:3], v[18:19], -v[20:21]
	ds_load_b128 v[2:5], v1 offset:1712
	s_wait_loadcnt_dscnt 0x901
	v_mul_f64_e32 v[179:180], v[163:164], v[24:25]
	v_mul_f64_e32 v[24:25], v[165:166], v[24:25]
	scratch_load_b128 v[18:21], off, off offset:928
	s_wait_loadcnt_dscnt 0x900
	v_mul_f64_e32 v[185:186], v[2:3], v[28:29]
	v_mul_f64_e32 v[28:29], v[4:5], v[28:29]
	v_add_f64_e32 v[175:176], v[175:176], v[171:172]
	v_add_f64_e32 v[177:178], v[177:178], v[173:174]
	ds_load_b128 v[171:174], v1 offset:1728
	v_fma_f64 v[165:166], v[165:166], v[22:23], v[179:180]
	v_fma_f64 v[22:23], v[163:164], v[22:23], -v[24:25]
	v_add_f64_e32 v[24:25], v[175:176], v[183:184]
	v_add_f64_e32 v[163:164], v[177:178], v[181:182]
	s_wait_loadcnt_dscnt 0x800
	v_mul_f64_e32 v[175:176], v[171:172], v[32:33]
	v_mul_f64_e32 v[32:33], v[173:174], v[32:33]
	v_fma_f64 v[177:178], v[4:5], v[26:27], v[185:186]
	v_fma_f64 v[26:27], v[2:3], v[26:27], -v[28:29]
	v_add_f64_e32 v[28:29], v[24:25], v[22:23]
	v_add_f64_e32 v[163:164], v[163:164], v[165:166]
	ds_load_b128 v[2:5], v1 offset:1744
	ds_load_b128 v[22:25], v1 offset:1760
	v_fma_f64 v[173:174], v[173:174], v[30:31], v[175:176]
	v_fma_f64 v[30:31], v[171:172], v[30:31], -v[32:33]
	s_wait_loadcnt_dscnt 0x701
	v_mul_f64_e32 v[165:166], v[2:3], v[40:41]
	v_mul_f64_e32 v[40:41], v[4:5], v[40:41]
	s_wait_loadcnt_dscnt 0x500
	v_mul_f64_e32 v[32:33], v[22:23], v[169:170]
	v_add_f64_e32 v[26:27], v[28:29], v[26:27]
	v_add_f64_e32 v[28:29], v[163:164], v[177:178]
	v_mul_f64_e32 v[163:164], v[24:25], v[169:170]
	v_fma_f64 v[165:166], v[4:5], v[38:39], v[165:166]
	v_fma_f64 v[38:39], v[2:3], v[38:39], -v[40:41]
	v_fma_f64 v[24:25], v[24:25], v[167:168], v[32:33]
	v_add_f64_e32 v[30:31], v[26:27], v[30:31]
	v_add_f64_e32 v[40:41], v[28:29], v[173:174]
	ds_load_b128 v[2:5], v1 offset:1776
	ds_load_b128 v[26:29], v1 offset:1792
	v_fma_f64 v[22:23], v[22:23], v[167:168], -v[163:164]
	s_wait_loadcnt_dscnt 0x401
	v_mul_f64_e32 v[169:170], v[2:3], v[36:37]
	v_mul_f64_e32 v[36:37], v[4:5], v[36:37]
	v_add_f64_e32 v[30:31], v[30:31], v[38:39]
	v_add_f64_e32 v[32:33], v[40:41], v[165:166]
	s_wait_loadcnt_dscnt 0x300
	v_mul_f64_e32 v[38:39], v[26:27], v[8:9]
	v_mul_f64_e32 v[8:9], v[28:29], v[8:9]
	v_fma_f64 v[40:41], v[4:5], v[34:35], v[169:170]
	v_fma_f64 v[34:35], v[2:3], v[34:35], -v[36:37]
	v_add_f64_e32 v[30:31], v[30:31], v[22:23]
	v_add_f64_e32 v[32:33], v[32:33], v[24:25]
	ds_load_b128 v[2:5], v1 offset:1808
	ds_load_b128 v[22:25], v1 offset:1824
	v_fma_f64 v[28:29], v[28:29], v[6:7], v[38:39]
	v_fma_f64 v[6:7], v[26:27], v[6:7], -v[8:9]
	s_wait_loadcnt_dscnt 0x201
	v_mul_f64_e32 v[36:37], v[2:3], v[12:13]
	v_mul_f64_e32 v[12:13], v[4:5], v[12:13]
	v_add_f64_e32 v[8:9], v[30:31], v[34:35]
	v_add_f64_e32 v[26:27], v[32:33], v[40:41]
	s_wait_loadcnt_dscnt 0x100
	v_mul_f64_e32 v[30:31], v[22:23], v[16:17]
	v_mul_f64_e32 v[16:17], v[24:25], v[16:17]
	v_fma_f64 v[32:33], v[4:5], v[10:11], v[36:37]
	v_fma_f64 v[10:11], v[2:3], v[10:11], -v[12:13]
	ds_load_b128 v[2:5], v1 offset:1840
	v_add_f64_e32 v[6:7], v[8:9], v[6:7]
	v_add_f64_e32 v[8:9], v[26:27], v[28:29]
	v_fma_f64 v[24:25], v[24:25], v[14:15], v[30:31]
	v_fma_f64 v[14:15], v[22:23], v[14:15], -v[16:17]
	s_wait_loadcnt_dscnt 0x0
	v_mul_f64_e32 v[12:13], v[2:3], v[20:21]
	v_mul_f64_e32 v[20:21], v[4:5], v[20:21]
	v_add_f64_e32 v[6:7], v[6:7], v[10:11]
	v_add_f64_e32 v[8:9], v[8:9], v[32:33]
	s_delay_alu instid0(VALU_DEP_4) | instskip(NEXT) | instid1(VALU_DEP_4)
	v_fma_f64 v[4:5], v[4:5], v[18:19], v[12:13]
	v_fma_f64 v[2:3], v[2:3], v[18:19], -v[20:21]
	s_delay_alu instid0(VALU_DEP_4) | instskip(NEXT) | instid1(VALU_DEP_4)
	v_add_f64_e32 v[6:7], v[6:7], v[14:15]
	v_add_f64_e32 v[8:9], v[8:9], v[24:25]
	s_delay_alu instid0(VALU_DEP_2) | instskip(NEXT) | instid1(VALU_DEP_2)
	v_add_f64_e32 v[2:3], v[6:7], v[2:3]
	v_add_f64_e32 v[4:5], v[8:9], v[4:5]
	s_delay_alu instid0(VALU_DEP_2) | instskip(NEXT) | instid1(VALU_DEP_2)
	v_add_f64_e64 v[2:3], v[42:43], -v[2:3]
	v_add_f64_e64 v[4:5], v[44:45], -v[4:5]
	scratch_store_b128 off, v[2:5], off offset:688
	v_cmpx_lt_u32_e32 41, v0
	s_cbranch_execz .LBB57_279
; %bb.278:
	scratch_load_b128 v[5:8], off, s11
	v_dual_mov_b32 v2, v1 :: v_dual_mov_b32 v3, v1
	v_mov_b32_e32 v4, v1
	scratch_store_b128 off, v[1:4], off offset:672
	s_wait_loadcnt 0x0
	ds_store_b128 v162, v[5:8]
.LBB57_279:
	s_wait_alu 0xfffe
	s_or_b32 exec_lo, exec_lo, s0
	s_wait_storecnt_dscnt 0x0
	s_barrier_signal -1
	s_barrier_wait -1
	global_inv scope:SCOPE_SE
	s_clause 0x8
	scratch_load_b128 v[2:5], off, off offset:688
	scratch_load_b128 v[6:9], off, off offset:704
	;; [unrolled: 1-line block ×9, first 2 shown]
	ds_load_b128 v[38:41], v1 offset:1600
	ds_load_b128 v[42:45], v1 offset:1616
	s_clause 0x1
	scratch_load_b128 v[163:166], off, off offset:672
	scratch_load_b128 v[167:170], off, off offset:832
	s_mov_b32 s0, exec_lo
	s_wait_loadcnt_dscnt 0xa01
	v_mul_f64_e32 v[171:172], v[40:41], v[4:5]
	v_mul_f64_e32 v[4:5], v[38:39], v[4:5]
	s_wait_loadcnt_dscnt 0x900
	v_mul_f64_e32 v[175:176], v[42:43], v[8:9]
	v_mul_f64_e32 v[8:9], v[44:45], v[8:9]
	s_delay_alu instid0(VALU_DEP_4) | instskip(NEXT) | instid1(VALU_DEP_4)
	v_fma_f64 v[177:178], v[38:39], v[2:3], -v[171:172]
	v_fma_f64 v[179:180], v[40:41], v[2:3], v[4:5]
	ds_load_b128 v[2:5], v1 offset:1632
	ds_load_b128 v[171:174], v1 offset:1648
	scratch_load_b128 v[38:41], off, off offset:848
	v_fma_f64 v[44:45], v[44:45], v[6:7], v[175:176]
	v_fma_f64 v[42:43], v[42:43], v[6:7], -v[8:9]
	scratch_load_b128 v[6:9], off, off offset:864
	s_wait_loadcnt_dscnt 0xa01
	v_mul_f64_e32 v[181:182], v[2:3], v[12:13]
	v_mul_f64_e32 v[12:13], v[4:5], v[12:13]
	v_add_f64_e32 v[175:176], 0, v[177:178]
	v_add_f64_e32 v[177:178], 0, v[179:180]
	s_wait_loadcnt_dscnt 0x900
	v_mul_f64_e32 v[179:180], v[171:172], v[16:17]
	v_mul_f64_e32 v[16:17], v[173:174], v[16:17]
	v_fma_f64 v[181:182], v[4:5], v[10:11], v[181:182]
	v_fma_f64 v[183:184], v[2:3], v[10:11], -v[12:13]
	ds_load_b128 v[2:5], v1 offset:1664
	scratch_load_b128 v[10:13], off, off offset:880
	v_add_f64_e32 v[175:176], v[175:176], v[42:43]
	v_add_f64_e32 v[177:178], v[177:178], v[44:45]
	ds_load_b128 v[42:45], v1 offset:1680
	v_fma_f64 v[173:174], v[173:174], v[14:15], v[179:180]
	v_fma_f64 v[171:172], v[171:172], v[14:15], -v[16:17]
	scratch_load_b128 v[14:17], off, off offset:896
	s_wait_loadcnt_dscnt 0xa01
	v_mul_f64_e32 v[185:186], v[2:3], v[20:21]
	v_mul_f64_e32 v[20:21], v[4:5], v[20:21]
	s_wait_loadcnt_dscnt 0x900
	v_mul_f64_e32 v[179:180], v[42:43], v[24:25]
	v_mul_f64_e32 v[24:25], v[44:45], v[24:25]
	v_add_f64_e32 v[175:176], v[175:176], v[183:184]
	v_add_f64_e32 v[177:178], v[177:178], v[181:182]
	v_fma_f64 v[181:182], v[4:5], v[18:19], v[185:186]
	v_fma_f64 v[183:184], v[2:3], v[18:19], -v[20:21]
	ds_load_b128 v[2:5], v1 offset:1696
	scratch_load_b128 v[18:21], off, off offset:912
	v_fma_f64 v[44:45], v[44:45], v[22:23], v[179:180]
	v_fma_f64 v[42:43], v[42:43], v[22:23], -v[24:25]
	scratch_load_b128 v[22:25], off, off offset:928
	v_add_f64_e32 v[175:176], v[175:176], v[171:172]
	v_add_f64_e32 v[177:178], v[177:178], v[173:174]
	ds_load_b128 v[171:174], v1 offset:1712
	s_wait_loadcnt_dscnt 0xa01
	v_mul_f64_e32 v[185:186], v[2:3], v[28:29]
	v_mul_f64_e32 v[28:29], v[4:5], v[28:29]
	s_wait_loadcnt_dscnt 0x900
	v_mul_f64_e32 v[179:180], v[171:172], v[32:33]
	v_mul_f64_e32 v[32:33], v[173:174], v[32:33]
	v_add_f64_e32 v[175:176], v[175:176], v[183:184]
	v_add_f64_e32 v[177:178], v[177:178], v[181:182]
	v_fma_f64 v[181:182], v[4:5], v[26:27], v[185:186]
	v_fma_f64 v[183:184], v[2:3], v[26:27], -v[28:29]
	ds_load_b128 v[2:5], v1 offset:1728
	ds_load_b128 v[26:29], v1 offset:1744
	v_fma_f64 v[173:174], v[173:174], v[30:31], v[179:180]
	v_fma_f64 v[30:31], v[171:172], v[30:31], -v[32:33]
	v_add_f64_e32 v[42:43], v[175:176], v[42:43]
	v_add_f64_e32 v[44:45], v[177:178], v[44:45]
	s_wait_loadcnt_dscnt 0x801
	v_mul_f64_e32 v[175:176], v[2:3], v[36:37]
	v_mul_f64_e32 v[36:37], v[4:5], v[36:37]
	s_delay_alu instid0(VALU_DEP_4) | instskip(NEXT) | instid1(VALU_DEP_4)
	v_add_f64_e32 v[32:33], v[42:43], v[183:184]
	v_add_f64_e32 v[42:43], v[44:45], v[181:182]
	s_wait_loadcnt_dscnt 0x600
	v_mul_f64_e32 v[44:45], v[26:27], v[169:170]
	v_mul_f64_e32 v[169:170], v[28:29], v[169:170]
	v_fma_f64 v[171:172], v[4:5], v[34:35], v[175:176]
	v_fma_f64 v[34:35], v[2:3], v[34:35], -v[36:37]
	v_add_f64_e32 v[36:37], v[32:33], v[30:31]
	v_add_f64_e32 v[42:43], v[42:43], v[173:174]
	ds_load_b128 v[2:5], v1 offset:1760
	ds_load_b128 v[30:33], v1 offset:1776
	v_fma_f64 v[28:29], v[28:29], v[167:168], v[44:45]
	v_fma_f64 v[26:27], v[26:27], v[167:168], -v[169:170]
	s_wait_loadcnt_dscnt 0x501
	v_mul_f64_e32 v[173:174], v[2:3], v[40:41]
	v_mul_f64_e32 v[40:41], v[4:5], v[40:41]
	v_add_f64_e32 v[34:35], v[36:37], v[34:35]
	v_add_f64_e32 v[36:37], v[42:43], v[171:172]
	s_wait_loadcnt_dscnt 0x400
	v_mul_f64_e32 v[42:43], v[30:31], v[8:9]
	v_mul_f64_e32 v[8:9], v[32:33], v[8:9]
	v_fma_f64 v[44:45], v[4:5], v[38:39], v[173:174]
	v_fma_f64 v[38:39], v[2:3], v[38:39], -v[40:41]
	v_add_f64_e32 v[34:35], v[34:35], v[26:27]
	v_add_f64_e32 v[36:37], v[36:37], v[28:29]
	ds_load_b128 v[2:5], v1 offset:1792
	ds_load_b128 v[26:29], v1 offset:1808
	v_fma_f64 v[32:33], v[32:33], v[6:7], v[42:43]
	v_fma_f64 v[6:7], v[30:31], v[6:7], -v[8:9]
	s_wait_loadcnt_dscnt 0x301
	v_mul_f64_e32 v[40:41], v[2:3], v[12:13]
	v_mul_f64_e32 v[12:13], v[4:5], v[12:13]
	;; [unrolled: 16-line block ×3, first 2 shown]
	s_wait_loadcnt_dscnt 0x0
	v_mul_f64_e32 v[16:17], v[6:7], v[24:25]
	v_mul_f64_e32 v[24:25], v[8:9], v[24:25]
	v_add_f64_e32 v[10:11], v[12:13], v[10:11]
	v_add_f64_e32 v[12:13], v[30:31], v[36:37]
	v_fma_f64 v[4:5], v[4:5], v[18:19], v[32:33]
	v_fma_f64 v[1:2], v[2:3], v[18:19], -v[20:21]
	v_fma_f64 v[8:9], v[8:9], v[22:23], v[16:17]
	v_fma_f64 v[6:7], v[6:7], v[22:23], -v[24:25]
	v_add_f64_e32 v[10:11], v[10:11], v[14:15]
	v_add_f64_e32 v[12:13], v[12:13], v[28:29]
	s_delay_alu instid0(VALU_DEP_2) | instskip(NEXT) | instid1(VALU_DEP_2)
	v_add_f64_e32 v[1:2], v[10:11], v[1:2]
	v_add_f64_e32 v[3:4], v[12:13], v[4:5]
	s_delay_alu instid0(VALU_DEP_2) | instskip(NEXT) | instid1(VALU_DEP_2)
	;; [unrolled: 3-line block ×3, first 2 shown]
	v_add_f64_e64 v[1:2], v[163:164], -v[1:2]
	v_add_f64_e64 v[3:4], v[165:166], -v[3:4]
	scratch_store_b128 off, v[1:4], off offset:672
	v_cmpx_lt_u32_e32 40, v0
	s_cbranch_execz .LBB57_281
; %bb.280:
	scratch_load_b128 v[1:4], off, s14
	v_mov_b32_e32 v5, 0
	s_delay_alu instid0(VALU_DEP_1)
	v_dual_mov_b32 v6, v5 :: v_dual_mov_b32 v7, v5
	v_mov_b32_e32 v8, v5
	scratch_store_b128 off, v[5:8], off offset:656
	s_wait_loadcnt 0x0
	ds_store_b128 v162, v[1:4]
.LBB57_281:
	s_wait_alu 0xfffe
	s_or_b32 exec_lo, exec_lo, s0
	s_wait_storecnt_dscnt 0x0
	s_barrier_signal -1
	s_barrier_wait -1
	global_inv scope:SCOPE_SE
	s_clause 0x7
	scratch_load_b128 v[2:5], off, off offset:672
	scratch_load_b128 v[6:9], off, off offset:688
	;; [unrolled: 1-line block ×8, first 2 shown]
	v_mov_b32_e32 v1, 0
	s_mov_b32 s0, exec_lo
	ds_load_b128 v[34:37], v1 offset:1584
	s_clause 0x1
	scratch_load_b128 v[38:41], off, off offset:800
	scratch_load_b128 v[42:45], off, off offset:656
	ds_load_b128 v[163:166], v1 offset:1600
	scratch_load_b128 v[167:170], off, off offset:816
	s_wait_loadcnt_dscnt 0xa01
	v_mul_f64_e32 v[171:172], v[36:37], v[4:5]
	v_mul_f64_e32 v[4:5], v[34:35], v[4:5]
	s_delay_alu instid0(VALU_DEP_2) | instskip(NEXT) | instid1(VALU_DEP_2)
	v_fma_f64 v[177:178], v[34:35], v[2:3], -v[171:172]
	v_fma_f64 v[179:180], v[36:37], v[2:3], v[4:5]
	ds_load_b128 v[2:5], v1 offset:1616
	s_wait_loadcnt_dscnt 0x901
	v_mul_f64_e32 v[175:176], v[163:164], v[8:9]
	v_mul_f64_e32 v[8:9], v[165:166], v[8:9]
	scratch_load_b128 v[34:37], off, off offset:832
	ds_load_b128 v[171:174], v1 offset:1632
	s_wait_loadcnt_dscnt 0x901
	v_mul_f64_e32 v[181:182], v[2:3], v[12:13]
	v_mul_f64_e32 v[12:13], v[4:5], v[12:13]
	v_fma_f64 v[165:166], v[165:166], v[6:7], v[175:176]
	v_fma_f64 v[163:164], v[163:164], v[6:7], -v[8:9]
	v_add_f64_e32 v[175:176], 0, v[177:178]
	v_add_f64_e32 v[177:178], 0, v[179:180]
	scratch_load_b128 v[6:9], off, off offset:848
	v_fma_f64 v[181:182], v[4:5], v[10:11], v[181:182]
	v_fma_f64 v[183:184], v[2:3], v[10:11], -v[12:13]
	ds_load_b128 v[2:5], v1 offset:1648
	s_wait_loadcnt_dscnt 0x901
	v_mul_f64_e32 v[179:180], v[171:172], v[16:17]
	v_mul_f64_e32 v[16:17], v[173:174], v[16:17]
	scratch_load_b128 v[10:13], off, off offset:864
	v_add_f64_e32 v[175:176], v[175:176], v[163:164]
	v_add_f64_e32 v[177:178], v[177:178], v[165:166]
	s_wait_loadcnt_dscnt 0x900
	v_mul_f64_e32 v[185:186], v[2:3], v[20:21]
	v_mul_f64_e32 v[20:21], v[4:5], v[20:21]
	ds_load_b128 v[163:166], v1 offset:1664
	v_fma_f64 v[173:174], v[173:174], v[14:15], v[179:180]
	v_fma_f64 v[171:172], v[171:172], v[14:15], -v[16:17]
	scratch_load_b128 v[14:17], off, off offset:880
	v_add_f64_e32 v[175:176], v[175:176], v[183:184]
	v_add_f64_e32 v[177:178], v[177:178], v[181:182]
	v_fma_f64 v[181:182], v[4:5], v[18:19], v[185:186]
	v_fma_f64 v[183:184], v[2:3], v[18:19], -v[20:21]
	ds_load_b128 v[2:5], v1 offset:1680
	s_wait_loadcnt_dscnt 0x901
	v_mul_f64_e32 v[179:180], v[163:164], v[24:25]
	v_mul_f64_e32 v[24:25], v[165:166], v[24:25]
	scratch_load_b128 v[18:21], off, off offset:896
	s_wait_loadcnt_dscnt 0x900
	v_mul_f64_e32 v[185:186], v[2:3], v[28:29]
	v_mul_f64_e32 v[28:29], v[4:5], v[28:29]
	v_add_f64_e32 v[175:176], v[175:176], v[171:172]
	v_add_f64_e32 v[177:178], v[177:178], v[173:174]
	ds_load_b128 v[171:174], v1 offset:1696
	v_fma_f64 v[165:166], v[165:166], v[22:23], v[179:180]
	v_fma_f64 v[163:164], v[163:164], v[22:23], -v[24:25]
	scratch_load_b128 v[22:25], off, off offset:912
	v_add_f64_e32 v[175:176], v[175:176], v[183:184]
	v_add_f64_e32 v[177:178], v[177:178], v[181:182]
	v_fma_f64 v[181:182], v[4:5], v[26:27], v[185:186]
	v_fma_f64 v[183:184], v[2:3], v[26:27], -v[28:29]
	ds_load_b128 v[2:5], v1 offset:1712
	s_wait_loadcnt_dscnt 0x901
	v_mul_f64_e32 v[179:180], v[171:172], v[32:33]
	v_mul_f64_e32 v[32:33], v[173:174], v[32:33]
	scratch_load_b128 v[26:29], off, off offset:928
	s_wait_loadcnt_dscnt 0x900
	v_mul_f64_e32 v[185:186], v[2:3], v[40:41]
	v_mul_f64_e32 v[40:41], v[4:5], v[40:41]
	v_add_f64_e32 v[175:176], v[175:176], v[163:164]
	v_add_f64_e32 v[177:178], v[177:178], v[165:166]
	ds_load_b128 v[163:166], v1 offset:1728
	v_fma_f64 v[173:174], v[173:174], v[30:31], v[179:180]
	v_fma_f64 v[30:31], v[171:172], v[30:31], -v[32:33]
	v_add_f64_e32 v[32:33], v[175:176], v[183:184]
	v_add_f64_e32 v[171:172], v[177:178], v[181:182]
	s_wait_loadcnt_dscnt 0x700
	v_mul_f64_e32 v[175:176], v[163:164], v[169:170]
	v_mul_f64_e32 v[169:170], v[165:166], v[169:170]
	v_fma_f64 v[177:178], v[4:5], v[38:39], v[185:186]
	v_fma_f64 v[38:39], v[2:3], v[38:39], -v[40:41]
	v_add_f64_e32 v[40:41], v[32:33], v[30:31]
	v_add_f64_e32 v[171:172], v[171:172], v[173:174]
	ds_load_b128 v[2:5], v1 offset:1744
	ds_load_b128 v[30:33], v1 offset:1760
	v_fma_f64 v[165:166], v[165:166], v[167:168], v[175:176]
	v_fma_f64 v[163:164], v[163:164], v[167:168], -v[169:170]
	s_wait_loadcnt_dscnt 0x601
	v_mul_f64_e32 v[173:174], v[2:3], v[36:37]
	v_mul_f64_e32 v[36:37], v[4:5], v[36:37]
	v_add_f64_e32 v[38:39], v[40:41], v[38:39]
	v_add_f64_e32 v[40:41], v[171:172], v[177:178]
	s_wait_loadcnt_dscnt 0x500
	v_mul_f64_e32 v[167:168], v[30:31], v[8:9]
	v_mul_f64_e32 v[8:9], v[32:33], v[8:9]
	v_fma_f64 v[169:170], v[4:5], v[34:35], v[173:174]
	v_fma_f64 v[171:172], v[2:3], v[34:35], -v[36:37]
	ds_load_b128 v[2:5], v1 offset:1776
	ds_load_b128 v[34:37], v1 offset:1792
	v_add_f64_e32 v[38:39], v[38:39], v[163:164]
	v_add_f64_e32 v[40:41], v[40:41], v[165:166]
	s_wait_loadcnt_dscnt 0x401
	v_mul_f64_e32 v[163:164], v[2:3], v[12:13]
	v_mul_f64_e32 v[12:13], v[4:5], v[12:13]
	v_fma_f64 v[32:33], v[32:33], v[6:7], v[167:168]
	v_fma_f64 v[6:7], v[30:31], v[6:7], -v[8:9]
	v_add_f64_e32 v[8:9], v[38:39], v[171:172]
	v_add_f64_e32 v[30:31], v[40:41], v[169:170]
	s_wait_loadcnt_dscnt 0x300
	v_mul_f64_e32 v[38:39], v[34:35], v[16:17]
	v_mul_f64_e32 v[16:17], v[36:37], v[16:17]
	v_fma_f64 v[40:41], v[4:5], v[10:11], v[163:164]
	v_fma_f64 v[10:11], v[2:3], v[10:11], -v[12:13]
	v_add_f64_e32 v[12:13], v[8:9], v[6:7]
	v_add_f64_e32 v[30:31], v[30:31], v[32:33]
	ds_load_b128 v[2:5], v1 offset:1808
	ds_load_b128 v[6:9], v1 offset:1824
	v_fma_f64 v[36:37], v[36:37], v[14:15], v[38:39]
	v_fma_f64 v[14:15], v[34:35], v[14:15], -v[16:17]
	s_wait_loadcnt_dscnt 0x201
	v_mul_f64_e32 v[32:33], v[2:3], v[20:21]
	v_mul_f64_e32 v[20:21], v[4:5], v[20:21]
	s_wait_loadcnt_dscnt 0x100
	v_mul_f64_e32 v[16:17], v[6:7], v[24:25]
	v_mul_f64_e32 v[24:25], v[8:9], v[24:25]
	v_add_f64_e32 v[10:11], v[12:13], v[10:11]
	v_add_f64_e32 v[12:13], v[30:31], v[40:41]
	v_fma_f64 v[30:31], v[4:5], v[18:19], v[32:33]
	v_fma_f64 v[18:19], v[2:3], v[18:19], -v[20:21]
	ds_load_b128 v[2:5], v1 offset:1840
	v_fma_f64 v[8:9], v[8:9], v[22:23], v[16:17]
	v_fma_f64 v[6:7], v[6:7], v[22:23], -v[24:25]
	v_add_f64_e32 v[10:11], v[10:11], v[14:15]
	v_add_f64_e32 v[12:13], v[12:13], v[36:37]
	s_wait_loadcnt_dscnt 0x0
	v_mul_f64_e32 v[14:15], v[2:3], v[28:29]
	v_mul_f64_e32 v[20:21], v[4:5], v[28:29]
	s_delay_alu instid0(VALU_DEP_4) | instskip(NEXT) | instid1(VALU_DEP_4)
	v_add_f64_e32 v[10:11], v[10:11], v[18:19]
	v_add_f64_e32 v[12:13], v[12:13], v[30:31]
	s_delay_alu instid0(VALU_DEP_4) | instskip(NEXT) | instid1(VALU_DEP_4)
	v_fma_f64 v[4:5], v[4:5], v[26:27], v[14:15]
	v_fma_f64 v[2:3], v[2:3], v[26:27], -v[20:21]
	s_delay_alu instid0(VALU_DEP_4) | instskip(NEXT) | instid1(VALU_DEP_4)
	v_add_f64_e32 v[6:7], v[10:11], v[6:7]
	v_add_f64_e32 v[8:9], v[12:13], v[8:9]
	s_delay_alu instid0(VALU_DEP_2) | instskip(NEXT) | instid1(VALU_DEP_2)
	v_add_f64_e32 v[2:3], v[6:7], v[2:3]
	v_add_f64_e32 v[4:5], v[8:9], v[4:5]
	s_delay_alu instid0(VALU_DEP_2) | instskip(NEXT) | instid1(VALU_DEP_2)
	v_add_f64_e64 v[2:3], v[42:43], -v[2:3]
	v_add_f64_e64 v[4:5], v[44:45], -v[4:5]
	scratch_store_b128 off, v[2:5], off offset:656
	v_cmpx_lt_u32_e32 39, v0
	s_cbranch_execz .LBB57_283
; %bb.282:
	scratch_load_b128 v[5:8], off, s13
	v_dual_mov_b32 v2, v1 :: v_dual_mov_b32 v3, v1
	v_mov_b32_e32 v4, v1
	scratch_store_b128 off, v[1:4], off offset:640
	s_wait_loadcnt 0x0
	ds_store_b128 v162, v[5:8]
.LBB57_283:
	s_wait_alu 0xfffe
	s_or_b32 exec_lo, exec_lo, s0
	s_wait_storecnt_dscnt 0x0
	s_barrier_signal -1
	s_barrier_wait -1
	global_inv scope:SCOPE_SE
	s_clause 0x8
	scratch_load_b128 v[2:5], off, off offset:656
	scratch_load_b128 v[6:9], off, off offset:672
	scratch_load_b128 v[10:13], off, off offset:688
	scratch_load_b128 v[14:17], off, off offset:704
	scratch_load_b128 v[18:21], off, off offset:720
	scratch_load_b128 v[22:25], off, off offset:736
	scratch_load_b128 v[26:29], off, off offset:752
	scratch_load_b128 v[30:33], off, off offset:768
	scratch_load_b128 v[34:37], off, off offset:784
	ds_load_b128 v[38:41], v1 offset:1568
	ds_load_b128 v[42:45], v1 offset:1584
	s_clause 0x1
	scratch_load_b128 v[163:166], off, off offset:640
	scratch_load_b128 v[167:170], off, off offset:800
	s_mov_b32 s0, exec_lo
	s_wait_loadcnt_dscnt 0xa01
	v_mul_f64_e32 v[171:172], v[40:41], v[4:5]
	v_mul_f64_e32 v[4:5], v[38:39], v[4:5]
	s_wait_loadcnt_dscnt 0x900
	v_mul_f64_e32 v[175:176], v[42:43], v[8:9]
	v_mul_f64_e32 v[8:9], v[44:45], v[8:9]
	s_delay_alu instid0(VALU_DEP_4) | instskip(NEXT) | instid1(VALU_DEP_4)
	v_fma_f64 v[177:178], v[38:39], v[2:3], -v[171:172]
	v_fma_f64 v[179:180], v[40:41], v[2:3], v[4:5]
	ds_load_b128 v[2:5], v1 offset:1600
	ds_load_b128 v[171:174], v1 offset:1616
	scratch_load_b128 v[38:41], off, off offset:816
	v_fma_f64 v[44:45], v[44:45], v[6:7], v[175:176]
	v_fma_f64 v[42:43], v[42:43], v[6:7], -v[8:9]
	scratch_load_b128 v[6:9], off, off offset:832
	s_wait_loadcnt_dscnt 0xa01
	v_mul_f64_e32 v[181:182], v[2:3], v[12:13]
	v_mul_f64_e32 v[12:13], v[4:5], v[12:13]
	v_add_f64_e32 v[175:176], 0, v[177:178]
	v_add_f64_e32 v[177:178], 0, v[179:180]
	s_wait_loadcnt_dscnt 0x900
	v_mul_f64_e32 v[179:180], v[171:172], v[16:17]
	v_mul_f64_e32 v[16:17], v[173:174], v[16:17]
	v_fma_f64 v[181:182], v[4:5], v[10:11], v[181:182]
	v_fma_f64 v[183:184], v[2:3], v[10:11], -v[12:13]
	ds_load_b128 v[2:5], v1 offset:1632
	scratch_load_b128 v[10:13], off, off offset:848
	v_add_f64_e32 v[175:176], v[175:176], v[42:43]
	v_add_f64_e32 v[177:178], v[177:178], v[44:45]
	ds_load_b128 v[42:45], v1 offset:1648
	v_fma_f64 v[173:174], v[173:174], v[14:15], v[179:180]
	v_fma_f64 v[171:172], v[171:172], v[14:15], -v[16:17]
	scratch_load_b128 v[14:17], off, off offset:864
	s_wait_loadcnt_dscnt 0xa01
	v_mul_f64_e32 v[185:186], v[2:3], v[20:21]
	v_mul_f64_e32 v[20:21], v[4:5], v[20:21]
	s_wait_loadcnt_dscnt 0x900
	v_mul_f64_e32 v[179:180], v[42:43], v[24:25]
	v_mul_f64_e32 v[24:25], v[44:45], v[24:25]
	v_add_f64_e32 v[175:176], v[175:176], v[183:184]
	v_add_f64_e32 v[177:178], v[177:178], v[181:182]
	v_fma_f64 v[181:182], v[4:5], v[18:19], v[185:186]
	v_fma_f64 v[183:184], v[2:3], v[18:19], -v[20:21]
	ds_load_b128 v[2:5], v1 offset:1664
	scratch_load_b128 v[18:21], off, off offset:880
	v_fma_f64 v[44:45], v[44:45], v[22:23], v[179:180]
	v_fma_f64 v[42:43], v[42:43], v[22:23], -v[24:25]
	scratch_load_b128 v[22:25], off, off offset:896
	v_add_f64_e32 v[175:176], v[175:176], v[171:172]
	v_add_f64_e32 v[177:178], v[177:178], v[173:174]
	ds_load_b128 v[171:174], v1 offset:1680
	s_wait_loadcnt_dscnt 0xa01
	v_mul_f64_e32 v[185:186], v[2:3], v[28:29]
	v_mul_f64_e32 v[28:29], v[4:5], v[28:29]
	s_wait_loadcnt_dscnt 0x900
	v_mul_f64_e32 v[179:180], v[171:172], v[32:33]
	v_mul_f64_e32 v[32:33], v[173:174], v[32:33]
	v_add_f64_e32 v[175:176], v[175:176], v[183:184]
	v_add_f64_e32 v[177:178], v[177:178], v[181:182]
	v_fma_f64 v[181:182], v[4:5], v[26:27], v[185:186]
	v_fma_f64 v[183:184], v[2:3], v[26:27], -v[28:29]
	ds_load_b128 v[2:5], v1 offset:1696
	scratch_load_b128 v[26:29], off, off offset:912
	v_fma_f64 v[173:174], v[173:174], v[30:31], v[179:180]
	v_fma_f64 v[171:172], v[171:172], v[30:31], -v[32:33]
	scratch_load_b128 v[30:33], off, off offset:928
	v_add_f64_e32 v[175:176], v[175:176], v[42:43]
	v_add_f64_e32 v[177:178], v[177:178], v[44:45]
	ds_load_b128 v[42:45], v1 offset:1712
	s_wait_loadcnt_dscnt 0xa01
	v_mul_f64_e32 v[185:186], v[2:3], v[36:37]
	v_mul_f64_e32 v[36:37], v[4:5], v[36:37]
	s_wait_loadcnt_dscnt 0x800
	v_mul_f64_e32 v[179:180], v[42:43], v[169:170]
	v_mul_f64_e32 v[169:170], v[44:45], v[169:170]
	v_add_f64_e32 v[175:176], v[175:176], v[183:184]
	v_add_f64_e32 v[177:178], v[177:178], v[181:182]
	v_fma_f64 v[181:182], v[4:5], v[34:35], v[185:186]
	v_fma_f64 v[183:184], v[2:3], v[34:35], -v[36:37]
	ds_load_b128 v[2:5], v1 offset:1728
	ds_load_b128 v[34:37], v1 offset:1744
	v_fma_f64 v[44:45], v[44:45], v[167:168], v[179:180]
	v_fma_f64 v[42:43], v[42:43], v[167:168], -v[169:170]
	v_add_f64_e32 v[171:172], v[175:176], v[171:172]
	v_add_f64_e32 v[173:174], v[177:178], v[173:174]
	s_wait_loadcnt_dscnt 0x701
	v_mul_f64_e32 v[175:176], v[2:3], v[40:41]
	v_mul_f64_e32 v[40:41], v[4:5], v[40:41]
	s_delay_alu instid0(VALU_DEP_4) | instskip(NEXT) | instid1(VALU_DEP_4)
	v_add_f64_e32 v[167:168], v[171:172], v[183:184]
	v_add_f64_e32 v[169:170], v[173:174], v[181:182]
	s_wait_loadcnt_dscnt 0x600
	v_mul_f64_e32 v[171:172], v[34:35], v[8:9]
	v_mul_f64_e32 v[8:9], v[36:37], v[8:9]
	v_fma_f64 v[173:174], v[4:5], v[38:39], v[175:176]
	v_fma_f64 v[175:176], v[2:3], v[38:39], -v[40:41]
	ds_load_b128 v[2:5], v1 offset:1760
	ds_load_b128 v[38:41], v1 offset:1776
	v_add_f64_e32 v[42:43], v[167:168], v[42:43]
	v_add_f64_e32 v[44:45], v[169:170], v[44:45]
	v_fma_f64 v[36:37], v[36:37], v[6:7], v[171:172]
	s_wait_loadcnt_dscnt 0x501
	v_mul_f64_e32 v[167:168], v[2:3], v[12:13]
	v_mul_f64_e32 v[12:13], v[4:5], v[12:13]
	v_fma_f64 v[6:7], v[34:35], v[6:7], -v[8:9]
	v_add_f64_e32 v[8:9], v[42:43], v[175:176]
	v_add_f64_e32 v[34:35], v[44:45], v[173:174]
	s_wait_loadcnt_dscnt 0x400
	v_mul_f64_e32 v[42:43], v[38:39], v[16:17]
	v_mul_f64_e32 v[16:17], v[40:41], v[16:17]
	v_fma_f64 v[44:45], v[4:5], v[10:11], v[167:168]
	v_fma_f64 v[10:11], v[2:3], v[10:11], -v[12:13]
	v_add_f64_e32 v[12:13], v[8:9], v[6:7]
	v_add_f64_e32 v[34:35], v[34:35], v[36:37]
	ds_load_b128 v[2:5], v1 offset:1792
	ds_load_b128 v[6:9], v1 offset:1808
	v_fma_f64 v[40:41], v[40:41], v[14:15], v[42:43]
	v_fma_f64 v[14:15], v[38:39], v[14:15], -v[16:17]
	s_wait_loadcnt_dscnt 0x301
	v_mul_f64_e32 v[36:37], v[2:3], v[20:21]
	v_mul_f64_e32 v[20:21], v[4:5], v[20:21]
	s_wait_loadcnt_dscnt 0x200
	v_mul_f64_e32 v[16:17], v[6:7], v[24:25]
	v_mul_f64_e32 v[24:25], v[8:9], v[24:25]
	v_add_f64_e32 v[10:11], v[12:13], v[10:11]
	v_add_f64_e32 v[12:13], v[34:35], v[44:45]
	v_fma_f64 v[34:35], v[4:5], v[18:19], v[36:37]
	v_fma_f64 v[18:19], v[2:3], v[18:19], -v[20:21]
	v_fma_f64 v[8:9], v[8:9], v[22:23], v[16:17]
	v_fma_f64 v[6:7], v[6:7], v[22:23], -v[24:25]
	v_add_f64_e32 v[14:15], v[10:11], v[14:15]
	v_add_f64_e32 v[20:21], v[12:13], v[40:41]
	ds_load_b128 v[2:5], v1 offset:1824
	ds_load_b128 v[10:13], v1 offset:1840
	s_wait_loadcnt_dscnt 0x101
	v_mul_f64_e32 v[36:37], v[2:3], v[28:29]
	v_mul_f64_e32 v[28:29], v[4:5], v[28:29]
	v_add_f64_e32 v[14:15], v[14:15], v[18:19]
	v_add_f64_e32 v[16:17], v[20:21], v[34:35]
	s_wait_loadcnt_dscnt 0x0
	v_mul_f64_e32 v[18:19], v[10:11], v[32:33]
	v_mul_f64_e32 v[20:21], v[12:13], v[32:33]
	v_fma_f64 v[4:5], v[4:5], v[26:27], v[36:37]
	v_fma_f64 v[1:2], v[2:3], v[26:27], -v[28:29]
	v_add_f64_e32 v[6:7], v[14:15], v[6:7]
	v_add_f64_e32 v[8:9], v[16:17], v[8:9]
	v_fma_f64 v[12:13], v[12:13], v[30:31], v[18:19]
	v_fma_f64 v[10:11], v[10:11], v[30:31], -v[20:21]
	s_delay_alu instid0(VALU_DEP_4) | instskip(NEXT) | instid1(VALU_DEP_4)
	v_add_f64_e32 v[1:2], v[6:7], v[1:2]
	v_add_f64_e32 v[3:4], v[8:9], v[4:5]
	s_delay_alu instid0(VALU_DEP_2) | instskip(NEXT) | instid1(VALU_DEP_2)
	v_add_f64_e32 v[1:2], v[1:2], v[10:11]
	v_add_f64_e32 v[3:4], v[3:4], v[12:13]
	s_delay_alu instid0(VALU_DEP_2) | instskip(NEXT) | instid1(VALU_DEP_2)
	v_add_f64_e64 v[1:2], v[163:164], -v[1:2]
	v_add_f64_e64 v[3:4], v[165:166], -v[3:4]
	scratch_store_b128 off, v[1:4], off offset:640
	v_cmpx_lt_u32_e32 38, v0
	s_cbranch_execz .LBB57_285
; %bb.284:
	scratch_load_b128 v[1:4], off, s19
	v_mov_b32_e32 v5, 0
	s_delay_alu instid0(VALU_DEP_1)
	v_dual_mov_b32 v6, v5 :: v_dual_mov_b32 v7, v5
	v_mov_b32_e32 v8, v5
	scratch_store_b128 off, v[5:8], off offset:624
	s_wait_loadcnt 0x0
	ds_store_b128 v162, v[1:4]
.LBB57_285:
	s_wait_alu 0xfffe
	s_or_b32 exec_lo, exec_lo, s0
	s_wait_storecnt_dscnt 0x0
	s_barrier_signal -1
	s_barrier_wait -1
	global_inv scope:SCOPE_SE
	s_clause 0x7
	scratch_load_b128 v[2:5], off, off offset:640
	scratch_load_b128 v[6:9], off, off offset:656
	;; [unrolled: 1-line block ×8, first 2 shown]
	v_mov_b32_e32 v1, 0
	s_mov_b32 s0, exec_lo
	ds_load_b128 v[34:37], v1 offset:1552
	s_clause 0x1
	scratch_load_b128 v[38:41], off, off offset:768
	scratch_load_b128 v[42:45], off, off offset:624
	ds_load_b128 v[163:166], v1 offset:1568
	scratch_load_b128 v[167:170], off, off offset:784
	s_wait_loadcnt_dscnt 0xa01
	v_mul_f64_e32 v[171:172], v[36:37], v[4:5]
	v_mul_f64_e32 v[4:5], v[34:35], v[4:5]
	s_delay_alu instid0(VALU_DEP_2) | instskip(NEXT) | instid1(VALU_DEP_2)
	v_fma_f64 v[177:178], v[34:35], v[2:3], -v[171:172]
	v_fma_f64 v[179:180], v[36:37], v[2:3], v[4:5]
	ds_load_b128 v[2:5], v1 offset:1584
	s_wait_loadcnt_dscnt 0x901
	v_mul_f64_e32 v[175:176], v[163:164], v[8:9]
	v_mul_f64_e32 v[8:9], v[165:166], v[8:9]
	scratch_load_b128 v[34:37], off, off offset:800
	ds_load_b128 v[171:174], v1 offset:1600
	s_wait_loadcnt_dscnt 0x901
	v_mul_f64_e32 v[181:182], v[2:3], v[12:13]
	v_mul_f64_e32 v[12:13], v[4:5], v[12:13]
	v_fma_f64 v[165:166], v[165:166], v[6:7], v[175:176]
	v_fma_f64 v[163:164], v[163:164], v[6:7], -v[8:9]
	v_add_f64_e32 v[175:176], 0, v[177:178]
	v_add_f64_e32 v[177:178], 0, v[179:180]
	scratch_load_b128 v[6:9], off, off offset:816
	v_fma_f64 v[181:182], v[4:5], v[10:11], v[181:182]
	v_fma_f64 v[183:184], v[2:3], v[10:11], -v[12:13]
	ds_load_b128 v[2:5], v1 offset:1616
	s_wait_loadcnt_dscnt 0x901
	v_mul_f64_e32 v[179:180], v[171:172], v[16:17]
	v_mul_f64_e32 v[16:17], v[173:174], v[16:17]
	scratch_load_b128 v[10:13], off, off offset:832
	v_add_f64_e32 v[175:176], v[175:176], v[163:164]
	v_add_f64_e32 v[177:178], v[177:178], v[165:166]
	s_wait_loadcnt_dscnt 0x900
	v_mul_f64_e32 v[185:186], v[2:3], v[20:21]
	v_mul_f64_e32 v[20:21], v[4:5], v[20:21]
	ds_load_b128 v[163:166], v1 offset:1632
	v_fma_f64 v[173:174], v[173:174], v[14:15], v[179:180]
	v_fma_f64 v[171:172], v[171:172], v[14:15], -v[16:17]
	scratch_load_b128 v[14:17], off, off offset:848
	v_add_f64_e32 v[175:176], v[175:176], v[183:184]
	v_add_f64_e32 v[177:178], v[177:178], v[181:182]
	v_fma_f64 v[181:182], v[4:5], v[18:19], v[185:186]
	v_fma_f64 v[183:184], v[2:3], v[18:19], -v[20:21]
	ds_load_b128 v[2:5], v1 offset:1648
	s_wait_loadcnt_dscnt 0x901
	v_mul_f64_e32 v[179:180], v[163:164], v[24:25]
	v_mul_f64_e32 v[24:25], v[165:166], v[24:25]
	scratch_load_b128 v[18:21], off, off offset:864
	s_wait_loadcnt_dscnt 0x900
	v_mul_f64_e32 v[185:186], v[2:3], v[28:29]
	v_mul_f64_e32 v[28:29], v[4:5], v[28:29]
	v_add_f64_e32 v[175:176], v[175:176], v[171:172]
	v_add_f64_e32 v[177:178], v[177:178], v[173:174]
	ds_load_b128 v[171:174], v1 offset:1664
	v_fma_f64 v[165:166], v[165:166], v[22:23], v[179:180]
	v_fma_f64 v[163:164], v[163:164], v[22:23], -v[24:25]
	scratch_load_b128 v[22:25], off, off offset:880
	v_add_f64_e32 v[175:176], v[175:176], v[183:184]
	v_add_f64_e32 v[177:178], v[177:178], v[181:182]
	v_fma_f64 v[181:182], v[4:5], v[26:27], v[185:186]
	v_fma_f64 v[183:184], v[2:3], v[26:27], -v[28:29]
	ds_load_b128 v[2:5], v1 offset:1680
	s_wait_loadcnt_dscnt 0x901
	v_mul_f64_e32 v[179:180], v[171:172], v[32:33]
	v_mul_f64_e32 v[32:33], v[173:174], v[32:33]
	scratch_load_b128 v[26:29], off, off offset:896
	s_wait_loadcnt_dscnt 0x900
	v_mul_f64_e32 v[185:186], v[2:3], v[40:41]
	v_mul_f64_e32 v[40:41], v[4:5], v[40:41]
	v_add_f64_e32 v[175:176], v[175:176], v[163:164]
	v_add_f64_e32 v[177:178], v[177:178], v[165:166]
	ds_load_b128 v[163:166], v1 offset:1696
	v_fma_f64 v[173:174], v[173:174], v[30:31], v[179:180]
	v_fma_f64 v[171:172], v[171:172], v[30:31], -v[32:33]
	scratch_load_b128 v[30:33], off, off offset:912
	v_add_f64_e32 v[175:176], v[175:176], v[183:184]
	v_add_f64_e32 v[177:178], v[177:178], v[181:182]
	v_fma_f64 v[183:184], v[4:5], v[38:39], v[185:186]
	v_fma_f64 v[185:186], v[2:3], v[38:39], -v[40:41]
	ds_load_b128 v[2:5], v1 offset:1712
	s_wait_loadcnt_dscnt 0x801
	v_mul_f64_e32 v[179:180], v[163:164], v[169:170]
	v_mul_f64_e32 v[181:182], v[165:166], v[169:170]
	scratch_load_b128 v[38:41], off, off offset:928
	v_add_f64_e32 v[175:176], v[175:176], v[171:172]
	v_add_f64_e32 v[173:174], v[177:178], v[173:174]
	ds_load_b128 v[169:172], v1 offset:1728
	v_fma_f64 v[165:166], v[165:166], v[167:168], v[179:180]
	v_fma_f64 v[163:164], v[163:164], v[167:168], -v[181:182]
	s_wait_loadcnt_dscnt 0x801
	v_mul_f64_e32 v[177:178], v[2:3], v[36:37]
	v_mul_f64_e32 v[36:37], v[4:5], v[36:37]
	v_add_f64_e32 v[167:168], v[175:176], v[185:186]
	v_add_f64_e32 v[173:174], v[173:174], v[183:184]
	s_delay_alu instid0(VALU_DEP_4) | instskip(NEXT) | instid1(VALU_DEP_4)
	v_fma_f64 v[177:178], v[4:5], v[34:35], v[177:178]
	v_fma_f64 v[179:180], v[2:3], v[34:35], -v[36:37]
	s_wait_loadcnt_dscnt 0x700
	v_mul_f64_e32 v[175:176], v[169:170], v[8:9]
	v_mul_f64_e32 v[8:9], v[171:172], v[8:9]
	ds_load_b128 v[2:5], v1 offset:1744
	ds_load_b128 v[34:37], v1 offset:1760
	v_add_f64_e32 v[163:164], v[167:168], v[163:164]
	v_add_f64_e32 v[165:166], v[173:174], v[165:166]
	s_wait_loadcnt_dscnt 0x601
	v_mul_f64_e32 v[167:168], v[2:3], v[12:13]
	v_mul_f64_e32 v[12:13], v[4:5], v[12:13]
	v_fma_f64 v[171:172], v[171:172], v[6:7], v[175:176]
	v_fma_f64 v[6:7], v[169:170], v[6:7], -v[8:9]
	v_add_f64_e32 v[8:9], v[163:164], v[179:180]
	v_add_f64_e32 v[163:164], v[165:166], v[177:178]
	s_wait_loadcnt_dscnt 0x500
	v_mul_f64_e32 v[165:166], v[34:35], v[16:17]
	v_mul_f64_e32 v[16:17], v[36:37], v[16:17]
	v_fma_f64 v[167:168], v[4:5], v[10:11], v[167:168]
	v_fma_f64 v[10:11], v[2:3], v[10:11], -v[12:13]
	v_add_f64_e32 v[12:13], v[8:9], v[6:7]
	v_add_f64_e32 v[163:164], v[163:164], v[171:172]
	ds_load_b128 v[2:5], v1 offset:1776
	ds_load_b128 v[6:9], v1 offset:1792
	v_fma_f64 v[36:37], v[36:37], v[14:15], v[165:166]
	v_fma_f64 v[14:15], v[34:35], v[14:15], -v[16:17]
	s_wait_loadcnt_dscnt 0x401
	v_mul_f64_e32 v[169:170], v[2:3], v[20:21]
	v_mul_f64_e32 v[20:21], v[4:5], v[20:21]
	s_wait_loadcnt_dscnt 0x300
	v_mul_f64_e32 v[16:17], v[6:7], v[24:25]
	v_mul_f64_e32 v[24:25], v[8:9], v[24:25]
	v_add_f64_e32 v[10:11], v[12:13], v[10:11]
	v_add_f64_e32 v[12:13], v[163:164], v[167:168]
	v_fma_f64 v[34:35], v[4:5], v[18:19], v[169:170]
	v_fma_f64 v[18:19], v[2:3], v[18:19], -v[20:21]
	v_fma_f64 v[8:9], v[8:9], v[22:23], v[16:17]
	v_fma_f64 v[6:7], v[6:7], v[22:23], -v[24:25]
	v_add_f64_e32 v[14:15], v[10:11], v[14:15]
	v_add_f64_e32 v[20:21], v[12:13], v[36:37]
	ds_load_b128 v[2:5], v1 offset:1808
	ds_load_b128 v[10:13], v1 offset:1824
	s_wait_loadcnt_dscnt 0x201
	v_mul_f64_e32 v[36:37], v[2:3], v[28:29]
	v_mul_f64_e32 v[28:29], v[4:5], v[28:29]
	v_add_f64_e32 v[14:15], v[14:15], v[18:19]
	v_add_f64_e32 v[16:17], v[20:21], v[34:35]
	s_wait_loadcnt_dscnt 0x100
	v_mul_f64_e32 v[18:19], v[10:11], v[32:33]
	v_mul_f64_e32 v[20:21], v[12:13], v[32:33]
	v_fma_f64 v[22:23], v[4:5], v[26:27], v[36:37]
	v_fma_f64 v[24:25], v[2:3], v[26:27], -v[28:29]
	ds_load_b128 v[2:5], v1 offset:1840
	v_add_f64_e32 v[6:7], v[14:15], v[6:7]
	v_add_f64_e32 v[8:9], v[16:17], v[8:9]
	v_fma_f64 v[12:13], v[12:13], v[30:31], v[18:19]
	v_fma_f64 v[10:11], v[10:11], v[30:31], -v[20:21]
	s_wait_loadcnt_dscnt 0x0
	v_mul_f64_e32 v[14:15], v[2:3], v[40:41]
	v_mul_f64_e32 v[16:17], v[4:5], v[40:41]
	v_add_f64_e32 v[6:7], v[6:7], v[24:25]
	v_add_f64_e32 v[8:9], v[8:9], v[22:23]
	s_delay_alu instid0(VALU_DEP_4) | instskip(NEXT) | instid1(VALU_DEP_4)
	v_fma_f64 v[4:5], v[4:5], v[38:39], v[14:15]
	v_fma_f64 v[2:3], v[2:3], v[38:39], -v[16:17]
	s_delay_alu instid0(VALU_DEP_4) | instskip(NEXT) | instid1(VALU_DEP_4)
	v_add_f64_e32 v[6:7], v[6:7], v[10:11]
	v_add_f64_e32 v[8:9], v[8:9], v[12:13]
	s_delay_alu instid0(VALU_DEP_2) | instskip(NEXT) | instid1(VALU_DEP_2)
	v_add_f64_e32 v[2:3], v[6:7], v[2:3]
	v_add_f64_e32 v[4:5], v[8:9], v[4:5]
	s_delay_alu instid0(VALU_DEP_2) | instskip(NEXT) | instid1(VALU_DEP_2)
	v_add_f64_e64 v[2:3], v[42:43], -v[2:3]
	v_add_f64_e64 v[4:5], v[44:45], -v[4:5]
	scratch_store_b128 off, v[2:5], off offset:624
	v_cmpx_lt_u32_e32 37, v0
	s_cbranch_execz .LBB57_287
; %bb.286:
	scratch_load_b128 v[5:8], off, s15
	v_dual_mov_b32 v2, v1 :: v_dual_mov_b32 v3, v1
	v_mov_b32_e32 v4, v1
	scratch_store_b128 off, v[1:4], off offset:608
	s_wait_loadcnt 0x0
	ds_store_b128 v162, v[5:8]
.LBB57_287:
	s_wait_alu 0xfffe
	s_or_b32 exec_lo, exec_lo, s0
	s_wait_storecnt_dscnt 0x0
	s_barrier_signal -1
	s_barrier_wait -1
	global_inv scope:SCOPE_SE
	s_clause 0x8
	scratch_load_b128 v[2:5], off, off offset:624
	scratch_load_b128 v[6:9], off, off offset:640
	;; [unrolled: 1-line block ×9, first 2 shown]
	ds_load_b128 v[38:41], v1 offset:1536
	ds_load_b128 v[42:45], v1 offset:1552
	s_clause 0x1
	scratch_load_b128 v[163:166], off, off offset:608
	scratch_load_b128 v[167:170], off, off offset:768
	s_mov_b32 s0, exec_lo
	s_wait_loadcnt_dscnt 0xa01
	v_mul_f64_e32 v[171:172], v[40:41], v[4:5]
	v_mul_f64_e32 v[4:5], v[38:39], v[4:5]
	s_wait_loadcnt_dscnt 0x900
	v_mul_f64_e32 v[175:176], v[42:43], v[8:9]
	v_mul_f64_e32 v[8:9], v[44:45], v[8:9]
	s_delay_alu instid0(VALU_DEP_4) | instskip(NEXT) | instid1(VALU_DEP_4)
	v_fma_f64 v[177:178], v[38:39], v[2:3], -v[171:172]
	v_fma_f64 v[179:180], v[40:41], v[2:3], v[4:5]
	ds_load_b128 v[2:5], v1 offset:1568
	ds_load_b128 v[171:174], v1 offset:1584
	scratch_load_b128 v[38:41], off, off offset:784
	v_fma_f64 v[44:45], v[44:45], v[6:7], v[175:176]
	v_fma_f64 v[42:43], v[42:43], v[6:7], -v[8:9]
	scratch_load_b128 v[6:9], off, off offset:800
	s_wait_loadcnt_dscnt 0xa01
	v_mul_f64_e32 v[181:182], v[2:3], v[12:13]
	v_mul_f64_e32 v[12:13], v[4:5], v[12:13]
	v_add_f64_e32 v[175:176], 0, v[177:178]
	v_add_f64_e32 v[177:178], 0, v[179:180]
	s_wait_loadcnt_dscnt 0x900
	v_mul_f64_e32 v[179:180], v[171:172], v[16:17]
	v_mul_f64_e32 v[16:17], v[173:174], v[16:17]
	v_fma_f64 v[181:182], v[4:5], v[10:11], v[181:182]
	v_fma_f64 v[183:184], v[2:3], v[10:11], -v[12:13]
	ds_load_b128 v[2:5], v1 offset:1600
	scratch_load_b128 v[10:13], off, off offset:816
	v_add_f64_e32 v[175:176], v[175:176], v[42:43]
	v_add_f64_e32 v[177:178], v[177:178], v[44:45]
	ds_load_b128 v[42:45], v1 offset:1616
	v_fma_f64 v[173:174], v[173:174], v[14:15], v[179:180]
	v_fma_f64 v[171:172], v[171:172], v[14:15], -v[16:17]
	scratch_load_b128 v[14:17], off, off offset:832
	s_wait_loadcnt_dscnt 0xa01
	v_mul_f64_e32 v[185:186], v[2:3], v[20:21]
	v_mul_f64_e32 v[20:21], v[4:5], v[20:21]
	s_wait_loadcnt_dscnt 0x900
	v_mul_f64_e32 v[179:180], v[42:43], v[24:25]
	v_mul_f64_e32 v[24:25], v[44:45], v[24:25]
	v_add_f64_e32 v[175:176], v[175:176], v[183:184]
	v_add_f64_e32 v[177:178], v[177:178], v[181:182]
	v_fma_f64 v[181:182], v[4:5], v[18:19], v[185:186]
	v_fma_f64 v[183:184], v[2:3], v[18:19], -v[20:21]
	ds_load_b128 v[2:5], v1 offset:1632
	scratch_load_b128 v[18:21], off, off offset:848
	v_fma_f64 v[44:45], v[44:45], v[22:23], v[179:180]
	v_fma_f64 v[42:43], v[42:43], v[22:23], -v[24:25]
	scratch_load_b128 v[22:25], off, off offset:864
	v_add_f64_e32 v[175:176], v[175:176], v[171:172]
	v_add_f64_e32 v[177:178], v[177:178], v[173:174]
	ds_load_b128 v[171:174], v1 offset:1648
	s_wait_loadcnt_dscnt 0xa01
	v_mul_f64_e32 v[185:186], v[2:3], v[28:29]
	v_mul_f64_e32 v[28:29], v[4:5], v[28:29]
	s_wait_loadcnt_dscnt 0x900
	v_mul_f64_e32 v[179:180], v[171:172], v[32:33]
	v_mul_f64_e32 v[32:33], v[173:174], v[32:33]
	v_add_f64_e32 v[175:176], v[175:176], v[183:184]
	v_add_f64_e32 v[177:178], v[177:178], v[181:182]
	v_fma_f64 v[181:182], v[4:5], v[26:27], v[185:186]
	v_fma_f64 v[183:184], v[2:3], v[26:27], -v[28:29]
	ds_load_b128 v[2:5], v1 offset:1664
	scratch_load_b128 v[26:29], off, off offset:880
	v_fma_f64 v[173:174], v[173:174], v[30:31], v[179:180]
	v_fma_f64 v[171:172], v[171:172], v[30:31], -v[32:33]
	scratch_load_b128 v[30:33], off, off offset:896
	v_add_f64_e32 v[175:176], v[175:176], v[42:43]
	v_add_f64_e32 v[177:178], v[177:178], v[44:45]
	ds_load_b128 v[42:45], v1 offset:1680
	s_wait_loadcnt_dscnt 0xa01
	v_mul_f64_e32 v[185:186], v[2:3], v[36:37]
	v_mul_f64_e32 v[36:37], v[4:5], v[36:37]
	s_wait_loadcnt_dscnt 0x800
	v_mul_f64_e32 v[179:180], v[42:43], v[169:170]
	v_add_f64_e32 v[175:176], v[175:176], v[183:184]
	v_add_f64_e32 v[177:178], v[177:178], v[181:182]
	v_mul_f64_e32 v[181:182], v[44:45], v[169:170]
	v_fma_f64 v[183:184], v[4:5], v[34:35], v[185:186]
	v_fma_f64 v[185:186], v[2:3], v[34:35], -v[36:37]
	ds_load_b128 v[2:5], v1 offset:1696
	scratch_load_b128 v[34:37], off, off offset:912
	v_fma_f64 v[44:45], v[44:45], v[167:168], v[179:180]
	v_add_f64_e32 v[175:176], v[175:176], v[171:172]
	v_add_f64_e32 v[173:174], v[177:178], v[173:174]
	ds_load_b128 v[169:172], v1 offset:1712
	v_fma_f64 v[167:168], v[42:43], v[167:168], -v[181:182]
	s_wait_loadcnt_dscnt 0x801
	v_mul_f64_e32 v[177:178], v[2:3], v[40:41]
	v_mul_f64_e32 v[187:188], v[4:5], v[40:41]
	scratch_load_b128 v[40:43], off, off offset:928
	s_wait_loadcnt_dscnt 0x800
	v_mul_f64_e32 v[179:180], v[169:170], v[8:9]
	v_mul_f64_e32 v[8:9], v[171:172], v[8:9]
	v_add_f64_e32 v[175:176], v[175:176], v[185:186]
	v_add_f64_e32 v[173:174], v[173:174], v[183:184]
	v_fma_f64 v[177:178], v[4:5], v[38:39], v[177:178]
	v_fma_f64 v[38:39], v[2:3], v[38:39], -v[187:188]
	v_fma_f64 v[171:172], v[171:172], v[6:7], v[179:180]
	v_fma_f64 v[6:7], v[169:170], v[6:7], -v[8:9]
	v_add_f64_e32 v[167:168], v[175:176], v[167:168]
	v_add_f64_e32 v[44:45], v[173:174], v[44:45]
	ds_load_b128 v[2:5], v1 offset:1728
	ds_load_b128 v[173:176], v1 offset:1744
	s_wait_loadcnt_dscnt 0x701
	v_mul_f64_e32 v[181:182], v[2:3], v[12:13]
	v_mul_f64_e32 v[12:13], v[4:5], v[12:13]
	v_add_f64_e32 v[8:9], v[167:168], v[38:39]
	v_add_f64_e32 v[38:39], v[44:45], v[177:178]
	s_wait_loadcnt_dscnt 0x600
	v_mul_f64_e32 v[44:45], v[173:174], v[16:17]
	v_mul_f64_e32 v[16:17], v[175:176], v[16:17]
	v_fma_f64 v[167:168], v[4:5], v[10:11], v[181:182]
	v_fma_f64 v[10:11], v[2:3], v[10:11], -v[12:13]
	v_add_f64_e32 v[12:13], v[8:9], v[6:7]
	v_add_f64_e32 v[38:39], v[38:39], v[171:172]
	ds_load_b128 v[2:5], v1 offset:1760
	ds_load_b128 v[6:9], v1 offset:1776
	v_fma_f64 v[44:45], v[175:176], v[14:15], v[44:45]
	v_fma_f64 v[14:15], v[173:174], v[14:15], -v[16:17]
	s_wait_loadcnt_dscnt 0x501
	v_mul_f64_e32 v[169:170], v[2:3], v[20:21]
	v_mul_f64_e32 v[20:21], v[4:5], v[20:21]
	s_wait_loadcnt_dscnt 0x400
	v_mul_f64_e32 v[16:17], v[6:7], v[24:25]
	v_mul_f64_e32 v[24:25], v[8:9], v[24:25]
	v_add_f64_e32 v[10:11], v[12:13], v[10:11]
	v_add_f64_e32 v[12:13], v[38:39], v[167:168]
	v_fma_f64 v[38:39], v[4:5], v[18:19], v[169:170]
	v_fma_f64 v[18:19], v[2:3], v[18:19], -v[20:21]
	v_fma_f64 v[8:9], v[8:9], v[22:23], v[16:17]
	v_fma_f64 v[6:7], v[6:7], v[22:23], -v[24:25]
	v_add_f64_e32 v[14:15], v[10:11], v[14:15]
	v_add_f64_e32 v[20:21], v[12:13], v[44:45]
	ds_load_b128 v[2:5], v1 offset:1792
	ds_load_b128 v[10:13], v1 offset:1808
	s_wait_loadcnt_dscnt 0x301
	v_mul_f64_e32 v[44:45], v[2:3], v[28:29]
	v_mul_f64_e32 v[28:29], v[4:5], v[28:29]
	v_add_f64_e32 v[14:15], v[14:15], v[18:19]
	v_add_f64_e32 v[16:17], v[20:21], v[38:39]
	s_wait_loadcnt_dscnt 0x200
	v_mul_f64_e32 v[18:19], v[10:11], v[32:33]
	v_mul_f64_e32 v[20:21], v[12:13], v[32:33]
	v_fma_f64 v[22:23], v[4:5], v[26:27], v[44:45]
	v_fma_f64 v[24:25], v[2:3], v[26:27], -v[28:29]
	v_add_f64_e32 v[14:15], v[14:15], v[6:7]
	v_add_f64_e32 v[16:17], v[16:17], v[8:9]
	ds_load_b128 v[2:5], v1 offset:1824
	ds_load_b128 v[6:9], v1 offset:1840
	v_fma_f64 v[12:13], v[12:13], v[30:31], v[18:19]
	v_fma_f64 v[10:11], v[10:11], v[30:31], -v[20:21]
	s_wait_loadcnt_dscnt 0x101
	v_mul_f64_e32 v[26:27], v[2:3], v[36:37]
	v_mul_f64_e32 v[28:29], v[4:5], v[36:37]
	s_wait_loadcnt_dscnt 0x0
	v_mul_f64_e32 v[18:19], v[6:7], v[42:43]
	v_add_f64_e32 v[14:15], v[14:15], v[24:25]
	v_add_f64_e32 v[16:17], v[16:17], v[22:23]
	v_mul_f64_e32 v[20:21], v[8:9], v[42:43]
	v_fma_f64 v[4:5], v[4:5], v[34:35], v[26:27]
	v_fma_f64 v[1:2], v[2:3], v[34:35], -v[28:29]
	v_fma_f64 v[8:9], v[8:9], v[40:41], v[18:19]
	v_add_f64_e32 v[10:11], v[14:15], v[10:11]
	v_add_f64_e32 v[12:13], v[16:17], v[12:13]
	v_fma_f64 v[6:7], v[6:7], v[40:41], -v[20:21]
	s_delay_alu instid0(VALU_DEP_3) | instskip(NEXT) | instid1(VALU_DEP_3)
	v_add_f64_e32 v[1:2], v[10:11], v[1:2]
	v_add_f64_e32 v[3:4], v[12:13], v[4:5]
	s_delay_alu instid0(VALU_DEP_2) | instskip(NEXT) | instid1(VALU_DEP_2)
	v_add_f64_e32 v[1:2], v[1:2], v[6:7]
	v_add_f64_e32 v[3:4], v[3:4], v[8:9]
	s_delay_alu instid0(VALU_DEP_2) | instskip(NEXT) | instid1(VALU_DEP_2)
	v_add_f64_e64 v[1:2], v[163:164], -v[1:2]
	v_add_f64_e64 v[3:4], v[165:166], -v[3:4]
	scratch_store_b128 off, v[1:4], off offset:608
	v_cmpx_lt_u32_e32 36, v0
	s_cbranch_execz .LBB57_289
; %bb.288:
	scratch_load_b128 v[1:4], off, s21
	v_mov_b32_e32 v5, 0
	s_delay_alu instid0(VALU_DEP_1)
	v_dual_mov_b32 v6, v5 :: v_dual_mov_b32 v7, v5
	v_mov_b32_e32 v8, v5
	scratch_store_b128 off, v[5:8], off offset:592
	s_wait_loadcnt 0x0
	ds_store_b128 v162, v[1:4]
.LBB57_289:
	s_wait_alu 0xfffe
	s_or_b32 exec_lo, exec_lo, s0
	s_wait_storecnt_dscnt 0x0
	s_barrier_signal -1
	s_barrier_wait -1
	global_inv scope:SCOPE_SE
	s_clause 0x7
	scratch_load_b128 v[2:5], off, off offset:608
	scratch_load_b128 v[6:9], off, off offset:624
	;; [unrolled: 1-line block ×8, first 2 shown]
	v_mov_b32_e32 v1, 0
	s_mov_b32 s0, exec_lo
	ds_load_b128 v[34:37], v1 offset:1520
	s_clause 0x1
	scratch_load_b128 v[38:41], off, off offset:736
	scratch_load_b128 v[42:45], off, off offset:592
	ds_load_b128 v[163:166], v1 offset:1536
	scratch_load_b128 v[167:170], off, off offset:752
	s_wait_loadcnt_dscnt 0xa01
	v_mul_f64_e32 v[171:172], v[36:37], v[4:5]
	v_mul_f64_e32 v[4:5], v[34:35], v[4:5]
	s_delay_alu instid0(VALU_DEP_2) | instskip(NEXT) | instid1(VALU_DEP_2)
	v_fma_f64 v[177:178], v[34:35], v[2:3], -v[171:172]
	v_fma_f64 v[179:180], v[36:37], v[2:3], v[4:5]
	ds_load_b128 v[2:5], v1 offset:1552
	s_wait_loadcnt_dscnt 0x901
	v_mul_f64_e32 v[175:176], v[163:164], v[8:9]
	v_mul_f64_e32 v[8:9], v[165:166], v[8:9]
	scratch_load_b128 v[34:37], off, off offset:768
	ds_load_b128 v[171:174], v1 offset:1568
	s_wait_loadcnt_dscnt 0x901
	v_mul_f64_e32 v[181:182], v[2:3], v[12:13]
	v_mul_f64_e32 v[12:13], v[4:5], v[12:13]
	v_fma_f64 v[165:166], v[165:166], v[6:7], v[175:176]
	v_fma_f64 v[163:164], v[163:164], v[6:7], -v[8:9]
	v_add_f64_e32 v[175:176], 0, v[177:178]
	v_add_f64_e32 v[177:178], 0, v[179:180]
	scratch_load_b128 v[6:9], off, off offset:784
	v_fma_f64 v[181:182], v[4:5], v[10:11], v[181:182]
	v_fma_f64 v[183:184], v[2:3], v[10:11], -v[12:13]
	ds_load_b128 v[2:5], v1 offset:1584
	s_wait_loadcnt_dscnt 0x901
	v_mul_f64_e32 v[179:180], v[171:172], v[16:17]
	v_mul_f64_e32 v[16:17], v[173:174], v[16:17]
	scratch_load_b128 v[10:13], off, off offset:800
	v_add_f64_e32 v[175:176], v[175:176], v[163:164]
	v_add_f64_e32 v[177:178], v[177:178], v[165:166]
	s_wait_loadcnt_dscnt 0x900
	v_mul_f64_e32 v[185:186], v[2:3], v[20:21]
	v_mul_f64_e32 v[20:21], v[4:5], v[20:21]
	ds_load_b128 v[163:166], v1 offset:1600
	v_fma_f64 v[173:174], v[173:174], v[14:15], v[179:180]
	v_fma_f64 v[171:172], v[171:172], v[14:15], -v[16:17]
	scratch_load_b128 v[14:17], off, off offset:816
	v_add_f64_e32 v[175:176], v[175:176], v[183:184]
	v_add_f64_e32 v[177:178], v[177:178], v[181:182]
	v_fma_f64 v[181:182], v[4:5], v[18:19], v[185:186]
	v_fma_f64 v[183:184], v[2:3], v[18:19], -v[20:21]
	ds_load_b128 v[2:5], v1 offset:1616
	s_wait_loadcnt_dscnt 0x901
	v_mul_f64_e32 v[179:180], v[163:164], v[24:25]
	v_mul_f64_e32 v[24:25], v[165:166], v[24:25]
	scratch_load_b128 v[18:21], off, off offset:832
	s_wait_loadcnt_dscnt 0x900
	v_mul_f64_e32 v[185:186], v[2:3], v[28:29]
	v_mul_f64_e32 v[28:29], v[4:5], v[28:29]
	v_add_f64_e32 v[175:176], v[175:176], v[171:172]
	v_add_f64_e32 v[177:178], v[177:178], v[173:174]
	ds_load_b128 v[171:174], v1 offset:1632
	v_fma_f64 v[165:166], v[165:166], v[22:23], v[179:180]
	v_fma_f64 v[163:164], v[163:164], v[22:23], -v[24:25]
	scratch_load_b128 v[22:25], off, off offset:848
	v_add_f64_e32 v[175:176], v[175:176], v[183:184]
	v_add_f64_e32 v[177:178], v[177:178], v[181:182]
	v_fma_f64 v[181:182], v[4:5], v[26:27], v[185:186]
	v_fma_f64 v[183:184], v[2:3], v[26:27], -v[28:29]
	ds_load_b128 v[2:5], v1 offset:1648
	s_wait_loadcnt_dscnt 0x901
	v_mul_f64_e32 v[179:180], v[171:172], v[32:33]
	v_mul_f64_e32 v[32:33], v[173:174], v[32:33]
	scratch_load_b128 v[26:29], off, off offset:864
	s_wait_loadcnt_dscnt 0x900
	v_mul_f64_e32 v[185:186], v[2:3], v[40:41]
	v_mul_f64_e32 v[40:41], v[4:5], v[40:41]
	v_add_f64_e32 v[175:176], v[175:176], v[163:164]
	v_add_f64_e32 v[177:178], v[177:178], v[165:166]
	ds_load_b128 v[163:166], v1 offset:1664
	v_fma_f64 v[173:174], v[173:174], v[30:31], v[179:180]
	v_fma_f64 v[171:172], v[171:172], v[30:31], -v[32:33]
	scratch_load_b128 v[30:33], off, off offset:880
	v_add_f64_e32 v[175:176], v[175:176], v[183:184]
	v_add_f64_e32 v[177:178], v[177:178], v[181:182]
	v_fma_f64 v[183:184], v[4:5], v[38:39], v[185:186]
	v_fma_f64 v[185:186], v[2:3], v[38:39], -v[40:41]
	ds_load_b128 v[2:5], v1 offset:1680
	s_wait_loadcnt_dscnt 0x801
	v_mul_f64_e32 v[179:180], v[163:164], v[169:170]
	v_mul_f64_e32 v[181:182], v[165:166], v[169:170]
	scratch_load_b128 v[38:41], off, off offset:896
	v_add_f64_e32 v[175:176], v[175:176], v[171:172]
	v_add_f64_e32 v[173:174], v[177:178], v[173:174]
	ds_load_b128 v[169:172], v1 offset:1696
	v_fma_f64 v[179:180], v[165:166], v[167:168], v[179:180]
	v_fma_f64 v[167:168], v[163:164], v[167:168], -v[181:182]
	scratch_load_b128 v[163:166], off, off offset:912
	s_wait_loadcnt_dscnt 0x901
	v_mul_f64_e32 v[177:178], v[2:3], v[36:37]
	v_mul_f64_e32 v[36:37], v[4:5], v[36:37]
	v_add_f64_e32 v[175:176], v[175:176], v[185:186]
	v_add_f64_e32 v[173:174], v[173:174], v[183:184]
	s_delay_alu instid0(VALU_DEP_4) | instskip(NEXT) | instid1(VALU_DEP_4)
	v_fma_f64 v[177:178], v[4:5], v[34:35], v[177:178]
	v_fma_f64 v[183:184], v[2:3], v[34:35], -v[36:37]
	ds_load_b128 v[2:5], v1 offset:1712
	s_wait_loadcnt_dscnt 0x801
	v_mul_f64_e32 v[181:182], v[169:170], v[8:9]
	v_mul_f64_e32 v[8:9], v[171:172], v[8:9]
	scratch_load_b128 v[34:37], off, off offset:928
	s_wait_loadcnt_dscnt 0x800
	v_mul_f64_e32 v[185:186], v[2:3], v[12:13]
	v_add_f64_e32 v[167:168], v[175:176], v[167:168]
	v_add_f64_e32 v[179:180], v[173:174], v[179:180]
	v_mul_f64_e32 v[12:13], v[4:5], v[12:13]
	ds_load_b128 v[173:176], v1 offset:1728
	v_fma_f64 v[171:172], v[171:172], v[6:7], v[181:182]
	v_fma_f64 v[6:7], v[169:170], v[6:7], -v[8:9]
	s_wait_loadcnt_dscnt 0x700
	v_mul_f64_e32 v[169:170], v[173:174], v[16:17]
	v_add_f64_e32 v[8:9], v[167:168], v[183:184]
	v_add_f64_e32 v[167:168], v[179:180], v[177:178]
	v_mul_f64_e32 v[16:17], v[175:176], v[16:17]
	v_fma_f64 v[177:178], v[4:5], v[10:11], v[185:186]
	v_fma_f64 v[10:11], v[2:3], v[10:11], -v[12:13]
	v_fma_f64 v[169:170], v[175:176], v[14:15], v[169:170]
	v_add_f64_e32 v[12:13], v[8:9], v[6:7]
	v_add_f64_e32 v[167:168], v[167:168], v[171:172]
	ds_load_b128 v[2:5], v1 offset:1744
	ds_load_b128 v[6:9], v1 offset:1760
	v_fma_f64 v[14:15], v[173:174], v[14:15], -v[16:17]
	s_wait_loadcnt_dscnt 0x601
	v_mul_f64_e32 v[171:172], v[2:3], v[20:21]
	v_mul_f64_e32 v[20:21], v[4:5], v[20:21]
	s_wait_loadcnt_dscnt 0x500
	v_mul_f64_e32 v[16:17], v[6:7], v[24:25]
	v_mul_f64_e32 v[24:25], v[8:9], v[24:25]
	v_add_f64_e32 v[10:11], v[12:13], v[10:11]
	v_add_f64_e32 v[12:13], v[167:168], v[177:178]
	v_fma_f64 v[167:168], v[4:5], v[18:19], v[171:172]
	v_fma_f64 v[18:19], v[2:3], v[18:19], -v[20:21]
	v_fma_f64 v[8:9], v[8:9], v[22:23], v[16:17]
	v_fma_f64 v[6:7], v[6:7], v[22:23], -v[24:25]
	v_add_f64_e32 v[14:15], v[10:11], v[14:15]
	v_add_f64_e32 v[20:21], v[12:13], v[169:170]
	ds_load_b128 v[2:5], v1 offset:1776
	ds_load_b128 v[10:13], v1 offset:1792
	s_wait_loadcnt_dscnt 0x401
	v_mul_f64_e32 v[169:170], v[2:3], v[28:29]
	v_mul_f64_e32 v[28:29], v[4:5], v[28:29]
	v_add_f64_e32 v[14:15], v[14:15], v[18:19]
	v_add_f64_e32 v[16:17], v[20:21], v[167:168]
	s_wait_loadcnt_dscnt 0x300
	v_mul_f64_e32 v[18:19], v[10:11], v[32:33]
	v_mul_f64_e32 v[20:21], v[12:13], v[32:33]
	v_fma_f64 v[22:23], v[4:5], v[26:27], v[169:170]
	v_fma_f64 v[24:25], v[2:3], v[26:27], -v[28:29]
	v_add_f64_e32 v[14:15], v[14:15], v[6:7]
	v_add_f64_e32 v[16:17], v[16:17], v[8:9]
	ds_load_b128 v[2:5], v1 offset:1808
	ds_load_b128 v[6:9], v1 offset:1824
	v_fma_f64 v[12:13], v[12:13], v[30:31], v[18:19]
	v_fma_f64 v[10:11], v[10:11], v[30:31], -v[20:21]
	s_wait_loadcnt_dscnt 0x201
	v_mul_f64_e32 v[26:27], v[2:3], v[40:41]
	v_mul_f64_e32 v[28:29], v[4:5], v[40:41]
	s_wait_loadcnt_dscnt 0x100
	v_mul_f64_e32 v[18:19], v[6:7], v[165:166]
	v_mul_f64_e32 v[20:21], v[8:9], v[165:166]
	v_add_f64_e32 v[14:15], v[14:15], v[24:25]
	v_add_f64_e32 v[16:17], v[16:17], v[22:23]
	v_fma_f64 v[22:23], v[4:5], v[38:39], v[26:27]
	v_fma_f64 v[24:25], v[2:3], v[38:39], -v[28:29]
	ds_load_b128 v[2:5], v1 offset:1840
	v_fma_f64 v[8:9], v[8:9], v[163:164], v[18:19]
	v_fma_f64 v[6:7], v[6:7], v[163:164], -v[20:21]
	v_add_f64_e32 v[10:11], v[14:15], v[10:11]
	v_add_f64_e32 v[12:13], v[16:17], v[12:13]
	s_wait_loadcnt_dscnt 0x0
	v_mul_f64_e32 v[14:15], v[2:3], v[36:37]
	v_mul_f64_e32 v[16:17], v[4:5], v[36:37]
	s_delay_alu instid0(VALU_DEP_4) | instskip(NEXT) | instid1(VALU_DEP_4)
	v_add_f64_e32 v[10:11], v[10:11], v[24:25]
	v_add_f64_e32 v[12:13], v[12:13], v[22:23]
	s_delay_alu instid0(VALU_DEP_4) | instskip(NEXT) | instid1(VALU_DEP_4)
	v_fma_f64 v[4:5], v[4:5], v[34:35], v[14:15]
	v_fma_f64 v[2:3], v[2:3], v[34:35], -v[16:17]
	s_delay_alu instid0(VALU_DEP_4) | instskip(NEXT) | instid1(VALU_DEP_4)
	v_add_f64_e32 v[6:7], v[10:11], v[6:7]
	v_add_f64_e32 v[8:9], v[12:13], v[8:9]
	s_delay_alu instid0(VALU_DEP_2) | instskip(NEXT) | instid1(VALU_DEP_2)
	v_add_f64_e32 v[2:3], v[6:7], v[2:3]
	v_add_f64_e32 v[4:5], v[8:9], v[4:5]
	s_delay_alu instid0(VALU_DEP_2) | instskip(NEXT) | instid1(VALU_DEP_2)
	v_add_f64_e64 v[2:3], v[42:43], -v[2:3]
	v_add_f64_e64 v[4:5], v[44:45], -v[4:5]
	scratch_store_b128 off, v[2:5], off offset:592
	v_cmpx_lt_u32_e32 35, v0
	s_cbranch_execz .LBB57_291
; %bb.290:
	scratch_load_b128 v[5:8], off, s20
	v_dual_mov_b32 v2, v1 :: v_dual_mov_b32 v3, v1
	v_mov_b32_e32 v4, v1
	scratch_store_b128 off, v[1:4], off offset:576
	s_wait_loadcnt 0x0
	ds_store_b128 v162, v[5:8]
.LBB57_291:
	s_wait_alu 0xfffe
	s_or_b32 exec_lo, exec_lo, s0
	s_wait_storecnt_dscnt 0x0
	s_barrier_signal -1
	s_barrier_wait -1
	global_inv scope:SCOPE_SE
	s_clause 0x8
	scratch_load_b128 v[2:5], off, off offset:592
	scratch_load_b128 v[6:9], off, off offset:608
	;; [unrolled: 1-line block ×9, first 2 shown]
	ds_load_b128 v[38:41], v1 offset:1504
	ds_load_b128 v[42:45], v1 offset:1520
	s_clause 0x1
	scratch_load_b128 v[163:166], off, off offset:576
	scratch_load_b128 v[167:170], off, off offset:736
	s_mov_b32 s0, exec_lo
	s_wait_loadcnt_dscnt 0xa01
	v_mul_f64_e32 v[171:172], v[40:41], v[4:5]
	v_mul_f64_e32 v[4:5], v[38:39], v[4:5]
	s_wait_loadcnt_dscnt 0x900
	v_mul_f64_e32 v[175:176], v[42:43], v[8:9]
	v_mul_f64_e32 v[8:9], v[44:45], v[8:9]
	s_delay_alu instid0(VALU_DEP_4) | instskip(NEXT) | instid1(VALU_DEP_4)
	v_fma_f64 v[177:178], v[38:39], v[2:3], -v[171:172]
	v_fma_f64 v[179:180], v[40:41], v[2:3], v[4:5]
	ds_load_b128 v[2:5], v1 offset:1536
	ds_load_b128 v[171:174], v1 offset:1552
	scratch_load_b128 v[38:41], off, off offset:752
	v_fma_f64 v[44:45], v[44:45], v[6:7], v[175:176]
	v_fma_f64 v[42:43], v[42:43], v[6:7], -v[8:9]
	scratch_load_b128 v[6:9], off, off offset:768
	s_wait_loadcnt_dscnt 0xa01
	v_mul_f64_e32 v[181:182], v[2:3], v[12:13]
	v_mul_f64_e32 v[12:13], v[4:5], v[12:13]
	v_add_f64_e32 v[175:176], 0, v[177:178]
	v_add_f64_e32 v[177:178], 0, v[179:180]
	s_wait_loadcnt_dscnt 0x900
	v_mul_f64_e32 v[179:180], v[171:172], v[16:17]
	v_mul_f64_e32 v[16:17], v[173:174], v[16:17]
	v_fma_f64 v[181:182], v[4:5], v[10:11], v[181:182]
	v_fma_f64 v[183:184], v[2:3], v[10:11], -v[12:13]
	ds_load_b128 v[2:5], v1 offset:1568
	scratch_load_b128 v[10:13], off, off offset:784
	v_add_f64_e32 v[175:176], v[175:176], v[42:43]
	v_add_f64_e32 v[177:178], v[177:178], v[44:45]
	ds_load_b128 v[42:45], v1 offset:1584
	v_fma_f64 v[173:174], v[173:174], v[14:15], v[179:180]
	v_fma_f64 v[171:172], v[171:172], v[14:15], -v[16:17]
	scratch_load_b128 v[14:17], off, off offset:800
	s_wait_loadcnt_dscnt 0xa01
	v_mul_f64_e32 v[185:186], v[2:3], v[20:21]
	v_mul_f64_e32 v[20:21], v[4:5], v[20:21]
	s_wait_loadcnt_dscnt 0x900
	v_mul_f64_e32 v[179:180], v[42:43], v[24:25]
	v_mul_f64_e32 v[24:25], v[44:45], v[24:25]
	v_add_f64_e32 v[175:176], v[175:176], v[183:184]
	v_add_f64_e32 v[177:178], v[177:178], v[181:182]
	v_fma_f64 v[181:182], v[4:5], v[18:19], v[185:186]
	v_fma_f64 v[183:184], v[2:3], v[18:19], -v[20:21]
	ds_load_b128 v[2:5], v1 offset:1600
	scratch_load_b128 v[18:21], off, off offset:816
	v_fma_f64 v[44:45], v[44:45], v[22:23], v[179:180]
	v_fma_f64 v[42:43], v[42:43], v[22:23], -v[24:25]
	scratch_load_b128 v[22:25], off, off offset:832
	v_add_f64_e32 v[175:176], v[175:176], v[171:172]
	v_add_f64_e32 v[177:178], v[177:178], v[173:174]
	ds_load_b128 v[171:174], v1 offset:1616
	s_wait_loadcnt_dscnt 0xa01
	v_mul_f64_e32 v[185:186], v[2:3], v[28:29]
	v_mul_f64_e32 v[28:29], v[4:5], v[28:29]
	s_wait_loadcnt_dscnt 0x900
	v_mul_f64_e32 v[179:180], v[171:172], v[32:33]
	v_mul_f64_e32 v[32:33], v[173:174], v[32:33]
	v_add_f64_e32 v[175:176], v[175:176], v[183:184]
	v_add_f64_e32 v[177:178], v[177:178], v[181:182]
	v_fma_f64 v[181:182], v[4:5], v[26:27], v[185:186]
	v_fma_f64 v[183:184], v[2:3], v[26:27], -v[28:29]
	ds_load_b128 v[2:5], v1 offset:1632
	scratch_load_b128 v[26:29], off, off offset:848
	v_fma_f64 v[173:174], v[173:174], v[30:31], v[179:180]
	v_fma_f64 v[171:172], v[171:172], v[30:31], -v[32:33]
	scratch_load_b128 v[30:33], off, off offset:864
	v_add_f64_e32 v[175:176], v[175:176], v[42:43]
	v_add_f64_e32 v[177:178], v[177:178], v[44:45]
	ds_load_b128 v[42:45], v1 offset:1648
	s_wait_loadcnt_dscnt 0xa01
	v_mul_f64_e32 v[185:186], v[2:3], v[36:37]
	v_mul_f64_e32 v[36:37], v[4:5], v[36:37]
	s_wait_loadcnt_dscnt 0x800
	v_mul_f64_e32 v[179:180], v[42:43], v[169:170]
	v_add_f64_e32 v[175:176], v[175:176], v[183:184]
	v_add_f64_e32 v[177:178], v[177:178], v[181:182]
	v_mul_f64_e32 v[181:182], v[44:45], v[169:170]
	v_fma_f64 v[183:184], v[4:5], v[34:35], v[185:186]
	v_fma_f64 v[185:186], v[2:3], v[34:35], -v[36:37]
	ds_load_b128 v[2:5], v1 offset:1664
	scratch_load_b128 v[34:37], off, off offset:880
	v_fma_f64 v[44:45], v[44:45], v[167:168], v[179:180]
	v_add_f64_e32 v[175:176], v[175:176], v[171:172]
	v_add_f64_e32 v[173:174], v[177:178], v[173:174]
	ds_load_b128 v[169:172], v1 offset:1680
	v_fma_f64 v[167:168], v[42:43], v[167:168], -v[181:182]
	s_wait_loadcnt_dscnt 0x801
	v_mul_f64_e32 v[177:178], v[2:3], v[40:41]
	v_mul_f64_e32 v[187:188], v[4:5], v[40:41]
	scratch_load_b128 v[40:43], off, off offset:896
	s_wait_loadcnt_dscnt 0x800
	v_mul_f64_e32 v[181:182], v[169:170], v[8:9]
	v_mul_f64_e32 v[8:9], v[171:172], v[8:9]
	v_add_f64_e32 v[175:176], v[175:176], v[185:186]
	v_add_f64_e32 v[173:174], v[173:174], v[183:184]
	v_fma_f64 v[183:184], v[4:5], v[38:39], v[177:178]
	v_fma_f64 v[38:39], v[2:3], v[38:39], -v[187:188]
	ds_load_b128 v[2:5], v1 offset:1696
	ds_load_b128 v[177:180], v1 offset:1712
	v_fma_f64 v[171:172], v[171:172], v[6:7], v[181:182]
	v_fma_f64 v[169:170], v[169:170], v[6:7], -v[8:9]
	scratch_load_b128 v[6:9], off, off offset:928
	v_add_f64_e32 v[167:168], v[175:176], v[167:168]
	v_add_f64_e32 v[44:45], v[173:174], v[44:45]
	scratch_load_b128 v[173:176], off, off offset:912
	s_wait_loadcnt_dscnt 0x901
	v_mul_f64_e32 v[185:186], v[2:3], v[12:13]
	v_mul_f64_e32 v[12:13], v[4:5], v[12:13]
	v_add_f64_e32 v[38:39], v[167:168], v[38:39]
	v_add_f64_e32 v[44:45], v[44:45], v[183:184]
	s_wait_loadcnt_dscnt 0x800
	v_mul_f64_e32 v[167:168], v[177:178], v[16:17]
	v_mul_f64_e32 v[16:17], v[179:180], v[16:17]
	v_fma_f64 v[181:182], v[4:5], v[10:11], v[185:186]
	v_fma_f64 v[183:184], v[2:3], v[10:11], -v[12:13]
	ds_load_b128 v[2:5], v1 offset:1728
	ds_load_b128 v[10:13], v1 offset:1744
	v_add_f64_e32 v[38:39], v[38:39], v[169:170]
	v_add_f64_e32 v[44:45], v[44:45], v[171:172]
	s_wait_loadcnt_dscnt 0x701
	v_mul_f64_e32 v[169:170], v[2:3], v[20:21]
	v_mul_f64_e32 v[20:21], v[4:5], v[20:21]
	v_fma_f64 v[167:168], v[179:180], v[14:15], v[167:168]
	v_fma_f64 v[14:15], v[177:178], v[14:15], -v[16:17]
	v_add_f64_e32 v[16:17], v[38:39], v[183:184]
	v_add_f64_e32 v[38:39], v[44:45], v[181:182]
	s_wait_loadcnt_dscnt 0x600
	v_mul_f64_e32 v[44:45], v[10:11], v[24:25]
	v_mul_f64_e32 v[24:25], v[12:13], v[24:25]
	v_fma_f64 v[169:170], v[4:5], v[18:19], v[169:170]
	v_fma_f64 v[18:19], v[2:3], v[18:19], -v[20:21]
	v_add_f64_e32 v[20:21], v[16:17], v[14:15]
	v_add_f64_e32 v[38:39], v[38:39], v[167:168]
	ds_load_b128 v[2:5], v1 offset:1760
	ds_load_b128 v[14:17], v1 offset:1776
	v_fma_f64 v[12:13], v[12:13], v[22:23], v[44:45]
	v_fma_f64 v[10:11], v[10:11], v[22:23], -v[24:25]
	s_wait_loadcnt_dscnt 0x501
	v_mul_f64_e32 v[167:168], v[2:3], v[28:29]
	v_mul_f64_e32 v[28:29], v[4:5], v[28:29]
	s_wait_loadcnt_dscnt 0x400
	v_mul_f64_e32 v[22:23], v[14:15], v[32:33]
	v_mul_f64_e32 v[24:25], v[16:17], v[32:33]
	v_add_f64_e32 v[18:19], v[20:21], v[18:19]
	v_add_f64_e32 v[20:21], v[38:39], v[169:170]
	v_fma_f64 v[32:33], v[4:5], v[26:27], v[167:168]
	v_fma_f64 v[26:27], v[2:3], v[26:27], -v[28:29]
	v_fma_f64 v[16:17], v[16:17], v[30:31], v[22:23]
	v_fma_f64 v[14:15], v[14:15], v[30:31], -v[24:25]
	v_add_f64_e32 v[18:19], v[18:19], v[10:11]
	v_add_f64_e32 v[20:21], v[20:21], v[12:13]
	ds_load_b128 v[2:5], v1 offset:1792
	ds_load_b128 v[10:13], v1 offset:1808
	s_wait_loadcnt_dscnt 0x301
	v_mul_f64_e32 v[28:29], v[2:3], v[36:37]
	v_mul_f64_e32 v[36:37], v[4:5], v[36:37]
	s_wait_loadcnt_dscnt 0x200
	v_mul_f64_e32 v[22:23], v[10:11], v[42:43]
	v_add_f64_e32 v[18:19], v[18:19], v[26:27]
	v_add_f64_e32 v[20:21], v[20:21], v[32:33]
	v_mul_f64_e32 v[24:25], v[12:13], v[42:43]
	v_fma_f64 v[26:27], v[4:5], v[34:35], v[28:29]
	v_fma_f64 v[28:29], v[2:3], v[34:35], -v[36:37]
	v_fma_f64 v[12:13], v[12:13], v[40:41], v[22:23]
	v_add_f64_e32 v[18:19], v[18:19], v[14:15]
	v_add_f64_e32 v[20:21], v[20:21], v[16:17]
	ds_load_b128 v[2:5], v1 offset:1824
	ds_load_b128 v[14:17], v1 offset:1840
	v_fma_f64 v[10:11], v[10:11], v[40:41], -v[24:25]
	s_wait_loadcnt_dscnt 0x1
	v_mul_f64_e32 v[30:31], v[2:3], v[175:176]
	v_mul_f64_e32 v[32:33], v[4:5], v[175:176]
	s_wait_dscnt 0x0
	v_mul_f64_e32 v[22:23], v[14:15], v[8:9]
	v_mul_f64_e32 v[8:9], v[16:17], v[8:9]
	v_add_f64_e32 v[18:19], v[18:19], v[28:29]
	v_add_f64_e32 v[20:21], v[20:21], v[26:27]
	v_fma_f64 v[4:5], v[4:5], v[173:174], v[30:31]
	v_fma_f64 v[1:2], v[2:3], v[173:174], -v[32:33]
	v_fma_f64 v[16:17], v[16:17], v[6:7], v[22:23]
	v_fma_f64 v[6:7], v[14:15], v[6:7], -v[8:9]
	v_add_f64_e32 v[10:11], v[18:19], v[10:11]
	v_add_f64_e32 v[12:13], v[20:21], v[12:13]
	s_delay_alu instid0(VALU_DEP_2) | instskip(NEXT) | instid1(VALU_DEP_2)
	v_add_f64_e32 v[1:2], v[10:11], v[1:2]
	v_add_f64_e32 v[3:4], v[12:13], v[4:5]
	s_delay_alu instid0(VALU_DEP_2) | instskip(NEXT) | instid1(VALU_DEP_2)
	;; [unrolled: 3-line block ×3, first 2 shown]
	v_add_f64_e64 v[1:2], v[163:164], -v[1:2]
	v_add_f64_e64 v[3:4], v[165:166], -v[3:4]
	scratch_store_b128 off, v[1:4], off offset:576
	v_cmpx_lt_u32_e32 34, v0
	s_cbranch_execz .LBB57_293
; %bb.292:
	scratch_load_b128 v[1:4], off, s23
	v_mov_b32_e32 v5, 0
	s_delay_alu instid0(VALU_DEP_1)
	v_dual_mov_b32 v6, v5 :: v_dual_mov_b32 v7, v5
	v_mov_b32_e32 v8, v5
	scratch_store_b128 off, v[5:8], off offset:560
	s_wait_loadcnt 0x0
	ds_store_b128 v162, v[1:4]
.LBB57_293:
	s_wait_alu 0xfffe
	s_or_b32 exec_lo, exec_lo, s0
	s_wait_storecnt_dscnt 0x0
	s_barrier_signal -1
	s_barrier_wait -1
	global_inv scope:SCOPE_SE
	s_clause 0x7
	scratch_load_b128 v[2:5], off, off offset:576
	scratch_load_b128 v[6:9], off, off offset:592
	;; [unrolled: 1-line block ×8, first 2 shown]
	v_mov_b32_e32 v1, 0
	s_mov_b32 s0, exec_lo
	ds_load_b128 v[34:37], v1 offset:1488
	s_clause 0x1
	scratch_load_b128 v[38:41], off, off offset:704
	scratch_load_b128 v[42:45], off, off offset:560
	ds_load_b128 v[163:166], v1 offset:1504
	scratch_load_b128 v[167:170], off, off offset:720
	s_wait_loadcnt_dscnt 0xa01
	v_mul_f64_e32 v[171:172], v[36:37], v[4:5]
	v_mul_f64_e32 v[4:5], v[34:35], v[4:5]
	s_delay_alu instid0(VALU_DEP_2) | instskip(NEXT) | instid1(VALU_DEP_2)
	v_fma_f64 v[177:178], v[34:35], v[2:3], -v[171:172]
	v_fma_f64 v[179:180], v[36:37], v[2:3], v[4:5]
	ds_load_b128 v[2:5], v1 offset:1520
	s_wait_loadcnt_dscnt 0x901
	v_mul_f64_e32 v[175:176], v[163:164], v[8:9]
	v_mul_f64_e32 v[8:9], v[165:166], v[8:9]
	scratch_load_b128 v[34:37], off, off offset:736
	ds_load_b128 v[171:174], v1 offset:1536
	s_wait_loadcnt_dscnt 0x901
	v_mul_f64_e32 v[181:182], v[2:3], v[12:13]
	v_mul_f64_e32 v[12:13], v[4:5], v[12:13]
	v_fma_f64 v[165:166], v[165:166], v[6:7], v[175:176]
	v_fma_f64 v[163:164], v[163:164], v[6:7], -v[8:9]
	v_add_f64_e32 v[175:176], 0, v[177:178]
	v_add_f64_e32 v[177:178], 0, v[179:180]
	scratch_load_b128 v[6:9], off, off offset:752
	v_fma_f64 v[181:182], v[4:5], v[10:11], v[181:182]
	v_fma_f64 v[183:184], v[2:3], v[10:11], -v[12:13]
	ds_load_b128 v[2:5], v1 offset:1552
	s_wait_loadcnt_dscnt 0x901
	v_mul_f64_e32 v[179:180], v[171:172], v[16:17]
	v_mul_f64_e32 v[16:17], v[173:174], v[16:17]
	scratch_load_b128 v[10:13], off, off offset:768
	v_add_f64_e32 v[175:176], v[175:176], v[163:164]
	v_add_f64_e32 v[177:178], v[177:178], v[165:166]
	s_wait_loadcnt_dscnt 0x900
	v_mul_f64_e32 v[185:186], v[2:3], v[20:21]
	v_mul_f64_e32 v[20:21], v[4:5], v[20:21]
	ds_load_b128 v[163:166], v1 offset:1568
	v_fma_f64 v[173:174], v[173:174], v[14:15], v[179:180]
	v_fma_f64 v[171:172], v[171:172], v[14:15], -v[16:17]
	scratch_load_b128 v[14:17], off, off offset:784
	v_add_f64_e32 v[175:176], v[175:176], v[183:184]
	v_add_f64_e32 v[177:178], v[177:178], v[181:182]
	v_fma_f64 v[181:182], v[4:5], v[18:19], v[185:186]
	v_fma_f64 v[183:184], v[2:3], v[18:19], -v[20:21]
	ds_load_b128 v[2:5], v1 offset:1584
	s_wait_loadcnt_dscnt 0x901
	v_mul_f64_e32 v[179:180], v[163:164], v[24:25]
	v_mul_f64_e32 v[24:25], v[165:166], v[24:25]
	scratch_load_b128 v[18:21], off, off offset:800
	s_wait_loadcnt_dscnt 0x900
	v_mul_f64_e32 v[185:186], v[2:3], v[28:29]
	v_mul_f64_e32 v[28:29], v[4:5], v[28:29]
	v_add_f64_e32 v[175:176], v[175:176], v[171:172]
	v_add_f64_e32 v[177:178], v[177:178], v[173:174]
	ds_load_b128 v[171:174], v1 offset:1600
	v_fma_f64 v[165:166], v[165:166], v[22:23], v[179:180]
	v_fma_f64 v[163:164], v[163:164], v[22:23], -v[24:25]
	scratch_load_b128 v[22:25], off, off offset:816
	v_add_f64_e32 v[175:176], v[175:176], v[183:184]
	v_add_f64_e32 v[177:178], v[177:178], v[181:182]
	v_fma_f64 v[181:182], v[4:5], v[26:27], v[185:186]
	v_fma_f64 v[183:184], v[2:3], v[26:27], -v[28:29]
	ds_load_b128 v[2:5], v1 offset:1616
	s_wait_loadcnt_dscnt 0x901
	v_mul_f64_e32 v[179:180], v[171:172], v[32:33]
	v_mul_f64_e32 v[32:33], v[173:174], v[32:33]
	scratch_load_b128 v[26:29], off, off offset:832
	s_wait_loadcnt_dscnt 0x900
	v_mul_f64_e32 v[185:186], v[2:3], v[40:41]
	v_mul_f64_e32 v[40:41], v[4:5], v[40:41]
	v_add_f64_e32 v[175:176], v[175:176], v[163:164]
	v_add_f64_e32 v[177:178], v[177:178], v[165:166]
	ds_load_b128 v[163:166], v1 offset:1632
	v_fma_f64 v[173:174], v[173:174], v[30:31], v[179:180]
	v_fma_f64 v[171:172], v[171:172], v[30:31], -v[32:33]
	scratch_load_b128 v[30:33], off, off offset:848
	v_add_f64_e32 v[175:176], v[175:176], v[183:184]
	v_add_f64_e32 v[177:178], v[177:178], v[181:182]
	v_fma_f64 v[183:184], v[4:5], v[38:39], v[185:186]
	v_fma_f64 v[185:186], v[2:3], v[38:39], -v[40:41]
	ds_load_b128 v[2:5], v1 offset:1648
	s_wait_loadcnt_dscnt 0x801
	v_mul_f64_e32 v[179:180], v[163:164], v[169:170]
	v_mul_f64_e32 v[181:182], v[165:166], v[169:170]
	scratch_load_b128 v[38:41], off, off offset:864
	v_add_f64_e32 v[175:176], v[175:176], v[171:172]
	v_add_f64_e32 v[173:174], v[177:178], v[173:174]
	ds_load_b128 v[169:172], v1 offset:1664
	v_fma_f64 v[179:180], v[165:166], v[167:168], v[179:180]
	v_fma_f64 v[167:168], v[163:164], v[167:168], -v[181:182]
	scratch_load_b128 v[163:166], off, off offset:880
	s_wait_loadcnt_dscnt 0x901
	v_mul_f64_e32 v[177:178], v[2:3], v[36:37]
	v_mul_f64_e32 v[36:37], v[4:5], v[36:37]
	v_add_f64_e32 v[175:176], v[175:176], v[185:186]
	v_add_f64_e32 v[173:174], v[173:174], v[183:184]
	s_delay_alu instid0(VALU_DEP_4) | instskip(NEXT) | instid1(VALU_DEP_4)
	v_fma_f64 v[177:178], v[4:5], v[34:35], v[177:178]
	v_fma_f64 v[183:184], v[2:3], v[34:35], -v[36:37]
	ds_load_b128 v[2:5], v1 offset:1680
	s_wait_loadcnt_dscnt 0x801
	v_mul_f64_e32 v[181:182], v[169:170], v[8:9]
	v_mul_f64_e32 v[8:9], v[171:172], v[8:9]
	scratch_load_b128 v[34:37], off, off offset:896
	s_wait_loadcnt_dscnt 0x800
	v_mul_f64_e32 v[185:186], v[2:3], v[12:13]
	v_add_f64_e32 v[167:168], v[175:176], v[167:168]
	v_add_f64_e32 v[179:180], v[173:174], v[179:180]
	v_mul_f64_e32 v[12:13], v[4:5], v[12:13]
	ds_load_b128 v[173:176], v1 offset:1696
	v_fma_f64 v[171:172], v[171:172], v[6:7], v[181:182]
	v_fma_f64 v[169:170], v[169:170], v[6:7], -v[8:9]
	scratch_load_b128 v[6:9], off, off offset:912
	v_fma_f64 v[181:182], v[4:5], v[10:11], v[185:186]
	v_add_f64_e32 v[167:168], v[167:168], v[183:184]
	v_add_f64_e32 v[177:178], v[179:180], v[177:178]
	v_fma_f64 v[183:184], v[2:3], v[10:11], -v[12:13]
	ds_load_b128 v[2:5], v1 offset:1712
	s_wait_loadcnt_dscnt 0x801
	v_mul_f64_e32 v[179:180], v[173:174], v[16:17]
	v_mul_f64_e32 v[16:17], v[175:176], v[16:17]
	scratch_load_b128 v[10:13], off, off offset:928
	v_add_f64_e32 v[185:186], v[167:168], v[169:170]
	v_add_f64_e32 v[171:172], v[177:178], v[171:172]
	s_wait_loadcnt_dscnt 0x800
	v_mul_f64_e32 v[177:178], v[2:3], v[20:21]
	v_mul_f64_e32 v[20:21], v[4:5], v[20:21]
	v_fma_f64 v[175:176], v[175:176], v[14:15], v[179:180]
	v_fma_f64 v[14:15], v[173:174], v[14:15], -v[16:17]
	ds_load_b128 v[167:170], v1 offset:1728
	s_wait_loadcnt_dscnt 0x700
	v_mul_f64_e32 v[173:174], v[167:168], v[24:25]
	v_mul_f64_e32 v[24:25], v[169:170], v[24:25]
	v_add_f64_e32 v[16:17], v[185:186], v[183:184]
	v_add_f64_e32 v[171:172], v[171:172], v[181:182]
	v_fma_f64 v[177:178], v[4:5], v[18:19], v[177:178]
	v_fma_f64 v[18:19], v[2:3], v[18:19], -v[20:21]
	v_fma_f64 v[169:170], v[169:170], v[22:23], v[173:174]
	v_fma_f64 v[22:23], v[167:168], v[22:23], -v[24:25]
	v_add_f64_e32 v[20:21], v[16:17], v[14:15]
	v_add_f64_e32 v[171:172], v[171:172], v[175:176]
	ds_load_b128 v[2:5], v1 offset:1744
	ds_load_b128 v[14:17], v1 offset:1760
	s_wait_loadcnt_dscnt 0x601
	v_mul_f64_e32 v[175:176], v[2:3], v[28:29]
	v_mul_f64_e32 v[28:29], v[4:5], v[28:29]
	s_wait_loadcnt_dscnt 0x500
	v_mul_f64_e32 v[24:25], v[14:15], v[32:33]
	v_mul_f64_e32 v[32:33], v[16:17], v[32:33]
	v_add_f64_e32 v[18:19], v[20:21], v[18:19]
	v_add_f64_e32 v[20:21], v[171:172], v[177:178]
	v_fma_f64 v[167:168], v[4:5], v[26:27], v[175:176]
	v_fma_f64 v[26:27], v[2:3], v[26:27], -v[28:29]
	v_fma_f64 v[16:17], v[16:17], v[30:31], v[24:25]
	v_fma_f64 v[14:15], v[14:15], v[30:31], -v[32:33]
	v_add_f64_e32 v[22:23], v[18:19], v[22:23]
	v_add_f64_e32 v[28:29], v[20:21], v[169:170]
	ds_load_b128 v[2:5], v1 offset:1776
	ds_load_b128 v[18:21], v1 offset:1792
	s_wait_loadcnt_dscnt 0x401
	v_mul_f64_e32 v[169:170], v[2:3], v[40:41]
	v_mul_f64_e32 v[40:41], v[4:5], v[40:41]
	v_add_f64_e32 v[22:23], v[22:23], v[26:27]
	v_add_f64_e32 v[24:25], v[28:29], v[167:168]
	s_wait_loadcnt_dscnt 0x300
	v_mul_f64_e32 v[26:27], v[18:19], v[165:166]
	v_mul_f64_e32 v[28:29], v[20:21], v[165:166]
	v_fma_f64 v[30:31], v[4:5], v[38:39], v[169:170]
	v_fma_f64 v[32:33], v[2:3], v[38:39], -v[40:41]
	v_add_f64_e32 v[22:23], v[22:23], v[14:15]
	v_add_f64_e32 v[24:25], v[24:25], v[16:17]
	ds_load_b128 v[2:5], v1 offset:1808
	ds_load_b128 v[14:17], v1 offset:1824
	v_fma_f64 v[20:21], v[20:21], v[163:164], v[26:27]
	v_fma_f64 v[18:19], v[18:19], v[163:164], -v[28:29]
	s_wait_loadcnt_dscnt 0x201
	v_mul_f64_e32 v[38:39], v[2:3], v[36:37]
	v_mul_f64_e32 v[36:37], v[4:5], v[36:37]
	s_wait_loadcnt_dscnt 0x100
	v_mul_f64_e32 v[26:27], v[14:15], v[8:9]
	v_mul_f64_e32 v[8:9], v[16:17], v[8:9]
	v_add_f64_e32 v[22:23], v[22:23], v[32:33]
	v_add_f64_e32 v[24:25], v[24:25], v[30:31]
	v_fma_f64 v[28:29], v[4:5], v[34:35], v[38:39]
	v_fma_f64 v[30:31], v[2:3], v[34:35], -v[36:37]
	ds_load_b128 v[2:5], v1 offset:1840
	v_fma_f64 v[16:17], v[16:17], v[6:7], v[26:27]
	v_fma_f64 v[6:7], v[14:15], v[6:7], -v[8:9]
	v_add_f64_e32 v[18:19], v[22:23], v[18:19]
	v_add_f64_e32 v[20:21], v[24:25], v[20:21]
	s_wait_loadcnt_dscnt 0x0
	v_mul_f64_e32 v[22:23], v[2:3], v[12:13]
	v_mul_f64_e32 v[12:13], v[4:5], v[12:13]
	s_delay_alu instid0(VALU_DEP_4) | instskip(NEXT) | instid1(VALU_DEP_4)
	v_add_f64_e32 v[8:9], v[18:19], v[30:31]
	v_add_f64_e32 v[14:15], v[20:21], v[28:29]
	s_delay_alu instid0(VALU_DEP_4) | instskip(NEXT) | instid1(VALU_DEP_4)
	v_fma_f64 v[4:5], v[4:5], v[10:11], v[22:23]
	v_fma_f64 v[2:3], v[2:3], v[10:11], -v[12:13]
	s_delay_alu instid0(VALU_DEP_4) | instskip(NEXT) | instid1(VALU_DEP_4)
	v_add_f64_e32 v[6:7], v[8:9], v[6:7]
	v_add_f64_e32 v[8:9], v[14:15], v[16:17]
	s_delay_alu instid0(VALU_DEP_2) | instskip(NEXT) | instid1(VALU_DEP_2)
	v_add_f64_e32 v[2:3], v[6:7], v[2:3]
	v_add_f64_e32 v[4:5], v[8:9], v[4:5]
	s_delay_alu instid0(VALU_DEP_2) | instskip(NEXT) | instid1(VALU_DEP_2)
	v_add_f64_e64 v[2:3], v[42:43], -v[2:3]
	v_add_f64_e64 v[4:5], v[44:45], -v[4:5]
	scratch_store_b128 off, v[2:5], off offset:560
	v_cmpx_lt_u32_e32 33, v0
	s_cbranch_execz .LBB57_295
; %bb.294:
	scratch_load_b128 v[5:8], off, s22
	v_dual_mov_b32 v2, v1 :: v_dual_mov_b32 v3, v1
	v_mov_b32_e32 v4, v1
	scratch_store_b128 off, v[1:4], off offset:544
	s_wait_loadcnt 0x0
	ds_store_b128 v162, v[5:8]
.LBB57_295:
	s_wait_alu 0xfffe
	s_or_b32 exec_lo, exec_lo, s0
	s_wait_storecnt_dscnt 0x0
	s_barrier_signal -1
	s_barrier_wait -1
	global_inv scope:SCOPE_SE
	s_clause 0x8
	scratch_load_b128 v[2:5], off, off offset:560
	scratch_load_b128 v[6:9], off, off offset:576
	;; [unrolled: 1-line block ×9, first 2 shown]
	ds_load_b128 v[38:41], v1 offset:1472
	ds_load_b128 v[42:45], v1 offset:1488
	s_clause 0x1
	scratch_load_b128 v[163:166], off, off offset:544
	scratch_load_b128 v[167:170], off, off offset:704
	s_mov_b32 s0, exec_lo
	s_wait_loadcnt_dscnt 0xa01
	v_mul_f64_e32 v[171:172], v[40:41], v[4:5]
	v_mul_f64_e32 v[4:5], v[38:39], v[4:5]
	s_wait_loadcnt_dscnt 0x900
	v_mul_f64_e32 v[175:176], v[42:43], v[8:9]
	v_mul_f64_e32 v[8:9], v[44:45], v[8:9]
	s_delay_alu instid0(VALU_DEP_4) | instskip(NEXT) | instid1(VALU_DEP_4)
	v_fma_f64 v[177:178], v[38:39], v[2:3], -v[171:172]
	v_fma_f64 v[179:180], v[40:41], v[2:3], v[4:5]
	ds_load_b128 v[2:5], v1 offset:1504
	ds_load_b128 v[171:174], v1 offset:1520
	scratch_load_b128 v[38:41], off, off offset:720
	v_fma_f64 v[44:45], v[44:45], v[6:7], v[175:176]
	v_fma_f64 v[42:43], v[42:43], v[6:7], -v[8:9]
	scratch_load_b128 v[6:9], off, off offset:736
	s_wait_loadcnt_dscnt 0xa01
	v_mul_f64_e32 v[181:182], v[2:3], v[12:13]
	v_mul_f64_e32 v[12:13], v[4:5], v[12:13]
	v_add_f64_e32 v[175:176], 0, v[177:178]
	v_add_f64_e32 v[177:178], 0, v[179:180]
	s_wait_loadcnt_dscnt 0x900
	v_mul_f64_e32 v[179:180], v[171:172], v[16:17]
	v_mul_f64_e32 v[16:17], v[173:174], v[16:17]
	v_fma_f64 v[181:182], v[4:5], v[10:11], v[181:182]
	v_fma_f64 v[183:184], v[2:3], v[10:11], -v[12:13]
	ds_load_b128 v[2:5], v1 offset:1536
	scratch_load_b128 v[10:13], off, off offset:752
	v_add_f64_e32 v[175:176], v[175:176], v[42:43]
	v_add_f64_e32 v[177:178], v[177:178], v[44:45]
	ds_load_b128 v[42:45], v1 offset:1552
	v_fma_f64 v[173:174], v[173:174], v[14:15], v[179:180]
	v_fma_f64 v[171:172], v[171:172], v[14:15], -v[16:17]
	scratch_load_b128 v[14:17], off, off offset:768
	s_wait_loadcnt_dscnt 0xa01
	v_mul_f64_e32 v[185:186], v[2:3], v[20:21]
	v_mul_f64_e32 v[20:21], v[4:5], v[20:21]
	s_wait_loadcnt_dscnt 0x900
	v_mul_f64_e32 v[179:180], v[42:43], v[24:25]
	v_mul_f64_e32 v[24:25], v[44:45], v[24:25]
	v_add_f64_e32 v[175:176], v[175:176], v[183:184]
	v_add_f64_e32 v[177:178], v[177:178], v[181:182]
	v_fma_f64 v[181:182], v[4:5], v[18:19], v[185:186]
	v_fma_f64 v[183:184], v[2:3], v[18:19], -v[20:21]
	ds_load_b128 v[2:5], v1 offset:1568
	scratch_load_b128 v[18:21], off, off offset:784
	v_fma_f64 v[44:45], v[44:45], v[22:23], v[179:180]
	v_fma_f64 v[42:43], v[42:43], v[22:23], -v[24:25]
	scratch_load_b128 v[22:25], off, off offset:800
	v_add_f64_e32 v[175:176], v[175:176], v[171:172]
	v_add_f64_e32 v[177:178], v[177:178], v[173:174]
	ds_load_b128 v[171:174], v1 offset:1584
	s_wait_loadcnt_dscnt 0xa01
	v_mul_f64_e32 v[185:186], v[2:3], v[28:29]
	v_mul_f64_e32 v[28:29], v[4:5], v[28:29]
	s_wait_loadcnt_dscnt 0x900
	v_mul_f64_e32 v[179:180], v[171:172], v[32:33]
	v_mul_f64_e32 v[32:33], v[173:174], v[32:33]
	v_add_f64_e32 v[175:176], v[175:176], v[183:184]
	v_add_f64_e32 v[177:178], v[177:178], v[181:182]
	v_fma_f64 v[181:182], v[4:5], v[26:27], v[185:186]
	v_fma_f64 v[183:184], v[2:3], v[26:27], -v[28:29]
	ds_load_b128 v[2:5], v1 offset:1600
	scratch_load_b128 v[26:29], off, off offset:816
	v_fma_f64 v[173:174], v[173:174], v[30:31], v[179:180]
	v_fma_f64 v[171:172], v[171:172], v[30:31], -v[32:33]
	scratch_load_b128 v[30:33], off, off offset:832
	v_add_f64_e32 v[175:176], v[175:176], v[42:43]
	v_add_f64_e32 v[177:178], v[177:178], v[44:45]
	ds_load_b128 v[42:45], v1 offset:1616
	s_wait_loadcnt_dscnt 0xa01
	v_mul_f64_e32 v[185:186], v[2:3], v[36:37]
	v_mul_f64_e32 v[36:37], v[4:5], v[36:37]
	s_wait_loadcnt_dscnt 0x800
	v_mul_f64_e32 v[179:180], v[42:43], v[169:170]
	v_add_f64_e32 v[175:176], v[175:176], v[183:184]
	v_add_f64_e32 v[177:178], v[177:178], v[181:182]
	v_mul_f64_e32 v[181:182], v[44:45], v[169:170]
	v_fma_f64 v[183:184], v[4:5], v[34:35], v[185:186]
	v_fma_f64 v[185:186], v[2:3], v[34:35], -v[36:37]
	ds_load_b128 v[2:5], v1 offset:1632
	scratch_load_b128 v[34:37], off, off offset:848
	v_fma_f64 v[44:45], v[44:45], v[167:168], v[179:180]
	v_add_f64_e32 v[175:176], v[175:176], v[171:172]
	v_add_f64_e32 v[173:174], v[177:178], v[173:174]
	ds_load_b128 v[169:172], v1 offset:1648
	v_fma_f64 v[167:168], v[42:43], v[167:168], -v[181:182]
	s_wait_loadcnt_dscnt 0x801
	v_mul_f64_e32 v[177:178], v[2:3], v[40:41]
	v_mul_f64_e32 v[187:188], v[4:5], v[40:41]
	scratch_load_b128 v[40:43], off, off offset:864
	s_wait_loadcnt_dscnt 0x800
	v_mul_f64_e32 v[181:182], v[169:170], v[8:9]
	v_mul_f64_e32 v[8:9], v[171:172], v[8:9]
	v_add_f64_e32 v[175:176], v[175:176], v[185:186]
	v_add_f64_e32 v[173:174], v[173:174], v[183:184]
	v_fma_f64 v[183:184], v[4:5], v[38:39], v[177:178]
	v_fma_f64 v[38:39], v[2:3], v[38:39], -v[187:188]
	ds_load_b128 v[2:5], v1 offset:1664
	ds_load_b128 v[177:180], v1 offset:1680
	v_fma_f64 v[171:172], v[171:172], v[6:7], v[181:182]
	v_fma_f64 v[169:170], v[169:170], v[6:7], -v[8:9]
	scratch_load_b128 v[6:9], off, off offset:896
	v_add_f64_e32 v[167:168], v[175:176], v[167:168]
	v_add_f64_e32 v[44:45], v[173:174], v[44:45]
	scratch_load_b128 v[173:176], off, off offset:880
	s_wait_loadcnt_dscnt 0x901
	v_mul_f64_e32 v[185:186], v[2:3], v[12:13]
	v_mul_f64_e32 v[12:13], v[4:5], v[12:13]
	s_wait_loadcnt_dscnt 0x800
	v_mul_f64_e32 v[181:182], v[177:178], v[16:17]
	v_mul_f64_e32 v[16:17], v[179:180], v[16:17]
	v_add_f64_e32 v[38:39], v[167:168], v[38:39]
	v_add_f64_e32 v[44:45], v[44:45], v[183:184]
	v_fma_f64 v[183:184], v[4:5], v[10:11], v[185:186]
	v_fma_f64 v[185:186], v[2:3], v[10:11], -v[12:13]
	ds_load_b128 v[2:5], v1 offset:1696
	scratch_load_b128 v[10:13], off, off offset:912
	v_fma_f64 v[179:180], v[179:180], v[14:15], v[181:182]
	v_fma_f64 v[177:178], v[177:178], v[14:15], -v[16:17]
	scratch_load_b128 v[14:17], off, off offset:928
	v_add_f64_e32 v[38:39], v[38:39], v[169:170]
	v_add_f64_e32 v[44:45], v[44:45], v[171:172]
	ds_load_b128 v[167:170], v1 offset:1712
	s_wait_loadcnt_dscnt 0x901
	v_mul_f64_e32 v[171:172], v[2:3], v[20:21]
	v_mul_f64_e32 v[20:21], v[4:5], v[20:21]
	s_wait_loadcnt_dscnt 0x800
	v_mul_f64_e32 v[181:182], v[167:168], v[24:25]
	v_mul_f64_e32 v[24:25], v[169:170], v[24:25]
	v_add_f64_e32 v[38:39], v[38:39], v[185:186]
	v_add_f64_e32 v[44:45], v[44:45], v[183:184]
	v_fma_f64 v[171:172], v[4:5], v[18:19], v[171:172]
	v_fma_f64 v[183:184], v[2:3], v[18:19], -v[20:21]
	ds_load_b128 v[2:5], v1 offset:1728
	ds_load_b128 v[18:21], v1 offset:1744
	v_fma_f64 v[169:170], v[169:170], v[22:23], v[181:182]
	v_fma_f64 v[22:23], v[167:168], v[22:23], -v[24:25]
	v_add_f64_e32 v[38:39], v[38:39], v[177:178]
	v_add_f64_e32 v[44:45], v[44:45], v[179:180]
	s_wait_loadcnt_dscnt 0x701
	v_mul_f64_e32 v[177:178], v[2:3], v[28:29]
	v_mul_f64_e32 v[28:29], v[4:5], v[28:29]
	s_delay_alu instid0(VALU_DEP_4) | instskip(NEXT) | instid1(VALU_DEP_4)
	v_add_f64_e32 v[24:25], v[38:39], v[183:184]
	v_add_f64_e32 v[38:39], v[44:45], v[171:172]
	s_wait_loadcnt_dscnt 0x600
	v_mul_f64_e32 v[44:45], v[18:19], v[32:33]
	v_mul_f64_e32 v[32:33], v[20:21], v[32:33]
	v_fma_f64 v[167:168], v[4:5], v[26:27], v[177:178]
	v_fma_f64 v[26:27], v[2:3], v[26:27], -v[28:29]
	v_add_f64_e32 v[28:29], v[24:25], v[22:23]
	v_add_f64_e32 v[38:39], v[38:39], v[169:170]
	ds_load_b128 v[2:5], v1 offset:1760
	ds_load_b128 v[22:25], v1 offset:1776
	v_fma_f64 v[20:21], v[20:21], v[30:31], v[44:45]
	v_fma_f64 v[18:19], v[18:19], v[30:31], -v[32:33]
	s_wait_loadcnt_dscnt 0x501
	v_mul_f64_e32 v[169:170], v[2:3], v[36:37]
	v_mul_f64_e32 v[36:37], v[4:5], v[36:37]
	s_wait_loadcnt_dscnt 0x400
	v_mul_f64_e32 v[30:31], v[22:23], v[42:43]
	v_add_f64_e32 v[26:27], v[28:29], v[26:27]
	v_add_f64_e32 v[28:29], v[38:39], v[167:168]
	v_mul_f64_e32 v[32:33], v[24:25], v[42:43]
	v_fma_f64 v[38:39], v[4:5], v[34:35], v[169:170]
	v_fma_f64 v[34:35], v[2:3], v[34:35], -v[36:37]
	v_fma_f64 v[24:25], v[24:25], v[40:41], v[30:31]
	v_add_f64_e32 v[26:27], v[26:27], v[18:19]
	v_add_f64_e32 v[28:29], v[28:29], v[20:21]
	ds_load_b128 v[2:5], v1 offset:1792
	ds_load_b128 v[18:21], v1 offset:1808
	v_fma_f64 v[22:23], v[22:23], v[40:41], -v[32:33]
	s_wait_loadcnt_dscnt 0x201
	v_mul_f64_e32 v[36:37], v[2:3], v[175:176]
	v_mul_f64_e32 v[42:43], v[4:5], v[175:176]
	s_wait_dscnt 0x0
	v_mul_f64_e32 v[30:31], v[18:19], v[8:9]
	v_mul_f64_e32 v[8:9], v[20:21], v[8:9]
	v_add_f64_e32 v[26:27], v[26:27], v[34:35]
	v_add_f64_e32 v[28:29], v[28:29], v[38:39]
	v_fma_f64 v[32:33], v[4:5], v[173:174], v[36:37]
	v_fma_f64 v[34:35], v[2:3], v[173:174], -v[42:43]
	v_fma_f64 v[20:21], v[20:21], v[6:7], v[30:31]
	v_fma_f64 v[6:7], v[18:19], v[6:7], -v[8:9]
	v_add_f64_e32 v[26:27], v[26:27], v[22:23]
	v_add_f64_e32 v[28:29], v[28:29], v[24:25]
	ds_load_b128 v[2:5], v1 offset:1824
	ds_load_b128 v[22:25], v1 offset:1840
	s_wait_loadcnt_dscnt 0x101
	v_mul_f64_e32 v[36:37], v[2:3], v[12:13]
	v_mul_f64_e32 v[12:13], v[4:5], v[12:13]
	v_add_f64_e32 v[8:9], v[26:27], v[34:35]
	v_add_f64_e32 v[18:19], v[28:29], v[32:33]
	s_wait_loadcnt_dscnt 0x0
	v_mul_f64_e32 v[26:27], v[22:23], v[16:17]
	v_mul_f64_e32 v[16:17], v[24:25], v[16:17]
	v_fma_f64 v[4:5], v[4:5], v[10:11], v[36:37]
	v_fma_f64 v[1:2], v[2:3], v[10:11], -v[12:13]
	v_add_f64_e32 v[6:7], v[8:9], v[6:7]
	v_add_f64_e32 v[8:9], v[18:19], v[20:21]
	v_fma_f64 v[10:11], v[24:25], v[14:15], v[26:27]
	v_fma_f64 v[12:13], v[22:23], v[14:15], -v[16:17]
	s_delay_alu instid0(VALU_DEP_4) | instskip(NEXT) | instid1(VALU_DEP_4)
	v_add_f64_e32 v[1:2], v[6:7], v[1:2]
	v_add_f64_e32 v[3:4], v[8:9], v[4:5]
	s_delay_alu instid0(VALU_DEP_2) | instskip(NEXT) | instid1(VALU_DEP_2)
	v_add_f64_e32 v[1:2], v[1:2], v[12:13]
	v_add_f64_e32 v[3:4], v[3:4], v[10:11]
	s_delay_alu instid0(VALU_DEP_2) | instskip(NEXT) | instid1(VALU_DEP_2)
	v_add_f64_e64 v[1:2], v[163:164], -v[1:2]
	v_add_f64_e64 v[3:4], v[165:166], -v[3:4]
	scratch_store_b128 off, v[1:4], off offset:544
	v_cmpx_lt_u32_e32 32, v0
	s_cbranch_execz .LBB57_297
; %bb.296:
	scratch_load_b128 v[1:4], off, s27
	v_mov_b32_e32 v5, 0
	s_delay_alu instid0(VALU_DEP_1)
	v_dual_mov_b32 v6, v5 :: v_dual_mov_b32 v7, v5
	v_mov_b32_e32 v8, v5
	scratch_store_b128 off, v[5:8], off offset:528
	s_wait_loadcnt 0x0
	ds_store_b128 v162, v[1:4]
.LBB57_297:
	s_wait_alu 0xfffe
	s_or_b32 exec_lo, exec_lo, s0
	s_wait_storecnt_dscnt 0x0
	s_barrier_signal -1
	s_barrier_wait -1
	global_inv scope:SCOPE_SE
	s_clause 0x7
	scratch_load_b128 v[2:5], off, off offset:544
	scratch_load_b128 v[6:9], off, off offset:560
	;; [unrolled: 1-line block ×8, first 2 shown]
	v_mov_b32_e32 v1, 0
	s_mov_b32 s0, exec_lo
	ds_load_b128 v[34:37], v1 offset:1456
	s_clause 0x1
	scratch_load_b128 v[38:41], off, off offset:672
	scratch_load_b128 v[42:45], off, off offset:528
	ds_load_b128 v[163:166], v1 offset:1472
	scratch_load_b128 v[167:170], off, off offset:688
	s_wait_loadcnt_dscnt 0xa01
	v_mul_f64_e32 v[171:172], v[36:37], v[4:5]
	v_mul_f64_e32 v[4:5], v[34:35], v[4:5]
	s_delay_alu instid0(VALU_DEP_2) | instskip(NEXT) | instid1(VALU_DEP_2)
	v_fma_f64 v[177:178], v[34:35], v[2:3], -v[171:172]
	v_fma_f64 v[179:180], v[36:37], v[2:3], v[4:5]
	ds_load_b128 v[2:5], v1 offset:1488
	s_wait_loadcnt_dscnt 0x901
	v_mul_f64_e32 v[175:176], v[163:164], v[8:9]
	v_mul_f64_e32 v[8:9], v[165:166], v[8:9]
	scratch_load_b128 v[34:37], off, off offset:704
	ds_load_b128 v[171:174], v1 offset:1504
	s_wait_loadcnt_dscnt 0x901
	v_mul_f64_e32 v[181:182], v[2:3], v[12:13]
	v_mul_f64_e32 v[12:13], v[4:5], v[12:13]
	v_fma_f64 v[165:166], v[165:166], v[6:7], v[175:176]
	v_fma_f64 v[163:164], v[163:164], v[6:7], -v[8:9]
	v_add_f64_e32 v[175:176], 0, v[177:178]
	v_add_f64_e32 v[177:178], 0, v[179:180]
	scratch_load_b128 v[6:9], off, off offset:720
	v_fma_f64 v[181:182], v[4:5], v[10:11], v[181:182]
	v_fma_f64 v[183:184], v[2:3], v[10:11], -v[12:13]
	ds_load_b128 v[2:5], v1 offset:1520
	s_wait_loadcnt_dscnt 0x901
	v_mul_f64_e32 v[179:180], v[171:172], v[16:17]
	v_mul_f64_e32 v[16:17], v[173:174], v[16:17]
	scratch_load_b128 v[10:13], off, off offset:736
	v_add_f64_e32 v[175:176], v[175:176], v[163:164]
	v_add_f64_e32 v[177:178], v[177:178], v[165:166]
	s_wait_loadcnt_dscnt 0x900
	v_mul_f64_e32 v[185:186], v[2:3], v[20:21]
	v_mul_f64_e32 v[20:21], v[4:5], v[20:21]
	ds_load_b128 v[163:166], v1 offset:1536
	v_fma_f64 v[173:174], v[173:174], v[14:15], v[179:180]
	v_fma_f64 v[171:172], v[171:172], v[14:15], -v[16:17]
	scratch_load_b128 v[14:17], off, off offset:752
	v_add_f64_e32 v[175:176], v[175:176], v[183:184]
	v_add_f64_e32 v[177:178], v[177:178], v[181:182]
	v_fma_f64 v[181:182], v[4:5], v[18:19], v[185:186]
	v_fma_f64 v[183:184], v[2:3], v[18:19], -v[20:21]
	ds_load_b128 v[2:5], v1 offset:1552
	s_wait_loadcnt_dscnt 0x901
	v_mul_f64_e32 v[179:180], v[163:164], v[24:25]
	v_mul_f64_e32 v[24:25], v[165:166], v[24:25]
	scratch_load_b128 v[18:21], off, off offset:768
	s_wait_loadcnt_dscnt 0x900
	v_mul_f64_e32 v[185:186], v[2:3], v[28:29]
	v_mul_f64_e32 v[28:29], v[4:5], v[28:29]
	v_add_f64_e32 v[175:176], v[175:176], v[171:172]
	v_add_f64_e32 v[177:178], v[177:178], v[173:174]
	ds_load_b128 v[171:174], v1 offset:1568
	v_fma_f64 v[165:166], v[165:166], v[22:23], v[179:180]
	v_fma_f64 v[163:164], v[163:164], v[22:23], -v[24:25]
	scratch_load_b128 v[22:25], off, off offset:784
	v_add_f64_e32 v[175:176], v[175:176], v[183:184]
	v_add_f64_e32 v[177:178], v[177:178], v[181:182]
	v_fma_f64 v[181:182], v[4:5], v[26:27], v[185:186]
	v_fma_f64 v[183:184], v[2:3], v[26:27], -v[28:29]
	ds_load_b128 v[2:5], v1 offset:1584
	s_wait_loadcnt_dscnt 0x901
	v_mul_f64_e32 v[179:180], v[171:172], v[32:33]
	v_mul_f64_e32 v[32:33], v[173:174], v[32:33]
	scratch_load_b128 v[26:29], off, off offset:800
	s_wait_loadcnt_dscnt 0x900
	v_mul_f64_e32 v[185:186], v[2:3], v[40:41]
	v_mul_f64_e32 v[40:41], v[4:5], v[40:41]
	v_add_f64_e32 v[175:176], v[175:176], v[163:164]
	v_add_f64_e32 v[177:178], v[177:178], v[165:166]
	ds_load_b128 v[163:166], v1 offset:1600
	v_fma_f64 v[173:174], v[173:174], v[30:31], v[179:180]
	v_fma_f64 v[171:172], v[171:172], v[30:31], -v[32:33]
	scratch_load_b128 v[30:33], off, off offset:816
	v_add_f64_e32 v[175:176], v[175:176], v[183:184]
	v_add_f64_e32 v[177:178], v[177:178], v[181:182]
	v_fma_f64 v[183:184], v[4:5], v[38:39], v[185:186]
	v_fma_f64 v[185:186], v[2:3], v[38:39], -v[40:41]
	ds_load_b128 v[2:5], v1 offset:1616
	s_wait_loadcnt_dscnt 0x801
	v_mul_f64_e32 v[179:180], v[163:164], v[169:170]
	v_mul_f64_e32 v[181:182], v[165:166], v[169:170]
	scratch_load_b128 v[38:41], off, off offset:832
	v_add_f64_e32 v[175:176], v[175:176], v[171:172]
	v_add_f64_e32 v[173:174], v[177:178], v[173:174]
	ds_load_b128 v[169:172], v1 offset:1632
	v_fma_f64 v[179:180], v[165:166], v[167:168], v[179:180]
	v_fma_f64 v[167:168], v[163:164], v[167:168], -v[181:182]
	scratch_load_b128 v[163:166], off, off offset:848
	s_wait_loadcnt_dscnt 0x901
	v_mul_f64_e32 v[177:178], v[2:3], v[36:37]
	v_mul_f64_e32 v[36:37], v[4:5], v[36:37]
	v_add_f64_e32 v[175:176], v[175:176], v[185:186]
	v_add_f64_e32 v[173:174], v[173:174], v[183:184]
	s_delay_alu instid0(VALU_DEP_4) | instskip(NEXT) | instid1(VALU_DEP_4)
	v_fma_f64 v[177:178], v[4:5], v[34:35], v[177:178]
	v_fma_f64 v[183:184], v[2:3], v[34:35], -v[36:37]
	ds_load_b128 v[2:5], v1 offset:1648
	s_wait_loadcnt_dscnt 0x801
	v_mul_f64_e32 v[181:182], v[169:170], v[8:9]
	v_mul_f64_e32 v[8:9], v[171:172], v[8:9]
	scratch_load_b128 v[34:37], off, off offset:864
	s_wait_loadcnt_dscnt 0x800
	v_mul_f64_e32 v[185:186], v[2:3], v[12:13]
	v_add_f64_e32 v[167:168], v[175:176], v[167:168]
	v_add_f64_e32 v[179:180], v[173:174], v[179:180]
	v_mul_f64_e32 v[12:13], v[4:5], v[12:13]
	ds_load_b128 v[173:176], v1 offset:1664
	v_fma_f64 v[171:172], v[171:172], v[6:7], v[181:182]
	v_fma_f64 v[169:170], v[169:170], v[6:7], -v[8:9]
	scratch_load_b128 v[6:9], off, off offset:880
	v_fma_f64 v[181:182], v[4:5], v[10:11], v[185:186]
	v_add_f64_e32 v[167:168], v[167:168], v[183:184]
	v_add_f64_e32 v[177:178], v[179:180], v[177:178]
	v_fma_f64 v[183:184], v[2:3], v[10:11], -v[12:13]
	ds_load_b128 v[2:5], v1 offset:1680
	s_wait_loadcnt_dscnt 0x801
	v_mul_f64_e32 v[179:180], v[173:174], v[16:17]
	v_mul_f64_e32 v[16:17], v[175:176], v[16:17]
	scratch_load_b128 v[10:13], off, off offset:896
	v_add_f64_e32 v[185:186], v[167:168], v[169:170]
	v_add_f64_e32 v[171:172], v[177:178], v[171:172]
	s_wait_loadcnt_dscnt 0x800
	v_mul_f64_e32 v[177:178], v[2:3], v[20:21]
	v_mul_f64_e32 v[20:21], v[4:5], v[20:21]
	v_fma_f64 v[175:176], v[175:176], v[14:15], v[179:180]
	v_fma_f64 v[173:174], v[173:174], v[14:15], -v[16:17]
	ds_load_b128 v[167:170], v1 offset:1696
	scratch_load_b128 v[14:17], off, off offset:912
	v_add_f64_e32 v[179:180], v[185:186], v[183:184]
	v_add_f64_e32 v[171:172], v[171:172], v[181:182]
	v_fma_f64 v[177:178], v[4:5], v[18:19], v[177:178]
	v_fma_f64 v[183:184], v[2:3], v[18:19], -v[20:21]
	ds_load_b128 v[2:5], v1 offset:1712
	s_wait_loadcnt_dscnt 0x801
	v_mul_f64_e32 v[181:182], v[167:168], v[24:25]
	v_mul_f64_e32 v[24:25], v[169:170], v[24:25]
	scratch_load_b128 v[18:21], off, off offset:928
	s_wait_loadcnt_dscnt 0x800
	v_mul_f64_e32 v[185:186], v[2:3], v[28:29]
	v_mul_f64_e32 v[28:29], v[4:5], v[28:29]
	v_add_f64_e32 v[179:180], v[179:180], v[173:174]
	v_add_f64_e32 v[175:176], v[171:172], v[175:176]
	ds_load_b128 v[171:174], v1 offset:1728
	v_fma_f64 v[169:170], v[169:170], v[22:23], v[181:182]
	v_fma_f64 v[22:23], v[167:168], v[22:23], -v[24:25]
	v_add_f64_e32 v[24:25], v[179:180], v[183:184]
	v_add_f64_e32 v[167:168], v[175:176], v[177:178]
	s_wait_loadcnt_dscnt 0x700
	v_mul_f64_e32 v[175:176], v[171:172], v[32:33]
	v_mul_f64_e32 v[32:33], v[173:174], v[32:33]
	v_fma_f64 v[177:178], v[4:5], v[26:27], v[185:186]
	v_fma_f64 v[26:27], v[2:3], v[26:27], -v[28:29]
	v_add_f64_e32 v[28:29], v[24:25], v[22:23]
	v_add_f64_e32 v[167:168], v[167:168], v[169:170]
	ds_load_b128 v[2:5], v1 offset:1744
	ds_load_b128 v[22:25], v1 offset:1760
	v_fma_f64 v[173:174], v[173:174], v[30:31], v[175:176]
	v_fma_f64 v[30:31], v[171:172], v[30:31], -v[32:33]
	s_wait_loadcnt_dscnt 0x601
	v_mul_f64_e32 v[169:170], v[2:3], v[40:41]
	v_mul_f64_e32 v[40:41], v[4:5], v[40:41]
	s_wait_loadcnt_dscnt 0x500
	v_mul_f64_e32 v[32:33], v[22:23], v[165:166]
	v_mul_f64_e32 v[165:166], v[24:25], v[165:166]
	v_add_f64_e32 v[26:27], v[28:29], v[26:27]
	v_add_f64_e32 v[28:29], v[167:168], v[177:178]
	v_fma_f64 v[167:168], v[4:5], v[38:39], v[169:170]
	v_fma_f64 v[38:39], v[2:3], v[38:39], -v[40:41]
	v_fma_f64 v[24:25], v[24:25], v[163:164], v[32:33]
	v_fma_f64 v[22:23], v[22:23], v[163:164], -v[165:166]
	v_add_f64_e32 v[30:31], v[26:27], v[30:31]
	v_add_f64_e32 v[40:41], v[28:29], v[173:174]
	ds_load_b128 v[2:5], v1 offset:1776
	ds_load_b128 v[26:29], v1 offset:1792
	s_wait_loadcnt_dscnt 0x401
	v_mul_f64_e32 v[169:170], v[2:3], v[36:37]
	v_mul_f64_e32 v[36:37], v[4:5], v[36:37]
	v_add_f64_e32 v[30:31], v[30:31], v[38:39]
	v_add_f64_e32 v[32:33], v[40:41], v[167:168]
	s_wait_loadcnt_dscnt 0x300
	v_mul_f64_e32 v[38:39], v[26:27], v[8:9]
	v_mul_f64_e32 v[8:9], v[28:29], v[8:9]
	v_fma_f64 v[40:41], v[4:5], v[34:35], v[169:170]
	v_fma_f64 v[34:35], v[2:3], v[34:35], -v[36:37]
	v_add_f64_e32 v[30:31], v[30:31], v[22:23]
	v_add_f64_e32 v[32:33], v[32:33], v[24:25]
	ds_load_b128 v[2:5], v1 offset:1808
	ds_load_b128 v[22:25], v1 offset:1824
	v_fma_f64 v[28:29], v[28:29], v[6:7], v[38:39]
	v_fma_f64 v[6:7], v[26:27], v[6:7], -v[8:9]
	s_wait_loadcnt_dscnt 0x201
	v_mul_f64_e32 v[36:37], v[2:3], v[12:13]
	v_mul_f64_e32 v[12:13], v[4:5], v[12:13]
	v_add_f64_e32 v[8:9], v[30:31], v[34:35]
	v_add_f64_e32 v[26:27], v[32:33], v[40:41]
	s_wait_loadcnt_dscnt 0x100
	v_mul_f64_e32 v[30:31], v[22:23], v[16:17]
	v_mul_f64_e32 v[16:17], v[24:25], v[16:17]
	v_fma_f64 v[32:33], v[4:5], v[10:11], v[36:37]
	v_fma_f64 v[10:11], v[2:3], v[10:11], -v[12:13]
	ds_load_b128 v[2:5], v1 offset:1840
	v_add_f64_e32 v[6:7], v[8:9], v[6:7]
	v_add_f64_e32 v[8:9], v[26:27], v[28:29]
	v_fma_f64 v[24:25], v[24:25], v[14:15], v[30:31]
	v_fma_f64 v[14:15], v[22:23], v[14:15], -v[16:17]
	s_wait_loadcnt_dscnt 0x0
	v_mul_f64_e32 v[12:13], v[2:3], v[20:21]
	v_mul_f64_e32 v[20:21], v[4:5], v[20:21]
	v_add_f64_e32 v[6:7], v[6:7], v[10:11]
	v_add_f64_e32 v[8:9], v[8:9], v[32:33]
	s_delay_alu instid0(VALU_DEP_4) | instskip(NEXT) | instid1(VALU_DEP_4)
	v_fma_f64 v[4:5], v[4:5], v[18:19], v[12:13]
	v_fma_f64 v[2:3], v[2:3], v[18:19], -v[20:21]
	s_delay_alu instid0(VALU_DEP_4) | instskip(NEXT) | instid1(VALU_DEP_4)
	v_add_f64_e32 v[6:7], v[6:7], v[14:15]
	v_add_f64_e32 v[8:9], v[8:9], v[24:25]
	s_delay_alu instid0(VALU_DEP_2) | instskip(NEXT) | instid1(VALU_DEP_2)
	v_add_f64_e32 v[2:3], v[6:7], v[2:3]
	v_add_f64_e32 v[4:5], v[8:9], v[4:5]
	s_delay_alu instid0(VALU_DEP_2) | instskip(NEXT) | instid1(VALU_DEP_2)
	v_add_f64_e64 v[2:3], v[42:43], -v[2:3]
	v_add_f64_e64 v[4:5], v[44:45], -v[4:5]
	scratch_store_b128 off, v[2:5], off offset:528
	v_cmpx_lt_u32_e32 31, v0
	s_cbranch_execz .LBB57_299
; %bb.298:
	scratch_load_b128 v[5:8], off, s26
	v_dual_mov_b32 v2, v1 :: v_dual_mov_b32 v3, v1
	v_mov_b32_e32 v4, v1
	scratch_store_b128 off, v[1:4], off offset:512
	s_wait_loadcnt 0x0
	ds_store_b128 v162, v[5:8]
.LBB57_299:
	s_wait_alu 0xfffe
	s_or_b32 exec_lo, exec_lo, s0
	s_wait_storecnt_dscnt 0x0
	s_barrier_signal -1
	s_barrier_wait -1
	global_inv scope:SCOPE_SE
	s_clause 0x8
	scratch_load_b128 v[2:5], off, off offset:528
	scratch_load_b128 v[6:9], off, off offset:544
	;; [unrolled: 1-line block ×9, first 2 shown]
	ds_load_b128 v[38:41], v1 offset:1440
	ds_load_b128 v[42:45], v1 offset:1456
	s_clause 0x1
	scratch_load_b128 v[163:166], off, off offset:512
	scratch_load_b128 v[167:170], off, off offset:672
	s_mov_b32 s0, exec_lo
	s_wait_loadcnt_dscnt 0xa01
	v_mul_f64_e32 v[171:172], v[40:41], v[4:5]
	v_mul_f64_e32 v[4:5], v[38:39], v[4:5]
	s_wait_loadcnt_dscnt 0x900
	v_mul_f64_e32 v[175:176], v[42:43], v[8:9]
	v_mul_f64_e32 v[8:9], v[44:45], v[8:9]
	s_delay_alu instid0(VALU_DEP_4) | instskip(NEXT) | instid1(VALU_DEP_4)
	v_fma_f64 v[177:178], v[38:39], v[2:3], -v[171:172]
	v_fma_f64 v[179:180], v[40:41], v[2:3], v[4:5]
	ds_load_b128 v[2:5], v1 offset:1472
	ds_load_b128 v[171:174], v1 offset:1488
	scratch_load_b128 v[38:41], off, off offset:688
	v_fma_f64 v[44:45], v[44:45], v[6:7], v[175:176]
	v_fma_f64 v[42:43], v[42:43], v[6:7], -v[8:9]
	scratch_load_b128 v[6:9], off, off offset:704
	s_wait_loadcnt_dscnt 0xa01
	v_mul_f64_e32 v[181:182], v[2:3], v[12:13]
	v_mul_f64_e32 v[12:13], v[4:5], v[12:13]
	v_add_f64_e32 v[175:176], 0, v[177:178]
	v_add_f64_e32 v[177:178], 0, v[179:180]
	s_wait_loadcnt_dscnt 0x900
	v_mul_f64_e32 v[179:180], v[171:172], v[16:17]
	v_mul_f64_e32 v[16:17], v[173:174], v[16:17]
	v_fma_f64 v[181:182], v[4:5], v[10:11], v[181:182]
	v_fma_f64 v[183:184], v[2:3], v[10:11], -v[12:13]
	ds_load_b128 v[2:5], v1 offset:1504
	scratch_load_b128 v[10:13], off, off offset:720
	v_add_f64_e32 v[175:176], v[175:176], v[42:43]
	v_add_f64_e32 v[177:178], v[177:178], v[44:45]
	ds_load_b128 v[42:45], v1 offset:1520
	v_fma_f64 v[173:174], v[173:174], v[14:15], v[179:180]
	v_fma_f64 v[171:172], v[171:172], v[14:15], -v[16:17]
	scratch_load_b128 v[14:17], off, off offset:736
	s_wait_loadcnt_dscnt 0xa01
	v_mul_f64_e32 v[185:186], v[2:3], v[20:21]
	v_mul_f64_e32 v[20:21], v[4:5], v[20:21]
	s_wait_loadcnt_dscnt 0x900
	v_mul_f64_e32 v[179:180], v[42:43], v[24:25]
	v_mul_f64_e32 v[24:25], v[44:45], v[24:25]
	v_add_f64_e32 v[175:176], v[175:176], v[183:184]
	v_add_f64_e32 v[177:178], v[177:178], v[181:182]
	v_fma_f64 v[181:182], v[4:5], v[18:19], v[185:186]
	v_fma_f64 v[183:184], v[2:3], v[18:19], -v[20:21]
	ds_load_b128 v[2:5], v1 offset:1536
	scratch_load_b128 v[18:21], off, off offset:752
	v_fma_f64 v[44:45], v[44:45], v[22:23], v[179:180]
	v_fma_f64 v[42:43], v[42:43], v[22:23], -v[24:25]
	scratch_load_b128 v[22:25], off, off offset:768
	v_add_f64_e32 v[175:176], v[175:176], v[171:172]
	v_add_f64_e32 v[177:178], v[177:178], v[173:174]
	ds_load_b128 v[171:174], v1 offset:1552
	s_wait_loadcnt_dscnt 0xa01
	v_mul_f64_e32 v[185:186], v[2:3], v[28:29]
	v_mul_f64_e32 v[28:29], v[4:5], v[28:29]
	s_wait_loadcnt_dscnt 0x900
	v_mul_f64_e32 v[179:180], v[171:172], v[32:33]
	v_mul_f64_e32 v[32:33], v[173:174], v[32:33]
	v_add_f64_e32 v[175:176], v[175:176], v[183:184]
	v_add_f64_e32 v[177:178], v[177:178], v[181:182]
	v_fma_f64 v[181:182], v[4:5], v[26:27], v[185:186]
	v_fma_f64 v[183:184], v[2:3], v[26:27], -v[28:29]
	ds_load_b128 v[2:5], v1 offset:1568
	scratch_load_b128 v[26:29], off, off offset:784
	v_fma_f64 v[173:174], v[173:174], v[30:31], v[179:180]
	v_fma_f64 v[171:172], v[171:172], v[30:31], -v[32:33]
	scratch_load_b128 v[30:33], off, off offset:800
	v_add_f64_e32 v[175:176], v[175:176], v[42:43]
	v_add_f64_e32 v[177:178], v[177:178], v[44:45]
	ds_load_b128 v[42:45], v1 offset:1584
	s_wait_loadcnt_dscnt 0xa01
	v_mul_f64_e32 v[185:186], v[2:3], v[36:37]
	v_mul_f64_e32 v[36:37], v[4:5], v[36:37]
	s_wait_loadcnt_dscnt 0x800
	v_mul_f64_e32 v[179:180], v[42:43], v[169:170]
	v_add_f64_e32 v[175:176], v[175:176], v[183:184]
	v_add_f64_e32 v[177:178], v[177:178], v[181:182]
	v_mul_f64_e32 v[181:182], v[44:45], v[169:170]
	v_fma_f64 v[183:184], v[4:5], v[34:35], v[185:186]
	v_fma_f64 v[185:186], v[2:3], v[34:35], -v[36:37]
	ds_load_b128 v[2:5], v1 offset:1600
	scratch_load_b128 v[34:37], off, off offset:816
	v_fma_f64 v[44:45], v[44:45], v[167:168], v[179:180]
	v_add_f64_e32 v[175:176], v[175:176], v[171:172]
	v_add_f64_e32 v[173:174], v[177:178], v[173:174]
	ds_load_b128 v[169:172], v1 offset:1616
	v_fma_f64 v[167:168], v[42:43], v[167:168], -v[181:182]
	s_wait_loadcnt_dscnt 0x801
	v_mul_f64_e32 v[177:178], v[2:3], v[40:41]
	v_mul_f64_e32 v[187:188], v[4:5], v[40:41]
	scratch_load_b128 v[40:43], off, off offset:832
	s_wait_loadcnt_dscnt 0x800
	v_mul_f64_e32 v[181:182], v[169:170], v[8:9]
	v_mul_f64_e32 v[8:9], v[171:172], v[8:9]
	v_add_f64_e32 v[175:176], v[175:176], v[185:186]
	v_add_f64_e32 v[173:174], v[173:174], v[183:184]
	v_fma_f64 v[183:184], v[4:5], v[38:39], v[177:178]
	v_fma_f64 v[38:39], v[2:3], v[38:39], -v[187:188]
	ds_load_b128 v[2:5], v1 offset:1632
	ds_load_b128 v[177:180], v1 offset:1648
	v_fma_f64 v[171:172], v[171:172], v[6:7], v[181:182]
	v_fma_f64 v[169:170], v[169:170], v[6:7], -v[8:9]
	scratch_load_b128 v[6:9], off, off offset:864
	v_add_f64_e32 v[167:168], v[175:176], v[167:168]
	v_add_f64_e32 v[44:45], v[173:174], v[44:45]
	scratch_load_b128 v[173:176], off, off offset:848
	s_wait_loadcnt_dscnt 0x901
	v_mul_f64_e32 v[185:186], v[2:3], v[12:13]
	v_mul_f64_e32 v[12:13], v[4:5], v[12:13]
	s_wait_loadcnt_dscnt 0x800
	v_mul_f64_e32 v[181:182], v[177:178], v[16:17]
	v_mul_f64_e32 v[16:17], v[179:180], v[16:17]
	v_add_f64_e32 v[38:39], v[167:168], v[38:39]
	v_add_f64_e32 v[44:45], v[44:45], v[183:184]
	v_fma_f64 v[183:184], v[4:5], v[10:11], v[185:186]
	v_fma_f64 v[185:186], v[2:3], v[10:11], -v[12:13]
	ds_load_b128 v[2:5], v1 offset:1664
	scratch_load_b128 v[10:13], off, off offset:880
	v_fma_f64 v[179:180], v[179:180], v[14:15], v[181:182]
	v_fma_f64 v[177:178], v[177:178], v[14:15], -v[16:17]
	scratch_load_b128 v[14:17], off, off offset:896
	v_add_f64_e32 v[38:39], v[38:39], v[169:170]
	v_add_f64_e32 v[44:45], v[44:45], v[171:172]
	ds_load_b128 v[167:170], v1 offset:1680
	s_wait_loadcnt_dscnt 0x901
	v_mul_f64_e32 v[171:172], v[2:3], v[20:21]
	v_mul_f64_e32 v[20:21], v[4:5], v[20:21]
	s_wait_loadcnt_dscnt 0x800
	v_mul_f64_e32 v[181:182], v[167:168], v[24:25]
	v_mul_f64_e32 v[24:25], v[169:170], v[24:25]
	v_add_f64_e32 v[38:39], v[38:39], v[185:186]
	v_add_f64_e32 v[44:45], v[44:45], v[183:184]
	v_fma_f64 v[171:172], v[4:5], v[18:19], v[171:172]
	v_fma_f64 v[183:184], v[2:3], v[18:19], -v[20:21]
	ds_load_b128 v[2:5], v1 offset:1696
	scratch_load_b128 v[18:21], off, off offset:912
	v_fma_f64 v[169:170], v[169:170], v[22:23], v[181:182]
	v_fma_f64 v[167:168], v[167:168], v[22:23], -v[24:25]
	scratch_load_b128 v[22:25], off, off offset:928
	v_add_f64_e32 v[38:39], v[38:39], v[177:178]
	v_add_f64_e32 v[44:45], v[44:45], v[179:180]
	ds_load_b128 v[177:180], v1 offset:1712
	s_wait_loadcnt_dscnt 0x901
	v_mul_f64_e32 v[185:186], v[2:3], v[28:29]
	v_mul_f64_e32 v[28:29], v[4:5], v[28:29]
	v_add_f64_e32 v[38:39], v[38:39], v[183:184]
	v_add_f64_e32 v[44:45], v[44:45], v[171:172]
	s_wait_loadcnt_dscnt 0x800
	v_mul_f64_e32 v[171:172], v[177:178], v[32:33]
	v_mul_f64_e32 v[32:33], v[179:180], v[32:33]
	v_fma_f64 v[181:182], v[4:5], v[26:27], v[185:186]
	v_fma_f64 v[183:184], v[2:3], v[26:27], -v[28:29]
	ds_load_b128 v[2:5], v1 offset:1728
	ds_load_b128 v[26:29], v1 offset:1744
	v_add_f64_e32 v[38:39], v[38:39], v[167:168]
	v_add_f64_e32 v[44:45], v[44:45], v[169:170]
	s_wait_loadcnt_dscnt 0x701
	v_mul_f64_e32 v[167:168], v[2:3], v[36:37]
	v_mul_f64_e32 v[36:37], v[4:5], v[36:37]
	v_fma_f64 v[169:170], v[179:180], v[30:31], v[171:172]
	v_fma_f64 v[30:31], v[177:178], v[30:31], -v[32:33]
	v_add_f64_e32 v[32:33], v[38:39], v[183:184]
	v_add_f64_e32 v[38:39], v[44:45], v[181:182]
	s_wait_loadcnt_dscnt 0x600
	v_mul_f64_e32 v[44:45], v[26:27], v[42:43]
	v_mul_f64_e32 v[42:43], v[28:29], v[42:43]
	v_fma_f64 v[167:168], v[4:5], v[34:35], v[167:168]
	v_fma_f64 v[34:35], v[2:3], v[34:35], -v[36:37]
	v_add_f64_e32 v[36:37], v[32:33], v[30:31]
	v_add_f64_e32 v[38:39], v[38:39], v[169:170]
	ds_load_b128 v[2:5], v1 offset:1760
	ds_load_b128 v[30:33], v1 offset:1776
	v_fma_f64 v[28:29], v[28:29], v[40:41], v[44:45]
	v_fma_f64 v[26:27], v[26:27], v[40:41], -v[42:43]
	s_wait_loadcnt_dscnt 0x401
	v_mul_f64_e32 v[169:170], v[2:3], v[175:176]
	v_mul_f64_e32 v[171:172], v[4:5], v[175:176]
	v_add_f64_e32 v[34:35], v[36:37], v[34:35]
	v_add_f64_e32 v[36:37], v[38:39], v[167:168]
	s_wait_dscnt 0x0
	v_mul_f64_e32 v[38:39], v[30:31], v[8:9]
	v_mul_f64_e32 v[8:9], v[32:33], v[8:9]
	v_fma_f64 v[40:41], v[4:5], v[173:174], v[169:170]
	v_fma_f64 v[42:43], v[2:3], v[173:174], -v[171:172]
	v_add_f64_e32 v[34:35], v[34:35], v[26:27]
	v_add_f64_e32 v[36:37], v[36:37], v[28:29]
	ds_load_b128 v[2:5], v1 offset:1792
	ds_load_b128 v[26:29], v1 offset:1808
	v_fma_f64 v[32:33], v[32:33], v[6:7], v[38:39]
	v_fma_f64 v[6:7], v[30:31], v[6:7], -v[8:9]
	s_wait_loadcnt_dscnt 0x301
	v_mul_f64_e32 v[44:45], v[2:3], v[12:13]
	v_mul_f64_e32 v[12:13], v[4:5], v[12:13]
	v_add_f64_e32 v[8:9], v[34:35], v[42:43]
	v_add_f64_e32 v[30:31], v[36:37], v[40:41]
	s_wait_loadcnt_dscnt 0x200
	v_mul_f64_e32 v[34:35], v[26:27], v[16:17]
	v_mul_f64_e32 v[16:17], v[28:29], v[16:17]
	v_fma_f64 v[36:37], v[4:5], v[10:11], v[44:45]
	v_fma_f64 v[10:11], v[2:3], v[10:11], -v[12:13]
	v_add_f64_e32 v[12:13], v[8:9], v[6:7]
	v_add_f64_e32 v[30:31], v[30:31], v[32:33]
	ds_load_b128 v[2:5], v1 offset:1824
	ds_load_b128 v[6:9], v1 offset:1840
	v_fma_f64 v[28:29], v[28:29], v[14:15], v[34:35]
	v_fma_f64 v[14:15], v[26:27], v[14:15], -v[16:17]
	s_wait_loadcnt_dscnt 0x101
	v_mul_f64_e32 v[32:33], v[2:3], v[20:21]
	v_mul_f64_e32 v[20:21], v[4:5], v[20:21]
	s_wait_loadcnt_dscnt 0x0
	v_mul_f64_e32 v[16:17], v[6:7], v[24:25]
	v_mul_f64_e32 v[24:25], v[8:9], v[24:25]
	v_add_f64_e32 v[10:11], v[12:13], v[10:11]
	v_add_f64_e32 v[12:13], v[30:31], v[36:37]
	v_fma_f64 v[4:5], v[4:5], v[18:19], v[32:33]
	v_fma_f64 v[1:2], v[2:3], v[18:19], -v[20:21]
	v_fma_f64 v[8:9], v[8:9], v[22:23], v[16:17]
	v_fma_f64 v[6:7], v[6:7], v[22:23], -v[24:25]
	v_add_f64_e32 v[10:11], v[10:11], v[14:15]
	v_add_f64_e32 v[12:13], v[12:13], v[28:29]
	s_delay_alu instid0(VALU_DEP_2) | instskip(NEXT) | instid1(VALU_DEP_2)
	v_add_f64_e32 v[1:2], v[10:11], v[1:2]
	v_add_f64_e32 v[3:4], v[12:13], v[4:5]
	s_delay_alu instid0(VALU_DEP_2) | instskip(NEXT) | instid1(VALU_DEP_2)
	;; [unrolled: 3-line block ×3, first 2 shown]
	v_add_f64_e64 v[1:2], v[163:164], -v[1:2]
	v_add_f64_e64 v[3:4], v[165:166], -v[3:4]
	scratch_store_b128 off, v[1:4], off offset:512
	v_cmpx_lt_u32_e32 30, v0
	s_cbranch_execz .LBB57_301
; %bb.300:
	scratch_load_b128 v[1:4], off, s31
	v_mov_b32_e32 v5, 0
	s_delay_alu instid0(VALU_DEP_1)
	v_dual_mov_b32 v6, v5 :: v_dual_mov_b32 v7, v5
	v_mov_b32_e32 v8, v5
	scratch_store_b128 off, v[5:8], off offset:496
	s_wait_loadcnt 0x0
	ds_store_b128 v162, v[1:4]
.LBB57_301:
	s_wait_alu 0xfffe
	s_or_b32 exec_lo, exec_lo, s0
	s_wait_storecnt_dscnt 0x0
	s_barrier_signal -1
	s_barrier_wait -1
	global_inv scope:SCOPE_SE
	s_clause 0x7
	scratch_load_b128 v[2:5], off, off offset:512
	scratch_load_b128 v[6:9], off, off offset:528
	scratch_load_b128 v[10:13], off, off offset:544
	scratch_load_b128 v[14:17], off, off offset:560
	scratch_load_b128 v[18:21], off, off offset:576
	scratch_load_b128 v[22:25], off, off offset:592
	scratch_load_b128 v[26:29], off, off offset:608
	scratch_load_b128 v[30:33], off, off offset:624
	v_mov_b32_e32 v1, 0
	s_mov_b32 s0, exec_lo
	ds_load_b128 v[34:37], v1 offset:1424
	s_clause 0x1
	scratch_load_b128 v[38:41], off, off offset:640
	scratch_load_b128 v[42:45], off, off offset:496
	ds_load_b128 v[163:166], v1 offset:1440
	scratch_load_b128 v[167:170], off, off offset:656
	s_wait_loadcnt_dscnt 0xa01
	v_mul_f64_e32 v[171:172], v[36:37], v[4:5]
	v_mul_f64_e32 v[4:5], v[34:35], v[4:5]
	s_delay_alu instid0(VALU_DEP_2) | instskip(NEXT) | instid1(VALU_DEP_2)
	v_fma_f64 v[177:178], v[34:35], v[2:3], -v[171:172]
	v_fma_f64 v[179:180], v[36:37], v[2:3], v[4:5]
	ds_load_b128 v[2:5], v1 offset:1456
	s_wait_loadcnt_dscnt 0x901
	v_mul_f64_e32 v[175:176], v[163:164], v[8:9]
	v_mul_f64_e32 v[8:9], v[165:166], v[8:9]
	scratch_load_b128 v[34:37], off, off offset:672
	ds_load_b128 v[171:174], v1 offset:1472
	s_wait_loadcnt_dscnt 0x901
	v_mul_f64_e32 v[181:182], v[2:3], v[12:13]
	v_mul_f64_e32 v[12:13], v[4:5], v[12:13]
	v_fma_f64 v[165:166], v[165:166], v[6:7], v[175:176]
	v_fma_f64 v[163:164], v[163:164], v[6:7], -v[8:9]
	v_add_f64_e32 v[175:176], 0, v[177:178]
	v_add_f64_e32 v[177:178], 0, v[179:180]
	scratch_load_b128 v[6:9], off, off offset:688
	v_fma_f64 v[181:182], v[4:5], v[10:11], v[181:182]
	v_fma_f64 v[183:184], v[2:3], v[10:11], -v[12:13]
	ds_load_b128 v[2:5], v1 offset:1488
	s_wait_loadcnt_dscnt 0x901
	v_mul_f64_e32 v[179:180], v[171:172], v[16:17]
	v_mul_f64_e32 v[16:17], v[173:174], v[16:17]
	scratch_load_b128 v[10:13], off, off offset:704
	v_add_f64_e32 v[175:176], v[175:176], v[163:164]
	v_add_f64_e32 v[177:178], v[177:178], v[165:166]
	s_wait_loadcnt_dscnt 0x900
	v_mul_f64_e32 v[185:186], v[2:3], v[20:21]
	v_mul_f64_e32 v[20:21], v[4:5], v[20:21]
	ds_load_b128 v[163:166], v1 offset:1504
	v_fma_f64 v[173:174], v[173:174], v[14:15], v[179:180]
	v_fma_f64 v[171:172], v[171:172], v[14:15], -v[16:17]
	scratch_load_b128 v[14:17], off, off offset:720
	v_add_f64_e32 v[175:176], v[175:176], v[183:184]
	v_add_f64_e32 v[177:178], v[177:178], v[181:182]
	v_fma_f64 v[181:182], v[4:5], v[18:19], v[185:186]
	v_fma_f64 v[183:184], v[2:3], v[18:19], -v[20:21]
	ds_load_b128 v[2:5], v1 offset:1520
	s_wait_loadcnt_dscnt 0x901
	v_mul_f64_e32 v[179:180], v[163:164], v[24:25]
	v_mul_f64_e32 v[24:25], v[165:166], v[24:25]
	scratch_load_b128 v[18:21], off, off offset:736
	s_wait_loadcnt_dscnt 0x900
	v_mul_f64_e32 v[185:186], v[2:3], v[28:29]
	v_mul_f64_e32 v[28:29], v[4:5], v[28:29]
	v_add_f64_e32 v[175:176], v[175:176], v[171:172]
	v_add_f64_e32 v[177:178], v[177:178], v[173:174]
	ds_load_b128 v[171:174], v1 offset:1536
	v_fma_f64 v[165:166], v[165:166], v[22:23], v[179:180]
	v_fma_f64 v[163:164], v[163:164], v[22:23], -v[24:25]
	scratch_load_b128 v[22:25], off, off offset:752
	v_add_f64_e32 v[175:176], v[175:176], v[183:184]
	v_add_f64_e32 v[177:178], v[177:178], v[181:182]
	v_fma_f64 v[181:182], v[4:5], v[26:27], v[185:186]
	v_fma_f64 v[183:184], v[2:3], v[26:27], -v[28:29]
	ds_load_b128 v[2:5], v1 offset:1552
	s_wait_loadcnt_dscnt 0x901
	v_mul_f64_e32 v[179:180], v[171:172], v[32:33]
	v_mul_f64_e32 v[32:33], v[173:174], v[32:33]
	scratch_load_b128 v[26:29], off, off offset:768
	s_wait_loadcnt_dscnt 0x900
	v_mul_f64_e32 v[185:186], v[2:3], v[40:41]
	v_mul_f64_e32 v[40:41], v[4:5], v[40:41]
	v_add_f64_e32 v[175:176], v[175:176], v[163:164]
	v_add_f64_e32 v[177:178], v[177:178], v[165:166]
	ds_load_b128 v[163:166], v1 offset:1568
	v_fma_f64 v[173:174], v[173:174], v[30:31], v[179:180]
	v_fma_f64 v[171:172], v[171:172], v[30:31], -v[32:33]
	scratch_load_b128 v[30:33], off, off offset:784
	v_add_f64_e32 v[175:176], v[175:176], v[183:184]
	v_add_f64_e32 v[177:178], v[177:178], v[181:182]
	v_fma_f64 v[183:184], v[4:5], v[38:39], v[185:186]
	v_fma_f64 v[185:186], v[2:3], v[38:39], -v[40:41]
	ds_load_b128 v[2:5], v1 offset:1584
	s_wait_loadcnt_dscnt 0x801
	v_mul_f64_e32 v[179:180], v[163:164], v[169:170]
	v_mul_f64_e32 v[181:182], v[165:166], v[169:170]
	scratch_load_b128 v[38:41], off, off offset:800
	v_add_f64_e32 v[175:176], v[175:176], v[171:172]
	v_add_f64_e32 v[173:174], v[177:178], v[173:174]
	ds_load_b128 v[169:172], v1 offset:1600
	v_fma_f64 v[179:180], v[165:166], v[167:168], v[179:180]
	v_fma_f64 v[167:168], v[163:164], v[167:168], -v[181:182]
	scratch_load_b128 v[163:166], off, off offset:816
	s_wait_loadcnt_dscnt 0x901
	v_mul_f64_e32 v[177:178], v[2:3], v[36:37]
	v_mul_f64_e32 v[36:37], v[4:5], v[36:37]
	v_add_f64_e32 v[175:176], v[175:176], v[185:186]
	v_add_f64_e32 v[173:174], v[173:174], v[183:184]
	s_delay_alu instid0(VALU_DEP_4) | instskip(NEXT) | instid1(VALU_DEP_4)
	v_fma_f64 v[177:178], v[4:5], v[34:35], v[177:178]
	v_fma_f64 v[183:184], v[2:3], v[34:35], -v[36:37]
	ds_load_b128 v[2:5], v1 offset:1616
	s_wait_loadcnt_dscnt 0x801
	v_mul_f64_e32 v[181:182], v[169:170], v[8:9]
	v_mul_f64_e32 v[8:9], v[171:172], v[8:9]
	scratch_load_b128 v[34:37], off, off offset:832
	s_wait_loadcnt_dscnt 0x800
	v_mul_f64_e32 v[185:186], v[2:3], v[12:13]
	v_add_f64_e32 v[167:168], v[175:176], v[167:168]
	v_add_f64_e32 v[179:180], v[173:174], v[179:180]
	v_mul_f64_e32 v[12:13], v[4:5], v[12:13]
	ds_load_b128 v[173:176], v1 offset:1632
	v_fma_f64 v[171:172], v[171:172], v[6:7], v[181:182]
	v_fma_f64 v[169:170], v[169:170], v[6:7], -v[8:9]
	scratch_load_b128 v[6:9], off, off offset:848
	v_fma_f64 v[181:182], v[4:5], v[10:11], v[185:186]
	v_add_f64_e32 v[167:168], v[167:168], v[183:184]
	v_add_f64_e32 v[177:178], v[179:180], v[177:178]
	v_fma_f64 v[183:184], v[2:3], v[10:11], -v[12:13]
	ds_load_b128 v[2:5], v1 offset:1648
	s_wait_loadcnt_dscnt 0x801
	v_mul_f64_e32 v[179:180], v[173:174], v[16:17]
	v_mul_f64_e32 v[16:17], v[175:176], v[16:17]
	scratch_load_b128 v[10:13], off, off offset:864
	v_add_f64_e32 v[185:186], v[167:168], v[169:170]
	v_add_f64_e32 v[171:172], v[177:178], v[171:172]
	s_wait_loadcnt_dscnt 0x800
	v_mul_f64_e32 v[177:178], v[2:3], v[20:21]
	v_mul_f64_e32 v[20:21], v[4:5], v[20:21]
	v_fma_f64 v[175:176], v[175:176], v[14:15], v[179:180]
	v_fma_f64 v[173:174], v[173:174], v[14:15], -v[16:17]
	ds_load_b128 v[167:170], v1 offset:1664
	scratch_load_b128 v[14:17], off, off offset:880
	v_add_f64_e32 v[179:180], v[185:186], v[183:184]
	v_add_f64_e32 v[171:172], v[171:172], v[181:182]
	v_fma_f64 v[177:178], v[4:5], v[18:19], v[177:178]
	v_fma_f64 v[183:184], v[2:3], v[18:19], -v[20:21]
	ds_load_b128 v[2:5], v1 offset:1680
	s_wait_loadcnt_dscnt 0x801
	v_mul_f64_e32 v[181:182], v[167:168], v[24:25]
	v_mul_f64_e32 v[24:25], v[169:170], v[24:25]
	scratch_load_b128 v[18:21], off, off offset:896
	s_wait_loadcnt_dscnt 0x800
	v_mul_f64_e32 v[185:186], v[2:3], v[28:29]
	v_mul_f64_e32 v[28:29], v[4:5], v[28:29]
	v_add_f64_e32 v[179:180], v[179:180], v[173:174]
	v_add_f64_e32 v[175:176], v[171:172], v[175:176]
	ds_load_b128 v[171:174], v1 offset:1696
	v_fma_f64 v[169:170], v[169:170], v[22:23], v[181:182]
	v_fma_f64 v[167:168], v[167:168], v[22:23], -v[24:25]
	scratch_load_b128 v[22:25], off, off offset:912
	v_fma_f64 v[181:182], v[4:5], v[26:27], v[185:186]
	v_add_f64_e32 v[179:180], v[179:180], v[183:184]
	v_add_f64_e32 v[175:176], v[175:176], v[177:178]
	v_fma_f64 v[183:184], v[2:3], v[26:27], -v[28:29]
	ds_load_b128 v[2:5], v1 offset:1712
	s_wait_loadcnt_dscnt 0x801
	v_mul_f64_e32 v[177:178], v[171:172], v[32:33]
	v_mul_f64_e32 v[32:33], v[173:174], v[32:33]
	scratch_load_b128 v[26:29], off, off offset:928
	s_wait_loadcnt_dscnt 0x800
	v_mul_f64_e32 v[185:186], v[2:3], v[40:41]
	v_mul_f64_e32 v[40:41], v[4:5], v[40:41]
	v_add_f64_e32 v[179:180], v[179:180], v[167:168]
	v_add_f64_e32 v[175:176], v[175:176], v[169:170]
	ds_load_b128 v[167:170], v1 offset:1728
	v_fma_f64 v[173:174], v[173:174], v[30:31], v[177:178]
	v_fma_f64 v[30:31], v[171:172], v[30:31], -v[32:33]
	v_fma_f64 v[177:178], v[4:5], v[38:39], v[185:186]
	v_fma_f64 v[38:39], v[2:3], v[38:39], -v[40:41]
	v_add_f64_e32 v[32:33], v[179:180], v[183:184]
	v_add_f64_e32 v[171:172], v[175:176], v[181:182]
	s_wait_loadcnt_dscnt 0x700
	v_mul_f64_e32 v[175:176], v[167:168], v[165:166]
	v_mul_f64_e32 v[165:166], v[169:170], v[165:166]
	s_delay_alu instid0(VALU_DEP_4) | instskip(NEXT) | instid1(VALU_DEP_4)
	v_add_f64_e32 v[40:41], v[32:33], v[30:31]
	v_add_f64_e32 v[171:172], v[171:172], v[173:174]
	ds_load_b128 v[2:5], v1 offset:1744
	ds_load_b128 v[30:33], v1 offset:1760
	v_fma_f64 v[169:170], v[169:170], v[163:164], v[175:176]
	v_fma_f64 v[163:164], v[167:168], v[163:164], -v[165:166]
	s_wait_loadcnt_dscnt 0x601
	v_mul_f64_e32 v[173:174], v[2:3], v[36:37]
	v_mul_f64_e32 v[36:37], v[4:5], v[36:37]
	s_wait_loadcnt_dscnt 0x500
	v_mul_f64_e32 v[165:166], v[30:31], v[8:9]
	v_mul_f64_e32 v[8:9], v[32:33], v[8:9]
	v_add_f64_e32 v[38:39], v[40:41], v[38:39]
	v_add_f64_e32 v[40:41], v[171:172], v[177:178]
	v_fma_f64 v[167:168], v[4:5], v[34:35], v[173:174]
	v_fma_f64 v[171:172], v[2:3], v[34:35], -v[36:37]
	ds_load_b128 v[2:5], v1 offset:1776
	ds_load_b128 v[34:37], v1 offset:1792
	v_fma_f64 v[32:33], v[32:33], v[6:7], v[165:166]
	v_fma_f64 v[6:7], v[30:31], v[6:7], -v[8:9]
	v_add_f64_e32 v[38:39], v[38:39], v[163:164]
	v_add_f64_e32 v[40:41], v[40:41], v[169:170]
	s_wait_loadcnt_dscnt 0x401
	v_mul_f64_e32 v[163:164], v[2:3], v[12:13]
	v_mul_f64_e32 v[12:13], v[4:5], v[12:13]
	s_delay_alu instid0(VALU_DEP_4) | instskip(NEXT) | instid1(VALU_DEP_4)
	v_add_f64_e32 v[8:9], v[38:39], v[171:172]
	v_add_f64_e32 v[30:31], v[40:41], v[167:168]
	s_wait_loadcnt_dscnt 0x300
	v_mul_f64_e32 v[38:39], v[34:35], v[16:17]
	v_mul_f64_e32 v[16:17], v[36:37], v[16:17]
	v_fma_f64 v[40:41], v[4:5], v[10:11], v[163:164]
	v_fma_f64 v[10:11], v[2:3], v[10:11], -v[12:13]
	v_add_f64_e32 v[12:13], v[8:9], v[6:7]
	v_add_f64_e32 v[30:31], v[30:31], v[32:33]
	ds_load_b128 v[2:5], v1 offset:1808
	ds_load_b128 v[6:9], v1 offset:1824
	v_fma_f64 v[36:37], v[36:37], v[14:15], v[38:39]
	v_fma_f64 v[14:15], v[34:35], v[14:15], -v[16:17]
	s_wait_loadcnt_dscnt 0x201
	v_mul_f64_e32 v[32:33], v[2:3], v[20:21]
	v_mul_f64_e32 v[20:21], v[4:5], v[20:21]
	s_wait_loadcnt_dscnt 0x100
	v_mul_f64_e32 v[16:17], v[6:7], v[24:25]
	v_mul_f64_e32 v[24:25], v[8:9], v[24:25]
	v_add_f64_e32 v[10:11], v[12:13], v[10:11]
	v_add_f64_e32 v[12:13], v[30:31], v[40:41]
	v_fma_f64 v[30:31], v[4:5], v[18:19], v[32:33]
	v_fma_f64 v[18:19], v[2:3], v[18:19], -v[20:21]
	ds_load_b128 v[2:5], v1 offset:1840
	v_fma_f64 v[8:9], v[8:9], v[22:23], v[16:17]
	v_fma_f64 v[6:7], v[6:7], v[22:23], -v[24:25]
	v_add_f64_e32 v[10:11], v[10:11], v[14:15]
	v_add_f64_e32 v[12:13], v[12:13], v[36:37]
	s_wait_loadcnt_dscnt 0x0
	v_mul_f64_e32 v[14:15], v[2:3], v[28:29]
	v_mul_f64_e32 v[20:21], v[4:5], v[28:29]
	s_delay_alu instid0(VALU_DEP_4) | instskip(NEXT) | instid1(VALU_DEP_4)
	v_add_f64_e32 v[10:11], v[10:11], v[18:19]
	v_add_f64_e32 v[12:13], v[12:13], v[30:31]
	s_delay_alu instid0(VALU_DEP_4) | instskip(NEXT) | instid1(VALU_DEP_4)
	v_fma_f64 v[4:5], v[4:5], v[26:27], v[14:15]
	v_fma_f64 v[2:3], v[2:3], v[26:27], -v[20:21]
	s_delay_alu instid0(VALU_DEP_4) | instskip(NEXT) | instid1(VALU_DEP_4)
	v_add_f64_e32 v[6:7], v[10:11], v[6:7]
	v_add_f64_e32 v[8:9], v[12:13], v[8:9]
	s_delay_alu instid0(VALU_DEP_2) | instskip(NEXT) | instid1(VALU_DEP_2)
	v_add_f64_e32 v[2:3], v[6:7], v[2:3]
	v_add_f64_e32 v[4:5], v[8:9], v[4:5]
	s_delay_alu instid0(VALU_DEP_2) | instskip(NEXT) | instid1(VALU_DEP_2)
	v_add_f64_e64 v[2:3], v[42:43], -v[2:3]
	v_add_f64_e64 v[4:5], v[44:45], -v[4:5]
	scratch_store_b128 off, v[2:5], off offset:496
	v_cmpx_lt_u32_e32 29, v0
	s_cbranch_execz .LBB57_303
; %bb.302:
	scratch_load_b128 v[5:8], off, s30
	v_dual_mov_b32 v2, v1 :: v_dual_mov_b32 v3, v1
	v_mov_b32_e32 v4, v1
	scratch_store_b128 off, v[1:4], off offset:480
	s_wait_loadcnt 0x0
	ds_store_b128 v162, v[5:8]
.LBB57_303:
	s_wait_alu 0xfffe
	s_or_b32 exec_lo, exec_lo, s0
	s_wait_storecnt_dscnt 0x0
	s_barrier_signal -1
	s_barrier_wait -1
	global_inv scope:SCOPE_SE
	s_clause 0x8
	scratch_load_b128 v[2:5], off, off offset:496
	scratch_load_b128 v[6:9], off, off offset:512
	;; [unrolled: 1-line block ×9, first 2 shown]
	ds_load_b128 v[38:41], v1 offset:1408
	ds_load_b128 v[42:45], v1 offset:1424
	s_clause 0x1
	scratch_load_b128 v[163:166], off, off offset:480
	scratch_load_b128 v[167:170], off, off offset:640
	s_mov_b32 s0, exec_lo
	s_wait_loadcnt_dscnt 0xa01
	v_mul_f64_e32 v[171:172], v[40:41], v[4:5]
	v_mul_f64_e32 v[4:5], v[38:39], v[4:5]
	s_wait_loadcnt_dscnt 0x900
	v_mul_f64_e32 v[175:176], v[42:43], v[8:9]
	v_mul_f64_e32 v[8:9], v[44:45], v[8:9]
	s_delay_alu instid0(VALU_DEP_4) | instskip(NEXT) | instid1(VALU_DEP_4)
	v_fma_f64 v[177:178], v[38:39], v[2:3], -v[171:172]
	v_fma_f64 v[179:180], v[40:41], v[2:3], v[4:5]
	ds_load_b128 v[2:5], v1 offset:1440
	ds_load_b128 v[171:174], v1 offset:1456
	scratch_load_b128 v[38:41], off, off offset:656
	v_fma_f64 v[44:45], v[44:45], v[6:7], v[175:176]
	v_fma_f64 v[42:43], v[42:43], v[6:7], -v[8:9]
	scratch_load_b128 v[6:9], off, off offset:672
	s_wait_loadcnt_dscnt 0xa01
	v_mul_f64_e32 v[181:182], v[2:3], v[12:13]
	v_mul_f64_e32 v[12:13], v[4:5], v[12:13]
	v_add_f64_e32 v[175:176], 0, v[177:178]
	v_add_f64_e32 v[177:178], 0, v[179:180]
	s_wait_loadcnt_dscnt 0x900
	v_mul_f64_e32 v[179:180], v[171:172], v[16:17]
	v_mul_f64_e32 v[16:17], v[173:174], v[16:17]
	v_fma_f64 v[181:182], v[4:5], v[10:11], v[181:182]
	v_fma_f64 v[183:184], v[2:3], v[10:11], -v[12:13]
	ds_load_b128 v[2:5], v1 offset:1472
	scratch_load_b128 v[10:13], off, off offset:688
	v_add_f64_e32 v[175:176], v[175:176], v[42:43]
	v_add_f64_e32 v[177:178], v[177:178], v[44:45]
	ds_load_b128 v[42:45], v1 offset:1488
	v_fma_f64 v[173:174], v[173:174], v[14:15], v[179:180]
	v_fma_f64 v[171:172], v[171:172], v[14:15], -v[16:17]
	scratch_load_b128 v[14:17], off, off offset:704
	s_wait_loadcnt_dscnt 0xa01
	v_mul_f64_e32 v[185:186], v[2:3], v[20:21]
	v_mul_f64_e32 v[20:21], v[4:5], v[20:21]
	s_wait_loadcnt_dscnt 0x900
	v_mul_f64_e32 v[179:180], v[42:43], v[24:25]
	v_mul_f64_e32 v[24:25], v[44:45], v[24:25]
	v_add_f64_e32 v[175:176], v[175:176], v[183:184]
	v_add_f64_e32 v[177:178], v[177:178], v[181:182]
	v_fma_f64 v[181:182], v[4:5], v[18:19], v[185:186]
	v_fma_f64 v[183:184], v[2:3], v[18:19], -v[20:21]
	ds_load_b128 v[2:5], v1 offset:1504
	scratch_load_b128 v[18:21], off, off offset:720
	v_fma_f64 v[44:45], v[44:45], v[22:23], v[179:180]
	v_fma_f64 v[42:43], v[42:43], v[22:23], -v[24:25]
	scratch_load_b128 v[22:25], off, off offset:736
	v_add_f64_e32 v[175:176], v[175:176], v[171:172]
	v_add_f64_e32 v[177:178], v[177:178], v[173:174]
	ds_load_b128 v[171:174], v1 offset:1520
	s_wait_loadcnt_dscnt 0xa01
	v_mul_f64_e32 v[185:186], v[2:3], v[28:29]
	v_mul_f64_e32 v[28:29], v[4:5], v[28:29]
	s_wait_loadcnt_dscnt 0x900
	v_mul_f64_e32 v[179:180], v[171:172], v[32:33]
	v_mul_f64_e32 v[32:33], v[173:174], v[32:33]
	v_add_f64_e32 v[175:176], v[175:176], v[183:184]
	v_add_f64_e32 v[177:178], v[177:178], v[181:182]
	v_fma_f64 v[181:182], v[4:5], v[26:27], v[185:186]
	v_fma_f64 v[183:184], v[2:3], v[26:27], -v[28:29]
	ds_load_b128 v[2:5], v1 offset:1536
	scratch_load_b128 v[26:29], off, off offset:752
	v_fma_f64 v[173:174], v[173:174], v[30:31], v[179:180]
	v_fma_f64 v[171:172], v[171:172], v[30:31], -v[32:33]
	scratch_load_b128 v[30:33], off, off offset:768
	v_add_f64_e32 v[175:176], v[175:176], v[42:43]
	v_add_f64_e32 v[177:178], v[177:178], v[44:45]
	ds_load_b128 v[42:45], v1 offset:1552
	s_wait_loadcnt_dscnt 0xa01
	v_mul_f64_e32 v[185:186], v[2:3], v[36:37]
	v_mul_f64_e32 v[36:37], v[4:5], v[36:37]
	s_wait_loadcnt_dscnt 0x800
	v_mul_f64_e32 v[179:180], v[42:43], v[169:170]
	v_add_f64_e32 v[175:176], v[175:176], v[183:184]
	v_add_f64_e32 v[177:178], v[177:178], v[181:182]
	v_mul_f64_e32 v[181:182], v[44:45], v[169:170]
	v_fma_f64 v[183:184], v[4:5], v[34:35], v[185:186]
	v_fma_f64 v[185:186], v[2:3], v[34:35], -v[36:37]
	ds_load_b128 v[2:5], v1 offset:1568
	scratch_load_b128 v[34:37], off, off offset:784
	v_fma_f64 v[44:45], v[44:45], v[167:168], v[179:180]
	v_add_f64_e32 v[175:176], v[175:176], v[171:172]
	v_add_f64_e32 v[173:174], v[177:178], v[173:174]
	ds_load_b128 v[169:172], v1 offset:1584
	v_fma_f64 v[167:168], v[42:43], v[167:168], -v[181:182]
	s_wait_loadcnt_dscnt 0x801
	v_mul_f64_e32 v[177:178], v[2:3], v[40:41]
	v_mul_f64_e32 v[187:188], v[4:5], v[40:41]
	scratch_load_b128 v[40:43], off, off offset:800
	s_wait_loadcnt_dscnt 0x800
	v_mul_f64_e32 v[181:182], v[169:170], v[8:9]
	v_mul_f64_e32 v[8:9], v[171:172], v[8:9]
	v_add_f64_e32 v[175:176], v[175:176], v[185:186]
	v_add_f64_e32 v[173:174], v[173:174], v[183:184]
	v_fma_f64 v[183:184], v[4:5], v[38:39], v[177:178]
	v_fma_f64 v[38:39], v[2:3], v[38:39], -v[187:188]
	ds_load_b128 v[2:5], v1 offset:1600
	ds_load_b128 v[177:180], v1 offset:1616
	v_fma_f64 v[171:172], v[171:172], v[6:7], v[181:182]
	v_fma_f64 v[169:170], v[169:170], v[6:7], -v[8:9]
	scratch_load_b128 v[6:9], off, off offset:832
	v_add_f64_e32 v[167:168], v[175:176], v[167:168]
	v_add_f64_e32 v[44:45], v[173:174], v[44:45]
	scratch_load_b128 v[173:176], off, off offset:816
	s_wait_loadcnt_dscnt 0x901
	v_mul_f64_e32 v[185:186], v[2:3], v[12:13]
	v_mul_f64_e32 v[12:13], v[4:5], v[12:13]
	s_wait_loadcnt_dscnt 0x800
	v_mul_f64_e32 v[181:182], v[177:178], v[16:17]
	v_mul_f64_e32 v[16:17], v[179:180], v[16:17]
	v_add_f64_e32 v[38:39], v[167:168], v[38:39]
	v_add_f64_e32 v[44:45], v[44:45], v[183:184]
	v_fma_f64 v[183:184], v[4:5], v[10:11], v[185:186]
	v_fma_f64 v[185:186], v[2:3], v[10:11], -v[12:13]
	ds_load_b128 v[2:5], v1 offset:1632
	scratch_load_b128 v[10:13], off, off offset:848
	v_fma_f64 v[179:180], v[179:180], v[14:15], v[181:182]
	v_fma_f64 v[177:178], v[177:178], v[14:15], -v[16:17]
	scratch_load_b128 v[14:17], off, off offset:864
	v_add_f64_e32 v[38:39], v[38:39], v[169:170]
	v_add_f64_e32 v[44:45], v[44:45], v[171:172]
	ds_load_b128 v[167:170], v1 offset:1648
	s_wait_loadcnt_dscnt 0x901
	v_mul_f64_e32 v[171:172], v[2:3], v[20:21]
	v_mul_f64_e32 v[20:21], v[4:5], v[20:21]
	s_wait_loadcnt_dscnt 0x800
	v_mul_f64_e32 v[181:182], v[167:168], v[24:25]
	v_mul_f64_e32 v[24:25], v[169:170], v[24:25]
	v_add_f64_e32 v[38:39], v[38:39], v[185:186]
	v_add_f64_e32 v[44:45], v[44:45], v[183:184]
	v_fma_f64 v[171:172], v[4:5], v[18:19], v[171:172]
	v_fma_f64 v[183:184], v[2:3], v[18:19], -v[20:21]
	ds_load_b128 v[2:5], v1 offset:1664
	scratch_load_b128 v[18:21], off, off offset:880
	v_fma_f64 v[169:170], v[169:170], v[22:23], v[181:182]
	v_fma_f64 v[167:168], v[167:168], v[22:23], -v[24:25]
	scratch_load_b128 v[22:25], off, off offset:896
	v_add_f64_e32 v[38:39], v[38:39], v[177:178]
	v_add_f64_e32 v[44:45], v[44:45], v[179:180]
	ds_load_b128 v[177:180], v1 offset:1680
	s_wait_loadcnt_dscnt 0x901
	v_mul_f64_e32 v[185:186], v[2:3], v[28:29]
	v_mul_f64_e32 v[28:29], v[4:5], v[28:29]
	v_add_f64_e32 v[38:39], v[38:39], v[183:184]
	v_add_f64_e32 v[44:45], v[44:45], v[171:172]
	s_wait_loadcnt_dscnt 0x800
	v_mul_f64_e32 v[171:172], v[177:178], v[32:33]
	v_mul_f64_e32 v[32:33], v[179:180], v[32:33]
	v_fma_f64 v[181:182], v[4:5], v[26:27], v[185:186]
	v_fma_f64 v[183:184], v[2:3], v[26:27], -v[28:29]
	ds_load_b128 v[2:5], v1 offset:1696
	scratch_load_b128 v[26:29], off, off offset:912
	v_add_f64_e32 v[38:39], v[38:39], v[167:168]
	v_add_f64_e32 v[44:45], v[44:45], v[169:170]
	ds_load_b128 v[167:170], v1 offset:1712
	s_wait_loadcnt_dscnt 0x801
	v_mul_f64_e32 v[185:186], v[2:3], v[36:37]
	v_mul_f64_e32 v[36:37], v[4:5], v[36:37]
	v_fma_f64 v[171:172], v[179:180], v[30:31], v[171:172]
	v_fma_f64 v[177:178], v[177:178], v[30:31], -v[32:33]
	scratch_load_b128 v[30:33], off, off offset:928
	s_wait_loadcnt_dscnt 0x800
	v_mul_f64_e32 v[179:180], v[167:168], v[42:43]
	v_add_f64_e32 v[38:39], v[38:39], v[183:184]
	v_add_f64_e32 v[44:45], v[44:45], v[181:182]
	v_mul_f64_e32 v[42:43], v[169:170], v[42:43]
	v_fma_f64 v[181:182], v[4:5], v[34:35], v[185:186]
	v_fma_f64 v[183:184], v[2:3], v[34:35], -v[36:37]
	ds_load_b128 v[2:5], v1 offset:1728
	ds_load_b128 v[34:37], v1 offset:1744
	v_fma_f64 v[169:170], v[169:170], v[40:41], v[179:180]
	v_add_f64_e32 v[38:39], v[38:39], v[177:178]
	v_add_f64_e32 v[44:45], v[44:45], v[171:172]
	v_fma_f64 v[40:41], v[167:168], v[40:41], -v[42:43]
	s_wait_loadcnt_dscnt 0x601
	v_mul_f64_e32 v[171:172], v[2:3], v[175:176]
	v_mul_f64_e32 v[175:176], v[4:5], v[175:176]
	v_add_f64_e32 v[38:39], v[38:39], v[183:184]
	v_add_f64_e32 v[42:43], v[44:45], v[181:182]
	s_wait_dscnt 0x0
	v_mul_f64_e32 v[44:45], v[34:35], v[8:9]
	v_mul_f64_e32 v[8:9], v[36:37], v[8:9]
	v_fma_f64 v[167:168], v[4:5], v[173:174], v[171:172]
	v_fma_f64 v[171:172], v[2:3], v[173:174], -v[175:176]
	v_add_f64_e32 v[173:174], v[38:39], v[40:41]
	v_add_f64_e32 v[42:43], v[42:43], v[169:170]
	ds_load_b128 v[2:5], v1 offset:1760
	ds_load_b128 v[38:41], v1 offset:1776
	v_fma_f64 v[36:37], v[36:37], v[6:7], v[44:45]
	v_fma_f64 v[6:7], v[34:35], v[6:7], -v[8:9]
	s_wait_loadcnt_dscnt 0x501
	v_mul_f64_e32 v[169:170], v[2:3], v[12:13]
	v_mul_f64_e32 v[12:13], v[4:5], v[12:13]
	v_add_f64_e32 v[8:9], v[173:174], v[171:172]
	v_add_f64_e32 v[34:35], v[42:43], v[167:168]
	s_wait_loadcnt_dscnt 0x400
	v_mul_f64_e32 v[42:43], v[38:39], v[16:17]
	v_mul_f64_e32 v[16:17], v[40:41], v[16:17]
	v_fma_f64 v[44:45], v[4:5], v[10:11], v[169:170]
	v_fma_f64 v[10:11], v[2:3], v[10:11], -v[12:13]
	v_add_f64_e32 v[12:13], v[8:9], v[6:7]
	v_add_f64_e32 v[34:35], v[34:35], v[36:37]
	ds_load_b128 v[2:5], v1 offset:1792
	ds_load_b128 v[6:9], v1 offset:1808
	v_fma_f64 v[40:41], v[40:41], v[14:15], v[42:43]
	v_fma_f64 v[14:15], v[38:39], v[14:15], -v[16:17]
	s_wait_loadcnt_dscnt 0x301
	v_mul_f64_e32 v[36:37], v[2:3], v[20:21]
	v_mul_f64_e32 v[20:21], v[4:5], v[20:21]
	s_wait_loadcnt_dscnt 0x200
	v_mul_f64_e32 v[16:17], v[6:7], v[24:25]
	v_mul_f64_e32 v[24:25], v[8:9], v[24:25]
	v_add_f64_e32 v[10:11], v[12:13], v[10:11]
	v_add_f64_e32 v[12:13], v[34:35], v[44:45]
	v_fma_f64 v[34:35], v[4:5], v[18:19], v[36:37]
	v_fma_f64 v[18:19], v[2:3], v[18:19], -v[20:21]
	v_fma_f64 v[8:9], v[8:9], v[22:23], v[16:17]
	v_fma_f64 v[6:7], v[6:7], v[22:23], -v[24:25]
	v_add_f64_e32 v[14:15], v[10:11], v[14:15]
	v_add_f64_e32 v[20:21], v[12:13], v[40:41]
	ds_load_b128 v[2:5], v1 offset:1824
	ds_load_b128 v[10:13], v1 offset:1840
	s_wait_loadcnt_dscnt 0x101
	v_mul_f64_e32 v[36:37], v[2:3], v[28:29]
	v_mul_f64_e32 v[28:29], v[4:5], v[28:29]
	v_add_f64_e32 v[14:15], v[14:15], v[18:19]
	v_add_f64_e32 v[16:17], v[20:21], v[34:35]
	s_wait_loadcnt_dscnt 0x0
	v_mul_f64_e32 v[18:19], v[10:11], v[32:33]
	v_mul_f64_e32 v[20:21], v[12:13], v[32:33]
	v_fma_f64 v[4:5], v[4:5], v[26:27], v[36:37]
	v_fma_f64 v[1:2], v[2:3], v[26:27], -v[28:29]
	v_add_f64_e32 v[6:7], v[14:15], v[6:7]
	v_add_f64_e32 v[8:9], v[16:17], v[8:9]
	v_fma_f64 v[12:13], v[12:13], v[30:31], v[18:19]
	v_fma_f64 v[10:11], v[10:11], v[30:31], -v[20:21]
	s_delay_alu instid0(VALU_DEP_4) | instskip(NEXT) | instid1(VALU_DEP_4)
	v_add_f64_e32 v[1:2], v[6:7], v[1:2]
	v_add_f64_e32 v[3:4], v[8:9], v[4:5]
	s_delay_alu instid0(VALU_DEP_2) | instskip(NEXT) | instid1(VALU_DEP_2)
	v_add_f64_e32 v[1:2], v[1:2], v[10:11]
	v_add_f64_e32 v[3:4], v[3:4], v[12:13]
	s_delay_alu instid0(VALU_DEP_2) | instskip(NEXT) | instid1(VALU_DEP_2)
	v_add_f64_e64 v[1:2], v[163:164], -v[1:2]
	v_add_f64_e64 v[3:4], v[165:166], -v[3:4]
	scratch_store_b128 off, v[1:4], off offset:480
	v_cmpx_lt_u32_e32 28, v0
	s_cbranch_execz .LBB57_305
; %bb.304:
	scratch_load_b128 v[1:4], off, s36
	v_mov_b32_e32 v5, 0
	s_delay_alu instid0(VALU_DEP_1)
	v_dual_mov_b32 v6, v5 :: v_dual_mov_b32 v7, v5
	v_mov_b32_e32 v8, v5
	scratch_store_b128 off, v[5:8], off offset:464
	s_wait_loadcnt 0x0
	ds_store_b128 v162, v[1:4]
.LBB57_305:
	s_wait_alu 0xfffe
	s_or_b32 exec_lo, exec_lo, s0
	s_wait_storecnt_dscnt 0x0
	s_barrier_signal -1
	s_barrier_wait -1
	global_inv scope:SCOPE_SE
	s_clause 0x7
	scratch_load_b128 v[2:5], off, off offset:480
	scratch_load_b128 v[6:9], off, off offset:496
	scratch_load_b128 v[10:13], off, off offset:512
	scratch_load_b128 v[14:17], off, off offset:528
	scratch_load_b128 v[18:21], off, off offset:544
	scratch_load_b128 v[22:25], off, off offset:560
	scratch_load_b128 v[26:29], off, off offset:576
	scratch_load_b128 v[30:33], off, off offset:592
	v_mov_b32_e32 v1, 0
	s_mov_b32 s0, exec_lo
	ds_load_b128 v[34:37], v1 offset:1392
	s_clause 0x1
	scratch_load_b128 v[38:41], off, off offset:608
	scratch_load_b128 v[42:45], off, off offset:464
	ds_load_b128 v[163:166], v1 offset:1408
	scratch_load_b128 v[167:170], off, off offset:624
	s_wait_loadcnt_dscnt 0xa01
	v_mul_f64_e32 v[171:172], v[36:37], v[4:5]
	v_mul_f64_e32 v[4:5], v[34:35], v[4:5]
	s_delay_alu instid0(VALU_DEP_2) | instskip(NEXT) | instid1(VALU_DEP_2)
	v_fma_f64 v[177:178], v[34:35], v[2:3], -v[171:172]
	v_fma_f64 v[179:180], v[36:37], v[2:3], v[4:5]
	ds_load_b128 v[2:5], v1 offset:1424
	s_wait_loadcnt_dscnt 0x901
	v_mul_f64_e32 v[175:176], v[163:164], v[8:9]
	v_mul_f64_e32 v[8:9], v[165:166], v[8:9]
	scratch_load_b128 v[34:37], off, off offset:640
	ds_load_b128 v[171:174], v1 offset:1440
	s_wait_loadcnt_dscnt 0x901
	v_mul_f64_e32 v[181:182], v[2:3], v[12:13]
	v_mul_f64_e32 v[12:13], v[4:5], v[12:13]
	v_fma_f64 v[165:166], v[165:166], v[6:7], v[175:176]
	v_fma_f64 v[163:164], v[163:164], v[6:7], -v[8:9]
	v_add_f64_e32 v[175:176], 0, v[177:178]
	v_add_f64_e32 v[177:178], 0, v[179:180]
	scratch_load_b128 v[6:9], off, off offset:656
	v_fma_f64 v[181:182], v[4:5], v[10:11], v[181:182]
	v_fma_f64 v[183:184], v[2:3], v[10:11], -v[12:13]
	ds_load_b128 v[2:5], v1 offset:1456
	s_wait_loadcnt_dscnt 0x901
	v_mul_f64_e32 v[179:180], v[171:172], v[16:17]
	v_mul_f64_e32 v[16:17], v[173:174], v[16:17]
	scratch_load_b128 v[10:13], off, off offset:672
	v_add_f64_e32 v[175:176], v[175:176], v[163:164]
	v_add_f64_e32 v[177:178], v[177:178], v[165:166]
	s_wait_loadcnt_dscnt 0x900
	v_mul_f64_e32 v[185:186], v[2:3], v[20:21]
	v_mul_f64_e32 v[20:21], v[4:5], v[20:21]
	ds_load_b128 v[163:166], v1 offset:1472
	v_fma_f64 v[173:174], v[173:174], v[14:15], v[179:180]
	v_fma_f64 v[171:172], v[171:172], v[14:15], -v[16:17]
	scratch_load_b128 v[14:17], off, off offset:688
	v_add_f64_e32 v[175:176], v[175:176], v[183:184]
	v_add_f64_e32 v[177:178], v[177:178], v[181:182]
	v_fma_f64 v[181:182], v[4:5], v[18:19], v[185:186]
	v_fma_f64 v[183:184], v[2:3], v[18:19], -v[20:21]
	ds_load_b128 v[2:5], v1 offset:1488
	s_wait_loadcnt_dscnt 0x901
	v_mul_f64_e32 v[179:180], v[163:164], v[24:25]
	v_mul_f64_e32 v[24:25], v[165:166], v[24:25]
	scratch_load_b128 v[18:21], off, off offset:704
	s_wait_loadcnt_dscnt 0x900
	v_mul_f64_e32 v[185:186], v[2:3], v[28:29]
	v_mul_f64_e32 v[28:29], v[4:5], v[28:29]
	v_add_f64_e32 v[175:176], v[175:176], v[171:172]
	v_add_f64_e32 v[177:178], v[177:178], v[173:174]
	ds_load_b128 v[171:174], v1 offset:1504
	v_fma_f64 v[165:166], v[165:166], v[22:23], v[179:180]
	v_fma_f64 v[163:164], v[163:164], v[22:23], -v[24:25]
	scratch_load_b128 v[22:25], off, off offset:720
	v_add_f64_e32 v[175:176], v[175:176], v[183:184]
	v_add_f64_e32 v[177:178], v[177:178], v[181:182]
	v_fma_f64 v[181:182], v[4:5], v[26:27], v[185:186]
	v_fma_f64 v[183:184], v[2:3], v[26:27], -v[28:29]
	ds_load_b128 v[2:5], v1 offset:1520
	s_wait_loadcnt_dscnt 0x901
	v_mul_f64_e32 v[179:180], v[171:172], v[32:33]
	v_mul_f64_e32 v[32:33], v[173:174], v[32:33]
	scratch_load_b128 v[26:29], off, off offset:736
	s_wait_loadcnt_dscnt 0x900
	v_mul_f64_e32 v[185:186], v[2:3], v[40:41]
	v_mul_f64_e32 v[40:41], v[4:5], v[40:41]
	v_add_f64_e32 v[175:176], v[175:176], v[163:164]
	v_add_f64_e32 v[177:178], v[177:178], v[165:166]
	ds_load_b128 v[163:166], v1 offset:1536
	v_fma_f64 v[173:174], v[173:174], v[30:31], v[179:180]
	v_fma_f64 v[171:172], v[171:172], v[30:31], -v[32:33]
	scratch_load_b128 v[30:33], off, off offset:752
	v_add_f64_e32 v[175:176], v[175:176], v[183:184]
	v_add_f64_e32 v[177:178], v[177:178], v[181:182]
	v_fma_f64 v[183:184], v[4:5], v[38:39], v[185:186]
	v_fma_f64 v[185:186], v[2:3], v[38:39], -v[40:41]
	ds_load_b128 v[2:5], v1 offset:1552
	s_wait_loadcnt_dscnt 0x801
	v_mul_f64_e32 v[179:180], v[163:164], v[169:170]
	v_mul_f64_e32 v[181:182], v[165:166], v[169:170]
	scratch_load_b128 v[38:41], off, off offset:768
	v_add_f64_e32 v[175:176], v[175:176], v[171:172]
	v_add_f64_e32 v[173:174], v[177:178], v[173:174]
	ds_load_b128 v[169:172], v1 offset:1568
	v_fma_f64 v[179:180], v[165:166], v[167:168], v[179:180]
	v_fma_f64 v[167:168], v[163:164], v[167:168], -v[181:182]
	scratch_load_b128 v[163:166], off, off offset:784
	s_wait_loadcnt_dscnt 0x901
	v_mul_f64_e32 v[177:178], v[2:3], v[36:37]
	v_mul_f64_e32 v[36:37], v[4:5], v[36:37]
	v_add_f64_e32 v[175:176], v[175:176], v[185:186]
	v_add_f64_e32 v[173:174], v[173:174], v[183:184]
	s_delay_alu instid0(VALU_DEP_4) | instskip(NEXT) | instid1(VALU_DEP_4)
	v_fma_f64 v[177:178], v[4:5], v[34:35], v[177:178]
	v_fma_f64 v[183:184], v[2:3], v[34:35], -v[36:37]
	ds_load_b128 v[2:5], v1 offset:1584
	s_wait_loadcnt_dscnt 0x801
	v_mul_f64_e32 v[181:182], v[169:170], v[8:9]
	v_mul_f64_e32 v[8:9], v[171:172], v[8:9]
	scratch_load_b128 v[34:37], off, off offset:800
	s_wait_loadcnt_dscnt 0x800
	v_mul_f64_e32 v[185:186], v[2:3], v[12:13]
	v_add_f64_e32 v[167:168], v[175:176], v[167:168]
	v_add_f64_e32 v[179:180], v[173:174], v[179:180]
	v_mul_f64_e32 v[12:13], v[4:5], v[12:13]
	ds_load_b128 v[173:176], v1 offset:1600
	v_fma_f64 v[171:172], v[171:172], v[6:7], v[181:182]
	v_fma_f64 v[169:170], v[169:170], v[6:7], -v[8:9]
	scratch_load_b128 v[6:9], off, off offset:816
	v_fma_f64 v[181:182], v[4:5], v[10:11], v[185:186]
	v_add_f64_e32 v[167:168], v[167:168], v[183:184]
	v_add_f64_e32 v[177:178], v[179:180], v[177:178]
	v_fma_f64 v[183:184], v[2:3], v[10:11], -v[12:13]
	ds_load_b128 v[2:5], v1 offset:1616
	s_wait_loadcnt_dscnt 0x801
	v_mul_f64_e32 v[179:180], v[173:174], v[16:17]
	v_mul_f64_e32 v[16:17], v[175:176], v[16:17]
	scratch_load_b128 v[10:13], off, off offset:832
	v_add_f64_e32 v[185:186], v[167:168], v[169:170]
	v_add_f64_e32 v[171:172], v[177:178], v[171:172]
	s_wait_loadcnt_dscnt 0x800
	v_mul_f64_e32 v[177:178], v[2:3], v[20:21]
	v_mul_f64_e32 v[20:21], v[4:5], v[20:21]
	v_fma_f64 v[175:176], v[175:176], v[14:15], v[179:180]
	v_fma_f64 v[173:174], v[173:174], v[14:15], -v[16:17]
	ds_load_b128 v[167:170], v1 offset:1632
	scratch_load_b128 v[14:17], off, off offset:848
	v_add_f64_e32 v[179:180], v[185:186], v[183:184]
	v_add_f64_e32 v[171:172], v[171:172], v[181:182]
	v_fma_f64 v[177:178], v[4:5], v[18:19], v[177:178]
	v_fma_f64 v[183:184], v[2:3], v[18:19], -v[20:21]
	ds_load_b128 v[2:5], v1 offset:1648
	s_wait_loadcnt_dscnt 0x801
	v_mul_f64_e32 v[181:182], v[167:168], v[24:25]
	v_mul_f64_e32 v[24:25], v[169:170], v[24:25]
	scratch_load_b128 v[18:21], off, off offset:864
	s_wait_loadcnt_dscnt 0x800
	v_mul_f64_e32 v[185:186], v[2:3], v[28:29]
	v_mul_f64_e32 v[28:29], v[4:5], v[28:29]
	v_add_f64_e32 v[179:180], v[179:180], v[173:174]
	v_add_f64_e32 v[175:176], v[171:172], v[175:176]
	ds_load_b128 v[171:174], v1 offset:1664
	v_fma_f64 v[169:170], v[169:170], v[22:23], v[181:182]
	v_fma_f64 v[167:168], v[167:168], v[22:23], -v[24:25]
	scratch_load_b128 v[22:25], off, off offset:880
	v_fma_f64 v[181:182], v[4:5], v[26:27], v[185:186]
	v_add_f64_e32 v[179:180], v[179:180], v[183:184]
	v_add_f64_e32 v[175:176], v[175:176], v[177:178]
	v_fma_f64 v[183:184], v[2:3], v[26:27], -v[28:29]
	ds_load_b128 v[2:5], v1 offset:1680
	s_wait_loadcnt_dscnt 0x801
	v_mul_f64_e32 v[177:178], v[171:172], v[32:33]
	v_mul_f64_e32 v[32:33], v[173:174], v[32:33]
	scratch_load_b128 v[26:29], off, off offset:896
	s_wait_loadcnt_dscnt 0x800
	v_mul_f64_e32 v[185:186], v[2:3], v[40:41]
	v_mul_f64_e32 v[40:41], v[4:5], v[40:41]
	v_add_f64_e32 v[179:180], v[179:180], v[167:168]
	v_add_f64_e32 v[175:176], v[175:176], v[169:170]
	ds_load_b128 v[167:170], v1 offset:1696
	v_fma_f64 v[173:174], v[173:174], v[30:31], v[177:178]
	v_fma_f64 v[171:172], v[171:172], v[30:31], -v[32:33]
	scratch_load_b128 v[30:33], off, off offset:912
	v_add_f64_e32 v[177:178], v[179:180], v[183:184]
	v_add_f64_e32 v[175:176], v[175:176], v[181:182]
	v_fma_f64 v[181:182], v[4:5], v[38:39], v[185:186]
	v_fma_f64 v[183:184], v[2:3], v[38:39], -v[40:41]
	ds_load_b128 v[2:5], v1 offset:1712
	s_wait_loadcnt_dscnt 0x801
	v_mul_f64_e32 v[179:180], v[167:168], v[165:166]
	v_mul_f64_e32 v[165:166], v[169:170], v[165:166]
	scratch_load_b128 v[38:41], off, off offset:928
	s_wait_loadcnt_dscnt 0x800
	v_mul_f64_e32 v[185:186], v[2:3], v[36:37]
	v_mul_f64_e32 v[36:37], v[4:5], v[36:37]
	v_add_f64_e32 v[177:178], v[177:178], v[171:172]
	v_add_f64_e32 v[175:176], v[175:176], v[173:174]
	ds_load_b128 v[171:174], v1 offset:1728
	v_fma_f64 v[169:170], v[169:170], v[163:164], v[179:180]
	v_fma_f64 v[163:164], v[167:168], v[163:164], -v[165:166]
	v_fma_f64 v[179:180], v[2:3], v[34:35], -v[36:37]
	v_add_f64_e32 v[165:166], v[177:178], v[183:184]
	v_add_f64_e32 v[167:168], v[175:176], v[181:182]
	s_wait_loadcnt_dscnt 0x700
	v_mul_f64_e32 v[175:176], v[171:172], v[8:9]
	v_mul_f64_e32 v[8:9], v[173:174], v[8:9]
	v_fma_f64 v[177:178], v[4:5], v[34:35], v[185:186]
	ds_load_b128 v[2:5], v1 offset:1744
	ds_load_b128 v[34:37], v1 offset:1760
	v_add_f64_e32 v[163:164], v[165:166], v[163:164]
	v_add_f64_e32 v[165:166], v[167:168], v[169:170]
	s_wait_loadcnt_dscnt 0x601
	v_mul_f64_e32 v[167:168], v[2:3], v[12:13]
	v_mul_f64_e32 v[12:13], v[4:5], v[12:13]
	v_fma_f64 v[169:170], v[173:174], v[6:7], v[175:176]
	v_fma_f64 v[6:7], v[171:172], v[6:7], -v[8:9]
	v_add_f64_e32 v[8:9], v[163:164], v[179:180]
	v_add_f64_e32 v[163:164], v[165:166], v[177:178]
	s_wait_loadcnt_dscnt 0x500
	v_mul_f64_e32 v[165:166], v[34:35], v[16:17]
	v_mul_f64_e32 v[16:17], v[36:37], v[16:17]
	v_fma_f64 v[167:168], v[4:5], v[10:11], v[167:168]
	v_fma_f64 v[10:11], v[2:3], v[10:11], -v[12:13]
	v_add_f64_e32 v[12:13], v[8:9], v[6:7]
	v_add_f64_e32 v[163:164], v[163:164], v[169:170]
	ds_load_b128 v[2:5], v1 offset:1776
	ds_load_b128 v[6:9], v1 offset:1792
	v_fma_f64 v[36:37], v[36:37], v[14:15], v[165:166]
	v_fma_f64 v[14:15], v[34:35], v[14:15], -v[16:17]
	s_wait_loadcnt_dscnt 0x401
	v_mul_f64_e32 v[169:170], v[2:3], v[20:21]
	v_mul_f64_e32 v[20:21], v[4:5], v[20:21]
	s_wait_loadcnt_dscnt 0x300
	v_mul_f64_e32 v[16:17], v[6:7], v[24:25]
	v_mul_f64_e32 v[24:25], v[8:9], v[24:25]
	v_add_f64_e32 v[10:11], v[12:13], v[10:11]
	v_add_f64_e32 v[12:13], v[163:164], v[167:168]
	v_fma_f64 v[34:35], v[4:5], v[18:19], v[169:170]
	v_fma_f64 v[18:19], v[2:3], v[18:19], -v[20:21]
	v_fma_f64 v[8:9], v[8:9], v[22:23], v[16:17]
	v_fma_f64 v[6:7], v[6:7], v[22:23], -v[24:25]
	v_add_f64_e32 v[14:15], v[10:11], v[14:15]
	v_add_f64_e32 v[20:21], v[12:13], v[36:37]
	ds_load_b128 v[2:5], v1 offset:1808
	ds_load_b128 v[10:13], v1 offset:1824
	s_wait_loadcnt_dscnt 0x201
	v_mul_f64_e32 v[36:37], v[2:3], v[28:29]
	v_mul_f64_e32 v[28:29], v[4:5], v[28:29]
	v_add_f64_e32 v[14:15], v[14:15], v[18:19]
	v_add_f64_e32 v[16:17], v[20:21], v[34:35]
	s_wait_loadcnt_dscnt 0x100
	v_mul_f64_e32 v[18:19], v[10:11], v[32:33]
	v_mul_f64_e32 v[20:21], v[12:13], v[32:33]
	v_fma_f64 v[22:23], v[4:5], v[26:27], v[36:37]
	v_fma_f64 v[24:25], v[2:3], v[26:27], -v[28:29]
	ds_load_b128 v[2:5], v1 offset:1840
	v_add_f64_e32 v[6:7], v[14:15], v[6:7]
	v_add_f64_e32 v[8:9], v[16:17], v[8:9]
	v_fma_f64 v[12:13], v[12:13], v[30:31], v[18:19]
	v_fma_f64 v[10:11], v[10:11], v[30:31], -v[20:21]
	s_wait_loadcnt_dscnt 0x0
	v_mul_f64_e32 v[14:15], v[2:3], v[40:41]
	v_mul_f64_e32 v[16:17], v[4:5], v[40:41]
	v_add_f64_e32 v[6:7], v[6:7], v[24:25]
	v_add_f64_e32 v[8:9], v[8:9], v[22:23]
	s_delay_alu instid0(VALU_DEP_4) | instskip(NEXT) | instid1(VALU_DEP_4)
	v_fma_f64 v[4:5], v[4:5], v[38:39], v[14:15]
	v_fma_f64 v[2:3], v[2:3], v[38:39], -v[16:17]
	s_delay_alu instid0(VALU_DEP_4) | instskip(NEXT) | instid1(VALU_DEP_4)
	v_add_f64_e32 v[6:7], v[6:7], v[10:11]
	v_add_f64_e32 v[8:9], v[8:9], v[12:13]
	s_delay_alu instid0(VALU_DEP_2) | instskip(NEXT) | instid1(VALU_DEP_2)
	v_add_f64_e32 v[2:3], v[6:7], v[2:3]
	v_add_f64_e32 v[4:5], v[8:9], v[4:5]
	s_delay_alu instid0(VALU_DEP_2) | instskip(NEXT) | instid1(VALU_DEP_2)
	v_add_f64_e64 v[2:3], v[42:43], -v[2:3]
	v_add_f64_e64 v[4:5], v[44:45], -v[4:5]
	scratch_store_b128 off, v[2:5], off offset:464
	v_cmpx_lt_u32_e32 27, v0
	s_cbranch_execz .LBB57_307
; %bb.306:
	scratch_load_b128 v[5:8], off, s35
	v_dual_mov_b32 v2, v1 :: v_dual_mov_b32 v3, v1
	v_mov_b32_e32 v4, v1
	scratch_store_b128 off, v[1:4], off offset:448
	s_wait_loadcnt 0x0
	ds_store_b128 v162, v[5:8]
.LBB57_307:
	s_wait_alu 0xfffe
	s_or_b32 exec_lo, exec_lo, s0
	s_wait_storecnt_dscnt 0x0
	s_barrier_signal -1
	s_barrier_wait -1
	global_inv scope:SCOPE_SE
	s_clause 0x8
	scratch_load_b128 v[2:5], off, off offset:464
	scratch_load_b128 v[6:9], off, off offset:480
	;; [unrolled: 1-line block ×9, first 2 shown]
	ds_load_b128 v[38:41], v1 offset:1376
	ds_load_b128 v[42:45], v1 offset:1392
	s_clause 0x1
	scratch_load_b128 v[163:166], off, off offset:448
	scratch_load_b128 v[167:170], off, off offset:608
	s_mov_b32 s0, exec_lo
	s_wait_loadcnt_dscnt 0xa01
	v_mul_f64_e32 v[171:172], v[40:41], v[4:5]
	v_mul_f64_e32 v[4:5], v[38:39], v[4:5]
	s_wait_loadcnt_dscnt 0x900
	v_mul_f64_e32 v[175:176], v[42:43], v[8:9]
	v_mul_f64_e32 v[8:9], v[44:45], v[8:9]
	s_delay_alu instid0(VALU_DEP_4) | instskip(NEXT) | instid1(VALU_DEP_4)
	v_fma_f64 v[177:178], v[38:39], v[2:3], -v[171:172]
	v_fma_f64 v[179:180], v[40:41], v[2:3], v[4:5]
	ds_load_b128 v[2:5], v1 offset:1408
	ds_load_b128 v[171:174], v1 offset:1424
	scratch_load_b128 v[38:41], off, off offset:624
	v_fma_f64 v[44:45], v[44:45], v[6:7], v[175:176]
	v_fma_f64 v[42:43], v[42:43], v[6:7], -v[8:9]
	scratch_load_b128 v[6:9], off, off offset:640
	s_wait_loadcnt_dscnt 0xa01
	v_mul_f64_e32 v[181:182], v[2:3], v[12:13]
	v_mul_f64_e32 v[12:13], v[4:5], v[12:13]
	v_add_f64_e32 v[175:176], 0, v[177:178]
	v_add_f64_e32 v[177:178], 0, v[179:180]
	s_wait_loadcnt_dscnt 0x900
	v_mul_f64_e32 v[179:180], v[171:172], v[16:17]
	v_mul_f64_e32 v[16:17], v[173:174], v[16:17]
	v_fma_f64 v[181:182], v[4:5], v[10:11], v[181:182]
	v_fma_f64 v[183:184], v[2:3], v[10:11], -v[12:13]
	ds_load_b128 v[2:5], v1 offset:1440
	scratch_load_b128 v[10:13], off, off offset:656
	v_add_f64_e32 v[175:176], v[175:176], v[42:43]
	v_add_f64_e32 v[177:178], v[177:178], v[44:45]
	ds_load_b128 v[42:45], v1 offset:1456
	v_fma_f64 v[173:174], v[173:174], v[14:15], v[179:180]
	v_fma_f64 v[171:172], v[171:172], v[14:15], -v[16:17]
	scratch_load_b128 v[14:17], off, off offset:672
	s_wait_loadcnt_dscnt 0xa01
	v_mul_f64_e32 v[185:186], v[2:3], v[20:21]
	v_mul_f64_e32 v[20:21], v[4:5], v[20:21]
	s_wait_loadcnt_dscnt 0x900
	v_mul_f64_e32 v[179:180], v[42:43], v[24:25]
	v_mul_f64_e32 v[24:25], v[44:45], v[24:25]
	v_add_f64_e32 v[175:176], v[175:176], v[183:184]
	v_add_f64_e32 v[177:178], v[177:178], v[181:182]
	v_fma_f64 v[181:182], v[4:5], v[18:19], v[185:186]
	v_fma_f64 v[183:184], v[2:3], v[18:19], -v[20:21]
	ds_load_b128 v[2:5], v1 offset:1472
	scratch_load_b128 v[18:21], off, off offset:688
	v_fma_f64 v[44:45], v[44:45], v[22:23], v[179:180]
	v_fma_f64 v[42:43], v[42:43], v[22:23], -v[24:25]
	scratch_load_b128 v[22:25], off, off offset:704
	v_add_f64_e32 v[175:176], v[175:176], v[171:172]
	v_add_f64_e32 v[177:178], v[177:178], v[173:174]
	ds_load_b128 v[171:174], v1 offset:1488
	s_wait_loadcnt_dscnt 0xa01
	v_mul_f64_e32 v[185:186], v[2:3], v[28:29]
	v_mul_f64_e32 v[28:29], v[4:5], v[28:29]
	s_wait_loadcnt_dscnt 0x900
	v_mul_f64_e32 v[179:180], v[171:172], v[32:33]
	v_mul_f64_e32 v[32:33], v[173:174], v[32:33]
	v_add_f64_e32 v[175:176], v[175:176], v[183:184]
	v_add_f64_e32 v[177:178], v[177:178], v[181:182]
	v_fma_f64 v[181:182], v[4:5], v[26:27], v[185:186]
	v_fma_f64 v[183:184], v[2:3], v[26:27], -v[28:29]
	ds_load_b128 v[2:5], v1 offset:1504
	scratch_load_b128 v[26:29], off, off offset:720
	v_fma_f64 v[173:174], v[173:174], v[30:31], v[179:180]
	v_fma_f64 v[171:172], v[171:172], v[30:31], -v[32:33]
	scratch_load_b128 v[30:33], off, off offset:736
	v_add_f64_e32 v[175:176], v[175:176], v[42:43]
	v_add_f64_e32 v[177:178], v[177:178], v[44:45]
	ds_load_b128 v[42:45], v1 offset:1520
	s_wait_loadcnt_dscnt 0xa01
	v_mul_f64_e32 v[185:186], v[2:3], v[36:37]
	v_mul_f64_e32 v[36:37], v[4:5], v[36:37]
	s_wait_loadcnt_dscnt 0x800
	v_mul_f64_e32 v[179:180], v[42:43], v[169:170]
	v_add_f64_e32 v[175:176], v[175:176], v[183:184]
	v_add_f64_e32 v[177:178], v[177:178], v[181:182]
	v_mul_f64_e32 v[181:182], v[44:45], v[169:170]
	v_fma_f64 v[183:184], v[4:5], v[34:35], v[185:186]
	v_fma_f64 v[185:186], v[2:3], v[34:35], -v[36:37]
	ds_load_b128 v[2:5], v1 offset:1536
	scratch_load_b128 v[34:37], off, off offset:752
	v_fma_f64 v[44:45], v[44:45], v[167:168], v[179:180]
	v_add_f64_e32 v[175:176], v[175:176], v[171:172]
	v_add_f64_e32 v[173:174], v[177:178], v[173:174]
	ds_load_b128 v[169:172], v1 offset:1552
	v_fma_f64 v[167:168], v[42:43], v[167:168], -v[181:182]
	s_wait_loadcnt_dscnt 0x801
	v_mul_f64_e32 v[177:178], v[2:3], v[40:41]
	v_mul_f64_e32 v[187:188], v[4:5], v[40:41]
	scratch_load_b128 v[40:43], off, off offset:768
	s_wait_loadcnt_dscnt 0x800
	v_mul_f64_e32 v[181:182], v[169:170], v[8:9]
	v_mul_f64_e32 v[8:9], v[171:172], v[8:9]
	v_add_f64_e32 v[175:176], v[175:176], v[185:186]
	v_add_f64_e32 v[173:174], v[173:174], v[183:184]
	v_fma_f64 v[183:184], v[4:5], v[38:39], v[177:178]
	v_fma_f64 v[38:39], v[2:3], v[38:39], -v[187:188]
	ds_load_b128 v[2:5], v1 offset:1568
	ds_load_b128 v[177:180], v1 offset:1584
	v_fma_f64 v[171:172], v[171:172], v[6:7], v[181:182]
	v_fma_f64 v[169:170], v[169:170], v[6:7], -v[8:9]
	scratch_load_b128 v[6:9], off, off offset:800
	v_add_f64_e32 v[167:168], v[175:176], v[167:168]
	v_add_f64_e32 v[44:45], v[173:174], v[44:45]
	scratch_load_b128 v[173:176], off, off offset:784
	s_wait_loadcnt_dscnt 0x901
	v_mul_f64_e32 v[185:186], v[2:3], v[12:13]
	v_mul_f64_e32 v[12:13], v[4:5], v[12:13]
	s_wait_loadcnt_dscnt 0x800
	v_mul_f64_e32 v[181:182], v[177:178], v[16:17]
	v_mul_f64_e32 v[16:17], v[179:180], v[16:17]
	v_add_f64_e32 v[38:39], v[167:168], v[38:39]
	v_add_f64_e32 v[44:45], v[44:45], v[183:184]
	v_fma_f64 v[183:184], v[4:5], v[10:11], v[185:186]
	v_fma_f64 v[185:186], v[2:3], v[10:11], -v[12:13]
	ds_load_b128 v[2:5], v1 offset:1600
	scratch_load_b128 v[10:13], off, off offset:816
	v_fma_f64 v[179:180], v[179:180], v[14:15], v[181:182]
	v_fma_f64 v[177:178], v[177:178], v[14:15], -v[16:17]
	scratch_load_b128 v[14:17], off, off offset:832
	v_add_f64_e32 v[38:39], v[38:39], v[169:170]
	v_add_f64_e32 v[44:45], v[44:45], v[171:172]
	ds_load_b128 v[167:170], v1 offset:1616
	s_wait_loadcnt_dscnt 0x901
	v_mul_f64_e32 v[171:172], v[2:3], v[20:21]
	v_mul_f64_e32 v[20:21], v[4:5], v[20:21]
	s_wait_loadcnt_dscnt 0x800
	v_mul_f64_e32 v[181:182], v[167:168], v[24:25]
	v_mul_f64_e32 v[24:25], v[169:170], v[24:25]
	v_add_f64_e32 v[38:39], v[38:39], v[185:186]
	v_add_f64_e32 v[44:45], v[44:45], v[183:184]
	v_fma_f64 v[171:172], v[4:5], v[18:19], v[171:172]
	v_fma_f64 v[183:184], v[2:3], v[18:19], -v[20:21]
	ds_load_b128 v[2:5], v1 offset:1632
	scratch_load_b128 v[18:21], off, off offset:848
	v_fma_f64 v[169:170], v[169:170], v[22:23], v[181:182]
	v_fma_f64 v[167:168], v[167:168], v[22:23], -v[24:25]
	scratch_load_b128 v[22:25], off, off offset:864
	v_add_f64_e32 v[38:39], v[38:39], v[177:178]
	v_add_f64_e32 v[44:45], v[44:45], v[179:180]
	ds_load_b128 v[177:180], v1 offset:1648
	s_wait_loadcnt_dscnt 0x901
	v_mul_f64_e32 v[185:186], v[2:3], v[28:29]
	v_mul_f64_e32 v[28:29], v[4:5], v[28:29]
	v_add_f64_e32 v[38:39], v[38:39], v[183:184]
	v_add_f64_e32 v[44:45], v[44:45], v[171:172]
	s_wait_loadcnt_dscnt 0x800
	v_mul_f64_e32 v[171:172], v[177:178], v[32:33]
	v_mul_f64_e32 v[32:33], v[179:180], v[32:33]
	v_fma_f64 v[181:182], v[4:5], v[26:27], v[185:186]
	v_fma_f64 v[183:184], v[2:3], v[26:27], -v[28:29]
	ds_load_b128 v[2:5], v1 offset:1664
	scratch_load_b128 v[26:29], off, off offset:880
	v_add_f64_e32 v[38:39], v[38:39], v[167:168]
	v_add_f64_e32 v[44:45], v[44:45], v[169:170]
	ds_load_b128 v[167:170], v1 offset:1680
	s_wait_loadcnt_dscnt 0x801
	v_mul_f64_e32 v[185:186], v[2:3], v[36:37]
	v_mul_f64_e32 v[36:37], v[4:5], v[36:37]
	v_fma_f64 v[171:172], v[179:180], v[30:31], v[171:172]
	v_fma_f64 v[177:178], v[177:178], v[30:31], -v[32:33]
	scratch_load_b128 v[30:33], off, off offset:896
	s_wait_loadcnt_dscnt 0x800
	v_mul_f64_e32 v[179:180], v[167:168], v[42:43]
	v_add_f64_e32 v[38:39], v[38:39], v[183:184]
	v_add_f64_e32 v[44:45], v[44:45], v[181:182]
	v_mul_f64_e32 v[181:182], v[169:170], v[42:43]
	v_fma_f64 v[183:184], v[4:5], v[34:35], v[185:186]
	v_fma_f64 v[185:186], v[2:3], v[34:35], -v[36:37]
	ds_load_b128 v[2:5], v1 offset:1696
	scratch_load_b128 v[34:37], off, off offset:912
	v_fma_f64 v[169:170], v[169:170], v[40:41], v[179:180]
	v_add_f64_e32 v[38:39], v[38:39], v[177:178]
	v_add_f64_e32 v[171:172], v[44:45], v[171:172]
	ds_load_b128 v[42:45], v1 offset:1712
	v_fma_f64 v[167:168], v[167:168], v[40:41], -v[181:182]
	s_wait_loadcnt_dscnt 0x701
	v_mul_f64_e32 v[177:178], v[2:3], v[175:176]
	v_mul_f64_e32 v[175:176], v[4:5], v[175:176]
	s_wait_dscnt 0x0
	v_mul_f64_e32 v[181:182], v[42:43], v[8:9]
	v_mul_f64_e32 v[8:9], v[44:45], v[8:9]
	v_add_f64_e32 v[179:180], v[38:39], v[185:186]
	v_add_f64_e32 v[171:172], v[171:172], v[183:184]
	scratch_load_b128 v[38:41], off, off offset:928
	v_fma_f64 v[177:178], v[4:5], v[173:174], v[177:178]
	v_fma_f64 v[173:174], v[2:3], v[173:174], -v[175:176]
	v_fma_f64 v[44:45], v[44:45], v[6:7], v[181:182]
	v_fma_f64 v[6:7], v[42:43], v[6:7], -v[8:9]
	v_add_f64_e32 v[175:176], v[179:180], v[167:168]
	v_add_f64_e32 v[171:172], v[171:172], v[169:170]
	ds_load_b128 v[2:5], v1 offset:1728
	ds_load_b128 v[167:170], v1 offset:1744
	s_wait_loadcnt_dscnt 0x701
	v_mul_f64_e32 v[179:180], v[2:3], v[12:13]
	v_mul_f64_e32 v[12:13], v[4:5], v[12:13]
	v_add_f64_e32 v[8:9], v[175:176], v[173:174]
	v_add_f64_e32 v[42:43], v[171:172], v[177:178]
	s_wait_loadcnt_dscnt 0x600
	v_mul_f64_e32 v[171:172], v[167:168], v[16:17]
	v_mul_f64_e32 v[16:17], v[169:170], v[16:17]
	v_fma_f64 v[173:174], v[4:5], v[10:11], v[179:180]
	v_fma_f64 v[10:11], v[2:3], v[10:11], -v[12:13]
	v_add_f64_e32 v[12:13], v[8:9], v[6:7]
	v_add_f64_e32 v[42:43], v[42:43], v[44:45]
	ds_load_b128 v[2:5], v1 offset:1760
	ds_load_b128 v[6:9], v1 offset:1776
	v_fma_f64 v[169:170], v[169:170], v[14:15], v[171:172]
	v_fma_f64 v[14:15], v[167:168], v[14:15], -v[16:17]
	s_wait_loadcnt_dscnt 0x501
	v_mul_f64_e32 v[44:45], v[2:3], v[20:21]
	v_mul_f64_e32 v[20:21], v[4:5], v[20:21]
	s_wait_loadcnt_dscnt 0x400
	v_mul_f64_e32 v[16:17], v[6:7], v[24:25]
	v_mul_f64_e32 v[24:25], v[8:9], v[24:25]
	v_add_f64_e32 v[10:11], v[12:13], v[10:11]
	v_add_f64_e32 v[12:13], v[42:43], v[173:174]
	v_fma_f64 v[42:43], v[4:5], v[18:19], v[44:45]
	v_fma_f64 v[18:19], v[2:3], v[18:19], -v[20:21]
	v_fma_f64 v[8:9], v[8:9], v[22:23], v[16:17]
	v_fma_f64 v[6:7], v[6:7], v[22:23], -v[24:25]
	v_add_f64_e32 v[14:15], v[10:11], v[14:15]
	v_add_f64_e32 v[20:21], v[12:13], v[169:170]
	ds_load_b128 v[2:5], v1 offset:1792
	ds_load_b128 v[10:13], v1 offset:1808
	s_wait_loadcnt_dscnt 0x301
	v_mul_f64_e32 v[44:45], v[2:3], v[28:29]
	v_mul_f64_e32 v[28:29], v[4:5], v[28:29]
	v_add_f64_e32 v[14:15], v[14:15], v[18:19]
	v_add_f64_e32 v[16:17], v[20:21], v[42:43]
	s_wait_loadcnt_dscnt 0x200
	v_mul_f64_e32 v[18:19], v[10:11], v[32:33]
	v_mul_f64_e32 v[20:21], v[12:13], v[32:33]
	v_fma_f64 v[22:23], v[4:5], v[26:27], v[44:45]
	v_fma_f64 v[24:25], v[2:3], v[26:27], -v[28:29]
	v_add_f64_e32 v[14:15], v[14:15], v[6:7]
	v_add_f64_e32 v[16:17], v[16:17], v[8:9]
	ds_load_b128 v[2:5], v1 offset:1824
	ds_load_b128 v[6:9], v1 offset:1840
	v_fma_f64 v[12:13], v[12:13], v[30:31], v[18:19]
	v_fma_f64 v[10:11], v[10:11], v[30:31], -v[20:21]
	s_wait_loadcnt_dscnt 0x101
	v_mul_f64_e32 v[26:27], v[2:3], v[36:37]
	v_mul_f64_e32 v[28:29], v[4:5], v[36:37]
	v_add_f64_e32 v[14:15], v[14:15], v[24:25]
	v_add_f64_e32 v[16:17], v[16:17], v[22:23]
	s_wait_loadcnt_dscnt 0x0
	v_mul_f64_e32 v[18:19], v[6:7], v[40:41]
	v_mul_f64_e32 v[20:21], v[8:9], v[40:41]
	v_fma_f64 v[4:5], v[4:5], v[34:35], v[26:27]
	v_fma_f64 v[1:2], v[2:3], v[34:35], -v[28:29]
	v_add_f64_e32 v[10:11], v[14:15], v[10:11]
	v_add_f64_e32 v[12:13], v[16:17], v[12:13]
	v_fma_f64 v[8:9], v[8:9], v[38:39], v[18:19]
	v_fma_f64 v[6:7], v[6:7], v[38:39], -v[20:21]
	s_delay_alu instid0(VALU_DEP_4) | instskip(NEXT) | instid1(VALU_DEP_4)
	v_add_f64_e32 v[1:2], v[10:11], v[1:2]
	v_add_f64_e32 v[3:4], v[12:13], v[4:5]
	s_delay_alu instid0(VALU_DEP_2) | instskip(NEXT) | instid1(VALU_DEP_2)
	v_add_f64_e32 v[1:2], v[1:2], v[6:7]
	v_add_f64_e32 v[3:4], v[3:4], v[8:9]
	s_delay_alu instid0(VALU_DEP_2) | instskip(NEXT) | instid1(VALU_DEP_2)
	v_add_f64_e64 v[1:2], v[163:164], -v[1:2]
	v_add_f64_e64 v[3:4], v[165:166], -v[3:4]
	scratch_store_b128 off, v[1:4], off offset:448
	v_cmpx_lt_u32_e32 26, v0
	s_cbranch_execz .LBB57_309
; %bb.308:
	scratch_load_b128 v[1:4], off, s39
	v_mov_b32_e32 v5, 0
	s_delay_alu instid0(VALU_DEP_1)
	v_dual_mov_b32 v6, v5 :: v_dual_mov_b32 v7, v5
	v_mov_b32_e32 v8, v5
	scratch_store_b128 off, v[5:8], off offset:432
	s_wait_loadcnt 0x0
	ds_store_b128 v162, v[1:4]
.LBB57_309:
	s_wait_alu 0xfffe
	s_or_b32 exec_lo, exec_lo, s0
	s_wait_storecnt_dscnt 0x0
	s_barrier_signal -1
	s_barrier_wait -1
	global_inv scope:SCOPE_SE
	s_clause 0x7
	scratch_load_b128 v[2:5], off, off offset:448
	scratch_load_b128 v[6:9], off, off offset:464
	;; [unrolled: 1-line block ×8, first 2 shown]
	v_mov_b32_e32 v1, 0
	s_mov_b32 s0, exec_lo
	ds_load_b128 v[34:37], v1 offset:1360
	s_clause 0x1
	scratch_load_b128 v[38:41], off, off offset:576
	scratch_load_b128 v[42:45], off, off offset:432
	ds_load_b128 v[163:166], v1 offset:1376
	scratch_load_b128 v[167:170], off, off offset:592
	s_wait_loadcnt_dscnt 0xa01
	v_mul_f64_e32 v[171:172], v[36:37], v[4:5]
	v_mul_f64_e32 v[4:5], v[34:35], v[4:5]
	s_delay_alu instid0(VALU_DEP_2) | instskip(NEXT) | instid1(VALU_DEP_2)
	v_fma_f64 v[177:178], v[34:35], v[2:3], -v[171:172]
	v_fma_f64 v[179:180], v[36:37], v[2:3], v[4:5]
	ds_load_b128 v[2:5], v1 offset:1392
	s_wait_loadcnt_dscnt 0x901
	v_mul_f64_e32 v[175:176], v[163:164], v[8:9]
	v_mul_f64_e32 v[8:9], v[165:166], v[8:9]
	scratch_load_b128 v[34:37], off, off offset:608
	ds_load_b128 v[171:174], v1 offset:1408
	s_wait_loadcnt_dscnt 0x901
	v_mul_f64_e32 v[181:182], v[2:3], v[12:13]
	v_mul_f64_e32 v[12:13], v[4:5], v[12:13]
	v_fma_f64 v[165:166], v[165:166], v[6:7], v[175:176]
	v_fma_f64 v[163:164], v[163:164], v[6:7], -v[8:9]
	v_add_f64_e32 v[175:176], 0, v[177:178]
	v_add_f64_e32 v[177:178], 0, v[179:180]
	scratch_load_b128 v[6:9], off, off offset:624
	v_fma_f64 v[181:182], v[4:5], v[10:11], v[181:182]
	v_fma_f64 v[183:184], v[2:3], v[10:11], -v[12:13]
	ds_load_b128 v[2:5], v1 offset:1424
	s_wait_loadcnt_dscnt 0x901
	v_mul_f64_e32 v[179:180], v[171:172], v[16:17]
	v_mul_f64_e32 v[16:17], v[173:174], v[16:17]
	scratch_load_b128 v[10:13], off, off offset:640
	v_add_f64_e32 v[175:176], v[175:176], v[163:164]
	v_add_f64_e32 v[177:178], v[177:178], v[165:166]
	s_wait_loadcnt_dscnt 0x900
	v_mul_f64_e32 v[185:186], v[2:3], v[20:21]
	v_mul_f64_e32 v[20:21], v[4:5], v[20:21]
	ds_load_b128 v[163:166], v1 offset:1440
	v_fma_f64 v[173:174], v[173:174], v[14:15], v[179:180]
	v_fma_f64 v[171:172], v[171:172], v[14:15], -v[16:17]
	scratch_load_b128 v[14:17], off, off offset:656
	v_add_f64_e32 v[175:176], v[175:176], v[183:184]
	v_add_f64_e32 v[177:178], v[177:178], v[181:182]
	v_fma_f64 v[181:182], v[4:5], v[18:19], v[185:186]
	v_fma_f64 v[183:184], v[2:3], v[18:19], -v[20:21]
	ds_load_b128 v[2:5], v1 offset:1456
	s_wait_loadcnt_dscnt 0x901
	v_mul_f64_e32 v[179:180], v[163:164], v[24:25]
	v_mul_f64_e32 v[24:25], v[165:166], v[24:25]
	scratch_load_b128 v[18:21], off, off offset:672
	s_wait_loadcnt_dscnt 0x900
	v_mul_f64_e32 v[185:186], v[2:3], v[28:29]
	v_mul_f64_e32 v[28:29], v[4:5], v[28:29]
	v_add_f64_e32 v[175:176], v[175:176], v[171:172]
	v_add_f64_e32 v[177:178], v[177:178], v[173:174]
	ds_load_b128 v[171:174], v1 offset:1472
	v_fma_f64 v[165:166], v[165:166], v[22:23], v[179:180]
	v_fma_f64 v[163:164], v[163:164], v[22:23], -v[24:25]
	scratch_load_b128 v[22:25], off, off offset:688
	v_add_f64_e32 v[175:176], v[175:176], v[183:184]
	v_add_f64_e32 v[177:178], v[177:178], v[181:182]
	v_fma_f64 v[181:182], v[4:5], v[26:27], v[185:186]
	v_fma_f64 v[183:184], v[2:3], v[26:27], -v[28:29]
	ds_load_b128 v[2:5], v1 offset:1488
	s_wait_loadcnt_dscnt 0x901
	v_mul_f64_e32 v[179:180], v[171:172], v[32:33]
	v_mul_f64_e32 v[32:33], v[173:174], v[32:33]
	scratch_load_b128 v[26:29], off, off offset:704
	s_wait_loadcnt_dscnt 0x900
	v_mul_f64_e32 v[185:186], v[2:3], v[40:41]
	v_mul_f64_e32 v[40:41], v[4:5], v[40:41]
	v_add_f64_e32 v[175:176], v[175:176], v[163:164]
	v_add_f64_e32 v[177:178], v[177:178], v[165:166]
	ds_load_b128 v[163:166], v1 offset:1504
	v_fma_f64 v[173:174], v[173:174], v[30:31], v[179:180]
	v_fma_f64 v[171:172], v[171:172], v[30:31], -v[32:33]
	scratch_load_b128 v[30:33], off, off offset:720
	v_add_f64_e32 v[175:176], v[175:176], v[183:184]
	v_add_f64_e32 v[177:178], v[177:178], v[181:182]
	v_fma_f64 v[183:184], v[4:5], v[38:39], v[185:186]
	v_fma_f64 v[185:186], v[2:3], v[38:39], -v[40:41]
	ds_load_b128 v[2:5], v1 offset:1520
	s_wait_loadcnt_dscnt 0x801
	v_mul_f64_e32 v[179:180], v[163:164], v[169:170]
	v_mul_f64_e32 v[181:182], v[165:166], v[169:170]
	scratch_load_b128 v[38:41], off, off offset:736
	v_add_f64_e32 v[175:176], v[175:176], v[171:172]
	v_add_f64_e32 v[173:174], v[177:178], v[173:174]
	ds_load_b128 v[169:172], v1 offset:1536
	v_fma_f64 v[179:180], v[165:166], v[167:168], v[179:180]
	v_fma_f64 v[167:168], v[163:164], v[167:168], -v[181:182]
	scratch_load_b128 v[163:166], off, off offset:752
	s_wait_loadcnt_dscnt 0x901
	v_mul_f64_e32 v[177:178], v[2:3], v[36:37]
	v_mul_f64_e32 v[36:37], v[4:5], v[36:37]
	v_add_f64_e32 v[175:176], v[175:176], v[185:186]
	v_add_f64_e32 v[173:174], v[173:174], v[183:184]
	s_delay_alu instid0(VALU_DEP_4) | instskip(NEXT) | instid1(VALU_DEP_4)
	v_fma_f64 v[177:178], v[4:5], v[34:35], v[177:178]
	v_fma_f64 v[183:184], v[2:3], v[34:35], -v[36:37]
	ds_load_b128 v[2:5], v1 offset:1552
	s_wait_loadcnt_dscnt 0x801
	v_mul_f64_e32 v[181:182], v[169:170], v[8:9]
	v_mul_f64_e32 v[8:9], v[171:172], v[8:9]
	scratch_load_b128 v[34:37], off, off offset:768
	s_wait_loadcnt_dscnt 0x800
	v_mul_f64_e32 v[185:186], v[2:3], v[12:13]
	v_add_f64_e32 v[167:168], v[175:176], v[167:168]
	v_add_f64_e32 v[179:180], v[173:174], v[179:180]
	v_mul_f64_e32 v[12:13], v[4:5], v[12:13]
	ds_load_b128 v[173:176], v1 offset:1568
	v_fma_f64 v[171:172], v[171:172], v[6:7], v[181:182]
	v_fma_f64 v[169:170], v[169:170], v[6:7], -v[8:9]
	scratch_load_b128 v[6:9], off, off offset:784
	v_fma_f64 v[181:182], v[4:5], v[10:11], v[185:186]
	v_add_f64_e32 v[167:168], v[167:168], v[183:184]
	v_add_f64_e32 v[177:178], v[179:180], v[177:178]
	v_fma_f64 v[183:184], v[2:3], v[10:11], -v[12:13]
	ds_load_b128 v[2:5], v1 offset:1584
	s_wait_loadcnt_dscnt 0x801
	v_mul_f64_e32 v[179:180], v[173:174], v[16:17]
	v_mul_f64_e32 v[16:17], v[175:176], v[16:17]
	scratch_load_b128 v[10:13], off, off offset:800
	v_add_f64_e32 v[185:186], v[167:168], v[169:170]
	v_add_f64_e32 v[171:172], v[177:178], v[171:172]
	s_wait_loadcnt_dscnt 0x800
	v_mul_f64_e32 v[177:178], v[2:3], v[20:21]
	v_mul_f64_e32 v[20:21], v[4:5], v[20:21]
	v_fma_f64 v[175:176], v[175:176], v[14:15], v[179:180]
	v_fma_f64 v[173:174], v[173:174], v[14:15], -v[16:17]
	ds_load_b128 v[167:170], v1 offset:1600
	scratch_load_b128 v[14:17], off, off offset:816
	v_add_f64_e32 v[179:180], v[185:186], v[183:184]
	v_add_f64_e32 v[171:172], v[171:172], v[181:182]
	v_fma_f64 v[177:178], v[4:5], v[18:19], v[177:178]
	v_fma_f64 v[183:184], v[2:3], v[18:19], -v[20:21]
	ds_load_b128 v[2:5], v1 offset:1616
	s_wait_loadcnt_dscnt 0x801
	v_mul_f64_e32 v[181:182], v[167:168], v[24:25]
	v_mul_f64_e32 v[24:25], v[169:170], v[24:25]
	scratch_load_b128 v[18:21], off, off offset:832
	s_wait_loadcnt_dscnt 0x800
	v_mul_f64_e32 v[185:186], v[2:3], v[28:29]
	v_mul_f64_e32 v[28:29], v[4:5], v[28:29]
	v_add_f64_e32 v[179:180], v[179:180], v[173:174]
	v_add_f64_e32 v[175:176], v[171:172], v[175:176]
	ds_load_b128 v[171:174], v1 offset:1632
	v_fma_f64 v[169:170], v[169:170], v[22:23], v[181:182]
	v_fma_f64 v[167:168], v[167:168], v[22:23], -v[24:25]
	scratch_load_b128 v[22:25], off, off offset:848
	v_fma_f64 v[181:182], v[4:5], v[26:27], v[185:186]
	v_add_f64_e32 v[179:180], v[179:180], v[183:184]
	v_add_f64_e32 v[175:176], v[175:176], v[177:178]
	v_fma_f64 v[183:184], v[2:3], v[26:27], -v[28:29]
	ds_load_b128 v[2:5], v1 offset:1648
	s_wait_loadcnt_dscnt 0x801
	v_mul_f64_e32 v[177:178], v[171:172], v[32:33]
	v_mul_f64_e32 v[32:33], v[173:174], v[32:33]
	scratch_load_b128 v[26:29], off, off offset:864
	s_wait_loadcnt_dscnt 0x800
	v_mul_f64_e32 v[185:186], v[2:3], v[40:41]
	v_mul_f64_e32 v[40:41], v[4:5], v[40:41]
	v_add_f64_e32 v[179:180], v[179:180], v[167:168]
	v_add_f64_e32 v[175:176], v[175:176], v[169:170]
	ds_load_b128 v[167:170], v1 offset:1664
	v_fma_f64 v[173:174], v[173:174], v[30:31], v[177:178]
	v_fma_f64 v[171:172], v[171:172], v[30:31], -v[32:33]
	scratch_load_b128 v[30:33], off, off offset:880
	v_add_f64_e32 v[177:178], v[179:180], v[183:184]
	v_add_f64_e32 v[175:176], v[175:176], v[181:182]
	v_fma_f64 v[181:182], v[4:5], v[38:39], v[185:186]
	v_fma_f64 v[183:184], v[2:3], v[38:39], -v[40:41]
	ds_load_b128 v[2:5], v1 offset:1680
	s_wait_loadcnt_dscnt 0x801
	v_mul_f64_e32 v[179:180], v[167:168], v[165:166]
	v_mul_f64_e32 v[165:166], v[169:170], v[165:166]
	scratch_load_b128 v[38:41], off, off offset:896
	s_wait_loadcnt_dscnt 0x800
	v_mul_f64_e32 v[185:186], v[2:3], v[36:37]
	v_mul_f64_e32 v[36:37], v[4:5], v[36:37]
	v_add_f64_e32 v[177:178], v[177:178], v[171:172]
	v_add_f64_e32 v[175:176], v[175:176], v[173:174]
	ds_load_b128 v[171:174], v1 offset:1696
	v_fma_f64 v[169:170], v[169:170], v[163:164], v[179:180]
	v_fma_f64 v[167:168], v[167:168], v[163:164], -v[165:166]
	scratch_load_b128 v[163:166], off, off offset:912
	v_add_f64_e32 v[177:178], v[177:178], v[183:184]
	v_add_f64_e32 v[175:176], v[175:176], v[181:182]
	v_fma_f64 v[181:182], v[4:5], v[34:35], v[185:186]
	v_fma_f64 v[183:184], v[2:3], v[34:35], -v[36:37]
	ds_load_b128 v[2:5], v1 offset:1712
	s_wait_loadcnt_dscnt 0x801
	v_mul_f64_e32 v[179:180], v[171:172], v[8:9]
	v_mul_f64_e32 v[8:9], v[173:174], v[8:9]
	scratch_load_b128 v[34:37], off, off offset:928
	s_wait_loadcnt_dscnt 0x800
	v_mul_f64_e32 v[185:186], v[2:3], v[12:13]
	v_mul_f64_e32 v[12:13], v[4:5], v[12:13]
	v_add_f64_e32 v[177:178], v[177:178], v[167:168]
	v_add_f64_e32 v[175:176], v[175:176], v[169:170]
	ds_load_b128 v[167:170], v1 offset:1728
	v_fma_f64 v[173:174], v[173:174], v[6:7], v[179:180]
	v_fma_f64 v[6:7], v[171:172], v[6:7], -v[8:9]
	v_add_f64_e32 v[8:9], v[177:178], v[183:184]
	v_add_f64_e32 v[171:172], v[175:176], v[181:182]
	s_wait_loadcnt_dscnt 0x700
	v_mul_f64_e32 v[175:176], v[167:168], v[16:17]
	v_mul_f64_e32 v[16:17], v[169:170], v[16:17]
	v_fma_f64 v[177:178], v[4:5], v[10:11], v[185:186]
	v_fma_f64 v[10:11], v[2:3], v[10:11], -v[12:13]
	v_add_f64_e32 v[12:13], v[8:9], v[6:7]
	v_add_f64_e32 v[171:172], v[171:172], v[173:174]
	ds_load_b128 v[2:5], v1 offset:1744
	ds_load_b128 v[6:9], v1 offset:1760
	v_fma_f64 v[169:170], v[169:170], v[14:15], v[175:176]
	v_fma_f64 v[14:15], v[167:168], v[14:15], -v[16:17]
	s_wait_loadcnt_dscnt 0x601
	v_mul_f64_e32 v[173:174], v[2:3], v[20:21]
	v_mul_f64_e32 v[20:21], v[4:5], v[20:21]
	s_wait_loadcnt_dscnt 0x500
	v_mul_f64_e32 v[16:17], v[6:7], v[24:25]
	v_mul_f64_e32 v[24:25], v[8:9], v[24:25]
	v_add_f64_e32 v[10:11], v[12:13], v[10:11]
	v_add_f64_e32 v[12:13], v[171:172], v[177:178]
	v_fma_f64 v[167:168], v[4:5], v[18:19], v[173:174]
	v_fma_f64 v[18:19], v[2:3], v[18:19], -v[20:21]
	v_fma_f64 v[8:9], v[8:9], v[22:23], v[16:17]
	v_fma_f64 v[6:7], v[6:7], v[22:23], -v[24:25]
	v_add_f64_e32 v[14:15], v[10:11], v[14:15]
	v_add_f64_e32 v[20:21], v[12:13], v[169:170]
	ds_load_b128 v[2:5], v1 offset:1776
	ds_load_b128 v[10:13], v1 offset:1792
	s_wait_loadcnt_dscnt 0x401
	v_mul_f64_e32 v[169:170], v[2:3], v[28:29]
	v_mul_f64_e32 v[28:29], v[4:5], v[28:29]
	v_add_f64_e32 v[14:15], v[14:15], v[18:19]
	v_add_f64_e32 v[16:17], v[20:21], v[167:168]
	s_wait_loadcnt_dscnt 0x300
	v_mul_f64_e32 v[18:19], v[10:11], v[32:33]
	v_mul_f64_e32 v[20:21], v[12:13], v[32:33]
	v_fma_f64 v[22:23], v[4:5], v[26:27], v[169:170]
	v_fma_f64 v[24:25], v[2:3], v[26:27], -v[28:29]
	v_add_f64_e32 v[14:15], v[14:15], v[6:7]
	v_add_f64_e32 v[16:17], v[16:17], v[8:9]
	ds_load_b128 v[2:5], v1 offset:1808
	ds_load_b128 v[6:9], v1 offset:1824
	v_fma_f64 v[12:13], v[12:13], v[30:31], v[18:19]
	v_fma_f64 v[10:11], v[10:11], v[30:31], -v[20:21]
	s_wait_loadcnt_dscnt 0x201
	v_mul_f64_e32 v[26:27], v[2:3], v[40:41]
	v_mul_f64_e32 v[28:29], v[4:5], v[40:41]
	s_wait_loadcnt_dscnt 0x100
	v_mul_f64_e32 v[18:19], v[6:7], v[165:166]
	v_mul_f64_e32 v[20:21], v[8:9], v[165:166]
	v_add_f64_e32 v[14:15], v[14:15], v[24:25]
	v_add_f64_e32 v[16:17], v[16:17], v[22:23]
	v_fma_f64 v[22:23], v[4:5], v[38:39], v[26:27]
	v_fma_f64 v[24:25], v[2:3], v[38:39], -v[28:29]
	ds_load_b128 v[2:5], v1 offset:1840
	v_fma_f64 v[8:9], v[8:9], v[163:164], v[18:19]
	v_fma_f64 v[6:7], v[6:7], v[163:164], -v[20:21]
	v_add_f64_e32 v[10:11], v[14:15], v[10:11]
	v_add_f64_e32 v[12:13], v[16:17], v[12:13]
	s_wait_loadcnt_dscnt 0x0
	v_mul_f64_e32 v[14:15], v[2:3], v[36:37]
	v_mul_f64_e32 v[16:17], v[4:5], v[36:37]
	s_delay_alu instid0(VALU_DEP_4) | instskip(NEXT) | instid1(VALU_DEP_4)
	v_add_f64_e32 v[10:11], v[10:11], v[24:25]
	v_add_f64_e32 v[12:13], v[12:13], v[22:23]
	s_delay_alu instid0(VALU_DEP_4) | instskip(NEXT) | instid1(VALU_DEP_4)
	v_fma_f64 v[4:5], v[4:5], v[34:35], v[14:15]
	v_fma_f64 v[2:3], v[2:3], v[34:35], -v[16:17]
	s_delay_alu instid0(VALU_DEP_4) | instskip(NEXT) | instid1(VALU_DEP_4)
	v_add_f64_e32 v[6:7], v[10:11], v[6:7]
	v_add_f64_e32 v[8:9], v[12:13], v[8:9]
	s_delay_alu instid0(VALU_DEP_2) | instskip(NEXT) | instid1(VALU_DEP_2)
	v_add_f64_e32 v[2:3], v[6:7], v[2:3]
	v_add_f64_e32 v[4:5], v[8:9], v[4:5]
	s_delay_alu instid0(VALU_DEP_2) | instskip(NEXT) | instid1(VALU_DEP_2)
	v_add_f64_e64 v[2:3], v[42:43], -v[2:3]
	v_add_f64_e64 v[4:5], v[44:45], -v[4:5]
	scratch_store_b128 off, v[2:5], off offset:432
	v_cmpx_lt_u32_e32 25, v0
	s_cbranch_execz .LBB57_311
; %bb.310:
	scratch_load_b128 v[5:8], off, s42
	v_dual_mov_b32 v2, v1 :: v_dual_mov_b32 v3, v1
	v_mov_b32_e32 v4, v1
	scratch_store_b128 off, v[1:4], off offset:416
	s_wait_loadcnt 0x0
	ds_store_b128 v162, v[5:8]
.LBB57_311:
	s_wait_alu 0xfffe
	s_or_b32 exec_lo, exec_lo, s0
	s_wait_storecnt_dscnt 0x0
	s_barrier_signal -1
	s_barrier_wait -1
	global_inv scope:SCOPE_SE
	s_clause 0x8
	scratch_load_b128 v[2:5], off, off offset:432
	scratch_load_b128 v[6:9], off, off offset:448
	;; [unrolled: 1-line block ×9, first 2 shown]
	ds_load_b128 v[38:41], v1 offset:1344
	ds_load_b128 v[42:45], v1 offset:1360
	s_clause 0x1
	scratch_load_b128 v[163:166], off, off offset:416
	scratch_load_b128 v[167:170], off, off offset:576
	s_mov_b32 s0, exec_lo
	s_wait_loadcnt_dscnt 0xa01
	v_mul_f64_e32 v[171:172], v[40:41], v[4:5]
	v_mul_f64_e32 v[4:5], v[38:39], v[4:5]
	s_wait_loadcnt_dscnt 0x900
	v_mul_f64_e32 v[175:176], v[42:43], v[8:9]
	v_mul_f64_e32 v[8:9], v[44:45], v[8:9]
	s_delay_alu instid0(VALU_DEP_4) | instskip(NEXT) | instid1(VALU_DEP_4)
	v_fma_f64 v[177:178], v[38:39], v[2:3], -v[171:172]
	v_fma_f64 v[179:180], v[40:41], v[2:3], v[4:5]
	ds_load_b128 v[2:5], v1 offset:1376
	ds_load_b128 v[171:174], v1 offset:1392
	scratch_load_b128 v[38:41], off, off offset:592
	v_fma_f64 v[44:45], v[44:45], v[6:7], v[175:176]
	v_fma_f64 v[42:43], v[42:43], v[6:7], -v[8:9]
	scratch_load_b128 v[6:9], off, off offset:608
	s_wait_loadcnt_dscnt 0xa01
	v_mul_f64_e32 v[181:182], v[2:3], v[12:13]
	v_mul_f64_e32 v[12:13], v[4:5], v[12:13]
	v_add_f64_e32 v[175:176], 0, v[177:178]
	v_add_f64_e32 v[177:178], 0, v[179:180]
	s_wait_loadcnt_dscnt 0x900
	v_mul_f64_e32 v[179:180], v[171:172], v[16:17]
	v_mul_f64_e32 v[16:17], v[173:174], v[16:17]
	v_fma_f64 v[181:182], v[4:5], v[10:11], v[181:182]
	v_fma_f64 v[183:184], v[2:3], v[10:11], -v[12:13]
	ds_load_b128 v[2:5], v1 offset:1408
	scratch_load_b128 v[10:13], off, off offset:624
	v_add_f64_e32 v[175:176], v[175:176], v[42:43]
	v_add_f64_e32 v[177:178], v[177:178], v[44:45]
	ds_load_b128 v[42:45], v1 offset:1424
	v_fma_f64 v[173:174], v[173:174], v[14:15], v[179:180]
	v_fma_f64 v[171:172], v[171:172], v[14:15], -v[16:17]
	scratch_load_b128 v[14:17], off, off offset:640
	s_wait_loadcnt_dscnt 0xa01
	v_mul_f64_e32 v[185:186], v[2:3], v[20:21]
	v_mul_f64_e32 v[20:21], v[4:5], v[20:21]
	s_wait_loadcnt_dscnt 0x900
	v_mul_f64_e32 v[179:180], v[42:43], v[24:25]
	v_mul_f64_e32 v[24:25], v[44:45], v[24:25]
	v_add_f64_e32 v[175:176], v[175:176], v[183:184]
	v_add_f64_e32 v[177:178], v[177:178], v[181:182]
	v_fma_f64 v[181:182], v[4:5], v[18:19], v[185:186]
	v_fma_f64 v[183:184], v[2:3], v[18:19], -v[20:21]
	ds_load_b128 v[2:5], v1 offset:1440
	scratch_load_b128 v[18:21], off, off offset:656
	v_fma_f64 v[44:45], v[44:45], v[22:23], v[179:180]
	v_fma_f64 v[42:43], v[42:43], v[22:23], -v[24:25]
	scratch_load_b128 v[22:25], off, off offset:672
	v_add_f64_e32 v[175:176], v[175:176], v[171:172]
	v_add_f64_e32 v[177:178], v[177:178], v[173:174]
	ds_load_b128 v[171:174], v1 offset:1456
	s_wait_loadcnt_dscnt 0xa01
	v_mul_f64_e32 v[185:186], v[2:3], v[28:29]
	v_mul_f64_e32 v[28:29], v[4:5], v[28:29]
	s_wait_loadcnt_dscnt 0x900
	v_mul_f64_e32 v[179:180], v[171:172], v[32:33]
	v_mul_f64_e32 v[32:33], v[173:174], v[32:33]
	v_add_f64_e32 v[175:176], v[175:176], v[183:184]
	v_add_f64_e32 v[177:178], v[177:178], v[181:182]
	v_fma_f64 v[181:182], v[4:5], v[26:27], v[185:186]
	v_fma_f64 v[183:184], v[2:3], v[26:27], -v[28:29]
	ds_load_b128 v[2:5], v1 offset:1472
	scratch_load_b128 v[26:29], off, off offset:688
	v_fma_f64 v[173:174], v[173:174], v[30:31], v[179:180]
	v_fma_f64 v[171:172], v[171:172], v[30:31], -v[32:33]
	scratch_load_b128 v[30:33], off, off offset:704
	v_add_f64_e32 v[175:176], v[175:176], v[42:43]
	v_add_f64_e32 v[177:178], v[177:178], v[44:45]
	ds_load_b128 v[42:45], v1 offset:1488
	s_wait_loadcnt_dscnt 0xa01
	v_mul_f64_e32 v[185:186], v[2:3], v[36:37]
	v_mul_f64_e32 v[36:37], v[4:5], v[36:37]
	s_wait_loadcnt_dscnt 0x800
	v_mul_f64_e32 v[179:180], v[42:43], v[169:170]
	v_add_f64_e32 v[175:176], v[175:176], v[183:184]
	v_add_f64_e32 v[177:178], v[177:178], v[181:182]
	v_mul_f64_e32 v[181:182], v[44:45], v[169:170]
	v_fma_f64 v[183:184], v[4:5], v[34:35], v[185:186]
	v_fma_f64 v[185:186], v[2:3], v[34:35], -v[36:37]
	ds_load_b128 v[2:5], v1 offset:1504
	scratch_load_b128 v[34:37], off, off offset:720
	v_fma_f64 v[44:45], v[44:45], v[167:168], v[179:180]
	v_add_f64_e32 v[175:176], v[175:176], v[171:172]
	v_add_f64_e32 v[173:174], v[177:178], v[173:174]
	ds_load_b128 v[169:172], v1 offset:1520
	v_fma_f64 v[167:168], v[42:43], v[167:168], -v[181:182]
	s_wait_loadcnt_dscnt 0x801
	v_mul_f64_e32 v[177:178], v[2:3], v[40:41]
	v_mul_f64_e32 v[187:188], v[4:5], v[40:41]
	scratch_load_b128 v[40:43], off, off offset:736
	s_wait_loadcnt_dscnt 0x800
	v_mul_f64_e32 v[181:182], v[169:170], v[8:9]
	v_mul_f64_e32 v[8:9], v[171:172], v[8:9]
	v_add_f64_e32 v[175:176], v[175:176], v[185:186]
	v_add_f64_e32 v[173:174], v[173:174], v[183:184]
	v_fma_f64 v[183:184], v[4:5], v[38:39], v[177:178]
	v_fma_f64 v[38:39], v[2:3], v[38:39], -v[187:188]
	ds_load_b128 v[2:5], v1 offset:1536
	ds_load_b128 v[177:180], v1 offset:1552
	v_fma_f64 v[171:172], v[171:172], v[6:7], v[181:182]
	v_fma_f64 v[169:170], v[169:170], v[6:7], -v[8:9]
	scratch_load_b128 v[6:9], off, off offset:768
	v_add_f64_e32 v[167:168], v[175:176], v[167:168]
	v_add_f64_e32 v[44:45], v[173:174], v[44:45]
	scratch_load_b128 v[173:176], off, off offset:752
	s_wait_loadcnt_dscnt 0x901
	v_mul_f64_e32 v[185:186], v[2:3], v[12:13]
	v_mul_f64_e32 v[12:13], v[4:5], v[12:13]
	s_wait_loadcnt_dscnt 0x800
	v_mul_f64_e32 v[181:182], v[177:178], v[16:17]
	v_mul_f64_e32 v[16:17], v[179:180], v[16:17]
	v_add_f64_e32 v[38:39], v[167:168], v[38:39]
	v_add_f64_e32 v[44:45], v[44:45], v[183:184]
	v_fma_f64 v[183:184], v[4:5], v[10:11], v[185:186]
	v_fma_f64 v[185:186], v[2:3], v[10:11], -v[12:13]
	ds_load_b128 v[2:5], v1 offset:1568
	scratch_load_b128 v[10:13], off, off offset:784
	v_fma_f64 v[179:180], v[179:180], v[14:15], v[181:182]
	v_fma_f64 v[177:178], v[177:178], v[14:15], -v[16:17]
	scratch_load_b128 v[14:17], off, off offset:800
	v_add_f64_e32 v[38:39], v[38:39], v[169:170]
	v_add_f64_e32 v[44:45], v[44:45], v[171:172]
	ds_load_b128 v[167:170], v1 offset:1584
	s_wait_loadcnt_dscnt 0x901
	v_mul_f64_e32 v[171:172], v[2:3], v[20:21]
	v_mul_f64_e32 v[20:21], v[4:5], v[20:21]
	s_wait_loadcnt_dscnt 0x800
	v_mul_f64_e32 v[181:182], v[167:168], v[24:25]
	v_mul_f64_e32 v[24:25], v[169:170], v[24:25]
	v_add_f64_e32 v[38:39], v[38:39], v[185:186]
	v_add_f64_e32 v[44:45], v[44:45], v[183:184]
	v_fma_f64 v[171:172], v[4:5], v[18:19], v[171:172]
	v_fma_f64 v[183:184], v[2:3], v[18:19], -v[20:21]
	ds_load_b128 v[2:5], v1 offset:1600
	scratch_load_b128 v[18:21], off, off offset:816
	v_fma_f64 v[169:170], v[169:170], v[22:23], v[181:182]
	v_fma_f64 v[167:168], v[167:168], v[22:23], -v[24:25]
	scratch_load_b128 v[22:25], off, off offset:832
	v_add_f64_e32 v[38:39], v[38:39], v[177:178]
	v_add_f64_e32 v[44:45], v[44:45], v[179:180]
	ds_load_b128 v[177:180], v1 offset:1616
	s_wait_loadcnt_dscnt 0x901
	v_mul_f64_e32 v[185:186], v[2:3], v[28:29]
	v_mul_f64_e32 v[28:29], v[4:5], v[28:29]
	v_add_f64_e32 v[38:39], v[38:39], v[183:184]
	v_add_f64_e32 v[44:45], v[44:45], v[171:172]
	s_wait_loadcnt_dscnt 0x800
	v_mul_f64_e32 v[171:172], v[177:178], v[32:33]
	v_mul_f64_e32 v[32:33], v[179:180], v[32:33]
	v_fma_f64 v[181:182], v[4:5], v[26:27], v[185:186]
	v_fma_f64 v[183:184], v[2:3], v[26:27], -v[28:29]
	ds_load_b128 v[2:5], v1 offset:1632
	scratch_load_b128 v[26:29], off, off offset:848
	v_add_f64_e32 v[38:39], v[38:39], v[167:168]
	v_add_f64_e32 v[44:45], v[44:45], v[169:170]
	ds_load_b128 v[167:170], v1 offset:1648
	s_wait_loadcnt_dscnt 0x801
	v_mul_f64_e32 v[185:186], v[2:3], v[36:37]
	v_mul_f64_e32 v[36:37], v[4:5], v[36:37]
	v_fma_f64 v[171:172], v[179:180], v[30:31], v[171:172]
	v_fma_f64 v[177:178], v[177:178], v[30:31], -v[32:33]
	scratch_load_b128 v[30:33], off, off offset:864
	s_wait_loadcnt_dscnt 0x800
	v_mul_f64_e32 v[179:180], v[167:168], v[42:43]
	v_add_f64_e32 v[38:39], v[38:39], v[183:184]
	v_add_f64_e32 v[44:45], v[44:45], v[181:182]
	v_mul_f64_e32 v[181:182], v[169:170], v[42:43]
	v_fma_f64 v[183:184], v[4:5], v[34:35], v[185:186]
	v_fma_f64 v[185:186], v[2:3], v[34:35], -v[36:37]
	ds_load_b128 v[2:5], v1 offset:1664
	scratch_load_b128 v[34:37], off, off offset:880
	v_fma_f64 v[169:170], v[169:170], v[40:41], v[179:180]
	v_add_f64_e32 v[38:39], v[38:39], v[177:178]
	v_add_f64_e32 v[171:172], v[44:45], v[171:172]
	ds_load_b128 v[42:45], v1 offset:1680
	v_fma_f64 v[167:168], v[167:168], v[40:41], -v[181:182]
	s_wait_loadcnt_dscnt 0x701
	v_mul_f64_e32 v[177:178], v[2:3], v[175:176]
	v_mul_f64_e32 v[175:176], v[4:5], v[175:176]
	s_wait_dscnt 0x0
	v_mul_f64_e32 v[181:182], v[42:43], v[8:9]
	v_mul_f64_e32 v[8:9], v[44:45], v[8:9]
	v_add_f64_e32 v[179:180], v[38:39], v[185:186]
	v_add_f64_e32 v[171:172], v[171:172], v[183:184]
	scratch_load_b128 v[38:41], off, off offset:896
	v_fma_f64 v[177:178], v[4:5], v[173:174], v[177:178]
	v_fma_f64 v[175:176], v[2:3], v[173:174], -v[175:176]
	ds_load_b128 v[2:5], v1 offset:1696
	v_fma_f64 v[44:45], v[44:45], v[6:7], v[181:182]
	v_fma_f64 v[42:43], v[42:43], v[6:7], -v[8:9]
	scratch_load_b128 v[6:9], off, off offset:928
	v_add_f64_e32 v[179:180], v[179:180], v[167:168]
	v_add_f64_e32 v[183:184], v[171:172], v[169:170]
	scratch_load_b128 v[167:170], off, off offset:912
	ds_load_b128 v[171:174], v1 offset:1712
	s_wait_loadcnt_dscnt 0x901
	v_mul_f64_e32 v[185:186], v[2:3], v[12:13]
	v_mul_f64_e32 v[12:13], v[4:5], v[12:13]
	v_add_f64_e32 v[175:176], v[179:180], v[175:176]
	v_add_f64_e32 v[177:178], v[183:184], v[177:178]
	s_wait_loadcnt_dscnt 0x800
	v_mul_f64_e32 v[179:180], v[171:172], v[16:17]
	v_mul_f64_e32 v[16:17], v[173:174], v[16:17]
	v_fma_f64 v[181:182], v[4:5], v[10:11], v[185:186]
	v_fma_f64 v[183:184], v[2:3], v[10:11], -v[12:13]
	ds_load_b128 v[2:5], v1 offset:1728
	ds_load_b128 v[10:13], v1 offset:1744
	v_add_f64_e32 v[42:43], v[175:176], v[42:43]
	v_add_f64_e32 v[44:45], v[177:178], v[44:45]
	s_wait_loadcnt_dscnt 0x701
	v_mul_f64_e32 v[175:176], v[2:3], v[20:21]
	v_mul_f64_e32 v[20:21], v[4:5], v[20:21]
	v_fma_f64 v[173:174], v[173:174], v[14:15], v[179:180]
	v_fma_f64 v[14:15], v[171:172], v[14:15], -v[16:17]
	v_add_f64_e32 v[16:17], v[42:43], v[183:184]
	v_add_f64_e32 v[42:43], v[44:45], v[181:182]
	s_wait_loadcnt_dscnt 0x600
	v_mul_f64_e32 v[44:45], v[10:11], v[24:25]
	v_mul_f64_e32 v[24:25], v[12:13], v[24:25]
	v_fma_f64 v[171:172], v[4:5], v[18:19], v[175:176]
	v_fma_f64 v[18:19], v[2:3], v[18:19], -v[20:21]
	v_add_f64_e32 v[20:21], v[16:17], v[14:15]
	v_add_f64_e32 v[42:43], v[42:43], v[173:174]
	ds_load_b128 v[2:5], v1 offset:1760
	ds_load_b128 v[14:17], v1 offset:1776
	v_fma_f64 v[12:13], v[12:13], v[22:23], v[44:45]
	v_fma_f64 v[10:11], v[10:11], v[22:23], -v[24:25]
	s_wait_loadcnt_dscnt 0x501
	v_mul_f64_e32 v[173:174], v[2:3], v[28:29]
	v_mul_f64_e32 v[28:29], v[4:5], v[28:29]
	s_wait_loadcnt_dscnt 0x400
	v_mul_f64_e32 v[22:23], v[14:15], v[32:33]
	v_mul_f64_e32 v[24:25], v[16:17], v[32:33]
	v_add_f64_e32 v[18:19], v[20:21], v[18:19]
	v_add_f64_e32 v[20:21], v[42:43], v[171:172]
	v_fma_f64 v[32:33], v[4:5], v[26:27], v[173:174]
	v_fma_f64 v[26:27], v[2:3], v[26:27], -v[28:29]
	v_fma_f64 v[16:17], v[16:17], v[30:31], v[22:23]
	v_fma_f64 v[14:15], v[14:15], v[30:31], -v[24:25]
	v_add_f64_e32 v[18:19], v[18:19], v[10:11]
	v_add_f64_e32 v[20:21], v[20:21], v[12:13]
	ds_load_b128 v[2:5], v1 offset:1792
	ds_load_b128 v[10:13], v1 offset:1808
	s_wait_loadcnt_dscnt 0x301
	v_mul_f64_e32 v[28:29], v[2:3], v[36:37]
	v_mul_f64_e32 v[36:37], v[4:5], v[36:37]
	v_add_f64_e32 v[18:19], v[18:19], v[26:27]
	v_add_f64_e32 v[20:21], v[20:21], v[32:33]
	s_wait_loadcnt_dscnt 0x200
	v_mul_f64_e32 v[22:23], v[10:11], v[40:41]
	v_mul_f64_e32 v[24:25], v[12:13], v[40:41]
	v_fma_f64 v[26:27], v[4:5], v[34:35], v[28:29]
	v_fma_f64 v[28:29], v[2:3], v[34:35], -v[36:37]
	v_add_f64_e32 v[18:19], v[18:19], v[14:15]
	v_add_f64_e32 v[20:21], v[20:21], v[16:17]
	ds_load_b128 v[2:5], v1 offset:1824
	ds_load_b128 v[14:17], v1 offset:1840
	v_fma_f64 v[12:13], v[12:13], v[38:39], v[22:23]
	v_fma_f64 v[10:11], v[10:11], v[38:39], -v[24:25]
	s_wait_loadcnt_dscnt 0x1
	v_mul_f64_e32 v[30:31], v[2:3], v[169:170]
	v_mul_f64_e32 v[32:33], v[4:5], v[169:170]
	s_wait_dscnt 0x0
	v_mul_f64_e32 v[22:23], v[14:15], v[8:9]
	v_mul_f64_e32 v[8:9], v[16:17], v[8:9]
	v_add_f64_e32 v[18:19], v[18:19], v[28:29]
	v_add_f64_e32 v[20:21], v[20:21], v[26:27]
	v_fma_f64 v[4:5], v[4:5], v[167:168], v[30:31]
	v_fma_f64 v[1:2], v[2:3], v[167:168], -v[32:33]
	v_fma_f64 v[16:17], v[16:17], v[6:7], v[22:23]
	v_fma_f64 v[6:7], v[14:15], v[6:7], -v[8:9]
	v_add_f64_e32 v[10:11], v[18:19], v[10:11]
	v_add_f64_e32 v[12:13], v[20:21], v[12:13]
	s_delay_alu instid0(VALU_DEP_2) | instskip(NEXT) | instid1(VALU_DEP_2)
	v_add_f64_e32 v[1:2], v[10:11], v[1:2]
	v_add_f64_e32 v[3:4], v[12:13], v[4:5]
	s_delay_alu instid0(VALU_DEP_2) | instskip(NEXT) | instid1(VALU_DEP_2)
	;; [unrolled: 3-line block ×3, first 2 shown]
	v_add_f64_e64 v[1:2], v[163:164], -v[1:2]
	v_add_f64_e64 v[3:4], v[165:166], -v[3:4]
	scratch_store_b128 off, v[1:4], off offset:416
	v_cmpx_lt_u32_e32 24, v0
	s_cbranch_execz .LBB57_313
; %bb.312:
	scratch_load_b128 v[1:4], off, s41
	v_mov_b32_e32 v5, 0
	s_delay_alu instid0(VALU_DEP_1)
	v_dual_mov_b32 v6, v5 :: v_dual_mov_b32 v7, v5
	v_mov_b32_e32 v8, v5
	scratch_store_b128 off, v[5:8], off offset:400
	s_wait_loadcnt 0x0
	ds_store_b128 v162, v[1:4]
.LBB57_313:
	s_wait_alu 0xfffe
	s_or_b32 exec_lo, exec_lo, s0
	s_wait_storecnt_dscnt 0x0
	s_barrier_signal -1
	s_barrier_wait -1
	global_inv scope:SCOPE_SE
	s_clause 0x7
	scratch_load_b128 v[2:5], off, off offset:416
	scratch_load_b128 v[6:9], off, off offset:432
	;; [unrolled: 1-line block ×8, first 2 shown]
	v_mov_b32_e32 v1, 0
	s_mov_b32 s0, exec_lo
	ds_load_b128 v[34:37], v1 offset:1328
	s_clause 0x1
	scratch_load_b128 v[38:41], off, off offset:544
	scratch_load_b128 v[42:45], off, off offset:400
	ds_load_b128 v[163:166], v1 offset:1344
	scratch_load_b128 v[167:170], off, off offset:560
	s_wait_loadcnt_dscnt 0xa01
	v_mul_f64_e32 v[171:172], v[36:37], v[4:5]
	v_mul_f64_e32 v[4:5], v[34:35], v[4:5]
	s_delay_alu instid0(VALU_DEP_2) | instskip(NEXT) | instid1(VALU_DEP_2)
	v_fma_f64 v[177:178], v[34:35], v[2:3], -v[171:172]
	v_fma_f64 v[179:180], v[36:37], v[2:3], v[4:5]
	ds_load_b128 v[2:5], v1 offset:1360
	s_wait_loadcnt_dscnt 0x901
	v_mul_f64_e32 v[175:176], v[163:164], v[8:9]
	v_mul_f64_e32 v[8:9], v[165:166], v[8:9]
	scratch_load_b128 v[34:37], off, off offset:576
	ds_load_b128 v[171:174], v1 offset:1376
	s_wait_loadcnt_dscnt 0x901
	v_mul_f64_e32 v[181:182], v[2:3], v[12:13]
	v_mul_f64_e32 v[12:13], v[4:5], v[12:13]
	v_fma_f64 v[165:166], v[165:166], v[6:7], v[175:176]
	v_fma_f64 v[163:164], v[163:164], v[6:7], -v[8:9]
	v_add_f64_e32 v[175:176], 0, v[177:178]
	v_add_f64_e32 v[177:178], 0, v[179:180]
	scratch_load_b128 v[6:9], off, off offset:592
	v_fma_f64 v[181:182], v[4:5], v[10:11], v[181:182]
	v_fma_f64 v[183:184], v[2:3], v[10:11], -v[12:13]
	ds_load_b128 v[2:5], v1 offset:1392
	s_wait_loadcnt_dscnt 0x901
	v_mul_f64_e32 v[179:180], v[171:172], v[16:17]
	v_mul_f64_e32 v[16:17], v[173:174], v[16:17]
	scratch_load_b128 v[10:13], off, off offset:608
	v_add_f64_e32 v[175:176], v[175:176], v[163:164]
	v_add_f64_e32 v[177:178], v[177:178], v[165:166]
	s_wait_loadcnt_dscnt 0x900
	v_mul_f64_e32 v[185:186], v[2:3], v[20:21]
	v_mul_f64_e32 v[20:21], v[4:5], v[20:21]
	ds_load_b128 v[163:166], v1 offset:1408
	v_fma_f64 v[173:174], v[173:174], v[14:15], v[179:180]
	v_fma_f64 v[171:172], v[171:172], v[14:15], -v[16:17]
	scratch_load_b128 v[14:17], off, off offset:624
	v_add_f64_e32 v[175:176], v[175:176], v[183:184]
	v_add_f64_e32 v[177:178], v[177:178], v[181:182]
	v_fma_f64 v[181:182], v[4:5], v[18:19], v[185:186]
	v_fma_f64 v[183:184], v[2:3], v[18:19], -v[20:21]
	ds_load_b128 v[2:5], v1 offset:1424
	s_wait_loadcnt_dscnt 0x901
	v_mul_f64_e32 v[179:180], v[163:164], v[24:25]
	v_mul_f64_e32 v[24:25], v[165:166], v[24:25]
	scratch_load_b128 v[18:21], off, off offset:640
	s_wait_loadcnt_dscnt 0x900
	v_mul_f64_e32 v[185:186], v[2:3], v[28:29]
	v_mul_f64_e32 v[28:29], v[4:5], v[28:29]
	v_add_f64_e32 v[175:176], v[175:176], v[171:172]
	v_add_f64_e32 v[177:178], v[177:178], v[173:174]
	ds_load_b128 v[171:174], v1 offset:1440
	v_fma_f64 v[165:166], v[165:166], v[22:23], v[179:180]
	v_fma_f64 v[163:164], v[163:164], v[22:23], -v[24:25]
	scratch_load_b128 v[22:25], off, off offset:656
	v_add_f64_e32 v[175:176], v[175:176], v[183:184]
	v_add_f64_e32 v[177:178], v[177:178], v[181:182]
	v_fma_f64 v[181:182], v[4:5], v[26:27], v[185:186]
	v_fma_f64 v[183:184], v[2:3], v[26:27], -v[28:29]
	ds_load_b128 v[2:5], v1 offset:1456
	s_wait_loadcnt_dscnt 0x901
	v_mul_f64_e32 v[179:180], v[171:172], v[32:33]
	v_mul_f64_e32 v[32:33], v[173:174], v[32:33]
	scratch_load_b128 v[26:29], off, off offset:672
	s_wait_loadcnt_dscnt 0x900
	v_mul_f64_e32 v[185:186], v[2:3], v[40:41]
	v_mul_f64_e32 v[40:41], v[4:5], v[40:41]
	v_add_f64_e32 v[175:176], v[175:176], v[163:164]
	v_add_f64_e32 v[177:178], v[177:178], v[165:166]
	ds_load_b128 v[163:166], v1 offset:1472
	v_fma_f64 v[173:174], v[173:174], v[30:31], v[179:180]
	v_fma_f64 v[171:172], v[171:172], v[30:31], -v[32:33]
	scratch_load_b128 v[30:33], off, off offset:688
	v_add_f64_e32 v[175:176], v[175:176], v[183:184]
	v_add_f64_e32 v[177:178], v[177:178], v[181:182]
	v_fma_f64 v[183:184], v[4:5], v[38:39], v[185:186]
	v_fma_f64 v[185:186], v[2:3], v[38:39], -v[40:41]
	ds_load_b128 v[2:5], v1 offset:1488
	s_wait_loadcnt_dscnt 0x801
	v_mul_f64_e32 v[179:180], v[163:164], v[169:170]
	v_mul_f64_e32 v[181:182], v[165:166], v[169:170]
	scratch_load_b128 v[38:41], off, off offset:704
	v_add_f64_e32 v[175:176], v[175:176], v[171:172]
	v_add_f64_e32 v[173:174], v[177:178], v[173:174]
	ds_load_b128 v[169:172], v1 offset:1504
	v_fma_f64 v[179:180], v[165:166], v[167:168], v[179:180]
	v_fma_f64 v[167:168], v[163:164], v[167:168], -v[181:182]
	scratch_load_b128 v[163:166], off, off offset:720
	s_wait_loadcnt_dscnt 0x901
	v_mul_f64_e32 v[177:178], v[2:3], v[36:37]
	v_mul_f64_e32 v[36:37], v[4:5], v[36:37]
	v_add_f64_e32 v[175:176], v[175:176], v[185:186]
	v_add_f64_e32 v[173:174], v[173:174], v[183:184]
	s_delay_alu instid0(VALU_DEP_4) | instskip(NEXT) | instid1(VALU_DEP_4)
	v_fma_f64 v[177:178], v[4:5], v[34:35], v[177:178]
	v_fma_f64 v[183:184], v[2:3], v[34:35], -v[36:37]
	ds_load_b128 v[2:5], v1 offset:1520
	s_wait_loadcnt_dscnt 0x801
	v_mul_f64_e32 v[181:182], v[169:170], v[8:9]
	v_mul_f64_e32 v[8:9], v[171:172], v[8:9]
	scratch_load_b128 v[34:37], off, off offset:736
	s_wait_loadcnt_dscnt 0x800
	v_mul_f64_e32 v[185:186], v[2:3], v[12:13]
	v_add_f64_e32 v[167:168], v[175:176], v[167:168]
	v_add_f64_e32 v[179:180], v[173:174], v[179:180]
	v_mul_f64_e32 v[12:13], v[4:5], v[12:13]
	ds_load_b128 v[173:176], v1 offset:1536
	v_fma_f64 v[171:172], v[171:172], v[6:7], v[181:182]
	v_fma_f64 v[169:170], v[169:170], v[6:7], -v[8:9]
	scratch_load_b128 v[6:9], off, off offset:752
	v_fma_f64 v[181:182], v[4:5], v[10:11], v[185:186]
	v_add_f64_e32 v[167:168], v[167:168], v[183:184]
	v_add_f64_e32 v[177:178], v[179:180], v[177:178]
	v_fma_f64 v[183:184], v[2:3], v[10:11], -v[12:13]
	ds_load_b128 v[2:5], v1 offset:1552
	s_wait_loadcnt_dscnt 0x801
	v_mul_f64_e32 v[179:180], v[173:174], v[16:17]
	v_mul_f64_e32 v[16:17], v[175:176], v[16:17]
	scratch_load_b128 v[10:13], off, off offset:768
	v_add_f64_e32 v[185:186], v[167:168], v[169:170]
	v_add_f64_e32 v[171:172], v[177:178], v[171:172]
	s_wait_loadcnt_dscnt 0x800
	v_mul_f64_e32 v[177:178], v[2:3], v[20:21]
	v_mul_f64_e32 v[20:21], v[4:5], v[20:21]
	v_fma_f64 v[175:176], v[175:176], v[14:15], v[179:180]
	v_fma_f64 v[173:174], v[173:174], v[14:15], -v[16:17]
	ds_load_b128 v[167:170], v1 offset:1568
	scratch_load_b128 v[14:17], off, off offset:784
	v_add_f64_e32 v[179:180], v[185:186], v[183:184]
	v_add_f64_e32 v[171:172], v[171:172], v[181:182]
	v_fma_f64 v[177:178], v[4:5], v[18:19], v[177:178]
	v_fma_f64 v[183:184], v[2:3], v[18:19], -v[20:21]
	ds_load_b128 v[2:5], v1 offset:1584
	s_wait_loadcnt_dscnt 0x801
	v_mul_f64_e32 v[181:182], v[167:168], v[24:25]
	v_mul_f64_e32 v[24:25], v[169:170], v[24:25]
	scratch_load_b128 v[18:21], off, off offset:800
	s_wait_loadcnt_dscnt 0x800
	v_mul_f64_e32 v[185:186], v[2:3], v[28:29]
	v_mul_f64_e32 v[28:29], v[4:5], v[28:29]
	v_add_f64_e32 v[179:180], v[179:180], v[173:174]
	v_add_f64_e32 v[175:176], v[171:172], v[175:176]
	ds_load_b128 v[171:174], v1 offset:1600
	v_fma_f64 v[169:170], v[169:170], v[22:23], v[181:182]
	v_fma_f64 v[167:168], v[167:168], v[22:23], -v[24:25]
	scratch_load_b128 v[22:25], off, off offset:816
	v_fma_f64 v[181:182], v[4:5], v[26:27], v[185:186]
	v_add_f64_e32 v[179:180], v[179:180], v[183:184]
	v_add_f64_e32 v[175:176], v[175:176], v[177:178]
	v_fma_f64 v[183:184], v[2:3], v[26:27], -v[28:29]
	ds_load_b128 v[2:5], v1 offset:1616
	s_wait_loadcnt_dscnt 0x801
	v_mul_f64_e32 v[177:178], v[171:172], v[32:33]
	v_mul_f64_e32 v[32:33], v[173:174], v[32:33]
	scratch_load_b128 v[26:29], off, off offset:832
	s_wait_loadcnt_dscnt 0x800
	v_mul_f64_e32 v[185:186], v[2:3], v[40:41]
	v_mul_f64_e32 v[40:41], v[4:5], v[40:41]
	v_add_f64_e32 v[179:180], v[179:180], v[167:168]
	v_add_f64_e32 v[175:176], v[175:176], v[169:170]
	ds_load_b128 v[167:170], v1 offset:1632
	v_fma_f64 v[173:174], v[173:174], v[30:31], v[177:178]
	v_fma_f64 v[171:172], v[171:172], v[30:31], -v[32:33]
	scratch_load_b128 v[30:33], off, off offset:848
	v_add_f64_e32 v[177:178], v[179:180], v[183:184]
	v_add_f64_e32 v[175:176], v[175:176], v[181:182]
	v_fma_f64 v[181:182], v[4:5], v[38:39], v[185:186]
	v_fma_f64 v[183:184], v[2:3], v[38:39], -v[40:41]
	ds_load_b128 v[2:5], v1 offset:1648
	s_wait_loadcnt_dscnt 0x801
	v_mul_f64_e32 v[179:180], v[167:168], v[165:166]
	v_mul_f64_e32 v[165:166], v[169:170], v[165:166]
	scratch_load_b128 v[38:41], off, off offset:864
	s_wait_loadcnt_dscnt 0x800
	v_mul_f64_e32 v[185:186], v[2:3], v[36:37]
	v_mul_f64_e32 v[36:37], v[4:5], v[36:37]
	v_add_f64_e32 v[177:178], v[177:178], v[171:172]
	v_add_f64_e32 v[175:176], v[175:176], v[173:174]
	ds_load_b128 v[171:174], v1 offset:1664
	v_fma_f64 v[169:170], v[169:170], v[163:164], v[179:180]
	v_fma_f64 v[167:168], v[167:168], v[163:164], -v[165:166]
	scratch_load_b128 v[163:166], off, off offset:880
	v_add_f64_e32 v[177:178], v[177:178], v[183:184]
	v_add_f64_e32 v[175:176], v[175:176], v[181:182]
	v_fma_f64 v[181:182], v[4:5], v[34:35], v[185:186]
	;; [unrolled: 18-line block ×3, first 2 shown]
	v_fma_f64 v[183:184], v[2:3], v[10:11], -v[12:13]
	ds_load_b128 v[2:5], v1 offset:1712
	s_wait_loadcnt_dscnt 0x801
	v_mul_f64_e32 v[179:180], v[167:168], v[16:17]
	v_mul_f64_e32 v[16:17], v[169:170], v[16:17]
	scratch_load_b128 v[10:13], off, off offset:928
	s_wait_loadcnt_dscnt 0x800
	v_mul_f64_e32 v[185:186], v[2:3], v[20:21]
	v_mul_f64_e32 v[20:21], v[4:5], v[20:21]
	v_add_f64_e32 v[177:178], v[177:178], v[171:172]
	v_add_f64_e32 v[175:176], v[175:176], v[173:174]
	ds_load_b128 v[171:174], v1 offset:1728
	v_fma_f64 v[169:170], v[169:170], v[14:15], v[179:180]
	v_fma_f64 v[14:15], v[167:168], v[14:15], -v[16:17]
	v_add_f64_e32 v[16:17], v[177:178], v[183:184]
	v_add_f64_e32 v[167:168], v[175:176], v[181:182]
	s_wait_loadcnt_dscnt 0x700
	v_mul_f64_e32 v[175:176], v[171:172], v[24:25]
	v_mul_f64_e32 v[24:25], v[173:174], v[24:25]
	v_fma_f64 v[177:178], v[4:5], v[18:19], v[185:186]
	v_fma_f64 v[18:19], v[2:3], v[18:19], -v[20:21]
	v_add_f64_e32 v[20:21], v[16:17], v[14:15]
	v_add_f64_e32 v[167:168], v[167:168], v[169:170]
	ds_load_b128 v[2:5], v1 offset:1744
	ds_load_b128 v[14:17], v1 offset:1760
	v_fma_f64 v[173:174], v[173:174], v[22:23], v[175:176]
	v_fma_f64 v[22:23], v[171:172], v[22:23], -v[24:25]
	s_wait_loadcnt_dscnt 0x601
	v_mul_f64_e32 v[169:170], v[2:3], v[28:29]
	v_mul_f64_e32 v[28:29], v[4:5], v[28:29]
	s_wait_loadcnt_dscnt 0x500
	v_mul_f64_e32 v[24:25], v[14:15], v[32:33]
	v_mul_f64_e32 v[32:33], v[16:17], v[32:33]
	v_add_f64_e32 v[18:19], v[20:21], v[18:19]
	v_add_f64_e32 v[20:21], v[167:168], v[177:178]
	v_fma_f64 v[167:168], v[4:5], v[26:27], v[169:170]
	v_fma_f64 v[26:27], v[2:3], v[26:27], -v[28:29]
	v_fma_f64 v[16:17], v[16:17], v[30:31], v[24:25]
	v_fma_f64 v[14:15], v[14:15], v[30:31], -v[32:33]
	v_add_f64_e32 v[22:23], v[18:19], v[22:23]
	v_add_f64_e32 v[28:29], v[20:21], v[173:174]
	ds_load_b128 v[2:5], v1 offset:1776
	ds_load_b128 v[18:21], v1 offset:1792
	s_wait_loadcnt_dscnt 0x401
	v_mul_f64_e32 v[169:170], v[2:3], v[40:41]
	v_mul_f64_e32 v[40:41], v[4:5], v[40:41]
	v_add_f64_e32 v[22:23], v[22:23], v[26:27]
	v_add_f64_e32 v[24:25], v[28:29], v[167:168]
	s_wait_loadcnt_dscnt 0x300
	v_mul_f64_e32 v[26:27], v[18:19], v[165:166]
	v_mul_f64_e32 v[28:29], v[20:21], v[165:166]
	v_fma_f64 v[30:31], v[4:5], v[38:39], v[169:170]
	v_fma_f64 v[32:33], v[2:3], v[38:39], -v[40:41]
	v_add_f64_e32 v[22:23], v[22:23], v[14:15]
	v_add_f64_e32 v[24:25], v[24:25], v[16:17]
	ds_load_b128 v[2:5], v1 offset:1808
	ds_load_b128 v[14:17], v1 offset:1824
	v_fma_f64 v[20:21], v[20:21], v[163:164], v[26:27]
	v_fma_f64 v[18:19], v[18:19], v[163:164], -v[28:29]
	s_wait_loadcnt_dscnt 0x201
	v_mul_f64_e32 v[38:39], v[2:3], v[36:37]
	v_mul_f64_e32 v[36:37], v[4:5], v[36:37]
	s_wait_loadcnt_dscnt 0x100
	v_mul_f64_e32 v[26:27], v[14:15], v[8:9]
	v_mul_f64_e32 v[8:9], v[16:17], v[8:9]
	v_add_f64_e32 v[22:23], v[22:23], v[32:33]
	v_add_f64_e32 v[24:25], v[24:25], v[30:31]
	v_fma_f64 v[28:29], v[4:5], v[34:35], v[38:39]
	v_fma_f64 v[30:31], v[2:3], v[34:35], -v[36:37]
	ds_load_b128 v[2:5], v1 offset:1840
	v_fma_f64 v[16:17], v[16:17], v[6:7], v[26:27]
	v_fma_f64 v[6:7], v[14:15], v[6:7], -v[8:9]
	v_add_f64_e32 v[18:19], v[22:23], v[18:19]
	v_add_f64_e32 v[20:21], v[24:25], v[20:21]
	s_wait_loadcnt_dscnt 0x0
	v_mul_f64_e32 v[22:23], v[2:3], v[12:13]
	v_mul_f64_e32 v[12:13], v[4:5], v[12:13]
	s_delay_alu instid0(VALU_DEP_4) | instskip(NEXT) | instid1(VALU_DEP_4)
	v_add_f64_e32 v[8:9], v[18:19], v[30:31]
	v_add_f64_e32 v[14:15], v[20:21], v[28:29]
	s_delay_alu instid0(VALU_DEP_4) | instskip(NEXT) | instid1(VALU_DEP_4)
	v_fma_f64 v[4:5], v[4:5], v[10:11], v[22:23]
	v_fma_f64 v[2:3], v[2:3], v[10:11], -v[12:13]
	s_delay_alu instid0(VALU_DEP_4) | instskip(NEXT) | instid1(VALU_DEP_4)
	v_add_f64_e32 v[6:7], v[8:9], v[6:7]
	v_add_f64_e32 v[8:9], v[14:15], v[16:17]
	s_delay_alu instid0(VALU_DEP_2) | instskip(NEXT) | instid1(VALU_DEP_2)
	v_add_f64_e32 v[2:3], v[6:7], v[2:3]
	v_add_f64_e32 v[4:5], v[8:9], v[4:5]
	s_delay_alu instid0(VALU_DEP_2) | instskip(NEXT) | instid1(VALU_DEP_2)
	v_add_f64_e64 v[2:3], v[42:43], -v[2:3]
	v_add_f64_e64 v[4:5], v[44:45], -v[4:5]
	scratch_store_b128 off, v[2:5], off offset:400
	v_cmpx_lt_u32_e32 23, v0
	s_cbranch_execz .LBB57_315
; %bb.314:
	scratch_load_b128 v[5:8], off, s43
	v_dual_mov_b32 v2, v1 :: v_dual_mov_b32 v3, v1
	v_mov_b32_e32 v4, v1
	scratch_store_b128 off, v[1:4], off offset:384
	s_wait_loadcnt 0x0
	ds_store_b128 v162, v[5:8]
.LBB57_315:
	s_wait_alu 0xfffe
	s_or_b32 exec_lo, exec_lo, s0
	s_wait_storecnt_dscnt 0x0
	s_barrier_signal -1
	s_barrier_wait -1
	global_inv scope:SCOPE_SE
	s_clause 0x8
	scratch_load_b128 v[2:5], off, off offset:400
	scratch_load_b128 v[6:9], off, off offset:416
	;; [unrolled: 1-line block ×9, first 2 shown]
	ds_load_b128 v[38:41], v1 offset:1312
	ds_load_b128 v[42:45], v1 offset:1328
	s_clause 0x1
	scratch_load_b128 v[163:166], off, off offset:384
	scratch_load_b128 v[167:170], off, off offset:544
	s_mov_b32 s0, exec_lo
	s_wait_loadcnt_dscnt 0xa01
	v_mul_f64_e32 v[171:172], v[40:41], v[4:5]
	v_mul_f64_e32 v[4:5], v[38:39], v[4:5]
	s_wait_loadcnt_dscnt 0x900
	v_mul_f64_e32 v[175:176], v[42:43], v[8:9]
	v_mul_f64_e32 v[8:9], v[44:45], v[8:9]
	s_delay_alu instid0(VALU_DEP_4) | instskip(NEXT) | instid1(VALU_DEP_4)
	v_fma_f64 v[177:178], v[38:39], v[2:3], -v[171:172]
	v_fma_f64 v[179:180], v[40:41], v[2:3], v[4:5]
	ds_load_b128 v[2:5], v1 offset:1344
	ds_load_b128 v[171:174], v1 offset:1360
	scratch_load_b128 v[38:41], off, off offset:560
	v_fma_f64 v[44:45], v[44:45], v[6:7], v[175:176]
	v_fma_f64 v[42:43], v[42:43], v[6:7], -v[8:9]
	scratch_load_b128 v[6:9], off, off offset:576
	s_wait_loadcnt_dscnt 0xa01
	v_mul_f64_e32 v[181:182], v[2:3], v[12:13]
	v_mul_f64_e32 v[12:13], v[4:5], v[12:13]
	v_add_f64_e32 v[175:176], 0, v[177:178]
	v_add_f64_e32 v[177:178], 0, v[179:180]
	s_wait_loadcnt_dscnt 0x900
	v_mul_f64_e32 v[179:180], v[171:172], v[16:17]
	v_mul_f64_e32 v[16:17], v[173:174], v[16:17]
	v_fma_f64 v[181:182], v[4:5], v[10:11], v[181:182]
	v_fma_f64 v[183:184], v[2:3], v[10:11], -v[12:13]
	ds_load_b128 v[2:5], v1 offset:1376
	scratch_load_b128 v[10:13], off, off offset:592
	v_add_f64_e32 v[175:176], v[175:176], v[42:43]
	v_add_f64_e32 v[177:178], v[177:178], v[44:45]
	ds_load_b128 v[42:45], v1 offset:1392
	v_fma_f64 v[173:174], v[173:174], v[14:15], v[179:180]
	v_fma_f64 v[171:172], v[171:172], v[14:15], -v[16:17]
	scratch_load_b128 v[14:17], off, off offset:608
	s_wait_loadcnt_dscnt 0xa01
	v_mul_f64_e32 v[185:186], v[2:3], v[20:21]
	v_mul_f64_e32 v[20:21], v[4:5], v[20:21]
	s_wait_loadcnt_dscnt 0x900
	v_mul_f64_e32 v[179:180], v[42:43], v[24:25]
	v_mul_f64_e32 v[24:25], v[44:45], v[24:25]
	v_add_f64_e32 v[175:176], v[175:176], v[183:184]
	v_add_f64_e32 v[177:178], v[177:178], v[181:182]
	v_fma_f64 v[181:182], v[4:5], v[18:19], v[185:186]
	v_fma_f64 v[183:184], v[2:3], v[18:19], -v[20:21]
	ds_load_b128 v[2:5], v1 offset:1408
	scratch_load_b128 v[18:21], off, off offset:624
	v_fma_f64 v[44:45], v[44:45], v[22:23], v[179:180]
	v_fma_f64 v[42:43], v[42:43], v[22:23], -v[24:25]
	scratch_load_b128 v[22:25], off, off offset:640
	v_add_f64_e32 v[175:176], v[175:176], v[171:172]
	v_add_f64_e32 v[177:178], v[177:178], v[173:174]
	ds_load_b128 v[171:174], v1 offset:1424
	s_wait_loadcnt_dscnt 0xa01
	v_mul_f64_e32 v[185:186], v[2:3], v[28:29]
	v_mul_f64_e32 v[28:29], v[4:5], v[28:29]
	s_wait_loadcnt_dscnt 0x900
	v_mul_f64_e32 v[179:180], v[171:172], v[32:33]
	v_mul_f64_e32 v[32:33], v[173:174], v[32:33]
	v_add_f64_e32 v[175:176], v[175:176], v[183:184]
	v_add_f64_e32 v[177:178], v[177:178], v[181:182]
	v_fma_f64 v[181:182], v[4:5], v[26:27], v[185:186]
	v_fma_f64 v[183:184], v[2:3], v[26:27], -v[28:29]
	ds_load_b128 v[2:5], v1 offset:1440
	scratch_load_b128 v[26:29], off, off offset:656
	v_fma_f64 v[173:174], v[173:174], v[30:31], v[179:180]
	v_fma_f64 v[171:172], v[171:172], v[30:31], -v[32:33]
	scratch_load_b128 v[30:33], off, off offset:672
	v_add_f64_e32 v[175:176], v[175:176], v[42:43]
	v_add_f64_e32 v[177:178], v[177:178], v[44:45]
	ds_load_b128 v[42:45], v1 offset:1456
	s_wait_loadcnt_dscnt 0xa01
	v_mul_f64_e32 v[185:186], v[2:3], v[36:37]
	v_mul_f64_e32 v[36:37], v[4:5], v[36:37]
	s_wait_loadcnt_dscnt 0x800
	v_mul_f64_e32 v[179:180], v[42:43], v[169:170]
	v_add_f64_e32 v[175:176], v[175:176], v[183:184]
	v_add_f64_e32 v[177:178], v[177:178], v[181:182]
	v_mul_f64_e32 v[181:182], v[44:45], v[169:170]
	v_fma_f64 v[183:184], v[4:5], v[34:35], v[185:186]
	v_fma_f64 v[185:186], v[2:3], v[34:35], -v[36:37]
	ds_load_b128 v[2:5], v1 offset:1472
	scratch_load_b128 v[34:37], off, off offset:688
	v_fma_f64 v[44:45], v[44:45], v[167:168], v[179:180]
	v_add_f64_e32 v[175:176], v[175:176], v[171:172]
	v_add_f64_e32 v[173:174], v[177:178], v[173:174]
	ds_load_b128 v[169:172], v1 offset:1488
	v_fma_f64 v[167:168], v[42:43], v[167:168], -v[181:182]
	s_wait_loadcnt_dscnt 0x801
	v_mul_f64_e32 v[177:178], v[2:3], v[40:41]
	v_mul_f64_e32 v[187:188], v[4:5], v[40:41]
	scratch_load_b128 v[40:43], off, off offset:704
	s_wait_loadcnt_dscnt 0x800
	v_mul_f64_e32 v[181:182], v[169:170], v[8:9]
	v_mul_f64_e32 v[8:9], v[171:172], v[8:9]
	v_add_f64_e32 v[175:176], v[175:176], v[185:186]
	v_add_f64_e32 v[173:174], v[173:174], v[183:184]
	v_fma_f64 v[183:184], v[4:5], v[38:39], v[177:178]
	v_fma_f64 v[38:39], v[2:3], v[38:39], -v[187:188]
	ds_load_b128 v[2:5], v1 offset:1504
	ds_load_b128 v[177:180], v1 offset:1520
	v_fma_f64 v[171:172], v[171:172], v[6:7], v[181:182]
	v_fma_f64 v[169:170], v[169:170], v[6:7], -v[8:9]
	scratch_load_b128 v[6:9], off, off offset:736
	v_add_f64_e32 v[167:168], v[175:176], v[167:168]
	v_add_f64_e32 v[44:45], v[173:174], v[44:45]
	scratch_load_b128 v[173:176], off, off offset:720
	s_wait_loadcnt_dscnt 0x901
	v_mul_f64_e32 v[185:186], v[2:3], v[12:13]
	v_mul_f64_e32 v[12:13], v[4:5], v[12:13]
	s_wait_loadcnt_dscnt 0x800
	v_mul_f64_e32 v[181:182], v[177:178], v[16:17]
	v_mul_f64_e32 v[16:17], v[179:180], v[16:17]
	v_add_f64_e32 v[38:39], v[167:168], v[38:39]
	v_add_f64_e32 v[44:45], v[44:45], v[183:184]
	v_fma_f64 v[183:184], v[4:5], v[10:11], v[185:186]
	v_fma_f64 v[185:186], v[2:3], v[10:11], -v[12:13]
	ds_load_b128 v[2:5], v1 offset:1536
	scratch_load_b128 v[10:13], off, off offset:752
	v_fma_f64 v[179:180], v[179:180], v[14:15], v[181:182]
	v_fma_f64 v[177:178], v[177:178], v[14:15], -v[16:17]
	scratch_load_b128 v[14:17], off, off offset:768
	v_add_f64_e32 v[38:39], v[38:39], v[169:170]
	v_add_f64_e32 v[44:45], v[44:45], v[171:172]
	ds_load_b128 v[167:170], v1 offset:1552
	s_wait_loadcnt_dscnt 0x901
	v_mul_f64_e32 v[171:172], v[2:3], v[20:21]
	v_mul_f64_e32 v[20:21], v[4:5], v[20:21]
	s_wait_loadcnt_dscnt 0x800
	v_mul_f64_e32 v[181:182], v[167:168], v[24:25]
	v_mul_f64_e32 v[24:25], v[169:170], v[24:25]
	v_add_f64_e32 v[38:39], v[38:39], v[185:186]
	v_add_f64_e32 v[44:45], v[44:45], v[183:184]
	v_fma_f64 v[171:172], v[4:5], v[18:19], v[171:172]
	v_fma_f64 v[183:184], v[2:3], v[18:19], -v[20:21]
	ds_load_b128 v[2:5], v1 offset:1568
	scratch_load_b128 v[18:21], off, off offset:784
	v_fma_f64 v[169:170], v[169:170], v[22:23], v[181:182]
	v_fma_f64 v[167:168], v[167:168], v[22:23], -v[24:25]
	scratch_load_b128 v[22:25], off, off offset:800
	v_add_f64_e32 v[38:39], v[38:39], v[177:178]
	v_add_f64_e32 v[44:45], v[44:45], v[179:180]
	ds_load_b128 v[177:180], v1 offset:1584
	s_wait_loadcnt_dscnt 0x901
	v_mul_f64_e32 v[185:186], v[2:3], v[28:29]
	v_mul_f64_e32 v[28:29], v[4:5], v[28:29]
	v_add_f64_e32 v[38:39], v[38:39], v[183:184]
	v_add_f64_e32 v[44:45], v[44:45], v[171:172]
	s_wait_loadcnt_dscnt 0x800
	v_mul_f64_e32 v[171:172], v[177:178], v[32:33]
	v_mul_f64_e32 v[32:33], v[179:180], v[32:33]
	v_fma_f64 v[181:182], v[4:5], v[26:27], v[185:186]
	v_fma_f64 v[183:184], v[2:3], v[26:27], -v[28:29]
	ds_load_b128 v[2:5], v1 offset:1600
	scratch_load_b128 v[26:29], off, off offset:816
	v_add_f64_e32 v[38:39], v[38:39], v[167:168]
	v_add_f64_e32 v[44:45], v[44:45], v[169:170]
	ds_load_b128 v[167:170], v1 offset:1616
	s_wait_loadcnt_dscnt 0x801
	v_mul_f64_e32 v[185:186], v[2:3], v[36:37]
	v_mul_f64_e32 v[36:37], v[4:5], v[36:37]
	v_fma_f64 v[171:172], v[179:180], v[30:31], v[171:172]
	v_fma_f64 v[177:178], v[177:178], v[30:31], -v[32:33]
	scratch_load_b128 v[30:33], off, off offset:832
	s_wait_loadcnt_dscnt 0x800
	v_mul_f64_e32 v[179:180], v[167:168], v[42:43]
	v_add_f64_e32 v[38:39], v[38:39], v[183:184]
	v_add_f64_e32 v[44:45], v[44:45], v[181:182]
	v_mul_f64_e32 v[181:182], v[169:170], v[42:43]
	v_fma_f64 v[183:184], v[4:5], v[34:35], v[185:186]
	v_fma_f64 v[185:186], v[2:3], v[34:35], -v[36:37]
	ds_load_b128 v[2:5], v1 offset:1632
	scratch_load_b128 v[34:37], off, off offset:848
	v_fma_f64 v[169:170], v[169:170], v[40:41], v[179:180]
	v_add_f64_e32 v[38:39], v[38:39], v[177:178]
	v_add_f64_e32 v[171:172], v[44:45], v[171:172]
	ds_load_b128 v[42:45], v1 offset:1648
	v_fma_f64 v[167:168], v[167:168], v[40:41], -v[181:182]
	s_wait_loadcnt_dscnt 0x701
	v_mul_f64_e32 v[177:178], v[2:3], v[175:176]
	v_mul_f64_e32 v[175:176], v[4:5], v[175:176]
	s_wait_dscnt 0x0
	v_mul_f64_e32 v[181:182], v[42:43], v[8:9]
	v_mul_f64_e32 v[8:9], v[44:45], v[8:9]
	v_add_f64_e32 v[179:180], v[38:39], v[185:186]
	v_add_f64_e32 v[171:172], v[171:172], v[183:184]
	scratch_load_b128 v[38:41], off, off offset:864
	v_fma_f64 v[177:178], v[4:5], v[173:174], v[177:178]
	v_fma_f64 v[175:176], v[2:3], v[173:174], -v[175:176]
	ds_load_b128 v[2:5], v1 offset:1664
	v_fma_f64 v[44:45], v[44:45], v[6:7], v[181:182]
	v_fma_f64 v[42:43], v[42:43], v[6:7], -v[8:9]
	scratch_load_b128 v[6:9], off, off offset:896
	v_add_f64_e32 v[179:180], v[179:180], v[167:168]
	v_add_f64_e32 v[183:184], v[171:172], v[169:170]
	scratch_load_b128 v[167:170], off, off offset:880
	ds_load_b128 v[171:174], v1 offset:1680
	s_wait_loadcnt_dscnt 0x901
	v_mul_f64_e32 v[185:186], v[2:3], v[12:13]
	v_mul_f64_e32 v[12:13], v[4:5], v[12:13]
	v_add_f64_e32 v[175:176], v[179:180], v[175:176]
	v_add_f64_e32 v[177:178], v[183:184], v[177:178]
	s_wait_loadcnt_dscnt 0x800
	v_mul_f64_e32 v[179:180], v[171:172], v[16:17]
	v_mul_f64_e32 v[16:17], v[173:174], v[16:17]
	v_fma_f64 v[181:182], v[4:5], v[10:11], v[185:186]
	v_fma_f64 v[183:184], v[2:3], v[10:11], -v[12:13]
	ds_load_b128 v[2:5], v1 offset:1696
	scratch_load_b128 v[10:13], off, off offset:912
	v_add_f64_e32 v[175:176], v[175:176], v[42:43]
	v_add_f64_e32 v[177:178], v[177:178], v[44:45]
	ds_load_b128 v[42:45], v1 offset:1712
	s_wait_loadcnt_dscnt 0x801
	v_mul_f64_e32 v[185:186], v[2:3], v[20:21]
	v_mul_f64_e32 v[20:21], v[4:5], v[20:21]
	v_fma_f64 v[173:174], v[173:174], v[14:15], v[179:180]
	v_fma_f64 v[171:172], v[171:172], v[14:15], -v[16:17]
	scratch_load_b128 v[14:17], off, off offset:928
	s_wait_loadcnt_dscnt 0x800
	v_mul_f64_e32 v[179:180], v[42:43], v[24:25]
	v_mul_f64_e32 v[24:25], v[44:45], v[24:25]
	v_add_f64_e32 v[175:176], v[175:176], v[183:184]
	v_add_f64_e32 v[177:178], v[177:178], v[181:182]
	v_fma_f64 v[181:182], v[4:5], v[18:19], v[185:186]
	v_fma_f64 v[183:184], v[2:3], v[18:19], -v[20:21]
	ds_load_b128 v[2:5], v1 offset:1728
	ds_load_b128 v[18:21], v1 offset:1744
	v_fma_f64 v[44:45], v[44:45], v[22:23], v[179:180]
	v_fma_f64 v[22:23], v[42:43], v[22:23], -v[24:25]
	v_add_f64_e32 v[171:172], v[175:176], v[171:172]
	v_add_f64_e32 v[173:174], v[177:178], v[173:174]
	s_wait_loadcnt_dscnt 0x701
	v_mul_f64_e32 v[175:176], v[2:3], v[28:29]
	v_mul_f64_e32 v[28:29], v[4:5], v[28:29]
	s_delay_alu instid0(VALU_DEP_4) | instskip(NEXT) | instid1(VALU_DEP_4)
	v_add_f64_e32 v[24:25], v[171:172], v[183:184]
	v_add_f64_e32 v[42:43], v[173:174], v[181:182]
	s_wait_loadcnt_dscnt 0x600
	v_mul_f64_e32 v[171:172], v[18:19], v[32:33]
	v_mul_f64_e32 v[32:33], v[20:21], v[32:33]
	v_fma_f64 v[173:174], v[4:5], v[26:27], v[175:176]
	v_fma_f64 v[26:27], v[2:3], v[26:27], -v[28:29]
	v_add_f64_e32 v[28:29], v[24:25], v[22:23]
	v_add_f64_e32 v[42:43], v[42:43], v[44:45]
	ds_load_b128 v[2:5], v1 offset:1760
	ds_load_b128 v[22:25], v1 offset:1776
	v_fma_f64 v[20:21], v[20:21], v[30:31], v[171:172]
	v_fma_f64 v[18:19], v[18:19], v[30:31], -v[32:33]
	s_wait_loadcnt_dscnt 0x501
	v_mul_f64_e32 v[44:45], v[2:3], v[36:37]
	v_mul_f64_e32 v[36:37], v[4:5], v[36:37]
	v_add_f64_e32 v[26:27], v[28:29], v[26:27]
	v_add_f64_e32 v[28:29], v[42:43], v[173:174]
	s_wait_loadcnt_dscnt 0x400
	v_mul_f64_e32 v[30:31], v[22:23], v[40:41]
	v_mul_f64_e32 v[32:33], v[24:25], v[40:41]
	v_fma_f64 v[40:41], v[4:5], v[34:35], v[44:45]
	v_fma_f64 v[34:35], v[2:3], v[34:35], -v[36:37]
	v_add_f64_e32 v[26:27], v[26:27], v[18:19]
	v_add_f64_e32 v[28:29], v[28:29], v[20:21]
	ds_load_b128 v[2:5], v1 offset:1792
	ds_load_b128 v[18:21], v1 offset:1808
	v_fma_f64 v[24:25], v[24:25], v[38:39], v[30:31]
	v_fma_f64 v[22:23], v[22:23], v[38:39], -v[32:33]
	s_wait_loadcnt_dscnt 0x201
	v_mul_f64_e32 v[36:37], v[2:3], v[169:170]
	v_mul_f64_e32 v[42:43], v[4:5], v[169:170]
	s_wait_dscnt 0x0
	v_mul_f64_e32 v[30:31], v[18:19], v[8:9]
	v_mul_f64_e32 v[8:9], v[20:21], v[8:9]
	v_add_f64_e32 v[26:27], v[26:27], v[34:35]
	v_add_f64_e32 v[28:29], v[28:29], v[40:41]
	v_fma_f64 v[32:33], v[4:5], v[167:168], v[36:37]
	v_fma_f64 v[34:35], v[2:3], v[167:168], -v[42:43]
	v_fma_f64 v[20:21], v[20:21], v[6:7], v[30:31]
	v_fma_f64 v[6:7], v[18:19], v[6:7], -v[8:9]
	v_add_f64_e32 v[26:27], v[26:27], v[22:23]
	v_add_f64_e32 v[28:29], v[28:29], v[24:25]
	ds_load_b128 v[2:5], v1 offset:1824
	ds_load_b128 v[22:25], v1 offset:1840
	s_wait_loadcnt_dscnt 0x101
	v_mul_f64_e32 v[36:37], v[2:3], v[12:13]
	v_mul_f64_e32 v[12:13], v[4:5], v[12:13]
	v_add_f64_e32 v[8:9], v[26:27], v[34:35]
	v_add_f64_e32 v[18:19], v[28:29], v[32:33]
	s_wait_loadcnt_dscnt 0x0
	v_mul_f64_e32 v[26:27], v[22:23], v[16:17]
	v_mul_f64_e32 v[16:17], v[24:25], v[16:17]
	v_fma_f64 v[4:5], v[4:5], v[10:11], v[36:37]
	v_fma_f64 v[1:2], v[2:3], v[10:11], -v[12:13]
	v_add_f64_e32 v[6:7], v[8:9], v[6:7]
	v_add_f64_e32 v[8:9], v[18:19], v[20:21]
	v_fma_f64 v[10:11], v[24:25], v[14:15], v[26:27]
	v_fma_f64 v[12:13], v[22:23], v[14:15], -v[16:17]
	s_delay_alu instid0(VALU_DEP_4) | instskip(NEXT) | instid1(VALU_DEP_4)
	v_add_f64_e32 v[1:2], v[6:7], v[1:2]
	v_add_f64_e32 v[3:4], v[8:9], v[4:5]
	s_delay_alu instid0(VALU_DEP_2) | instskip(NEXT) | instid1(VALU_DEP_2)
	v_add_f64_e32 v[1:2], v[1:2], v[12:13]
	v_add_f64_e32 v[3:4], v[3:4], v[10:11]
	s_delay_alu instid0(VALU_DEP_2) | instskip(NEXT) | instid1(VALU_DEP_2)
	v_add_f64_e64 v[1:2], v[163:164], -v[1:2]
	v_add_f64_e64 v[3:4], v[165:166], -v[3:4]
	scratch_store_b128 off, v[1:4], off offset:384
	v_cmpx_lt_u32_e32 22, v0
	s_cbranch_execz .LBB57_317
; %bb.316:
	scratch_load_b128 v[1:4], off, s45
	v_mov_b32_e32 v5, 0
	s_delay_alu instid0(VALU_DEP_1)
	v_dual_mov_b32 v6, v5 :: v_dual_mov_b32 v7, v5
	v_mov_b32_e32 v8, v5
	scratch_store_b128 off, v[5:8], off offset:368
	s_wait_loadcnt 0x0
	ds_store_b128 v162, v[1:4]
.LBB57_317:
	s_wait_alu 0xfffe
	s_or_b32 exec_lo, exec_lo, s0
	s_wait_storecnt_dscnt 0x0
	s_barrier_signal -1
	s_barrier_wait -1
	global_inv scope:SCOPE_SE
	s_clause 0x7
	scratch_load_b128 v[2:5], off, off offset:384
	scratch_load_b128 v[6:9], off, off offset:400
	;; [unrolled: 1-line block ×8, first 2 shown]
	v_mov_b32_e32 v1, 0
	s_mov_b32 s0, exec_lo
	ds_load_b128 v[38:41], v1 offset:1296
	s_clause 0x1
	scratch_load_b128 v[34:37], off, off offset:512
	scratch_load_b128 v[42:45], off, off offset:368
	ds_load_b128 v[163:166], v1 offset:1312
	scratch_load_b128 v[167:170], off, off offset:528
	s_wait_loadcnt_dscnt 0xa01
	v_mul_f64_e32 v[171:172], v[40:41], v[4:5]
	v_mul_f64_e32 v[4:5], v[38:39], v[4:5]
	s_delay_alu instid0(VALU_DEP_2) | instskip(NEXT) | instid1(VALU_DEP_2)
	v_fma_f64 v[177:178], v[38:39], v[2:3], -v[171:172]
	v_fma_f64 v[179:180], v[40:41], v[2:3], v[4:5]
	ds_load_b128 v[2:5], v1 offset:1328
	s_wait_loadcnt_dscnt 0x901
	v_mul_f64_e32 v[175:176], v[163:164], v[8:9]
	v_mul_f64_e32 v[8:9], v[165:166], v[8:9]
	scratch_load_b128 v[38:41], off, off offset:544
	ds_load_b128 v[171:174], v1 offset:1344
	s_wait_loadcnt_dscnt 0x901
	v_mul_f64_e32 v[181:182], v[2:3], v[12:13]
	v_mul_f64_e32 v[12:13], v[4:5], v[12:13]
	v_fma_f64 v[165:166], v[165:166], v[6:7], v[175:176]
	v_fma_f64 v[163:164], v[163:164], v[6:7], -v[8:9]
	v_add_f64_e32 v[175:176], 0, v[177:178]
	v_add_f64_e32 v[177:178], 0, v[179:180]
	scratch_load_b128 v[6:9], off, off offset:560
	v_fma_f64 v[181:182], v[4:5], v[10:11], v[181:182]
	v_fma_f64 v[183:184], v[2:3], v[10:11], -v[12:13]
	ds_load_b128 v[2:5], v1 offset:1360
	s_wait_loadcnt_dscnt 0x901
	v_mul_f64_e32 v[179:180], v[171:172], v[16:17]
	v_mul_f64_e32 v[16:17], v[173:174], v[16:17]
	scratch_load_b128 v[10:13], off, off offset:576
	v_add_f64_e32 v[175:176], v[175:176], v[163:164]
	v_add_f64_e32 v[177:178], v[177:178], v[165:166]
	s_wait_loadcnt_dscnt 0x900
	v_mul_f64_e32 v[185:186], v[2:3], v[20:21]
	v_mul_f64_e32 v[20:21], v[4:5], v[20:21]
	ds_load_b128 v[163:166], v1 offset:1376
	v_fma_f64 v[173:174], v[173:174], v[14:15], v[179:180]
	v_fma_f64 v[171:172], v[171:172], v[14:15], -v[16:17]
	scratch_load_b128 v[14:17], off, off offset:592
	v_add_f64_e32 v[175:176], v[175:176], v[183:184]
	v_add_f64_e32 v[177:178], v[177:178], v[181:182]
	v_fma_f64 v[181:182], v[4:5], v[18:19], v[185:186]
	v_fma_f64 v[183:184], v[2:3], v[18:19], -v[20:21]
	ds_load_b128 v[2:5], v1 offset:1392
	s_wait_loadcnt_dscnt 0x901
	v_mul_f64_e32 v[179:180], v[163:164], v[24:25]
	v_mul_f64_e32 v[24:25], v[165:166], v[24:25]
	scratch_load_b128 v[18:21], off, off offset:608
	s_wait_loadcnt_dscnt 0x900
	v_mul_f64_e32 v[185:186], v[2:3], v[28:29]
	v_mul_f64_e32 v[28:29], v[4:5], v[28:29]
	v_add_f64_e32 v[175:176], v[175:176], v[171:172]
	v_add_f64_e32 v[177:178], v[177:178], v[173:174]
	ds_load_b128 v[171:174], v1 offset:1408
	v_fma_f64 v[165:166], v[165:166], v[22:23], v[179:180]
	v_fma_f64 v[163:164], v[163:164], v[22:23], -v[24:25]
	scratch_load_b128 v[22:25], off, off offset:624
	v_add_f64_e32 v[175:176], v[175:176], v[183:184]
	v_add_f64_e32 v[177:178], v[177:178], v[181:182]
	v_fma_f64 v[181:182], v[4:5], v[26:27], v[185:186]
	v_fma_f64 v[183:184], v[2:3], v[26:27], -v[28:29]
	ds_load_b128 v[2:5], v1 offset:1424
	s_wait_loadcnt_dscnt 0x901
	v_mul_f64_e32 v[179:180], v[171:172], v[32:33]
	v_mul_f64_e32 v[32:33], v[173:174], v[32:33]
	scratch_load_b128 v[26:29], off, off offset:640
	s_wait_loadcnt_dscnt 0x900
	v_mul_f64_e32 v[185:186], v[2:3], v[36:37]
	v_mul_f64_e32 v[36:37], v[4:5], v[36:37]
	v_add_f64_e32 v[175:176], v[175:176], v[163:164]
	v_add_f64_e32 v[177:178], v[177:178], v[165:166]
	ds_load_b128 v[163:166], v1 offset:1440
	v_fma_f64 v[173:174], v[173:174], v[30:31], v[179:180]
	v_fma_f64 v[171:172], v[171:172], v[30:31], -v[32:33]
	scratch_load_b128 v[30:33], off, off offset:656
	v_add_f64_e32 v[175:176], v[175:176], v[183:184]
	v_add_f64_e32 v[177:178], v[177:178], v[181:182]
	v_fma_f64 v[183:184], v[4:5], v[34:35], v[185:186]
	v_fma_f64 v[185:186], v[2:3], v[34:35], -v[36:37]
	ds_load_b128 v[2:5], v1 offset:1456
	s_wait_loadcnt_dscnt 0x801
	v_mul_f64_e32 v[179:180], v[163:164], v[169:170]
	v_mul_f64_e32 v[181:182], v[165:166], v[169:170]
	scratch_load_b128 v[34:37], off, off offset:672
	v_add_f64_e32 v[175:176], v[175:176], v[171:172]
	v_add_f64_e32 v[173:174], v[177:178], v[173:174]
	ds_load_b128 v[169:172], v1 offset:1472
	v_fma_f64 v[179:180], v[165:166], v[167:168], v[179:180]
	v_fma_f64 v[167:168], v[163:164], v[167:168], -v[181:182]
	scratch_load_b128 v[163:166], off, off offset:688
	s_wait_loadcnt_dscnt 0x901
	v_mul_f64_e32 v[177:178], v[2:3], v[40:41]
	v_mul_f64_e32 v[40:41], v[4:5], v[40:41]
	v_add_f64_e32 v[175:176], v[175:176], v[185:186]
	v_add_f64_e32 v[173:174], v[173:174], v[183:184]
	s_delay_alu instid0(VALU_DEP_4) | instskip(NEXT) | instid1(VALU_DEP_4)
	v_fma_f64 v[177:178], v[4:5], v[38:39], v[177:178]
	v_fma_f64 v[183:184], v[2:3], v[38:39], -v[40:41]
	ds_load_b128 v[2:5], v1 offset:1488
	s_wait_loadcnt_dscnt 0x801
	v_mul_f64_e32 v[181:182], v[169:170], v[8:9]
	v_mul_f64_e32 v[8:9], v[171:172], v[8:9]
	scratch_load_b128 v[38:41], off, off offset:704
	s_wait_loadcnt_dscnt 0x800
	v_mul_f64_e32 v[185:186], v[2:3], v[12:13]
	v_add_f64_e32 v[167:168], v[175:176], v[167:168]
	v_add_f64_e32 v[179:180], v[173:174], v[179:180]
	v_mul_f64_e32 v[12:13], v[4:5], v[12:13]
	ds_load_b128 v[173:176], v1 offset:1504
	v_fma_f64 v[171:172], v[171:172], v[6:7], v[181:182]
	v_fma_f64 v[169:170], v[169:170], v[6:7], -v[8:9]
	scratch_load_b128 v[6:9], off, off offset:720
	v_fma_f64 v[181:182], v[4:5], v[10:11], v[185:186]
	v_add_f64_e32 v[167:168], v[167:168], v[183:184]
	v_add_f64_e32 v[177:178], v[179:180], v[177:178]
	v_fma_f64 v[183:184], v[2:3], v[10:11], -v[12:13]
	ds_load_b128 v[2:5], v1 offset:1520
	s_wait_loadcnt_dscnt 0x801
	v_mul_f64_e32 v[179:180], v[173:174], v[16:17]
	v_mul_f64_e32 v[16:17], v[175:176], v[16:17]
	scratch_load_b128 v[10:13], off, off offset:736
	v_add_f64_e32 v[185:186], v[167:168], v[169:170]
	v_add_f64_e32 v[171:172], v[177:178], v[171:172]
	s_wait_loadcnt_dscnt 0x800
	v_mul_f64_e32 v[177:178], v[2:3], v[20:21]
	v_mul_f64_e32 v[20:21], v[4:5], v[20:21]
	v_fma_f64 v[175:176], v[175:176], v[14:15], v[179:180]
	v_fma_f64 v[173:174], v[173:174], v[14:15], -v[16:17]
	ds_load_b128 v[167:170], v1 offset:1536
	scratch_load_b128 v[14:17], off, off offset:752
	v_add_f64_e32 v[179:180], v[185:186], v[183:184]
	v_add_f64_e32 v[171:172], v[171:172], v[181:182]
	v_fma_f64 v[177:178], v[4:5], v[18:19], v[177:178]
	v_fma_f64 v[183:184], v[2:3], v[18:19], -v[20:21]
	ds_load_b128 v[2:5], v1 offset:1552
	s_wait_loadcnt_dscnt 0x801
	v_mul_f64_e32 v[181:182], v[167:168], v[24:25]
	v_mul_f64_e32 v[24:25], v[169:170], v[24:25]
	scratch_load_b128 v[18:21], off, off offset:768
	s_wait_loadcnt_dscnt 0x800
	v_mul_f64_e32 v[185:186], v[2:3], v[28:29]
	v_mul_f64_e32 v[28:29], v[4:5], v[28:29]
	v_add_f64_e32 v[179:180], v[179:180], v[173:174]
	v_add_f64_e32 v[175:176], v[171:172], v[175:176]
	ds_load_b128 v[171:174], v1 offset:1568
	v_fma_f64 v[169:170], v[169:170], v[22:23], v[181:182]
	v_fma_f64 v[167:168], v[167:168], v[22:23], -v[24:25]
	scratch_load_b128 v[22:25], off, off offset:784
	v_fma_f64 v[181:182], v[4:5], v[26:27], v[185:186]
	v_add_f64_e32 v[179:180], v[179:180], v[183:184]
	v_add_f64_e32 v[175:176], v[175:176], v[177:178]
	v_fma_f64 v[183:184], v[2:3], v[26:27], -v[28:29]
	ds_load_b128 v[2:5], v1 offset:1584
	s_wait_loadcnt_dscnt 0x801
	v_mul_f64_e32 v[177:178], v[171:172], v[32:33]
	v_mul_f64_e32 v[32:33], v[173:174], v[32:33]
	scratch_load_b128 v[26:29], off, off offset:800
	s_wait_loadcnt_dscnt 0x800
	v_mul_f64_e32 v[185:186], v[2:3], v[36:37]
	v_mul_f64_e32 v[36:37], v[4:5], v[36:37]
	v_add_f64_e32 v[179:180], v[179:180], v[167:168]
	v_add_f64_e32 v[175:176], v[175:176], v[169:170]
	ds_load_b128 v[167:170], v1 offset:1600
	v_fma_f64 v[173:174], v[173:174], v[30:31], v[177:178]
	v_fma_f64 v[171:172], v[171:172], v[30:31], -v[32:33]
	scratch_load_b128 v[30:33], off, off offset:816
	v_add_f64_e32 v[177:178], v[179:180], v[183:184]
	v_add_f64_e32 v[175:176], v[175:176], v[181:182]
	v_fma_f64 v[181:182], v[4:5], v[34:35], v[185:186]
	v_fma_f64 v[183:184], v[2:3], v[34:35], -v[36:37]
	ds_load_b128 v[2:5], v1 offset:1616
	s_wait_loadcnt_dscnt 0x801
	v_mul_f64_e32 v[179:180], v[167:168], v[165:166]
	v_mul_f64_e32 v[165:166], v[169:170], v[165:166]
	scratch_load_b128 v[34:37], off, off offset:832
	s_wait_loadcnt_dscnt 0x800
	v_mul_f64_e32 v[185:186], v[2:3], v[40:41]
	v_mul_f64_e32 v[40:41], v[4:5], v[40:41]
	v_add_f64_e32 v[177:178], v[177:178], v[171:172]
	v_add_f64_e32 v[175:176], v[175:176], v[173:174]
	ds_load_b128 v[171:174], v1 offset:1632
	v_fma_f64 v[169:170], v[169:170], v[163:164], v[179:180]
	v_fma_f64 v[167:168], v[167:168], v[163:164], -v[165:166]
	scratch_load_b128 v[163:166], off, off offset:848
	v_add_f64_e32 v[177:178], v[177:178], v[183:184]
	v_add_f64_e32 v[175:176], v[175:176], v[181:182]
	v_fma_f64 v[181:182], v[4:5], v[38:39], v[185:186]
	;; [unrolled: 18-line block ×4, first 2 shown]
	v_fma_f64 v[183:184], v[2:3], v[18:19], -v[20:21]
	ds_load_b128 v[2:5], v1 offset:1712
	s_wait_loadcnt_dscnt 0x801
	v_mul_f64_e32 v[179:180], v[171:172], v[24:25]
	v_mul_f64_e32 v[24:25], v[173:174], v[24:25]
	scratch_load_b128 v[18:21], off, off offset:928
	s_wait_loadcnt_dscnt 0x800
	v_mul_f64_e32 v[185:186], v[2:3], v[28:29]
	v_mul_f64_e32 v[28:29], v[4:5], v[28:29]
	v_add_f64_e32 v[177:178], v[177:178], v[167:168]
	v_add_f64_e32 v[175:176], v[175:176], v[169:170]
	ds_load_b128 v[167:170], v1 offset:1728
	v_fma_f64 v[173:174], v[173:174], v[22:23], v[179:180]
	v_fma_f64 v[22:23], v[171:172], v[22:23], -v[24:25]
	v_add_f64_e32 v[24:25], v[177:178], v[183:184]
	v_add_f64_e32 v[171:172], v[175:176], v[181:182]
	s_wait_loadcnt_dscnt 0x700
	v_mul_f64_e32 v[175:176], v[167:168], v[32:33]
	v_mul_f64_e32 v[32:33], v[169:170], v[32:33]
	v_fma_f64 v[177:178], v[4:5], v[26:27], v[185:186]
	v_fma_f64 v[26:27], v[2:3], v[26:27], -v[28:29]
	v_add_f64_e32 v[28:29], v[24:25], v[22:23]
	v_add_f64_e32 v[171:172], v[171:172], v[173:174]
	ds_load_b128 v[2:5], v1 offset:1744
	ds_load_b128 v[22:25], v1 offset:1760
	v_fma_f64 v[169:170], v[169:170], v[30:31], v[175:176]
	v_fma_f64 v[30:31], v[167:168], v[30:31], -v[32:33]
	s_wait_loadcnt_dscnt 0x601
	v_mul_f64_e32 v[173:174], v[2:3], v[36:37]
	v_mul_f64_e32 v[36:37], v[4:5], v[36:37]
	s_wait_loadcnt_dscnt 0x500
	v_mul_f64_e32 v[32:33], v[22:23], v[165:166]
	v_mul_f64_e32 v[165:166], v[24:25], v[165:166]
	v_add_f64_e32 v[26:27], v[28:29], v[26:27]
	v_add_f64_e32 v[28:29], v[171:172], v[177:178]
	v_fma_f64 v[167:168], v[4:5], v[34:35], v[173:174]
	v_fma_f64 v[34:35], v[2:3], v[34:35], -v[36:37]
	v_fma_f64 v[24:25], v[24:25], v[163:164], v[32:33]
	v_fma_f64 v[22:23], v[22:23], v[163:164], -v[165:166]
	v_add_f64_e32 v[30:31], v[26:27], v[30:31]
	v_add_f64_e32 v[36:37], v[28:29], v[169:170]
	ds_load_b128 v[2:5], v1 offset:1776
	ds_load_b128 v[26:29], v1 offset:1792
	s_wait_loadcnt_dscnt 0x401
	v_mul_f64_e32 v[169:170], v[2:3], v[40:41]
	v_mul_f64_e32 v[40:41], v[4:5], v[40:41]
	v_add_f64_e32 v[30:31], v[30:31], v[34:35]
	v_add_f64_e32 v[32:33], v[36:37], v[167:168]
	s_wait_loadcnt_dscnt 0x300
	v_mul_f64_e32 v[34:35], v[26:27], v[8:9]
	v_mul_f64_e32 v[8:9], v[28:29], v[8:9]
	v_fma_f64 v[36:37], v[4:5], v[38:39], v[169:170]
	v_fma_f64 v[38:39], v[2:3], v[38:39], -v[40:41]
	v_add_f64_e32 v[30:31], v[30:31], v[22:23]
	v_add_f64_e32 v[32:33], v[32:33], v[24:25]
	ds_load_b128 v[2:5], v1 offset:1808
	ds_load_b128 v[22:25], v1 offset:1824
	v_fma_f64 v[28:29], v[28:29], v[6:7], v[34:35]
	v_fma_f64 v[6:7], v[26:27], v[6:7], -v[8:9]
	s_wait_loadcnt_dscnt 0x201
	v_mul_f64_e32 v[40:41], v[2:3], v[12:13]
	v_mul_f64_e32 v[12:13], v[4:5], v[12:13]
	v_add_f64_e32 v[8:9], v[30:31], v[38:39]
	v_add_f64_e32 v[26:27], v[32:33], v[36:37]
	s_wait_loadcnt_dscnt 0x100
	v_mul_f64_e32 v[30:31], v[22:23], v[16:17]
	v_mul_f64_e32 v[16:17], v[24:25], v[16:17]
	v_fma_f64 v[32:33], v[4:5], v[10:11], v[40:41]
	v_fma_f64 v[10:11], v[2:3], v[10:11], -v[12:13]
	ds_load_b128 v[2:5], v1 offset:1840
	v_add_f64_e32 v[6:7], v[8:9], v[6:7]
	v_add_f64_e32 v[8:9], v[26:27], v[28:29]
	v_fma_f64 v[24:25], v[24:25], v[14:15], v[30:31]
	v_fma_f64 v[14:15], v[22:23], v[14:15], -v[16:17]
	s_wait_loadcnt_dscnt 0x0
	v_mul_f64_e32 v[12:13], v[2:3], v[20:21]
	v_mul_f64_e32 v[20:21], v[4:5], v[20:21]
	v_add_f64_e32 v[6:7], v[6:7], v[10:11]
	v_add_f64_e32 v[8:9], v[8:9], v[32:33]
	s_delay_alu instid0(VALU_DEP_4) | instskip(NEXT) | instid1(VALU_DEP_4)
	v_fma_f64 v[4:5], v[4:5], v[18:19], v[12:13]
	v_fma_f64 v[2:3], v[2:3], v[18:19], -v[20:21]
	s_delay_alu instid0(VALU_DEP_4) | instskip(NEXT) | instid1(VALU_DEP_4)
	v_add_f64_e32 v[6:7], v[6:7], v[14:15]
	v_add_f64_e32 v[8:9], v[8:9], v[24:25]
	s_delay_alu instid0(VALU_DEP_2) | instskip(NEXT) | instid1(VALU_DEP_2)
	v_add_f64_e32 v[2:3], v[6:7], v[2:3]
	v_add_f64_e32 v[4:5], v[8:9], v[4:5]
	s_delay_alu instid0(VALU_DEP_2) | instskip(NEXT) | instid1(VALU_DEP_2)
	v_add_f64_e64 v[2:3], v[42:43], -v[2:3]
	v_add_f64_e64 v[4:5], v[44:45], -v[4:5]
	scratch_store_b128 off, v[2:5], off offset:368
	v_cmpx_lt_u32_e32 21, v0
	s_cbranch_execz .LBB57_319
; %bb.318:
	scratch_load_b128 v[5:8], off, s44
	v_dual_mov_b32 v2, v1 :: v_dual_mov_b32 v3, v1
	v_mov_b32_e32 v4, v1
	scratch_store_b128 off, v[1:4], off offset:352
	s_wait_loadcnt 0x0
	ds_store_b128 v162, v[5:8]
.LBB57_319:
	s_wait_alu 0xfffe
	s_or_b32 exec_lo, exec_lo, s0
	s_wait_storecnt_dscnt 0x0
	s_barrier_signal -1
	s_barrier_wait -1
	global_inv scope:SCOPE_SE
	s_clause 0x8
	scratch_load_b128 v[2:5], off, off offset:368
	scratch_load_b128 v[6:9], off, off offset:384
	;; [unrolled: 1-line block ×9, first 2 shown]
	ds_load_b128 v[38:41], v1 offset:1280
	ds_load_b128 v[42:45], v1 offset:1296
	s_clause 0x1
	scratch_load_b128 v[163:166], off, off offset:352
	scratch_load_b128 v[167:170], off, off offset:512
	s_mov_b32 s0, exec_lo
	s_wait_loadcnt_dscnt 0xa01
	v_mul_f64_e32 v[171:172], v[40:41], v[4:5]
	v_mul_f64_e32 v[4:5], v[38:39], v[4:5]
	s_wait_loadcnt_dscnt 0x900
	v_mul_f64_e32 v[175:176], v[42:43], v[8:9]
	v_mul_f64_e32 v[8:9], v[44:45], v[8:9]
	s_delay_alu instid0(VALU_DEP_4) | instskip(NEXT) | instid1(VALU_DEP_4)
	v_fma_f64 v[177:178], v[38:39], v[2:3], -v[171:172]
	v_fma_f64 v[179:180], v[40:41], v[2:3], v[4:5]
	ds_load_b128 v[2:5], v1 offset:1312
	ds_load_b128 v[171:174], v1 offset:1328
	scratch_load_b128 v[38:41], off, off offset:528
	v_fma_f64 v[44:45], v[44:45], v[6:7], v[175:176]
	v_fma_f64 v[42:43], v[42:43], v[6:7], -v[8:9]
	scratch_load_b128 v[6:9], off, off offset:544
	s_wait_loadcnt_dscnt 0xa01
	v_mul_f64_e32 v[181:182], v[2:3], v[12:13]
	v_mul_f64_e32 v[12:13], v[4:5], v[12:13]
	v_add_f64_e32 v[175:176], 0, v[177:178]
	v_add_f64_e32 v[177:178], 0, v[179:180]
	s_wait_loadcnt_dscnt 0x900
	v_mul_f64_e32 v[179:180], v[171:172], v[16:17]
	v_mul_f64_e32 v[16:17], v[173:174], v[16:17]
	v_fma_f64 v[181:182], v[4:5], v[10:11], v[181:182]
	v_fma_f64 v[183:184], v[2:3], v[10:11], -v[12:13]
	ds_load_b128 v[2:5], v1 offset:1344
	scratch_load_b128 v[10:13], off, off offset:560
	v_add_f64_e32 v[175:176], v[175:176], v[42:43]
	v_add_f64_e32 v[177:178], v[177:178], v[44:45]
	ds_load_b128 v[42:45], v1 offset:1360
	v_fma_f64 v[173:174], v[173:174], v[14:15], v[179:180]
	v_fma_f64 v[171:172], v[171:172], v[14:15], -v[16:17]
	scratch_load_b128 v[14:17], off, off offset:576
	s_wait_loadcnt_dscnt 0xa01
	v_mul_f64_e32 v[185:186], v[2:3], v[20:21]
	v_mul_f64_e32 v[20:21], v[4:5], v[20:21]
	s_wait_loadcnt_dscnt 0x900
	v_mul_f64_e32 v[179:180], v[42:43], v[24:25]
	v_mul_f64_e32 v[24:25], v[44:45], v[24:25]
	v_add_f64_e32 v[175:176], v[175:176], v[183:184]
	v_add_f64_e32 v[177:178], v[177:178], v[181:182]
	v_fma_f64 v[181:182], v[4:5], v[18:19], v[185:186]
	v_fma_f64 v[183:184], v[2:3], v[18:19], -v[20:21]
	ds_load_b128 v[2:5], v1 offset:1376
	scratch_load_b128 v[18:21], off, off offset:592
	v_fma_f64 v[44:45], v[44:45], v[22:23], v[179:180]
	v_fma_f64 v[42:43], v[42:43], v[22:23], -v[24:25]
	scratch_load_b128 v[22:25], off, off offset:608
	v_add_f64_e32 v[175:176], v[175:176], v[171:172]
	v_add_f64_e32 v[177:178], v[177:178], v[173:174]
	ds_load_b128 v[171:174], v1 offset:1392
	s_wait_loadcnt_dscnt 0xa01
	v_mul_f64_e32 v[185:186], v[2:3], v[28:29]
	v_mul_f64_e32 v[28:29], v[4:5], v[28:29]
	s_wait_loadcnt_dscnt 0x900
	v_mul_f64_e32 v[179:180], v[171:172], v[32:33]
	v_mul_f64_e32 v[32:33], v[173:174], v[32:33]
	v_add_f64_e32 v[175:176], v[175:176], v[183:184]
	v_add_f64_e32 v[177:178], v[177:178], v[181:182]
	v_fma_f64 v[181:182], v[4:5], v[26:27], v[185:186]
	v_fma_f64 v[183:184], v[2:3], v[26:27], -v[28:29]
	ds_load_b128 v[2:5], v1 offset:1408
	scratch_load_b128 v[26:29], off, off offset:624
	v_fma_f64 v[173:174], v[173:174], v[30:31], v[179:180]
	v_fma_f64 v[171:172], v[171:172], v[30:31], -v[32:33]
	scratch_load_b128 v[30:33], off, off offset:640
	v_add_f64_e32 v[175:176], v[175:176], v[42:43]
	v_add_f64_e32 v[177:178], v[177:178], v[44:45]
	ds_load_b128 v[42:45], v1 offset:1424
	s_wait_loadcnt_dscnt 0xa01
	v_mul_f64_e32 v[185:186], v[2:3], v[36:37]
	v_mul_f64_e32 v[36:37], v[4:5], v[36:37]
	s_wait_loadcnt_dscnt 0x800
	v_mul_f64_e32 v[179:180], v[42:43], v[169:170]
	v_add_f64_e32 v[175:176], v[175:176], v[183:184]
	v_add_f64_e32 v[177:178], v[177:178], v[181:182]
	v_mul_f64_e32 v[181:182], v[44:45], v[169:170]
	v_fma_f64 v[183:184], v[4:5], v[34:35], v[185:186]
	v_fma_f64 v[185:186], v[2:3], v[34:35], -v[36:37]
	ds_load_b128 v[2:5], v1 offset:1440
	scratch_load_b128 v[34:37], off, off offset:656
	v_fma_f64 v[44:45], v[44:45], v[167:168], v[179:180]
	v_add_f64_e32 v[175:176], v[175:176], v[171:172]
	v_add_f64_e32 v[173:174], v[177:178], v[173:174]
	ds_load_b128 v[169:172], v1 offset:1456
	v_fma_f64 v[167:168], v[42:43], v[167:168], -v[181:182]
	s_wait_loadcnt_dscnt 0x801
	v_mul_f64_e32 v[177:178], v[2:3], v[40:41]
	v_mul_f64_e32 v[187:188], v[4:5], v[40:41]
	scratch_load_b128 v[40:43], off, off offset:672
	s_wait_loadcnt_dscnt 0x800
	v_mul_f64_e32 v[181:182], v[169:170], v[8:9]
	v_mul_f64_e32 v[8:9], v[171:172], v[8:9]
	v_add_f64_e32 v[175:176], v[175:176], v[185:186]
	v_add_f64_e32 v[173:174], v[173:174], v[183:184]
	v_fma_f64 v[183:184], v[4:5], v[38:39], v[177:178]
	v_fma_f64 v[38:39], v[2:3], v[38:39], -v[187:188]
	ds_load_b128 v[2:5], v1 offset:1472
	ds_load_b128 v[177:180], v1 offset:1488
	v_fma_f64 v[171:172], v[171:172], v[6:7], v[181:182]
	v_fma_f64 v[169:170], v[169:170], v[6:7], -v[8:9]
	scratch_load_b128 v[6:9], off, off offset:704
	v_add_f64_e32 v[167:168], v[175:176], v[167:168]
	v_add_f64_e32 v[44:45], v[173:174], v[44:45]
	scratch_load_b128 v[173:176], off, off offset:688
	s_wait_loadcnt_dscnt 0x901
	v_mul_f64_e32 v[185:186], v[2:3], v[12:13]
	v_mul_f64_e32 v[12:13], v[4:5], v[12:13]
	s_wait_loadcnt_dscnt 0x800
	v_mul_f64_e32 v[181:182], v[177:178], v[16:17]
	v_mul_f64_e32 v[16:17], v[179:180], v[16:17]
	v_add_f64_e32 v[38:39], v[167:168], v[38:39]
	v_add_f64_e32 v[44:45], v[44:45], v[183:184]
	v_fma_f64 v[183:184], v[4:5], v[10:11], v[185:186]
	v_fma_f64 v[185:186], v[2:3], v[10:11], -v[12:13]
	ds_load_b128 v[2:5], v1 offset:1504
	scratch_load_b128 v[10:13], off, off offset:720
	v_fma_f64 v[179:180], v[179:180], v[14:15], v[181:182]
	v_fma_f64 v[177:178], v[177:178], v[14:15], -v[16:17]
	scratch_load_b128 v[14:17], off, off offset:736
	v_add_f64_e32 v[38:39], v[38:39], v[169:170]
	v_add_f64_e32 v[44:45], v[44:45], v[171:172]
	ds_load_b128 v[167:170], v1 offset:1520
	s_wait_loadcnt_dscnt 0x901
	v_mul_f64_e32 v[171:172], v[2:3], v[20:21]
	v_mul_f64_e32 v[20:21], v[4:5], v[20:21]
	s_wait_loadcnt_dscnt 0x800
	v_mul_f64_e32 v[181:182], v[167:168], v[24:25]
	v_mul_f64_e32 v[24:25], v[169:170], v[24:25]
	v_add_f64_e32 v[38:39], v[38:39], v[185:186]
	v_add_f64_e32 v[44:45], v[44:45], v[183:184]
	v_fma_f64 v[171:172], v[4:5], v[18:19], v[171:172]
	v_fma_f64 v[183:184], v[2:3], v[18:19], -v[20:21]
	ds_load_b128 v[2:5], v1 offset:1536
	scratch_load_b128 v[18:21], off, off offset:752
	v_fma_f64 v[169:170], v[169:170], v[22:23], v[181:182]
	v_fma_f64 v[167:168], v[167:168], v[22:23], -v[24:25]
	scratch_load_b128 v[22:25], off, off offset:768
	v_add_f64_e32 v[38:39], v[38:39], v[177:178]
	v_add_f64_e32 v[44:45], v[44:45], v[179:180]
	ds_load_b128 v[177:180], v1 offset:1552
	s_wait_loadcnt_dscnt 0x901
	v_mul_f64_e32 v[185:186], v[2:3], v[28:29]
	v_mul_f64_e32 v[28:29], v[4:5], v[28:29]
	v_add_f64_e32 v[38:39], v[38:39], v[183:184]
	v_add_f64_e32 v[44:45], v[44:45], v[171:172]
	s_wait_loadcnt_dscnt 0x800
	v_mul_f64_e32 v[171:172], v[177:178], v[32:33]
	v_mul_f64_e32 v[32:33], v[179:180], v[32:33]
	v_fma_f64 v[181:182], v[4:5], v[26:27], v[185:186]
	v_fma_f64 v[183:184], v[2:3], v[26:27], -v[28:29]
	ds_load_b128 v[2:5], v1 offset:1568
	scratch_load_b128 v[26:29], off, off offset:784
	v_add_f64_e32 v[38:39], v[38:39], v[167:168]
	v_add_f64_e32 v[44:45], v[44:45], v[169:170]
	ds_load_b128 v[167:170], v1 offset:1584
	s_wait_loadcnt_dscnt 0x801
	v_mul_f64_e32 v[185:186], v[2:3], v[36:37]
	v_mul_f64_e32 v[36:37], v[4:5], v[36:37]
	v_fma_f64 v[171:172], v[179:180], v[30:31], v[171:172]
	v_fma_f64 v[177:178], v[177:178], v[30:31], -v[32:33]
	scratch_load_b128 v[30:33], off, off offset:800
	s_wait_loadcnt_dscnt 0x800
	v_mul_f64_e32 v[179:180], v[167:168], v[42:43]
	v_add_f64_e32 v[38:39], v[38:39], v[183:184]
	v_add_f64_e32 v[44:45], v[44:45], v[181:182]
	v_mul_f64_e32 v[181:182], v[169:170], v[42:43]
	v_fma_f64 v[183:184], v[4:5], v[34:35], v[185:186]
	v_fma_f64 v[185:186], v[2:3], v[34:35], -v[36:37]
	ds_load_b128 v[2:5], v1 offset:1600
	scratch_load_b128 v[34:37], off, off offset:816
	v_fma_f64 v[169:170], v[169:170], v[40:41], v[179:180]
	v_add_f64_e32 v[38:39], v[38:39], v[177:178]
	v_add_f64_e32 v[171:172], v[44:45], v[171:172]
	ds_load_b128 v[42:45], v1 offset:1616
	v_fma_f64 v[167:168], v[167:168], v[40:41], -v[181:182]
	s_wait_loadcnt_dscnt 0x701
	v_mul_f64_e32 v[177:178], v[2:3], v[175:176]
	v_mul_f64_e32 v[175:176], v[4:5], v[175:176]
	s_wait_dscnt 0x0
	v_mul_f64_e32 v[181:182], v[42:43], v[8:9]
	v_mul_f64_e32 v[8:9], v[44:45], v[8:9]
	v_add_f64_e32 v[179:180], v[38:39], v[185:186]
	v_add_f64_e32 v[171:172], v[171:172], v[183:184]
	scratch_load_b128 v[38:41], off, off offset:832
	v_fma_f64 v[177:178], v[4:5], v[173:174], v[177:178]
	v_fma_f64 v[175:176], v[2:3], v[173:174], -v[175:176]
	ds_load_b128 v[2:5], v1 offset:1632
	v_fma_f64 v[44:45], v[44:45], v[6:7], v[181:182]
	v_fma_f64 v[42:43], v[42:43], v[6:7], -v[8:9]
	scratch_load_b128 v[6:9], off, off offset:864
	v_add_f64_e32 v[179:180], v[179:180], v[167:168]
	v_add_f64_e32 v[183:184], v[171:172], v[169:170]
	scratch_load_b128 v[167:170], off, off offset:848
	ds_load_b128 v[171:174], v1 offset:1648
	s_wait_loadcnt_dscnt 0x901
	v_mul_f64_e32 v[185:186], v[2:3], v[12:13]
	v_mul_f64_e32 v[12:13], v[4:5], v[12:13]
	v_add_f64_e32 v[175:176], v[179:180], v[175:176]
	v_add_f64_e32 v[177:178], v[183:184], v[177:178]
	s_wait_loadcnt_dscnt 0x800
	v_mul_f64_e32 v[179:180], v[171:172], v[16:17]
	v_mul_f64_e32 v[16:17], v[173:174], v[16:17]
	v_fma_f64 v[181:182], v[4:5], v[10:11], v[185:186]
	v_fma_f64 v[183:184], v[2:3], v[10:11], -v[12:13]
	ds_load_b128 v[2:5], v1 offset:1664
	scratch_load_b128 v[10:13], off, off offset:880
	v_add_f64_e32 v[175:176], v[175:176], v[42:43]
	v_add_f64_e32 v[177:178], v[177:178], v[44:45]
	ds_load_b128 v[42:45], v1 offset:1680
	s_wait_loadcnt_dscnt 0x801
	v_mul_f64_e32 v[185:186], v[2:3], v[20:21]
	v_mul_f64_e32 v[20:21], v[4:5], v[20:21]
	v_fma_f64 v[173:174], v[173:174], v[14:15], v[179:180]
	v_fma_f64 v[171:172], v[171:172], v[14:15], -v[16:17]
	scratch_load_b128 v[14:17], off, off offset:896
	s_wait_loadcnt_dscnt 0x800
	v_mul_f64_e32 v[179:180], v[42:43], v[24:25]
	v_mul_f64_e32 v[24:25], v[44:45], v[24:25]
	v_add_f64_e32 v[175:176], v[175:176], v[183:184]
	v_add_f64_e32 v[177:178], v[177:178], v[181:182]
	v_fma_f64 v[181:182], v[4:5], v[18:19], v[185:186]
	v_fma_f64 v[183:184], v[2:3], v[18:19], -v[20:21]
	ds_load_b128 v[2:5], v1 offset:1696
	scratch_load_b128 v[18:21], off, off offset:912
	v_fma_f64 v[44:45], v[44:45], v[22:23], v[179:180]
	v_fma_f64 v[42:43], v[42:43], v[22:23], -v[24:25]
	scratch_load_b128 v[22:25], off, off offset:928
	v_add_f64_e32 v[175:176], v[175:176], v[171:172]
	v_add_f64_e32 v[177:178], v[177:178], v[173:174]
	ds_load_b128 v[171:174], v1 offset:1712
	s_wait_loadcnt_dscnt 0x901
	v_mul_f64_e32 v[185:186], v[2:3], v[28:29]
	v_mul_f64_e32 v[28:29], v[4:5], v[28:29]
	s_wait_loadcnt_dscnt 0x800
	v_mul_f64_e32 v[179:180], v[171:172], v[32:33]
	v_mul_f64_e32 v[32:33], v[173:174], v[32:33]
	v_add_f64_e32 v[175:176], v[175:176], v[183:184]
	v_add_f64_e32 v[177:178], v[177:178], v[181:182]
	v_fma_f64 v[181:182], v[4:5], v[26:27], v[185:186]
	v_fma_f64 v[183:184], v[2:3], v[26:27], -v[28:29]
	ds_load_b128 v[2:5], v1 offset:1728
	ds_load_b128 v[26:29], v1 offset:1744
	v_fma_f64 v[173:174], v[173:174], v[30:31], v[179:180]
	v_fma_f64 v[30:31], v[171:172], v[30:31], -v[32:33]
	v_add_f64_e32 v[42:43], v[175:176], v[42:43]
	v_add_f64_e32 v[44:45], v[177:178], v[44:45]
	s_wait_loadcnt_dscnt 0x701
	v_mul_f64_e32 v[175:176], v[2:3], v[36:37]
	v_mul_f64_e32 v[36:37], v[4:5], v[36:37]
	s_delay_alu instid0(VALU_DEP_4) | instskip(NEXT) | instid1(VALU_DEP_4)
	v_add_f64_e32 v[32:33], v[42:43], v[183:184]
	v_add_f64_e32 v[42:43], v[44:45], v[181:182]
	s_delay_alu instid0(VALU_DEP_4) | instskip(NEXT) | instid1(VALU_DEP_4)
	v_fma_f64 v[171:172], v[4:5], v[34:35], v[175:176]
	v_fma_f64 v[34:35], v[2:3], v[34:35], -v[36:37]
	s_wait_loadcnt_dscnt 0x600
	v_mul_f64_e32 v[44:45], v[26:27], v[40:41]
	v_mul_f64_e32 v[40:41], v[28:29], v[40:41]
	v_add_f64_e32 v[36:37], v[32:33], v[30:31]
	v_add_f64_e32 v[42:43], v[42:43], v[173:174]
	ds_load_b128 v[2:5], v1 offset:1760
	ds_load_b128 v[30:33], v1 offset:1776
	v_fma_f64 v[28:29], v[28:29], v[38:39], v[44:45]
	v_fma_f64 v[26:27], v[26:27], v[38:39], -v[40:41]
	s_wait_loadcnt_dscnt 0x401
	v_mul_f64_e32 v[173:174], v[2:3], v[169:170]
	v_mul_f64_e32 v[169:170], v[4:5], v[169:170]
	s_wait_dscnt 0x0
	v_mul_f64_e32 v[38:39], v[30:31], v[8:9]
	v_mul_f64_e32 v[8:9], v[32:33], v[8:9]
	v_add_f64_e32 v[34:35], v[36:37], v[34:35]
	v_add_f64_e32 v[36:37], v[42:43], v[171:172]
	v_fma_f64 v[40:41], v[4:5], v[167:168], v[173:174]
	v_fma_f64 v[42:43], v[2:3], v[167:168], -v[169:170]
	v_fma_f64 v[32:33], v[32:33], v[6:7], v[38:39]
	v_fma_f64 v[6:7], v[30:31], v[6:7], -v[8:9]
	v_add_f64_e32 v[34:35], v[34:35], v[26:27]
	v_add_f64_e32 v[36:37], v[36:37], v[28:29]
	ds_load_b128 v[2:5], v1 offset:1792
	ds_load_b128 v[26:29], v1 offset:1808
	s_wait_loadcnt_dscnt 0x301
	v_mul_f64_e32 v[44:45], v[2:3], v[12:13]
	v_mul_f64_e32 v[12:13], v[4:5], v[12:13]
	v_add_f64_e32 v[8:9], v[34:35], v[42:43]
	v_add_f64_e32 v[30:31], v[36:37], v[40:41]
	s_wait_loadcnt_dscnt 0x200
	v_mul_f64_e32 v[34:35], v[26:27], v[16:17]
	v_mul_f64_e32 v[16:17], v[28:29], v[16:17]
	v_fma_f64 v[36:37], v[4:5], v[10:11], v[44:45]
	v_fma_f64 v[10:11], v[2:3], v[10:11], -v[12:13]
	v_add_f64_e32 v[12:13], v[8:9], v[6:7]
	v_add_f64_e32 v[30:31], v[30:31], v[32:33]
	ds_load_b128 v[2:5], v1 offset:1824
	ds_load_b128 v[6:9], v1 offset:1840
	v_fma_f64 v[28:29], v[28:29], v[14:15], v[34:35]
	v_fma_f64 v[14:15], v[26:27], v[14:15], -v[16:17]
	s_wait_loadcnt_dscnt 0x101
	v_mul_f64_e32 v[32:33], v[2:3], v[20:21]
	v_mul_f64_e32 v[20:21], v[4:5], v[20:21]
	s_wait_loadcnt_dscnt 0x0
	v_mul_f64_e32 v[16:17], v[6:7], v[24:25]
	v_mul_f64_e32 v[24:25], v[8:9], v[24:25]
	v_add_f64_e32 v[10:11], v[12:13], v[10:11]
	v_add_f64_e32 v[12:13], v[30:31], v[36:37]
	v_fma_f64 v[4:5], v[4:5], v[18:19], v[32:33]
	v_fma_f64 v[1:2], v[2:3], v[18:19], -v[20:21]
	v_fma_f64 v[8:9], v[8:9], v[22:23], v[16:17]
	v_fma_f64 v[6:7], v[6:7], v[22:23], -v[24:25]
	v_add_f64_e32 v[10:11], v[10:11], v[14:15]
	v_add_f64_e32 v[12:13], v[12:13], v[28:29]
	s_delay_alu instid0(VALU_DEP_2) | instskip(NEXT) | instid1(VALU_DEP_2)
	v_add_f64_e32 v[1:2], v[10:11], v[1:2]
	v_add_f64_e32 v[3:4], v[12:13], v[4:5]
	s_delay_alu instid0(VALU_DEP_2) | instskip(NEXT) | instid1(VALU_DEP_2)
	;; [unrolled: 3-line block ×3, first 2 shown]
	v_add_f64_e64 v[1:2], v[163:164], -v[1:2]
	v_add_f64_e64 v[3:4], v[165:166], -v[3:4]
	scratch_store_b128 off, v[1:4], off offset:352
	v_cmpx_lt_u32_e32 20, v0
	s_cbranch_execz .LBB57_321
; %bb.320:
	scratch_load_b128 v[1:4], off, s46
	v_mov_b32_e32 v5, 0
	s_delay_alu instid0(VALU_DEP_1)
	v_dual_mov_b32 v6, v5 :: v_dual_mov_b32 v7, v5
	v_mov_b32_e32 v8, v5
	scratch_store_b128 off, v[5:8], off offset:336
	s_wait_loadcnt 0x0
	ds_store_b128 v162, v[1:4]
.LBB57_321:
	s_wait_alu 0xfffe
	s_or_b32 exec_lo, exec_lo, s0
	s_wait_storecnt_dscnt 0x0
	s_barrier_signal -1
	s_barrier_wait -1
	global_inv scope:SCOPE_SE
	s_clause 0x7
	scratch_load_b128 v[2:5], off, off offset:352
	scratch_load_b128 v[6:9], off, off offset:368
	;; [unrolled: 1-line block ×8, first 2 shown]
	v_mov_b32_e32 v1, 0
	s_mov_b32 s0, exec_lo
	ds_load_b128 v[38:41], v1 offset:1264
	s_clause 0x1
	scratch_load_b128 v[34:37], off, off offset:480
	scratch_load_b128 v[42:45], off, off offset:336
	ds_load_b128 v[163:166], v1 offset:1280
	scratch_load_b128 v[167:170], off, off offset:496
	s_wait_loadcnt_dscnt 0xa01
	v_mul_f64_e32 v[171:172], v[40:41], v[4:5]
	v_mul_f64_e32 v[4:5], v[38:39], v[4:5]
	s_delay_alu instid0(VALU_DEP_2) | instskip(NEXT) | instid1(VALU_DEP_2)
	v_fma_f64 v[177:178], v[38:39], v[2:3], -v[171:172]
	v_fma_f64 v[179:180], v[40:41], v[2:3], v[4:5]
	ds_load_b128 v[2:5], v1 offset:1296
	s_wait_loadcnt_dscnt 0x901
	v_mul_f64_e32 v[175:176], v[163:164], v[8:9]
	v_mul_f64_e32 v[8:9], v[165:166], v[8:9]
	scratch_load_b128 v[38:41], off, off offset:512
	ds_load_b128 v[171:174], v1 offset:1312
	s_wait_loadcnt_dscnt 0x901
	v_mul_f64_e32 v[181:182], v[2:3], v[12:13]
	v_mul_f64_e32 v[12:13], v[4:5], v[12:13]
	v_fma_f64 v[165:166], v[165:166], v[6:7], v[175:176]
	v_fma_f64 v[163:164], v[163:164], v[6:7], -v[8:9]
	v_add_f64_e32 v[175:176], 0, v[177:178]
	v_add_f64_e32 v[177:178], 0, v[179:180]
	scratch_load_b128 v[6:9], off, off offset:528
	v_fma_f64 v[181:182], v[4:5], v[10:11], v[181:182]
	v_fma_f64 v[183:184], v[2:3], v[10:11], -v[12:13]
	ds_load_b128 v[2:5], v1 offset:1328
	s_wait_loadcnt_dscnt 0x901
	v_mul_f64_e32 v[179:180], v[171:172], v[16:17]
	v_mul_f64_e32 v[16:17], v[173:174], v[16:17]
	scratch_load_b128 v[10:13], off, off offset:544
	v_add_f64_e32 v[175:176], v[175:176], v[163:164]
	v_add_f64_e32 v[177:178], v[177:178], v[165:166]
	s_wait_loadcnt_dscnt 0x900
	v_mul_f64_e32 v[185:186], v[2:3], v[20:21]
	v_mul_f64_e32 v[20:21], v[4:5], v[20:21]
	ds_load_b128 v[163:166], v1 offset:1344
	v_fma_f64 v[173:174], v[173:174], v[14:15], v[179:180]
	v_fma_f64 v[171:172], v[171:172], v[14:15], -v[16:17]
	scratch_load_b128 v[14:17], off, off offset:560
	v_add_f64_e32 v[175:176], v[175:176], v[183:184]
	v_add_f64_e32 v[177:178], v[177:178], v[181:182]
	v_fma_f64 v[181:182], v[4:5], v[18:19], v[185:186]
	v_fma_f64 v[183:184], v[2:3], v[18:19], -v[20:21]
	ds_load_b128 v[2:5], v1 offset:1360
	s_wait_loadcnt_dscnt 0x901
	v_mul_f64_e32 v[179:180], v[163:164], v[24:25]
	v_mul_f64_e32 v[24:25], v[165:166], v[24:25]
	scratch_load_b128 v[18:21], off, off offset:576
	s_wait_loadcnt_dscnt 0x900
	v_mul_f64_e32 v[185:186], v[2:3], v[28:29]
	v_mul_f64_e32 v[28:29], v[4:5], v[28:29]
	v_add_f64_e32 v[175:176], v[175:176], v[171:172]
	v_add_f64_e32 v[177:178], v[177:178], v[173:174]
	ds_load_b128 v[171:174], v1 offset:1376
	v_fma_f64 v[165:166], v[165:166], v[22:23], v[179:180]
	v_fma_f64 v[163:164], v[163:164], v[22:23], -v[24:25]
	scratch_load_b128 v[22:25], off, off offset:592
	v_add_f64_e32 v[175:176], v[175:176], v[183:184]
	v_add_f64_e32 v[177:178], v[177:178], v[181:182]
	v_fma_f64 v[181:182], v[4:5], v[26:27], v[185:186]
	v_fma_f64 v[183:184], v[2:3], v[26:27], -v[28:29]
	ds_load_b128 v[2:5], v1 offset:1392
	s_wait_loadcnt_dscnt 0x901
	v_mul_f64_e32 v[179:180], v[171:172], v[32:33]
	v_mul_f64_e32 v[32:33], v[173:174], v[32:33]
	scratch_load_b128 v[26:29], off, off offset:608
	s_wait_loadcnt_dscnt 0x900
	v_mul_f64_e32 v[185:186], v[2:3], v[36:37]
	v_mul_f64_e32 v[36:37], v[4:5], v[36:37]
	v_add_f64_e32 v[175:176], v[175:176], v[163:164]
	v_add_f64_e32 v[177:178], v[177:178], v[165:166]
	ds_load_b128 v[163:166], v1 offset:1408
	v_fma_f64 v[173:174], v[173:174], v[30:31], v[179:180]
	v_fma_f64 v[171:172], v[171:172], v[30:31], -v[32:33]
	scratch_load_b128 v[30:33], off, off offset:624
	v_add_f64_e32 v[175:176], v[175:176], v[183:184]
	v_add_f64_e32 v[177:178], v[177:178], v[181:182]
	v_fma_f64 v[183:184], v[4:5], v[34:35], v[185:186]
	v_fma_f64 v[185:186], v[2:3], v[34:35], -v[36:37]
	ds_load_b128 v[2:5], v1 offset:1424
	s_wait_loadcnt_dscnt 0x801
	v_mul_f64_e32 v[179:180], v[163:164], v[169:170]
	v_mul_f64_e32 v[181:182], v[165:166], v[169:170]
	scratch_load_b128 v[34:37], off, off offset:640
	v_add_f64_e32 v[175:176], v[175:176], v[171:172]
	v_add_f64_e32 v[173:174], v[177:178], v[173:174]
	ds_load_b128 v[169:172], v1 offset:1440
	v_fma_f64 v[179:180], v[165:166], v[167:168], v[179:180]
	v_fma_f64 v[167:168], v[163:164], v[167:168], -v[181:182]
	scratch_load_b128 v[163:166], off, off offset:656
	s_wait_loadcnt_dscnt 0x901
	v_mul_f64_e32 v[177:178], v[2:3], v[40:41]
	v_mul_f64_e32 v[40:41], v[4:5], v[40:41]
	v_add_f64_e32 v[175:176], v[175:176], v[185:186]
	v_add_f64_e32 v[173:174], v[173:174], v[183:184]
	s_delay_alu instid0(VALU_DEP_4) | instskip(NEXT) | instid1(VALU_DEP_4)
	v_fma_f64 v[177:178], v[4:5], v[38:39], v[177:178]
	v_fma_f64 v[183:184], v[2:3], v[38:39], -v[40:41]
	ds_load_b128 v[2:5], v1 offset:1456
	s_wait_loadcnt_dscnt 0x801
	v_mul_f64_e32 v[181:182], v[169:170], v[8:9]
	v_mul_f64_e32 v[8:9], v[171:172], v[8:9]
	scratch_load_b128 v[38:41], off, off offset:672
	s_wait_loadcnt_dscnt 0x800
	v_mul_f64_e32 v[185:186], v[2:3], v[12:13]
	v_add_f64_e32 v[167:168], v[175:176], v[167:168]
	v_add_f64_e32 v[179:180], v[173:174], v[179:180]
	v_mul_f64_e32 v[12:13], v[4:5], v[12:13]
	ds_load_b128 v[173:176], v1 offset:1472
	v_fma_f64 v[171:172], v[171:172], v[6:7], v[181:182]
	v_fma_f64 v[169:170], v[169:170], v[6:7], -v[8:9]
	scratch_load_b128 v[6:9], off, off offset:688
	v_fma_f64 v[181:182], v[4:5], v[10:11], v[185:186]
	v_add_f64_e32 v[167:168], v[167:168], v[183:184]
	v_add_f64_e32 v[177:178], v[179:180], v[177:178]
	v_fma_f64 v[183:184], v[2:3], v[10:11], -v[12:13]
	ds_load_b128 v[2:5], v1 offset:1488
	s_wait_loadcnt_dscnt 0x801
	v_mul_f64_e32 v[179:180], v[173:174], v[16:17]
	v_mul_f64_e32 v[16:17], v[175:176], v[16:17]
	scratch_load_b128 v[10:13], off, off offset:704
	v_add_f64_e32 v[185:186], v[167:168], v[169:170]
	v_add_f64_e32 v[171:172], v[177:178], v[171:172]
	s_wait_loadcnt_dscnt 0x800
	v_mul_f64_e32 v[177:178], v[2:3], v[20:21]
	v_mul_f64_e32 v[20:21], v[4:5], v[20:21]
	v_fma_f64 v[175:176], v[175:176], v[14:15], v[179:180]
	v_fma_f64 v[173:174], v[173:174], v[14:15], -v[16:17]
	ds_load_b128 v[167:170], v1 offset:1504
	scratch_load_b128 v[14:17], off, off offset:720
	v_add_f64_e32 v[179:180], v[185:186], v[183:184]
	v_add_f64_e32 v[171:172], v[171:172], v[181:182]
	v_fma_f64 v[177:178], v[4:5], v[18:19], v[177:178]
	v_fma_f64 v[183:184], v[2:3], v[18:19], -v[20:21]
	ds_load_b128 v[2:5], v1 offset:1520
	s_wait_loadcnt_dscnt 0x801
	v_mul_f64_e32 v[181:182], v[167:168], v[24:25]
	v_mul_f64_e32 v[24:25], v[169:170], v[24:25]
	scratch_load_b128 v[18:21], off, off offset:736
	s_wait_loadcnt_dscnt 0x800
	v_mul_f64_e32 v[185:186], v[2:3], v[28:29]
	v_mul_f64_e32 v[28:29], v[4:5], v[28:29]
	v_add_f64_e32 v[179:180], v[179:180], v[173:174]
	v_add_f64_e32 v[175:176], v[171:172], v[175:176]
	ds_load_b128 v[171:174], v1 offset:1536
	v_fma_f64 v[169:170], v[169:170], v[22:23], v[181:182]
	v_fma_f64 v[167:168], v[167:168], v[22:23], -v[24:25]
	scratch_load_b128 v[22:25], off, off offset:752
	v_fma_f64 v[181:182], v[4:5], v[26:27], v[185:186]
	v_add_f64_e32 v[179:180], v[179:180], v[183:184]
	v_add_f64_e32 v[175:176], v[175:176], v[177:178]
	v_fma_f64 v[183:184], v[2:3], v[26:27], -v[28:29]
	ds_load_b128 v[2:5], v1 offset:1552
	s_wait_loadcnt_dscnt 0x801
	v_mul_f64_e32 v[177:178], v[171:172], v[32:33]
	v_mul_f64_e32 v[32:33], v[173:174], v[32:33]
	scratch_load_b128 v[26:29], off, off offset:768
	s_wait_loadcnt_dscnt 0x800
	v_mul_f64_e32 v[185:186], v[2:3], v[36:37]
	v_mul_f64_e32 v[36:37], v[4:5], v[36:37]
	v_add_f64_e32 v[179:180], v[179:180], v[167:168]
	v_add_f64_e32 v[175:176], v[175:176], v[169:170]
	ds_load_b128 v[167:170], v1 offset:1568
	v_fma_f64 v[173:174], v[173:174], v[30:31], v[177:178]
	v_fma_f64 v[171:172], v[171:172], v[30:31], -v[32:33]
	scratch_load_b128 v[30:33], off, off offset:784
	v_add_f64_e32 v[177:178], v[179:180], v[183:184]
	v_add_f64_e32 v[175:176], v[175:176], v[181:182]
	v_fma_f64 v[181:182], v[4:5], v[34:35], v[185:186]
	v_fma_f64 v[183:184], v[2:3], v[34:35], -v[36:37]
	ds_load_b128 v[2:5], v1 offset:1584
	s_wait_loadcnt_dscnt 0x801
	v_mul_f64_e32 v[179:180], v[167:168], v[165:166]
	v_mul_f64_e32 v[165:166], v[169:170], v[165:166]
	scratch_load_b128 v[34:37], off, off offset:800
	s_wait_loadcnt_dscnt 0x800
	v_mul_f64_e32 v[185:186], v[2:3], v[40:41]
	v_mul_f64_e32 v[40:41], v[4:5], v[40:41]
	v_add_f64_e32 v[177:178], v[177:178], v[171:172]
	v_add_f64_e32 v[175:176], v[175:176], v[173:174]
	ds_load_b128 v[171:174], v1 offset:1600
	v_fma_f64 v[169:170], v[169:170], v[163:164], v[179:180]
	v_fma_f64 v[167:168], v[167:168], v[163:164], -v[165:166]
	scratch_load_b128 v[163:166], off, off offset:816
	v_add_f64_e32 v[177:178], v[177:178], v[183:184]
	v_add_f64_e32 v[175:176], v[175:176], v[181:182]
	v_fma_f64 v[181:182], v[4:5], v[38:39], v[185:186]
	v_fma_f64 v[183:184], v[2:3], v[38:39], -v[40:41]
	ds_load_b128 v[2:5], v1 offset:1616
	s_wait_loadcnt_dscnt 0x801
	v_mul_f64_e32 v[179:180], v[171:172], v[8:9]
	v_mul_f64_e32 v[8:9], v[173:174], v[8:9]
	scratch_load_b128 v[38:41], off, off offset:832
	s_wait_loadcnt_dscnt 0x800
	v_mul_f64_e32 v[185:186], v[2:3], v[12:13]
	v_mul_f64_e32 v[12:13], v[4:5], v[12:13]
	v_add_f64_e32 v[177:178], v[177:178], v[167:168]
	v_add_f64_e32 v[175:176], v[175:176], v[169:170]
	ds_load_b128 v[167:170], v1 offset:1632
	v_fma_f64 v[173:174], v[173:174], v[6:7], v[179:180]
	v_fma_f64 v[171:172], v[171:172], v[6:7], -v[8:9]
	scratch_load_b128 v[6:9], off, off offset:848
	v_add_f64_e32 v[177:178], v[177:178], v[183:184]
	v_add_f64_e32 v[175:176], v[175:176], v[181:182]
	v_fma_f64 v[181:182], v[4:5], v[10:11], v[185:186]
	v_fma_f64 v[183:184], v[2:3], v[10:11], -v[12:13]
	ds_load_b128 v[2:5], v1 offset:1648
	s_wait_loadcnt_dscnt 0x801
	v_mul_f64_e32 v[179:180], v[167:168], v[16:17]
	v_mul_f64_e32 v[16:17], v[169:170], v[16:17]
	scratch_load_b128 v[10:13], off, off offset:864
	s_wait_loadcnt_dscnt 0x800
	v_mul_f64_e32 v[185:186], v[2:3], v[20:21]
	v_mul_f64_e32 v[20:21], v[4:5], v[20:21]
	v_add_f64_e32 v[177:178], v[177:178], v[171:172]
	v_add_f64_e32 v[175:176], v[175:176], v[173:174]
	ds_load_b128 v[171:174], v1 offset:1664
	v_fma_f64 v[169:170], v[169:170], v[14:15], v[179:180]
	v_fma_f64 v[167:168], v[167:168], v[14:15], -v[16:17]
	scratch_load_b128 v[14:17], off, off offset:880
	v_add_f64_e32 v[177:178], v[177:178], v[183:184]
	v_add_f64_e32 v[175:176], v[175:176], v[181:182]
	v_fma_f64 v[181:182], v[4:5], v[18:19], v[185:186]
	v_fma_f64 v[183:184], v[2:3], v[18:19], -v[20:21]
	ds_load_b128 v[2:5], v1 offset:1680
	s_wait_loadcnt_dscnt 0x801
	v_mul_f64_e32 v[179:180], v[171:172], v[24:25]
	v_mul_f64_e32 v[24:25], v[173:174], v[24:25]
	scratch_load_b128 v[18:21], off, off offset:896
	s_wait_loadcnt_dscnt 0x800
	v_mul_f64_e32 v[185:186], v[2:3], v[28:29]
	v_mul_f64_e32 v[28:29], v[4:5], v[28:29]
	v_add_f64_e32 v[177:178], v[177:178], v[167:168]
	v_add_f64_e32 v[175:176], v[175:176], v[169:170]
	ds_load_b128 v[167:170], v1 offset:1696
	v_fma_f64 v[173:174], v[173:174], v[22:23], v[179:180]
	v_fma_f64 v[171:172], v[171:172], v[22:23], -v[24:25]
	scratch_load_b128 v[22:25], off, off offset:912
	v_add_f64_e32 v[177:178], v[177:178], v[183:184]
	v_add_f64_e32 v[175:176], v[175:176], v[181:182]
	v_fma_f64 v[181:182], v[4:5], v[26:27], v[185:186]
	v_fma_f64 v[183:184], v[2:3], v[26:27], -v[28:29]
	ds_load_b128 v[2:5], v1 offset:1712
	s_wait_loadcnt_dscnt 0x801
	v_mul_f64_e32 v[179:180], v[167:168], v[32:33]
	v_mul_f64_e32 v[32:33], v[169:170], v[32:33]
	scratch_load_b128 v[26:29], off, off offset:928
	s_wait_loadcnt_dscnt 0x800
	v_mul_f64_e32 v[185:186], v[2:3], v[36:37]
	v_mul_f64_e32 v[36:37], v[4:5], v[36:37]
	v_add_f64_e32 v[177:178], v[177:178], v[171:172]
	v_add_f64_e32 v[175:176], v[175:176], v[173:174]
	ds_load_b128 v[171:174], v1 offset:1728
	v_fma_f64 v[169:170], v[169:170], v[30:31], v[179:180]
	v_fma_f64 v[30:31], v[167:168], v[30:31], -v[32:33]
	v_add_f64_e32 v[32:33], v[177:178], v[183:184]
	v_add_f64_e32 v[167:168], v[175:176], v[181:182]
	s_wait_loadcnt_dscnt 0x700
	v_mul_f64_e32 v[175:176], v[171:172], v[165:166]
	v_mul_f64_e32 v[165:166], v[173:174], v[165:166]
	v_fma_f64 v[177:178], v[4:5], v[34:35], v[185:186]
	v_fma_f64 v[34:35], v[2:3], v[34:35], -v[36:37]
	v_add_f64_e32 v[36:37], v[32:33], v[30:31]
	v_add_f64_e32 v[167:168], v[167:168], v[169:170]
	ds_load_b128 v[2:5], v1 offset:1744
	ds_load_b128 v[30:33], v1 offset:1760
	v_fma_f64 v[173:174], v[173:174], v[163:164], v[175:176]
	v_fma_f64 v[163:164], v[171:172], v[163:164], -v[165:166]
	s_wait_loadcnt_dscnt 0x601
	v_mul_f64_e32 v[169:170], v[2:3], v[40:41]
	v_mul_f64_e32 v[40:41], v[4:5], v[40:41]
	s_wait_loadcnt_dscnt 0x500
	v_mul_f64_e32 v[165:166], v[30:31], v[8:9]
	v_mul_f64_e32 v[8:9], v[32:33], v[8:9]
	v_add_f64_e32 v[34:35], v[36:37], v[34:35]
	v_add_f64_e32 v[36:37], v[167:168], v[177:178]
	v_fma_f64 v[167:168], v[4:5], v[38:39], v[169:170]
	v_fma_f64 v[38:39], v[2:3], v[38:39], -v[40:41]
	v_fma_f64 v[32:33], v[32:33], v[6:7], v[165:166]
	v_fma_f64 v[6:7], v[30:31], v[6:7], -v[8:9]
	v_add_f64_e32 v[40:41], v[34:35], v[163:164]
	v_add_f64_e32 v[163:164], v[36:37], v[173:174]
	ds_load_b128 v[2:5], v1 offset:1776
	ds_load_b128 v[34:37], v1 offset:1792
	s_wait_loadcnt_dscnt 0x401
	v_mul_f64_e32 v[169:170], v[2:3], v[12:13]
	v_mul_f64_e32 v[12:13], v[4:5], v[12:13]
	v_add_f64_e32 v[8:9], v[40:41], v[38:39]
	v_add_f64_e32 v[30:31], v[163:164], v[167:168]
	s_wait_loadcnt_dscnt 0x300
	v_mul_f64_e32 v[38:39], v[34:35], v[16:17]
	v_mul_f64_e32 v[16:17], v[36:37], v[16:17]
	v_fma_f64 v[40:41], v[4:5], v[10:11], v[169:170]
	v_fma_f64 v[10:11], v[2:3], v[10:11], -v[12:13]
	v_add_f64_e32 v[12:13], v[8:9], v[6:7]
	v_add_f64_e32 v[30:31], v[30:31], v[32:33]
	ds_load_b128 v[2:5], v1 offset:1808
	ds_load_b128 v[6:9], v1 offset:1824
	v_fma_f64 v[36:37], v[36:37], v[14:15], v[38:39]
	v_fma_f64 v[14:15], v[34:35], v[14:15], -v[16:17]
	s_wait_loadcnt_dscnt 0x201
	v_mul_f64_e32 v[32:33], v[2:3], v[20:21]
	v_mul_f64_e32 v[20:21], v[4:5], v[20:21]
	s_wait_loadcnt_dscnt 0x100
	v_mul_f64_e32 v[16:17], v[6:7], v[24:25]
	v_mul_f64_e32 v[24:25], v[8:9], v[24:25]
	v_add_f64_e32 v[10:11], v[12:13], v[10:11]
	v_add_f64_e32 v[12:13], v[30:31], v[40:41]
	v_fma_f64 v[30:31], v[4:5], v[18:19], v[32:33]
	v_fma_f64 v[18:19], v[2:3], v[18:19], -v[20:21]
	ds_load_b128 v[2:5], v1 offset:1840
	v_fma_f64 v[8:9], v[8:9], v[22:23], v[16:17]
	v_fma_f64 v[6:7], v[6:7], v[22:23], -v[24:25]
	v_add_f64_e32 v[10:11], v[10:11], v[14:15]
	v_add_f64_e32 v[12:13], v[12:13], v[36:37]
	s_wait_loadcnt_dscnt 0x0
	v_mul_f64_e32 v[14:15], v[2:3], v[28:29]
	v_mul_f64_e32 v[20:21], v[4:5], v[28:29]
	s_delay_alu instid0(VALU_DEP_4) | instskip(NEXT) | instid1(VALU_DEP_4)
	v_add_f64_e32 v[10:11], v[10:11], v[18:19]
	v_add_f64_e32 v[12:13], v[12:13], v[30:31]
	s_delay_alu instid0(VALU_DEP_4) | instskip(NEXT) | instid1(VALU_DEP_4)
	v_fma_f64 v[4:5], v[4:5], v[26:27], v[14:15]
	v_fma_f64 v[2:3], v[2:3], v[26:27], -v[20:21]
	s_delay_alu instid0(VALU_DEP_4) | instskip(NEXT) | instid1(VALU_DEP_4)
	v_add_f64_e32 v[6:7], v[10:11], v[6:7]
	v_add_f64_e32 v[8:9], v[12:13], v[8:9]
	s_delay_alu instid0(VALU_DEP_2) | instskip(NEXT) | instid1(VALU_DEP_2)
	v_add_f64_e32 v[2:3], v[6:7], v[2:3]
	v_add_f64_e32 v[4:5], v[8:9], v[4:5]
	s_delay_alu instid0(VALU_DEP_2) | instskip(NEXT) | instid1(VALU_DEP_2)
	v_add_f64_e64 v[2:3], v[42:43], -v[2:3]
	v_add_f64_e64 v[4:5], v[44:45], -v[4:5]
	scratch_store_b128 off, v[2:5], off offset:336
	v_cmpx_lt_u32_e32 19, v0
	s_cbranch_execz .LBB57_323
; %bb.322:
	scratch_load_b128 v[5:8], off, s48
	v_dual_mov_b32 v2, v1 :: v_dual_mov_b32 v3, v1
	v_mov_b32_e32 v4, v1
	scratch_store_b128 off, v[1:4], off offset:320
	s_wait_loadcnt 0x0
	ds_store_b128 v162, v[5:8]
.LBB57_323:
	s_wait_alu 0xfffe
	s_or_b32 exec_lo, exec_lo, s0
	s_wait_storecnt_dscnt 0x0
	s_barrier_signal -1
	s_barrier_wait -1
	global_inv scope:SCOPE_SE
	s_clause 0x8
	scratch_load_b128 v[2:5], off, off offset:336
	scratch_load_b128 v[6:9], off, off offset:352
	;; [unrolled: 1-line block ×9, first 2 shown]
	ds_load_b128 v[42:45], v1 offset:1248
	ds_load_b128 v[38:41], v1 offset:1264
	s_clause 0x1
	scratch_load_b128 v[163:166], off, off offset:320
	scratch_load_b128 v[167:170], off, off offset:480
	s_mov_b32 s0, exec_lo
	s_wait_loadcnt_dscnt 0xa01
	v_mul_f64_e32 v[171:172], v[44:45], v[4:5]
	v_mul_f64_e32 v[4:5], v[42:43], v[4:5]
	s_wait_loadcnt_dscnt 0x900
	v_mul_f64_e32 v[175:176], v[38:39], v[8:9]
	v_mul_f64_e32 v[8:9], v[40:41], v[8:9]
	s_delay_alu instid0(VALU_DEP_4) | instskip(NEXT) | instid1(VALU_DEP_4)
	v_fma_f64 v[177:178], v[42:43], v[2:3], -v[171:172]
	v_fma_f64 v[179:180], v[44:45], v[2:3], v[4:5]
	ds_load_b128 v[2:5], v1 offset:1280
	ds_load_b128 v[171:174], v1 offset:1296
	scratch_load_b128 v[42:45], off, off offset:496
	v_fma_f64 v[40:41], v[40:41], v[6:7], v[175:176]
	v_fma_f64 v[38:39], v[38:39], v[6:7], -v[8:9]
	scratch_load_b128 v[6:9], off, off offset:512
	s_wait_loadcnt_dscnt 0xa01
	v_mul_f64_e32 v[181:182], v[2:3], v[12:13]
	v_mul_f64_e32 v[12:13], v[4:5], v[12:13]
	v_add_f64_e32 v[175:176], 0, v[177:178]
	v_add_f64_e32 v[177:178], 0, v[179:180]
	s_wait_loadcnt_dscnt 0x900
	v_mul_f64_e32 v[179:180], v[171:172], v[16:17]
	v_mul_f64_e32 v[16:17], v[173:174], v[16:17]
	v_fma_f64 v[181:182], v[4:5], v[10:11], v[181:182]
	v_fma_f64 v[183:184], v[2:3], v[10:11], -v[12:13]
	ds_load_b128 v[2:5], v1 offset:1312
	scratch_load_b128 v[10:13], off, off offset:528
	v_add_f64_e32 v[175:176], v[175:176], v[38:39]
	v_add_f64_e32 v[177:178], v[177:178], v[40:41]
	ds_load_b128 v[38:41], v1 offset:1328
	v_fma_f64 v[173:174], v[173:174], v[14:15], v[179:180]
	v_fma_f64 v[171:172], v[171:172], v[14:15], -v[16:17]
	scratch_load_b128 v[14:17], off, off offset:544
	s_wait_loadcnt_dscnt 0xa01
	v_mul_f64_e32 v[185:186], v[2:3], v[20:21]
	v_mul_f64_e32 v[20:21], v[4:5], v[20:21]
	s_wait_loadcnt_dscnt 0x900
	v_mul_f64_e32 v[179:180], v[38:39], v[24:25]
	v_mul_f64_e32 v[24:25], v[40:41], v[24:25]
	v_add_f64_e32 v[175:176], v[175:176], v[183:184]
	v_add_f64_e32 v[177:178], v[177:178], v[181:182]
	v_fma_f64 v[181:182], v[4:5], v[18:19], v[185:186]
	v_fma_f64 v[183:184], v[2:3], v[18:19], -v[20:21]
	ds_load_b128 v[2:5], v1 offset:1344
	scratch_load_b128 v[18:21], off, off offset:560
	v_fma_f64 v[40:41], v[40:41], v[22:23], v[179:180]
	v_fma_f64 v[38:39], v[38:39], v[22:23], -v[24:25]
	scratch_load_b128 v[22:25], off, off offset:576
	v_add_f64_e32 v[175:176], v[175:176], v[171:172]
	v_add_f64_e32 v[177:178], v[177:178], v[173:174]
	ds_load_b128 v[171:174], v1 offset:1360
	s_wait_loadcnt_dscnt 0xa01
	v_mul_f64_e32 v[185:186], v[2:3], v[28:29]
	v_mul_f64_e32 v[28:29], v[4:5], v[28:29]
	s_wait_loadcnt_dscnt 0x900
	v_mul_f64_e32 v[179:180], v[171:172], v[32:33]
	v_mul_f64_e32 v[32:33], v[173:174], v[32:33]
	v_add_f64_e32 v[175:176], v[175:176], v[183:184]
	v_add_f64_e32 v[177:178], v[177:178], v[181:182]
	v_fma_f64 v[181:182], v[4:5], v[26:27], v[185:186]
	v_fma_f64 v[183:184], v[2:3], v[26:27], -v[28:29]
	ds_load_b128 v[2:5], v1 offset:1376
	scratch_load_b128 v[26:29], off, off offset:592
	v_fma_f64 v[173:174], v[173:174], v[30:31], v[179:180]
	v_fma_f64 v[171:172], v[171:172], v[30:31], -v[32:33]
	scratch_load_b128 v[30:33], off, off offset:608
	v_add_f64_e32 v[175:176], v[175:176], v[38:39]
	v_add_f64_e32 v[177:178], v[177:178], v[40:41]
	ds_load_b128 v[38:41], v1 offset:1392
	s_wait_loadcnt_dscnt 0xa01
	v_mul_f64_e32 v[185:186], v[2:3], v[36:37]
	v_mul_f64_e32 v[36:37], v[4:5], v[36:37]
	s_wait_loadcnt_dscnt 0x800
	v_mul_f64_e32 v[179:180], v[38:39], v[169:170]
	v_add_f64_e32 v[175:176], v[175:176], v[183:184]
	v_add_f64_e32 v[177:178], v[177:178], v[181:182]
	v_mul_f64_e32 v[181:182], v[40:41], v[169:170]
	v_fma_f64 v[183:184], v[4:5], v[34:35], v[185:186]
	v_fma_f64 v[185:186], v[2:3], v[34:35], -v[36:37]
	ds_load_b128 v[2:5], v1 offset:1408
	scratch_load_b128 v[34:37], off, off offset:624
	v_fma_f64 v[179:180], v[40:41], v[167:168], v[179:180]
	v_add_f64_e32 v[175:176], v[175:176], v[171:172]
	v_add_f64_e32 v[173:174], v[177:178], v[173:174]
	ds_load_b128 v[169:172], v1 offset:1424
	v_fma_f64 v[167:168], v[38:39], v[167:168], -v[181:182]
	scratch_load_b128 v[38:41], off, off offset:640
	s_wait_loadcnt_dscnt 0x901
	v_mul_f64_e32 v[177:178], v[2:3], v[44:45]
	v_mul_f64_e32 v[44:45], v[4:5], v[44:45]
	s_wait_loadcnt_dscnt 0x800
	v_mul_f64_e32 v[181:182], v[169:170], v[8:9]
	v_mul_f64_e32 v[8:9], v[171:172], v[8:9]
	v_add_f64_e32 v[175:176], v[175:176], v[185:186]
	v_add_f64_e32 v[173:174], v[173:174], v[183:184]
	v_fma_f64 v[177:178], v[4:5], v[42:43], v[177:178]
	v_fma_f64 v[183:184], v[2:3], v[42:43], -v[44:45]
	ds_load_b128 v[2:5], v1 offset:1440
	scratch_load_b128 v[42:45], off, off offset:656
	v_fma_f64 v[171:172], v[171:172], v[6:7], v[181:182]
	v_fma_f64 v[169:170], v[169:170], v[6:7], -v[8:9]
	scratch_load_b128 v[6:9], off, off offset:672
	v_add_f64_e32 v[167:168], v[175:176], v[167:168]
	v_add_f64_e32 v[179:180], v[173:174], v[179:180]
	ds_load_b128 v[173:176], v1 offset:1456
	s_wait_loadcnt_dscnt 0x901
	v_mul_f64_e32 v[185:186], v[2:3], v[12:13]
	v_mul_f64_e32 v[12:13], v[4:5], v[12:13]
	v_add_f64_e32 v[167:168], v[167:168], v[183:184]
	v_add_f64_e32 v[177:178], v[179:180], v[177:178]
	s_wait_loadcnt_dscnt 0x800
	v_mul_f64_e32 v[179:180], v[173:174], v[16:17]
	v_mul_f64_e32 v[16:17], v[175:176], v[16:17]
	v_fma_f64 v[181:182], v[4:5], v[10:11], v[185:186]
	v_fma_f64 v[183:184], v[2:3], v[10:11], -v[12:13]
	ds_load_b128 v[2:5], v1 offset:1472
	scratch_load_b128 v[10:13], off, off offset:688
	v_add_f64_e32 v[185:186], v[167:168], v[169:170]
	v_add_f64_e32 v[171:172], v[177:178], v[171:172]
	ds_load_b128 v[167:170], v1 offset:1488
	s_wait_loadcnt_dscnt 0x801
	v_mul_f64_e32 v[177:178], v[2:3], v[20:21]
	v_mul_f64_e32 v[20:21], v[4:5], v[20:21]
	v_fma_f64 v[175:176], v[175:176], v[14:15], v[179:180]
	v_fma_f64 v[173:174], v[173:174], v[14:15], -v[16:17]
	scratch_load_b128 v[14:17], off, off offset:704
	v_add_f64_e32 v[179:180], v[185:186], v[183:184]
	v_add_f64_e32 v[171:172], v[171:172], v[181:182]
	s_wait_loadcnt_dscnt 0x800
	v_mul_f64_e32 v[181:182], v[167:168], v[24:25]
	v_mul_f64_e32 v[24:25], v[169:170], v[24:25]
	v_fma_f64 v[177:178], v[4:5], v[18:19], v[177:178]
	v_fma_f64 v[183:184], v[2:3], v[18:19], -v[20:21]
	ds_load_b128 v[2:5], v1 offset:1504
	scratch_load_b128 v[18:21], off, off offset:720
	v_add_f64_e32 v[179:180], v[179:180], v[173:174]
	v_add_f64_e32 v[175:176], v[171:172], v[175:176]
	ds_load_b128 v[171:174], v1 offset:1520
	s_wait_loadcnt_dscnt 0x801
	v_mul_f64_e32 v[185:186], v[2:3], v[28:29]
	v_mul_f64_e32 v[28:29], v[4:5], v[28:29]
	v_fma_f64 v[169:170], v[169:170], v[22:23], v[181:182]
	v_fma_f64 v[167:168], v[167:168], v[22:23], -v[24:25]
	scratch_load_b128 v[22:25], off, off offset:736
	;; [unrolled: 18-line block ×4, first 2 shown]
	s_wait_loadcnt_dscnt 0x800
	v_mul_f64_e32 v[179:180], v[171:172], v[8:9]
	v_mul_f64_e32 v[8:9], v[173:174], v[8:9]
	v_add_f64_e32 v[177:178], v[177:178], v[183:184]
	v_add_f64_e32 v[175:176], v[175:176], v[181:182]
	v_fma_f64 v[181:182], v[4:5], v[42:43], v[185:186]
	v_fma_f64 v[183:184], v[2:3], v[42:43], -v[44:45]
	ds_load_b128 v[2:5], v1 offset:1600
	scratch_load_b128 v[42:45], off, off offset:816
	v_fma_f64 v[173:174], v[173:174], v[6:7], v[179:180]
	v_fma_f64 v[171:172], v[171:172], v[6:7], -v[8:9]
	scratch_load_b128 v[6:9], off, off offset:832
	v_add_f64_e32 v[177:178], v[177:178], v[167:168]
	v_add_f64_e32 v[175:176], v[175:176], v[169:170]
	ds_load_b128 v[167:170], v1 offset:1616
	s_wait_loadcnt_dscnt 0x901
	v_mul_f64_e32 v[185:186], v[2:3], v[12:13]
	v_mul_f64_e32 v[12:13], v[4:5], v[12:13]
	s_wait_loadcnt_dscnt 0x800
	v_mul_f64_e32 v[179:180], v[167:168], v[16:17]
	v_mul_f64_e32 v[16:17], v[169:170], v[16:17]
	v_add_f64_e32 v[177:178], v[177:178], v[183:184]
	v_add_f64_e32 v[175:176], v[175:176], v[181:182]
	v_fma_f64 v[181:182], v[4:5], v[10:11], v[185:186]
	v_fma_f64 v[183:184], v[2:3], v[10:11], -v[12:13]
	ds_load_b128 v[2:5], v1 offset:1632
	scratch_load_b128 v[10:13], off, off offset:848
	v_fma_f64 v[169:170], v[169:170], v[14:15], v[179:180]
	v_fma_f64 v[167:168], v[167:168], v[14:15], -v[16:17]
	scratch_load_b128 v[14:17], off, off offset:864
	v_add_f64_e32 v[177:178], v[177:178], v[171:172]
	v_add_f64_e32 v[175:176], v[175:176], v[173:174]
	ds_load_b128 v[171:174], v1 offset:1648
	s_wait_loadcnt_dscnt 0x901
	v_mul_f64_e32 v[185:186], v[2:3], v[20:21]
	v_mul_f64_e32 v[20:21], v[4:5], v[20:21]
	;; [unrolled: 18-line block ×4, first 2 shown]
	s_wait_loadcnt_dscnt 0x800
	v_mul_f64_e32 v[179:180], v[171:172], v[40:41]
	v_mul_f64_e32 v[40:41], v[173:174], v[40:41]
	v_add_f64_e32 v[177:178], v[177:178], v[183:184]
	v_add_f64_e32 v[175:176], v[175:176], v[181:182]
	v_fma_f64 v[181:182], v[4:5], v[34:35], v[185:186]
	v_fma_f64 v[183:184], v[2:3], v[34:35], -v[36:37]
	ds_load_b128 v[2:5], v1 offset:1728
	ds_load_b128 v[34:37], v1 offset:1744
	v_fma_f64 v[173:174], v[173:174], v[38:39], v[179:180]
	v_fma_f64 v[38:39], v[171:172], v[38:39], -v[40:41]
	v_add_f64_e32 v[167:168], v[177:178], v[167:168]
	v_add_f64_e32 v[169:170], v[175:176], v[169:170]
	s_wait_loadcnt_dscnt 0x701
	v_mul_f64_e32 v[175:176], v[2:3], v[44:45]
	v_mul_f64_e32 v[44:45], v[4:5], v[44:45]
	s_delay_alu instid0(VALU_DEP_4) | instskip(NEXT) | instid1(VALU_DEP_4)
	v_add_f64_e32 v[40:41], v[167:168], v[183:184]
	v_add_f64_e32 v[167:168], v[169:170], v[181:182]
	s_wait_loadcnt_dscnt 0x600
	v_mul_f64_e32 v[169:170], v[34:35], v[8:9]
	v_mul_f64_e32 v[8:9], v[36:37], v[8:9]
	v_fma_f64 v[171:172], v[4:5], v[42:43], v[175:176]
	v_fma_f64 v[42:43], v[2:3], v[42:43], -v[44:45]
	v_add_f64_e32 v[44:45], v[40:41], v[38:39]
	v_add_f64_e32 v[167:168], v[167:168], v[173:174]
	ds_load_b128 v[2:5], v1 offset:1760
	ds_load_b128 v[38:41], v1 offset:1776
	v_fma_f64 v[36:37], v[36:37], v[6:7], v[169:170]
	v_fma_f64 v[6:7], v[34:35], v[6:7], -v[8:9]
	s_wait_loadcnt_dscnt 0x501
	v_mul_f64_e32 v[173:174], v[2:3], v[12:13]
	v_mul_f64_e32 v[12:13], v[4:5], v[12:13]
	v_add_f64_e32 v[8:9], v[44:45], v[42:43]
	v_add_f64_e32 v[34:35], v[167:168], v[171:172]
	s_wait_loadcnt_dscnt 0x400
	v_mul_f64_e32 v[42:43], v[38:39], v[16:17]
	v_mul_f64_e32 v[16:17], v[40:41], v[16:17]
	v_fma_f64 v[44:45], v[4:5], v[10:11], v[173:174]
	v_fma_f64 v[10:11], v[2:3], v[10:11], -v[12:13]
	v_add_f64_e32 v[12:13], v[8:9], v[6:7]
	v_add_f64_e32 v[34:35], v[34:35], v[36:37]
	ds_load_b128 v[2:5], v1 offset:1792
	ds_load_b128 v[6:9], v1 offset:1808
	v_fma_f64 v[40:41], v[40:41], v[14:15], v[42:43]
	v_fma_f64 v[14:15], v[38:39], v[14:15], -v[16:17]
	s_wait_loadcnt_dscnt 0x301
	v_mul_f64_e32 v[36:37], v[2:3], v[20:21]
	v_mul_f64_e32 v[20:21], v[4:5], v[20:21]
	s_wait_loadcnt_dscnt 0x200
	v_mul_f64_e32 v[16:17], v[6:7], v[24:25]
	v_mul_f64_e32 v[24:25], v[8:9], v[24:25]
	v_add_f64_e32 v[10:11], v[12:13], v[10:11]
	v_add_f64_e32 v[12:13], v[34:35], v[44:45]
	v_fma_f64 v[34:35], v[4:5], v[18:19], v[36:37]
	v_fma_f64 v[18:19], v[2:3], v[18:19], -v[20:21]
	v_fma_f64 v[8:9], v[8:9], v[22:23], v[16:17]
	v_fma_f64 v[6:7], v[6:7], v[22:23], -v[24:25]
	v_add_f64_e32 v[14:15], v[10:11], v[14:15]
	v_add_f64_e32 v[20:21], v[12:13], v[40:41]
	ds_load_b128 v[2:5], v1 offset:1824
	ds_load_b128 v[10:13], v1 offset:1840
	s_wait_loadcnt_dscnt 0x101
	v_mul_f64_e32 v[36:37], v[2:3], v[28:29]
	v_mul_f64_e32 v[28:29], v[4:5], v[28:29]
	v_add_f64_e32 v[14:15], v[14:15], v[18:19]
	v_add_f64_e32 v[16:17], v[20:21], v[34:35]
	s_wait_loadcnt_dscnt 0x0
	v_mul_f64_e32 v[18:19], v[10:11], v[32:33]
	v_mul_f64_e32 v[20:21], v[12:13], v[32:33]
	v_fma_f64 v[4:5], v[4:5], v[26:27], v[36:37]
	v_fma_f64 v[1:2], v[2:3], v[26:27], -v[28:29]
	v_add_f64_e32 v[6:7], v[14:15], v[6:7]
	v_add_f64_e32 v[8:9], v[16:17], v[8:9]
	v_fma_f64 v[12:13], v[12:13], v[30:31], v[18:19]
	v_fma_f64 v[10:11], v[10:11], v[30:31], -v[20:21]
	s_delay_alu instid0(VALU_DEP_4) | instskip(NEXT) | instid1(VALU_DEP_4)
	v_add_f64_e32 v[1:2], v[6:7], v[1:2]
	v_add_f64_e32 v[3:4], v[8:9], v[4:5]
	s_delay_alu instid0(VALU_DEP_2) | instskip(NEXT) | instid1(VALU_DEP_2)
	v_add_f64_e32 v[1:2], v[1:2], v[10:11]
	v_add_f64_e32 v[3:4], v[3:4], v[12:13]
	s_delay_alu instid0(VALU_DEP_2) | instskip(NEXT) | instid1(VALU_DEP_2)
	v_add_f64_e64 v[1:2], v[163:164], -v[1:2]
	v_add_f64_e64 v[3:4], v[165:166], -v[3:4]
	scratch_store_b128 off, v[1:4], off offset:320
	v_cmpx_lt_u32_e32 18, v0
	s_cbranch_execz .LBB57_325
; %bb.324:
	scratch_load_b128 v[1:4], off, s47
	v_mov_b32_e32 v5, 0
	s_delay_alu instid0(VALU_DEP_1)
	v_dual_mov_b32 v6, v5 :: v_dual_mov_b32 v7, v5
	v_mov_b32_e32 v8, v5
	scratch_store_b128 off, v[5:8], off offset:304
	s_wait_loadcnt 0x0
	ds_store_b128 v162, v[1:4]
.LBB57_325:
	s_wait_alu 0xfffe
	s_or_b32 exec_lo, exec_lo, s0
	s_wait_storecnt_dscnt 0x0
	s_barrier_signal -1
	s_barrier_wait -1
	global_inv scope:SCOPE_SE
	s_clause 0x7
	scratch_load_b128 v[2:5], off, off offset:320
	scratch_load_b128 v[6:9], off, off offset:336
	;; [unrolled: 1-line block ×8, first 2 shown]
	v_mov_b32_e32 v1, 0
	s_mov_b32 s0, exec_lo
	ds_load_b128 v[38:41], v1 offset:1232
	s_clause 0x1
	scratch_load_b128 v[34:37], off, off offset:448
	scratch_load_b128 v[42:45], off, off offset:304
	ds_load_b128 v[163:166], v1 offset:1248
	scratch_load_b128 v[167:170], off, off offset:464
	s_wait_loadcnt_dscnt 0xa01
	v_mul_f64_e32 v[171:172], v[40:41], v[4:5]
	v_mul_f64_e32 v[4:5], v[38:39], v[4:5]
	s_delay_alu instid0(VALU_DEP_2) | instskip(NEXT) | instid1(VALU_DEP_2)
	v_fma_f64 v[177:178], v[38:39], v[2:3], -v[171:172]
	v_fma_f64 v[179:180], v[40:41], v[2:3], v[4:5]
	ds_load_b128 v[2:5], v1 offset:1264
	s_wait_loadcnt_dscnt 0x901
	v_mul_f64_e32 v[175:176], v[163:164], v[8:9]
	v_mul_f64_e32 v[8:9], v[165:166], v[8:9]
	scratch_load_b128 v[38:41], off, off offset:480
	ds_load_b128 v[171:174], v1 offset:1280
	s_wait_loadcnt_dscnt 0x901
	v_mul_f64_e32 v[181:182], v[2:3], v[12:13]
	v_mul_f64_e32 v[12:13], v[4:5], v[12:13]
	v_fma_f64 v[165:166], v[165:166], v[6:7], v[175:176]
	v_fma_f64 v[163:164], v[163:164], v[6:7], -v[8:9]
	v_add_f64_e32 v[175:176], 0, v[177:178]
	v_add_f64_e32 v[177:178], 0, v[179:180]
	scratch_load_b128 v[6:9], off, off offset:496
	v_fma_f64 v[181:182], v[4:5], v[10:11], v[181:182]
	v_fma_f64 v[183:184], v[2:3], v[10:11], -v[12:13]
	ds_load_b128 v[2:5], v1 offset:1296
	s_wait_loadcnt_dscnt 0x901
	v_mul_f64_e32 v[179:180], v[171:172], v[16:17]
	v_mul_f64_e32 v[16:17], v[173:174], v[16:17]
	scratch_load_b128 v[10:13], off, off offset:512
	v_add_f64_e32 v[175:176], v[175:176], v[163:164]
	v_add_f64_e32 v[177:178], v[177:178], v[165:166]
	s_wait_loadcnt_dscnt 0x900
	v_mul_f64_e32 v[185:186], v[2:3], v[20:21]
	v_mul_f64_e32 v[20:21], v[4:5], v[20:21]
	ds_load_b128 v[163:166], v1 offset:1312
	v_fma_f64 v[173:174], v[173:174], v[14:15], v[179:180]
	v_fma_f64 v[171:172], v[171:172], v[14:15], -v[16:17]
	scratch_load_b128 v[14:17], off, off offset:528
	v_add_f64_e32 v[175:176], v[175:176], v[183:184]
	v_add_f64_e32 v[177:178], v[177:178], v[181:182]
	v_fma_f64 v[181:182], v[4:5], v[18:19], v[185:186]
	v_fma_f64 v[183:184], v[2:3], v[18:19], -v[20:21]
	ds_load_b128 v[2:5], v1 offset:1328
	s_wait_loadcnt_dscnt 0x901
	v_mul_f64_e32 v[179:180], v[163:164], v[24:25]
	v_mul_f64_e32 v[24:25], v[165:166], v[24:25]
	scratch_load_b128 v[18:21], off, off offset:544
	s_wait_loadcnt_dscnt 0x900
	v_mul_f64_e32 v[185:186], v[2:3], v[28:29]
	v_mul_f64_e32 v[28:29], v[4:5], v[28:29]
	v_add_f64_e32 v[175:176], v[175:176], v[171:172]
	v_add_f64_e32 v[177:178], v[177:178], v[173:174]
	ds_load_b128 v[171:174], v1 offset:1344
	v_fma_f64 v[165:166], v[165:166], v[22:23], v[179:180]
	v_fma_f64 v[163:164], v[163:164], v[22:23], -v[24:25]
	scratch_load_b128 v[22:25], off, off offset:560
	v_add_f64_e32 v[175:176], v[175:176], v[183:184]
	v_add_f64_e32 v[177:178], v[177:178], v[181:182]
	v_fma_f64 v[181:182], v[4:5], v[26:27], v[185:186]
	v_fma_f64 v[183:184], v[2:3], v[26:27], -v[28:29]
	ds_load_b128 v[2:5], v1 offset:1360
	s_wait_loadcnt_dscnt 0x901
	v_mul_f64_e32 v[179:180], v[171:172], v[32:33]
	v_mul_f64_e32 v[32:33], v[173:174], v[32:33]
	scratch_load_b128 v[26:29], off, off offset:576
	s_wait_loadcnt_dscnt 0x900
	v_mul_f64_e32 v[185:186], v[2:3], v[36:37]
	v_mul_f64_e32 v[36:37], v[4:5], v[36:37]
	v_add_f64_e32 v[175:176], v[175:176], v[163:164]
	v_add_f64_e32 v[177:178], v[177:178], v[165:166]
	ds_load_b128 v[163:166], v1 offset:1376
	v_fma_f64 v[173:174], v[173:174], v[30:31], v[179:180]
	v_fma_f64 v[171:172], v[171:172], v[30:31], -v[32:33]
	scratch_load_b128 v[30:33], off, off offset:592
	v_add_f64_e32 v[175:176], v[175:176], v[183:184]
	v_add_f64_e32 v[177:178], v[177:178], v[181:182]
	v_fma_f64 v[183:184], v[4:5], v[34:35], v[185:186]
	v_fma_f64 v[185:186], v[2:3], v[34:35], -v[36:37]
	ds_load_b128 v[2:5], v1 offset:1392
	s_wait_loadcnt_dscnt 0x801
	v_mul_f64_e32 v[179:180], v[163:164], v[169:170]
	v_mul_f64_e32 v[181:182], v[165:166], v[169:170]
	scratch_load_b128 v[34:37], off, off offset:608
	v_add_f64_e32 v[175:176], v[175:176], v[171:172]
	v_add_f64_e32 v[173:174], v[177:178], v[173:174]
	ds_load_b128 v[169:172], v1 offset:1408
	v_fma_f64 v[179:180], v[165:166], v[167:168], v[179:180]
	v_fma_f64 v[167:168], v[163:164], v[167:168], -v[181:182]
	scratch_load_b128 v[163:166], off, off offset:624
	s_wait_loadcnt_dscnt 0x901
	v_mul_f64_e32 v[177:178], v[2:3], v[40:41]
	v_mul_f64_e32 v[40:41], v[4:5], v[40:41]
	v_add_f64_e32 v[175:176], v[175:176], v[185:186]
	v_add_f64_e32 v[173:174], v[173:174], v[183:184]
	s_delay_alu instid0(VALU_DEP_4) | instskip(NEXT) | instid1(VALU_DEP_4)
	v_fma_f64 v[177:178], v[4:5], v[38:39], v[177:178]
	v_fma_f64 v[183:184], v[2:3], v[38:39], -v[40:41]
	ds_load_b128 v[2:5], v1 offset:1424
	s_wait_loadcnt_dscnt 0x801
	v_mul_f64_e32 v[181:182], v[169:170], v[8:9]
	v_mul_f64_e32 v[8:9], v[171:172], v[8:9]
	scratch_load_b128 v[38:41], off, off offset:640
	s_wait_loadcnt_dscnt 0x800
	v_mul_f64_e32 v[185:186], v[2:3], v[12:13]
	v_add_f64_e32 v[167:168], v[175:176], v[167:168]
	v_add_f64_e32 v[179:180], v[173:174], v[179:180]
	v_mul_f64_e32 v[12:13], v[4:5], v[12:13]
	ds_load_b128 v[173:176], v1 offset:1440
	v_fma_f64 v[171:172], v[171:172], v[6:7], v[181:182]
	v_fma_f64 v[169:170], v[169:170], v[6:7], -v[8:9]
	scratch_load_b128 v[6:9], off, off offset:656
	v_fma_f64 v[181:182], v[4:5], v[10:11], v[185:186]
	v_add_f64_e32 v[167:168], v[167:168], v[183:184]
	v_add_f64_e32 v[177:178], v[179:180], v[177:178]
	v_fma_f64 v[183:184], v[2:3], v[10:11], -v[12:13]
	ds_load_b128 v[2:5], v1 offset:1456
	s_wait_loadcnt_dscnt 0x801
	v_mul_f64_e32 v[179:180], v[173:174], v[16:17]
	v_mul_f64_e32 v[16:17], v[175:176], v[16:17]
	scratch_load_b128 v[10:13], off, off offset:672
	v_add_f64_e32 v[185:186], v[167:168], v[169:170]
	v_add_f64_e32 v[171:172], v[177:178], v[171:172]
	s_wait_loadcnt_dscnt 0x800
	v_mul_f64_e32 v[177:178], v[2:3], v[20:21]
	v_mul_f64_e32 v[20:21], v[4:5], v[20:21]
	v_fma_f64 v[175:176], v[175:176], v[14:15], v[179:180]
	v_fma_f64 v[173:174], v[173:174], v[14:15], -v[16:17]
	ds_load_b128 v[167:170], v1 offset:1472
	scratch_load_b128 v[14:17], off, off offset:688
	v_add_f64_e32 v[179:180], v[185:186], v[183:184]
	v_add_f64_e32 v[171:172], v[171:172], v[181:182]
	v_fma_f64 v[177:178], v[4:5], v[18:19], v[177:178]
	v_fma_f64 v[183:184], v[2:3], v[18:19], -v[20:21]
	ds_load_b128 v[2:5], v1 offset:1488
	s_wait_loadcnt_dscnt 0x801
	v_mul_f64_e32 v[181:182], v[167:168], v[24:25]
	v_mul_f64_e32 v[24:25], v[169:170], v[24:25]
	scratch_load_b128 v[18:21], off, off offset:704
	s_wait_loadcnt_dscnt 0x800
	v_mul_f64_e32 v[185:186], v[2:3], v[28:29]
	v_mul_f64_e32 v[28:29], v[4:5], v[28:29]
	v_add_f64_e32 v[179:180], v[179:180], v[173:174]
	v_add_f64_e32 v[175:176], v[171:172], v[175:176]
	ds_load_b128 v[171:174], v1 offset:1504
	v_fma_f64 v[169:170], v[169:170], v[22:23], v[181:182]
	v_fma_f64 v[167:168], v[167:168], v[22:23], -v[24:25]
	scratch_load_b128 v[22:25], off, off offset:720
	v_fma_f64 v[181:182], v[4:5], v[26:27], v[185:186]
	v_add_f64_e32 v[179:180], v[179:180], v[183:184]
	v_add_f64_e32 v[175:176], v[175:176], v[177:178]
	v_fma_f64 v[183:184], v[2:3], v[26:27], -v[28:29]
	ds_load_b128 v[2:5], v1 offset:1520
	s_wait_loadcnt_dscnt 0x801
	v_mul_f64_e32 v[177:178], v[171:172], v[32:33]
	v_mul_f64_e32 v[32:33], v[173:174], v[32:33]
	scratch_load_b128 v[26:29], off, off offset:736
	s_wait_loadcnt_dscnt 0x800
	v_mul_f64_e32 v[185:186], v[2:3], v[36:37]
	v_mul_f64_e32 v[36:37], v[4:5], v[36:37]
	v_add_f64_e32 v[179:180], v[179:180], v[167:168]
	v_add_f64_e32 v[175:176], v[175:176], v[169:170]
	ds_load_b128 v[167:170], v1 offset:1536
	v_fma_f64 v[173:174], v[173:174], v[30:31], v[177:178]
	v_fma_f64 v[171:172], v[171:172], v[30:31], -v[32:33]
	scratch_load_b128 v[30:33], off, off offset:752
	v_add_f64_e32 v[177:178], v[179:180], v[183:184]
	v_add_f64_e32 v[175:176], v[175:176], v[181:182]
	v_fma_f64 v[181:182], v[4:5], v[34:35], v[185:186]
	v_fma_f64 v[183:184], v[2:3], v[34:35], -v[36:37]
	ds_load_b128 v[2:5], v1 offset:1552
	s_wait_loadcnt_dscnt 0x801
	v_mul_f64_e32 v[179:180], v[167:168], v[165:166]
	v_mul_f64_e32 v[165:166], v[169:170], v[165:166]
	scratch_load_b128 v[34:37], off, off offset:768
	s_wait_loadcnt_dscnt 0x800
	v_mul_f64_e32 v[185:186], v[2:3], v[40:41]
	v_mul_f64_e32 v[40:41], v[4:5], v[40:41]
	v_add_f64_e32 v[177:178], v[177:178], v[171:172]
	v_add_f64_e32 v[175:176], v[175:176], v[173:174]
	ds_load_b128 v[171:174], v1 offset:1568
	v_fma_f64 v[169:170], v[169:170], v[163:164], v[179:180]
	v_fma_f64 v[167:168], v[167:168], v[163:164], -v[165:166]
	scratch_load_b128 v[163:166], off, off offset:784
	v_add_f64_e32 v[177:178], v[177:178], v[183:184]
	v_add_f64_e32 v[175:176], v[175:176], v[181:182]
	v_fma_f64 v[181:182], v[4:5], v[38:39], v[185:186]
	;; [unrolled: 18-line block ×6, first 2 shown]
	v_fma_f64 v[185:186], v[2:3], v[34:35], -v[36:37]
	ds_load_b128 v[2:5], v1 offset:1712
	s_wait_loadcnt_dscnt 0x801
	v_mul_f64_e32 v[179:180], v[171:172], v[165:166]
	v_mul_f64_e32 v[181:182], v[173:174], v[165:166]
	scratch_load_b128 v[34:37], off, off offset:928
	v_add_f64_e32 v[177:178], v[177:178], v[167:168]
	v_add_f64_e32 v[169:170], v[175:176], v[169:170]
	s_wait_loadcnt_dscnt 0x800
	v_mul_f64_e32 v[175:176], v[2:3], v[40:41]
	v_mul_f64_e32 v[40:41], v[4:5], v[40:41]
	ds_load_b128 v[165:168], v1 offset:1728
	v_fma_f64 v[173:174], v[173:174], v[163:164], v[179:180]
	v_fma_f64 v[163:164], v[171:172], v[163:164], -v[181:182]
	v_add_f64_e32 v[171:172], v[177:178], v[185:186]
	v_add_f64_e32 v[169:170], v[169:170], v[183:184]
	s_wait_loadcnt_dscnt 0x700
	v_mul_f64_e32 v[177:178], v[165:166], v[8:9]
	v_mul_f64_e32 v[8:9], v[167:168], v[8:9]
	v_fma_f64 v[175:176], v[4:5], v[38:39], v[175:176]
	v_fma_f64 v[179:180], v[2:3], v[38:39], -v[40:41]
	ds_load_b128 v[2:5], v1 offset:1744
	ds_load_b128 v[38:41], v1 offset:1760
	v_add_f64_e32 v[163:164], v[171:172], v[163:164]
	v_add_f64_e32 v[169:170], v[169:170], v[173:174]
	s_wait_loadcnt_dscnt 0x601
	v_mul_f64_e32 v[171:172], v[2:3], v[12:13]
	v_mul_f64_e32 v[12:13], v[4:5], v[12:13]
	v_fma_f64 v[167:168], v[167:168], v[6:7], v[177:178]
	v_fma_f64 v[6:7], v[165:166], v[6:7], -v[8:9]
	s_wait_loadcnt_dscnt 0x500
	v_mul_f64_e32 v[165:166], v[38:39], v[16:17]
	v_mul_f64_e32 v[16:17], v[40:41], v[16:17]
	v_add_f64_e32 v[8:9], v[163:164], v[179:180]
	v_add_f64_e32 v[163:164], v[169:170], v[175:176]
	v_fma_f64 v[169:170], v[4:5], v[10:11], v[171:172]
	v_fma_f64 v[10:11], v[2:3], v[10:11], -v[12:13]
	v_fma_f64 v[40:41], v[40:41], v[14:15], v[165:166]
	v_fma_f64 v[14:15], v[38:39], v[14:15], -v[16:17]
	v_add_f64_e32 v[12:13], v[8:9], v[6:7]
	v_add_f64_e32 v[163:164], v[163:164], v[167:168]
	ds_load_b128 v[2:5], v1 offset:1776
	ds_load_b128 v[6:9], v1 offset:1792
	s_wait_loadcnt_dscnt 0x401
	v_mul_f64_e32 v[167:168], v[2:3], v[20:21]
	v_mul_f64_e32 v[20:21], v[4:5], v[20:21]
	s_wait_loadcnt_dscnt 0x300
	v_mul_f64_e32 v[16:17], v[6:7], v[24:25]
	v_mul_f64_e32 v[24:25], v[8:9], v[24:25]
	v_add_f64_e32 v[10:11], v[12:13], v[10:11]
	v_add_f64_e32 v[12:13], v[163:164], v[169:170]
	v_fma_f64 v[38:39], v[4:5], v[18:19], v[167:168]
	v_fma_f64 v[18:19], v[2:3], v[18:19], -v[20:21]
	v_fma_f64 v[8:9], v[8:9], v[22:23], v[16:17]
	v_fma_f64 v[6:7], v[6:7], v[22:23], -v[24:25]
	v_add_f64_e32 v[14:15], v[10:11], v[14:15]
	v_add_f64_e32 v[20:21], v[12:13], v[40:41]
	ds_load_b128 v[2:5], v1 offset:1808
	ds_load_b128 v[10:13], v1 offset:1824
	s_wait_loadcnt_dscnt 0x201
	v_mul_f64_e32 v[40:41], v[2:3], v[28:29]
	v_mul_f64_e32 v[28:29], v[4:5], v[28:29]
	v_add_f64_e32 v[14:15], v[14:15], v[18:19]
	v_add_f64_e32 v[16:17], v[20:21], v[38:39]
	s_wait_loadcnt_dscnt 0x100
	v_mul_f64_e32 v[18:19], v[10:11], v[32:33]
	v_mul_f64_e32 v[20:21], v[12:13], v[32:33]
	v_fma_f64 v[22:23], v[4:5], v[26:27], v[40:41]
	v_fma_f64 v[24:25], v[2:3], v[26:27], -v[28:29]
	ds_load_b128 v[2:5], v1 offset:1840
	v_add_f64_e32 v[6:7], v[14:15], v[6:7]
	v_add_f64_e32 v[8:9], v[16:17], v[8:9]
	v_fma_f64 v[12:13], v[12:13], v[30:31], v[18:19]
	v_fma_f64 v[10:11], v[10:11], v[30:31], -v[20:21]
	s_wait_loadcnt_dscnt 0x0
	v_mul_f64_e32 v[14:15], v[2:3], v[36:37]
	v_mul_f64_e32 v[16:17], v[4:5], v[36:37]
	v_add_f64_e32 v[6:7], v[6:7], v[24:25]
	v_add_f64_e32 v[8:9], v[8:9], v[22:23]
	s_delay_alu instid0(VALU_DEP_4) | instskip(NEXT) | instid1(VALU_DEP_4)
	v_fma_f64 v[4:5], v[4:5], v[34:35], v[14:15]
	v_fma_f64 v[2:3], v[2:3], v[34:35], -v[16:17]
	s_delay_alu instid0(VALU_DEP_4) | instskip(NEXT) | instid1(VALU_DEP_4)
	v_add_f64_e32 v[6:7], v[6:7], v[10:11]
	v_add_f64_e32 v[8:9], v[8:9], v[12:13]
	s_delay_alu instid0(VALU_DEP_2) | instskip(NEXT) | instid1(VALU_DEP_2)
	v_add_f64_e32 v[2:3], v[6:7], v[2:3]
	v_add_f64_e32 v[4:5], v[8:9], v[4:5]
	s_delay_alu instid0(VALU_DEP_2) | instskip(NEXT) | instid1(VALU_DEP_2)
	v_add_f64_e64 v[2:3], v[42:43], -v[2:3]
	v_add_f64_e64 v[4:5], v[44:45], -v[4:5]
	scratch_store_b128 off, v[2:5], off offset:304
	v_cmpx_lt_u32_e32 17, v0
	s_cbranch_execz .LBB57_327
; %bb.326:
	scratch_load_b128 v[5:8], off, s49
	v_dual_mov_b32 v2, v1 :: v_dual_mov_b32 v3, v1
	v_mov_b32_e32 v4, v1
	scratch_store_b128 off, v[1:4], off offset:288
	s_wait_loadcnt 0x0
	ds_store_b128 v162, v[5:8]
.LBB57_327:
	s_wait_alu 0xfffe
	s_or_b32 exec_lo, exec_lo, s0
	s_wait_storecnt_dscnt 0x0
	s_barrier_signal -1
	s_barrier_wait -1
	global_inv scope:SCOPE_SE
	s_clause 0x8
	scratch_load_b128 v[2:5], off, off offset:304
	scratch_load_b128 v[6:9], off, off offset:320
	;; [unrolled: 1-line block ×9, first 2 shown]
	ds_load_b128 v[42:45], v1 offset:1216
	ds_load_b128 v[38:41], v1 offset:1232
	s_clause 0x1
	scratch_load_b128 v[163:166], off, off offset:288
	scratch_load_b128 v[167:170], off, off offset:448
	s_mov_b32 s0, exec_lo
	s_wait_loadcnt_dscnt 0xa01
	v_mul_f64_e32 v[171:172], v[44:45], v[4:5]
	v_mul_f64_e32 v[4:5], v[42:43], v[4:5]
	s_wait_loadcnt_dscnt 0x900
	v_mul_f64_e32 v[175:176], v[38:39], v[8:9]
	v_mul_f64_e32 v[8:9], v[40:41], v[8:9]
	s_delay_alu instid0(VALU_DEP_4) | instskip(NEXT) | instid1(VALU_DEP_4)
	v_fma_f64 v[177:178], v[42:43], v[2:3], -v[171:172]
	v_fma_f64 v[179:180], v[44:45], v[2:3], v[4:5]
	ds_load_b128 v[2:5], v1 offset:1248
	ds_load_b128 v[171:174], v1 offset:1264
	scratch_load_b128 v[42:45], off, off offset:464
	v_fma_f64 v[40:41], v[40:41], v[6:7], v[175:176]
	v_fma_f64 v[38:39], v[38:39], v[6:7], -v[8:9]
	scratch_load_b128 v[6:9], off, off offset:480
	s_wait_loadcnt_dscnt 0xa01
	v_mul_f64_e32 v[181:182], v[2:3], v[12:13]
	v_mul_f64_e32 v[12:13], v[4:5], v[12:13]
	v_add_f64_e32 v[175:176], 0, v[177:178]
	v_add_f64_e32 v[177:178], 0, v[179:180]
	s_wait_loadcnt_dscnt 0x900
	v_mul_f64_e32 v[179:180], v[171:172], v[16:17]
	v_mul_f64_e32 v[16:17], v[173:174], v[16:17]
	v_fma_f64 v[181:182], v[4:5], v[10:11], v[181:182]
	v_fma_f64 v[183:184], v[2:3], v[10:11], -v[12:13]
	ds_load_b128 v[2:5], v1 offset:1280
	scratch_load_b128 v[10:13], off, off offset:496
	v_add_f64_e32 v[175:176], v[175:176], v[38:39]
	v_add_f64_e32 v[177:178], v[177:178], v[40:41]
	ds_load_b128 v[38:41], v1 offset:1296
	v_fma_f64 v[173:174], v[173:174], v[14:15], v[179:180]
	v_fma_f64 v[171:172], v[171:172], v[14:15], -v[16:17]
	scratch_load_b128 v[14:17], off, off offset:512
	s_wait_loadcnt_dscnt 0xa01
	v_mul_f64_e32 v[185:186], v[2:3], v[20:21]
	v_mul_f64_e32 v[20:21], v[4:5], v[20:21]
	s_wait_loadcnt_dscnt 0x900
	v_mul_f64_e32 v[179:180], v[38:39], v[24:25]
	v_mul_f64_e32 v[24:25], v[40:41], v[24:25]
	v_add_f64_e32 v[175:176], v[175:176], v[183:184]
	v_add_f64_e32 v[177:178], v[177:178], v[181:182]
	v_fma_f64 v[181:182], v[4:5], v[18:19], v[185:186]
	v_fma_f64 v[183:184], v[2:3], v[18:19], -v[20:21]
	ds_load_b128 v[2:5], v1 offset:1312
	scratch_load_b128 v[18:21], off, off offset:528
	v_fma_f64 v[40:41], v[40:41], v[22:23], v[179:180]
	v_fma_f64 v[38:39], v[38:39], v[22:23], -v[24:25]
	scratch_load_b128 v[22:25], off, off offset:544
	v_add_f64_e32 v[175:176], v[175:176], v[171:172]
	v_add_f64_e32 v[177:178], v[177:178], v[173:174]
	ds_load_b128 v[171:174], v1 offset:1328
	s_wait_loadcnt_dscnt 0xa01
	v_mul_f64_e32 v[185:186], v[2:3], v[28:29]
	v_mul_f64_e32 v[28:29], v[4:5], v[28:29]
	s_wait_loadcnt_dscnt 0x900
	v_mul_f64_e32 v[179:180], v[171:172], v[32:33]
	v_mul_f64_e32 v[32:33], v[173:174], v[32:33]
	v_add_f64_e32 v[175:176], v[175:176], v[183:184]
	v_add_f64_e32 v[177:178], v[177:178], v[181:182]
	v_fma_f64 v[181:182], v[4:5], v[26:27], v[185:186]
	v_fma_f64 v[183:184], v[2:3], v[26:27], -v[28:29]
	ds_load_b128 v[2:5], v1 offset:1344
	scratch_load_b128 v[26:29], off, off offset:560
	v_fma_f64 v[173:174], v[173:174], v[30:31], v[179:180]
	v_fma_f64 v[171:172], v[171:172], v[30:31], -v[32:33]
	scratch_load_b128 v[30:33], off, off offset:576
	v_add_f64_e32 v[175:176], v[175:176], v[38:39]
	v_add_f64_e32 v[177:178], v[177:178], v[40:41]
	ds_load_b128 v[38:41], v1 offset:1360
	s_wait_loadcnt_dscnt 0xa01
	v_mul_f64_e32 v[185:186], v[2:3], v[36:37]
	v_mul_f64_e32 v[36:37], v[4:5], v[36:37]
	s_wait_loadcnt_dscnt 0x800
	v_mul_f64_e32 v[179:180], v[38:39], v[169:170]
	v_add_f64_e32 v[175:176], v[175:176], v[183:184]
	v_add_f64_e32 v[177:178], v[177:178], v[181:182]
	v_mul_f64_e32 v[181:182], v[40:41], v[169:170]
	v_fma_f64 v[183:184], v[4:5], v[34:35], v[185:186]
	v_fma_f64 v[185:186], v[2:3], v[34:35], -v[36:37]
	ds_load_b128 v[2:5], v1 offset:1376
	scratch_load_b128 v[34:37], off, off offset:592
	v_fma_f64 v[179:180], v[40:41], v[167:168], v[179:180]
	v_add_f64_e32 v[175:176], v[175:176], v[171:172]
	v_add_f64_e32 v[173:174], v[177:178], v[173:174]
	ds_load_b128 v[169:172], v1 offset:1392
	v_fma_f64 v[167:168], v[38:39], v[167:168], -v[181:182]
	scratch_load_b128 v[38:41], off, off offset:608
	s_wait_loadcnt_dscnt 0x901
	v_mul_f64_e32 v[177:178], v[2:3], v[44:45]
	v_mul_f64_e32 v[44:45], v[4:5], v[44:45]
	s_wait_loadcnt_dscnt 0x800
	v_mul_f64_e32 v[181:182], v[169:170], v[8:9]
	v_mul_f64_e32 v[8:9], v[171:172], v[8:9]
	v_add_f64_e32 v[175:176], v[175:176], v[185:186]
	v_add_f64_e32 v[173:174], v[173:174], v[183:184]
	v_fma_f64 v[177:178], v[4:5], v[42:43], v[177:178]
	v_fma_f64 v[183:184], v[2:3], v[42:43], -v[44:45]
	ds_load_b128 v[2:5], v1 offset:1408
	scratch_load_b128 v[42:45], off, off offset:624
	v_fma_f64 v[171:172], v[171:172], v[6:7], v[181:182]
	v_fma_f64 v[169:170], v[169:170], v[6:7], -v[8:9]
	scratch_load_b128 v[6:9], off, off offset:640
	v_add_f64_e32 v[167:168], v[175:176], v[167:168]
	v_add_f64_e32 v[179:180], v[173:174], v[179:180]
	ds_load_b128 v[173:176], v1 offset:1424
	s_wait_loadcnt_dscnt 0x901
	v_mul_f64_e32 v[185:186], v[2:3], v[12:13]
	v_mul_f64_e32 v[12:13], v[4:5], v[12:13]
	v_add_f64_e32 v[167:168], v[167:168], v[183:184]
	v_add_f64_e32 v[177:178], v[179:180], v[177:178]
	s_wait_loadcnt_dscnt 0x800
	v_mul_f64_e32 v[179:180], v[173:174], v[16:17]
	v_mul_f64_e32 v[16:17], v[175:176], v[16:17]
	v_fma_f64 v[181:182], v[4:5], v[10:11], v[185:186]
	v_fma_f64 v[183:184], v[2:3], v[10:11], -v[12:13]
	ds_load_b128 v[2:5], v1 offset:1440
	scratch_load_b128 v[10:13], off, off offset:656
	v_add_f64_e32 v[185:186], v[167:168], v[169:170]
	v_add_f64_e32 v[171:172], v[177:178], v[171:172]
	ds_load_b128 v[167:170], v1 offset:1456
	s_wait_loadcnt_dscnt 0x801
	v_mul_f64_e32 v[177:178], v[2:3], v[20:21]
	v_mul_f64_e32 v[20:21], v[4:5], v[20:21]
	v_fma_f64 v[175:176], v[175:176], v[14:15], v[179:180]
	v_fma_f64 v[173:174], v[173:174], v[14:15], -v[16:17]
	scratch_load_b128 v[14:17], off, off offset:672
	v_add_f64_e32 v[179:180], v[185:186], v[183:184]
	v_add_f64_e32 v[171:172], v[171:172], v[181:182]
	s_wait_loadcnt_dscnt 0x800
	v_mul_f64_e32 v[181:182], v[167:168], v[24:25]
	v_mul_f64_e32 v[24:25], v[169:170], v[24:25]
	v_fma_f64 v[177:178], v[4:5], v[18:19], v[177:178]
	v_fma_f64 v[183:184], v[2:3], v[18:19], -v[20:21]
	ds_load_b128 v[2:5], v1 offset:1472
	scratch_load_b128 v[18:21], off, off offset:688
	v_add_f64_e32 v[179:180], v[179:180], v[173:174]
	v_add_f64_e32 v[175:176], v[171:172], v[175:176]
	ds_load_b128 v[171:174], v1 offset:1488
	s_wait_loadcnt_dscnt 0x801
	v_mul_f64_e32 v[185:186], v[2:3], v[28:29]
	v_mul_f64_e32 v[28:29], v[4:5], v[28:29]
	v_fma_f64 v[169:170], v[169:170], v[22:23], v[181:182]
	v_fma_f64 v[167:168], v[167:168], v[22:23], -v[24:25]
	scratch_load_b128 v[22:25], off, off offset:704
	;; [unrolled: 18-line block ×4, first 2 shown]
	s_wait_loadcnt_dscnt 0x800
	v_mul_f64_e32 v[179:180], v[171:172], v[8:9]
	v_mul_f64_e32 v[8:9], v[173:174], v[8:9]
	v_add_f64_e32 v[177:178], v[177:178], v[183:184]
	v_add_f64_e32 v[175:176], v[175:176], v[181:182]
	v_fma_f64 v[181:182], v[4:5], v[42:43], v[185:186]
	v_fma_f64 v[183:184], v[2:3], v[42:43], -v[44:45]
	ds_load_b128 v[2:5], v1 offset:1568
	scratch_load_b128 v[42:45], off, off offset:784
	v_fma_f64 v[173:174], v[173:174], v[6:7], v[179:180]
	v_fma_f64 v[171:172], v[171:172], v[6:7], -v[8:9]
	scratch_load_b128 v[6:9], off, off offset:800
	v_add_f64_e32 v[177:178], v[177:178], v[167:168]
	v_add_f64_e32 v[175:176], v[175:176], v[169:170]
	ds_load_b128 v[167:170], v1 offset:1584
	s_wait_loadcnt_dscnt 0x901
	v_mul_f64_e32 v[185:186], v[2:3], v[12:13]
	v_mul_f64_e32 v[12:13], v[4:5], v[12:13]
	s_wait_loadcnt_dscnt 0x800
	v_mul_f64_e32 v[179:180], v[167:168], v[16:17]
	v_mul_f64_e32 v[16:17], v[169:170], v[16:17]
	v_add_f64_e32 v[177:178], v[177:178], v[183:184]
	v_add_f64_e32 v[175:176], v[175:176], v[181:182]
	v_fma_f64 v[181:182], v[4:5], v[10:11], v[185:186]
	v_fma_f64 v[183:184], v[2:3], v[10:11], -v[12:13]
	ds_load_b128 v[2:5], v1 offset:1600
	scratch_load_b128 v[10:13], off, off offset:816
	v_fma_f64 v[169:170], v[169:170], v[14:15], v[179:180]
	v_fma_f64 v[167:168], v[167:168], v[14:15], -v[16:17]
	scratch_load_b128 v[14:17], off, off offset:832
	v_add_f64_e32 v[177:178], v[177:178], v[171:172]
	v_add_f64_e32 v[175:176], v[175:176], v[173:174]
	ds_load_b128 v[171:174], v1 offset:1616
	s_wait_loadcnt_dscnt 0x901
	v_mul_f64_e32 v[185:186], v[2:3], v[20:21]
	v_mul_f64_e32 v[20:21], v[4:5], v[20:21]
	;; [unrolled: 18-line block ×5, first 2 shown]
	s_wait_loadcnt_dscnt 0x800
	v_mul_f64_e32 v[179:180], v[167:168], v[8:9]
	v_mul_f64_e32 v[8:9], v[169:170], v[8:9]
	v_add_f64_e32 v[177:178], v[177:178], v[183:184]
	v_add_f64_e32 v[175:176], v[175:176], v[181:182]
	v_fma_f64 v[181:182], v[4:5], v[42:43], v[185:186]
	v_fma_f64 v[183:184], v[2:3], v[42:43], -v[44:45]
	ds_load_b128 v[2:5], v1 offset:1728
	ds_load_b128 v[42:45], v1 offset:1744
	v_fma_f64 v[169:170], v[169:170], v[6:7], v[179:180]
	v_fma_f64 v[6:7], v[167:168], v[6:7], -v[8:9]
	v_add_f64_e32 v[171:172], v[177:178], v[171:172]
	v_add_f64_e32 v[173:174], v[175:176], v[173:174]
	s_wait_loadcnt_dscnt 0x701
	v_mul_f64_e32 v[175:176], v[2:3], v[12:13]
	v_mul_f64_e32 v[12:13], v[4:5], v[12:13]
	s_delay_alu instid0(VALU_DEP_4) | instskip(NEXT) | instid1(VALU_DEP_4)
	v_add_f64_e32 v[8:9], v[171:172], v[183:184]
	v_add_f64_e32 v[167:168], v[173:174], v[181:182]
	s_wait_loadcnt_dscnt 0x600
	v_mul_f64_e32 v[171:172], v[42:43], v[16:17]
	v_mul_f64_e32 v[16:17], v[44:45], v[16:17]
	v_fma_f64 v[173:174], v[4:5], v[10:11], v[175:176]
	v_fma_f64 v[10:11], v[2:3], v[10:11], -v[12:13]
	v_add_f64_e32 v[12:13], v[8:9], v[6:7]
	v_add_f64_e32 v[167:168], v[167:168], v[169:170]
	ds_load_b128 v[2:5], v1 offset:1760
	ds_load_b128 v[6:9], v1 offset:1776
	v_fma_f64 v[44:45], v[44:45], v[14:15], v[171:172]
	v_fma_f64 v[14:15], v[42:43], v[14:15], -v[16:17]
	s_wait_loadcnt_dscnt 0x501
	v_mul_f64_e32 v[169:170], v[2:3], v[20:21]
	v_mul_f64_e32 v[20:21], v[4:5], v[20:21]
	s_wait_loadcnt_dscnt 0x400
	v_mul_f64_e32 v[16:17], v[6:7], v[24:25]
	v_mul_f64_e32 v[24:25], v[8:9], v[24:25]
	v_add_f64_e32 v[10:11], v[12:13], v[10:11]
	v_add_f64_e32 v[12:13], v[167:168], v[173:174]
	v_fma_f64 v[42:43], v[4:5], v[18:19], v[169:170]
	v_fma_f64 v[18:19], v[2:3], v[18:19], -v[20:21]
	v_fma_f64 v[8:9], v[8:9], v[22:23], v[16:17]
	v_fma_f64 v[6:7], v[6:7], v[22:23], -v[24:25]
	v_add_f64_e32 v[14:15], v[10:11], v[14:15]
	v_add_f64_e32 v[20:21], v[12:13], v[44:45]
	ds_load_b128 v[2:5], v1 offset:1792
	ds_load_b128 v[10:13], v1 offset:1808
	s_wait_loadcnt_dscnt 0x301
	v_mul_f64_e32 v[44:45], v[2:3], v[28:29]
	v_mul_f64_e32 v[28:29], v[4:5], v[28:29]
	v_add_f64_e32 v[14:15], v[14:15], v[18:19]
	v_add_f64_e32 v[16:17], v[20:21], v[42:43]
	s_wait_loadcnt_dscnt 0x200
	v_mul_f64_e32 v[18:19], v[10:11], v[32:33]
	v_mul_f64_e32 v[20:21], v[12:13], v[32:33]
	v_fma_f64 v[22:23], v[4:5], v[26:27], v[44:45]
	v_fma_f64 v[24:25], v[2:3], v[26:27], -v[28:29]
	v_add_f64_e32 v[14:15], v[14:15], v[6:7]
	v_add_f64_e32 v[16:17], v[16:17], v[8:9]
	ds_load_b128 v[2:5], v1 offset:1824
	ds_load_b128 v[6:9], v1 offset:1840
	v_fma_f64 v[12:13], v[12:13], v[30:31], v[18:19]
	v_fma_f64 v[10:11], v[10:11], v[30:31], -v[20:21]
	s_wait_loadcnt_dscnt 0x101
	v_mul_f64_e32 v[26:27], v[2:3], v[36:37]
	v_mul_f64_e32 v[28:29], v[4:5], v[36:37]
	s_wait_loadcnt_dscnt 0x0
	v_mul_f64_e32 v[18:19], v[6:7], v[40:41]
	v_mul_f64_e32 v[20:21], v[8:9], v[40:41]
	v_add_f64_e32 v[14:15], v[14:15], v[24:25]
	v_add_f64_e32 v[16:17], v[16:17], v[22:23]
	v_fma_f64 v[4:5], v[4:5], v[34:35], v[26:27]
	v_fma_f64 v[1:2], v[2:3], v[34:35], -v[28:29]
	v_fma_f64 v[8:9], v[8:9], v[38:39], v[18:19]
	v_fma_f64 v[6:7], v[6:7], v[38:39], -v[20:21]
	v_add_f64_e32 v[10:11], v[14:15], v[10:11]
	v_add_f64_e32 v[12:13], v[16:17], v[12:13]
	s_delay_alu instid0(VALU_DEP_2) | instskip(NEXT) | instid1(VALU_DEP_2)
	v_add_f64_e32 v[1:2], v[10:11], v[1:2]
	v_add_f64_e32 v[3:4], v[12:13], v[4:5]
	s_delay_alu instid0(VALU_DEP_2) | instskip(NEXT) | instid1(VALU_DEP_2)
	;; [unrolled: 3-line block ×3, first 2 shown]
	v_add_f64_e64 v[1:2], v[163:164], -v[1:2]
	v_add_f64_e64 v[3:4], v[165:166], -v[3:4]
	scratch_store_b128 off, v[1:4], off offset:288
	v_cmpx_lt_u32_e32 16, v0
	s_cbranch_execz .LBB57_329
; %bb.328:
	scratch_load_b128 v[1:4], off, s55
	v_mov_b32_e32 v5, 0
	s_delay_alu instid0(VALU_DEP_1)
	v_dual_mov_b32 v6, v5 :: v_dual_mov_b32 v7, v5
	v_mov_b32_e32 v8, v5
	scratch_store_b128 off, v[5:8], off offset:272
	s_wait_loadcnt 0x0
	ds_store_b128 v162, v[1:4]
.LBB57_329:
	s_wait_alu 0xfffe
	s_or_b32 exec_lo, exec_lo, s0
	s_wait_storecnt_dscnt 0x0
	s_barrier_signal -1
	s_barrier_wait -1
	global_inv scope:SCOPE_SE
	s_clause 0x7
	scratch_load_b128 v[2:5], off, off offset:288
	scratch_load_b128 v[6:9], off, off offset:304
	;; [unrolled: 1-line block ×8, first 2 shown]
	v_mov_b32_e32 v1, 0
	s_mov_b32 s0, exec_lo
	ds_load_b128 v[38:41], v1 offset:1200
	s_clause 0x1
	scratch_load_b128 v[34:37], off, off offset:416
	scratch_load_b128 v[42:45], off, off offset:272
	ds_load_b128 v[163:166], v1 offset:1216
	scratch_load_b128 v[167:170], off, off offset:432
	s_wait_loadcnt_dscnt 0xa01
	v_mul_f64_e32 v[171:172], v[40:41], v[4:5]
	v_mul_f64_e32 v[4:5], v[38:39], v[4:5]
	s_delay_alu instid0(VALU_DEP_2) | instskip(NEXT) | instid1(VALU_DEP_2)
	v_fma_f64 v[177:178], v[38:39], v[2:3], -v[171:172]
	v_fma_f64 v[179:180], v[40:41], v[2:3], v[4:5]
	ds_load_b128 v[2:5], v1 offset:1232
	s_wait_loadcnt_dscnt 0x901
	v_mul_f64_e32 v[175:176], v[163:164], v[8:9]
	v_mul_f64_e32 v[8:9], v[165:166], v[8:9]
	scratch_load_b128 v[38:41], off, off offset:448
	ds_load_b128 v[171:174], v1 offset:1248
	s_wait_loadcnt_dscnt 0x901
	v_mul_f64_e32 v[181:182], v[2:3], v[12:13]
	v_mul_f64_e32 v[12:13], v[4:5], v[12:13]
	v_fma_f64 v[165:166], v[165:166], v[6:7], v[175:176]
	v_fma_f64 v[163:164], v[163:164], v[6:7], -v[8:9]
	v_add_f64_e32 v[175:176], 0, v[177:178]
	v_add_f64_e32 v[177:178], 0, v[179:180]
	scratch_load_b128 v[6:9], off, off offset:464
	v_fma_f64 v[181:182], v[4:5], v[10:11], v[181:182]
	v_fma_f64 v[183:184], v[2:3], v[10:11], -v[12:13]
	ds_load_b128 v[2:5], v1 offset:1264
	s_wait_loadcnt_dscnt 0x901
	v_mul_f64_e32 v[179:180], v[171:172], v[16:17]
	v_mul_f64_e32 v[16:17], v[173:174], v[16:17]
	scratch_load_b128 v[10:13], off, off offset:480
	v_add_f64_e32 v[175:176], v[175:176], v[163:164]
	v_add_f64_e32 v[177:178], v[177:178], v[165:166]
	s_wait_loadcnt_dscnt 0x900
	v_mul_f64_e32 v[185:186], v[2:3], v[20:21]
	v_mul_f64_e32 v[20:21], v[4:5], v[20:21]
	ds_load_b128 v[163:166], v1 offset:1280
	v_fma_f64 v[173:174], v[173:174], v[14:15], v[179:180]
	v_fma_f64 v[171:172], v[171:172], v[14:15], -v[16:17]
	scratch_load_b128 v[14:17], off, off offset:496
	v_add_f64_e32 v[175:176], v[175:176], v[183:184]
	v_add_f64_e32 v[177:178], v[177:178], v[181:182]
	v_fma_f64 v[181:182], v[4:5], v[18:19], v[185:186]
	v_fma_f64 v[183:184], v[2:3], v[18:19], -v[20:21]
	ds_load_b128 v[2:5], v1 offset:1296
	s_wait_loadcnt_dscnt 0x901
	v_mul_f64_e32 v[179:180], v[163:164], v[24:25]
	v_mul_f64_e32 v[24:25], v[165:166], v[24:25]
	scratch_load_b128 v[18:21], off, off offset:512
	s_wait_loadcnt_dscnt 0x900
	v_mul_f64_e32 v[185:186], v[2:3], v[28:29]
	v_mul_f64_e32 v[28:29], v[4:5], v[28:29]
	v_add_f64_e32 v[175:176], v[175:176], v[171:172]
	v_add_f64_e32 v[177:178], v[177:178], v[173:174]
	ds_load_b128 v[171:174], v1 offset:1312
	v_fma_f64 v[165:166], v[165:166], v[22:23], v[179:180]
	v_fma_f64 v[163:164], v[163:164], v[22:23], -v[24:25]
	scratch_load_b128 v[22:25], off, off offset:528
	v_add_f64_e32 v[175:176], v[175:176], v[183:184]
	v_add_f64_e32 v[177:178], v[177:178], v[181:182]
	v_fma_f64 v[181:182], v[4:5], v[26:27], v[185:186]
	v_fma_f64 v[183:184], v[2:3], v[26:27], -v[28:29]
	ds_load_b128 v[2:5], v1 offset:1328
	s_wait_loadcnt_dscnt 0x901
	v_mul_f64_e32 v[179:180], v[171:172], v[32:33]
	v_mul_f64_e32 v[32:33], v[173:174], v[32:33]
	scratch_load_b128 v[26:29], off, off offset:544
	s_wait_loadcnt_dscnt 0x900
	v_mul_f64_e32 v[185:186], v[2:3], v[36:37]
	v_mul_f64_e32 v[36:37], v[4:5], v[36:37]
	v_add_f64_e32 v[175:176], v[175:176], v[163:164]
	v_add_f64_e32 v[177:178], v[177:178], v[165:166]
	ds_load_b128 v[163:166], v1 offset:1344
	v_fma_f64 v[173:174], v[173:174], v[30:31], v[179:180]
	v_fma_f64 v[171:172], v[171:172], v[30:31], -v[32:33]
	scratch_load_b128 v[30:33], off, off offset:560
	v_add_f64_e32 v[175:176], v[175:176], v[183:184]
	v_add_f64_e32 v[177:178], v[177:178], v[181:182]
	v_fma_f64 v[183:184], v[4:5], v[34:35], v[185:186]
	v_fma_f64 v[185:186], v[2:3], v[34:35], -v[36:37]
	ds_load_b128 v[2:5], v1 offset:1360
	s_wait_loadcnt_dscnt 0x801
	v_mul_f64_e32 v[179:180], v[163:164], v[169:170]
	v_mul_f64_e32 v[181:182], v[165:166], v[169:170]
	scratch_load_b128 v[34:37], off, off offset:576
	v_add_f64_e32 v[175:176], v[175:176], v[171:172]
	v_add_f64_e32 v[173:174], v[177:178], v[173:174]
	ds_load_b128 v[169:172], v1 offset:1376
	v_fma_f64 v[179:180], v[165:166], v[167:168], v[179:180]
	v_fma_f64 v[167:168], v[163:164], v[167:168], -v[181:182]
	scratch_load_b128 v[163:166], off, off offset:592
	s_wait_loadcnt_dscnt 0x901
	v_mul_f64_e32 v[177:178], v[2:3], v[40:41]
	v_mul_f64_e32 v[40:41], v[4:5], v[40:41]
	v_add_f64_e32 v[175:176], v[175:176], v[185:186]
	v_add_f64_e32 v[173:174], v[173:174], v[183:184]
	s_delay_alu instid0(VALU_DEP_4) | instskip(NEXT) | instid1(VALU_DEP_4)
	v_fma_f64 v[177:178], v[4:5], v[38:39], v[177:178]
	v_fma_f64 v[183:184], v[2:3], v[38:39], -v[40:41]
	ds_load_b128 v[2:5], v1 offset:1392
	s_wait_loadcnt_dscnt 0x801
	v_mul_f64_e32 v[181:182], v[169:170], v[8:9]
	v_mul_f64_e32 v[8:9], v[171:172], v[8:9]
	scratch_load_b128 v[38:41], off, off offset:608
	s_wait_loadcnt_dscnt 0x800
	v_mul_f64_e32 v[185:186], v[2:3], v[12:13]
	v_add_f64_e32 v[167:168], v[175:176], v[167:168]
	v_add_f64_e32 v[179:180], v[173:174], v[179:180]
	v_mul_f64_e32 v[12:13], v[4:5], v[12:13]
	ds_load_b128 v[173:176], v1 offset:1408
	v_fma_f64 v[171:172], v[171:172], v[6:7], v[181:182]
	v_fma_f64 v[169:170], v[169:170], v[6:7], -v[8:9]
	scratch_load_b128 v[6:9], off, off offset:624
	v_fma_f64 v[181:182], v[4:5], v[10:11], v[185:186]
	v_add_f64_e32 v[167:168], v[167:168], v[183:184]
	v_add_f64_e32 v[177:178], v[179:180], v[177:178]
	v_fma_f64 v[183:184], v[2:3], v[10:11], -v[12:13]
	ds_load_b128 v[2:5], v1 offset:1424
	s_wait_loadcnt_dscnt 0x801
	v_mul_f64_e32 v[179:180], v[173:174], v[16:17]
	v_mul_f64_e32 v[16:17], v[175:176], v[16:17]
	scratch_load_b128 v[10:13], off, off offset:640
	v_add_f64_e32 v[185:186], v[167:168], v[169:170]
	v_add_f64_e32 v[171:172], v[177:178], v[171:172]
	s_wait_loadcnt_dscnt 0x800
	v_mul_f64_e32 v[177:178], v[2:3], v[20:21]
	v_mul_f64_e32 v[20:21], v[4:5], v[20:21]
	v_fma_f64 v[175:176], v[175:176], v[14:15], v[179:180]
	v_fma_f64 v[173:174], v[173:174], v[14:15], -v[16:17]
	ds_load_b128 v[167:170], v1 offset:1440
	scratch_load_b128 v[14:17], off, off offset:656
	v_add_f64_e32 v[179:180], v[185:186], v[183:184]
	v_add_f64_e32 v[171:172], v[171:172], v[181:182]
	v_fma_f64 v[177:178], v[4:5], v[18:19], v[177:178]
	v_fma_f64 v[183:184], v[2:3], v[18:19], -v[20:21]
	ds_load_b128 v[2:5], v1 offset:1456
	s_wait_loadcnt_dscnt 0x801
	v_mul_f64_e32 v[181:182], v[167:168], v[24:25]
	v_mul_f64_e32 v[24:25], v[169:170], v[24:25]
	scratch_load_b128 v[18:21], off, off offset:672
	s_wait_loadcnt_dscnt 0x800
	v_mul_f64_e32 v[185:186], v[2:3], v[28:29]
	v_mul_f64_e32 v[28:29], v[4:5], v[28:29]
	v_add_f64_e32 v[179:180], v[179:180], v[173:174]
	v_add_f64_e32 v[175:176], v[171:172], v[175:176]
	ds_load_b128 v[171:174], v1 offset:1472
	v_fma_f64 v[169:170], v[169:170], v[22:23], v[181:182]
	v_fma_f64 v[167:168], v[167:168], v[22:23], -v[24:25]
	scratch_load_b128 v[22:25], off, off offset:688
	v_fma_f64 v[181:182], v[4:5], v[26:27], v[185:186]
	v_add_f64_e32 v[179:180], v[179:180], v[183:184]
	v_add_f64_e32 v[175:176], v[175:176], v[177:178]
	v_fma_f64 v[183:184], v[2:3], v[26:27], -v[28:29]
	ds_load_b128 v[2:5], v1 offset:1488
	s_wait_loadcnt_dscnt 0x801
	v_mul_f64_e32 v[177:178], v[171:172], v[32:33]
	v_mul_f64_e32 v[32:33], v[173:174], v[32:33]
	scratch_load_b128 v[26:29], off, off offset:704
	s_wait_loadcnt_dscnt 0x800
	v_mul_f64_e32 v[185:186], v[2:3], v[36:37]
	v_mul_f64_e32 v[36:37], v[4:5], v[36:37]
	v_add_f64_e32 v[179:180], v[179:180], v[167:168]
	v_add_f64_e32 v[175:176], v[175:176], v[169:170]
	ds_load_b128 v[167:170], v1 offset:1504
	v_fma_f64 v[173:174], v[173:174], v[30:31], v[177:178]
	v_fma_f64 v[171:172], v[171:172], v[30:31], -v[32:33]
	scratch_load_b128 v[30:33], off, off offset:720
	v_add_f64_e32 v[177:178], v[179:180], v[183:184]
	v_add_f64_e32 v[175:176], v[175:176], v[181:182]
	v_fma_f64 v[181:182], v[4:5], v[34:35], v[185:186]
	v_fma_f64 v[183:184], v[2:3], v[34:35], -v[36:37]
	ds_load_b128 v[2:5], v1 offset:1520
	s_wait_loadcnt_dscnt 0x801
	v_mul_f64_e32 v[179:180], v[167:168], v[165:166]
	v_mul_f64_e32 v[165:166], v[169:170], v[165:166]
	scratch_load_b128 v[34:37], off, off offset:736
	s_wait_loadcnt_dscnt 0x800
	v_mul_f64_e32 v[185:186], v[2:3], v[40:41]
	v_mul_f64_e32 v[40:41], v[4:5], v[40:41]
	v_add_f64_e32 v[177:178], v[177:178], v[171:172]
	v_add_f64_e32 v[175:176], v[175:176], v[173:174]
	ds_load_b128 v[171:174], v1 offset:1536
	v_fma_f64 v[169:170], v[169:170], v[163:164], v[179:180]
	v_fma_f64 v[167:168], v[167:168], v[163:164], -v[165:166]
	scratch_load_b128 v[163:166], off, off offset:752
	v_add_f64_e32 v[177:178], v[177:178], v[183:184]
	v_add_f64_e32 v[175:176], v[175:176], v[181:182]
	v_fma_f64 v[181:182], v[4:5], v[38:39], v[185:186]
	;; [unrolled: 18-line block ×6, first 2 shown]
	v_fma_f64 v[185:186], v[2:3], v[34:35], -v[36:37]
	ds_load_b128 v[2:5], v1 offset:1680
	s_wait_loadcnt_dscnt 0x801
	v_mul_f64_e32 v[179:180], v[171:172], v[165:166]
	v_mul_f64_e32 v[181:182], v[173:174], v[165:166]
	scratch_load_b128 v[34:37], off, off offset:896
	v_add_f64_e32 v[177:178], v[177:178], v[167:168]
	v_add_f64_e32 v[169:170], v[175:176], v[169:170]
	s_wait_loadcnt_dscnt 0x800
	v_mul_f64_e32 v[175:176], v[2:3], v[40:41]
	v_mul_f64_e32 v[40:41], v[4:5], v[40:41]
	ds_load_b128 v[165:168], v1 offset:1696
	v_fma_f64 v[173:174], v[173:174], v[163:164], v[179:180]
	v_fma_f64 v[163:164], v[171:172], v[163:164], -v[181:182]
	v_add_f64_e32 v[177:178], v[177:178], v[185:186]
	v_add_f64_e32 v[179:180], v[169:170], v[183:184]
	scratch_load_b128 v[169:172], off, off offset:912
	v_fma_f64 v[183:184], v[4:5], v[38:39], v[175:176]
	v_fma_f64 v[185:186], v[2:3], v[38:39], -v[40:41]
	ds_load_b128 v[2:5], v1 offset:1712
	s_wait_loadcnt_dscnt 0x801
	v_mul_f64_e32 v[181:182], v[165:166], v[8:9]
	v_mul_f64_e32 v[8:9], v[167:168], v[8:9]
	scratch_load_b128 v[38:41], off, off offset:928
	v_add_f64_e32 v[163:164], v[177:178], v[163:164]
	v_add_f64_e32 v[177:178], v[179:180], v[173:174]
	s_wait_loadcnt_dscnt 0x800
	v_mul_f64_e32 v[179:180], v[2:3], v[12:13]
	v_mul_f64_e32 v[12:13], v[4:5], v[12:13]
	ds_load_b128 v[173:176], v1 offset:1728
	v_fma_f64 v[167:168], v[167:168], v[6:7], v[181:182]
	v_fma_f64 v[6:7], v[165:166], v[6:7], -v[8:9]
	s_wait_loadcnt_dscnt 0x700
	v_mul_f64_e32 v[165:166], v[173:174], v[16:17]
	v_mul_f64_e32 v[16:17], v[175:176], v[16:17]
	v_add_f64_e32 v[8:9], v[163:164], v[185:186]
	v_add_f64_e32 v[163:164], v[177:178], v[183:184]
	v_fma_f64 v[177:178], v[4:5], v[10:11], v[179:180]
	v_fma_f64 v[10:11], v[2:3], v[10:11], -v[12:13]
	v_fma_f64 v[165:166], v[175:176], v[14:15], v[165:166]
	v_fma_f64 v[14:15], v[173:174], v[14:15], -v[16:17]
	v_add_f64_e32 v[12:13], v[8:9], v[6:7]
	v_add_f64_e32 v[163:164], v[163:164], v[167:168]
	ds_load_b128 v[2:5], v1 offset:1744
	ds_load_b128 v[6:9], v1 offset:1760
	s_wait_loadcnt_dscnt 0x601
	v_mul_f64_e32 v[167:168], v[2:3], v[20:21]
	v_mul_f64_e32 v[20:21], v[4:5], v[20:21]
	s_wait_loadcnt_dscnt 0x500
	v_mul_f64_e32 v[16:17], v[6:7], v[24:25]
	v_mul_f64_e32 v[24:25], v[8:9], v[24:25]
	v_add_f64_e32 v[10:11], v[12:13], v[10:11]
	v_add_f64_e32 v[12:13], v[163:164], v[177:178]
	v_fma_f64 v[163:164], v[4:5], v[18:19], v[167:168]
	v_fma_f64 v[18:19], v[2:3], v[18:19], -v[20:21]
	v_fma_f64 v[8:9], v[8:9], v[22:23], v[16:17]
	v_fma_f64 v[6:7], v[6:7], v[22:23], -v[24:25]
	v_add_f64_e32 v[14:15], v[10:11], v[14:15]
	v_add_f64_e32 v[20:21], v[12:13], v[165:166]
	ds_load_b128 v[2:5], v1 offset:1776
	ds_load_b128 v[10:13], v1 offset:1792
	s_wait_loadcnt_dscnt 0x401
	v_mul_f64_e32 v[165:166], v[2:3], v[28:29]
	v_mul_f64_e32 v[28:29], v[4:5], v[28:29]
	v_add_f64_e32 v[14:15], v[14:15], v[18:19]
	v_add_f64_e32 v[16:17], v[20:21], v[163:164]
	s_wait_loadcnt_dscnt 0x300
	v_mul_f64_e32 v[18:19], v[10:11], v[32:33]
	v_mul_f64_e32 v[20:21], v[12:13], v[32:33]
	v_fma_f64 v[22:23], v[4:5], v[26:27], v[165:166]
	v_fma_f64 v[24:25], v[2:3], v[26:27], -v[28:29]
	v_add_f64_e32 v[14:15], v[14:15], v[6:7]
	v_add_f64_e32 v[16:17], v[16:17], v[8:9]
	ds_load_b128 v[2:5], v1 offset:1808
	ds_load_b128 v[6:9], v1 offset:1824
	v_fma_f64 v[12:13], v[12:13], v[30:31], v[18:19]
	v_fma_f64 v[10:11], v[10:11], v[30:31], -v[20:21]
	s_wait_loadcnt_dscnt 0x201
	v_mul_f64_e32 v[26:27], v[2:3], v[36:37]
	v_mul_f64_e32 v[28:29], v[4:5], v[36:37]
	v_add_f64_e32 v[14:15], v[14:15], v[24:25]
	v_add_f64_e32 v[16:17], v[16:17], v[22:23]
	s_wait_loadcnt_dscnt 0x100
	v_mul_f64_e32 v[18:19], v[6:7], v[171:172]
	v_mul_f64_e32 v[20:21], v[8:9], v[171:172]
	v_fma_f64 v[22:23], v[4:5], v[34:35], v[26:27]
	v_fma_f64 v[24:25], v[2:3], v[34:35], -v[28:29]
	ds_load_b128 v[2:5], v1 offset:1840
	v_add_f64_e32 v[10:11], v[14:15], v[10:11]
	v_add_f64_e32 v[12:13], v[16:17], v[12:13]
	s_wait_loadcnt_dscnt 0x0
	v_mul_f64_e32 v[14:15], v[2:3], v[40:41]
	v_mul_f64_e32 v[16:17], v[4:5], v[40:41]
	v_fma_f64 v[8:9], v[8:9], v[169:170], v[18:19]
	v_fma_f64 v[6:7], v[6:7], v[169:170], -v[20:21]
	v_add_f64_e32 v[10:11], v[10:11], v[24:25]
	v_add_f64_e32 v[12:13], v[12:13], v[22:23]
	v_fma_f64 v[4:5], v[4:5], v[38:39], v[14:15]
	v_fma_f64 v[2:3], v[2:3], v[38:39], -v[16:17]
	s_delay_alu instid0(VALU_DEP_4) | instskip(NEXT) | instid1(VALU_DEP_4)
	v_add_f64_e32 v[6:7], v[10:11], v[6:7]
	v_add_f64_e32 v[8:9], v[12:13], v[8:9]
	s_delay_alu instid0(VALU_DEP_2) | instskip(NEXT) | instid1(VALU_DEP_2)
	v_add_f64_e32 v[2:3], v[6:7], v[2:3]
	v_add_f64_e32 v[4:5], v[8:9], v[4:5]
	s_delay_alu instid0(VALU_DEP_2) | instskip(NEXT) | instid1(VALU_DEP_2)
	v_add_f64_e64 v[2:3], v[42:43], -v[2:3]
	v_add_f64_e64 v[4:5], v[44:45], -v[4:5]
	scratch_store_b128 off, v[2:5], off offset:272
	v_cmpx_lt_u32_e32 15, v0
	s_cbranch_execz .LBB57_331
; %bb.330:
	scratch_load_b128 v[5:8], off, s56
	v_dual_mov_b32 v2, v1 :: v_dual_mov_b32 v3, v1
	v_mov_b32_e32 v4, v1
	scratch_store_b128 off, v[1:4], off offset:256
	s_wait_loadcnt 0x0
	ds_store_b128 v162, v[5:8]
.LBB57_331:
	s_wait_alu 0xfffe
	s_or_b32 exec_lo, exec_lo, s0
	s_wait_storecnt_dscnt 0x0
	s_barrier_signal -1
	s_barrier_wait -1
	global_inv scope:SCOPE_SE
	s_clause 0x8
	scratch_load_b128 v[2:5], off, off offset:272
	scratch_load_b128 v[6:9], off, off offset:288
	;; [unrolled: 1-line block ×9, first 2 shown]
	ds_load_b128 v[42:45], v1 offset:1184
	ds_load_b128 v[38:41], v1 offset:1200
	s_clause 0x1
	scratch_load_b128 v[163:166], off, off offset:256
	scratch_load_b128 v[167:170], off, off offset:416
	s_mov_b32 s0, exec_lo
	s_wait_loadcnt_dscnt 0xa01
	v_mul_f64_e32 v[171:172], v[44:45], v[4:5]
	v_mul_f64_e32 v[4:5], v[42:43], v[4:5]
	s_wait_loadcnt_dscnt 0x900
	v_mul_f64_e32 v[175:176], v[38:39], v[8:9]
	v_mul_f64_e32 v[8:9], v[40:41], v[8:9]
	s_delay_alu instid0(VALU_DEP_4) | instskip(NEXT) | instid1(VALU_DEP_4)
	v_fma_f64 v[177:178], v[42:43], v[2:3], -v[171:172]
	v_fma_f64 v[179:180], v[44:45], v[2:3], v[4:5]
	ds_load_b128 v[2:5], v1 offset:1216
	ds_load_b128 v[171:174], v1 offset:1232
	scratch_load_b128 v[42:45], off, off offset:432
	v_fma_f64 v[40:41], v[40:41], v[6:7], v[175:176]
	v_fma_f64 v[38:39], v[38:39], v[6:7], -v[8:9]
	scratch_load_b128 v[6:9], off, off offset:448
	s_wait_loadcnt_dscnt 0xa01
	v_mul_f64_e32 v[181:182], v[2:3], v[12:13]
	v_mul_f64_e32 v[12:13], v[4:5], v[12:13]
	v_add_f64_e32 v[175:176], 0, v[177:178]
	v_add_f64_e32 v[177:178], 0, v[179:180]
	s_wait_loadcnt_dscnt 0x900
	v_mul_f64_e32 v[179:180], v[171:172], v[16:17]
	v_mul_f64_e32 v[16:17], v[173:174], v[16:17]
	v_fma_f64 v[181:182], v[4:5], v[10:11], v[181:182]
	v_fma_f64 v[183:184], v[2:3], v[10:11], -v[12:13]
	ds_load_b128 v[2:5], v1 offset:1248
	scratch_load_b128 v[10:13], off, off offset:464
	v_add_f64_e32 v[175:176], v[175:176], v[38:39]
	v_add_f64_e32 v[177:178], v[177:178], v[40:41]
	ds_load_b128 v[38:41], v1 offset:1264
	v_fma_f64 v[173:174], v[173:174], v[14:15], v[179:180]
	v_fma_f64 v[171:172], v[171:172], v[14:15], -v[16:17]
	scratch_load_b128 v[14:17], off, off offset:480
	s_wait_loadcnt_dscnt 0xa01
	v_mul_f64_e32 v[185:186], v[2:3], v[20:21]
	v_mul_f64_e32 v[20:21], v[4:5], v[20:21]
	s_wait_loadcnt_dscnt 0x900
	v_mul_f64_e32 v[179:180], v[38:39], v[24:25]
	v_mul_f64_e32 v[24:25], v[40:41], v[24:25]
	v_add_f64_e32 v[175:176], v[175:176], v[183:184]
	v_add_f64_e32 v[177:178], v[177:178], v[181:182]
	v_fma_f64 v[181:182], v[4:5], v[18:19], v[185:186]
	v_fma_f64 v[183:184], v[2:3], v[18:19], -v[20:21]
	ds_load_b128 v[2:5], v1 offset:1280
	scratch_load_b128 v[18:21], off, off offset:496
	v_fma_f64 v[40:41], v[40:41], v[22:23], v[179:180]
	v_fma_f64 v[38:39], v[38:39], v[22:23], -v[24:25]
	scratch_load_b128 v[22:25], off, off offset:512
	v_add_f64_e32 v[175:176], v[175:176], v[171:172]
	v_add_f64_e32 v[177:178], v[177:178], v[173:174]
	ds_load_b128 v[171:174], v1 offset:1296
	s_wait_loadcnt_dscnt 0xa01
	v_mul_f64_e32 v[185:186], v[2:3], v[28:29]
	v_mul_f64_e32 v[28:29], v[4:5], v[28:29]
	s_wait_loadcnt_dscnt 0x900
	v_mul_f64_e32 v[179:180], v[171:172], v[32:33]
	v_mul_f64_e32 v[32:33], v[173:174], v[32:33]
	v_add_f64_e32 v[175:176], v[175:176], v[183:184]
	v_add_f64_e32 v[177:178], v[177:178], v[181:182]
	v_fma_f64 v[181:182], v[4:5], v[26:27], v[185:186]
	v_fma_f64 v[183:184], v[2:3], v[26:27], -v[28:29]
	ds_load_b128 v[2:5], v1 offset:1312
	scratch_load_b128 v[26:29], off, off offset:528
	v_fma_f64 v[173:174], v[173:174], v[30:31], v[179:180]
	v_fma_f64 v[171:172], v[171:172], v[30:31], -v[32:33]
	scratch_load_b128 v[30:33], off, off offset:544
	v_add_f64_e32 v[175:176], v[175:176], v[38:39]
	v_add_f64_e32 v[177:178], v[177:178], v[40:41]
	ds_load_b128 v[38:41], v1 offset:1328
	s_wait_loadcnt_dscnt 0xa01
	v_mul_f64_e32 v[185:186], v[2:3], v[36:37]
	v_mul_f64_e32 v[36:37], v[4:5], v[36:37]
	s_wait_loadcnt_dscnt 0x800
	v_mul_f64_e32 v[179:180], v[38:39], v[169:170]
	v_add_f64_e32 v[175:176], v[175:176], v[183:184]
	v_add_f64_e32 v[177:178], v[177:178], v[181:182]
	v_mul_f64_e32 v[181:182], v[40:41], v[169:170]
	v_fma_f64 v[183:184], v[4:5], v[34:35], v[185:186]
	v_fma_f64 v[185:186], v[2:3], v[34:35], -v[36:37]
	ds_load_b128 v[2:5], v1 offset:1344
	scratch_load_b128 v[34:37], off, off offset:560
	v_fma_f64 v[179:180], v[40:41], v[167:168], v[179:180]
	v_add_f64_e32 v[175:176], v[175:176], v[171:172]
	v_add_f64_e32 v[173:174], v[177:178], v[173:174]
	ds_load_b128 v[169:172], v1 offset:1360
	v_fma_f64 v[167:168], v[38:39], v[167:168], -v[181:182]
	scratch_load_b128 v[38:41], off, off offset:576
	s_wait_loadcnt_dscnt 0x901
	v_mul_f64_e32 v[177:178], v[2:3], v[44:45]
	v_mul_f64_e32 v[44:45], v[4:5], v[44:45]
	s_wait_loadcnt_dscnt 0x800
	v_mul_f64_e32 v[181:182], v[169:170], v[8:9]
	v_mul_f64_e32 v[8:9], v[171:172], v[8:9]
	v_add_f64_e32 v[175:176], v[175:176], v[185:186]
	v_add_f64_e32 v[173:174], v[173:174], v[183:184]
	v_fma_f64 v[177:178], v[4:5], v[42:43], v[177:178]
	v_fma_f64 v[183:184], v[2:3], v[42:43], -v[44:45]
	ds_load_b128 v[2:5], v1 offset:1376
	scratch_load_b128 v[42:45], off, off offset:592
	v_fma_f64 v[171:172], v[171:172], v[6:7], v[181:182]
	v_fma_f64 v[169:170], v[169:170], v[6:7], -v[8:9]
	scratch_load_b128 v[6:9], off, off offset:608
	v_add_f64_e32 v[167:168], v[175:176], v[167:168]
	v_add_f64_e32 v[179:180], v[173:174], v[179:180]
	ds_load_b128 v[173:176], v1 offset:1392
	s_wait_loadcnt_dscnt 0x901
	v_mul_f64_e32 v[185:186], v[2:3], v[12:13]
	v_mul_f64_e32 v[12:13], v[4:5], v[12:13]
	v_add_f64_e32 v[167:168], v[167:168], v[183:184]
	v_add_f64_e32 v[177:178], v[179:180], v[177:178]
	s_wait_loadcnt_dscnt 0x800
	v_mul_f64_e32 v[179:180], v[173:174], v[16:17]
	v_mul_f64_e32 v[16:17], v[175:176], v[16:17]
	v_fma_f64 v[181:182], v[4:5], v[10:11], v[185:186]
	v_fma_f64 v[183:184], v[2:3], v[10:11], -v[12:13]
	ds_load_b128 v[2:5], v1 offset:1408
	scratch_load_b128 v[10:13], off, off offset:624
	v_add_f64_e32 v[185:186], v[167:168], v[169:170]
	v_add_f64_e32 v[171:172], v[177:178], v[171:172]
	ds_load_b128 v[167:170], v1 offset:1424
	s_wait_loadcnt_dscnt 0x801
	v_mul_f64_e32 v[177:178], v[2:3], v[20:21]
	v_mul_f64_e32 v[20:21], v[4:5], v[20:21]
	v_fma_f64 v[175:176], v[175:176], v[14:15], v[179:180]
	v_fma_f64 v[173:174], v[173:174], v[14:15], -v[16:17]
	scratch_load_b128 v[14:17], off, off offset:640
	v_add_f64_e32 v[179:180], v[185:186], v[183:184]
	v_add_f64_e32 v[171:172], v[171:172], v[181:182]
	s_wait_loadcnt_dscnt 0x800
	v_mul_f64_e32 v[181:182], v[167:168], v[24:25]
	v_mul_f64_e32 v[24:25], v[169:170], v[24:25]
	v_fma_f64 v[177:178], v[4:5], v[18:19], v[177:178]
	v_fma_f64 v[183:184], v[2:3], v[18:19], -v[20:21]
	ds_load_b128 v[2:5], v1 offset:1440
	scratch_load_b128 v[18:21], off, off offset:656
	v_add_f64_e32 v[179:180], v[179:180], v[173:174]
	v_add_f64_e32 v[175:176], v[171:172], v[175:176]
	ds_load_b128 v[171:174], v1 offset:1456
	s_wait_loadcnt_dscnt 0x801
	v_mul_f64_e32 v[185:186], v[2:3], v[28:29]
	v_mul_f64_e32 v[28:29], v[4:5], v[28:29]
	v_fma_f64 v[169:170], v[169:170], v[22:23], v[181:182]
	v_fma_f64 v[167:168], v[167:168], v[22:23], -v[24:25]
	scratch_load_b128 v[22:25], off, off offset:672
	;; [unrolled: 18-line block ×4, first 2 shown]
	s_wait_loadcnt_dscnt 0x800
	v_mul_f64_e32 v[179:180], v[171:172], v[8:9]
	v_mul_f64_e32 v[8:9], v[173:174], v[8:9]
	v_add_f64_e32 v[177:178], v[177:178], v[183:184]
	v_add_f64_e32 v[175:176], v[175:176], v[181:182]
	v_fma_f64 v[181:182], v[4:5], v[42:43], v[185:186]
	v_fma_f64 v[183:184], v[2:3], v[42:43], -v[44:45]
	ds_load_b128 v[2:5], v1 offset:1536
	scratch_load_b128 v[42:45], off, off offset:752
	v_fma_f64 v[173:174], v[173:174], v[6:7], v[179:180]
	v_fma_f64 v[171:172], v[171:172], v[6:7], -v[8:9]
	scratch_load_b128 v[6:9], off, off offset:768
	v_add_f64_e32 v[177:178], v[177:178], v[167:168]
	v_add_f64_e32 v[175:176], v[175:176], v[169:170]
	ds_load_b128 v[167:170], v1 offset:1552
	s_wait_loadcnt_dscnt 0x901
	v_mul_f64_e32 v[185:186], v[2:3], v[12:13]
	v_mul_f64_e32 v[12:13], v[4:5], v[12:13]
	s_wait_loadcnt_dscnt 0x800
	v_mul_f64_e32 v[179:180], v[167:168], v[16:17]
	v_mul_f64_e32 v[16:17], v[169:170], v[16:17]
	v_add_f64_e32 v[177:178], v[177:178], v[183:184]
	v_add_f64_e32 v[175:176], v[175:176], v[181:182]
	v_fma_f64 v[181:182], v[4:5], v[10:11], v[185:186]
	v_fma_f64 v[183:184], v[2:3], v[10:11], -v[12:13]
	ds_load_b128 v[2:5], v1 offset:1568
	scratch_load_b128 v[10:13], off, off offset:784
	v_fma_f64 v[169:170], v[169:170], v[14:15], v[179:180]
	v_fma_f64 v[167:168], v[167:168], v[14:15], -v[16:17]
	scratch_load_b128 v[14:17], off, off offset:800
	v_add_f64_e32 v[177:178], v[177:178], v[171:172]
	v_add_f64_e32 v[175:176], v[175:176], v[173:174]
	ds_load_b128 v[171:174], v1 offset:1584
	s_wait_loadcnt_dscnt 0x901
	v_mul_f64_e32 v[185:186], v[2:3], v[20:21]
	v_mul_f64_e32 v[20:21], v[4:5], v[20:21]
	;; [unrolled: 18-line block ×6, first 2 shown]
	s_wait_loadcnt_dscnt 0x800
	v_mul_f64_e32 v[179:180], v[171:172], v[16:17]
	v_mul_f64_e32 v[16:17], v[173:174], v[16:17]
	v_add_f64_e32 v[177:178], v[177:178], v[183:184]
	v_add_f64_e32 v[175:176], v[175:176], v[181:182]
	v_fma_f64 v[181:182], v[4:5], v[10:11], v[185:186]
	v_fma_f64 v[183:184], v[2:3], v[10:11], -v[12:13]
	ds_load_b128 v[2:5], v1 offset:1728
	ds_load_b128 v[10:13], v1 offset:1744
	v_fma_f64 v[173:174], v[173:174], v[14:15], v[179:180]
	v_fma_f64 v[14:15], v[171:172], v[14:15], -v[16:17]
	v_add_f64_e32 v[167:168], v[177:178], v[167:168]
	v_add_f64_e32 v[169:170], v[175:176], v[169:170]
	s_wait_loadcnt_dscnt 0x701
	v_mul_f64_e32 v[175:176], v[2:3], v[20:21]
	v_mul_f64_e32 v[20:21], v[4:5], v[20:21]
	s_delay_alu instid0(VALU_DEP_4) | instskip(NEXT) | instid1(VALU_DEP_4)
	v_add_f64_e32 v[16:17], v[167:168], v[183:184]
	v_add_f64_e32 v[167:168], v[169:170], v[181:182]
	s_wait_loadcnt_dscnt 0x600
	v_mul_f64_e32 v[169:170], v[10:11], v[24:25]
	v_mul_f64_e32 v[24:25], v[12:13], v[24:25]
	v_fma_f64 v[171:172], v[4:5], v[18:19], v[175:176]
	v_fma_f64 v[18:19], v[2:3], v[18:19], -v[20:21]
	v_add_f64_e32 v[20:21], v[16:17], v[14:15]
	v_add_f64_e32 v[167:168], v[167:168], v[173:174]
	ds_load_b128 v[2:5], v1 offset:1760
	ds_load_b128 v[14:17], v1 offset:1776
	v_fma_f64 v[12:13], v[12:13], v[22:23], v[169:170]
	v_fma_f64 v[10:11], v[10:11], v[22:23], -v[24:25]
	s_wait_loadcnt_dscnt 0x501
	v_mul_f64_e32 v[173:174], v[2:3], v[28:29]
	v_mul_f64_e32 v[28:29], v[4:5], v[28:29]
	s_wait_loadcnt_dscnt 0x400
	v_mul_f64_e32 v[22:23], v[14:15], v[32:33]
	v_mul_f64_e32 v[24:25], v[16:17], v[32:33]
	v_add_f64_e32 v[18:19], v[20:21], v[18:19]
	v_add_f64_e32 v[20:21], v[167:168], v[171:172]
	v_fma_f64 v[32:33], v[4:5], v[26:27], v[173:174]
	v_fma_f64 v[26:27], v[2:3], v[26:27], -v[28:29]
	v_fma_f64 v[16:17], v[16:17], v[30:31], v[22:23]
	v_fma_f64 v[14:15], v[14:15], v[30:31], -v[24:25]
	v_add_f64_e32 v[18:19], v[18:19], v[10:11]
	v_add_f64_e32 v[20:21], v[20:21], v[12:13]
	ds_load_b128 v[2:5], v1 offset:1792
	ds_load_b128 v[10:13], v1 offset:1808
	s_wait_loadcnt_dscnt 0x301
	v_mul_f64_e32 v[28:29], v[2:3], v[36:37]
	v_mul_f64_e32 v[36:37], v[4:5], v[36:37]
	s_wait_loadcnt_dscnt 0x200
	v_mul_f64_e32 v[22:23], v[10:11], v[40:41]
	v_mul_f64_e32 v[24:25], v[12:13], v[40:41]
	v_add_f64_e32 v[18:19], v[18:19], v[26:27]
	v_add_f64_e32 v[20:21], v[20:21], v[32:33]
	v_fma_f64 v[26:27], v[4:5], v[34:35], v[28:29]
	v_fma_f64 v[28:29], v[2:3], v[34:35], -v[36:37]
	v_fma_f64 v[12:13], v[12:13], v[38:39], v[22:23]
	v_fma_f64 v[10:11], v[10:11], v[38:39], -v[24:25]
	v_add_f64_e32 v[18:19], v[18:19], v[14:15]
	v_add_f64_e32 v[20:21], v[20:21], v[16:17]
	ds_load_b128 v[2:5], v1 offset:1824
	ds_load_b128 v[14:17], v1 offset:1840
	s_wait_loadcnt_dscnt 0x101
	v_mul_f64_e32 v[30:31], v[2:3], v[44:45]
	v_mul_f64_e32 v[32:33], v[4:5], v[44:45]
	s_wait_loadcnt_dscnt 0x0
	v_mul_f64_e32 v[22:23], v[14:15], v[8:9]
	v_mul_f64_e32 v[8:9], v[16:17], v[8:9]
	v_add_f64_e32 v[18:19], v[18:19], v[28:29]
	v_add_f64_e32 v[20:21], v[20:21], v[26:27]
	v_fma_f64 v[4:5], v[4:5], v[42:43], v[30:31]
	v_fma_f64 v[1:2], v[2:3], v[42:43], -v[32:33]
	v_fma_f64 v[16:17], v[16:17], v[6:7], v[22:23]
	v_fma_f64 v[6:7], v[14:15], v[6:7], -v[8:9]
	v_add_f64_e32 v[10:11], v[18:19], v[10:11]
	v_add_f64_e32 v[12:13], v[20:21], v[12:13]
	s_delay_alu instid0(VALU_DEP_2) | instskip(NEXT) | instid1(VALU_DEP_2)
	v_add_f64_e32 v[1:2], v[10:11], v[1:2]
	v_add_f64_e32 v[3:4], v[12:13], v[4:5]
	s_delay_alu instid0(VALU_DEP_2) | instskip(NEXT) | instid1(VALU_DEP_2)
	;; [unrolled: 3-line block ×3, first 2 shown]
	v_add_f64_e64 v[1:2], v[163:164], -v[1:2]
	v_add_f64_e64 v[3:4], v[165:166], -v[3:4]
	scratch_store_b128 off, v[1:4], off offset:256
	v_cmpx_lt_u32_e32 14, v0
	s_cbranch_execz .LBB57_333
; %bb.332:
	scratch_load_b128 v[1:4], off, s57
	v_mov_b32_e32 v5, 0
	s_delay_alu instid0(VALU_DEP_1)
	v_dual_mov_b32 v6, v5 :: v_dual_mov_b32 v7, v5
	v_mov_b32_e32 v8, v5
	scratch_store_b128 off, v[5:8], off offset:240
	s_wait_loadcnt 0x0
	ds_store_b128 v162, v[1:4]
.LBB57_333:
	s_wait_alu 0xfffe
	s_or_b32 exec_lo, exec_lo, s0
	s_wait_storecnt_dscnt 0x0
	s_barrier_signal -1
	s_barrier_wait -1
	global_inv scope:SCOPE_SE
	s_clause 0x7
	scratch_load_b128 v[2:5], off, off offset:256
	scratch_load_b128 v[6:9], off, off offset:272
	;; [unrolled: 1-line block ×8, first 2 shown]
	v_mov_b32_e32 v1, 0
	s_mov_b32 s0, exec_lo
	ds_load_b128 v[38:41], v1 offset:1168
	s_clause 0x1
	scratch_load_b128 v[34:37], off, off offset:384
	scratch_load_b128 v[42:45], off, off offset:240
	ds_load_b128 v[163:166], v1 offset:1184
	scratch_load_b128 v[167:170], off, off offset:400
	s_wait_loadcnt_dscnt 0xa01
	v_mul_f64_e32 v[171:172], v[40:41], v[4:5]
	v_mul_f64_e32 v[4:5], v[38:39], v[4:5]
	s_delay_alu instid0(VALU_DEP_2) | instskip(NEXT) | instid1(VALU_DEP_2)
	v_fma_f64 v[177:178], v[38:39], v[2:3], -v[171:172]
	v_fma_f64 v[179:180], v[40:41], v[2:3], v[4:5]
	ds_load_b128 v[2:5], v1 offset:1200
	s_wait_loadcnt_dscnt 0x901
	v_mul_f64_e32 v[175:176], v[163:164], v[8:9]
	v_mul_f64_e32 v[8:9], v[165:166], v[8:9]
	scratch_load_b128 v[38:41], off, off offset:416
	ds_load_b128 v[171:174], v1 offset:1216
	s_wait_loadcnt_dscnt 0x901
	v_mul_f64_e32 v[181:182], v[2:3], v[12:13]
	v_mul_f64_e32 v[12:13], v[4:5], v[12:13]
	v_fma_f64 v[165:166], v[165:166], v[6:7], v[175:176]
	v_fma_f64 v[163:164], v[163:164], v[6:7], -v[8:9]
	v_add_f64_e32 v[175:176], 0, v[177:178]
	v_add_f64_e32 v[177:178], 0, v[179:180]
	scratch_load_b128 v[6:9], off, off offset:432
	v_fma_f64 v[181:182], v[4:5], v[10:11], v[181:182]
	v_fma_f64 v[183:184], v[2:3], v[10:11], -v[12:13]
	ds_load_b128 v[2:5], v1 offset:1232
	s_wait_loadcnt_dscnt 0x901
	v_mul_f64_e32 v[179:180], v[171:172], v[16:17]
	v_mul_f64_e32 v[16:17], v[173:174], v[16:17]
	scratch_load_b128 v[10:13], off, off offset:448
	v_add_f64_e32 v[175:176], v[175:176], v[163:164]
	v_add_f64_e32 v[177:178], v[177:178], v[165:166]
	s_wait_loadcnt_dscnt 0x900
	v_mul_f64_e32 v[185:186], v[2:3], v[20:21]
	v_mul_f64_e32 v[20:21], v[4:5], v[20:21]
	ds_load_b128 v[163:166], v1 offset:1248
	v_fma_f64 v[173:174], v[173:174], v[14:15], v[179:180]
	v_fma_f64 v[171:172], v[171:172], v[14:15], -v[16:17]
	scratch_load_b128 v[14:17], off, off offset:464
	v_add_f64_e32 v[175:176], v[175:176], v[183:184]
	v_add_f64_e32 v[177:178], v[177:178], v[181:182]
	v_fma_f64 v[181:182], v[4:5], v[18:19], v[185:186]
	v_fma_f64 v[183:184], v[2:3], v[18:19], -v[20:21]
	ds_load_b128 v[2:5], v1 offset:1264
	s_wait_loadcnt_dscnt 0x901
	v_mul_f64_e32 v[179:180], v[163:164], v[24:25]
	v_mul_f64_e32 v[24:25], v[165:166], v[24:25]
	scratch_load_b128 v[18:21], off, off offset:480
	s_wait_loadcnt_dscnt 0x900
	v_mul_f64_e32 v[185:186], v[2:3], v[28:29]
	v_mul_f64_e32 v[28:29], v[4:5], v[28:29]
	v_add_f64_e32 v[175:176], v[175:176], v[171:172]
	v_add_f64_e32 v[177:178], v[177:178], v[173:174]
	ds_load_b128 v[171:174], v1 offset:1280
	v_fma_f64 v[165:166], v[165:166], v[22:23], v[179:180]
	v_fma_f64 v[163:164], v[163:164], v[22:23], -v[24:25]
	scratch_load_b128 v[22:25], off, off offset:496
	v_add_f64_e32 v[175:176], v[175:176], v[183:184]
	v_add_f64_e32 v[177:178], v[177:178], v[181:182]
	v_fma_f64 v[181:182], v[4:5], v[26:27], v[185:186]
	v_fma_f64 v[183:184], v[2:3], v[26:27], -v[28:29]
	ds_load_b128 v[2:5], v1 offset:1296
	s_wait_loadcnt_dscnt 0x901
	v_mul_f64_e32 v[179:180], v[171:172], v[32:33]
	v_mul_f64_e32 v[32:33], v[173:174], v[32:33]
	scratch_load_b128 v[26:29], off, off offset:512
	s_wait_loadcnt_dscnt 0x900
	v_mul_f64_e32 v[185:186], v[2:3], v[36:37]
	v_mul_f64_e32 v[36:37], v[4:5], v[36:37]
	v_add_f64_e32 v[175:176], v[175:176], v[163:164]
	v_add_f64_e32 v[177:178], v[177:178], v[165:166]
	ds_load_b128 v[163:166], v1 offset:1312
	v_fma_f64 v[173:174], v[173:174], v[30:31], v[179:180]
	v_fma_f64 v[171:172], v[171:172], v[30:31], -v[32:33]
	scratch_load_b128 v[30:33], off, off offset:528
	v_add_f64_e32 v[175:176], v[175:176], v[183:184]
	v_add_f64_e32 v[177:178], v[177:178], v[181:182]
	v_fma_f64 v[183:184], v[4:5], v[34:35], v[185:186]
	v_fma_f64 v[185:186], v[2:3], v[34:35], -v[36:37]
	ds_load_b128 v[2:5], v1 offset:1328
	s_wait_loadcnt_dscnt 0x801
	v_mul_f64_e32 v[179:180], v[163:164], v[169:170]
	v_mul_f64_e32 v[181:182], v[165:166], v[169:170]
	scratch_load_b128 v[34:37], off, off offset:544
	v_add_f64_e32 v[175:176], v[175:176], v[171:172]
	v_add_f64_e32 v[173:174], v[177:178], v[173:174]
	ds_load_b128 v[169:172], v1 offset:1344
	v_fma_f64 v[179:180], v[165:166], v[167:168], v[179:180]
	v_fma_f64 v[167:168], v[163:164], v[167:168], -v[181:182]
	scratch_load_b128 v[163:166], off, off offset:560
	s_wait_loadcnt_dscnt 0x901
	v_mul_f64_e32 v[177:178], v[2:3], v[40:41]
	v_mul_f64_e32 v[40:41], v[4:5], v[40:41]
	v_add_f64_e32 v[175:176], v[175:176], v[185:186]
	v_add_f64_e32 v[173:174], v[173:174], v[183:184]
	s_delay_alu instid0(VALU_DEP_4) | instskip(NEXT) | instid1(VALU_DEP_4)
	v_fma_f64 v[177:178], v[4:5], v[38:39], v[177:178]
	v_fma_f64 v[183:184], v[2:3], v[38:39], -v[40:41]
	ds_load_b128 v[2:5], v1 offset:1360
	s_wait_loadcnt_dscnt 0x801
	v_mul_f64_e32 v[181:182], v[169:170], v[8:9]
	v_mul_f64_e32 v[8:9], v[171:172], v[8:9]
	scratch_load_b128 v[38:41], off, off offset:576
	s_wait_loadcnt_dscnt 0x800
	v_mul_f64_e32 v[185:186], v[2:3], v[12:13]
	v_add_f64_e32 v[167:168], v[175:176], v[167:168]
	v_add_f64_e32 v[179:180], v[173:174], v[179:180]
	v_mul_f64_e32 v[12:13], v[4:5], v[12:13]
	ds_load_b128 v[173:176], v1 offset:1376
	v_fma_f64 v[171:172], v[171:172], v[6:7], v[181:182]
	v_fma_f64 v[169:170], v[169:170], v[6:7], -v[8:9]
	scratch_load_b128 v[6:9], off, off offset:592
	v_fma_f64 v[181:182], v[4:5], v[10:11], v[185:186]
	v_add_f64_e32 v[167:168], v[167:168], v[183:184]
	v_add_f64_e32 v[177:178], v[179:180], v[177:178]
	v_fma_f64 v[183:184], v[2:3], v[10:11], -v[12:13]
	ds_load_b128 v[2:5], v1 offset:1392
	s_wait_loadcnt_dscnt 0x801
	v_mul_f64_e32 v[179:180], v[173:174], v[16:17]
	v_mul_f64_e32 v[16:17], v[175:176], v[16:17]
	scratch_load_b128 v[10:13], off, off offset:608
	v_add_f64_e32 v[185:186], v[167:168], v[169:170]
	v_add_f64_e32 v[171:172], v[177:178], v[171:172]
	s_wait_loadcnt_dscnt 0x800
	v_mul_f64_e32 v[177:178], v[2:3], v[20:21]
	v_mul_f64_e32 v[20:21], v[4:5], v[20:21]
	v_fma_f64 v[175:176], v[175:176], v[14:15], v[179:180]
	v_fma_f64 v[173:174], v[173:174], v[14:15], -v[16:17]
	ds_load_b128 v[167:170], v1 offset:1408
	scratch_load_b128 v[14:17], off, off offset:624
	v_add_f64_e32 v[179:180], v[185:186], v[183:184]
	v_add_f64_e32 v[171:172], v[171:172], v[181:182]
	v_fma_f64 v[177:178], v[4:5], v[18:19], v[177:178]
	v_fma_f64 v[183:184], v[2:3], v[18:19], -v[20:21]
	ds_load_b128 v[2:5], v1 offset:1424
	s_wait_loadcnt_dscnt 0x801
	v_mul_f64_e32 v[181:182], v[167:168], v[24:25]
	v_mul_f64_e32 v[24:25], v[169:170], v[24:25]
	scratch_load_b128 v[18:21], off, off offset:640
	s_wait_loadcnt_dscnt 0x800
	v_mul_f64_e32 v[185:186], v[2:3], v[28:29]
	v_mul_f64_e32 v[28:29], v[4:5], v[28:29]
	v_add_f64_e32 v[179:180], v[179:180], v[173:174]
	v_add_f64_e32 v[175:176], v[171:172], v[175:176]
	ds_load_b128 v[171:174], v1 offset:1440
	v_fma_f64 v[169:170], v[169:170], v[22:23], v[181:182]
	v_fma_f64 v[167:168], v[167:168], v[22:23], -v[24:25]
	scratch_load_b128 v[22:25], off, off offset:656
	v_fma_f64 v[181:182], v[4:5], v[26:27], v[185:186]
	v_add_f64_e32 v[179:180], v[179:180], v[183:184]
	v_add_f64_e32 v[175:176], v[175:176], v[177:178]
	v_fma_f64 v[183:184], v[2:3], v[26:27], -v[28:29]
	ds_load_b128 v[2:5], v1 offset:1456
	s_wait_loadcnt_dscnt 0x801
	v_mul_f64_e32 v[177:178], v[171:172], v[32:33]
	v_mul_f64_e32 v[32:33], v[173:174], v[32:33]
	scratch_load_b128 v[26:29], off, off offset:672
	s_wait_loadcnt_dscnt 0x800
	v_mul_f64_e32 v[185:186], v[2:3], v[36:37]
	v_mul_f64_e32 v[36:37], v[4:5], v[36:37]
	v_add_f64_e32 v[179:180], v[179:180], v[167:168]
	v_add_f64_e32 v[175:176], v[175:176], v[169:170]
	ds_load_b128 v[167:170], v1 offset:1472
	v_fma_f64 v[173:174], v[173:174], v[30:31], v[177:178]
	v_fma_f64 v[171:172], v[171:172], v[30:31], -v[32:33]
	scratch_load_b128 v[30:33], off, off offset:688
	v_add_f64_e32 v[177:178], v[179:180], v[183:184]
	v_add_f64_e32 v[175:176], v[175:176], v[181:182]
	v_fma_f64 v[181:182], v[4:5], v[34:35], v[185:186]
	v_fma_f64 v[183:184], v[2:3], v[34:35], -v[36:37]
	ds_load_b128 v[2:5], v1 offset:1488
	s_wait_loadcnt_dscnt 0x801
	v_mul_f64_e32 v[179:180], v[167:168], v[165:166]
	v_mul_f64_e32 v[165:166], v[169:170], v[165:166]
	scratch_load_b128 v[34:37], off, off offset:704
	s_wait_loadcnt_dscnt 0x800
	v_mul_f64_e32 v[185:186], v[2:3], v[40:41]
	v_mul_f64_e32 v[40:41], v[4:5], v[40:41]
	v_add_f64_e32 v[177:178], v[177:178], v[171:172]
	v_add_f64_e32 v[175:176], v[175:176], v[173:174]
	ds_load_b128 v[171:174], v1 offset:1504
	v_fma_f64 v[169:170], v[169:170], v[163:164], v[179:180]
	v_fma_f64 v[167:168], v[167:168], v[163:164], -v[165:166]
	scratch_load_b128 v[163:166], off, off offset:720
	v_add_f64_e32 v[177:178], v[177:178], v[183:184]
	v_add_f64_e32 v[175:176], v[175:176], v[181:182]
	v_fma_f64 v[181:182], v[4:5], v[38:39], v[185:186]
	;; [unrolled: 18-line block ×6, first 2 shown]
	v_fma_f64 v[185:186], v[2:3], v[34:35], -v[36:37]
	ds_load_b128 v[2:5], v1 offset:1648
	s_wait_loadcnt_dscnt 0x801
	v_mul_f64_e32 v[179:180], v[171:172], v[165:166]
	v_mul_f64_e32 v[181:182], v[173:174], v[165:166]
	scratch_load_b128 v[34:37], off, off offset:864
	v_add_f64_e32 v[177:178], v[177:178], v[167:168]
	v_add_f64_e32 v[169:170], v[175:176], v[169:170]
	s_wait_loadcnt_dscnt 0x800
	v_mul_f64_e32 v[175:176], v[2:3], v[40:41]
	v_mul_f64_e32 v[40:41], v[4:5], v[40:41]
	ds_load_b128 v[165:168], v1 offset:1664
	v_fma_f64 v[173:174], v[173:174], v[163:164], v[179:180]
	v_fma_f64 v[163:164], v[171:172], v[163:164], -v[181:182]
	v_add_f64_e32 v[177:178], v[177:178], v[185:186]
	v_add_f64_e32 v[179:180], v[169:170], v[183:184]
	scratch_load_b128 v[169:172], off, off offset:880
	v_fma_f64 v[183:184], v[4:5], v[38:39], v[175:176]
	v_fma_f64 v[185:186], v[2:3], v[38:39], -v[40:41]
	ds_load_b128 v[2:5], v1 offset:1680
	s_wait_loadcnt_dscnt 0x801
	v_mul_f64_e32 v[181:182], v[165:166], v[8:9]
	v_mul_f64_e32 v[8:9], v[167:168], v[8:9]
	scratch_load_b128 v[38:41], off, off offset:896
	v_add_f64_e32 v[163:164], v[177:178], v[163:164]
	v_add_f64_e32 v[177:178], v[179:180], v[173:174]
	s_wait_loadcnt_dscnt 0x800
	v_mul_f64_e32 v[179:180], v[2:3], v[12:13]
	v_mul_f64_e32 v[12:13], v[4:5], v[12:13]
	ds_load_b128 v[173:176], v1 offset:1696
	v_fma_f64 v[167:168], v[167:168], v[6:7], v[181:182]
	v_fma_f64 v[165:166], v[165:166], v[6:7], -v[8:9]
	scratch_load_b128 v[6:9], off, off offset:912
	v_add_f64_e32 v[163:164], v[163:164], v[185:186]
	v_add_f64_e32 v[177:178], v[177:178], v[183:184]
	v_fma_f64 v[179:180], v[4:5], v[10:11], v[179:180]
	v_fma_f64 v[183:184], v[2:3], v[10:11], -v[12:13]
	ds_load_b128 v[2:5], v1 offset:1712
	s_wait_loadcnt_dscnt 0x801
	v_mul_f64_e32 v[181:182], v[173:174], v[16:17]
	v_mul_f64_e32 v[16:17], v[175:176], v[16:17]
	scratch_load_b128 v[10:13], off, off offset:928
	v_add_f64_e32 v[185:186], v[163:164], v[165:166]
	v_add_f64_e32 v[167:168], v[177:178], v[167:168]
	s_wait_loadcnt_dscnt 0x800
	v_mul_f64_e32 v[177:178], v[2:3], v[20:21]
	v_mul_f64_e32 v[20:21], v[4:5], v[20:21]
	ds_load_b128 v[163:166], v1 offset:1728
	v_fma_f64 v[175:176], v[175:176], v[14:15], v[181:182]
	v_fma_f64 v[14:15], v[173:174], v[14:15], -v[16:17]
	s_wait_loadcnt_dscnt 0x700
	v_mul_f64_e32 v[173:174], v[163:164], v[24:25]
	v_mul_f64_e32 v[24:25], v[165:166], v[24:25]
	v_add_f64_e32 v[16:17], v[185:186], v[183:184]
	v_add_f64_e32 v[167:168], v[167:168], v[179:180]
	v_fma_f64 v[177:178], v[4:5], v[18:19], v[177:178]
	v_fma_f64 v[18:19], v[2:3], v[18:19], -v[20:21]
	v_fma_f64 v[165:166], v[165:166], v[22:23], v[173:174]
	v_fma_f64 v[22:23], v[163:164], v[22:23], -v[24:25]
	v_add_f64_e32 v[20:21], v[16:17], v[14:15]
	v_add_f64_e32 v[167:168], v[167:168], v[175:176]
	ds_load_b128 v[2:5], v1 offset:1744
	ds_load_b128 v[14:17], v1 offset:1760
	s_wait_loadcnt_dscnt 0x601
	v_mul_f64_e32 v[175:176], v[2:3], v[28:29]
	v_mul_f64_e32 v[28:29], v[4:5], v[28:29]
	s_wait_loadcnt_dscnt 0x500
	v_mul_f64_e32 v[24:25], v[14:15], v[32:33]
	v_mul_f64_e32 v[32:33], v[16:17], v[32:33]
	v_add_f64_e32 v[18:19], v[20:21], v[18:19]
	v_add_f64_e32 v[20:21], v[167:168], v[177:178]
	v_fma_f64 v[163:164], v[4:5], v[26:27], v[175:176]
	v_fma_f64 v[26:27], v[2:3], v[26:27], -v[28:29]
	v_fma_f64 v[16:17], v[16:17], v[30:31], v[24:25]
	v_fma_f64 v[14:15], v[14:15], v[30:31], -v[32:33]
	v_add_f64_e32 v[22:23], v[18:19], v[22:23]
	v_add_f64_e32 v[28:29], v[20:21], v[165:166]
	ds_load_b128 v[2:5], v1 offset:1776
	ds_load_b128 v[18:21], v1 offset:1792
	s_wait_loadcnt_dscnt 0x401
	v_mul_f64_e32 v[165:166], v[2:3], v[36:37]
	v_mul_f64_e32 v[36:37], v[4:5], v[36:37]
	v_add_f64_e32 v[22:23], v[22:23], v[26:27]
	v_add_f64_e32 v[24:25], v[28:29], v[163:164]
	s_wait_loadcnt_dscnt 0x300
	v_mul_f64_e32 v[26:27], v[18:19], v[171:172]
	v_mul_f64_e32 v[28:29], v[20:21], v[171:172]
	v_fma_f64 v[30:31], v[4:5], v[34:35], v[165:166]
	v_fma_f64 v[32:33], v[2:3], v[34:35], -v[36:37]
	v_add_f64_e32 v[22:23], v[22:23], v[14:15]
	v_add_f64_e32 v[24:25], v[24:25], v[16:17]
	ds_load_b128 v[2:5], v1 offset:1808
	ds_load_b128 v[14:17], v1 offset:1824
	v_fma_f64 v[20:21], v[20:21], v[169:170], v[26:27]
	v_fma_f64 v[18:19], v[18:19], v[169:170], -v[28:29]
	s_wait_loadcnt_dscnt 0x201
	v_mul_f64_e32 v[34:35], v[2:3], v[40:41]
	v_mul_f64_e32 v[36:37], v[4:5], v[40:41]
	s_wait_loadcnt_dscnt 0x100
	v_mul_f64_e32 v[26:27], v[14:15], v[8:9]
	v_mul_f64_e32 v[8:9], v[16:17], v[8:9]
	v_add_f64_e32 v[22:23], v[22:23], v[32:33]
	v_add_f64_e32 v[24:25], v[24:25], v[30:31]
	v_fma_f64 v[28:29], v[4:5], v[38:39], v[34:35]
	v_fma_f64 v[30:31], v[2:3], v[38:39], -v[36:37]
	ds_load_b128 v[2:5], v1 offset:1840
	v_fma_f64 v[16:17], v[16:17], v[6:7], v[26:27]
	v_fma_f64 v[6:7], v[14:15], v[6:7], -v[8:9]
	v_add_f64_e32 v[18:19], v[22:23], v[18:19]
	v_add_f64_e32 v[20:21], v[24:25], v[20:21]
	s_wait_loadcnt_dscnt 0x0
	v_mul_f64_e32 v[22:23], v[2:3], v[12:13]
	v_mul_f64_e32 v[12:13], v[4:5], v[12:13]
	s_delay_alu instid0(VALU_DEP_4) | instskip(NEXT) | instid1(VALU_DEP_4)
	v_add_f64_e32 v[8:9], v[18:19], v[30:31]
	v_add_f64_e32 v[14:15], v[20:21], v[28:29]
	s_delay_alu instid0(VALU_DEP_4) | instskip(NEXT) | instid1(VALU_DEP_4)
	v_fma_f64 v[4:5], v[4:5], v[10:11], v[22:23]
	v_fma_f64 v[2:3], v[2:3], v[10:11], -v[12:13]
	s_delay_alu instid0(VALU_DEP_4) | instskip(NEXT) | instid1(VALU_DEP_4)
	v_add_f64_e32 v[6:7], v[8:9], v[6:7]
	v_add_f64_e32 v[8:9], v[14:15], v[16:17]
	s_delay_alu instid0(VALU_DEP_2) | instskip(NEXT) | instid1(VALU_DEP_2)
	v_add_f64_e32 v[2:3], v[6:7], v[2:3]
	v_add_f64_e32 v[4:5], v[8:9], v[4:5]
	s_delay_alu instid0(VALU_DEP_2) | instskip(NEXT) | instid1(VALU_DEP_2)
	v_add_f64_e64 v[2:3], v[42:43], -v[2:3]
	v_add_f64_e64 v[4:5], v[44:45], -v[4:5]
	scratch_store_b128 off, v[2:5], off offset:240
	v_cmpx_lt_u32_e32 13, v0
	s_cbranch_execz .LBB57_335
; %bb.334:
	scratch_load_b128 v[5:8], off, s58
	v_dual_mov_b32 v2, v1 :: v_dual_mov_b32 v3, v1
	v_mov_b32_e32 v4, v1
	scratch_store_b128 off, v[1:4], off offset:224
	s_wait_loadcnt 0x0
	ds_store_b128 v162, v[5:8]
.LBB57_335:
	s_wait_alu 0xfffe
	s_or_b32 exec_lo, exec_lo, s0
	s_wait_storecnt_dscnt 0x0
	s_barrier_signal -1
	s_barrier_wait -1
	global_inv scope:SCOPE_SE
	s_clause 0x8
	scratch_load_b128 v[2:5], off, off offset:240
	scratch_load_b128 v[6:9], off, off offset:256
	;; [unrolled: 1-line block ×9, first 2 shown]
	ds_load_b128 v[42:45], v1 offset:1152
	ds_load_b128 v[38:41], v1 offset:1168
	s_clause 0x1
	scratch_load_b128 v[163:166], off, off offset:224
	scratch_load_b128 v[167:170], off, off offset:384
	s_mov_b32 s0, exec_lo
	s_wait_loadcnt_dscnt 0xa01
	v_mul_f64_e32 v[171:172], v[44:45], v[4:5]
	v_mul_f64_e32 v[4:5], v[42:43], v[4:5]
	s_wait_loadcnt_dscnt 0x900
	v_mul_f64_e32 v[175:176], v[38:39], v[8:9]
	v_mul_f64_e32 v[8:9], v[40:41], v[8:9]
	s_delay_alu instid0(VALU_DEP_4) | instskip(NEXT) | instid1(VALU_DEP_4)
	v_fma_f64 v[177:178], v[42:43], v[2:3], -v[171:172]
	v_fma_f64 v[179:180], v[44:45], v[2:3], v[4:5]
	ds_load_b128 v[2:5], v1 offset:1184
	ds_load_b128 v[171:174], v1 offset:1200
	scratch_load_b128 v[42:45], off, off offset:400
	v_fma_f64 v[40:41], v[40:41], v[6:7], v[175:176]
	v_fma_f64 v[38:39], v[38:39], v[6:7], -v[8:9]
	scratch_load_b128 v[6:9], off, off offset:416
	s_wait_loadcnt_dscnt 0xa01
	v_mul_f64_e32 v[181:182], v[2:3], v[12:13]
	v_mul_f64_e32 v[12:13], v[4:5], v[12:13]
	v_add_f64_e32 v[175:176], 0, v[177:178]
	v_add_f64_e32 v[177:178], 0, v[179:180]
	s_wait_loadcnt_dscnt 0x900
	v_mul_f64_e32 v[179:180], v[171:172], v[16:17]
	v_mul_f64_e32 v[16:17], v[173:174], v[16:17]
	v_fma_f64 v[181:182], v[4:5], v[10:11], v[181:182]
	v_fma_f64 v[183:184], v[2:3], v[10:11], -v[12:13]
	ds_load_b128 v[2:5], v1 offset:1216
	scratch_load_b128 v[10:13], off, off offset:432
	v_add_f64_e32 v[175:176], v[175:176], v[38:39]
	v_add_f64_e32 v[177:178], v[177:178], v[40:41]
	ds_load_b128 v[38:41], v1 offset:1232
	v_fma_f64 v[173:174], v[173:174], v[14:15], v[179:180]
	v_fma_f64 v[171:172], v[171:172], v[14:15], -v[16:17]
	scratch_load_b128 v[14:17], off, off offset:448
	s_wait_loadcnt_dscnt 0xa01
	v_mul_f64_e32 v[185:186], v[2:3], v[20:21]
	v_mul_f64_e32 v[20:21], v[4:5], v[20:21]
	s_wait_loadcnt_dscnt 0x900
	v_mul_f64_e32 v[179:180], v[38:39], v[24:25]
	v_mul_f64_e32 v[24:25], v[40:41], v[24:25]
	v_add_f64_e32 v[175:176], v[175:176], v[183:184]
	v_add_f64_e32 v[177:178], v[177:178], v[181:182]
	v_fma_f64 v[181:182], v[4:5], v[18:19], v[185:186]
	v_fma_f64 v[183:184], v[2:3], v[18:19], -v[20:21]
	ds_load_b128 v[2:5], v1 offset:1248
	scratch_load_b128 v[18:21], off, off offset:464
	v_fma_f64 v[40:41], v[40:41], v[22:23], v[179:180]
	v_fma_f64 v[38:39], v[38:39], v[22:23], -v[24:25]
	scratch_load_b128 v[22:25], off, off offset:480
	v_add_f64_e32 v[175:176], v[175:176], v[171:172]
	v_add_f64_e32 v[177:178], v[177:178], v[173:174]
	ds_load_b128 v[171:174], v1 offset:1264
	s_wait_loadcnt_dscnt 0xa01
	v_mul_f64_e32 v[185:186], v[2:3], v[28:29]
	v_mul_f64_e32 v[28:29], v[4:5], v[28:29]
	s_wait_loadcnt_dscnt 0x900
	v_mul_f64_e32 v[179:180], v[171:172], v[32:33]
	v_mul_f64_e32 v[32:33], v[173:174], v[32:33]
	v_add_f64_e32 v[175:176], v[175:176], v[183:184]
	v_add_f64_e32 v[177:178], v[177:178], v[181:182]
	v_fma_f64 v[181:182], v[4:5], v[26:27], v[185:186]
	v_fma_f64 v[183:184], v[2:3], v[26:27], -v[28:29]
	ds_load_b128 v[2:5], v1 offset:1280
	scratch_load_b128 v[26:29], off, off offset:496
	v_fma_f64 v[173:174], v[173:174], v[30:31], v[179:180]
	v_fma_f64 v[171:172], v[171:172], v[30:31], -v[32:33]
	scratch_load_b128 v[30:33], off, off offset:512
	v_add_f64_e32 v[175:176], v[175:176], v[38:39]
	v_add_f64_e32 v[177:178], v[177:178], v[40:41]
	ds_load_b128 v[38:41], v1 offset:1296
	s_wait_loadcnt_dscnt 0xa01
	v_mul_f64_e32 v[185:186], v[2:3], v[36:37]
	v_mul_f64_e32 v[36:37], v[4:5], v[36:37]
	s_wait_loadcnt_dscnt 0x800
	v_mul_f64_e32 v[179:180], v[38:39], v[169:170]
	v_add_f64_e32 v[175:176], v[175:176], v[183:184]
	v_add_f64_e32 v[177:178], v[177:178], v[181:182]
	v_mul_f64_e32 v[181:182], v[40:41], v[169:170]
	v_fma_f64 v[183:184], v[4:5], v[34:35], v[185:186]
	v_fma_f64 v[185:186], v[2:3], v[34:35], -v[36:37]
	ds_load_b128 v[2:5], v1 offset:1312
	scratch_load_b128 v[34:37], off, off offset:528
	v_fma_f64 v[179:180], v[40:41], v[167:168], v[179:180]
	v_add_f64_e32 v[175:176], v[175:176], v[171:172]
	v_add_f64_e32 v[173:174], v[177:178], v[173:174]
	ds_load_b128 v[169:172], v1 offset:1328
	v_fma_f64 v[167:168], v[38:39], v[167:168], -v[181:182]
	scratch_load_b128 v[38:41], off, off offset:544
	s_wait_loadcnt_dscnt 0x901
	v_mul_f64_e32 v[177:178], v[2:3], v[44:45]
	v_mul_f64_e32 v[44:45], v[4:5], v[44:45]
	s_wait_loadcnt_dscnt 0x800
	v_mul_f64_e32 v[181:182], v[169:170], v[8:9]
	v_mul_f64_e32 v[8:9], v[171:172], v[8:9]
	v_add_f64_e32 v[175:176], v[175:176], v[185:186]
	v_add_f64_e32 v[173:174], v[173:174], v[183:184]
	v_fma_f64 v[177:178], v[4:5], v[42:43], v[177:178]
	v_fma_f64 v[183:184], v[2:3], v[42:43], -v[44:45]
	ds_load_b128 v[2:5], v1 offset:1344
	scratch_load_b128 v[42:45], off, off offset:560
	v_fma_f64 v[171:172], v[171:172], v[6:7], v[181:182]
	v_fma_f64 v[169:170], v[169:170], v[6:7], -v[8:9]
	scratch_load_b128 v[6:9], off, off offset:576
	v_add_f64_e32 v[167:168], v[175:176], v[167:168]
	v_add_f64_e32 v[179:180], v[173:174], v[179:180]
	ds_load_b128 v[173:176], v1 offset:1360
	s_wait_loadcnt_dscnt 0x901
	v_mul_f64_e32 v[185:186], v[2:3], v[12:13]
	v_mul_f64_e32 v[12:13], v[4:5], v[12:13]
	v_add_f64_e32 v[167:168], v[167:168], v[183:184]
	v_add_f64_e32 v[177:178], v[179:180], v[177:178]
	s_wait_loadcnt_dscnt 0x800
	v_mul_f64_e32 v[179:180], v[173:174], v[16:17]
	v_mul_f64_e32 v[16:17], v[175:176], v[16:17]
	v_fma_f64 v[181:182], v[4:5], v[10:11], v[185:186]
	v_fma_f64 v[183:184], v[2:3], v[10:11], -v[12:13]
	ds_load_b128 v[2:5], v1 offset:1376
	scratch_load_b128 v[10:13], off, off offset:592
	v_add_f64_e32 v[185:186], v[167:168], v[169:170]
	v_add_f64_e32 v[171:172], v[177:178], v[171:172]
	ds_load_b128 v[167:170], v1 offset:1392
	s_wait_loadcnt_dscnt 0x801
	v_mul_f64_e32 v[177:178], v[2:3], v[20:21]
	v_mul_f64_e32 v[20:21], v[4:5], v[20:21]
	v_fma_f64 v[175:176], v[175:176], v[14:15], v[179:180]
	v_fma_f64 v[173:174], v[173:174], v[14:15], -v[16:17]
	scratch_load_b128 v[14:17], off, off offset:608
	v_add_f64_e32 v[179:180], v[185:186], v[183:184]
	v_add_f64_e32 v[171:172], v[171:172], v[181:182]
	s_wait_loadcnt_dscnt 0x800
	v_mul_f64_e32 v[181:182], v[167:168], v[24:25]
	v_mul_f64_e32 v[24:25], v[169:170], v[24:25]
	v_fma_f64 v[177:178], v[4:5], v[18:19], v[177:178]
	v_fma_f64 v[183:184], v[2:3], v[18:19], -v[20:21]
	ds_load_b128 v[2:5], v1 offset:1408
	scratch_load_b128 v[18:21], off, off offset:624
	v_add_f64_e32 v[179:180], v[179:180], v[173:174]
	v_add_f64_e32 v[175:176], v[171:172], v[175:176]
	ds_load_b128 v[171:174], v1 offset:1424
	s_wait_loadcnt_dscnt 0x801
	v_mul_f64_e32 v[185:186], v[2:3], v[28:29]
	v_mul_f64_e32 v[28:29], v[4:5], v[28:29]
	v_fma_f64 v[169:170], v[169:170], v[22:23], v[181:182]
	v_fma_f64 v[167:168], v[167:168], v[22:23], -v[24:25]
	scratch_load_b128 v[22:25], off, off offset:640
	;; [unrolled: 18-line block ×4, first 2 shown]
	s_wait_loadcnt_dscnt 0x800
	v_mul_f64_e32 v[179:180], v[171:172], v[8:9]
	v_mul_f64_e32 v[8:9], v[173:174], v[8:9]
	v_add_f64_e32 v[177:178], v[177:178], v[183:184]
	v_add_f64_e32 v[175:176], v[175:176], v[181:182]
	v_fma_f64 v[181:182], v[4:5], v[42:43], v[185:186]
	v_fma_f64 v[183:184], v[2:3], v[42:43], -v[44:45]
	ds_load_b128 v[2:5], v1 offset:1504
	scratch_load_b128 v[42:45], off, off offset:720
	v_fma_f64 v[173:174], v[173:174], v[6:7], v[179:180]
	v_fma_f64 v[171:172], v[171:172], v[6:7], -v[8:9]
	scratch_load_b128 v[6:9], off, off offset:736
	v_add_f64_e32 v[177:178], v[177:178], v[167:168]
	v_add_f64_e32 v[175:176], v[175:176], v[169:170]
	ds_load_b128 v[167:170], v1 offset:1520
	s_wait_loadcnt_dscnt 0x901
	v_mul_f64_e32 v[185:186], v[2:3], v[12:13]
	v_mul_f64_e32 v[12:13], v[4:5], v[12:13]
	s_wait_loadcnt_dscnt 0x800
	v_mul_f64_e32 v[179:180], v[167:168], v[16:17]
	v_mul_f64_e32 v[16:17], v[169:170], v[16:17]
	v_add_f64_e32 v[177:178], v[177:178], v[183:184]
	v_add_f64_e32 v[175:176], v[175:176], v[181:182]
	v_fma_f64 v[181:182], v[4:5], v[10:11], v[185:186]
	v_fma_f64 v[183:184], v[2:3], v[10:11], -v[12:13]
	ds_load_b128 v[2:5], v1 offset:1536
	scratch_load_b128 v[10:13], off, off offset:752
	v_fma_f64 v[169:170], v[169:170], v[14:15], v[179:180]
	v_fma_f64 v[167:168], v[167:168], v[14:15], -v[16:17]
	scratch_load_b128 v[14:17], off, off offset:768
	v_add_f64_e32 v[177:178], v[177:178], v[171:172]
	v_add_f64_e32 v[175:176], v[175:176], v[173:174]
	ds_load_b128 v[171:174], v1 offset:1552
	s_wait_loadcnt_dscnt 0x901
	v_mul_f64_e32 v[185:186], v[2:3], v[20:21]
	v_mul_f64_e32 v[20:21], v[4:5], v[20:21]
	;; [unrolled: 18-line block ×7, first 2 shown]
	s_wait_loadcnt_dscnt 0x800
	v_mul_f64_e32 v[179:180], v[167:168], v[24:25]
	v_mul_f64_e32 v[24:25], v[169:170], v[24:25]
	v_add_f64_e32 v[177:178], v[177:178], v[183:184]
	v_add_f64_e32 v[175:176], v[175:176], v[181:182]
	v_fma_f64 v[181:182], v[4:5], v[18:19], v[185:186]
	v_fma_f64 v[183:184], v[2:3], v[18:19], -v[20:21]
	ds_load_b128 v[2:5], v1 offset:1728
	ds_load_b128 v[18:21], v1 offset:1744
	v_fma_f64 v[169:170], v[169:170], v[22:23], v[179:180]
	v_fma_f64 v[22:23], v[167:168], v[22:23], -v[24:25]
	v_add_f64_e32 v[171:172], v[177:178], v[171:172]
	v_add_f64_e32 v[173:174], v[175:176], v[173:174]
	s_wait_loadcnt_dscnt 0x701
	v_mul_f64_e32 v[175:176], v[2:3], v[28:29]
	v_mul_f64_e32 v[28:29], v[4:5], v[28:29]
	s_delay_alu instid0(VALU_DEP_4) | instskip(NEXT) | instid1(VALU_DEP_4)
	v_add_f64_e32 v[24:25], v[171:172], v[183:184]
	v_add_f64_e32 v[167:168], v[173:174], v[181:182]
	s_wait_loadcnt_dscnt 0x600
	v_mul_f64_e32 v[171:172], v[18:19], v[32:33]
	v_mul_f64_e32 v[32:33], v[20:21], v[32:33]
	v_fma_f64 v[173:174], v[4:5], v[26:27], v[175:176]
	v_fma_f64 v[26:27], v[2:3], v[26:27], -v[28:29]
	v_add_f64_e32 v[28:29], v[24:25], v[22:23]
	v_add_f64_e32 v[167:168], v[167:168], v[169:170]
	ds_load_b128 v[2:5], v1 offset:1760
	ds_load_b128 v[22:25], v1 offset:1776
	v_fma_f64 v[20:21], v[20:21], v[30:31], v[171:172]
	v_fma_f64 v[18:19], v[18:19], v[30:31], -v[32:33]
	s_wait_loadcnt_dscnt 0x501
	v_mul_f64_e32 v[169:170], v[2:3], v[36:37]
	v_mul_f64_e32 v[36:37], v[4:5], v[36:37]
	s_wait_loadcnt_dscnt 0x400
	v_mul_f64_e32 v[30:31], v[22:23], v[40:41]
	v_mul_f64_e32 v[32:33], v[24:25], v[40:41]
	v_add_f64_e32 v[26:27], v[28:29], v[26:27]
	v_add_f64_e32 v[28:29], v[167:168], v[173:174]
	v_fma_f64 v[40:41], v[4:5], v[34:35], v[169:170]
	v_fma_f64 v[34:35], v[2:3], v[34:35], -v[36:37]
	v_fma_f64 v[24:25], v[24:25], v[38:39], v[30:31]
	v_fma_f64 v[22:23], v[22:23], v[38:39], -v[32:33]
	v_add_f64_e32 v[26:27], v[26:27], v[18:19]
	v_add_f64_e32 v[28:29], v[28:29], v[20:21]
	ds_load_b128 v[2:5], v1 offset:1792
	ds_load_b128 v[18:21], v1 offset:1808
	s_wait_loadcnt_dscnt 0x301
	v_mul_f64_e32 v[36:37], v[2:3], v[44:45]
	v_mul_f64_e32 v[44:45], v[4:5], v[44:45]
	s_wait_loadcnt_dscnt 0x200
	v_mul_f64_e32 v[30:31], v[18:19], v[8:9]
	v_mul_f64_e32 v[8:9], v[20:21], v[8:9]
	v_add_f64_e32 v[26:27], v[26:27], v[34:35]
	v_add_f64_e32 v[28:29], v[28:29], v[40:41]
	v_fma_f64 v[32:33], v[4:5], v[42:43], v[36:37]
	v_fma_f64 v[34:35], v[2:3], v[42:43], -v[44:45]
	v_fma_f64 v[20:21], v[20:21], v[6:7], v[30:31]
	v_fma_f64 v[6:7], v[18:19], v[6:7], -v[8:9]
	v_add_f64_e32 v[26:27], v[26:27], v[22:23]
	v_add_f64_e32 v[28:29], v[28:29], v[24:25]
	ds_load_b128 v[2:5], v1 offset:1824
	ds_load_b128 v[22:25], v1 offset:1840
	s_wait_loadcnt_dscnt 0x101
	v_mul_f64_e32 v[36:37], v[2:3], v[12:13]
	v_mul_f64_e32 v[12:13], v[4:5], v[12:13]
	v_add_f64_e32 v[8:9], v[26:27], v[34:35]
	v_add_f64_e32 v[18:19], v[28:29], v[32:33]
	s_wait_loadcnt_dscnt 0x0
	v_mul_f64_e32 v[26:27], v[22:23], v[16:17]
	v_mul_f64_e32 v[16:17], v[24:25], v[16:17]
	v_fma_f64 v[4:5], v[4:5], v[10:11], v[36:37]
	v_fma_f64 v[1:2], v[2:3], v[10:11], -v[12:13]
	v_add_f64_e32 v[6:7], v[8:9], v[6:7]
	v_add_f64_e32 v[8:9], v[18:19], v[20:21]
	v_fma_f64 v[10:11], v[24:25], v[14:15], v[26:27]
	v_fma_f64 v[12:13], v[22:23], v[14:15], -v[16:17]
	s_delay_alu instid0(VALU_DEP_4) | instskip(NEXT) | instid1(VALU_DEP_4)
	v_add_f64_e32 v[1:2], v[6:7], v[1:2]
	v_add_f64_e32 v[3:4], v[8:9], v[4:5]
	s_delay_alu instid0(VALU_DEP_2) | instskip(NEXT) | instid1(VALU_DEP_2)
	v_add_f64_e32 v[1:2], v[1:2], v[12:13]
	v_add_f64_e32 v[3:4], v[3:4], v[10:11]
	s_delay_alu instid0(VALU_DEP_2) | instskip(NEXT) | instid1(VALU_DEP_2)
	v_add_f64_e64 v[1:2], v[163:164], -v[1:2]
	v_add_f64_e64 v[3:4], v[165:166], -v[3:4]
	scratch_store_b128 off, v[1:4], off offset:224
	v_cmpx_lt_u32_e32 12, v0
	s_cbranch_execz .LBB57_337
; %bb.336:
	scratch_load_b128 v[1:4], off, s59
	v_mov_b32_e32 v5, 0
	s_delay_alu instid0(VALU_DEP_1)
	v_dual_mov_b32 v6, v5 :: v_dual_mov_b32 v7, v5
	v_mov_b32_e32 v8, v5
	scratch_store_b128 off, v[5:8], off offset:208
	s_wait_loadcnt 0x0
	ds_store_b128 v162, v[1:4]
.LBB57_337:
	s_wait_alu 0xfffe
	s_or_b32 exec_lo, exec_lo, s0
	s_wait_storecnt_dscnt 0x0
	s_barrier_signal -1
	s_barrier_wait -1
	global_inv scope:SCOPE_SE
	s_clause 0x7
	scratch_load_b128 v[2:5], off, off offset:224
	scratch_load_b128 v[6:9], off, off offset:240
	;; [unrolled: 1-line block ×8, first 2 shown]
	v_mov_b32_e32 v1, 0
	s_mov_b32 s0, exec_lo
	ds_load_b128 v[38:41], v1 offset:1136
	s_clause 0x1
	scratch_load_b128 v[34:37], off, off offset:352
	scratch_load_b128 v[42:45], off, off offset:208
	ds_load_b128 v[163:166], v1 offset:1152
	scratch_load_b128 v[167:170], off, off offset:368
	s_wait_loadcnt_dscnt 0xa01
	v_mul_f64_e32 v[171:172], v[40:41], v[4:5]
	v_mul_f64_e32 v[4:5], v[38:39], v[4:5]
	s_delay_alu instid0(VALU_DEP_2) | instskip(NEXT) | instid1(VALU_DEP_2)
	v_fma_f64 v[177:178], v[38:39], v[2:3], -v[171:172]
	v_fma_f64 v[179:180], v[40:41], v[2:3], v[4:5]
	ds_load_b128 v[2:5], v1 offset:1168
	s_wait_loadcnt_dscnt 0x901
	v_mul_f64_e32 v[175:176], v[163:164], v[8:9]
	v_mul_f64_e32 v[8:9], v[165:166], v[8:9]
	scratch_load_b128 v[38:41], off, off offset:384
	ds_load_b128 v[171:174], v1 offset:1184
	s_wait_loadcnt_dscnt 0x901
	v_mul_f64_e32 v[181:182], v[2:3], v[12:13]
	v_mul_f64_e32 v[12:13], v[4:5], v[12:13]
	v_fma_f64 v[165:166], v[165:166], v[6:7], v[175:176]
	v_fma_f64 v[163:164], v[163:164], v[6:7], -v[8:9]
	v_add_f64_e32 v[175:176], 0, v[177:178]
	v_add_f64_e32 v[177:178], 0, v[179:180]
	scratch_load_b128 v[6:9], off, off offset:400
	v_fma_f64 v[181:182], v[4:5], v[10:11], v[181:182]
	v_fma_f64 v[183:184], v[2:3], v[10:11], -v[12:13]
	ds_load_b128 v[2:5], v1 offset:1200
	s_wait_loadcnt_dscnt 0x901
	v_mul_f64_e32 v[179:180], v[171:172], v[16:17]
	v_mul_f64_e32 v[16:17], v[173:174], v[16:17]
	scratch_load_b128 v[10:13], off, off offset:416
	v_add_f64_e32 v[175:176], v[175:176], v[163:164]
	v_add_f64_e32 v[177:178], v[177:178], v[165:166]
	s_wait_loadcnt_dscnt 0x900
	v_mul_f64_e32 v[185:186], v[2:3], v[20:21]
	v_mul_f64_e32 v[20:21], v[4:5], v[20:21]
	ds_load_b128 v[163:166], v1 offset:1216
	v_fma_f64 v[173:174], v[173:174], v[14:15], v[179:180]
	v_fma_f64 v[171:172], v[171:172], v[14:15], -v[16:17]
	scratch_load_b128 v[14:17], off, off offset:432
	v_add_f64_e32 v[175:176], v[175:176], v[183:184]
	v_add_f64_e32 v[177:178], v[177:178], v[181:182]
	v_fma_f64 v[181:182], v[4:5], v[18:19], v[185:186]
	v_fma_f64 v[183:184], v[2:3], v[18:19], -v[20:21]
	ds_load_b128 v[2:5], v1 offset:1232
	s_wait_loadcnt_dscnt 0x901
	v_mul_f64_e32 v[179:180], v[163:164], v[24:25]
	v_mul_f64_e32 v[24:25], v[165:166], v[24:25]
	scratch_load_b128 v[18:21], off, off offset:448
	s_wait_loadcnt_dscnt 0x900
	v_mul_f64_e32 v[185:186], v[2:3], v[28:29]
	v_mul_f64_e32 v[28:29], v[4:5], v[28:29]
	v_add_f64_e32 v[175:176], v[175:176], v[171:172]
	v_add_f64_e32 v[177:178], v[177:178], v[173:174]
	ds_load_b128 v[171:174], v1 offset:1248
	v_fma_f64 v[165:166], v[165:166], v[22:23], v[179:180]
	v_fma_f64 v[163:164], v[163:164], v[22:23], -v[24:25]
	scratch_load_b128 v[22:25], off, off offset:464
	v_add_f64_e32 v[175:176], v[175:176], v[183:184]
	v_add_f64_e32 v[177:178], v[177:178], v[181:182]
	v_fma_f64 v[181:182], v[4:5], v[26:27], v[185:186]
	v_fma_f64 v[183:184], v[2:3], v[26:27], -v[28:29]
	ds_load_b128 v[2:5], v1 offset:1264
	s_wait_loadcnt_dscnt 0x901
	v_mul_f64_e32 v[179:180], v[171:172], v[32:33]
	v_mul_f64_e32 v[32:33], v[173:174], v[32:33]
	scratch_load_b128 v[26:29], off, off offset:480
	s_wait_loadcnt_dscnt 0x900
	v_mul_f64_e32 v[185:186], v[2:3], v[36:37]
	v_mul_f64_e32 v[36:37], v[4:5], v[36:37]
	v_add_f64_e32 v[175:176], v[175:176], v[163:164]
	v_add_f64_e32 v[177:178], v[177:178], v[165:166]
	ds_load_b128 v[163:166], v1 offset:1280
	v_fma_f64 v[173:174], v[173:174], v[30:31], v[179:180]
	v_fma_f64 v[171:172], v[171:172], v[30:31], -v[32:33]
	scratch_load_b128 v[30:33], off, off offset:496
	v_add_f64_e32 v[175:176], v[175:176], v[183:184]
	v_add_f64_e32 v[177:178], v[177:178], v[181:182]
	v_fma_f64 v[183:184], v[4:5], v[34:35], v[185:186]
	v_fma_f64 v[185:186], v[2:3], v[34:35], -v[36:37]
	ds_load_b128 v[2:5], v1 offset:1296
	s_wait_loadcnt_dscnt 0x801
	v_mul_f64_e32 v[179:180], v[163:164], v[169:170]
	v_mul_f64_e32 v[181:182], v[165:166], v[169:170]
	scratch_load_b128 v[34:37], off, off offset:512
	v_add_f64_e32 v[175:176], v[175:176], v[171:172]
	v_add_f64_e32 v[173:174], v[177:178], v[173:174]
	ds_load_b128 v[169:172], v1 offset:1312
	v_fma_f64 v[179:180], v[165:166], v[167:168], v[179:180]
	v_fma_f64 v[167:168], v[163:164], v[167:168], -v[181:182]
	scratch_load_b128 v[163:166], off, off offset:528
	s_wait_loadcnt_dscnt 0x901
	v_mul_f64_e32 v[177:178], v[2:3], v[40:41]
	v_mul_f64_e32 v[40:41], v[4:5], v[40:41]
	v_add_f64_e32 v[175:176], v[175:176], v[185:186]
	v_add_f64_e32 v[173:174], v[173:174], v[183:184]
	s_delay_alu instid0(VALU_DEP_4) | instskip(NEXT) | instid1(VALU_DEP_4)
	v_fma_f64 v[177:178], v[4:5], v[38:39], v[177:178]
	v_fma_f64 v[183:184], v[2:3], v[38:39], -v[40:41]
	ds_load_b128 v[2:5], v1 offset:1328
	s_wait_loadcnt_dscnt 0x801
	v_mul_f64_e32 v[181:182], v[169:170], v[8:9]
	v_mul_f64_e32 v[8:9], v[171:172], v[8:9]
	scratch_load_b128 v[38:41], off, off offset:544
	s_wait_loadcnt_dscnt 0x800
	v_mul_f64_e32 v[185:186], v[2:3], v[12:13]
	v_add_f64_e32 v[167:168], v[175:176], v[167:168]
	v_add_f64_e32 v[179:180], v[173:174], v[179:180]
	v_mul_f64_e32 v[12:13], v[4:5], v[12:13]
	ds_load_b128 v[173:176], v1 offset:1344
	v_fma_f64 v[171:172], v[171:172], v[6:7], v[181:182]
	v_fma_f64 v[169:170], v[169:170], v[6:7], -v[8:9]
	scratch_load_b128 v[6:9], off, off offset:560
	v_fma_f64 v[181:182], v[4:5], v[10:11], v[185:186]
	v_add_f64_e32 v[167:168], v[167:168], v[183:184]
	v_add_f64_e32 v[177:178], v[179:180], v[177:178]
	v_fma_f64 v[183:184], v[2:3], v[10:11], -v[12:13]
	ds_load_b128 v[2:5], v1 offset:1360
	s_wait_loadcnt_dscnt 0x801
	v_mul_f64_e32 v[179:180], v[173:174], v[16:17]
	v_mul_f64_e32 v[16:17], v[175:176], v[16:17]
	scratch_load_b128 v[10:13], off, off offset:576
	v_add_f64_e32 v[185:186], v[167:168], v[169:170]
	v_add_f64_e32 v[171:172], v[177:178], v[171:172]
	s_wait_loadcnt_dscnt 0x800
	v_mul_f64_e32 v[177:178], v[2:3], v[20:21]
	v_mul_f64_e32 v[20:21], v[4:5], v[20:21]
	v_fma_f64 v[175:176], v[175:176], v[14:15], v[179:180]
	v_fma_f64 v[173:174], v[173:174], v[14:15], -v[16:17]
	ds_load_b128 v[167:170], v1 offset:1376
	scratch_load_b128 v[14:17], off, off offset:592
	v_add_f64_e32 v[179:180], v[185:186], v[183:184]
	v_add_f64_e32 v[171:172], v[171:172], v[181:182]
	v_fma_f64 v[177:178], v[4:5], v[18:19], v[177:178]
	v_fma_f64 v[183:184], v[2:3], v[18:19], -v[20:21]
	ds_load_b128 v[2:5], v1 offset:1392
	s_wait_loadcnt_dscnt 0x801
	v_mul_f64_e32 v[181:182], v[167:168], v[24:25]
	v_mul_f64_e32 v[24:25], v[169:170], v[24:25]
	scratch_load_b128 v[18:21], off, off offset:608
	s_wait_loadcnt_dscnt 0x800
	v_mul_f64_e32 v[185:186], v[2:3], v[28:29]
	v_mul_f64_e32 v[28:29], v[4:5], v[28:29]
	v_add_f64_e32 v[179:180], v[179:180], v[173:174]
	v_add_f64_e32 v[175:176], v[171:172], v[175:176]
	ds_load_b128 v[171:174], v1 offset:1408
	v_fma_f64 v[169:170], v[169:170], v[22:23], v[181:182]
	v_fma_f64 v[167:168], v[167:168], v[22:23], -v[24:25]
	scratch_load_b128 v[22:25], off, off offset:624
	v_fma_f64 v[181:182], v[4:5], v[26:27], v[185:186]
	v_add_f64_e32 v[179:180], v[179:180], v[183:184]
	v_add_f64_e32 v[175:176], v[175:176], v[177:178]
	v_fma_f64 v[183:184], v[2:3], v[26:27], -v[28:29]
	ds_load_b128 v[2:5], v1 offset:1424
	s_wait_loadcnt_dscnt 0x801
	v_mul_f64_e32 v[177:178], v[171:172], v[32:33]
	v_mul_f64_e32 v[32:33], v[173:174], v[32:33]
	scratch_load_b128 v[26:29], off, off offset:640
	s_wait_loadcnt_dscnt 0x800
	v_mul_f64_e32 v[185:186], v[2:3], v[36:37]
	v_mul_f64_e32 v[36:37], v[4:5], v[36:37]
	v_add_f64_e32 v[179:180], v[179:180], v[167:168]
	v_add_f64_e32 v[175:176], v[175:176], v[169:170]
	ds_load_b128 v[167:170], v1 offset:1440
	v_fma_f64 v[173:174], v[173:174], v[30:31], v[177:178]
	v_fma_f64 v[171:172], v[171:172], v[30:31], -v[32:33]
	scratch_load_b128 v[30:33], off, off offset:656
	v_add_f64_e32 v[177:178], v[179:180], v[183:184]
	v_add_f64_e32 v[175:176], v[175:176], v[181:182]
	v_fma_f64 v[181:182], v[4:5], v[34:35], v[185:186]
	v_fma_f64 v[183:184], v[2:3], v[34:35], -v[36:37]
	ds_load_b128 v[2:5], v1 offset:1456
	s_wait_loadcnt_dscnt 0x801
	v_mul_f64_e32 v[179:180], v[167:168], v[165:166]
	v_mul_f64_e32 v[165:166], v[169:170], v[165:166]
	scratch_load_b128 v[34:37], off, off offset:672
	s_wait_loadcnt_dscnt 0x800
	v_mul_f64_e32 v[185:186], v[2:3], v[40:41]
	v_mul_f64_e32 v[40:41], v[4:5], v[40:41]
	v_add_f64_e32 v[177:178], v[177:178], v[171:172]
	v_add_f64_e32 v[175:176], v[175:176], v[173:174]
	ds_load_b128 v[171:174], v1 offset:1472
	v_fma_f64 v[169:170], v[169:170], v[163:164], v[179:180]
	v_fma_f64 v[167:168], v[167:168], v[163:164], -v[165:166]
	scratch_load_b128 v[163:166], off, off offset:688
	v_add_f64_e32 v[177:178], v[177:178], v[183:184]
	v_add_f64_e32 v[175:176], v[175:176], v[181:182]
	v_fma_f64 v[181:182], v[4:5], v[38:39], v[185:186]
	v_fma_f64 v[183:184], v[2:3], v[38:39], -v[40:41]
	ds_load_b128 v[2:5], v1 offset:1488
	s_wait_loadcnt_dscnt 0x801
	v_mul_f64_e32 v[179:180], v[171:172], v[8:9]
	v_mul_f64_e32 v[8:9], v[173:174], v[8:9]
	scratch_load_b128 v[38:41], off, off offset:704
	s_wait_loadcnt_dscnt 0x800
	v_mul_f64_e32 v[185:186], v[2:3], v[12:13]
	v_mul_f64_e32 v[12:13], v[4:5], v[12:13]
	v_add_f64_e32 v[177:178], v[177:178], v[167:168]
	v_add_f64_e32 v[175:176], v[175:176], v[169:170]
	ds_load_b128 v[167:170], v1 offset:1504
	v_fma_f64 v[173:174], v[173:174], v[6:7], v[179:180]
	v_fma_f64 v[171:172], v[171:172], v[6:7], -v[8:9]
	scratch_load_b128 v[6:9], off, off offset:720
	v_add_f64_e32 v[177:178], v[177:178], v[183:184]
	v_add_f64_e32 v[175:176], v[175:176], v[181:182]
	v_fma_f64 v[181:182], v[4:5], v[10:11], v[185:186]
	v_fma_f64 v[183:184], v[2:3], v[10:11], -v[12:13]
	ds_load_b128 v[2:5], v1 offset:1520
	s_wait_loadcnt_dscnt 0x801
	v_mul_f64_e32 v[179:180], v[167:168], v[16:17]
	v_mul_f64_e32 v[16:17], v[169:170], v[16:17]
	scratch_load_b128 v[10:13], off, off offset:736
	s_wait_loadcnt_dscnt 0x800
	v_mul_f64_e32 v[185:186], v[2:3], v[20:21]
	v_mul_f64_e32 v[20:21], v[4:5], v[20:21]
	v_add_f64_e32 v[177:178], v[177:178], v[171:172]
	v_add_f64_e32 v[175:176], v[175:176], v[173:174]
	ds_load_b128 v[171:174], v1 offset:1536
	v_fma_f64 v[169:170], v[169:170], v[14:15], v[179:180]
	v_fma_f64 v[167:168], v[167:168], v[14:15], -v[16:17]
	scratch_load_b128 v[14:17], off, off offset:752
	v_add_f64_e32 v[177:178], v[177:178], v[183:184]
	v_add_f64_e32 v[175:176], v[175:176], v[181:182]
	v_fma_f64 v[181:182], v[4:5], v[18:19], v[185:186]
	v_fma_f64 v[183:184], v[2:3], v[18:19], -v[20:21]
	ds_load_b128 v[2:5], v1 offset:1552
	s_wait_loadcnt_dscnt 0x801
	v_mul_f64_e32 v[179:180], v[171:172], v[24:25]
	v_mul_f64_e32 v[24:25], v[173:174], v[24:25]
	scratch_load_b128 v[18:21], off, off offset:768
	s_wait_loadcnt_dscnt 0x800
	v_mul_f64_e32 v[185:186], v[2:3], v[28:29]
	v_mul_f64_e32 v[28:29], v[4:5], v[28:29]
	v_add_f64_e32 v[177:178], v[177:178], v[167:168]
	v_add_f64_e32 v[175:176], v[175:176], v[169:170]
	ds_load_b128 v[167:170], v1 offset:1568
	v_fma_f64 v[173:174], v[173:174], v[22:23], v[179:180]
	v_fma_f64 v[171:172], v[171:172], v[22:23], -v[24:25]
	scratch_load_b128 v[22:25], off, off offset:784
	v_add_f64_e32 v[177:178], v[177:178], v[183:184]
	v_add_f64_e32 v[175:176], v[175:176], v[181:182]
	v_fma_f64 v[181:182], v[4:5], v[26:27], v[185:186]
	v_fma_f64 v[183:184], v[2:3], v[26:27], -v[28:29]
	ds_load_b128 v[2:5], v1 offset:1584
	s_wait_loadcnt_dscnt 0x801
	v_mul_f64_e32 v[179:180], v[167:168], v[32:33]
	v_mul_f64_e32 v[32:33], v[169:170], v[32:33]
	scratch_load_b128 v[26:29], off, off offset:800
	s_wait_loadcnt_dscnt 0x800
	v_mul_f64_e32 v[185:186], v[2:3], v[36:37]
	v_mul_f64_e32 v[36:37], v[4:5], v[36:37]
	v_add_f64_e32 v[177:178], v[177:178], v[171:172]
	v_add_f64_e32 v[175:176], v[175:176], v[173:174]
	ds_load_b128 v[171:174], v1 offset:1600
	v_fma_f64 v[169:170], v[169:170], v[30:31], v[179:180]
	v_fma_f64 v[167:168], v[167:168], v[30:31], -v[32:33]
	scratch_load_b128 v[30:33], off, off offset:816
	v_add_f64_e32 v[177:178], v[177:178], v[183:184]
	v_add_f64_e32 v[175:176], v[175:176], v[181:182]
	v_fma_f64 v[183:184], v[4:5], v[34:35], v[185:186]
	v_fma_f64 v[185:186], v[2:3], v[34:35], -v[36:37]
	ds_load_b128 v[2:5], v1 offset:1616
	s_wait_loadcnt_dscnt 0x801
	v_mul_f64_e32 v[179:180], v[171:172], v[165:166]
	v_mul_f64_e32 v[181:182], v[173:174], v[165:166]
	scratch_load_b128 v[34:37], off, off offset:832
	v_add_f64_e32 v[177:178], v[177:178], v[167:168]
	v_add_f64_e32 v[169:170], v[175:176], v[169:170]
	s_wait_loadcnt_dscnt 0x800
	v_mul_f64_e32 v[175:176], v[2:3], v[40:41]
	v_mul_f64_e32 v[40:41], v[4:5], v[40:41]
	ds_load_b128 v[165:168], v1 offset:1632
	v_fma_f64 v[173:174], v[173:174], v[163:164], v[179:180]
	v_fma_f64 v[163:164], v[171:172], v[163:164], -v[181:182]
	v_add_f64_e32 v[177:178], v[177:178], v[185:186]
	v_add_f64_e32 v[179:180], v[169:170], v[183:184]
	scratch_load_b128 v[169:172], off, off offset:848
	v_fma_f64 v[183:184], v[4:5], v[38:39], v[175:176]
	v_fma_f64 v[185:186], v[2:3], v[38:39], -v[40:41]
	ds_load_b128 v[2:5], v1 offset:1648
	s_wait_loadcnt_dscnt 0x801
	v_mul_f64_e32 v[181:182], v[165:166], v[8:9]
	v_mul_f64_e32 v[8:9], v[167:168], v[8:9]
	scratch_load_b128 v[38:41], off, off offset:864
	v_add_f64_e32 v[163:164], v[177:178], v[163:164]
	v_add_f64_e32 v[177:178], v[179:180], v[173:174]
	s_wait_loadcnt_dscnt 0x800
	v_mul_f64_e32 v[179:180], v[2:3], v[12:13]
	v_mul_f64_e32 v[12:13], v[4:5], v[12:13]
	ds_load_b128 v[173:176], v1 offset:1664
	v_fma_f64 v[167:168], v[167:168], v[6:7], v[181:182]
	v_fma_f64 v[165:166], v[165:166], v[6:7], -v[8:9]
	scratch_load_b128 v[6:9], off, off offset:880
	v_add_f64_e32 v[163:164], v[163:164], v[185:186]
	v_add_f64_e32 v[177:178], v[177:178], v[183:184]
	v_fma_f64 v[179:180], v[4:5], v[10:11], v[179:180]
	v_fma_f64 v[183:184], v[2:3], v[10:11], -v[12:13]
	ds_load_b128 v[2:5], v1 offset:1680
	s_wait_loadcnt_dscnt 0x801
	v_mul_f64_e32 v[181:182], v[173:174], v[16:17]
	v_mul_f64_e32 v[16:17], v[175:176], v[16:17]
	scratch_load_b128 v[10:13], off, off offset:896
	v_add_f64_e32 v[185:186], v[163:164], v[165:166]
	v_add_f64_e32 v[167:168], v[177:178], v[167:168]
	s_wait_loadcnt_dscnt 0x800
	v_mul_f64_e32 v[177:178], v[2:3], v[20:21]
	v_mul_f64_e32 v[20:21], v[4:5], v[20:21]
	ds_load_b128 v[163:166], v1 offset:1696
	v_fma_f64 v[175:176], v[175:176], v[14:15], v[181:182]
	v_fma_f64 v[173:174], v[173:174], v[14:15], -v[16:17]
	scratch_load_b128 v[14:17], off, off offset:912
	v_add_f64_e32 v[181:182], v[185:186], v[183:184]
	v_add_f64_e32 v[167:168], v[167:168], v[179:180]
	v_fma_f64 v[177:178], v[4:5], v[18:19], v[177:178]
	v_fma_f64 v[183:184], v[2:3], v[18:19], -v[20:21]
	ds_load_b128 v[2:5], v1 offset:1712
	s_wait_loadcnt_dscnt 0x801
	v_mul_f64_e32 v[179:180], v[163:164], v[24:25]
	v_mul_f64_e32 v[24:25], v[165:166], v[24:25]
	scratch_load_b128 v[18:21], off, off offset:928
	s_wait_loadcnt_dscnt 0x800
	v_mul_f64_e32 v[185:186], v[2:3], v[28:29]
	v_mul_f64_e32 v[28:29], v[4:5], v[28:29]
	v_add_f64_e32 v[181:182], v[181:182], v[173:174]
	v_add_f64_e32 v[167:168], v[167:168], v[175:176]
	ds_load_b128 v[173:176], v1 offset:1728
	v_fma_f64 v[165:166], v[165:166], v[22:23], v[179:180]
	v_fma_f64 v[22:23], v[163:164], v[22:23], -v[24:25]
	v_add_f64_e32 v[24:25], v[181:182], v[183:184]
	v_add_f64_e32 v[163:164], v[167:168], v[177:178]
	s_wait_loadcnt_dscnt 0x700
	v_mul_f64_e32 v[167:168], v[173:174], v[32:33]
	v_mul_f64_e32 v[32:33], v[175:176], v[32:33]
	v_fma_f64 v[177:178], v[4:5], v[26:27], v[185:186]
	v_fma_f64 v[26:27], v[2:3], v[26:27], -v[28:29]
	v_add_f64_e32 v[28:29], v[24:25], v[22:23]
	v_add_f64_e32 v[163:164], v[163:164], v[165:166]
	ds_load_b128 v[2:5], v1 offset:1744
	ds_load_b128 v[22:25], v1 offset:1760
	v_fma_f64 v[167:168], v[175:176], v[30:31], v[167:168]
	v_fma_f64 v[30:31], v[173:174], v[30:31], -v[32:33]
	s_wait_loadcnt_dscnt 0x601
	v_mul_f64_e32 v[165:166], v[2:3], v[36:37]
	v_mul_f64_e32 v[36:37], v[4:5], v[36:37]
	v_add_f64_e32 v[26:27], v[28:29], v[26:27]
	v_add_f64_e32 v[28:29], v[163:164], v[177:178]
	s_wait_loadcnt_dscnt 0x500
	v_mul_f64_e32 v[32:33], v[22:23], v[171:172]
	v_mul_f64_e32 v[163:164], v[24:25], v[171:172]
	v_fma_f64 v[165:166], v[4:5], v[34:35], v[165:166]
	v_fma_f64 v[34:35], v[2:3], v[34:35], -v[36:37]
	v_add_f64_e32 v[30:31], v[26:27], v[30:31]
	v_add_f64_e32 v[36:37], v[28:29], v[167:168]
	ds_load_b128 v[2:5], v1 offset:1776
	ds_load_b128 v[26:29], v1 offset:1792
	v_fma_f64 v[24:25], v[24:25], v[169:170], v[32:33]
	v_fma_f64 v[22:23], v[22:23], v[169:170], -v[163:164]
	s_wait_loadcnt_dscnt 0x401
	v_mul_f64_e32 v[167:168], v[2:3], v[40:41]
	v_mul_f64_e32 v[40:41], v[4:5], v[40:41]
	;; [unrolled: 16-line block ×3, first 2 shown]
	v_add_f64_e32 v[8:9], v[30:31], v[38:39]
	v_add_f64_e32 v[26:27], v[32:33], v[36:37]
	s_wait_loadcnt_dscnt 0x100
	v_mul_f64_e32 v[30:31], v[22:23], v[16:17]
	v_mul_f64_e32 v[16:17], v[24:25], v[16:17]
	v_fma_f64 v[32:33], v[4:5], v[10:11], v[40:41]
	v_fma_f64 v[10:11], v[2:3], v[10:11], -v[12:13]
	ds_load_b128 v[2:5], v1 offset:1840
	v_add_f64_e32 v[6:7], v[8:9], v[6:7]
	v_add_f64_e32 v[8:9], v[26:27], v[28:29]
	v_fma_f64 v[24:25], v[24:25], v[14:15], v[30:31]
	v_fma_f64 v[14:15], v[22:23], v[14:15], -v[16:17]
	s_wait_loadcnt_dscnt 0x0
	v_mul_f64_e32 v[12:13], v[2:3], v[20:21]
	v_mul_f64_e32 v[20:21], v[4:5], v[20:21]
	v_add_f64_e32 v[6:7], v[6:7], v[10:11]
	v_add_f64_e32 v[8:9], v[8:9], v[32:33]
	s_delay_alu instid0(VALU_DEP_4) | instskip(NEXT) | instid1(VALU_DEP_4)
	v_fma_f64 v[4:5], v[4:5], v[18:19], v[12:13]
	v_fma_f64 v[2:3], v[2:3], v[18:19], -v[20:21]
	s_delay_alu instid0(VALU_DEP_4) | instskip(NEXT) | instid1(VALU_DEP_4)
	v_add_f64_e32 v[6:7], v[6:7], v[14:15]
	v_add_f64_e32 v[8:9], v[8:9], v[24:25]
	s_delay_alu instid0(VALU_DEP_2) | instskip(NEXT) | instid1(VALU_DEP_2)
	v_add_f64_e32 v[2:3], v[6:7], v[2:3]
	v_add_f64_e32 v[4:5], v[8:9], v[4:5]
	s_delay_alu instid0(VALU_DEP_2) | instskip(NEXT) | instid1(VALU_DEP_2)
	v_add_f64_e64 v[2:3], v[42:43], -v[2:3]
	v_add_f64_e64 v[4:5], v[44:45], -v[4:5]
	scratch_store_b128 off, v[2:5], off offset:208
	v_cmpx_lt_u32_e32 11, v0
	s_cbranch_execz .LBB57_339
; %bb.338:
	scratch_load_b128 v[5:8], off, s60
	v_dual_mov_b32 v2, v1 :: v_dual_mov_b32 v3, v1
	v_mov_b32_e32 v4, v1
	scratch_store_b128 off, v[1:4], off offset:192
	s_wait_loadcnt 0x0
	ds_store_b128 v162, v[5:8]
.LBB57_339:
	s_wait_alu 0xfffe
	s_or_b32 exec_lo, exec_lo, s0
	s_wait_storecnt_dscnt 0x0
	s_barrier_signal -1
	s_barrier_wait -1
	global_inv scope:SCOPE_SE
	s_clause 0x8
	scratch_load_b128 v[2:5], off, off offset:208
	scratch_load_b128 v[6:9], off, off offset:224
	;; [unrolled: 1-line block ×9, first 2 shown]
	ds_load_b128 v[42:45], v1 offset:1120
	ds_load_b128 v[38:41], v1 offset:1136
	s_clause 0x1
	scratch_load_b128 v[163:166], off, off offset:192
	scratch_load_b128 v[167:170], off, off offset:352
	s_mov_b32 s0, exec_lo
	s_wait_loadcnt_dscnt 0xa01
	v_mul_f64_e32 v[171:172], v[44:45], v[4:5]
	v_mul_f64_e32 v[4:5], v[42:43], v[4:5]
	s_wait_loadcnt_dscnt 0x900
	v_mul_f64_e32 v[175:176], v[38:39], v[8:9]
	v_mul_f64_e32 v[8:9], v[40:41], v[8:9]
	s_delay_alu instid0(VALU_DEP_4) | instskip(NEXT) | instid1(VALU_DEP_4)
	v_fma_f64 v[177:178], v[42:43], v[2:3], -v[171:172]
	v_fma_f64 v[179:180], v[44:45], v[2:3], v[4:5]
	ds_load_b128 v[2:5], v1 offset:1152
	ds_load_b128 v[171:174], v1 offset:1168
	scratch_load_b128 v[42:45], off, off offset:368
	v_fma_f64 v[40:41], v[40:41], v[6:7], v[175:176]
	v_fma_f64 v[38:39], v[38:39], v[6:7], -v[8:9]
	scratch_load_b128 v[6:9], off, off offset:384
	s_wait_loadcnt_dscnt 0xa01
	v_mul_f64_e32 v[181:182], v[2:3], v[12:13]
	v_mul_f64_e32 v[12:13], v[4:5], v[12:13]
	v_add_f64_e32 v[175:176], 0, v[177:178]
	v_add_f64_e32 v[177:178], 0, v[179:180]
	s_wait_loadcnt_dscnt 0x900
	v_mul_f64_e32 v[179:180], v[171:172], v[16:17]
	v_mul_f64_e32 v[16:17], v[173:174], v[16:17]
	v_fma_f64 v[181:182], v[4:5], v[10:11], v[181:182]
	v_fma_f64 v[183:184], v[2:3], v[10:11], -v[12:13]
	ds_load_b128 v[2:5], v1 offset:1184
	scratch_load_b128 v[10:13], off, off offset:400
	v_add_f64_e32 v[175:176], v[175:176], v[38:39]
	v_add_f64_e32 v[177:178], v[177:178], v[40:41]
	ds_load_b128 v[38:41], v1 offset:1200
	v_fma_f64 v[173:174], v[173:174], v[14:15], v[179:180]
	v_fma_f64 v[171:172], v[171:172], v[14:15], -v[16:17]
	scratch_load_b128 v[14:17], off, off offset:416
	s_wait_loadcnt_dscnt 0xa01
	v_mul_f64_e32 v[185:186], v[2:3], v[20:21]
	v_mul_f64_e32 v[20:21], v[4:5], v[20:21]
	s_wait_loadcnt_dscnt 0x900
	v_mul_f64_e32 v[179:180], v[38:39], v[24:25]
	v_mul_f64_e32 v[24:25], v[40:41], v[24:25]
	v_add_f64_e32 v[175:176], v[175:176], v[183:184]
	v_add_f64_e32 v[177:178], v[177:178], v[181:182]
	v_fma_f64 v[181:182], v[4:5], v[18:19], v[185:186]
	v_fma_f64 v[183:184], v[2:3], v[18:19], -v[20:21]
	ds_load_b128 v[2:5], v1 offset:1216
	scratch_load_b128 v[18:21], off, off offset:432
	v_fma_f64 v[40:41], v[40:41], v[22:23], v[179:180]
	v_fma_f64 v[38:39], v[38:39], v[22:23], -v[24:25]
	scratch_load_b128 v[22:25], off, off offset:448
	v_add_f64_e32 v[175:176], v[175:176], v[171:172]
	v_add_f64_e32 v[177:178], v[177:178], v[173:174]
	ds_load_b128 v[171:174], v1 offset:1232
	s_wait_loadcnt_dscnt 0xa01
	v_mul_f64_e32 v[185:186], v[2:3], v[28:29]
	v_mul_f64_e32 v[28:29], v[4:5], v[28:29]
	s_wait_loadcnt_dscnt 0x900
	v_mul_f64_e32 v[179:180], v[171:172], v[32:33]
	v_mul_f64_e32 v[32:33], v[173:174], v[32:33]
	v_add_f64_e32 v[175:176], v[175:176], v[183:184]
	v_add_f64_e32 v[177:178], v[177:178], v[181:182]
	v_fma_f64 v[181:182], v[4:5], v[26:27], v[185:186]
	v_fma_f64 v[183:184], v[2:3], v[26:27], -v[28:29]
	ds_load_b128 v[2:5], v1 offset:1248
	scratch_load_b128 v[26:29], off, off offset:464
	v_fma_f64 v[173:174], v[173:174], v[30:31], v[179:180]
	v_fma_f64 v[171:172], v[171:172], v[30:31], -v[32:33]
	scratch_load_b128 v[30:33], off, off offset:480
	v_add_f64_e32 v[175:176], v[175:176], v[38:39]
	v_add_f64_e32 v[177:178], v[177:178], v[40:41]
	ds_load_b128 v[38:41], v1 offset:1264
	s_wait_loadcnt_dscnt 0xa01
	v_mul_f64_e32 v[185:186], v[2:3], v[36:37]
	v_mul_f64_e32 v[36:37], v[4:5], v[36:37]
	s_wait_loadcnt_dscnt 0x800
	v_mul_f64_e32 v[179:180], v[38:39], v[169:170]
	v_add_f64_e32 v[175:176], v[175:176], v[183:184]
	v_add_f64_e32 v[177:178], v[177:178], v[181:182]
	v_mul_f64_e32 v[181:182], v[40:41], v[169:170]
	v_fma_f64 v[183:184], v[4:5], v[34:35], v[185:186]
	v_fma_f64 v[185:186], v[2:3], v[34:35], -v[36:37]
	ds_load_b128 v[2:5], v1 offset:1280
	scratch_load_b128 v[34:37], off, off offset:496
	v_fma_f64 v[179:180], v[40:41], v[167:168], v[179:180]
	v_add_f64_e32 v[175:176], v[175:176], v[171:172]
	v_add_f64_e32 v[173:174], v[177:178], v[173:174]
	ds_load_b128 v[169:172], v1 offset:1296
	v_fma_f64 v[167:168], v[38:39], v[167:168], -v[181:182]
	scratch_load_b128 v[38:41], off, off offset:512
	s_wait_loadcnt_dscnt 0x901
	v_mul_f64_e32 v[177:178], v[2:3], v[44:45]
	v_mul_f64_e32 v[44:45], v[4:5], v[44:45]
	s_wait_loadcnt_dscnt 0x800
	v_mul_f64_e32 v[181:182], v[169:170], v[8:9]
	v_mul_f64_e32 v[8:9], v[171:172], v[8:9]
	v_add_f64_e32 v[175:176], v[175:176], v[185:186]
	v_add_f64_e32 v[173:174], v[173:174], v[183:184]
	v_fma_f64 v[177:178], v[4:5], v[42:43], v[177:178]
	v_fma_f64 v[183:184], v[2:3], v[42:43], -v[44:45]
	ds_load_b128 v[2:5], v1 offset:1312
	scratch_load_b128 v[42:45], off, off offset:528
	v_fma_f64 v[171:172], v[171:172], v[6:7], v[181:182]
	v_fma_f64 v[169:170], v[169:170], v[6:7], -v[8:9]
	scratch_load_b128 v[6:9], off, off offset:544
	v_add_f64_e32 v[167:168], v[175:176], v[167:168]
	v_add_f64_e32 v[179:180], v[173:174], v[179:180]
	ds_load_b128 v[173:176], v1 offset:1328
	s_wait_loadcnt_dscnt 0x901
	v_mul_f64_e32 v[185:186], v[2:3], v[12:13]
	v_mul_f64_e32 v[12:13], v[4:5], v[12:13]
	v_add_f64_e32 v[167:168], v[167:168], v[183:184]
	v_add_f64_e32 v[177:178], v[179:180], v[177:178]
	s_wait_loadcnt_dscnt 0x800
	v_mul_f64_e32 v[179:180], v[173:174], v[16:17]
	v_mul_f64_e32 v[16:17], v[175:176], v[16:17]
	v_fma_f64 v[181:182], v[4:5], v[10:11], v[185:186]
	v_fma_f64 v[183:184], v[2:3], v[10:11], -v[12:13]
	ds_load_b128 v[2:5], v1 offset:1344
	scratch_load_b128 v[10:13], off, off offset:560
	v_add_f64_e32 v[185:186], v[167:168], v[169:170]
	v_add_f64_e32 v[171:172], v[177:178], v[171:172]
	ds_load_b128 v[167:170], v1 offset:1360
	s_wait_loadcnt_dscnt 0x801
	v_mul_f64_e32 v[177:178], v[2:3], v[20:21]
	v_mul_f64_e32 v[20:21], v[4:5], v[20:21]
	v_fma_f64 v[175:176], v[175:176], v[14:15], v[179:180]
	v_fma_f64 v[173:174], v[173:174], v[14:15], -v[16:17]
	scratch_load_b128 v[14:17], off, off offset:576
	v_add_f64_e32 v[179:180], v[185:186], v[183:184]
	v_add_f64_e32 v[171:172], v[171:172], v[181:182]
	s_wait_loadcnt_dscnt 0x800
	v_mul_f64_e32 v[181:182], v[167:168], v[24:25]
	v_mul_f64_e32 v[24:25], v[169:170], v[24:25]
	v_fma_f64 v[177:178], v[4:5], v[18:19], v[177:178]
	v_fma_f64 v[183:184], v[2:3], v[18:19], -v[20:21]
	ds_load_b128 v[2:5], v1 offset:1376
	scratch_load_b128 v[18:21], off, off offset:592
	v_add_f64_e32 v[179:180], v[179:180], v[173:174]
	v_add_f64_e32 v[175:176], v[171:172], v[175:176]
	ds_load_b128 v[171:174], v1 offset:1392
	s_wait_loadcnt_dscnt 0x801
	v_mul_f64_e32 v[185:186], v[2:3], v[28:29]
	v_mul_f64_e32 v[28:29], v[4:5], v[28:29]
	v_fma_f64 v[169:170], v[169:170], v[22:23], v[181:182]
	v_fma_f64 v[167:168], v[167:168], v[22:23], -v[24:25]
	scratch_load_b128 v[22:25], off, off offset:608
	;; [unrolled: 18-line block ×4, first 2 shown]
	s_wait_loadcnt_dscnt 0x800
	v_mul_f64_e32 v[179:180], v[171:172], v[8:9]
	v_mul_f64_e32 v[8:9], v[173:174], v[8:9]
	v_add_f64_e32 v[177:178], v[177:178], v[183:184]
	v_add_f64_e32 v[175:176], v[175:176], v[181:182]
	v_fma_f64 v[181:182], v[4:5], v[42:43], v[185:186]
	v_fma_f64 v[183:184], v[2:3], v[42:43], -v[44:45]
	ds_load_b128 v[2:5], v1 offset:1472
	scratch_load_b128 v[42:45], off, off offset:688
	v_fma_f64 v[173:174], v[173:174], v[6:7], v[179:180]
	v_fma_f64 v[171:172], v[171:172], v[6:7], -v[8:9]
	scratch_load_b128 v[6:9], off, off offset:704
	v_add_f64_e32 v[177:178], v[177:178], v[167:168]
	v_add_f64_e32 v[175:176], v[175:176], v[169:170]
	ds_load_b128 v[167:170], v1 offset:1488
	s_wait_loadcnt_dscnt 0x901
	v_mul_f64_e32 v[185:186], v[2:3], v[12:13]
	v_mul_f64_e32 v[12:13], v[4:5], v[12:13]
	s_wait_loadcnt_dscnt 0x800
	v_mul_f64_e32 v[179:180], v[167:168], v[16:17]
	v_mul_f64_e32 v[16:17], v[169:170], v[16:17]
	v_add_f64_e32 v[177:178], v[177:178], v[183:184]
	v_add_f64_e32 v[175:176], v[175:176], v[181:182]
	v_fma_f64 v[181:182], v[4:5], v[10:11], v[185:186]
	v_fma_f64 v[183:184], v[2:3], v[10:11], -v[12:13]
	ds_load_b128 v[2:5], v1 offset:1504
	scratch_load_b128 v[10:13], off, off offset:720
	v_fma_f64 v[169:170], v[169:170], v[14:15], v[179:180]
	v_fma_f64 v[167:168], v[167:168], v[14:15], -v[16:17]
	scratch_load_b128 v[14:17], off, off offset:736
	v_add_f64_e32 v[177:178], v[177:178], v[171:172]
	v_add_f64_e32 v[175:176], v[175:176], v[173:174]
	ds_load_b128 v[171:174], v1 offset:1520
	s_wait_loadcnt_dscnt 0x901
	v_mul_f64_e32 v[185:186], v[2:3], v[20:21]
	v_mul_f64_e32 v[20:21], v[4:5], v[20:21]
	;; [unrolled: 18-line block ×8, first 2 shown]
	s_wait_loadcnt_dscnt 0x800
	v_mul_f64_e32 v[179:180], v[171:172], v[32:33]
	v_mul_f64_e32 v[32:33], v[173:174], v[32:33]
	v_add_f64_e32 v[177:178], v[177:178], v[183:184]
	v_add_f64_e32 v[175:176], v[175:176], v[181:182]
	v_fma_f64 v[181:182], v[4:5], v[26:27], v[185:186]
	v_fma_f64 v[183:184], v[2:3], v[26:27], -v[28:29]
	ds_load_b128 v[2:5], v1 offset:1728
	ds_load_b128 v[26:29], v1 offset:1744
	v_fma_f64 v[173:174], v[173:174], v[30:31], v[179:180]
	v_fma_f64 v[30:31], v[171:172], v[30:31], -v[32:33]
	v_add_f64_e32 v[167:168], v[177:178], v[167:168]
	v_add_f64_e32 v[169:170], v[175:176], v[169:170]
	s_wait_loadcnt_dscnt 0x701
	v_mul_f64_e32 v[175:176], v[2:3], v[36:37]
	v_mul_f64_e32 v[36:37], v[4:5], v[36:37]
	s_delay_alu instid0(VALU_DEP_4) | instskip(NEXT) | instid1(VALU_DEP_4)
	v_add_f64_e32 v[32:33], v[167:168], v[183:184]
	v_add_f64_e32 v[167:168], v[169:170], v[181:182]
	s_wait_loadcnt_dscnt 0x600
	v_mul_f64_e32 v[169:170], v[26:27], v[40:41]
	v_mul_f64_e32 v[40:41], v[28:29], v[40:41]
	v_fma_f64 v[171:172], v[4:5], v[34:35], v[175:176]
	v_fma_f64 v[34:35], v[2:3], v[34:35], -v[36:37]
	v_add_f64_e32 v[36:37], v[32:33], v[30:31]
	v_add_f64_e32 v[167:168], v[167:168], v[173:174]
	ds_load_b128 v[2:5], v1 offset:1760
	ds_load_b128 v[30:33], v1 offset:1776
	v_fma_f64 v[28:29], v[28:29], v[38:39], v[169:170]
	v_fma_f64 v[26:27], v[26:27], v[38:39], -v[40:41]
	s_wait_loadcnt_dscnt 0x501
	v_mul_f64_e32 v[173:174], v[2:3], v[44:45]
	v_mul_f64_e32 v[44:45], v[4:5], v[44:45]
	s_wait_loadcnt_dscnt 0x400
	v_mul_f64_e32 v[38:39], v[30:31], v[8:9]
	v_mul_f64_e32 v[8:9], v[32:33], v[8:9]
	v_add_f64_e32 v[34:35], v[36:37], v[34:35]
	v_add_f64_e32 v[36:37], v[167:168], v[171:172]
	v_fma_f64 v[40:41], v[4:5], v[42:43], v[173:174]
	v_fma_f64 v[42:43], v[2:3], v[42:43], -v[44:45]
	v_fma_f64 v[32:33], v[32:33], v[6:7], v[38:39]
	v_fma_f64 v[6:7], v[30:31], v[6:7], -v[8:9]
	v_add_f64_e32 v[34:35], v[34:35], v[26:27]
	v_add_f64_e32 v[36:37], v[36:37], v[28:29]
	ds_load_b128 v[2:5], v1 offset:1792
	ds_load_b128 v[26:29], v1 offset:1808
	s_wait_loadcnt_dscnt 0x301
	v_mul_f64_e32 v[44:45], v[2:3], v[12:13]
	v_mul_f64_e32 v[12:13], v[4:5], v[12:13]
	v_add_f64_e32 v[8:9], v[34:35], v[42:43]
	v_add_f64_e32 v[30:31], v[36:37], v[40:41]
	s_wait_loadcnt_dscnt 0x200
	v_mul_f64_e32 v[34:35], v[26:27], v[16:17]
	v_mul_f64_e32 v[16:17], v[28:29], v[16:17]
	v_fma_f64 v[36:37], v[4:5], v[10:11], v[44:45]
	v_fma_f64 v[10:11], v[2:3], v[10:11], -v[12:13]
	v_add_f64_e32 v[12:13], v[8:9], v[6:7]
	v_add_f64_e32 v[30:31], v[30:31], v[32:33]
	ds_load_b128 v[2:5], v1 offset:1824
	ds_load_b128 v[6:9], v1 offset:1840
	v_fma_f64 v[28:29], v[28:29], v[14:15], v[34:35]
	v_fma_f64 v[14:15], v[26:27], v[14:15], -v[16:17]
	s_wait_loadcnt_dscnt 0x101
	v_mul_f64_e32 v[32:33], v[2:3], v[20:21]
	v_mul_f64_e32 v[20:21], v[4:5], v[20:21]
	s_wait_loadcnt_dscnt 0x0
	v_mul_f64_e32 v[16:17], v[6:7], v[24:25]
	v_mul_f64_e32 v[24:25], v[8:9], v[24:25]
	v_add_f64_e32 v[10:11], v[12:13], v[10:11]
	v_add_f64_e32 v[12:13], v[30:31], v[36:37]
	v_fma_f64 v[4:5], v[4:5], v[18:19], v[32:33]
	v_fma_f64 v[1:2], v[2:3], v[18:19], -v[20:21]
	v_fma_f64 v[8:9], v[8:9], v[22:23], v[16:17]
	v_fma_f64 v[6:7], v[6:7], v[22:23], -v[24:25]
	v_add_f64_e32 v[10:11], v[10:11], v[14:15]
	v_add_f64_e32 v[12:13], v[12:13], v[28:29]
	s_delay_alu instid0(VALU_DEP_2) | instskip(NEXT) | instid1(VALU_DEP_2)
	v_add_f64_e32 v[1:2], v[10:11], v[1:2]
	v_add_f64_e32 v[3:4], v[12:13], v[4:5]
	s_delay_alu instid0(VALU_DEP_2) | instskip(NEXT) | instid1(VALU_DEP_2)
	;; [unrolled: 3-line block ×3, first 2 shown]
	v_add_f64_e64 v[1:2], v[163:164], -v[1:2]
	v_add_f64_e64 v[3:4], v[165:166], -v[3:4]
	scratch_store_b128 off, v[1:4], off offset:192
	v_cmpx_lt_u32_e32 10, v0
	s_cbranch_execz .LBB57_341
; %bb.340:
	scratch_load_b128 v[1:4], off, s61
	v_mov_b32_e32 v5, 0
	s_delay_alu instid0(VALU_DEP_1)
	v_dual_mov_b32 v6, v5 :: v_dual_mov_b32 v7, v5
	v_mov_b32_e32 v8, v5
	scratch_store_b128 off, v[5:8], off offset:176
	s_wait_loadcnt 0x0
	ds_store_b128 v162, v[1:4]
.LBB57_341:
	s_wait_alu 0xfffe
	s_or_b32 exec_lo, exec_lo, s0
	s_wait_storecnt_dscnt 0x0
	s_barrier_signal -1
	s_barrier_wait -1
	global_inv scope:SCOPE_SE
	s_clause 0x7
	scratch_load_b128 v[2:5], off, off offset:192
	scratch_load_b128 v[6:9], off, off offset:208
	;; [unrolled: 1-line block ×8, first 2 shown]
	v_mov_b32_e32 v1, 0
	s_mov_b32 s0, exec_lo
	ds_load_b128 v[38:41], v1 offset:1104
	s_clause 0x1
	scratch_load_b128 v[34:37], off, off offset:320
	scratch_load_b128 v[42:45], off, off offset:176
	ds_load_b128 v[163:166], v1 offset:1120
	scratch_load_b128 v[167:170], off, off offset:336
	s_wait_loadcnt_dscnt 0xa01
	v_mul_f64_e32 v[171:172], v[40:41], v[4:5]
	v_mul_f64_e32 v[4:5], v[38:39], v[4:5]
	s_delay_alu instid0(VALU_DEP_2) | instskip(NEXT) | instid1(VALU_DEP_2)
	v_fma_f64 v[177:178], v[38:39], v[2:3], -v[171:172]
	v_fma_f64 v[179:180], v[40:41], v[2:3], v[4:5]
	ds_load_b128 v[2:5], v1 offset:1136
	s_wait_loadcnt_dscnt 0x901
	v_mul_f64_e32 v[175:176], v[163:164], v[8:9]
	v_mul_f64_e32 v[8:9], v[165:166], v[8:9]
	scratch_load_b128 v[38:41], off, off offset:352
	ds_load_b128 v[171:174], v1 offset:1152
	s_wait_loadcnt_dscnt 0x901
	v_mul_f64_e32 v[181:182], v[2:3], v[12:13]
	v_mul_f64_e32 v[12:13], v[4:5], v[12:13]
	v_fma_f64 v[165:166], v[165:166], v[6:7], v[175:176]
	v_fma_f64 v[163:164], v[163:164], v[6:7], -v[8:9]
	v_add_f64_e32 v[175:176], 0, v[177:178]
	v_add_f64_e32 v[177:178], 0, v[179:180]
	scratch_load_b128 v[6:9], off, off offset:368
	v_fma_f64 v[181:182], v[4:5], v[10:11], v[181:182]
	v_fma_f64 v[183:184], v[2:3], v[10:11], -v[12:13]
	ds_load_b128 v[2:5], v1 offset:1168
	s_wait_loadcnt_dscnt 0x901
	v_mul_f64_e32 v[179:180], v[171:172], v[16:17]
	v_mul_f64_e32 v[16:17], v[173:174], v[16:17]
	scratch_load_b128 v[10:13], off, off offset:384
	v_add_f64_e32 v[175:176], v[175:176], v[163:164]
	v_add_f64_e32 v[177:178], v[177:178], v[165:166]
	s_wait_loadcnt_dscnt 0x900
	v_mul_f64_e32 v[185:186], v[2:3], v[20:21]
	v_mul_f64_e32 v[20:21], v[4:5], v[20:21]
	ds_load_b128 v[163:166], v1 offset:1184
	v_fma_f64 v[173:174], v[173:174], v[14:15], v[179:180]
	v_fma_f64 v[171:172], v[171:172], v[14:15], -v[16:17]
	scratch_load_b128 v[14:17], off, off offset:400
	v_add_f64_e32 v[175:176], v[175:176], v[183:184]
	v_add_f64_e32 v[177:178], v[177:178], v[181:182]
	v_fma_f64 v[181:182], v[4:5], v[18:19], v[185:186]
	v_fma_f64 v[183:184], v[2:3], v[18:19], -v[20:21]
	ds_load_b128 v[2:5], v1 offset:1200
	s_wait_loadcnt_dscnt 0x901
	v_mul_f64_e32 v[179:180], v[163:164], v[24:25]
	v_mul_f64_e32 v[24:25], v[165:166], v[24:25]
	scratch_load_b128 v[18:21], off, off offset:416
	s_wait_loadcnt_dscnt 0x900
	v_mul_f64_e32 v[185:186], v[2:3], v[28:29]
	v_mul_f64_e32 v[28:29], v[4:5], v[28:29]
	v_add_f64_e32 v[175:176], v[175:176], v[171:172]
	v_add_f64_e32 v[177:178], v[177:178], v[173:174]
	ds_load_b128 v[171:174], v1 offset:1216
	v_fma_f64 v[165:166], v[165:166], v[22:23], v[179:180]
	v_fma_f64 v[163:164], v[163:164], v[22:23], -v[24:25]
	scratch_load_b128 v[22:25], off, off offset:432
	v_add_f64_e32 v[175:176], v[175:176], v[183:184]
	v_add_f64_e32 v[177:178], v[177:178], v[181:182]
	v_fma_f64 v[181:182], v[4:5], v[26:27], v[185:186]
	v_fma_f64 v[183:184], v[2:3], v[26:27], -v[28:29]
	ds_load_b128 v[2:5], v1 offset:1232
	s_wait_loadcnt_dscnt 0x901
	v_mul_f64_e32 v[179:180], v[171:172], v[32:33]
	v_mul_f64_e32 v[32:33], v[173:174], v[32:33]
	scratch_load_b128 v[26:29], off, off offset:448
	s_wait_loadcnt_dscnt 0x900
	v_mul_f64_e32 v[185:186], v[2:3], v[36:37]
	v_mul_f64_e32 v[36:37], v[4:5], v[36:37]
	v_add_f64_e32 v[175:176], v[175:176], v[163:164]
	v_add_f64_e32 v[177:178], v[177:178], v[165:166]
	ds_load_b128 v[163:166], v1 offset:1248
	v_fma_f64 v[173:174], v[173:174], v[30:31], v[179:180]
	v_fma_f64 v[171:172], v[171:172], v[30:31], -v[32:33]
	scratch_load_b128 v[30:33], off, off offset:464
	v_add_f64_e32 v[175:176], v[175:176], v[183:184]
	v_add_f64_e32 v[177:178], v[177:178], v[181:182]
	v_fma_f64 v[183:184], v[4:5], v[34:35], v[185:186]
	v_fma_f64 v[185:186], v[2:3], v[34:35], -v[36:37]
	ds_load_b128 v[2:5], v1 offset:1264
	s_wait_loadcnt_dscnt 0x801
	v_mul_f64_e32 v[179:180], v[163:164], v[169:170]
	v_mul_f64_e32 v[181:182], v[165:166], v[169:170]
	scratch_load_b128 v[34:37], off, off offset:480
	v_add_f64_e32 v[175:176], v[175:176], v[171:172]
	v_add_f64_e32 v[173:174], v[177:178], v[173:174]
	ds_load_b128 v[169:172], v1 offset:1280
	v_fma_f64 v[179:180], v[165:166], v[167:168], v[179:180]
	v_fma_f64 v[167:168], v[163:164], v[167:168], -v[181:182]
	scratch_load_b128 v[163:166], off, off offset:496
	s_wait_loadcnt_dscnt 0x901
	v_mul_f64_e32 v[177:178], v[2:3], v[40:41]
	v_mul_f64_e32 v[40:41], v[4:5], v[40:41]
	v_add_f64_e32 v[175:176], v[175:176], v[185:186]
	v_add_f64_e32 v[173:174], v[173:174], v[183:184]
	s_delay_alu instid0(VALU_DEP_4) | instskip(NEXT) | instid1(VALU_DEP_4)
	v_fma_f64 v[177:178], v[4:5], v[38:39], v[177:178]
	v_fma_f64 v[183:184], v[2:3], v[38:39], -v[40:41]
	ds_load_b128 v[2:5], v1 offset:1296
	s_wait_loadcnt_dscnt 0x801
	v_mul_f64_e32 v[181:182], v[169:170], v[8:9]
	v_mul_f64_e32 v[8:9], v[171:172], v[8:9]
	scratch_load_b128 v[38:41], off, off offset:512
	s_wait_loadcnt_dscnt 0x800
	v_mul_f64_e32 v[185:186], v[2:3], v[12:13]
	v_add_f64_e32 v[167:168], v[175:176], v[167:168]
	v_add_f64_e32 v[179:180], v[173:174], v[179:180]
	v_mul_f64_e32 v[12:13], v[4:5], v[12:13]
	ds_load_b128 v[173:176], v1 offset:1312
	v_fma_f64 v[171:172], v[171:172], v[6:7], v[181:182]
	v_fma_f64 v[169:170], v[169:170], v[6:7], -v[8:9]
	scratch_load_b128 v[6:9], off, off offset:528
	v_fma_f64 v[181:182], v[4:5], v[10:11], v[185:186]
	v_add_f64_e32 v[167:168], v[167:168], v[183:184]
	v_add_f64_e32 v[177:178], v[179:180], v[177:178]
	v_fma_f64 v[183:184], v[2:3], v[10:11], -v[12:13]
	ds_load_b128 v[2:5], v1 offset:1328
	s_wait_loadcnt_dscnt 0x801
	v_mul_f64_e32 v[179:180], v[173:174], v[16:17]
	v_mul_f64_e32 v[16:17], v[175:176], v[16:17]
	scratch_load_b128 v[10:13], off, off offset:544
	v_add_f64_e32 v[185:186], v[167:168], v[169:170]
	v_add_f64_e32 v[171:172], v[177:178], v[171:172]
	s_wait_loadcnt_dscnt 0x800
	v_mul_f64_e32 v[177:178], v[2:3], v[20:21]
	v_mul_f64_e32 v[20:21], v[4:5], v[20:21]
	v_fma_f64 v[175:176], v[175:176], v[14:15], v[179:180]
	v_fma_f64 v[173:174], v[173:174], v[14:15], -v[16:17]
	ds_load_b128 v[167:170], v1 offset:1344
	scratch_load_b128 v[14:17], off, off offset:560
	v_add_f64_e32 v[179:180], v[185:186], v[183:184]
	v_add_f64_e32 v[171:172], v[171:172], v[181:182]
	v_fma_f64 v[177:178], v[4:5], v[18:19], v[177:178]
	v_fma_f64 v[183:184], v[2:3], v[18:19], -v[20:21]
	ds_load_b128 v[2:5], v1 offset:1360
	s_wait_loadcnt_dscnt 0x801
	v_mul_f64_e32 v[181:182], v[167:168], v[24:25]
	v_mul_f64_e32 v[24:25], v[169:170], v[24:25]
	scratch_load_b128 v[18:21], off, off offset:576
	s_wait_loadcnt_dscnt 0x800
	v_mul_f64_e32 v[185:186], v[2:3], v[28:29]
	v_mul_f64_e32 v[28:29], v[4:5], v[28:29]
	v_add_f64_e32 v[179:180], v[179:180], v[173:174]
	v_add_f64_e32 v[175:176], v[171:172], v[175:176]
	ds_load_b128 v[171:174], v1 offset:1376
	v_fma_f64 v[169:170], v[169:170], v[22:23], v[181:182]
	v_fma_f64 v[167:168], v[167:168], v[22:23], -v[24:25]
	scratch_load_b128 v[22:25], off, off offset:592
	v_fma_f64 v[181:182], v[4:5], v[26:27], v[185:186]
	v_add_f64_e32 v[179:180], v[179:180], v[183:184]
	v_add_f64_e32 v[175:176], v[175:176], v[177:178]
	v_fma_f64 v[183:184], v[2:3], v[26:27], -v[28:29]
	ds_load_b128 v[2:5], v1 offset:1392
	s_wait_loadcnt_dscnt 0x801
	v_mul_f64_e32 v[177:178], v[171:172], v[32:33]
	v_mul_f64_e32 v[32:33], v[173:174], v[32:33]
	scratch_load_b128 v[26:29], off, off offset:608
	s_wait_loadcnt_dscnt 0x800
	v_mul_f64_e32 v[185:186], v[2:3], v[36:37]
	v_mul_f64_e32 v[36:37], v[4:5], v[36:37]
	v_add_f64_e32 v[179:180], v[179:180], v[167:168]
	v_add_f64_e32 v[175:176], v[175:176], v[169:170]
	ds_load_b128 v[167:170], v1 offset:1408
	v_fma_f64 v[173:174], v[173:174], v[30:31], v[177:178]
	v_fma_f64 v[171:172], v[171:172], v[30:31], -v[32:33]
	scratch_load_b128 v[30:33], off, off offset:624
	v_add_f64_e32 v[177:178], v[179:180], v[183:184]
	v_add_f64_e32 v[175:176], v[175:176], v[181:182]
	v_fma_f64 v[181:182], v[4:5], v[34:35], v[185:186]
	v_fma_f64 v[183:184], v[2:3], v[34:35], -v[36:37]
	ds_load_b128 v[2:5], v1 offset:1424
	s_wait_loadcnt_dscnt 0x801
	v_mul_f64_e32 v[179:180], v[167:168], v[165:166]
	v_mul_f64_e32 v[165:166], v[169:170], v[165:166]
	scratch_load_b128 v[34:37], off, off offset:640
	s_wait_loadcnt_dscnt 0x800
	v_mul_f64_e32 v[185:186], v[2:3], v[40:41]
	v_mul_f64_e32 v[40:41], v[4:5], v[40:41]
	v_add_f64_e32 v[177:178], v[177:178], v[171:172]
	v_add_f64_e32 v[175:176], v[175:176], v[173:174]
	ds_load_b128 v[171:174], v1 offset:1440
	v_fma_f64 v[169:170], v[169:170], v[163:164], v[179:180]
	v_fma_f64 v[167:168], v[167:168], v[163:164], -v[165:166]
	scratch_load_b128 v[163:166], off, off offset:656
	v_add_f64_e32 v[177:178], v[177:178], v[183:184]
	v_add_f64_e32 v[175:176], v[175:176], v[181:182]
	v_fma_f64 v[181:182], v[4:5], v[38:39], v[185:186]
	;; [unrolled: 18-line block ×6, first 2 shown]
	v_fma_f64 v[185:186], v[2:3], v[34:35], -v[36:37]
	ds_load_b128 v[2:5], v1 offset:1584
	s_wait_loadcnt_dscnt 0x801
	v_mul_f64_e32 v[179:180], v[171:172], v[165:166]
	v_mul_f64_e32 v[181:182], v[173:174], v[165:166]
	scratch_load_b128 v[34:37], off, off offset:800
	v_add_f64_e32 v[177:178], v[177:178], v[167:168]
	v_add_f64_e32 v[169:170], v[175:176], v[169:170]
	s_wait_loadcnt_dscnt 0x800
	v_mul_f64_e32 v[175:176], v[2:3], v[40:41]
	v_mul_f64_e32 v[40:41], v[4:5], v[40:41]
	ds_load_b128 v[165:168], v1 offset:1600
	v_fma_f64 v[173:174], v[173:174], v[163:164], v[179:180]
	v_fma_f64 v[163:164], v[171:172], v[163:164], -v[181:182]
	v_add_f64_e32 v[177:178], v[177:178], v[185:186]
	v_add_f64_e32 v[179:180], v[169:170], v[183:184]
	scratch_load_b128 v[169:172], off, off offset:816
	v_fma_f64 v[183:184], v[4:5], v[38:39], v[175:176]
	v_fma_f64 v[185:186], v[2:3], v[38:39], -v[40:41]
	ds_load_b128 v[2:5], v1 offset:1616
	s_wait_loadcnt_dscnt 0x801
	v_mul_f64_e32 v[181:182], v[165:166], v[8:9]
	v_mul_f64_e32 v[8:9], v[167:168], v[8:9]
	scratch_load_b128 v[38:41], off, off offset:832
	v_add_f64_e32 v[163:164], v[177:178], v[163:164]
	v_add_f64_e32 v[177:178], v[179:180], v[173:174]
	s_wait_loadcnt_dscnt 0x800
	v_mul_f64_e32 v[179:180], v[2:3], v[12:13]
	v_mul_f64_e32 v[12:13], v[4:5], v[12:13]
	ds_load_b128 v[173:176], v1 offset:1632
	v_fma_f64 v[167:168], v[167:168], v[6:7], v[181:182]
	v_fma_f64 v[165:166], v[165:166], v[6:7], -v[8:9]
	scratch_load_b128 v[6:9], off, off offset:848
	v_add_f64_e32 v[163:164], v[163:164], v[185:186]
	v_add_f64_e32 v[177:178], v[177:178], v[183:184]
	v_fma_f64 v[179:180], v[4:5], v[10:11], v[179:180]
	v_fma_f64 v[183:184], v[2:3], v[10:11], -v[12:13]
	ds_load_b128 v[2:5], v1 offset:1648
	s_wait_loadcnt_dscnt 0x801
	v_mul_f64_e32 v[181:182], v[173:174], v[16:17]
	v_mul_f64_e32 v[16:17], v[175:176], v[16:17]
	scratch_load_b128 v[10:13], off, off offset:864
	v_add_f64_e32 v[185:186], v[163:164], v[165:166]
	v_add_f64_e32 v[167:168], v[177:178], v[167:168]
	s_wait_loadcnt_dscnt 0x800
	v_mul_f64_e32 v[177:178], v[2:3], v[20:21]
	v_mul_f64_e32 v[20:21], v[4:5], v[20:21]
	ds_load_b128 v[163:166], v1 offset:1664
	v_fma_f64 v[175:176], v[175:176], v[14:15], v[181:182]
	v_fma_f64 v[173:174], v[173:174], v[14:15], -v[16:17]
	scratch_load_b128 v[14:17], off, off offset:880
	v_add_f64_e32 v[181:182], v[185:186], v[183:184]
	v_add_f64_e32 v[167:168], v[167:168], v[179:180]
	v_fma_f64 v[177:178], v[4:5], v[18:19], v[177:178]
	v_fma_f64 v[183:184], v[2:3], v[18:19], -v[20:21]
	ds_load_b128 v[2:5], v1 offset:1680
	s_wait_loadcnt_dscnt 0x801
	v_mul_f64_e32 v[179:180], v[163:164], v[24:25]
	v_mul_f64_e32 v[24:25], v[165:166], v[24:25]
	scratch_load_b128 v[18:21], off, off offset:896
	s_wait_loadcnt_dscnt 0x800
	v_mul_f64_e32 v[185:186], v[2:3], v[28:29]
	v_mul_f64_e32 v[28:29], v[4:5], v[28:29]
	v_add_f64_e32 v[181:182], v[181:182], v[173:174]
	v_add_f64_e32 v[167:168], v[167:168], v[175:176]
	ds_load_b128 v[173:176], v1 offset:1696
	v_fma_f64 v[165:166], v[165:166], v[22:23], v[179:180]
	v_fma_f64 v[163:164], v[163:164], v[22:23], -v[24:25]
	scratch_load_b128 v[22:25], off, off offset:912
	v_add_f64_e32 v[179:180], v[181:182], v[183:184]
	v_add_f64_e32 v[167:168], v[167:168], v[177:178]
	v_fma_f64 v[181:182], v[4:5], v[26:27], v[185:186]
	v_fma_f64 v[183:184], v[2:3], v[26:27], -v[28:29]
	ds_load_b128 v[2:5], v1 offset:1712
	s_wait_loadcnt_dscnt 0x801
	v_mul_f64_e32 v[177:178], v[173:174], v[32:33]
	v_mul_f64_e32 v[32:33], v[175:176], v[32:33]
	scratch_load_b128 v[26:29], off, off offset:928
	s_wait_loadcnt_dscnt 0x800
	v_mul_f64_e32 v[185:186], v[2:3], v[36:37]
	v_mul_f64_e32 v[36:37], v[4:5], v[36:37]
	v_add_f64_e32 v[179:180], v[179:180], v[163:164]
	v_add_f64_e32 v[167:168], v[167:168], v[165:166]
	ds_load_b128 v[163:166], v1 offset:1728
	v_fma_f64 v[175:176], v[175:176], v[30:31], v[177:178]
	v_fma_f64 v[30:31], v[173:174], v[30:31], -v[32:33]
	v_fma_f64 v[177:178], v[4:5], v[34:35], v[185:186]
	v_fma_f64 v[34:35], v[2:3], v[34:35], -v[36:37]
	v_add_f64_e32 v[32:33], v[179:180], v[183:184]
	v_add_f64_e32 v[167:168], v[167:168], v[181:182]
	s_wait_loadcnt_dscnt 0x700
	v_mul_f64_e32 v[173:174], v[163:164], v[171:172]
	v_mul_f64_e32 v[171:172], v[165:166], v[171:172]
	s_delay_alu instid0(VALU_DEP_4) | instskip(NEXT) | instid1(VALU_DEP_4)
	v_add_f64_e32 v[36:37], v[32:33], v[30:31]
	v_add_f64_e32 v[167:168], v[167:168], v[175:176]
	ds_load_b128 v[2:5], v1 offset:1744
	ds_load_b128 v[30:33], v1 offset:1760
	v_fma_f64 v[165:166], v[165:166], v[169:170], v[173:174]
	v_fma_f64 v[163:164], v[163:164], v[169:170], -v[171:172]
	s_wait_loadcnt_dscnt 0x601
	v_mul_f64_e32 v[175:176], v[2:3], v[40:41]
	v_mul_f64_e32 v[40:41], v[4:5], v[40:41]
	v_add_f64_e32 v[34:35], v[36:37], v[34:35]
	v_add_f64_e32 v[36:37], v[167:168], v[177:178]
	s_wait_loadcnt_dscnt 0x500
	v_mul_f64_e32 v[167:168], v[30:31], v[8:9]
	v_mul_f64_e32 v[8:9], v[32:33], v[8:9]
	v_fma_f64 v[169:170], v[4:5], v[38:39], v[175:176]
	v_fma_f64 v[38:39], v[2:3], v[38:39], -v[40:41]
	v_add_f64_e32 v[40:41], v[34:35], v[163:164]
	v_add_f64_e32 v[163:164], v[36:37], v[165:166]
	ds_load_b128 v[2:5], v1 offset:1776
	ds_load_b128 v[34:37], v1 offset:1792
	v_fma_f64 v[32:33], v[32:33], v[6:7], v[167:168]
	v_fma_f64 v[6:7], v[30:31], v[6:7], -v[8:9]
	s_wait_loadcnt_dscnt 0x401
	v_mul_f64_e32 v[165:166], v[2:3], v[12:13]
	v_mul_f64_e32 v[12:13], v[4:5], v[12:13]
	v_add_f64_e32 v[8:9], v[40:41], v[38:39]
	v_add_f64_e32 v[30:31], v[163:164], v[169:170]
	s_wait_loadcnt_dscnt 0x300
	v_mul_f64_e32 v[38:39], v[34:35], v[16:17]
	v_mul_f64_e32 v[16:17], v[36:37], v[16:17]
	v_fma_f64 v[40:41], v[4:5], v[10:11], v[165:166]
	v_fma_f64 v[10:11], v[2:3], v[10:11], -v[12:13]
	v_add_f64_e32 v[12:13], v[8:9], v[6:7]
	v_add_f64_e32 v[30:31], v[30:31], v[32:33]
	ds_load_b128 v[2:5], v1 offset:1808
	ds_load_b128 v[6:9], v1 offset:1824
	v_fma_f64 v[36:37], v[36:37], v[14:15], v[38:39]
	v_fma_f64 v[14:15], v[34:35], v[14:15], -v[16:17]
	s_wait_loadcnt_dscnt 0x201
	v_mul_f64_e32 v[32:33], v[2:3], v[20:21]
	v_mul_f64_e32 v[20:21], v[4:5], v[20:21]
	s_wait_loadcnt_dscnt 0x100
	v_mul_f64_e32 v[16:17], v[6:7], v[24:25]
	v_mul_f64_e32 v[24:25], v[8:9], v[24:25]
	v_add_f64_e32 v[10:11], v[12:13], v[10:11]
	v_add_f64_e32 v[12:13], v[30:31], v[40:41]
	v_fma_f64 v[30:31], v[4:5], v[18:19], v[32:33]
	v_fma_f64 v[18:19], v[2:3], v[18:19], -v[20:21]
	ds_load_b128 v[2:5], v1 offset:1840
	v_fma_f64 v[8:9], v[8:9], v[22:23], v[16:17]
	v_fma_f64 v[6:7], v[6:7], v[22:23], -v[24:25]
	v_add_f64_e32 v[10:11], v[10:11], v[14:15]
	v_add_f64_e32 v[12:13], v[12:13], v[36:37]
	s_wait_loadcnt_dscnt 0x0
	v_mul_f64_e32 v[14:15], v[2:3], v[28:29]
	v_mul_f64_e32 v[20:21], v[4:5], v[28:29]
	s_delay_alu instid0(VALU_DEP_4) | instskip(NEXT) | instid1(VALU_DEP_4)
	v_add_f64_e32 v[10:11], v[10:11], v[18:19]
	v_add_f64_e32 v[12:13], v[12:13], v[30:31]
	s_delay_alu instid0(VALU_DEP_4) | instskip(NEXT) | instid1(VALU_DEP_4)
	v_fma_f64 v[4:5], v[4:5], v[26:27], v[14:15]
	v_fma_f64 v[2:3], v[2:3], v[26:27], -v[20:21]
	s_delay_alu instid0(VALU_DEP_4) | instskip(NEXT) | instid1(VALU_DEP_4)
	v_add_f64_e32 v[6:7], v[10:11], v[6:7]
	v_add_f64_e32 v[8:9], v[12:13], v[8:9]
	s_delay_alu instid0(VALU_DEP_2) | instskip(NEXT) | instid1(VALU_DEP_2)
	v_add_f64_e32 v[2:3], v[6:7], v[2:3]
	v_add_f64_e32 v[4:5], v[8:9], v[4:5]
	s_delay_alu instid0(VALU_DEP_2) | instskip(NEXT) | instid1(VALU_DEP_2)
	v_add_f64_e64 v[2:3], v[42:43], -v[2:3]
	v_add_f64_e64 v[4:5], v[44:45], -v[4:5]
	scratch_store_b128 off, v[2:5], off offset:176
	v_cmpx_lt_u32_e32 9, v0
	s_cbranch_execz .LBB57_343
; %bb.342:
	scratch_load_b128 v[5:8], off, s62
	v_dual_mov_b32 v2, v1 :: v_dual_mov_b32 v3, v1
	v_mov_b32_e32 v4, v1
	scratch_store_b128 off, v[1:4], off offset:160
	s_wait_loadcnt 0x0
	ds_store_b128 v162, v[5:8]
.LBB57_343:
	s_wait_alu 0xfffe
	s_or_b32 exec_lo, exec_lo, s0
	s_wait_storecnt_dscnt 0x0
	s_barrier_signal -1
	s_barrier_wait -1
	global_inv scope:SCOPE_SE
	s_clause 0x8
	scratch_load_b128 v[2:5], off, off offset:176
	scratch_load_b128 v[6:9], off, off offset:192
	;; [unrolled: 1-line block ×9, first 2 shown]
	ds_load_b128 v[42:45], v1 offset:1088
	ds_load_b128 v[38:41], v1 offset:1104
	s_clause 0x1
	scratch_load_b128 v[163:166], off, off offset:160
	scratch_load_b128 v[167:170], off, off offset:320
	s_mov_b32 s0, exec_lo
	s_wait_loadcnt_dscnt 0xa01
	v_mul_f64_e32 v[171:172], v[44:45], v[4:5]
	v_mul_f64_e32 v[4:5], v[42:43], v[4:5]
	s_wait_loadcnt_dscnt 0x900
	v_mul_f64_e32 v[175:176], v[38:39], v[8:9]
	v_mul_f64_e32 v[8:9], v[40:41], v[8:9]
	s_delay_alu instid0(VALU_DEP_4) | instskip(NEXT) | instid1(VALU_DEP_4)
	v_fma_f64 v[177:178], v[42:43], v[2:3], -v[171:172]
	v_fma_f64 v[179:180], v[44:45], v[2:3], v[4:5]
	ds_load_b128 v[2:5], v1 offset:1120
	ds_load_b128 v[171:174], v1 offset:1136
	scratch_load_b128 v[42:45], off, off offset:336
	v_fma_f64 v[40:41], v[40:41], v[6:7], v[175:176]
	v_fma_f64 v[38:39], v[38:39], v[6:7], -v[8:9]
	scratch_load_b128 v[6:9], off, off offset:352
	s_wait_loadcnt_dscnt 0xa01
	v_mul_f64_e32 v[181:182], v[2:3], v[12:13]
	v_mul_f64_e32 v[12:13], v[4:5], v[12:13]
	v_add_f64_e32 v[175:176], 0, v[177:178]
	v_add_f64_e32 v[177:178], 0, v[179:180]
	s_wait_loadcnt_dscnt 0x900
	v_mul_f64_e32 v[179:180], v[171:172], v[16:17]
	v_mul_f64_e32 v[16:17], v[173:174], v[16:17]
	v_fma_f64 v[181:182], v[4:5], v[10:11], v[181:182]
	v_fma_f64 v[183:184], v[2:3], v[10:11], -v[12:13]
	ds_load_b128 v[2:5], v1 offset:1152
	scratch_load_b128 v[10:13], off, off offset:368
	v_add_f64_e32 v[175:176], v[175:176], v[38:39]
	v_add_f64_e32 v[177:178], v[177:178], v[40:41]
	ds_load_b128 v[38:41], v1 offset:1168
	v_fma_f64 v[173:174], v[173:174], v[14:15], v[179:180]
	v_fma_f64 v[171:172], v[171:172], v[14:15], -v[16:17]
	scratch_load_b128 v[14:17], off, off offset:384
	s_wait_loadcnt_dscnt 0xa01
	v_mul_f64_e32 v[185:186], v[2:3], v[20:21]
	v_mul_f64_e32 v[20:21], v[4:5], v[20:21]
	s_wait_loadcnt_dscnt 0x900
	v_mul_f64_e32 v[179:180], v[38:39], v[24:25]
	v_mul_f64_e32 v[24:25], v[40:41], v[24:25]
	v_add_f64_e32 v[175:176], v[175:176], v[183:184]
	v_add_f64_e32 v[177:178], v[177:178], v[181:182]
	v_fma_f64 v[181:182], v[4:5], v[18:19], v[185:186]
	v_fma_f64 v[183:184], v[2:3], v[18:19], -v[20:21]
	ds_load_b128 v[2:5], v1 offset:1184
	scratch_load_b128 v[18:21], off, off offset:400
	v_fma_f64 v[40:41], v[40:41], v[22:23], v[179:180]
	v_fma_f64 v[38:39], v[38:39], v[22:23], -v[24:25]
	scratch_load_b128 v[22:25], off, off offset:416
	v_add_f64_e32 v[175:176], v[175:176], v[171:172]
	v_add_f64_e32 v[177:178], v[177:178], v[173:174]
	ds_load_b128 v[171:174], v1 offset:1200
	s_wait_loadcnt_dscnt 0xa01
	v_mul_f64_e32 v[185:186], v[2:3], v[28:29]
	v_mul_f64_e32 v[28:29], v[4:5], v[28:29]
	s_wait_loadcnt_dscnt 0x900
	v_mul_f64_e32 v[179:180], v[171:172], v[32:33]
	v_mul_f64_e32 v[32:33], v[173:174], v[32:33]
	v_add_f64_e32 v[175:176], v[175:176], v[183:184]
	v_add_f64_e32 v[177:178], v[177:178], v[181:182]
	v_fma_f64 v[181:182], v[4:5], v[26:27], v[185:186]
	v_fma_f64 v[183:184], v[2:3], v[26:27], -v[28:29]
	ds_load_b128 v[2:5], v1 offset:1216
	scratch_load_b128 v[26:29], off, off offset:432
	v_fma_f64 v[173:174], v[173:174], v[30:31], v[179:180]
	v_fma_f64 v[171:172], v[171:172], v[30:31], -v[32:33]
	scratch_load_b128 v[30:33], off, off offset:448
	v_add_f64_e32 v[175:176], v[175:176], v[38:39]
	v_add_f64_e32 v[177:178], v[177:178], v[40:41]
	ds_load_b128 v[38:41], v1 offset:1232
	s_wait_loadcnt_dscnt 0xa01
	v_mul_f64_e32 v[185:186], v[2:3], v[36:37]
	v_mul_f64_e32 v[36:37], v[4:5], v[36:37]
	s_wait_loadcnt_dscnt 0x800
	v_mul_f64_e32 v[179:180], v[38:39], v[169:170]
	v_add_f64_e32 v[175:176], v[175:176], v[183:184]
	v_add_f64_e32 v[177:178], v[177:178], v[181:182]
	v_mul_f64_e32 v[181:182], v[40:41], v[169:170]
	v_fma_f64 v[183:184], v[4:5], v[34:35], v[185:186]
	v_fma_f64 v[185:186], v[2:3], v[34:35], -v[36:37]
	ds_load_b128 v[2:5], v1 offset:1248
	scratch_load_b128 v[34:37], off, off offset:464
	v_fma_f64 v[179:180], v[40:41], v[167:168], v[179:180]
	v_add_f64_e32 v[175:176], v[175:176], v[171:172]
	v_add_f64_e32 v[173:174], v[177:178], v[173:174]
	ds_load_b128 v[169:172], v1 offset:1264
	v_fma_f64 v[167:168], v[38:39], v[167:168], -v[181:182]
	scratch_load_b128 v[38:41], off, off offset:480
	s_wait_loadcnt_dscnt 0x901
	v_mul_f64_e32 v[177:178], v[2:3], v[44:45]
	v_mul_f64_e32 v[44:45], v[4:5], v[44:45]
	s_wait_loadcnt_dscnt 0x800
	v_mul_f64_e32 v[181:182], v[169:170], v[8:9]
	v_mul_f64_e32 v[8:9], v[171:172], v[8:9]
	v_add_f64_e32 v[175:176], v[175:176], v[185:186]
	v_add_f64_e32 v[173:174], v[173:174], v[183:184]
	v_fma_f64 v[177:178], v[4:5], v[42:43], v[177:178]
	v_fma_f64 v[183:184], v[2:3], v[42:43], -v[44:45]
	ds_load_b128 v[2:5], v1 offset:1280
	scratch_load_b128 v[42:45], off, off offset:496
	v_fma_f64 v[171:172], v[171:172], v[6:7], v[181:182]
	v_fma_f64 v[169:170], v[169:170], v[6:7], -v[8:9]
	scratch_load_b128 v[6:9], off, off offset:512
	v_add_f64_e32 v[167:168], v[175:176], v[167:168]
	v_add_f64_e32 v[179:180], v[173:174], v[179:180]
	ds_load_b128 v[173:176], v1 offset:1296
	s_wait_loadcnt_dscnt 0x901
	v_mul_f64_e32 v[185:186], v[2:3], v[12:13]
	v_mul_f64_e32 v[12:13], v[4:5], v[12:13]
	v_add_f64_e32 v[167:168], v[167:168], v[183:184]
	v_add_f64_e32 v[177:178], v[179:180], v[177:178]
	s_wait_loadcnt_dscnt 0x800
	v_mul_f64_e32 v[179:180], v[173:174], v[16:17]
	v_mul_f64_e32 v[16:17], v[175:176], v[16:17]
	v_fma_f64 v[181:182], v[4:5], v[10:11], v[185:186]
	v_fma_f64 v[183:184], v[2:3], v[10:11], -v[12:13]
	ds_load_b128 v[2:5], v1 offset:1312
	scratch_load_b128 v[10:13], off, off offset:528
	v_add_f64_e32 v[185:186], v[167:168], v[169:170]
	v_add_f64_e32 v[171:172], v[177:178], v[171:172]
	ds_load_b128 v[167:170], v1 offset:1328
	s_wait_loadcnt_dscnt 0x801
	v_mul_f64_e32 v[177:178], v[2:3], v[20:21]
	v_mul_f64_e32 v[20:21], v[4:5], v[20:21]
	v_fma_f64 v[175:176], v[175:176], v[14:15], v[179:180]
	v_fma_f64 v[173:174], v[173:174], v[14:15], -v[16:17]
	scratch_load_b128 v[14:17], off, off offset:544
	v_add_f64_e32 v[179:180], v[185:186], v[183:184]
	v_add_f64_e32 v[171:172], v[171:172], v[181:182]
	s_wait_loadcnt_dscnt 0x800
	v_mul_f64_e32 v[181:182], v[167:168], v[24:25]
	v_mul_f64_e32 v[24:25], v[169:170], v[24:25]
	v_fma_f64 v[177:178], v[4:5], v[18:19], v[177:178]
	v_fma_f64 v[183:184], v[2:3], v[18:19], -v[20:21]
	ds_load_b128 v[2:5], v1 offset:1344
	scratch_load_b128 v[18:21], off, off offset:560
	v_add_f64_e32 v[179:180], v[179:180], v[173:174]
	v_add_f64_e32 v[175:176], v[171:172], v[175:176]
	ds_load_b128 v[171:174], v1 offset:1360
	s_wait_loadcnt_dscnt 0x801
	v_mul_f64_e32 v[185:186], v[2:3], v[28:29]
	v_mul_f64_e32 v[28:29], v[4:5], v[28:29]
	v_fma_f64 v[169:170], v[169:170], v[22:23], v[181:182]
	v_fma_f64 v[167:168], v[167:168], v[22:23], -v[24:25]
	scratch_load_b128 v[22:25], off, off offset:576
	;; [unrolled: 18-line block ×4, first 2 shown]
	s_wait_loadcnt_dscnt 0x800
	v_mul_f64_e32 v[179:180], v[171:172], v[8:9]
	v_mul_f64_e32 v[8:9], v[173:174], v[8:9]
	v_add_f64_e32 v[177:178], v[177:178], v[183:184]
	v_add_f64_e32 v[175:176], v[175:176], v[181:182]
	v_fma_f64 v[181:182], v[4:5], v[42:43], v[185:186]
	v_fma_f64 v[183:184], v[2:3], v[42:43], -v[44:45]
	ds_load_b128 v[2:5], v1 offset:1440
	scratch_load_b128 v[42:45], off, off offset:656
	v_fma_f64 v[173:174], v[173:174], v[6:7], v[179:180]
	v_fma_f64 v[171:172], v[171:172], v[6:7], -v[8:9]
	scratch_load_b128 v[6:9], off, off offset:672
	v_add_f64_e32 v[177:178], v[177:178], v[167:168]
	v_add_f64_e32 v[175:176], v[175:176], v[169:170]
	ds_load_b128 v[167:170], v1 offset:1456
	s_wait_loadcnt_dscnt 0x901
	v_mul_f64_e32 v[185:186], v[2:3], v[12:13]
	v_mul_f64_e32 v[12:13], v[4:5], v[12:13]
	s_wait_loadcnt_dscnt 0x800
	v_mul_f64_e32 v[179:180], v[167:168], v[16:17]
	v_mul_f64_e32 v[16:17], v[169:170], v[16:17]
	v_add_f64_e32 v[177:178], v[177:178], v[183:184]
	v_add_f64_e32 v[175:176], v[175:176], v[181:182]
	v_fma_f64 v[181:182], v[4:5], v[10:11], v[185:186]
	v_fma_f64 v[183:184], v[2:3], v[10:11], -v[12:13]
	ds_load_b128 v[2:5], v1 offset:1472
	scratch_load_b128 v[10:13], off, off offset:688
	v_fma_f64 v[169:170], v[169:170], v[14:15], v[179:180]
	v_fma_f64 v[167:168], v[167:168], v[14:15], -v[16:17]
	scratch_load_b128 v[14:17], off, off offset:704
	v_add_f64_e32 v[177:178], v[177:178], v[171:172]
	v_add_f64_e32 v[175:176], v[175:176], v[173:174]
	ds_load_b128 v[171:174], v1 offset:1488
	s_wait_loadcnt_dscnt 0x901
	v_mul_f64_e32 v[185:186], v[2:3], v[20:21]
	v_mul_f64_e32 v[20:21], v[4:5], v[20:21]
	;; [unrolled: 18-line block ×9, first 2 shown]
	s_wait_loadcnt_dscnt 0x800
	v_mul_f64_e32 v[179:180], v[167:168], v[40:41]
	v_mul_f64_e32 v[40:41], v[169:170], v[40:41]
	v_add_f64_e32 v[177:178], v[177:178], v[183:184]
	v_add_f64_e32 v[175:176], v[175:176], v[181:182]
	v_fma_f64 v[181:182], v[4:5], v[34:35], v[185:186]
	v_fma_f64 v[183:184], v[2:3], v[34:35], -v[36:37]
	ds_load_b128 v[2:5], v1 offset:1728
	ds_load_b128 v[34:37], v1 offset:1744
	v_fma_f64 v[169:170], v[169:170], v[38:39], v[179:180]
	v_fma_f64 v[38:39], v[167:168], v[38:39], -v[40:41]
	v_add_f64_e32 v[171:172], v[177:178], v[171:172]
	v_add_f64_e32 v[173:174], v[175:176], v[173:174]
	s_wait_loadcnt_dscnt 0x701
	v_mul_f64_e32 v[175:176], v[2:3], v[44:45]
	v_mul_f64_e32 v[44:45], v[4:5], v[44:45]
	s_delay_alu instid0(VALU_DEP_4) | instskip(NEXT) | instid1(VALU_DEP_4)
	v_add_f64_e32 v[40:41], v[171:172], v[183:184]
	v_add_f64_e32 v[167:168], v[173:174], v[181:182]
	s_wait_loadcnt_dscnt 0x600
	v_mul_f64_e32 v[171:172], v[34:35], v[8:9]
	v_mul_f64_e32 v[8:9], v[36:37], v[8:9]
	v_fma_f64 v[173:174], v[4:5], v[42:43], v[175:176]
	v_fma_f64 v[42:43], v[2:3], v[42:43], -v[44:45]
	v_add_f64_e32 v[44:45], v[40:41], v[38:39]
	v_add_f64_e32 v[167:168], v[167:168], v[169:170]
	ds_load_b128 v[2:5], v1 offset:1760
	ds_load_b128 v[38:41], v1 offset:1776
	v_fma_f64 v[36:37], v[36:37], v[6:7], v[171:172]
	v_fma_f64 v[6:7], v[34:35], v[6:7], -v[8:9]
	s_wait_loadcnt_dscnt 0x501
	v_mul_f64_e32 v[169:170], v[2:3], v[12:13]
	v_mul_f64_e32 v[12:13], v[4:5], v[12:13]
	v_add_f64_e32 v[8:9], v[44:45], v[42:43]
	v_add_f64_e32 v[34:35], v[167:168], v[173:174]
	s_wait_loadcnt_dscnt 0x400
	v_mul_f64_e32 v[42:43], v[38:39], v[16:17]
	v_mul_f64_e32 v[16:17], v[40:41], v[16:17]
	v_fma_f64 v[44:45], v[4:5], v[10:11], v[169:170]
	v_fma_f64 v[10:11], v[2:3], v[10:11], -v[12:13]
	v_add_f64_e32 v[12:13], v[8:9], v[6:7]
	v_add_f64_e32 v[34:35], v[34:35], v[36:37]
	ds_load_b128 v[2:5], v1 offset:1792
	ds_load_b128 v[6:9], v1 offset:1808
	v_fma_f64 v[40:41], v[40:41], v[14:15], v[42:43]
	v_fma_f64 v[14:15], v[38:39], v[14:15], -v[16:17]
	s_wait_loadcnt_dscnt 0x301
	v_mul_f64_e32 v[36:37], v[2:3], v[20:21]
	v_mul_f64_e32 v[20:21], v[4:5], v[20:21]
	s_wait_loadcnt_dscnt 0x200
	v_mul_f64_e32 v[16:17], v[6:7], v[24:25]
	v_mul_f64_e32 v[24:25], v[8:9], v[24:25]
	v_add_f64_e32 v[10:11], v[12:13], v[10:11]
	v_add_f64_e32 v[12:13], v[34:35], v[44:45]
	v_fma_f64 v[34:35], v[4:5], v[18:19], v[36:37]
	v_fma_f64 v[18:19], v[2:3], v[18:19], -v[20:21]
	v_fma_f64 v[8:9], v[8:9], v[22:23], v[16:17]
	v_fma_f64 v[6:7], v[6:7], v[22:23], -v[24:25]
	v_add_f64_e32 v[14:15], v[10:11], v[14:15]
	v_add_f64_e32 v[20:21], v[12:13], v[40:41]
	ds_load_b128 v[2:5], v1 offset:1824
	ds_load_b128 v[10:13], v1 offset:1840
	s_wait_loadcnt_dscnt 0x101
	v_mul_f64_e32 v[36:37], v[2:3], v[28:29]
	v_mul_f64_e32 v[28:29], v[4:5], v[28:29]
	v_add_f64_e32 v[14:15], v[14:15], v[18:19]
	v_add_f64_e32 v[16:17], v[20:21], v[34:35]
	s_wait_loadcnt_dscnt 0x0
	v_mul_f64_e32 v[18:19], v[10:11], v[32:33]
	v_mul_f64_e32 v[20:21], v[12:13], v[32:33]
	v_fma_f64 v[4:5], v[4:5], v[26:27], v[36:37]
	v_fma_f64 v[1:2], v[2:3], v[26:27], -v[28:29]
	v_add_f64_e32 v[6:7], v[14:15], v[6:7]
	v_add_f64_e32 v[8:9], v[16:17], v[8:9]
	v_fma_f64 v[12:13], v[12:13], v[30:31], v[18:19]
	v_fma_f64 v[10:11], v[10:11], v[30:31], -v[20:21]
	s_delay_alu instid0(VALU_DEP_4) | instskip(NEXT) | instid1(VALU_DEP_4)
	v_add_f64_e32 v[1:2], v[6:7], v[1:2]
	v_add_f64_e32 v[3:4], v[8:9], v[4:5]
	s_delay_alu instid0(VALU_DEP_2) | instskip(NEXT) | instid1(VALU_DEP_2)
	v_add_f64_e32 v[1:2], v[1:2], v[10:11]
	v_add_f64_e32 v[3:4], v[3:4], v[12:13]
	s_delay_alu instid0(VALU_DEP_2) | instskip(NEXT) | instid1(VALU_DEP_2)
	v_add_f64_e64 v[1:2], v[163:164], -v[1:2]
	v_add_f64_e64 v[3:4], v[165:166], -v[3:4]
	scratch_store_b128 off, v[1:4], off offset:160
	v_cmpx_lt_u32_e32 8, v0
	s_cbranch_execz .LBB57_345
; %bb.344:
	scratch_load_b128 v[1:4], off, s63
	v_mov_b32_e32 v5, 0
	s_delay_alu instid0(VALU_DEP_1)
	v_dual_mov_b32 v6, v5 :: v_dual_mov_b32 v7, v5
	v_mov_b32_e32 v8, v5
	scratch_store_b128 off, v[5:8], off offset:144
	s_wait_loadcnt 0x0
	ds_store_b128 v162, v[1:4]
.LBB57_345:
	s_wait_alu 0xfffe
	s_or_b32 exec_lo, exec_lo, s0
	s_wait_storecnt_dscnt 0x0
	s_barrier_signal -1
	s_barrier_wait -1
	global_inv scope:SCOPE_SE
	s_clause 0x7
	scratch_load_b128 v[2:5], off, off offset:160
	scratch_load_b128 v[6:9], off, off offset:176
	;; [unrolled: 1-line block ×8, first 2 shown]
	v_mov_b32_e32 v1, 0
	s_mov_b32 s0, exec_lo
	ds_load_b128 v[38:41], v1 offset:1072
	s_clause 0x1
	scratch_load_b128 v[34:37], off, off offset:288
	scratch_load_b128 v[42:45], off, off offset:144
	ds_load_b128 v[163:166], v1 offset:1088
	scratch_load_b128 v[167:170], off, off offset:304
	s_wait_loadcnt_dscnt 0xa01
	v_mul_f64_e32 v[171:172], v[40:41], v[4:5]
	v_mul_f64_e32 v[4:5], v[38:39], v[4:5]
	s_delay_alu instid0(VALU_DEP_2) | instskip(NEXT) | instid1(VALU_DEP_2)
	v_fma_f64 v[177:178], v[38:39], v[2:3], -v[171:172]
	v_fma_f64 v[179:180], v[40:41], v[2:3], v[4:5]
	ds_load_b128 v[2:5], v1 offset:1104
	s_wait_loadcnt_dscnt 0x901
	v_mul_f64_e32 v[175:176], v[163:164], v[8:9]
	v_mul_f64_e32 v[8:9], v[165:166], v[8:9]
	scratch_load_b128 v[38:41], off, off offset:320
	ds_load_b128 v[171:174], v1 offset:1120
	s_wait_loadcnt_dscnt 0x901
	v_mul_f64_e32 v[181:182], v[2:3], v[12:13]
	v_mul_f64_e32 v[12:13], v[4:5], v[12:13]
	v_fma_f64 v[165:166], v[165:166], v[6:7], v[175:176]
	v_fma_f64 v[163:164], v[163:164], v[6:7], -v[8:9]
	v_add_f64_e32 v[175:176], 0, v[177:178]
	v_add_f64_e32 v[177:178], 0, v[179:180]
	scratch_load_b128 v[6:9], off, off offset:336
	v_fma_f64 v[181:182], v[4:5], v[10:11], v[181:182]
	v_fma_f64 v[183:184], v[2:3], v[10:11], -v[12:13]
	ds_load_b128 v[2:5], v1 offset:1136
	s_wait_loadcnt_dscnt 0x901
	v_mul_f64_e32 v[179:180], v[171:172], v[16:17]
	v_mul_f64_e32 v[16:17], v[173:174], v[16:17]
	scratch_load_b128 v[10:13], off, off offset:352
	v_add_f64_e32 v[175:176], v[175:176], v[163:164]
	v_add_f64_e32 v[177:178], v[177:178], v[165:166]
	s_wait_loadcnt_dscnt 0x900
	v_mul_f64_e32 v[185:186], v[2:3], v[20:21]
	v_mul_f64_e32 v[20:21], v[4:5], v[20:21]
	ds_load_b128 v[163:166], v1 offset:1152
	v_fma_f64 v[173:174], v[173:174], v[14:15], v[179:180]
	v_fma_f64 v[171:172], v[171:172], v[14:15], -v[16:17]
	scratch_load_b128 v[14:17], off, off offset:368
	v_add_f64_e32 v[175:176], v[175:176], v[183:184]
	v_add_f64_e32 v[177:178], v[177:178], v[181:182]
	v_fma_f64 v[181:182], v[4:5], v[18:19], v[185:186]
	v_fma_f64 v[183:184], v[2:3], v[18:19], -v[20:21]
	ds_load_b128 v[2:5], v1 offset:1168
	s_wait_loadcnt_dscnt 0x901
	v_mul_f64_e32 v[179:180], v[163:164], v[24:25]
	v_mul_f64_e32 v[24:25], v[165:166], v[24:25]
	scratch_load_b128 v[18:21], off, off offset:384
	s_wait_loadcnt_dscnt 0x900
	v_mul_f64_e32 v[185:186], v[2:3], v[28:29]
	v_mul_f64_e32 v[28:29], v[4:5], v[28:29]
	v_add_f64_e32 v[175:176], v[175:176], v[171:172]
	v_add_f64_e32 v[177:178], v[177:178], v[173:174]
	ds_load_b128 v[171:174], v1 offset:1184
	v_fma_f64 v[165:166], v[165:166], v[22:23], v[179:180]
	v_fma_f64 v[163:164], v[163:164], v[22:23], -v[24:25]
	scratch_load_b128 v[22:25], off, off offset:400
	v_add_f64_e32 v[175:176], v[175:176], v[183:184]
	v_add_f64_e32 v[177:178], v[177:178], v[181:182]
	v_fma_f64 v[181:182], v[4:5], v[26:27], v[185:186]
	v_fma_f64 v[183:184], v[2:3], v[26:27], -v[28:29]
	ds_load_b128 v[2:5], v1 offset:1200
	s_wait_loadcnt_dscnt 0x901
	v_mul_f64_e32 v[179:180], v[171:172], v[32:33]
	v_mul_f64_e32 v[32:33], v[173:174], v[32:33]
	scratch_load_b128 v[26:29], off, off offset:416
	s_wait_loadcnt_dscnt 0x900
	v_mul_f64_e32 v[185:186], v[2:3], v[36:37]
	v_mul_f64_e32 v[36:37], v[4:5], v[36:37]
	v_add_f64_e32 v[175:176], v[175:176], v[163:164]
	v_add_f64_e32 v[177:178], v[177:178], v[165:166]
	ds_load_b128 v[163:166], v1 offset:1216
	v_fma_f64 v[173:174], v[173:174], v[30:31], v[179:180]
	v_fma_f64 v[171:172], v[171:172], v[30:31], -v[32:33]
	scratch_load_b128 v[30:33], off, off offset:432
	v_add_f64_e32 v[175:176], v[175:176], v[183:184]
	v_add_f64_e32 v[177:178], v[177:178], v[181:182]
	v_fma_f64 v[183:184], v[4:5], v[34:35], v[185:186]
	v_fma_f64 v[185:186], v[2:3], v[34:35], -v[36:37]
	ds_load_b128 v[2:5], v1 offset:1232
	s_wait_loadcnt_dscnt 0x801
	v_mul_f64_e32 v[179:180], v[163:164], v[169:170]
	v_mul_f64_e32 v[181:182], v[165:166], v[169:170]
	scratch_load_b128 v[34:37], off, off offset:448
	v_add_f64_e32 v[175:176], v[175:176], v[171:172]
	v_add_f64_e32 v[173:174], v[177:178], v[173:174]
	ds_load_b128 v[169:172], v1 offset:1248
	v_fma_f64 v[179:180], v[165:166], v[167:168], v[179:180]
	v_fma_f64 v[167:168], v[163:164], v[167:168], -v[181:182]
	scratch_load_b128 v[163:166], off, off offset:464
	s_wait_loadcnt_dscnt 0x901
	v_mul_f64_e32 v[177:178], v[2:3], v[40:41]
	v_mul_f64_e32 v[40:41], v[4:5], v[40:41]
	v_add_f64_e32 v[175:176], v[175:176], v[185:186]
	v_add_f64_e32 v[173:174], v[173:174], v[183:184]
	s_delay_alu instid0(VALU_DEP_4) | instskip(NEXT) | instid1(VALU_DEP_4)
	v_fma_f64 v[177:178], v[4:5], v[38:39], v[177:178]
	v_fma_f64 v[183:184], v[2:3], v[38:39], -v[40:41]
	ds_load_b128 v[2:5], v1 offset:1264
	s_wait_loadcnt_dscnt 0x801
	v_mul_f64_e32 v[181:182], v[169:170], v[8:9]
	v_mul_f64_e32 v[8:9], v[171:172], v[8:9]
	scratch_load_b128 v[38:41], off, off offset:480
	s_wait_loadcnt_dscnt 0x800
	v_mul_f64_e32 v[185:186], v[2:3], v[12:13]
	v_add_f64_e32 v[167:168], v[175:176], v[167:168]
	v_add_f64_e32 v[179:180], v[173:174], v[179:180]
	v_mul_f64_e32 v[12:13], v[4:5], v[12:13]
	ds_load_b128 v[173:176], v1 offset:1280
	v_fma_f64 v[171:172], v[171:172], v[6:7], v[181:182]
	v_fma_f64 v[169:170], v[169:170], v[6:7], -v[8:9]
	scratch_load_b128 v[6:9], off, off offset:496
	v_fma_f64 v[181:182], v[4:5], v[10:11], v[185:186]
	v_add_f64_e32 v[167:168], v[167:168], v[183:184]
	v_add_f64_e32 v[177:178], v[179:180], v[177:178]
	v_fma_f64 v[183:184], v[2:3], v[10:11], -v[12:13]
	ds_load_b128 v[2:5], v1 offset:1296
	s_wait_loadcnt_dscnt 0x801
	v_mul_f64_e32 v[179:180], v[173:174], v[16:17]
	v_mul_f64_e32 v[16:17], v[175:176], v[16:17]
	scratch_load_b128 v[10:13], off, off offset:512
	v_add_f64_e32 v[185:186], v[167:168], v[169:170]
	v_add_f64_e32 v[171:172], v[177:178], v[171:172]
	s_wait_loadcnt_dscnt 0x800
	v_mul_f64_e32 v[177:178], v[2:3], v[20:21]
	v_mul_f64_e32 v[20:21], v[4:5], v[20:21]
	v_fma_f64 v[175:176], v[175:176], v[14:15], v[179:180]
	v_fma_f64 v[173:174], v[173:174], v[14:15], -v[16:17]
	ds_load_b128 v[167:170], v1 offset:1312
	scratch_load_b128 v[14:17], off, off offset:528
	v_add_f64_e32 v[179:180], v[185:186], v[183:184]
	v_add_f64_e32 v[171:172], v[171:172], v[181:182]
	v_fma_f64 v[177:178], v[4:5], v[18:19], v[177:178]
	v_fma_f64 v[183:184], v[2:3], v[18:19], -v[20:21]
	ds_load_b128 v[2:5], v1 offset:1328
	s_wait_loadcnt_dscnt 0x801
	v_mul_f64_e32 v[181:182], v[167:168], v[24:25]
	v_mul_f64_e32 v[24:25], v[169:170], v[24:25]
	scratch_load_b128 v[18:21], off, off offset:544
	s_wait_loadcnt_dscnt 0x800
	v_mul_f64_e32 v[185:186], v[2:3], v[28:29]
	v_mul_f64_e32 v[28:29], v[4:5], v[28:29]
	v_add_f64_e32 v[179:180], v[179:180], v[173:174]
	v_add_f64_e32 v[175:176], v[171:172], v[175:176]
	ds_load_b128 v[171:174], v1 offset:1344
	v_fma_f64 v[169:170], v[169:170], v[22:23], v[181:182]
	v_fma_f64 v[167:168], v[167:168], v[22:23], -v[24:25]
	scratch_load_b128 v[22:25], off, off offset:560
	v_fma_f64 v[181:182], v[4:5], v[26:27], v[185:186]
	v_add_f64_e32 v[179:180], v[179:180], v[183:184]
	v_add_f64_e32 v[175:176], v[175:176], v[177:178]
	v_fma_f64 v[183:184], v[2:3], v[26:27], -v[28:29]
	ds_load_b128 v[2:5], v1 offset:1360
	s_wait_loadcnt_dscnt 0x801
	v_mul_f64_e32 v[177:178], v[171:172], v[32:33]
	v_mul_f64_e32 v[32:33], v[173:174], v[32:33]
	scratch_load_b128 v[26:29], off, off offset:576
	s_wait_loadcnt_dscnt 0x800
	v_mul_f64_e32 v[185:186], v[2:3], v[36:37]
	v_mul_f64_e32 v[36:37], v[4:5], v[36:37]
	v_add_f64_e32 v[179:180], v[179:180], v[167:168]
	v_add_f64_e32 v[175:176], v[175:176], v[169:170]
	ds_load_b128 v[167:170], v1 offset:1376
	v_fma_f64 v[173:174], v[173:174], v[30:31], v[177:178]
	v_fma_f64 v[171:172], v[171:172], v[30:31], -v[32:33]
	scratch_load_b128 v[30:33], off, off offset:592
	v_add_f64_e32 v[177:178], v[179:180], v[183:184]
	v_add_f64_e32 v[175:176], v[175:176], v[181:182]
	v_fma_f64 v[181:182], v[4:5], v[34:35], v[185:186]
	v_fma_f64 v[183:184], v[2:3], v[34:35], -v[36:37]
	ds_load_b128 v[2:5], v1 offset:1392
	s_wait_loadcnt_dscnt 0x801
	v_mul_f64_e32 v[179:180], v[167:168], v[165:166]
	v_mul_f64_e32 v[165:166], v[169:170], v[165:166]
	scratch_load_b128 v[34:37], off, off offset:608
	s_wait_loadcnt_dscnt 0x800
	v_mul_f64_e32 v[185:186], v[2:3], v[40:41]
	v_mul_f64_e32 v[40:41], v[4:5], v[40:41]
	v_add_f64_e32 v[177:178], v[177:178], v[171:172]
	v_add_f64_e32 v[175:176], v[175:176], v[173:174]
	ds_load_b128 v[171:174], v1 offset:1408
	v_fma_f64 v[169:170], v[169:170], v[163:164], v[179:180]
	v_fma_f64 v[167:168], v[167:168], v[163:164], -v[165:166]
	scratch_load_b128 v[163:166], off, off offset:624
	v_add_f64_e32 v[177:178], v[177:178], v[183:184]
	v_add_f64_e32 v[175:176], v[175:176], v[181:182]
	v_fma_f64 v[181:182], v[4:5], v[38:39], v[185:186]
	;; [unrolled: 18-line block ×6, first 2 shown]
	v_fma_f64 v[185:186], v[2:3], v[34:35], -v[36:37]
	ds_load_b128 v[2:5], v1 offset:1552
	s_wait_loadcnt_dscnt 0x801
	v_mul_f64_e32 v[179:180], v[171:172], v[165:166]
	v_mul_f64_e32 v[181:182], v[173:174], v[165:166]
	scratch_load_b128 v[34:37], off, off offset:768
	v_add_f64_e32 v[177:178], v[177:178], v[167:168]
	v_add_f64_e32 v[169:170], v[175:176], v[169:170]
	s_wait_loadcnt_dscnt 0x800
	v_mul_f64_e32 v[175:176], v[2:3], v[40:41]
	v_mul_f64_e32 v[40:41], v[4:5], v[40:41]
	ds_load_b128 v[165:168], v1 offset:1568
	v_fma_f64 v[173:174], v[173:174], v[163:164], v[179:180]
	v_fma_f64 v[163:164], v[171:172], v[163:164], -v[181:182]
	v_add_f64_e32 v[177:178], v[177:178], v[185:186]
	v_add_f64_e32 v[179:180], v[169:170], v[183:184]
	scratch_load_b128 v[169:172], off, off offset:784
	v_fma_f64 v[183:184], v[4:5], v[38:39], v[175:176]
	v_fma_f64 v[185:186], v[2:3], v[38:39], -v[40:41]
	ds_load_b128 v[2:5], v1 offset:1584
	s_wait_loadcnt_dscnt 0x801
	v_mul_f64_e32 v[181:182], v[165:166], v[8:9]
	v_mul_f64_e32 v[8:9], v[167:168], v[8:9]
	scratch_load_b128 v[38:41], off, off offset:800
	v_add_f64_e32 v[163:164], v[177:178], v[163:164]
	v_add_f64_e32 v[177:178], v[179:180], v[173:174]
	s_wait_loadcnt_dscnt 0x800
	v_mul_f64_e32 v[179:180], v[2:3], v[12:13]
	v_mul_f64_e32 v[12:13], v[4:5], v[12:13]
	ds_load_b128 v[173:176], v1 offset:1600
	v_fma_f64 v[167:168], v[167:168], v[6:7], v[181:182]
	v_fma_f64 v[165:166], v[165:166], v[6:7], -v[8:9]
	scratch_load_b128 v[6:9], off, off offset:816
	v_add_f64_e32 v[163:164], v[163:164], v[185:186]
	v_add_f64_e32 v[177:178], v[177:178], v[183:184]
	v_fma_f64 v[179:180], v[4:5], v[10:11], v[179:180]
	v_fma_f64 v[183:184], v[2:3], v[10:11], -v[12:13]
	ds_load_b128 v[2:5], v1 offset:1616
	s_wait_loadcnt_dscnt 0x801
	v_mul_f64_e32 v[181:182], v[173:174], v[16:17]
	v_mul_f64_e32 v[16:17], v[175:176], v[16:17]
	scratch_load_b128 v[10:13], off, off offset:832
	v_add_f64_e32 v[185:186], v[163:164], v[165:166]
	v_add_f64_e32 v[167:168], v[177:178], v[167:168]
	s_wait_loadcnt_dscnt 0x800
	v_mul_f64_e32 v[177:178], v[2:3], v[20:21]
	v_mul_f64_e32 v[20:21], v[4:5], v[20:21]
	ds_load_b128 v[163:166], v1 offset:1632
	v_fma_f64 v[175:176], v[175:176], v[14:15], v[181:182]
	v_fma_f64 v[173:174], v[173:174], v[14:15], -v[16:17]
	scratch_load_b128 v[14:17], off, off offset:848
	v_add_f64_e32 v[181:182], v[185:186], v[183:184]
	v_add_f64_e32 v[167:168], v[167:168], v[179:180]
	v_fma_f64 v[177:178], v[4:5], v[18:19], v[177:178]
	v_fma_f64 v[183:184], v[2:3], v[18:19], -v[20:21]
	ds_load_b128 v[2:5], v1 offset:1648
	s_wait_loadcnt_dscnt 0x801
	v_mul_f64_e32 v[179:180], v[163:164], v[24:25]
	v_mul_f64_e32 v[24:25], v[165:166], v[24:25]
	scratch_load_b128 v[18:21], off, off offset:864
	s_wait_loadcnt_dscnt 0x800
	v_mul_f64_e32 v[185:186], v[2:3], v[28:29]
	v_mul_f64_e32 v[28:29], v[4:5], v[28:29]
	v_add_f64_e32 v[181:182], v[181:182], v[173:174]
	v_add_f64_e32 v[167:168], v[167:168], v[175:176]
	ds_load_b128 v[173:176], v1 offset:1664
	v_fma_f64 v[165:166], v[165:166], v[22:23], v[179:180]
	v_fma_f64 v[163:164], v[163:164], v[22:23], -v[24:25]
	scratch_load_b128 v[22:25], off, off offset:880
	v_add_f64_e32 v[179:180], v[181:182], v[183:184]
	v_add_f64_e32 v[167:168], v[167:168], v[177:178]
	v_fma_f64 v[181:182], v[4:5], v[26:27], v[185:186]
	v_fma_f64 v[183:184], v[2:3], v[26:27], -v[28:29]
	ds_load_b128 v[2:5], v1 offset:1680
	s_wait_loadcnt_dscnt 0x801
	v_mul_f64_e32 v[177:178], v[173:174], v[32:33]
	v_mul_f64_e32 v[32:33], v[175:176], v[32:33]
	scratch_load_b128 v[26:29], off, off offset:896
	s_wait_loadcnt_dscnt 0x800
	v_mul_f64_e32 v[185:186], v[2:3], v[36:37]
	v_mul_f64_e32 v[36:37], v[4:5], v[36:37]
	v_add_f64_e32 v[179:180], v[179:180], v[163:164]
	v_add_f64_e32 v[167:168], v[167:168], v[165:166]
	ds_load_b128 v[163:166], v1 offset:1696
	v_fma_f64 v[175:176], v[175:176], v[30:31], v[177:178]
	v_fma_f64 v[173:174], v[173:174], v[30:31], -v[32:33]
	scratch_load_b128 v[30:33], off, off offset:912
	v_add_f64_e32 v[177:178], v[179:180], v[183:184]
	v_add_f64_e32 v[167:168], v[167:168], v[181:182]
	v_fma_f64 v[183:184], v[4:5], v[34:35], v[185:186]
	v_fma_f64 v[185:186], v[2:3], v[34:35], -v[36:37]
	ds_load_b128 v[2:5], v1 offset:1712
	scratch_load_b128 v[34:37], off, off offset:928
	s_wait_loadcnt_dscnt 0x901
	v_mul_f64_e32 v[179:180], v[163:164], v[171:172]
	v_mul_f64_e32 v[181:182], v[165:166], v[171:172]
	v_add_f64_e32 v[177:178], v[177:178], v[173:174]
	v_add_f64_e32 v[167:168], v[167:168], v[175:176]
	s_wait_loadcnt_dscnt 0x800
	v_mul_f64_e32 v[175:176], v[2:3], v[40:41]
	v_mul_f64_e32 v[40:41], v[4:5], v[40:41]
	ds_load_b128 v[171:174], v1 offset:1728
	v_fma_f64 v[165:166], v[165:166], v[169:170], v[179:180]
	v_fma_f64 v[163:164], v[163:164], v[169:170], -v[181:182]
	v_add_f64_e32 v[169:170], v[177:178], v[185:186]
	v_add_f64_e32 v[167:168], v[167:168], v[183:184]
	s_wait_loadcnt_dscnt 0x700
	v_mul_f64_e32 v[177:178], v[171:172], v[8:9]
	v_mul_f64_e32 v[8:9], v[173:174], v[8:9]
	v_fma_f64 v[175:176], v[4:5], v[38:39], v[175:176]
	v_fma_f64 v[179:180], v[2:3], v[38:39], -v[40:41]
	ds_load_b128 v[2:5], v1 offset:1744
	ds_load_b128 v[38:41], v1 offset:1760
	v_add_f64_e32 v[163:164], v[169:170], v[163:164]
	v_add_f64_e32 v[165:166], v[167:168], v[165:166]
	s_wait_loadcnt_dscnt 0x601
	v_mul_f64_e32 v[167:168], v[2:3], v[12:13]
	v_mul_f64_e32 v[12:13], v[4:5], v[12:13]
	v_fma_f64 v[169:170], v[173:174], v[6:7], v[177:178]
	v_fma_f64 v[6:7], v[171:172], v[6:7], -v[8:9]
	v_add_f64_e32 v[8:9], v[163:164], v[179:180]
	v_add_f64_e32 v[163:164], v[165:166], v[175:176]
	s_wait_loadcnt_dscnt 0x500
	v_mul_f64_e32 v[165:166], v[38:39], v[16:17]
	v_mul_f64_e32 v[16:17], v[40:41], v[16:17]
	v_fma_f64 v[167:168], v[4:5], v[10:11], v[167:168]
	v_fma_f64 v[10:11], v[2:3], v[10:11], -v[12:13]
	v_add_f64_e32 v[12:13], v[8:9], v[6:7]
	v_add_f64_e32 v[163:164], v[163:164], v[169:170]
	ds_load_b128 v[2:5], v1 offset:1776
	ds_load_b128 v[6:9], v1 offset:1792
	v_fma_f64 v[40:41], v[40:41], v[14:15], v[165:166]
	v_fma_f64 v[14:15], v[38:39], v[14:15], -v[16:17]
	s_wait_loadcnt_dscnt 0x401
	v_mul_f64_e32 v[169:170], v[2:3], v[20:21]
	v_mul_f64_e32 v[20:21], v[4:5], v[20:21]
	s_wait_loadcnt_dscnt 0x300
	v_mul_f64_e32 v[16:17], v[6:7], v[24:25]
	v_mul_f64_e32 v[24:25], v[8:9], v[24:25]
	v_add_f64_e32 v[10:11], v[12:13], v[10:11]
	v_add_f64_e32 v[12:13], v[163:164], v[167:168]
	v_fma_f64 v[38:39], v[4:5], v[18:19], v[169:170]
	v_fma_f64 v[18:19], v[2:3], v[18:19], -v[20:21]
	v_fma_f64 v[8:9], v[8:9], v[22:23], v[16:17]
	v_fma_f64 v[6:7], v[6:7], v[22:23], -v[24:25]
	v_add_f64_e32 v[14:15], v[10:11], v[14:15]
	v_add_f64_e32 v[20:21], v[12:13], v[40:41]
	ds_load_b128 v[2:5], v1 offset:1808
	ds_load_b128 v[10:13], v1 offset:1824
	s_wait_loadcnt_dscnt 0x201
	v_mul_f64_e32 v[40:41], v[2:3], v[28:29]
	v_mul_f64_e32 v[28:29], v[4:5], v[28:29]
	v_add_f64_e32 v[14:15], v[14:15], v[18:19]
	v_add_f64_e32 v[16:17], v[20:21], v[38:39]
	s_wait_loadcnt_dscnt 0x100
	v_mul_f64_e32 v[18:19], v[10:11], v[32:33]
	v_mul_f64_e32 v[20:21], v[12:13], v[32:33]
	v_fma_f64 v[22:23], v[4:5], v[26:27], v[40:41]
	v_fma_f64 v[24:25], v[2:3], v[26:27], -v[28:29]
	ds_load_b128 v[2:5], v1 offset:1840
	v_add_f64_e32 v[6:7], v[14:15], v[6:7]
	v_add_f64_e32 v[8:9], v[16:17], v[8:9]
	v_fma_f64 v[12:13], v[12:13], v[30:31], v[18:19]
	v_fma_f64 v[10:11], v[10:11], v[30:31], -v[20:21]
	s_wait_loadcnt_dscnt 0x0
	v_mul_f64_e32 v[14:15], v[2:3], v[36:37]
	v_mul_f64_e32 v[16:17], v[4:5], v[36:37]
	v_add_f64_e32 v[6:7], v[6:7], v[24:25]
	v_add_f64_e32 v[8:9], v[8:9], v[22:23]
	s_delay_alu instid0(VALU_DEP_4) | instskip(NEXT) | instid1(VALU_DEP_4)
	v_fma_f64 v[4:5], v[4:5], v[34:35], v[14:15]
	v_fma_f64 v[2:3], v[2:3], v[34:35], -v[16:17]
	s_delay_alu instid0(VALU_DEP_4) | instskip(NEXT) | instid1(VALU_DEP_4)
	v_add_f64_e32 v[6:7], v[6:7], v[10:11]
	v_add_f64_e32 v[8:9], v[8:9], v[12:13]
	s_delay_alu instid0(VALU_DEP_2) | instskip(NEXT) | instid1(VALU_DEP_2)
	v_add_f64_e32 v[2:3], v[6:7], v[2:3]
	v_add_f64_e32 v[4:5], v[8:9], v[4:5]
	s_delay_alu instid0(VALU_DEP_2) | instskip(NEXT) | instid1(VALU_DEP_2)
	v_add_f64_e64 v[2:3], v[42:43], -v[2:3]
	v_add_f64_e64 v[4:5], v[44:45], -v[4:5]
	scratch_store_b128 off, v[2:5], off offset:144
	v_cmpx_lt_u32_e32 7, v0
	s_cbranch_execz .LBB57_347
; %bb.346:
	scratch_load_b128 v[5:8], off, s64
	v_dual_mov_b32 v2, v1 :: v_dual_mov_b32 v3, v1
	v_mov_b32_e32 v4, v1
	scratch_store_b128 off, v[1:4], off offset:128
	s_wait_loadcnt 0x0
	ds_store_b128 v162, v[5:8]
.LBB57_347:
	s_wait_alu 0xfffe
	s_or_b32 exec_lo, exec_lo, s0
	s_wait_storecnt_dscnt 0x0
	s_barrier_signal -1
	s_barrier_wait -1
	global_inv scope:SCOPE_SE
	s_clause 0x8
	scratch_load_b128 v[2:5], off, off offset:144
	scratch_load_b128 v[6:9], off, off offset:160
	;; [unrolled: 1-line block ×9, first 2 shown]
	ds_load_b128 v[42:45], v1 offset:1056
	ds_load_b128 v[38:41], v1 offset:1072
	s_clause 0x1
	scratch_load_b128 v[163:166], off, off offset:128
	scratch_load_b128 v[167:170], off, off offset:288
	s_mov_b32 s0, exec_lo
	s_wait_loadcnt_dscnt 0xa01
	v_mul_f64_e32 v[171:172], v[44:45], v[4:5]
	v_mul_f64_e32 v[4:5], v[42:43], v[4:5]
	s_wait_loadcnt_dscnt 0x900
	v_mul_f64_e32 v[175:176], v[38:39], v[8:9]
	v_mul_f64_e32 v[8:9], v[40:41], v[8:9]
	s_delay_alu instid0(VALU_DEP_4) | instskip(NEXT) | instid1(VALU_DEP_4)
	v_fma_f64 v[177:178], v[42:43], v[2:3], -v[171:172]
	v_fma_f64 v[179:180], v[44:45], v[2:3], v[4:5]
	ds_load_b128 v[2:5], v1 offset:1088
	ds_load_b128 v[171:174], v1 offset:1104
	scratch_load_b128 v[42:45], off, off offset:304
	v_fma_f64 v[40:41], v[40:41], v[6:7], v[175:176]
	v_fma_f64 v[38:39], v[38:39], v[6:7], -v[8:9]
	scratch_load_b128 v[6:9], off, off offset:320
	s_wait_loadcnt_dscnt 0xa01
	v_mul_f64_e32 v[181:182], v[2:3], v[12:13]
	v_mul_f64_e32 v[12:13], v[4:5], v[12:13]
	v_add_f64_e32 v[175:176], 0, v[177:178]
	v_add_f64_e32 v[177:178], 0, v[179:180]
	s_wait_loadcnt_dscnt 0x900
	v_mul_f64_e32 v[179:180], v[171:172], v[16:17]
	v_mul_f64_e32 v[16:17], v[173:174], v[16:17]
	v_fma_f64 v[181:182], v[4:5], v[10:11], v[181:182]
	v_fma_f64 v[183:184], v[2:3], v[10:11], -v[12:13]
	ds_load_b128 v[2:5], v1 offset:1120
	scratch_load_b128 v[10:13], off, off offset:336
	v_add_f64_e32 v[175:176], v[175:176], v[38:39]
	v_add_f64_e32 v[177:178], v[177:178], v[40:41]
	ds_load_b128 v[38:41], v1 offset:1136
	v_fma_f64 v[173:174], v[173:174], v[14:15], v[179:180]
	v_fma_f64 v[171:172], v[171:172], v[14:15], -v[16:17]
	scratch_load_b128 v[14:17], off, off offset:352
	s_wait_loadcnt_dscnt 0xa01
	v_mul_f64_e32 v[185:186], v[2:3], v[20:21]
	v_mul_f64_e32 v[20:21], v[4:5], v[20:21]
	s_wait_loadcnt_dscnt 0x900
	v_mul_f64_e32 v[179:180], v[38:39], v[24:25]
	v_mul_f64_e32 v[24:25], v[40:41], v[24:25]
	v_add_f64_e32 v[175:176], v[175:176], v[183:184]
	v_add_f64_e32 v[177:178], v[177:178], v[181:182]
	v_fma_f64 v[181:182], v[4:5], v[18:19], v[185:186]
	v_fma_f64 v[183:184], v[2:3], v[18:19], -v[20:21]
	ds_load_b128 v[2:5], v1 offset:1152
	scratch_load_b128 v[18:21], off, off offset:368
	v_fma_f64 v[40:41], v[40:41], v[22:23], v[179:180]
	v_fma_f64 v[38:39], v[38:39], v[22:23], -v[24:25]
	scratch_load_b128 v[22:25], off, off offset:384
	v_add_f64_e32 v[175:176], v[175:176], v[171:172]
	v_add_f64_e32 v[177:178], v[177:178], v[173:174]
	ds_load_b128 v[171:174], v1 offset:1168
	s_wait_loadcnt_dscnt 0xa01
	v_mul_f64_e32 v[185:186], v[2:3], v[28:29]
	v_mul_f64_e32 v[28:29], v[4:5], v[28:29]
	s_wait_loadcnt_dscnt 0x900
	v_mul_f64_e32 v[179:180], v[171:172], v[32:33]
	v_mul_f64_e32 v[32:33], v[173:174], v[32:33]
	v_add_f64_e32 v[175:176], v[175:176], v[183:184]
	v_add_f64_e32 v[177:178], v[177:178], v[181:182]
	v_fma_f64 v[181:182], v[4:5], v[26:27], v[185:186]
	v_fma_f64 v[183:184], v[2:3], v[26:27], -v[28:29]
	ds_load_b128 v[2:5], v1 offset:1184
	scratch_load_b128 v[26:29], off, off offset:400
	v_fma_f64 v[173:174], v[173:174], v[30:31], v[179:180]
	v_fma_f64 v[171:172], v[171:172], v[30:31], -v[32:33]
	scratch_load_b128 v[30:33], off, off offset:416
	v_add_f64_e32 v[175:176], v[175:176], v[38:39]
	v_add_f64_e32 v[177:178], v[177:178], v[40:41]
	ds_load_b128 v[38:41], v1 offset:1200
	s_wait_loadcnt_dscnt 0xa01
	v_mul_f64_e32 v[185:186], v[2:3], v[36:37]
	v_mul_f64_e32 v[36:37], v[4:5], v[36:37]
	s_wait_loadcnt_dscnt 0x800
	v_mul_f64_e32 v[179:180], v[38:39], v[169:170]
	v_add_f64_e32 v[175:176], v[175:176], v[183:184]
	v_add_f64_e32 v[177:178], v[177:178], v[181:182]
	v_mul_f64_e32 v[181:182], v[40:41], v[169:170]
	v_fma_f64 v[183:184], v[4:5], v[34:35], v[185:186]
	v_fma_f64 v[185:186], v[2:3], v[34:35], -v[36:37]
	ds_load_b128 v[2:5], v1 offset:1216
	scratch_load_b128 v[34:37], off, off offset:432
	v_fma_f64 v[179:180], v[40:41], v[167:168], v[179:180]
	v_add_f64_e32 v[175:176], v[175:176], v[171:172]
	v_add_f64_e32 v[173:174], v[177:178], v[173:174]
	ds_load_b128 v[169:172], v1 offset:1232
	v_fma_f64 v[167:168], v[38:39], v[167:168], -v[181:182]
	scratch_load_b128 v[38:41], off, off offset:448
	s_wait_loadcnt_dscnt 0x901
	v_mul_f64_e32 v[177:178], v[2:3], v[44:45]
	v_mul_f64_e32 v[44:45], v[4:5], v[44:45]
	s_wait_loadcnt_dscnt 0x800
	v_mul_f64_e32 v[181:182], v[169:170], v[8:9]
	v_mul_f64_e32 v[8:9], v[171:172], v[8:9]
	v_add_f64_e32 v[175:176], v[175:176], v[185:186]
	v_add_f64_e32 v[173:174], v[173:174], v[183:184]
	v_fma_f64 v[177:178], v[4:5], v[42:43], v[177:178]
	v_fma_f64 v[183:184], v[2:3], v[42:43], -v[44:45]
	ds_load_b128 v[2:5], v1 offset:1248
	scratch_load_b128 v[42:45], off, off offset:464
	v_fma_f64 v[171:172], v[171:172], v[6:7], v[181:182]
	v_fma_f64 v[169:170], v[169:170], v[6:7], -v[8:9]
	scratch_load_b128 v[6:9], off, off offset:480
	v_add_f64_e32 v[167:168], v[175:176], v[167:168]
	v_add_f64_e32 v[179:180], v[173:174], v[179:180]
	ds_load_b128 v[173:176], v1 offset:1264
	s_wait_loadcnt_dscnt 0x901
	v_mul_f64_e32 v[185:186], v[2:3], v[12:13]
	v_mul_f64_e32 v[12:13], v[4:5], v[12:13]
	v_add_f64_e32 v[167:168], v[167:168], v[183:184]
	v_add_f64_e32 v[177:178], v[179:180], v[177:178]
	s_wait_loadcnt_dscnt 0x800
	v_mul_f64_e32 v[179:180], v[173:174], v[16:17]
	v_mul_f64_e32 v[16:17], v[175:176], v[16:17]
	v_fma_f64 v[181:182], v[4:5], v[10:11], v[185:186]
	v_fma_f64 v[183:184], v[2:3], v[10:11], -v[12:13]
	ds_load_b128 v[2:5], v1 offset:1280
	scratch_load_b128 v[10:13], off, off offset:496
	v_add_f64_e32 v[185:186], v[167:168], v[169:170]
	v_add_f64_e32 v[171:172], v[177:178], v[171:172]
	ds_load_b128 v[167:170], v1 offset:1296
	s_wait_loadcnt_dscnt 0x801
	v_mul_f64_e32 v[177:178], v[2:3], v[20:21]
	v_mul_f64_e32 v[20:21], v[4:5], v[20:21]
	v_fma_f64 v[175:176], v[175:176], v[14:15], v[179:180]
	v_fma_f64 v[173:174], v[173:174], v[14:15], -v[16:17]
	scratch_load_b128 v[14:17], off, off offset:512
	v_add_f64_e32 v[179:180], v[185:186], v[183:184]
	v_add_f64_e32 v[171:172], v[171:172], v[181:182]
	s_wait_loadcnt_dscnt 0x800
	v_mul_f64_e32 v[181:182], v[167:168], v[24:25]
	v_mul_f64_e32 v[24:25], v[169:170], v[24:25]
	v_fma_f64 v[177:178], v[4:5], v[18:19], v[177:178]
	v_fma_f64 v[183:184], v[2:3], v[18:19], -v[20:21]
	ds_load_b128 v[2:5], v1 offset:1312
	scratch_load_b128 v[18:21], off, off offset:528
	v_add_f64_e32 v[179:180], v[179:180], v[173:174]
	v_add_f64_e32 v[175:176], v[171:172], v[175:176]
	ds_load_b128 v[171:174], v1 offset:1328
	s_wait_loadcnt_dscnt 0x801
	v_mul_f64_e32 v[185:186], v[2:3], v[28:29]
	v_mul_f64_e32 v[28:29], v[4:5], v[28:29]
	v_fma_f64 v[169:170], v[169:170], v[22:23], v[181:182]
	v_fma_f64 v[167:168], v[167:168], v[22:23], -v[24:25]
	scratch_load_b128 v[22:25], off, off offset:544
	;; [unrolled: 18-line block ×4, first 2 shown]
	s_wait_loadcnt_dscnt 0x800
	v_mul_f64_e32 v[179:180], v[171:172], v[8:9]
	v_mul_f64_e32 v[8:9], v[173:174], v[8:9]
	v_add_f64_e32 v[177:178], v[177:178], v[183:184]
	v_add_f64_e32 v[175:176], v[175:176], v[181:182]
	v_fma_f64 v[181:182], v[4:5], v[42:43], v[185:186]
	v_fma_f64 v[183:184], v[2:3], v[42:43], -v[44:45]
	ds_load_b128 v[2:5], v1 offset:1408
	scratch_load_b128 v[42:45], off, off offset:624
	v_fma_f64 v[173:174], v[173:174], v[6:7], v[179:180]
	v_fma_f64 v[171:172], v[171:172], v[6:7], -v[8:9]
	scratch_load_b128 v[6:9], off, off offset:640
	v_add_f64_e32 v[177:178], v[177:178], v[167:168]
	v_add_f64_e32 v[175:176], v[175:176], v[169:170]
	ds_load_b128 v[167:170], v1 offset:1424
	s_wait_loadcnt_dscnt 0x901
	v_mul_f64_e32 v[185:186], v[2:3], v[12:13]
	v_mul_f64_e32 v[12:13], v[4:5], v[12:13]
	s_wait_loadcnt_dscnt 0x800
	v_mul_f64_e32 v[179:180], v[167:168], v[16:17]
	v_mul_f64_e32 v[16:17], v[169:170], v[16:17]
	v_add_f64_e32 v[177:178], v[177:178], v[183:184]
	v_add_f64_e32 v[175:176], v[175:176], v[181:182]
	v_fma_f64 v[181:182], v[4:5], v[10:11], v[185:186]
	v_fma_f64 v[183:184], v[2:3], v[10:11], -v[12:13]
	ds_load_b128 v[2:5], v1 offset:1440
	scratch_load_b128 v[10:13], off, off offset:656
	v_fma_f64 v[169:170], v[169:170], v[14:15], v[179:180]
	v_fma_f64 v[167:168], v[167:168], v[14:15], -v[16:17]
	scratch_load_b128 v[14:17], off, off offset:672
	v_add_f64_e32 v[177:178], v[177:178], v[171:172]
	v_add_f64_e32 v[175:176], v[175:176], v[173:174]
	ds_load_b128 v[171:174], v1 offset:1456
	s_wait_loadcnt_dscnt 0x901
	v_mul_f64_e32 v[185:186], v[2:3], v[20:21]
	v_mul_f64_e32 v[20:21], v[4:5], v[20:21]
	;; [unrolled: 18-line block ×10, first 2 shown]
	s_wait_loadcnt_dscnt 0x800
	v_mul_f64_e32 v[179:180], v[171:172], v[8:9]
	v_mul_f64_e32 v[8:9], v[173:174], v[8:9]
	v_add_f64_e32 v[177:178], v[177:178], v[183:184]
	v_add_f64_e32 v[175:176], v[175:176], v[181:182]
	v_fma_f64 v[181:182], v[4:5], v[42:43], v[185:186]
	v_fma_f64 v[183:184], v[2:3], v[42:43], -v[44:45]
	ds_load_b128 v[2:5], v1 offset:1728
	ds_load_b128 v[42:45], v1 offset:1744
	v_fma_f64 v[173:174], v[173:174], v[6:7], v[179:180]
	v_fma_f64 v[6:7], v[171:172], v[6:7], -v[8:9]
	v_add_f64_e32 v[167:168], v[177:178], v[167:168]
	v_add_f64_e32 v[169:170], v[175:176], v[169:170]
	s_wait_loadcnt_dscnt 0x701
	v_mul_f64_e32 v[175:176], v[2:3], v[12:13]
	v_mul_f64_e32 v[12:13], v[4:5], v[12:13]
	s_delay_alu instid0(VALU_DEP_4) | instskip(NEXT) | instid1(VALU_DEP_4)
	v_add_f64_e32 v[8:9], v[167:168], v[183:184]
	v_add_f64_e32 v[167:168], v[169:170], v[181:182]
	s_wait_loadcnt_dscnt 0x600
	v_mul_f64_e32 v[169:170], v[42:43], v[16:17]
	v_mul_f64_e32 v[16:17], v[44:45], v[16:17]
	v_fma_f64 v[171:172], v[4:5], v[10:11], v[175:176]
	v_fma_f64 v[10:11], v[2:3], v[10:11], -v[12:13]
	v_add_f64_e32 v[12:13], v[8:9], v[6:7]
	v_add_f64_e32 v[167:168], v[167:168], v[173:174]
	ds_load_b128 v[2:5], v1 offset:1760
	ds_load_b128 v[6:9], v1 offset:1776
	v_fma_f64 v[44:45], v[44:45], v[14:15], v[169:170]
	v_fma_f64 v[14:15], v[42:43], v[14:15], -v[16:17]
	s_wait_loadcnt_dscnt 0x501
	v_mul_f64_e32 v[173:174], v[2:3], v[20:21]
	v_mul_f64_e32 v[20:21], v[4:5], v[20:21]
	s_wait_loadcnt_dscnt 0x400
	v_mul_f64_e32 v[16:17], v[6:7], v[24:25]
	v_mul_f64_e32 v[24:25], v[8:9], v[24:25]
	v_add_f64_e32 v[10:11], v[12:13], v[10:11]
	v_add_f64_e32 v[12:13], v[167:168], v[171:172]
	v_fma_f64 v[42:43], v[4:5], v[18:19], v[173:174]
	v_fma_f64 v[18:19], v[2:3], v[18:19], -v[20:21]
	v_fma_f64 v[8:9], v[8:9], v[22:23], v[16:17]
	v_fma_f64 v[6:7], v[6:7], v[22:23], -v[24:25]
	v_add_f64_e32 v[14:15], v[10:11], v[14:15]
	v_add_f64_e32 v[20:21], v[12:13], v[44:45]
	ds_load_b128 v[2:5], v1 offset:1792
	ds_load_b128 v[10:13], v1 offset:1808
	s_wait_loadcnt_dscnt 0x301
	v_mul_f64_e32 v[44:45], v[2:3], v[28:29]
	v_mul_f64_e32 v[28:29], v[4:5], v[28:29]
	v_add_f64_e32 v[14:15], v[14:15], v[18:19]
	v_add_f64_e32 v[16:17], v[20:21], v[42:43]
	s_wait_loadcnt_dscnt 0x200
	v_mul_f64_e32 v[18:19], v[10:11], v[32:33]
	v_mul_f64_e32 v[20:21], v[12:13], v[32:33]
	v_fma_f64 v[22:23], v[4:5], v[26:27], v[44:45]
	v_fma_f64 v[24:25], v[2:3], v[26:27], -v[28:29]
	v_add_f64_e32 v[14:15], v[14:15], v[6:7]
	v_add_f64_e32 v[16:17], v[16:17], v[8:9]
	ds_load_b128 v[2:5], v1 offset:1824
	ds_load_b128 v[6:9], v1 offset:1840
	v_fma_f64 v[12:13], v[12:13], v[30:31], v[18:19]
	v_fma_f64 v[10:11], v[10:11], v[30:31], -v[20:21]
	s_wait_loadcnt_dscnt 0x101
	v_mul_f64_e32 v[26:27], v[2:3], v[36:37]
	v_mul_f64_e32 v[28:29], v[4:5], v[36:37]
	s_wait_loadcnt_dscnt 0x0
	v_mul_f64_e32 v[18:19], v[6:7], v[40:41]
	v_mul_f64_e32 v[20:21], v[8:9], v[40:41]
	v_add_f64_e32 v[14:15], v[14:15], v[24:25]
	v_add_f64_e32 v[16:17], v[16:17], v[22:23]
	v_fma_f64 v[4:5], v[4:5], v[34:35], v[26:27]
	v_fma_f64 v[1:2], v[2:3], v[34:35], -v[28:29]
	v_fma_f64 v[8:9], v[8:9], v[38:39], v[18:19]
	v_fma_f64 v[6:7], v[6:7], v[38:39], -v[20:21]
	v_add_f64_e32 v[10:11], v[14:15], v[10:11]
	v_add_f64_e32 v[12:13], v[16:17], v[12:13]
	s_delay_alu instid0(VALU_DEP_2) | instskip(NEXT) | instid1(VALU_DEP_2)
	v_add_f64_e32 v[1:2], v[10:11], v[1:2]
	v_add_f64_e32 v[3:4], v[12:13], v[4:5]
	s_delay_alu instid0(VALU_DEP_2) | instskip(NEXT) | instid1(VALU_DEP_2)
	;; [unrolled: 3-line block ×3, first 2 shown]
	v_add_f64_e64 v[1:2], v[163:164], -v[1:2]
	v_add_f64_e64 v[3:4], v[165:166], -v[3:4]
	scratch_store_b128 off, v[1:4], off offset:128
	v_cmpx_lt_u32_e32 6, v0
	s_cbranch_execz .LBB57_349
; %bb.348:
	scratch_load_b128 v[1:4], off, s65
	v_mov_b32_e32 v5, 0
	s_delay_alu instid0(VALU_DEP_1)
	v_dual_mov_b32 v6, v5 :: v_dual_mov_b32 v7, v5
	v_mov_b32_e32 v8, v5
	scratch_store_b128 off, v[5:8], off offset:112
	s_wait_loadcnt 0x0
	ds_store_b128 v162, v[1:4]
.LBB57_349:
	s_wait_alu 0xfffe
	s_or_b32 exec_lo, exec_lo, s0
	s_wait_storecnt_dscnt 0x0
	s_barrier_signal -1
	s_barrier_wait -1
	global_inv scope:SCOPE_SE
	s_clause 0x7
	scratch_load_b128 v[2:5], off, off offset:128
	scratch_load_b128 v[6:9], off, off offset:144
	;; [unrolled: 1-line block ×8, first 2 shown]
	v_mov_b32_e32 v1, 0
	s_mov_b32 s0, exec_lo
	ds_load_b128 v[38:41], v1 offset:1040
	s_clause 0x1
	scratch_load_b128 v[34:37], off, off offset:256
	scratch_load_b128 v[42:45], off, off offset:112
	ds_load_b128 v[163:166], v1 offset:1056
	scratch_load_b128 v[167:170], off, off offset:272
	s_wait_loadcnt_dscnt 0xa01
	v_mul_f64_e32 v[171:172], v[40:41], v[4:5]
	v_mul_f64_e32 v[4:5], v[38:39], v[4:5]
	s_delay_alu instid0(VALU_DEP_2) | instskip(NEXT) | instid1(VALU_DEP_2)
	v_fma_f64 v[177:178], v[38:39], v[2:3], -v[171:172]
	v_fma_f64 v[179:180], v[40:41], v[2:3], v[4:5]
	ds_load_b128 v[2:5], v1 offset:1072
	s_wait_loadcnt_dscnt 0x901
	v_mul_f64_e32 v[175:176], v[163:164], v[8:9]
	v_mul_f64_e32 v[8:9], v[165:166], v[8:9]
	scratch_load_b128 v[38:41], off, off offset:288
	ds_load_b128 v[171:174], v1 offset:1088
	s_wait_loadcnt_dscnt 0x901
	v_mul_f64_e32 v[181:182], v[2:3], v[12:13]
	v_mul_f64_e32 v[12:13], v[4:5], v[12:13]
	v_fma_f64 v[165:166], v[165:166], v[6:7], v[175:176]
	v_fma_f64 v[163:164], v[163:164], v[6:7], -v[8:9]
	v_add_f64_e32 v[175:176], 0, v[177:178]
	v_add_f64_e32 v[177:178], 0, v[179:180]
	scratch_load_b128 v[6:9], off, off offset:304
	v_fma_f64 v[181:182], v[4:5], v[10:11], v[181:182]
	v_fma_f64 v[183:184], v[2:3], v[10:11], -v[12:13]
	ds_load_b128 v[2:5], v1 offset:1104
	s_wait_loadcnt_dscnt 0x901
	v_mul_f64_e32 v[179:180], v[171:172], v[16:17]
	v_mul_f64_e32 v[16:17], v[173:174], v[16:17]
	scratch_load_b128 v[10:13], off, off offset:320
	v_add_f64_e32 v[175:176], v[175:176], v[163:164]
	v_add_f64_e32 v[177:178], v[177:178], v[165:166]
	s_wait_loadcnt_dscnt 0x900
	v_mul_f64_e32 v[185:186], v[2:3], v[20:21]
	v_mul_f64_e32 v[20:21], v[4:5], v[20:21]
	ds_load_b128 v[163:166], v1 offset:1120
	v_fma_f64 v[173:174], v[173:174], v[14:15], v[179:180]
	v_fma_f64 v[171:172], v[171:172], v[14:15], -v[16:17]
	scratch_load_b128 v[14:17], off, off offset:336
	v_add_f64_e32 v[175:176], v[175:176], v[183:184]
	v_add_f64_e32 v[177:178], v[177:178], v[181:182]
	v_fma_f64 v[181:182], v[4:5], v[18:19], v[185:186]
	v_fma_f64 v[183:184], v[2:3], v[18:19], -v[20:21]
	ds_load_b128 v[2:5], v1 offset:1136
	s_wait_loadcnt_dscnt 0x901
	v_mul_f64_e32 v[179:180], v[163:164], v[24:25]
	v_mul_f64_e32 v[24:25], v[165:166], v[24:25]
	scratch_load_b128 v[18:21], off, off offset:352
	s_wait_loadcnt_dscnt 0x900
	v_mul_f64_e32 v[185:186], v[2:3], v[28:29]
	v_mul_f64_e32 v[28:29], v[4:5], v[28:29]
	v_add_f64_e32 v[175:176], v[175:176], v[171:172]
	v_add_f64_e32 v[177:178], v[177:178], v[173:174]
	ds_load_b128 v[171:174], v1 offset:1152
	v_fma_f64 v[165:166], v[165:166], v[22:23], v[179:180]
	v_fma_f64 v[163:164], v[163:164], v[22:23], -v[24:25]
	scratch_load_b128 v[22:25], off, off offset:368
	v_add_f64_e32 v[175:176], v[175:176], v[183:184]
	v_add_f64_e32 v[177:178], v[177:178], v[181:182]
	v_fma_f64 v[181:182], v[4:5], v[26:27], v[185:186]
	v_fma_f64 v[183:184], v[2:3], v[26:27], -v[28:29]
	ds_load_b128 v[2:5], v1 offset:1168
	s_wait_loadcnt_dscnt 0x901
	v_mul_f64_e32 v[179:180], v[171:172], v[32:33]
	v_mul_f64_e32 v[32:33], v[173:174], v[32:33]
	scratch_load_b128 v[26:29], off, off offset:384
	s_wait_loadcnt_dscnt 0x900
	v_mul_f64_e32 v[185:186], v[2:3], v[36:37]
	v_mul_f64_e32 v[36:37], v[4:5], v[36:37]
	v_add_f64_e32 v[175:176], v[175:176], v[163:164]
	v_add_f64_e32 v[177:178], v[177:178], v[165:166]
	ds_load_b128 v[163:166], v1 offset:1184
	v_fma_f64 v[173:174], v[173:174], v[30:31], v[179:180]
	v_fma_f64 v[171:172], v[171:172], v[30:31], -v[32:33]
	scratch_load_b128 v[30:33], off, off offset:400
	v_add_f64_e32 v[175:176], v[175:176], v[183:184]
	v_add_f64_e32 v[177:178], v[177:178], v[181:182]
	v_fma_f64 v[183:184], v[4:5], v[34:35], v[185:186]
	v_fma_f64 v[185:186], v[2:3], v[34:35], -v[36:37]
	ds_load_b128 v[2:5], v1 offset:1200
	s_wait_loadcnt_dscnt 0x801
	v_mul_f64_e32 v[179:180], v[163:164], v[169:170]
	v_mul_f64_e32 v[181:182], v[165:166], v[169:170]
	scratch_load_b128 v[34:37], off, off offset:416
	v_add_f64_e32 v[175:176], v[175:176], v[171:172]
	v_add_f64_e32 v[173:174], v[177:178], v[173:174]
	ds_load_b128 v[169:172], v1 offset:1216
	v_fma_f64 v[179:180], v[165:166], v[167:168], v[179:180]
	v_fma_f64 v[167:168], v[163:164], v[167:168], -v[181:182]
	scratch_load_b128 v[163:166], off, off offset:432
	s_wait_loadcnt_dscnt 0x901
	v_mul_f64_e32 v[177:178], v[2:3], v[40:41]
	v_mul_f64_e32 v[40:41], v[4:5], v[40:41]
	v_add_f64_e32 v[175:176], v[175:176], v[185:186]
	v_add_f64_e32 v[173:174], v[173:174], v[183:184]
	s_delay_alu instid0(VALU_DEP_4) | instskip(NEXT) | instid1(VALU_DEP_4)
	v_fma_f64 v[177:178], v[4:5], v[38:39], v[177:178]
	v_fma_f64 v[183:184], v[2:3], v[38:39], -v[40:41]
	ds_load_b128 v[2:5], v1 offset:1232
	s_wait_loadcnt_dscnt 0x801
	v_mul_f64_e32 v[181:182], v[169:170], v[8:9]
	v_mul_f64_e32 v[8:9], v[171:172], v[8:9]
	scratch_load_b128 v[38:41], off, off offset:448
	s_wait_loadcnt_dscnt 0x800
	v_mul_f64_e32 v[185:186], v[2:3], v[12:13]
	v_add_f64_e32 v[167:168], v[175:176], v[167:168]
	v_add_f64_e32 v[179:180], v[173:174], v[179:180]
	v_mul_f64_e32 v[12:13], v[4:5], v[12:13]
	ds_load_b128 v[173:176], v1 offset:1248
	v_fma_f64 v[171:172], v[171:172], v[6:7], v[181:182]
	v_fma_f64 v[169:170], v[169:170], v[6:7], -v[8:9]
	scratch_load_b128 v[6:9], off, off offset:464
	v_fma_f64 v[181:182], v[4:5], v[10:11], v[185:186]
	v_add_f64_e32 v[167:168], v[167:168], v[183:184]
	v_add_f64_e32 v[177:178], v[179:180], v[177:178]
	v_fma_f64 v[183:184], v[2:3], v[10:11], -v[12:13]
	ds_load_b128 v[2:5], v1 offset:1264
	s_wait_loadcnt_dscnt 0x801
	v_mul_f64_e32 v[179:180], v[173:174], v[16:17]
	v_mul_f64_e32 v[16:17], v[175:176], v[16:17]
	scratch_load_b128 v[10:13], off, off offset:480
	v_add_f64_e32 v[185:186], v[167:168], v[169:170]
	v_add_f64_e32 v[171:172], v[177:178], v[171:172]
	s_wait_loadcnt_dscnt 0x800
	v_mul_f64_e32 v[177:178], v[2:3], v[20:21]
	v_mul_f64_e32 v[20:21], v[4:5], v[20:21]
	v_fma_f64 v[175:176], v[175:176], v[14:15], v[179:180]
	v_fma_f64 v[173:174], v[173:174], v[14:15], -v[16:17]
	ds_load_b128 v[167:170], v1 offset:1280
	scratch_load_b128 v[14:17], off, off offset:496
	v_add_f64_e32 v[179:180], v[185:186], v[183:184]
	v_add_f64_e32 v[171:172], v[171:172], v[181:182]
	v_fma_f64 v[177:178], v[4:5], v[18:19], v[177:178]
	v_fma_f64 v[183:184], v[2:3], v[18:19], -v[20:21]
	ds_load_b128 v[2:5], v1 offset:1296
	s_wait_loadcnt_dscnt 0x801
	v_mul_f64_e32 v[181:182], v[167:168], v[24:25]
	v_mul_f64_e32 v[24:25], v[169:170], v[24:25]
	scratch_load_b128 v[18:21], off, off offset:512
	s_wait_loadcnt_dscnt 0x800
	v_mul_f64_e32 v[185:186], v[2:3], v[28:29]
	v_mul_f64_e32 v[28:29], v[4:5], v[28:29]
	v_add_f64_e32 v[179:180], v[179:180], v[173:174]
	v_add_f64_e32 v[175:176], v[171:172], v[175:176]
	ds_load_b128 v[171:174], v1 offset:1312
	v_fma_f64 v[169:170], v[169:170], v[22:23], v[181:182]
	v_fma_f64 v[167:168], v[167:168], v[22:23], -v[24:25]
	scratch_load_b128 v[22:25], off, off offset:528
	v_fma_f64 v[181:182], v[4:5], v[26:27], v[185:186]
	v_add_f64_e32 v[179:180], v[179:180], v[183:184]
	v_add_f64_e32 v[175:176], v[175:176], v[177:178]
	v_fma_f64 v[183:184], v[2:3], v[26:27], -v[28:29]
	ds_load_b128 v[2:5], v1 offset:1328
	s_wait_loadcnt_dscnt 0x801
	v_mul_f64_e32 v[177:178], v[171:172], v[32:33]
	v_mul_f64_e32 v[32:33], v[173:174], v[32:33]
	scratch_load_b128 v[26:29], off, off offset:544
	s_wait_loadcnt_dscnt 0x800
	v_mul_f64_e32 v[185:186], v[2:3], v[36:37]
	v_mul_f64_e32 v[36:37], v[4:5], v[36:37]
	v_add_f64_e32 v[179:180], v[179:180], v[167:168]
	v_add_f64_e32 v[175:176], v[175:176], v[169:170]
	ds_load_b128 v[167:170], v1 offset:1344
	v_fma_f64 v[173:174], v[173:174], v[30:31], v[177:178]
	v_fma_f64 v[171:172], v[171:172], v[30:31], -v[32:33]
	scratch_load_b128 v[30:33], off, off offset:560
	v_add_f64_e32 v[177:178], v[179:180], v[183:184]
	v_add_f64_e32 v[175:176], v[175:176], v[181:182]
	v_fma_f64 v[181:182], v[4:5], v[34:35], v[185:186]
	v_fma_f64 v[183:184], v[2:3], v[34:35], -v[36:37]
	ds_load_b128 v[2:5], v1 offset:1360
	s_wait_loadcnt_dscnt 0x801
	v_mul_f64_e32 v[179:180], v[167:168], v[165:166]
	v_mul_f64_e32 v[165:166], v[169:170], v[165:166]
	scratch_load_b128 v[34:37], off, off offset:576
	s_wait_loadcnt_dscnt 0x800
	v_mul_f64_e32 v[185:186], v[2:3], v[40:41]
	v_mul_f64_e32 v[40:41], v[4:5], v[40:41]
	v_add_f64_e32 v[177:178], v[177:178], v[171:172]
	v_add_f64_e32 v[175:176], v[175:176], v[173:174]
	ds_load_b128 v[171:174], v1 offset:1376
	v_fma_f64 v[169:170], v[169:170], v[163:164], v[179:180]
	v_fma_f64 v[167:168], v[167:168], v[163:164], -v[165:166]
	scratch_load_b128 v[163:166], off, off offset:592
	v_add_f64_e32 v[177:178], v[177:178], v[183:184]
	v_add_f64_e32 v[175:176], v[175:176], v[181:182]
	v_fma_f64 v[181:182], v[4:5], v[38:39], v[185:186]
	;; [unrolled: 18-line block ×6, first 2 shown]
	v_fma_f64 v[185:186], v[2:3], v[34:35], -v[36:37]
	ds_load_b128 v[2:5], v1 offset:1520
	s_wait_loadcnt_dscnt 0x801
	v_mul_f64_e32 v[179:180], v[171:172], v[165:166]
	v_mul_f64_e32 v[181:182], v[173:174], v[165:166]
	scratch_load_b128 v[34:37], off, off offset:736
	v_add_f64_e32 v[177:178], v[177:178], v[167:168]
	v_add_f64_e32 v[169:170], v[175:176], v[169:170]
	s_wait_loadcnt_dscnt 0x800
	v_mul_f64_e32 v[175:176], v[2:3], v[40:41]
	v_mul_f64_e32 v[40:41], v[4:5], v[40:41]
	ds_load_b128 v[165:168], v1 offset:1536
	v_fma_f64 v[173:174], v[173:174], v[163:164], v[179:180]
	v_fma_f64 v[163:164], v[171:172], v[163:164], -v[181:182]
	v_add_f64_e32 v[177:178], v[177:178], v[185:186]
	v_add_f64_e32 v[179:180], v[169:170], v[183:184]
	scratch_load_b128 v[169:172], off, off offset:752
	v_fma_f64 v[183:184], v[4:5], v[38:39], v[175:176]
	v_fma_f64 v[185:186], v[2:3], v[38:39], -v[40:41]
	ds_load_b128 v[2:5], v1 offset:1552
	s_wait_loadcnt_dscnt 0x801
	v_mul_f64_e32 v[181:182], v[165:166], v[8:9]
	v_mul_f64_e32 v[8:9], v[167:168], v[8:9]
	scratch_load_b128 v[38:41], off, off offset:768
	v_add_f64_e32 v[163:164], v[177:178], v[163:164]
	v_add_f64_e32 v[177:178], v[179:180], v[173:174]
	s_wait_loadcnt_dscnt 0x800
	v_mul_f64_e32 v[179:180], v[2:3], v[12:13]
	v_mul_f64_e32 v[12:13], v[4:5], v[12:13]
	ds_load_b128 v[173:176], v1 offset:1568
	v_fma_f64 v[167:168], v[167:168], v[6:7], v[181:182]
	v_fma_f64 v[165:166], v[165:166], v[6:7], -v[8:9]
	scratch_load_b128 v[6:9], off, off offset:784
	v_add_f64_e32 v[163:164], v[163:164], v[185:186]
	v_add_f64_e32 v[177:178], v[177:178], v[183:184]
	v_fma_f64 v[179:180], v[4:5], v[10:11], v[179:180]
	v_fma_f64 v[183:184], v[2:3], v[10:11], -v[12:13]
	ds_load_b128 v[2:5], v1 offset:1584
	s_wait_loadcnt_dscnt 0x801
	v_mul_f64_e32 v[181:182], v[173:174], v[16:17]
	v_mul_f64_e32 v[16:17], v[175:176], v[16:17]
	scratch_load_b128 v[10:13], off, off offset:800
	v_add_f64_e32 v[185:186], v[163:164], v[165:166]
	v_add_f64_e32 v[167:168], v[177:178], v[167:168]
	s_wait_loadcnt_dscnt 0x800
	v_mul_f64_e32 v[177:178], v[2:3], v[20:21]
	v_mul_f64_e32 v[20:21], v[4:5], v[20:21]
	ds_load_b128 v[163:166], v1 offset:1600
	v_fma_f64 v[175:176], v[175:176], v[14:15], v[181:182]
	v_fma_f64 v[173:174], v[173:174], v[14:15], -v[16:17]
	scratch_load_b128 v[14:17], off, off offset:816
	v_add_f64_e32 v[181:182], v[185:186], v[183:184]
	v_add_f64_e32 v[167:168], v[167:168], v[179:180]
	v_fma_f64 v[177:178], v[4:5], v[18:19], v[177:178]
	v_fma_f64 v[183:184], v[2:3], v[18:19], -v[20:21]
	ds_load_b128 v[2:5], v1 offset:1616
	s_wait_loadcnt_dscnt 0x801
	v_mul_f64_e32 v[179:180], v[163:164], v[24:25]
	v_mul_f64_e32 v[24:25], v[165:166], v[24:25]
	scratch_load_b128 v[18:21], off, off offset:832
	s_wait_loadcnt_dscnt 0x800
	v_mul_f64_e32 v[185:186], v[2:3], v[28:29]
	v_mul_f64_e32 v[28:29], v[4:5], v[28:29]
	v_add_f64_e32 v[181:182], v[181:182], v[173:174]
	v_add_f64_e32 v[167:168], v[167:168], v[175:176]
	ds_load_b128 v[173:176], v1 offset:1632
	v_fma_f64 v[165:166], v[165:166], v[22:23], v[179:180]
	v_fma_f64 v[163:164], v[163:164], v[22:23], -v[24:25]
	scratch_load_b128 v[22:25], off, off offset:848
	v_add_f64_e32 v[179:180], v[181:182], v[183:184]
	v_add_f64_e32 v[167:168], v[167:168], v[177:178]
	v_fma_f64 v[181:182], v[4:5], v[26:27], v[185:186]
	v_fma_f64 v[183:184], v[2:3], v[26:27], -v[28:29]
	ds_load_b128 v[2:5], v1 offset:1648
	s_wait_loadcnt_dscnt 0x801
	v_mul_f64_e32 v[177:178], v[173:174], v[32:33]
	v_mul_f64_e32 v[32:33], v[175:176], v[32:33]
	scratch_load_b128 v[26:29], off, off offset:864
	s_wait_loadcnt_dscnt 0x800
	v_mul_f64_e32 v[185:186], v[2:3], v[36:37]
	v_mul_f64_e32 v[36:37], v[4:5], v[36:37]
	v_add_f64_e32 v[179:180], v[179:180], v[163:164]
	v_add_f64_e32 v[167:168], v[167:168], v[165:166]
	ds_load_b128 v[163:166], v1 offset:1664
	v_fma_f64 v[175:176], v[175:176], v[30:31], v[177:178]
	v_fma_f64 v[173:174], v[173:174], v[30:31], -v[32:33]
	scratch_load_b128 v[30:33], off, off offset:880
	v_add_f64_e32 v[177:178], v[179:180], v[183:184]
	v_add_f64_e32 v[167:168], v[167:168], v[181:182]
	v_fma_f64 v[183:184], v[4:5], v[34:35], v[185:186]
	v_fma_f64 v[185:186], v[2:3], v[34:35], -v[36:37]
	ds_load_b128 v[2:5], v1 offset:1680
	scratch_load_b128 v[34:37], off, off offset:896
	s_wait_loadcnt_dscnt 0x901
	v_mul_f64_e32 v[179:180], v[163:164], v[171:172]
	v_mul_f64_e32 v[181:182], v[165:166], v[171:172]
	v_add_f64_e32 v[177:178], v[177:178], v[173:174]
	v_add_f64_e32 v[167:168], v[167:168], v[175:176]
	s_wait_loadcnt_dscnt 0x800
	v_mul_f64_e32 v[175:176], v[2:3], v[40:41]
	v_mul_f64_e32 v[40:41], v[4:5], v[40:41]
	ds_load_b128 v[171:174], v1 offset:1696
	v_fma_f64 v[179:180], v[165:166], v[169:170], v[179:180]
	v_fma_f64 v[169:170], v[163:164], v[169:170], -v[181:182]
	scratch_load_b128 v[163:166], off, off offset:912
	v_add_f64_e32 v[177:178], v[177:178], v[185:186]
	v_add_f64_e32 v[167:168], v[167:168], v[183:184]
	v_fma_f64 v[175:176], v[4:5], v[38:39], v[175:176]
	v_fma_f64 v[183:184], v[2:3], v[38:39], -v[40:41]
	ds_load_b128 v[2:5], v1 offset:1712
	s_wait_loadcnt_dscnt 0x801
	v_mul_f64_e32 v[181:182], v[171:172], v[8:9]
	v_mul_f64_e32 v[8:9], v[173:174], v[8:9]
	scratch_load_b128 v[38:41], off, off offset:928
	s_wait_loadcnt_dscnt 0x800
	v_mul_f64_e32 v[185:186], v[2:3], v[12:13]
	v_mul_f64_e32 v[12:13], v[4:5], v[12:13]
	v_add_f64_e32 v[177:178], v[177:178], v[169:170]
	v_add_f64_e32 v[179:180], v[167:168], v[179:180]
	ds_load_b128 v[167:170], v1 offset:1728
	v_fma_f64 v[173:174], v[173:174], v[6:7], v[181:182]
	v_fma_f64 v[6:7], v[171:172], v[6:7], -v[8:9]
	v_add_f64_e32 v[8:9], v[177:178], v[183:184]
	v_add_f64_e32 v[171:172], v[179:180], v[175:176]
	s_wait_loadcnt_dscnt 0x700
	v_mul_f64_e32 v[175:176], v[167:168], v[16:17]
	v_mul_f64_e32 v[16:17], v[169:170], v[16:17]
	v_fma_f64 v[177:178], v[4:5], v[10:11], v[185:186]
	v_fma_f64 v[10:11], v[2:3], v[10:11], -v[12:13]
	v_add_f64_e32 v[12:13], v[8:9], v[6:7]
	v_add_f64_e32 v[171:172], v[171:172], v[173:174]
	ds_load_b128 v[2:5], v1 offset:1744
	ds_load_b128 v[6:9], v1 offset:1760
	v_fma_f64 v[169:170], v[169:170], v[14:15], v[175:176]
	v_fma_f64 v[14:15], v[167:168], v[14:15], -v[16:17]
	s_wait_loadcnt_dscnt 0x601
	v_mul_f64_e32 v[173:174], v[2:3], v[20:21]
	v_mul_f64_e32 v[20:21], v[4:5], v[20:21]
	s_wait_loadcnt_dscnt 0x500
	v_mul_f64_e32 v[16:17], v[6:7], v[24:25]
	v_mul_f64_e32 v[24:25], v[8:9], v[24:25]
	v_add_f64_e32 v[10:11], v[12:13], v[10:11]
	v_add_f64_e32 v[12:13], v[171:172], v[177:178]
	v_fma_f64 v[167:168], v[4:5], v[18:19], v[173:174]
	v_fma_f64 v[18:19], v[2:3], v[18:19], -v[20:21]
	v_fma_f64 v[8:9], v[8:9], v[22:23], v[16:17]
	v_fma_f64 v[6:7], v[6:7], v[22:23], -v[24:25]
	v_add_f64_e32 v[14:15], v[10:11], v[14:15]
	v_add_f64_e32 v[20:21], v[12:13], v[169:170]
	ds_load_b128 v[2:5], v1 offset:1776
	ds_load_b128 v[10:13], v1 offset:1792
	s_wait_loadcnt_dscnt 0x401
	v_mul_f64_e32 v[169:170], v[2:3], v[28:29]
	v_mul_f64_e32 v[28:29], v[4:5], v[28:29]
	v_add_f64_e32 v[14:15], v[14:15], v[18:19]
	v_add_f64_e32 v[16:17], v[20:21], v[167:168]
	s_wait_loadcnt_dscnt 0x300
	v_mul_f64_e32 v[18:19], v[10:11], v[32:33]
	v_mul_f64_e32 v[20:21], v[12:13], v[32:33]
	v_fma_f64 v[22:23], v[4:5], v[26:27], v[169:170]
	v_fma_f64 v[24:25], v[2:3], v[26:27], -v[28:29]
	v_add_f64_e32 v[14:15], v[14:15], v[6:7]
	v_add_f64_e32 v[16:17], v[16:17], v[8:9]
	ds_load_b128 v[2:5], v1 offset:1808
	ds_load_b128 v[6:9], v1 offset:1824
	v_fma_f64 v[12:13], v[12:13], v[30:31], v[18:19]
	v_fma_f64 v[10:11], v[10:11], v[30:31], -v[20:21]
	s_wait_loadcnt_dscnt 0x201
	v_mul_f64_e32 v[26:27], v[2:3], v[36:37]
	v_mul_f64_e32 v[28:29], v[4:5], v[36:37]
	s_wait_loadcnt_dscnt 0x100
	v_mul_f64_e32 v[18:19], v[6:7], v[165:166]
	v_mul_f64_e32 v[20:21], v[8:9], v[165:166]
	v_add_f64_e32 v[14:15], v[14:15], v[24:25]
	v_add_f64_e32 v[16:17], v[16:17], v[22:23]
	v_fma_f64 v[22:23], v[4:5], v[34:35], v[26:27]
	v_fma_f64 v[24:25], v[2:3], v[34:35], -v[28:29]
	ds_load_b128 v[2:5], v1 offset:1840
	v_fma_f64 v[8:9], v[8:9], v[163:164], v[18:19]
	v_fma_f64 v[6:7], v[6:7], v[163:164], -v[20:21]
	v_add_f64_e32 v[10:11], v[14:15], v[10:11]
	v_add_f64_e32 v[12:13], v[16:17], v[12:13]
	s_wait_loadcnt_dscnt 0x0
	v_mul_f64_e32 v[14:15], v[2:3], v[40:41]
	v_mul_f64_e32 v[16:17], v[4:5], v[40:41]
	s_delay_alu instid0(VALU_DEP_4) | instskip(NEXT) | instid1(VALU_DEP_4)
	v_add_f64_e32 v[10:11], v[10:11], v[24:25]
	v_add_f64_e32 v[12:13], v[12:13], v[22:23]
	s_delay_alu instid0(VALU_DEP_4) | instskip(NEXT) | instid1(VALU_DEP_4)
	v_fma_f64 v[4:5], v[4:5], v[38:39], v[14:15]
	v_fma_f64 v[2:3], v[2:3], v[38:39], -v[16:17]
	s_delay_alu instid0(VALU_DEP_4) | instskip(NEXT) | instid1(VALU_DEP_4)
	v_add_f64_e32 v[6:7], v[10:11], v[6:7]
	v_add_f64_e32 v[8:9], v[12:13], v[8:9]
	s_delay_alu instid0(VALU_DEP_2) | instskip(NEXT) | instid1(VALU_DEP_2)
	v_add_f64_e32 v[2:3], v[6:7], v[2:3]
	v_add_f64_e32 v[4:5], v[8:9], v[4:5]
	s_delay_alu instid0(VALU_DEP_2) | instskip(NEXT) | instid1(VALU_DEP_2)
	v_add_f64_e64 v[2:3], v[42:43], -v[2:3]
	v_add_f64_e64 v[4:5], v[44:45], -v[4:5]
	scratch_store_b128 off, v[2:5], off offset:112
	v_cmpx_lt_u32_e32 5, v0
	s_cbranch_execz .LBB57_351
; %bb.350:
	scratch_load_b128 v[5:8], off, s66
	v_dual_mov_b32 v2, v1 :: v_dual_mov_b32 v3, v1
	v_mov_b32_e32 v4, v1
	scratch_store_b128 off, v[1:4], off offset:96
	s_wait_loadcnt 0x0
	ds_store_b128 v162, v[5:8]
.LBB57_351:
	s_wait_alu 0xfffe
	s_or_b32 exec_lo, exec_lo, s0
	s_wait_storecnt_dscnt 0x0
	s_barrier_signal -1
	s_barrier_wait -1
	global_inv scope:SCOPE_SE
	s_clause 0x8
	scratch_load_b128 v[2:5], off, off offset:112
	scratch_load_b128 v[6:9], off, off offset:128
	;; [unrolled: 1-line block ×9, first 2 shown]
	ds_load_b128 v[42:45], v1 offset:1024
	ds_load_b128 v[38:41], v1 offset:1040
	s_clause 0x1
	scratch_load_b128 v[163:166], off, off offset:96
	scratch_load_b128 v[167:170], off, off offset:256
	s_mov_b32 s0, exec_lo
	s_wait_loadcnt_dscnt 0xa01
	v_mul_f64_e32 v[171:172], v[44:45], v[4:5]
	v_mul_f64_e32 v[4:5], v[42:43], v[4:5]
	s_wait_loadcnt_dscnt 0x900
	v_mul_f64_e32 v[175:176], v[38:39], v[8:9]
	v_mul_f64_e32 v[8:9], v[40:41], v[8:9]
	s_delay_alu instid0(VALU_DEP_4) | instskip(NEXT) | instid1(VALU_DEP_4)
	v_fma_f64 v[177:178], v[42:43], v[2:3], -v[171:172]
	v_fma_f64 v[179:180], v[44:45], v[2:3], v[4:5]
	ds_load_b128 v[2:5], v1 offset:1056
	ds_load_b128 v[171:174], v1 offset:1072
	scratch_load_b128 v[42:45], off, off offset:272
	v_fma_f64 v[40:41], v[40:41], v[6:7], v[175:176]
	v_fma_f64 v[38:39], v[38:39], v[6:7], -v[8:9]
	scratch_load_b128 v[6:9], off, off offset:288
	s_wait_loadcnt_dscnt 0xa01
	v_mul_f64_e32 v[181:182], v[2:3], v[12:13]
	v_mul_f64_e32 v[12:13], v[4:5], v[12:13]
	v_add_f64_e32 v[175:176], 0, v[177:178]
	v_add_f64_e32 v[177:178], 0, v[179:180]
	s_wait_loadcnt_dscnt 0x900
	v_mul_f64_e32 v[179:180], v[171:172], v[16:17]
	v_mul_f64_e32 v[16:17], v[173:174], v[16:17]
	v_fma_f64 v[181:182], v[4:5], v[10:11], v[181:182]
	v_fma_f64 v[183:184], v[2:3], v[10:11], -v[12:13]
	ds_load_b128 v[2:5], v1 offset:1088
	scratch_load_b128 v[10:13], off, off offset:304
	v_add_f64_e32 v[175:176], v[175:176], v[38:39]
	v_add_f64_e32 v[177:178], v[177:178], v[40:41]
	ds_load_b128 v[38:41], v1 offset:1104
	v_fma_f64 v[173:174], v[173:174], v[14:15], v[179:180]
	v_fma_f64 v[171:172], v[171:172], v[14:15], -v[16:17]
	scratch_load_b128 v[14:17], off, off offset:320
	s_wait_loadcnt_dscnt 0xa01
	v_mul_f64_e32 v[185:186], v[2:3], v[20:21]
	v_mul_f64_e32 v[20:21], v[4:5], v[20:21]
	s_wait_loadcnt_dscnt 0x900
	v_mul_f64_e32 v[179:180], v[38:39], v[24:25]
	v_mul_f64_e32 v[24:25], v[40:41], v[24:25]
	v_add_f64_e32 v[175:176], v[175:176], v[183:184]
	v_add_f64_e32 v[177:178], v[177:178], v[181:182]
	v_fma_f64 v[181:182], v[4:5], v[18:19], v[185:186]
	v_fma_f64 v[183:184], v[2:3], v[18:19], -v[20:21]
	ds_load_b128 v[2:5], v1 offset:1120
	scratch_load_b128 v[18:21], off, off offset:336
	v_fma_f64 v[40:41], v[40:41], v[22:23], v[179:180]
	v_fma_f64 v[38:39], v[38:39], v[22:23], -v[24:25]
	scratch_load_b128 v[22:25], off, off offset:352
	v_add_f64_e32 v[175:176], v[175:176], v[171:172]
	v_add_f64_e32 v[177:178], v[177:178], v[173:174]
	ds_load_b128 v[171:174], v1 offset:1136
	s_wait_loadcnt_dscnt 0xa01
	v_mul_f64_e32 v[185:186], v[2:3], v[28:29]
	v_mul_f64_e32 v[28:29], v[4:5], v[28:29]
	s_wait_loadcnt_dscnt 0x900
	v_mul_f64_e32 v[179:180], v[171:172], v[32:33]
	v_mul_f64_e32 v[32:33], v[173:174], v[32:33]
	v_add_f64_e32 v[175:176], v[175:176], v[183:184]
	v_add_f64_e32 v[177:178], v[177:178], v[181:182]
	v_fma_f64 v[181:182], v[4:5], v[26:27], v[185:186]
	v_fma_f64 v[183:184], v[2:3], v[26:27], -v[28:29]
	ds_load_b128 v[2:5], v1 offset:1152
	scratch_load_b128 v[26:29], off, off offset:368
	v_fma_f64 v[173:174], v[173:174], v[30:31], v[179:180]
	v_fma_f64 v[171:172], v[171:172], v[30:31], -v[32:33]
	scratch_load_b128 v[30:33], off, off offset:384
	v_add_f64_e32 v[175:176], v[175:176], v[38:39]
	v_add_f64_e32 v[177:178], v[177:178], v[40:41]
	ds_load_b128 v[38:41], v1 offset:1168
	s_wait_loadcnt_dscnt 0xa01
	v_mul_f64_e32 v[185:186], v[2:3], v[36:37]
	v_mul_f64_e32 v[36:37], v[4:5], v[36:37]
	s_wait_loadcnt_dscnt 0x800
	v_mul_f64_e32 v[179:180], v[38:39], v[169:170]
	v_add_f64_e32 v[175:176], v[175:176], v[183:184]
	v_add_f64_e32 v[177:178], v[177:178], v[181:182]
	v_mul_f64_e32 v[181:182], v[40:41], v[169:170]
	v_fma_f64 v[183:184], v[4:5], v[34:35], v[185:186]
	v_fma_f64 v[185:186], v[2:3], v[34:35], -v[36:37]
	ds_load_b128 v[2:5], v1 offset:1184
	scratch_load_b128 v[34:37], off, off offset:400
	v_fma_f64 v[179:180], v[40:41], v[167:168], v[179:180]
	v_add_f64_e32 v[175:176], v[175:176], v[171:172]
	v_add_f64_e32 v[173:174], v[177:178], v[173:174]
	ds_load_b128 v[169:172], v1 offset:1200
	v_fma_f64 v[167:168], v[38:39], v[167:168], -v[181:182]
	scratch_load_b128 v[38:41], off, off offset:416
	s_wait_loadcnt_dscnt 0x901
	v_mul_f64_e32 v[177:178], v[2:3], v[44:45]
	v_mul_f64_e32 v[44:45], v[4:5], v[44:45]
	s_wait_loadcnt_dscnt 0x800
	v_mul_f64_e32 v[181:182], v[169:170], v[8:9]
	v_mul_f64_e32 v[8:9], v[171:172], v[8:9]
	v_add_f64_e32 v[175:176], v[175:176], v[185:186]
	v_add_f64_e32 v[173:174], v[173:174], v[183:184]
	v_fma_f64 v[177:178], v[4:5], v[42:43], v[177:178]
	v_fma_f64 v[183:184], v[2:3], v[42:43], -v[44:45]
	ds_load_b128 v[2:5], v1 offset:1216
	scratch_load_b128 v[42:45], off, off offset:432
	v_fma_f64 v[171:172], v[171:172], v[6:7], v[181:182]
	v_fma_f64 v[169:170], v[169:170], v[6:7], -v[8:9]
	scratch_load_b128 v[6:9], off, off offset:448
	v_add_f64_e32 v[167:168], v[175:176], v[167:168]
	v_add_f64_e32 v[179:180], v[173:174], v[179:180]
	ds_load_b128 v[173:176], v1 offset:1232
	s_wait_loadcnt_dscnt 0x901
	v_mul_f64_e32 v[185:186], v[2:3], v[12:13]
	v_mul_f64_e32 v[12:13], v[4:5], v[12:13]
	v_add_f64_e32 v[167:168], v[167:168], v[183:184]
	v_add_f64_e32 v[177:178], v[179:180], v[177:178]
	s_wait_loadcnt_dscnt 0x800
	v_mul_f64_e32 v[179:180], v[173:174], v[16:17]
	v_mul_f64_e32 v[16:17], v[175:176], v[16:17]
	v_fma_f64 v[181:182], v[4:5], v[10:11], v[185:186]
	v_fma_f64 v[183:184], v[2:3], v[10:11], -v[12:13]
	ds_load_b128 v[2:5], v1 offset:1248
	scratch_load_b128 v[10:13], off, off offset:464
	v_add_f64_e32 v[185:186], v[167:168], v[169:170]
	v_add_f64_e32 v[171:172], v[177:178], v[171:172]
	ds_load_b128 v[167:170], v1 offset:1264
	s_wait_loadcnt_dscnt 0x801
	v_mul_f64_e32 v[177:178], v[2:3], v[20:21]
	v_mul_f64_e32 v[20:21], v[4:5], v[20:21]
	v_fma_f64 v[175:176], v[175:176], v[14:15], v[179:180]
	v_fma_f64 v[173:174], v[173:174], v[14:15], -v[16:17]
	scratch_load_b128 v[14:17], off, off offset:480
	v_add_f64_e32 v[179:180], v[185:186], v[183:184]
	v_add_f64_e32 v[171:172], v[171:172], v[181:182]
	s_wait_loadcnt_dscnt 0x800
	v_mul_f64_e32 v[181:182], v[167:168], v[24:25]
	v_mul_f64_e32 v[24:25], v[169:170], v[24:25]
	v_fma_f64 v[177:178], v[4:5], v[18:19], v[177:178]
	v_fma_f64 v[183:184], v[2:3], v[18:19], -v[20:21]
	ds_load_b128 v[2:5], v1 offset:1280
	scratch_load_b128 v[18:21], off, off offset:496
	v_add_f64_e32 v[179:180], v[179:180], v[173:174]
	v_add_f64_e32 v[175:176], v[171:172], v[175:176]
	ds_load_b128 v[171:174], v1 offset:1296
	s_wait_loadcnt_dscnt 0x801
	v_mul_f64_e32 v[185:186], v[2:3], v[28:29]
	v_mul_f64_e32 v[28:29], v[4:5], v[28:29]
	v_fma_f64 v[169:170], v[169:170], v[22:23], v[181:182]
	v_fma_f64 v[167:168], v[167:168], v[22:23], -v[24:25]
	scratch_load_b128 v[22:25], off, off offset:512
	;; [unrolled: 18-line block ×4, first 2 shown]
	s_wait_loadcnt_dscnt 0x800
	v_mul_f64_e32 v[179:180], v[171:172], v[8:9]
	v_mul_f64_e32 v[8:9], v[173:174], v[8:9]
	v_add_f64_e32 v[177:178], v[177:178], v[183:184]
	v_add_f64_e32 v[175:176], v[175:176], v[181:182]
	v_fma_f64 v[181:182], v[4:5], v[42:43], v[185:186]
	v_fma_f64 v[183:184], v[2:3], v[42:43], -v[44:45]
	ds_load_b128 v[2:5], v1 offset:1376
	scratch_load_b128 v[42:45], off, off offset:592
	v_fma_f64 v[173:174], v[173:174], v[6:7], v[179:180]
	v_fma_f64 v[171:172], v[171:172], v[6:7], -v[8:9]
	scratch_load_b128 v[6:9], off, off offset:608
	v_add_f64_e32 v[177:178], v[177:178], v[167:168]
	v_add_f64_e32 v[175:176], v[175:176], v[169:170]
	ds_load_b128 v[167:170], v1 offset:1392
	s_wait_loadcnt_dscnt 0x901
	v_mul_f64_e32 v[185:186], v[2:3], v[12:13]
	v_mul_f64_e32 v[12:13], v[4:5], v[12:13]
	s_wait_loadcnt_dscnt 0x800
	v_mul_f64_e32 v[179:180], v[167:168], v[16:17]
	v_mul_f64_e32 v[16:17], v[169:170], v[16:17]
	v_add_f64_e32 v[177:178], v[177:178], v[183:184]
	v_add_f64_e32 v[175:176], v[175:176], v[181:182]
	v_fma_f64 v[181:182], v[4:5], v[10:11], v[185:186]
	v_fma_f64 v[183:184], v[2:3], v[10:11], -v[12:13]
	ds_load_b128 v[2:5], v1 offset:1408
	scratch_load_b128 v[10:13], off, off offset:624
	v_fma_f64 v[169:170], v[169:170], v[14:15], v[179:180]
	v_fma_f64 v[167:168], v[167:168], v[14:15], -v[16:17]
	scratch_load_b128 v[14:17], off, off offset:640
	v_add_f64_e32 v[177:178], v[177:178], v[171:172]
	v_add_f64_e32 v[175:176], v[175:176], v[173:174]
	ds_load_b128 v[171:174], v1 offset:1424
	s_wait_loadcnt_dscnt 0x901
	v_mul_f64_e32 v[185:186], v[2:3], v[20:21]
	v_mul_f64_e32 v[20:21], v[4:5], v[20:21]
	;; [unrolled: 18-line block ×11, first 2 shown]
	s_wait_loadcnt_dscnt 0x800
	v_mul_f64_e32 v[179:180], v[167:168], v[16:17]
	v_mul_f64_e32 v[16:17], v[169:170], v[16:17]
	v_add_f64_e32 v[177:178], v[177:178], v[183:184]
	v_add_f64_e32 v[175:176], v[175:176], v[181:182]
	v_fma_f64 v[181:182], v[4:5], v[10:11], v[185:186]
	v_fma_f64 v[183:184], v[2:3], v[10:11], -v[12:13]
	ds_load_b128 v[2:5], v1 offset:1728
	ds_load_b128 v[10:13], v1 offset:1744
	v_fma_f64 v[169:170], v[169:170], v[14:15], v[179:180]
	v_fma_f64 v[14:15], v[167:168], v[14:15], -v[16:17]
	v_add_f64_e32 v[171:172], v[177:178], v[171:172]
	v_add_f64_e32 v[173:174], v[175:176], v[173:174]
	s_wait_loadcnt_dscnt 0x701
	v_mul_f64_e32 v[175:176], v[2:3], v[20:21]
	v_mul_f64_e32 v[20:21], v[4:5], v[20:21]
	s_delay_alu instid0(VALU_DEP_4) | instskip(NEXT) | instid1(VALU_DEP_4)
	v_add_f64_e32 v[16:17], v[171:172], v[183:184]
	v_add_f64_e32 v[167:168], v[173:174], v[181:182]
	s_wait_loadcnt_dscnt 0x600
	v_mul_f64_e32 v[171:172], v[10:11], v[24:25]
	v_mul_f64_e32 v[24:25], v[12:13], v[24:25]
	v_fma_f64 v[173:174], v[4:5], v[18:19], v[175:176]
	v_fma_f64 v[18:19], v[2:3], v[18:19], -v[20:21]
	v_add_f64_e32 v[20:21], v[16:17], v[14:15]
	v_add_f64_e32 v[167:168], v[167:168], v[169:170]
	ds_load_b128 v[2:5], v1 offset:1760
	ds_load_b128 v[14:17], v1 offset:1776
	v_fma_f64 v[12:13], v[12:13], v[22:23], v[171:172]
	v_fma_f64 v[10:11], v[10:11], v[22:23], -v[24:25]
	s_wait_loadcnt_dscnt 0x501
	v_mul_f64_e32 v[169:170], v[2:3], v[28:29]
	v_mul_f64_e32 v[28:29], v[4:5], v[28:29]
	s_wait_loadcnt_dscnt 0x400
	v_mul_f64_e32 v[22:23], v[14:15], v[32:33]
	v_mul_f64_e32 v[24:25], v[16:17], v[32:33]
	v_add_f64_e32 v[18:19], v[20:21], v[18:19]
	v_add_f64_e32 v[20:21], v[167:168], v[173:174]
	v_fma_f64 v[32:33], v[4:5], v[26:27], v[169:170]
	v_fma_f64 v[26:27], v[2:3], v[26:27], -v[28:29]
	v_fma_f64 v[16:17], v[16:17], v[30:31], v[22:23]
	v_fma_f64 v[14:15], v[14:15], v[30:31], -v[24:25]
	v_add_f64_e32 v[18:19], v[18:19], v[10:11]
	v_add_f64_e32 v[20:21], v[20:21], v[12:13]
	ds_load_b128 v[2:5], v1 offset:1792
	ds_load_b128 v[10:13], v1 offset:1808
	s_wait_loadcnt_dscnt 0x301
	v_mul_f64_e32 v[28:29], v[2:3], v[36:37]
	v_mul_f64_e32 v[36:37], v[4:5], v[36:37]
	s_wait_loadcnt_dscnt 0x200
	v_mul_f64_e32 v[22:23], v[10:11], v[40:41]
	v_mul_f64_e32 v[24:25], v[12:13], v[40:41]
	v_add_f64_e32 v[18:19], v[18:19], v[26:27]
	v_add_f64_e32 v[20:21], v[20:21], v[32:33]
	v_fma_f64 v[26:27], v[4:5], v[34:35], v[28:29]
	v_fma_f64 v[28:29], v[2:3], v[34:35], -v[36:37]
	v_fma_f64 v[12:13], v[12:13], v[38:39], v[22:23]
	v_fma_f64 v[10:11], v[10:11], v[38:39], -v[24:25]
	v_add_f64_e32 v[18:19], v[18:19], v[14:15]
	v_add_f64_e32 v[20:21], v[20:21], v[16:17]
	ds_load_b128 v[2:5], v1 offset:1824
	ds_load_b128 v[14:17], v1 offset:1840
	s_wait_loadcnt_dscnt 0x101
	v_mul_f64_e32 v[30:31], v[2:3], v[44:45]
	v_mul_f64_e32 v[32:33], v[4:5], v[44:45]
	s_wait_loadcnt_dscnt 0x0
	v_mul_f64_e32 v[22:23], v[14:15], v[8:9]
	v_mul_f64_e32 v[8:9], v[16:17], v[8:9]
	v_add_f64_e32 v[18:19], v[18:19], v[28:29]
	v_add_f64_e32 v[20:21], v[20:21], v[26:27]
	v_fma_f64 v[4:5], v[4:5], v[42:43], v[30:31]
	v_fma_f64 v[1:2], v[2:3], v[42:43], -v[32:33]
	v_fma_f64 v[16:17], v[16:17], v[6:7], v[22:23]
	v_fma_f64 v[6:7], v[14:15], v[6:7], -v[8:9]
	v_add_f64_e32 v[10:11], v[18:19], v[10:11]
	v_add_f64_e32 v[12:13], v[20:21], v[12:13]
	s_delay_alu instid0(VALU_DEP_2) | instskip(NEXT) | instid1(VALU_DEP_2)
	v_add_f64_e32 v[1:2], v[10:11], v[1:2]
	v_add_f64_e32 v[3:4], v[12:13], v[4:5]
	s_delay_alu instid0(VALU_DEP_2) | instskip(NEXT) | instid1(VALU_DEP_2)
	;; [unrolled: 3-line block ×3, first 2 shown]
	v_add_f64_e64 v[1:2], v[163:164], -v[1:2]
	v_add_f64_e64 v[3:4], v[165:166], -v[3:4]
	scratch_store_b128 off, v[1:4], off offset:96
	v_cmpx_lt_u32_e32 4, v0
	s_cbranch_execz .LBB57_353
; %bb.352:
	scratch_load_b128 v[1:4], off, s50
	v_mov_b32_e32 v5, 0
	s_delay_alu instid0(VALU_DEP_1)
	v_dual_mov_b32 v6, v5 :: v_dual_mov_b32 v7, v5
	v_mov_b32_e32 v8, v5
	scratch_store_b128 off, v[5:8], off offset:80
	s_wait_loadcnt 0x0
	ds_store_b128 v162, v[1:4]
.LBB57_353:
	s_wait_alu 0xfffe
	s_or_b32 exec_lo, exec_lo, s0
	s_wait_storecnt_dscnt 0x0
	s_barrier_signal -1
	s_barrier_wait -1
	global_inv scope:SCOPE_SE
	s_clause 0x7
	scratch_load_b128 v[2:5], off, off offset:96
	scratch_load_b128 v[6:9], off, off offset:112
	;; [unrolled: 1-line block ×8, first 2 shown]
	v_mov_b32_e32 v1, 0
	s_mov_b32 s0, exec_lo
	ds_load_b128 v[38:41], v1 offset:1008
	s_clause 0x1
	scratch_load_b128 v[34:37], off, off offset:224
	scratch_load_b128 v[42:45], off, off offset:80
	ds_load_b128 v[163:166], v1 offset:1024
	scratch_load_b128 v[167:170], off, off offset:240
	s_wait_loadcnt_dscnt 0xa01
	v_mul_f64_e32 v[171:172], v[40:41], v[4:5]
	v_mul_f64_e32 v[4:5], v[38:39], v[4:5]
	s_delay_alu instid0(VALU_DEP_2) | instskip(NEXT) | instid1(VALU_DEP_2)
	v_fma_f64 v[177:178], v[38:39], v[2:3], -v[171:172]
	v_fma_f64 v[179:180], v[40:41], v[2:3], v[4:5]
	ds_load_b128 v[2:5], v1 offset:1040
	s_wait_loadcnt_dscnt 0x901
	v_mul_f64_e32 v[175:176], v[163:164], v[8:9]
	v_mul_f64_e32 v[8:9], v[165:166], v[8:9]
	scratch_load_b128 v[38:41], off, off offset:256
	ds_load_b128 v[171:174], v1 offset:1056
	s_wait_loadcnt_dscnt 0x901
	v_mul_f64_e32 v[181:182], v[2:3], v[12:13]
	v_mul_f64_e32 v[12:13], v[4:5], v[12:13]
	v_fma_f64 v[165:166], v[165:166], v[6:7], v[175:176]
	v_fma_f64 v[163:164], v[163:164], v[6:7], -v[8:9]
	v_add_f64_e32 v[175:176], 0, v[177:178]
	v_add_f64_e32 v[177:178], 0, v[179:180]
	scratch_load_b128 v[6:9], off, off offset:272
	v_fma_f64 v[181:182], v[4:5], v[10:11], v[181:182]
	v_fma_f64 v[183:184], v[2:3], v[10:11], -v[12:13]
	ds_load_b128 v[2:5], v1 offset:1072
	s_wait_loadcnt_dscnt 0x901
	v_mul_f64_e32 v[179:180], v[171:172], v[16:17]
	v_mul_f64_e32 v[16:17], v[173:174], v[16:17]
	scratch_load_b128 v[10:13], off, off offset:288
	v_add_f64_e32 v[175:176], v[175:176], v[163:164]
	v_add_f64_e32 v[177:178], v[177:178], v[165:166]
	s_wait_loadcnt_dscnt 0x900
	v_mul_f64_e32 v[185:186], v[2:3], v[20:21]
	v_mul_f64_e32 v[20:21], v[4:5], v[20:21]
	ds_load_b128 v[163:166], v1 offset:1088
	v_fma_f64 v[173:174], v[173:174], v[14:15], v[179:180]
	v_fma_f64 v[171:172], v[171:172], v[14:15], -v[16:17]
	scratch_load_b128 v[14:17], off, off offset:304
	v_add_f64_e32 v[175:176], v[175:176], v[183:184]
	v_add_f64_e32 v[177:178], v[177:178], v[181:182]
	v_fma_f64 v[181:182], v[4:5], v[18:19], v[185:186]
	v_fma_f64 v[183:184], v[2:3], v[18:19], -v[20:21]
	ds_load_b128 v[2:5], v1 offset:1104
	s_wait_loadcnt_dscnt 0x901
	v_mul_f64_e32 v[179:180], v[163:164], v[24:25]
	v_mul_f64_e32 v[24:25], v[165:166], v[24:25]
	scratch_load_b128 v[18:21], off, off offset:320
	s_wait_loadcnt_dscnt 0x900
	v_mul_f64_e32 v[185:186], v[2:3], v[28:29]
	v_mul_f64_e32 v[28:29], v[4:5], v[28:29]
	v_add_f64_e32 v[175:176], v[175:176], v[171:172]
	v_add_f64_e32 v[177:178], v[177:178], v[173:174]
	ds_load_b128 v[171:174], v1 offset:1120
	v_fma_f64 v[165:166], v[165:166], v[22:23], v[179:180]
	v_fma_f64 v[163:164], v[163:164], v[22:23], -v[24:25]
	scratch_load_b128 v[22:25], off, off offset:336
	v_add_f64_e32 v[175:176], v[175:176], v[183:184]
	v_add_f64_e32 v[177:178], v[177:178], v[181:182]
	v_fma_f64 v[181:182], v[4:5], v[26:27], v[185:186]
	v_fma_f64 v[183:184], v[2:3], v[26:27], -v[28:29]
	ds_load_b128 v[2:5], v1 offset:1136
	s_wait_loadcnt_dscnt 0x901
	v_mul_f64_e32 v[179:180], v[171:172], v[32:33]
	v_mul_f64_e32 v[32:33], v[173:174], v[32:33]
	scratch_load_b128 v[26:29], off, off offset:352
	s_wait_loadcnt_dscnt 0x900
	v_mul_f64_e32 v[185:186], v[2:3], v[36:37]
	v_mul_f64_e32 v[36:37], v[4:5], v[36:37]
	v_add_f64_e32 v[175:176], v[175:176], v[163:164]
	v_add_f64_e32 v[177:178], v[177:178], v[165:166]
	ds_load_b128 v[163:166], v1 offset:1152
	v_fma_f64 v[173:174], v[173:174], v[30:31], v[179:180]
	v_fma_f64 v[171:172], v[171:172], v[30:31], -v[32:33]
	scratch_load_b128 v[30:33], off, off offset:368
	v_add_f64_e32 v[175:176], v[175:176], v[183:184]
	v_add_f64_e32 v[177:178], v[177:178], v[181:182]
	v_fma_f64 v[183:184], v[4:5], v[34:35], v[185:186]
	v_fma_f64 v[185:186], v[2:3], v[34:35], -v[36:37]
	ds_load_b128 v[2:5], v1 offset:1168
	s_wait_loadcnt_dscnt 0x801
	v_mul_f64_e32 v[179:180], v[163:164], v[169:170]
	v_mul_f64_e32 v[181:182], v[165:166], v[169:170]
	scratch_load_b128 v[34:37], off, off offset:384
	v_add_f64_e32 v[175:176], v[175:176], v[171:172]
	v_add_f64_e32 v[173:174], v[177:178], v[173:174]
	ds_load_b128 v[169:172], v1 offset:1184
	v_fma_f64 v[179:180], v[165:166], v[167:168], v[179:180]
	v_fma_f64 v[167:168], v[163:164], v[167:168], -v[181:182]
	scratch_load_b128 v[163:166], off, off offset:400
	s_wait_loadcnt_dscnt 0x901
	v_mul_f64_e32 v[177:178], v[2:3], v[40:41]
	v_mul_f64_e32 v[40:41], v[4:5], v[40:41]
	v_add_f64_e32 v[175:176], v[175:176], v[185:186]
	v_add_f64_e32 v[173:174], v[173:174], v[183:184]
	s_delay_alu instid0(VALU_DEP_4) | instskip(NEXT) | instid1(VALU_DEP_4)
	v_fma_f64 v[177:178], v[4:5], v[38:39], v[177:178]
	v_fma_f64 v[183:184], v[2:3], v[38:39], -v[40:41]
	ds_load_b128 v[2:5], v1 offset:1200
	s_wait_loadcnt_dscnt 0x801
	v_mul_f64_e32 v[181:182], v[169:170], v[8:9]
	v_mul_f64_e32 v[8:9], v[171:172], v[8:9]
	scratch_load_b128 v[38:41], off, off offset:416
	s_wait_loadcnt_dscnt 0x800
	v_mul_f64_e32 v[185:186], v[2:3], v[12:13]
	v_add_f64_e32 v[167:168], v[175:176], v[167:168]
	v_add_f64_e32 v[179:180], v[173:174], v[179:180]
	v_mul_f64_e32 v[12:13], v[4:5], v[12:13]
	ds_load_b128 v[173:176], v1 offset:1216
	v_fma_f64 v[171:172], v[171:172], v[6:7], v[181:182]
	v_fma_f64 v[169:170], v[169:170], v[6:7], -v[8:9]
	scratch_load_b128 v[6:9], off, off offset:432
	v_fma_f64 v[181:182], v[4:5], v[10:11], v[185:186]
	v_add_f64_e32 v[167:168], v[167:168], v[183:184]
	v_add_f64_e32 v[177:178], v[179:180], v[177:178]
	v_fma_f64 v[183:184], v[2:3], v[10:11], -v[12:13]
	ds_load_b128 v[2:5], v1 offset:1232
	s_wait_loadcnt_dscnt 0x801
	v_mul_f64_e32 v[179:180], v[173:174], v[16:17]
	v_mul_f64_e32 v[16:17], v[175:176], v[16:17]
	scratch_load_b128 v[10:13], off, off offset:448
	v_add_f64_e32 v[185:186], v[167:168], v[169:170]
	v_add_f64_e32 v[171:172], v[177:178], v[171:172]
	s_wait_loadcnt_dscnt 0x800
	v_mul_f64_e32 v[177:178], v[2:3], v[20:21]
	v_mul_f64_e32 v[20:21], v[4:5], v[20:21]
	v_fma_f64 v[175:176], v[175:176], v[14:15], v[179:180]
	v_fma_f64 v[173:174], v[173:174], v[14:15], -v[16:17]
	ds_load_b128 v[167:170], v1 offset:1248
	scratch_load_b128 v[14:17], off, off offset:464
	v_add_f64_e32 v[179:180], v[185:186], v[183:184]
	v_add_f64_e32 v[171:172], v[171:172], v[181:182]
	v_fma_f64 v[177:178], v[4:5], v[18:19], v[177:178]
	v_fma_f64 v[183:184], v[2:3], v[18:19], -v[20:21]
	ds_load_b128 v[2:5], v1 offset:1264
	s_wait_loadcnt_dscnt 0x801
	v_mul_f64_e32 v[181:182], v[167:168], v[24:25]
	v_mul_f64_e32 v[24:25], v[169:170], v[24:25]
	scratch_load_b128 v[18:21], off, off offset:480
	s_wait_loadcnt_dscnt 0x800
	v_mul_f64_e32 v[185:186], v[2:3], v[28:29]
	v_mul_f64_e32 v[28:29], v[4:5], v[28:29]
	v_add_f64_e32 v[179:180], v[179:180], v[173:174]
	v_add_f64_e32 v[175:176], v[171:172], v[175:176]
	ds_load_b128 v[171:174], v1 offset:1280
	v_fma_f64 v[169:170], v[169:170], v[22:23], v[181:182]
	v_fma_f64 v[167:168], v[167:168], v[22:23], -v[24:25]
	scratch_load_b128 v[22:25], off, off offset:496
	v_fma_f64 v[181:182], v[4:5], v[26:27], v[185:186]
	v_add_f64_e32 v[179:180], v[179:180], v[183:184]
	v_add_f64_e32 v[175:176], v[175:176], v[177:178]
	v_fma_f64 v[183:184], v[2:3], v[26:27], -v[28:29]
	ds_load_b128 v[2:5], v1 offset:1296
	s_wait_loadcnt_dscnt 0x801
	v_mul_f64_e32 v[177:178], v[171:172], v[32:33]
	v_mul_f64_e32 v[32:33], v[173:174], v[32:33]
	scratch_load_b128 v[26:29], off, off offset:512
	s_wait_loadcnt_dscnt 0x800
	v_mul_f64_e32 v[185:186], v[2:3], v[36:37]
	v_mul_f64_e32 v[36:37], v[4:5], v[36:37]
	v_add_f64_e32 v[179:180], v[179:180], v[167:168]
	v_add_f64_e32 v[175:176], v[175:176], v[169:170]
	ds_load_b128 v[167:170], v1 offset:1312
	v_fma_f64 v[173:174], v[173:174], v[30:31], v[177:178]
	v_fma_f64 v[171:172], v[171:172], v[30:31], -v[32:33]
	scratch_load_b128 v[30:33], off, off offset:528
	v_add_f64_e32 v[177:178], v[179:180], v[183:184]
	v_add_f64_e32 v[175:176], v[175:176], v[181:182]
	v_fma_f64 v[181:182], v[4:5], v[34:35], v[185:186]
	v_fma_f64 v[183:184], v[2:3], v[34:35], -v[36:37]
	ds_load_b128 v[2:5], v1 offset:1328
	s_wait_loadcnt_dscnt 0x801
	v_mul_f64_e32 v[179:180], v[167:168], v[165:166]
	v_mul_f64_e32 v[165:166], v[169:170], v[165:166]
	scratch_load_b128 v[34:37], off, off offset:544
	s_wait_loadcnt_dscnt 0x800
	v_mul_f64_e32 v[185:186], v[2:3], v[40:41]
	v_mul_f64_e32 v[40:41], v[4:5], v[40:41]
	v_add_f64_e32 v[177:178], v[177:178], v[171:172]
	v_add_f64_e32 v[175:176], v[175:176], v[173:174]
	ds_load_b128 v[171:174], v1 offset:1344
	v_fma_f64 v[169:170], v[169:170], v[163:164], v[179:180]
	v_fma_f64 v[167:168], v[167:168], v[163:164], -v[165:166]
	scratch_load_b128 v[163:166], off, off offset:560
	v_add_f64_e32 v[177:178], v[177:178], v[183:184]
	v_add_f64_e32 v[175:176], v[175:176], v[181:182]
	v_fma_f64 v[181:182], v[4:5], v[38:39], v[185:186]
	;; [unrolled: 18-line block ×6, first 2 shown]
	v_fma_f64 v[185:186], v[2:3], v[34:35], -v[36:37]
	ds_load_b128 v[2:5], v1 offset:1488
	s_wait_loadcnt_dscnt 0x801
	v_mul_f64_e32 v[179:180], v[171:172], v[165:166]
	v_mul_f64_e32 v[181:182], v[173:174], v[165:166]
	scratch_load_b128 v[34:37], off, off offset:704
	v_add_f64_e32 v[177:178], v[177:178], v[167:168]
	v_add_f64_e32 v[169:170], v[175:176], v[169:170]
	s_wait_loadcnt_dscnt 0x800
	v_mul_f64_e32 v[175:176], v[2:3], v[40:41]
	v_mul_f64_e32 v[40:41], v[4:5], v[40:41]
	ds_load_b128 v[165:168], v1 offset:1504
	v_fma_f64 v[173:174], v[173:174], v[163:164], v[179:180]
	v_fma_f64 v[163:164], v[171:172], v[163:164], -v[181:182]
	v_add_f64_e32 v[177:178], v[177:178], v[185:186]
	v_add_f64_e32 v[179:180], v[169:170], v[183:184]
	scratch_load_b128 v[169:172], off, off offset:720
	v_fma_f64 v[183:184], v[4:5], v[38:39], v[175:176]
	v_fma_f64 v[185:186], v[2:3], v[38:39], -v[40:41]
	ds_load_b128 v[2:5], v1 offset:1520
	s_wait_loadcnt_dscnt 0x801
	v_mul_f64_e32 v[181:182], v[165:166], v[8:9]
	v_mul_f64_e32 v[8:9], v[167:168], v[8:9]
	scratch_load_b128 v[38:41], off, off offset:736
	v_add_f64_e32 v[163:164], v[177:178], v[163:164]
	v_add_f64_e32 v[177:178], v[179:180], v[173:174]
	s_wait_loadcnt_dscnt 0x800
	v_mul_f64_e32 v[179:180], v[2:3], v[12:13]
	v_mul_f64_e32 v[12:13], v[4:5], v[12:13]
	ds_load_b128 v[173:176], v1 offset:1536
	v_fma_f64 v[167:168], v[167:168], v[6:7], v[181:182]
	v_fma_f64 v[165:166], v[165:166], v[6:7], -v[8:9]
	scratch_load_b128 v[6:9], off, off offset:752
	v_add_f64_e32 v[163:164], v[163:164], v[185:186]
	v_add_f64_e32 v[177:178], v[177:178], v[183:184]
	v_fma_f64 v[179:180], v[4:5], v[10:11], v[179:180]
	v_fma_f64 v[183:184], v[2:3], v[10:11], -v[12:13]
	ds_load_b128 v[2:5], v1 offset:1552
	s_wait_loadcnt_dscnt 0x801
	v_mul_f64_e32 v[181:182], v[173:174], v[16:17]
	v_mul_f64_e32 v[16:17], v[175:176], v[16:17]
	scratch_load_b128 v[10:13], off, off offset:768
	v_add_f64_e32 v[185:186], v[163:164], v[165:166]
	v_add_f64_e32 v[167:168], v[177:178], v[167:168]
	s_wait_loadcnt_dscnt 0x800
	v_mul_f64_e32 v[177:178], v[2:3], v[20:21]
	v_mul_f64_e32 v[20:21], v[4:5], v[20:21]
	ds_load_b128 v[163:166], v1 offset:1568
	v_fma_f64 v[175:176], v[175:176], v[14:15], v[181:182]
	v_fma_f64 v[173:174], v[173:174], v[14:15], -v[16:17]
	scratch_load_b128 v[14:17], off, off offset:784
	v_add_f64_e32 v[181:182], v[185:186], v[183:184]
	v_add_f64_e32 v[167:168], v[167:168], v[179:180]
	v_fma_f64 v[177:178], v[4:5], v[18:19], v[177:178]
	v_fma_f64 v[183:184], v[2:3], v[18:19], -v[20:21]
	ds_load_b128 v[2:5], v1 offset:1584
	s_wait_loadcnt_dscnt 0x801
	v_mul_f64_e32 v[179:180], v[163:164], v[24:25]
	v_mul_f64_e32 v[24:25], v[165:166], v[24:25]
	scratch_load_b128 v[18:21], off, off offset:800
	s_wait_loadcnt_dscnt 0x800
	v_mul_f64_e32 v[185:186], v[2:3], v[28:29]
	v_mul_f64_e32 v[28:29], v[4:5], v[28:29]
	v_add_f64_e32 v[181:182], v[181:182], v[173:174]
	v_add_f64_e32 v[167:168], v[167:168], v[175:176]
	ds_load_b128 v[173:176], v1 offset:1600
	v_fma_f64 v[165:166], v[165:166], v[22:23], v[179:180]
	v_fma_f64 v[163:164], v[163:164], v[22:23], -v[24:25]
	scratch_load_b128 v[22:25], off, off offset:816
	v_add_f64_e32 v[179:180], v[181:182], v[183:184]
	v_add_f64_e32 v[167:168], v[167:168], v[177:178]
	v_fma_f64 v[181:182], v[4:5], v[26:27], v[185:186]
	v_fma_f64 v[183:184], v[2:3], v[26:27], -v[28:29]
	ds_load_b128 v[2:5], v1 offset:1616
	s_wait_loadcnt_dscnt 0x801
	v_mul_f64_e32 v[177:178], v[173:174], v[32:33]
	v_mul_f64_e32 v[32:33], v[175:176], v[32:33]
	scratch_load_b128 v[26:29], off, off offset:832
	s_wait_loadcnt_dscnt 0x800
	v_mul_f64_e32 v[185:186], v[2:3], v[36:37]
	v_mul_f64_e32 v[36:37], v[4:5], v[36:37]
	v_add_f64_e32 v[179:180], v[179:180], v[163:164]
	v_add_f64_e32 v[167:168], v[167:168], v[165:166]
	ds_load_b128 v[163:166], v1 offset:1632
	v_fma_f64 v[175:176], v[175:176], v[30:31], v[177:178]
	v_fma_f64 v[173:174], v[173:174], v[30:31], -v[32:33]
	scratch_load_b128 v[30:33], off, off offset:848
	v_add_f64_e32 v[177:178], v[179:180], v[183:184]
	v_add_f64_e32 v[167:168], v[167:168], v[181:182]
	v_fma_f64 v[183:184], v[4:5], v[34:35], v[185:186]
	v_fma_f64 v[185:186], v[2:3], v[34:35], -v[36:37]
	ds_load_b128 v[2:5], v1 offset:1648
	scratch_load_b128 v[34:37], off, off offset:864
	s_wait_loadcnt_dscnt 0x901
	v_mul_f64_e32 v[179:180], v[163:164], v[171:172]
	v_mul_f64_e32 v[181:182], v[165:166], v[171:172]
	v_add_f64_e32 v[177:178], v[177:178], v[173:174]
	v_add_f64_e32 v[167:168], v[167:168], v[175:176]
	s_wait_loadcnt_dscnt 0x800
	v_mul_f64_e32 v[175:176], v[2:3], v[40:41]
	v_mul_f64_e32 v[40:41], v[4:5], v[40:41]
	ds_load_b128 v[171:174], v1 offset:1664
	v_fma_f64 v[179:180], v[165:166], v[169:170], v[179:180]
	v_fma_f64 v[169:170], v[163:164], v[169:170], -v[181:182]
	scratch_load_b128 v[163:166], off, off offset:880
	v_add_f64_e32 v[177:178], v[177:178], v[185:186]
	v_add_f64_e32 v[167:168], v[167:168], v[183:184]
	v_fma_f64 v[175:176], v[4:5], v[38:39], v[175:176]
	v_fma_f64 v[183:184], v[2:3], v[38:39], -v[40:41]
	ds_load_b128 v[2:5], v1 offset:1680
	s_wait_loadcnt_dscnt 0x801
	v_mul_f64_e32 v[181:182], v[171:172], v[8:9]
	v_mul_f64_e32 v[8:9], v[173:174], v[8:9]
	scratch_load_b128 v[38:41], off, off offset:896
	s_wait_loadcnt_dscnt 0x800
	v_mul_f64_e32 v[185:186], v[2:3], v[12:13]
	v_mul_f64_e32 v[12:13], v[4:5], v[12:13]
	v_add_f64_e32 v[177:178], v[177:178], v[169:170]
	v_add_f64_e32 v[179:180], v[167:168], v[179:180]
	ds_load_b128 v[167:170], v1 offset:1696
	v_fma_f64 v[173:174], v[173:174], v[6:7], v[181:182]
	v_fma_f64 v[171:172], v[171:172], v[6:7], -v[8:9]
	scratch_load_b128 v[6:9], off, off offset:912
	v_fma_f64 v[181:182], v[4:5], v[10:11], v[185:186]
	v_add_f64_e32 v[177:178], v[177:178], v[183:184]
	v_add_f64_e32 v[175:176], v[179:180], v[175:176]
	v_fma_f64 v[183:184], v[2:3], v[10:11], -v[12:13]
	ds_load_b128 v[2:5], v1 offset:1712
	s_wait_loadcnt_dscnt 0x801
	v_mul_f64_e32 v[179:180], v[167:168], v[16:17]
	v_mul_f64_e32 v[16:17], v[169:170], v[16:17]
	scratch_load_b128 v[10:13], off, off offset:928
	s_wait_loadcnt_dscnt 0x800
	v_mul_f64_e32 v[185:186], v[2:3], v[20:21]
	v_mul_f64_e32 v[20:21], v[4:5], v[20:21]
	v_add_f64_e32 v[177:178], v[177:178], v[171:172]
	v_add_f64_e32 v[175:176], v[175:176], v[173:174]
	ds_load_b128 v[171:174], v1 offset:1728
	v_fma_f64 v[169:170], v[169:170], v[14:15], v[179:180]
	v_fma_f64 v[14:15], v[167:168], v[14:15], -v[16:17]
	v_add_f64_e32 v[16:17], v[177:178], v[183:184]
	v_add_f64_e32 v[167:168], v[175:176], v[181:182]
	s_wait_loadcnt_dscnt 0x700
	v_mul_f64_e32 v[175:176], v[171:172], v[24:25]
	v_mul_f64_e32 v[24:25], v[173:174], v[24:25]
	v_fma_f64 v[177:178], v[4:5], v[18:19], v[185:186]
	v_fma_f64 v[18:19], v[2:3], v[18:19], -v[20:21]
	v_add_f64_e32 v[20:21], v[16:17], v[14:15]
	v_add_f64_e32 v[167:168], v[167:168], v[169:170]
	ds_load_b128 v[2:5], v1 offset:1744
	ds_load_b128 v[14:17], v1 offset:1760
	v_fma_f64 v[173:174], v[173:174], v[22:23], v[175:176]
	v_fma_f64 v[22:23], v[171:172], v[22:23], -v[24:25]
	s_wait_loadcnt_dscnt 0x601
	v_mul_f64_e32 v[169:170], v[2:3], v[28:29]
	v_mul_f64_e32 v[28:29], v[4:5], v[28:29]
	s_wait_loadcnt_dscnt 0x500
	v_mul_f64_e32 v[24:25], v[14:15], v[32:33]
	v_mul_f64_e32 v[32:33], v[16:17], v[32:33]
	v_add_f64_e32 v[18:19], v[20:21], v[18:19]
	v_add_f64_e32 v[20:21], v[167:168], v[177:178]
	v_fma_f64 v[167:168], v[4:5], v[26:27], v[169:170]
	v_fma_f64 v[26:27], v[2:3], v[26:27], -v[28:29]
	v_fma_f64 v[16:17], v[16:17], v[30:31], v[24:25]
	v_fma_f64 v[14:15], v[14:15], v[30:31], -v[32:33]
	v_add_f64_e32 v[22:23], v[18:19], v[22:23]
	v_add_f64_e32 v[28:29], v[20:21], v[173:174]
	ds_load_b128 v[2:5], v1 offset:1776
	ds_load_b128 v[18:21], v1 offset:1792
	s_wait_loadcnt_dscnt 0x401
	v_mul_f64_e32 v[169:170], v[2:3], v[36:37]
	v_mul_f64_e32 v[36:37], v[4:5], v[36:37]
	v_add_f64_e32 v[22:23], v[22:23], v[26:27]
	v_add_f64_e32 v[24:25], v[28:29], v[167:168]
	s_wait_loadcnt_dscnt 0x300
	v_mul_f64_e32 v[26:27], v[18:19], v[165:166]
	v_mul_f64_e32 v[28:29], v[20:21], v[165:166]
	v_fma_f64 v[30:31], v[4:5], v[34:35], v[169:170]
	v_fma_f64 v[32:33], v[2:3], v[34:35], -v[36:37]
	v_add_f64_e32 v[22:23], v[22:23], v[14:15]
	v_add_f64_e32 v[24:25], v[24:25], v[16:17]
	ds_load_b128 v[2:5], v1 offset:1808
	ds_load_b128 v[14:17], v1 offset:1824
	v_fma_f64 v[20:21], v[20:21], v[163:164], v[26:27]
	v_fma_f64 v[18:19], v[18:19], v[163:164], -v[28:29]
	s_wait_loadcnt_dscnt 0x201
	v_mul_f64_e32 v[34:35], v[2:3], v[40:41]
	v_mul_f64_e32 v[36:37], v[4:5], v[40:41]
	s_wait_loadcnt_dscnt 0x100
	v_mul_f64_e32 v[26:27], v[14:15], v[8:9]
	v_mul_f64_e32 v[8:9], v[16:17], v[8:9]
	v_add_f64_e32 v[22:23], v[22:23], v[32:33]
	v_add_f64_e32 v[24:25], v[24:25], v[30:31]
	v_fma_f64 v[28:29], v[4:5], v[38:39], v[34:35]
	v_fma_f64 v[30:31], v[2:3], v[38:39], -v[36:37]
	ds_load_b128 v[2:5], v1 offset:1840
	v_fma_f64 v[16:17], v[16:17], v[6:7], v[26:27]
	v_fma_f64 v[6:7], v[14:15], v[6:7], -v[8:9]
	v_add_f64_e32 v[18:19], v[22:23], v[18:19]
	v_add_f64_e32 v[20:21], v[24:25], v[20:21]
	s_wait_loadcnt_dscnt 0x0
	v_mul_f64_e32 v[22:23], v[2:3], v[12:13]
	v_mul_f64_e32 v[12:13], v[4:5], v[12:13]
	s_delay_alu instid0(VALU_DEP_4) | instskip(NEXT) | instid1(VALU_DEP_4)
	v_add_f64_e32 v[8:9], v[18:19], v[30:31]
	v_add_f64_e32 v[14:15], v[20:21], v[28:29]
	s_delay_alu instid0(VALU_DEP_4) | instskip(NEXT) | instid1(VALU_DEP_4)
	v_fma_f64 v[4:5], v[4:5], v[10:11], v[22:23]
	v_fma_f64 v[2:3], v[2:3], v[10:11], -v[12:13]
	s_delay_alu instid0(VALU_DEP_4) | instskip(NEXT) | instid1(VALU_DEP_4)
	v_add_f64_e32 v[6:7], v[8:9], v[6:7]
	v_add_f64_e32 v[8:9], v[14:15], v[16:17]
	s_delay_alu instid0(VALU_DEP_2) | instskip(NEXT) | instid1(VALU_DEP_2)
	v_add_f64_e32 v[2:3], v[6:7], v[2:3]
	v_add_f64_e32 v[4:5], v[8:9], v[4:5]
	s_delay_alu instid0(VALU_DEP_2) | instskip(NEXT) | instid1(VALU_DEP_2)
	v_add_f64_e64 v[2:3], v[42:43], -v[2:3]
	v_add_f64_e64 v[4:5], v[44:45], -v[4:5]
	scratch_store_b128 off, v[2:5], off offset:80
	v_cmpx_lt_u32_e32 3, v0
	s_cbranch_execz .LBB57_355
; %bb.354:
	scratch_load_b128 v[5:8], off, s51
	v_dual_mov_b32 v2, v1 :: v_dual_mov_b32 v3, v1
	v_mov_b32_e32 v4, v1
	scratch_store_b128 off, v[1:4], off offset:64
	s_wait_loadcnt 0x0
	ds_store_b128 v162, v[5:8]
.LBB57_355:
	s_wait_alu 0xfffe
	s_or_b32 exec_lo, exec_lo, s0
	s_wait_storecnt_dscnt 0x0
	s_barrier_signal -1
	s_barrier_wait -1
	global_inv scope:SCOPE_SE
	s_clause 0x8
	scratch_load_b128 v[2:5], off, off offset:80
	scratch_load_b128 v[6:9], off, off offset:96
	;; [unrolled: 1-line block ×9, first 2 shown]
	ds_load_b128 v[42:45], v1 offset:992
	ds_load_b128 v[38:41], v1 offset:1008
	s_clause 0x1
	scratch_load_b128 v[163:166], off, off offset:64
	scratch_load_b128 v[167:170], off, off offset:224
	s_mov_b32 s0, exec_lo
	s_wait_loadcnt_dscnt 0xa01
	v_mul_f64_e32 v[171:172], v[44:45], v[4:5]
	v_mul_f64_e32 v[4:5], v[42:43], v[4:5]
	s_wait_loadcnt_dscnt 0x900
	v_mul_f64_e32 v[175:176], v[38:39], v[8:9]
	v_mul_f64_e32 v[8:9], v[40:41], v[8:9]
	s_delay_alu instid0(VALU_DEP_4) | instskip(NEXT) | instid1(VALU_DEP_4)
	v_fma_f64 v[177:178], v[42:43], v[2:3], -v[171:172]
	v_fma_f64 v[179:180], v[44:45], v[2:3], v[4:5]
	ds_load_b128 v[2:5], v1 offset:1024
	ds_load_b128 v[171:174], v1 offset:1040
	scratch_load_b128 v[42:45], off, off offset:240
	v_fma_f64 v[40:41], v[40:41], v[6:7], v[175:176]
	v_fma_f64 v[38:39], v[38:39], v[6:7], -v[8:9]
	scratch_load_b128 v[6:9], off, off offset:256
	s_wait_loadcnt_dscnt 0xa01
	v_mul_f64_e32 v[181:182], v[2:3], v[12:13]
	v_mul_f64_e32 v[12:13], v[4:5], v[12:13]
	v_add_f64_e32 v[175:176], 0, v[177:178]
	v_add_f64_e32 v[177:178], 0, v[179:180]
	s_wait_loadcnt_dscnt 0x900
	v_mul_f64_e32 v[179:180], v[171:172], v[16:17]
	v_mul_f64_e32 v[16:17], v[173:174], v[16:17]
	v_fma_f64 v[181:182], v[4:5], v[10:11], v[181:182]
	v_fma_f64 v[183:184], v[2:3], v[10:11], -v[12:13]
	ds_load_b128 v[2:5], v1 offset:1056
	scratch_load_b128 v[10:13], off, off offset:272
	v_add_f64_e32 v[175:176], v[175:176], v[38:39]
	v_add_f64_e32 v[177:178], v[177:178], v[40:41]
	ds_load_b128 v[38:41], v1 offset:1072
	v_fma_f64 v[173:174], v[173:174], v[14:15], v[179:180]
	v_fma_f64 v[171:172], v[171:172], v[14:15], -v[16:17]
	scratch_load_b128 v[14:17], off, off offset:288
	s_wait_loadcnt_dscnt 0xa01
	v_mul_f64_e32 v[185:186], v[2:3], v[20:21]
	v_mul_f64_e32 v[20:21], v[4:5], v[20:21]
	s_wait_loadcnt_dscnt 0x900
	v_mul_f64_e32 v[179:180], v[38:39], v[24:25]
	v_mul_f64_e32 v[24:25], v[40:41], v[24:25]
	v_add_f64_e32 v[175:176], v[175:176], v[183:184]
	v_add_f64_e32 v[177:178], v[177:178], v[181:182]
	v_fma_f64 v[181:182], v[4:5], v[18:19], v[185:186]
	v_fma_f64 v[183:184], v[2:3], v[18:19], -v[20:21]
	ds_load_b128 v[2:5], v1 offset:1088
	scratch_load_b128 v[18:21], off, off offset:304
	v_fma_f64 v[40:41], v[40:41], v[22:23], v[179:180]
	v_fma_f64 v[38:39], v[38:39], v[22:23], -v[24:25]
	scratch_load_b128 v[22:25], off, off offset:320
	v_add_f64_e32 v[175:176], v[175:176], v[171:172]
	v_add_f64_e32 v[177:178], v[177:178], v[173:174]
	ds_load_b128 v[171:174], v1 offset:1104
	s_wait_loadcnt_dscnt 0xa01
	v_mul_f64_e32 v[185:186], v[2:3], v[28:29]
	v_mul_f64_e32 v[28:29], v[4:5], v[28:29]
	s_wait_loadcnt_dscnt 0x900
	v_mul_f64_e32 v[179:180], v[171:172], v[32:33]
	v_mul_f64_e32 v[32:33], v[173:174], v[32:33]
	v_add_f64_e32 v[175:176], v[175:176], v[183:184]
	v_add_f64_e32 v[177:178], v[177:178], v[181:182]
	v_fma_f64 v[181:182], v[4:5], v[26:27], v[185:186]
	v_fma_f64 v[183:184], v[2:3], v[26:27], -v[28:29]
	ds_load_b128 v[2:5], v1 offset:1120
	scratch_load_b128 v[26:29], off, off offset:336
	v_fma_f64 v[173:174], v[173:174], v[30:31], v[179:180]
	v_fma_f64 v[171:172], v[171:172], v[30:31], -v[32:33]
	scratch_load_b128 v[30:33], off, off offset:352
	v_add_f64_e32 v[175:176], v[175:176], v[38:39]
	v_add_f64_e32 v[177:178], v[177:178], v[40:41]
	ds_load_b128 v[38:41], v1 offset:1136
	s_wait_loadcnt_dscnt 0xa01
	v_mul_f64_e32 v[185:186], v[2:3], v[36:37]
	v_mul_f64_e32 v[36:37], v[4:5], v[36:37]
	s_wait_loadcnt_dscnt 0x800
	v_mul_f64_e32 v[179:180], v[38:39], v[169:170]
	v_add_f64_e32 v[175:176], v[175:176], v[183:184]
	v_add_f64_e32 v[177:178], v[177:178], v[181:182]
	v_mul_f64_e32 v[181:182], v[40:41], v[169:170]
	v_fma_f64 v[183:184], v[4:5], v[34:35], v[185:186]
	v_fma_f64 v[185:186], v[2:3], v[34:35], -v[36:37]
	ds_load_b128 v[2:5], v1 offset:1152
	scratch_load_b128 v[34:37], off, off offset:368
	v_fma_f64 v[179:180], v[40:41], v[167:168], v[179:180]
	v_add_f64_e32 v[175:176], v[175:176], v[171:172]
	v_add_f64_e32 v[173:174], v[177:178], v[173:174]
	ds_load_b128 v[169:172], v1 offset:1168
	v_fma_f64 v[167:168], v[38:39], v[167:168], -v[181:182]
	scratch_load_b128 v[38:41], off, off offset:384
	s_wait_loadcnt_dscnt 0x901
	v_mul_f64_e32 v[177:178], v[2:3], v[44:45]
	v_mul_f64_e32 v[44:45], v[4:5], v[44:45]
	s_wait_loadcnt_dscnt 0x800
	v_mul_f64_e32 v[181:182], v[169:170], v[8:9]
	v_mul_f64_e32 v[8:9], v[171:172], v[8:9]
	v_add_f64_e32 v[175:176], v[175:176], v[185:186]
	v_add_f64_e32 v[173:174], v[173:174], v[183:184]
	v_fma_f64 v[177:178], v[4:5], v[42:43], v[177:178]
	v_fma_f64 v[183:184], v[2:3], v[42:43], -v[44:45]
	ds_load_b128 v[2:5], v1 offset:1184
	scratch_load_b128 v[42:45], off, off offset:400
	v_fma_f64 v[171:172], v[171:172], v[6:7], v[181:182]
	v_fma_f64 v[169:170], v[169:170], v[6:7], -v[8:9]
	scratch_load_b128 v[6:9], off, off offset:416
	v_add_f64_e32 v[167:168], v[175:176], v[167:168]
	v_add_f64_e32 v[179:180], v[173:174], v[179:180]
	ds_load_b128 v[173:176], v1 offset:1200
	s_wait_loadcnt_dscnt 0x901
	v_mul_f64_e32 v[185:186], v[2:3], v[12:13]
	v_mul_f64_e32 v[12:13], v[4:5], v[12:13]
	v_add_f64_e32 v[167:168], v[167:168], v[183:184]
	v_add_f64_e32 v[177:178], v[179:180], v[177:178]
	s_wait_loadcnt_dscnt 0x800
	v_mul_f64_e32 v[179:180], v[173:174], v[16:17]
	v_mul_f64_e32 v[16:17], v[175:176], v[16:17]
	v_fma_f64 v[181:182], v[4:5], v[10:11], v[185:186]
	v_fma_f64 v[183:184], v[2:3], v[10:11], -v[12:13]
	ds_load_b128 v[2:5], v1 offset:1216
	scratch_load_b128 v[10:13], off, off offset:432
	v_add_f64_e32 v[185:186], v[167:168], v[169:170]
	v_add_f64_e32 v[171:172], v[177:178], v[171:172]
	ds_load_b128 v[167:170], v1 offset:1232
	s_wait_loadcnt_dscnt 0x801
	v_mul_f64_e32 v[177:178], v[2:3], v[20:21]
	v_mul_f64_e32 v[20:21], v[4:5], v[20:21]
	v_fma_f64 v[175:176], v[175:176], v[14:15], v[179:180]
	v_fma_f64 v[173:174], v[173:174], v[14:15], -v[16:17]
	scratch_load_b128 v[14:17], off, off offset:448
	v_add_f64_e32 v[179:180], v[185:186], v[183:184]
	v_add_f64_e32 v[171:172], v[171:172], v[181:182]
	s_wait_loadcnt_dscnt 0x800
	v_mul_f64_e32 v[181:182], v[167:168], v[24:25]
	v_mul_f64_e32 v[24:25], v[169:170], v[24:25]
	v_fma_f64 v[177:178], v[4:5], v[18:19], v[177:178]
	v_fma_f64 v[183:184], v[2:3], v[18:19], -v[20:21]
	ds_load_b128 v[2:5], v1 offset:1248
	scratch_load_b128 v[18:21], off, off offset:464
	v_add_f64_e32 v[179:180], v[179:180], v[173:174]
	v_add_f64_e32 v[175:176], v[171:172], v[175:176]
	ds_load_b128 v[171:174], v1 offset:1264
	s_wait_loadcnt_dscnt 0x801
	v_mul_f64_e32 v[185:186], v[2:3], v[28:29]
	v_mul_f64_e32 v[28:29], v[4:5], v[28:29]
	v_fma_f64 v[169:170], v[169:170], v[22:23], v[181:182]
	v_fma_f64 v[167:168], v[167:168], v[22:23], -v[24:25]
	scratch_load_b128 v[22:25], off, off offset:480
	v_add_f64_e32 v[179:180], v[179:180], v[183:184]
	v_add_f64_e32 v[175:176], v[175:176], v[177:178]
	s_wait_loadcnt_dscnt 0x800
	v_mul_f64_e32 v[177:178], v[171:172], v[32:33]
	v_mul_f64_e32 v[32:33], v[173:174], v[32:33]
	v_fma_f64 v[181:182], v[4:5], v[26:27], v[185:186]
	v_fma_f64 v[183:184], v[2:3], v[26:27], -v[28:29]
	ds_load_b128 v[2:5], v1 offset:1280
	scratch_load_b128 v[26:29], off, off offset:496
	v_add_f64_e32 v[179:180], v[179:180], v[167:168]
	v_add_f64_e32 v[175:176], v[175:176], v[169:170]
	ds_load_b128 v[167:170], v1 offset:1296
	s_wait_loadcnt_dscnt 0x801
	v_mul_f64_e32 v[185:186], v[2:3], v[36:37]
	v_mul_f64_e32 v[36:37], v[4:5], v[36:37]
	v_fma_f64 v[173:174], v[173:174], v[30:31], v[177:178]
	v_fma_f64 v[171:172], v[171:172], v[30:31], -v[32:33]
	scratch_load_b128 v[30:33], off, off offset:512
	v_add_f64_e32 v[177:178], v[179:180], v[183:184]
	v_add_f64_e32 v[175:176], v[175:176], v[181:182]
	s_wait_loadcnt_dscnt 0x800
	v_mul_f64_e32 v[179:180], v[167:168], v[40:41]
	v_mul_f64_e32 v[40:41], v[169:170], v[40:41]
	v_fma_f64 v[181:182], v[4:5], v[34:35], v[185:186]
	v_fma_f64 v[183:184], v[2:3], v[34:35], -v[36:37]
	ds_load_b128 v[2:5], v1 offset:1312
	scratch_load_b128 v[34:37], off, off offset:528
	v_add_f64_e32 v[177:178], v[177:178], v[171:172]
	v_add_f64_e32 v[175:176], v[175:176], v[173:174]
	ds_load_b128 v[171:174], v1 offset:1328
	s_wait_loadcnt_dscnt 0x801
	v_mul_f64_e32 v[185:186], v[2:3], v[44:45]
	v_mul_f64_e32 v[44:45], v[4:5], v[44:45]
	v_fma_f64 v[169:170], v[169:170], v[38:39], v[179:180]
	v_fma_f64 v[167:168], v[167:168], v[38:39], -v[40:41]
	scratch_load_b128 v[38:41], off, off offset:544
	s_wait_loadcnt_dscnt 0x800
	v_mul_f64_e32 v[179:180], v[171:172], v[8:9]
	v_mul_f64_e32 v[8:9], v[173:174], v[8:9]
	v_add_f64_e32 v[177:178], v[177:178], v[183:184]
	v_add_f64_e32 v[175:176], v[175:176], v[181:182]
	v_fma_f64 v[181:182], v[4:5], v[42:43], v[185:186]
	v_fma_f64 v[183:184], v[2:3], v[42:43], -v[44:45]
	ds_load_b128 v[2:5], v1 offset:1344
	scratch_load_b128 v[42:45], off, off offset:560
	v_fma_f64 v[173:174], v[173:174], v[6:7], v[179:180]
	v_fma_f64 v[171:172], v[171:172], v[6:7], -v[8:9]
	scratch_load_b128 v[6:9], off, off offset:576
	v_add_f64_e32 v[177:178], v[177:178], v[167:168]
	v_add_f64_e32 v[175:176], v[175:176], v[169:170]
	ds_load_b128 v[167:170], v1 offset:1360
	s_wait_loadcnt_dscnt 0x901
	v_mul_f64_e32 v[185:186], v[2:3], v[12:13]
	v_mul_f64_e32 v[12:13], v[4:5], v[12:13]
	s_wait_loadcnt_dscnt 0x800
	v_mul_f64_e32 v[179:180], v[167:168], v[16:17]
	v_mul_f64_e32 v[16:17], v[169:170], v[16:17]
	v_add_f64_e32 v[177:178], v[177:178], v[183:184]
	v_add_f64_e32 v[175:176], v[175:176], v[181:182]
	v_fma_f64 v[181:182], v[4:5], v[10:11], v[185:186]
	v_fma_f64 v[183:184], v[2:3], v[10:11], -v[12:13]
	ds_load_b128 v[2:5], v1 offset:1376
	scratch_load_b128 v[10:13], off, off offset:592
	v_fma_f64 v[169:170], v[169:170], v[14:15], v[179:180]
	v_fma_f64 v[167:168], v[167:168], v[14:15], -v[16:17]
	scratch_load_b128 v[14:17], off, off offset:608
	v_add_f64_e32 v[177:178], v[177:178], v[171:172]
	v_add_f64_e32 v[175:176], v[175:176], v[173:174]
	ds_load_b128 v[171:174], v1 offset:1392
	s_wait_loadcnt_dscnt 0x901
	v_mul_f64_e32 v[185:186], v[2:3], v[20:21]
	v_mul_f64_e32 v[20:21], v[4:5], v[20:21]
	;; [unrolled: 18-line block ×12, first 2 shown]
	s_wait_loadcnt_dscnt 0x800
	v_mul_f64_e32 v[179:180], v[171:172], v[24:25]
	v_mul_f64_e32 v[24:25], v[173:174], v[24:25]
	v_add_f64_e32 v[177:178], v[177:178], v[183:184]
	v_add_f64_e32 v[175:176], v[175:176], v[181:182]
	v_fma_f64 v[181:182], v[4:5], v[18:19], v[185:186]
	v_fma_f64 v[183:184], v[2:3], v[18:19], -v[20:21]
	ds_load_b128 v[2:5], v1 offset:1728
	ds_load_b128 v[18:21], v1 offset:1744
	v_fma_f64 v[173:174], v[173:174], v[22:23], v[179:180]
	v_fma_f64 v[22:23], v[171:172], v[22:23], -v[24:25]
	v_add_f64_e32 v[167:168], v[177:178], v[167:168]
	v_add_f64_e32 v[169:170], v[175:176], v[169:170]
	s_wait_loadcnt_dscnt 0x701
	v_mul_f64_e32 v[175:176], v[2:3], v[28:29]
	v_mul_f64_e32 v[28:29], v[4:5], v[28:29]
	s_delay_alu instid0(VALU_DEP_4) | instskip(NEXT) | instid1(VALU_DEP_4)
	v_add_f64_e32 v[24:25], v[167:168], v[183:184]
	v_add_f64_e32 v[167:168], v[169:170], v[181:182]
	s_wait_loadcnt_dscnt 0x600
	v_mul_f64_e32 v[169:170], v[18:19], v[32:33]
	v_mul_f64_e32 v[32:33], v[20:21], v[32:33]
	v_fma_f64 v[171:172], v[4:5], v[26:27], v[175:176]
	v_fma_f64 v[26:27], v[2:3], v[26:27], -v[28:29]
	v_add_f64_e32 v[28:29], v[24:25], v[22:23]
	v_add_f64_e32 v[167:168], v[167:168], v[173:174]
	ds_load_b128 v[2:5], v1 offset:1760
	ds_load_b128 v[22:25], v1 offset:1776
	v_fma_f64 v[20:21], v[20:21], v[30:31], v[169:170]
	v_fma_f64 v[18:19], v[18:19], v[30:31], -v[32:33]
	s_wait_loadcnt_dscnt 0x501
	v_mul_f64_e32 v[173:174], v[2:3], v[36:37]
	v_mul_f64_e32 v[36:37], v[4:5], v[36:37]
	s_wait_loadcnt_dscnt 0x400
	v_mul_f64_e32 v[30:31], v[22:23], v[40:41]
	v_mul_f64_e32 v[32:33], v[24:25], v[40:41]
	v_add_f64_e32 v[26:27], v[28:29], v[26:27]
	v_add_f64_e32 v[28:29], v[167:168], v[171:172]
	v_fma_f64 v[40:41], v[4:5], v[34:35], v[173:174]
	v_fma_f64 v[34:35], v[2:3], v[34:35], -v[36:37]
	v_fma_f64 v[24:25], v[24:25], v[38:39], v[30:31]
	v_fma_f64 v[22:23], v[22:23], v[38:39], -v[32:33]
	v_add_f64_e32 v[26:27], v[26:27], v[18:19]
	v_add_f64_e32 v[28:29], v[28:29], v[20:21]
	ds_load_b128 v[2:5], v1 offset:1792
	ds_load_b128 v[18:21], v1 offset:1808
	s_wait_loadcnt_dscnt 0x301
	v_mul_f64_e32 v[36:37], v[2:3], v[44:45]
	v_mul_f64_e32 v[44:45], v[4:5], v[44:45]
	s_wait_loadcnt_dscnt 0x200
	v_mul_f64_e32 v[30:31], v[18:19], v[8:9]
	v_mul_f64_e32 v[8:9], v[20:21], v[8:9]
	v_add_f64_e32 v[26:27], v[26:27], v[34:35]
	v_add_f64_e32 v[28:29], v[28:29], v[40:41]
	v_fma_f64 v[32:33], v[4:5], v[42:43], v[36:37]
	v_fma_f64 v[34:35], v[2:3], v[42:43], -v[44:45]
	v_fma_f64 v[20:21], v[20:21], v[6:7], v[30:31]
	v_fma_f64 v[6:7], v[18:19], v[6:7], -v[8:9]
	v_add_f64_e32 v[26:27], v[26:27], v[22:23]
	v_add_f64_e32 v[28:29], v[28:29], v[24:25]
	ds_load_b128 v[2:5], v1 offset:1824
	ds_load_b128 v[22:25], v1 offset:1840
	s_wait_loadcnt_dscnt 0x101
	v_mul_f64_e32 v[36:37], v[2:3], v[12:13]
	v_mul_f64_e32 v[12:13], v[4:5], v[12:13]
	v_add_f64_e32 v[8:9], v[26:27], v[34:35]
	v_add_f64_e32 v[18:19], v[28:29], v[32:33]
	s_wait_loadcnt_dscnt 0x0
	v_mul_f64_e32 v[26:27], v[22:23], v[16:17]
	v_mul_f64_e32 v[16:17], v[24:25], v[16:17]
	v_fma_f64 v[4:5], v[4:5], v[10:11], v[36:37]
	v_fma_f64 v[1:2], v[2:3], v[10:11], -v[12:13]
	v_add_f64_e32 v[6:7], v[8:9], v[6:7]
	v_add_f64_e32 v[8:9], v[18:19], v[20:21]
	v_fma_f64 v[10:11], v[24:25], v[14:15], v[26:27]
	v_fma_f64 v[12:13], v[22:23], v[14:15], -v[16:17]
	s_delay_alu instid0(VALU_DEP_4) | instskip(NEXT) | instid1(VALU_DEP_4)
	v_add_f64_e32 v[1:2], v[6:7], v[1:2]
	v_add_f64_e32 v[3:4], v[8:9], v[4:5]
	s_delay_alu instid0(VALU_DEP_2) | instskip(NEXT) | instid1(VALU_DEP_2)
	v_add_f64_e32 v[1:2], v[1:2], v[12:13]
	v_add_f64_e32 v[3:4], v[3:4], v[10:11]
	s_delay_alu instid0(VALU_DEP_2) | instskip(NEXT) | instid1(VALU_DEP_2)
	v_add_f64_e64 v[1:2], v[163:164], -v[1:2]
	v_add_f64_e64 v[3:4], v[165:166], -v[3:4]
	scratch_store_b128 off, v[1:4], off offset:64
	v_cmpx_lt_u32_e32 2, v0
	s_cbranch_execz .LBB57_357
; %bb.356:
	scratch_load_b128 v[1:4], off, s52
	v_mov_b32_e32 v5, 0
	s_delay_alu instid0(VALU_DEP_1)
	v_dual_mov_b32 v6, v5 :: v_dual_mov_b32 v7, v5
	v_mov_b32_e32 v8, v5
	scratch_store_b128 off, v[5:8], off offset:48
	s_wait_loadcnt 0x0
	ds_store_b128 v162, v[1:4]
.LBB57_357:
	s_wait_alu 0xfffe
	s_or_b32 exec_lo, exec_lo, s0
	s_wait_storecnt_dscnt 0x0
	s_barrier_signal -1
	s_barrier_wait -1
	global_inv scope:SCOPE_SE
	s_clause 0x7
	scratch_load_b128 v[2:5], off, off offset:64
	scratch_load_b128 v[6:9], off, off offset:80
	;; [unrolled: 1-line block ×8, first 2 shown]
	v_mov_b32_e32 v1, 0
	s_mov_b32 s0, exec_lo
	ds_load_b128 v[38:41], v1 offset:976
	s_clause 0x1
	scratch_load_b128 v[34:37], off, off offset:192
	scratch_load_b128 v[42:45], off, off offset:48
	ds_load_b128 v[163:166], v1 offset:992
	scratch_load_b128 v[167:170], off, off offset:208
	s_wait_loadcnt_dscnt 0xa01
	v_mul_f64_e32 v[171:172], v[40:41], v[4:5]
	v_mul_f64_e32 v[4:5], v[38:39], v[4:5]
	s_delay_alu instid0(VALU_DEP_2) | instskip(NEXT) | instid1(VALU_DEP_2)
	v_fma_f64 v[177:178], v[38:39], v[2:3], -v[171:172]
	v_fma_f64 v[179:180], v[40:41], v[2:3], v[4:5]
	ds_load_b128 v[2:5], v1 offset:1008
	s_wait_loadcnt_dscnt 0x901
	v_mul_f64_e32 v[175:176], v[163:164], v[8:9]
	v_mul_f64_e32 v[8:9], v[165:166], v[8:9]
	scratch_load_b128 v[38:41], off, off offset:224
	ds_load_b128 v[171:174], v1 offset:1024
	s_wait_loadcnt_dscnt 0x901
	v_mul_f64_e32 v[181:182], v[2:3], v[12:13]
	v_mul_f64_e32 v[12:13], v[4:5], v[12:13]
	v_fma_f64 v[165:166], v[165:166], v[6:7], v[175:176]
	v_fma_f64 v[163:164], v[163:164], v[6:7], -v[8:9]
	v_add_f64_e32 v[175:176], 0, v[177:178]
	v_add_f64_e32 v[177:178], 0, v[179:180]
	scratch_load_b128 v[6:9], off, off offset:240
	v_fma_f64 v[181:182], v[4:5], v[10:11], v[181:182]
	v_fma_f64 v[183:184], v[2:3], v[10:11], -v[12:13]
	ds_load_b128 v[2:5], v1 offset:1040
	s_wait_loadcnt_dscnt 0x901
	v_mul_f64_e32 v[179:180], v[171:172], v[16:17]
	v_mul_f64_e32 v[16:17], v[173:174], v[16:17]
	scratch_load_b128 v[10:13], off, off offset:256
	v_add_f64_e32 v[175:176], v[175:176], v[163:164]
	v_add_f64_e32 v[177:178], v[177:178], v[165:166]
	s_wait_loadcnt_dscnt 0x900
	v_mul_f64_e32 v[185:186], v[2:3], v[20:21]
	v_mul_f64_e32 v[20:21], v[4:5], v[20:21]
	ds_load_b128 v[163:166], v1 offset:1056
	v_fma_f64 v[173:174], v[173:174], v[14:15], v[179:180]
	v_fma_f64 v[171:172], v[171:172], v[14:15], -v[16:17]
	scratch_load_b128 v[14:17], off, off offset:272
	v_add_f64_e32 v[175:176], v[175:176], v[183:184]
	v_add_f64_e32 v[177:178], v[177:178], v[181:182]
	v_fma_f64 v[181:182], v[4:5], v[18:19], v[185:186]
	v_fma_f64 v[183:184], v[2:3], v[18:19], -v[20:21]
	ds_load_b128 v[2:5], v1 offset:1072
	s_wait_loadcnt_dscnt 0x901
	v_mul_f64_e32 v[179:180], v[163:164], v[24:25]
	v_mul_f64_e32 v[24:25], v[165:166], v[24:25]
	scratch_load_b128 v[18:21], off, off offset:288
	s_wait_loadcnt_dscnt 0x900
	v_mul_f64_e32 v[185:186], v[2:3], v[28:29]
	v_mul_f64_e32 v[28:29], v[4:5], v[28:29]
	v_add_f64_e32 v[175:176], v[175:176], v[171:172]
	v_add_f64_e32 v[177:178], v[177:178], v[173:174]
	ds_load_b128 v[171:174], v1 offset:1088
	v_fma_f64 v[165:166], v[165:166], v[22:23], v[179:180]
	v_fma_f64 v[163:164], v[163:164], v[22:23], -v[24:25]
	scratch_load_b128 v[22:25], off, off offset:304
	v_add_f64_e32 v[175:176], v[175:176], v[183:184]
	v_add_f64_e32 v[177:178], v[177:178], v[181:182]
	v_fma_f64 v[181:182], v[4:5], v[26:27], v[185:186]
	v_fma_f64 v[183:184], v[2:3], v[26:27], -v[28:29]
	ds_load_b128 v[2:5], v1 offset:1104
	s_wait_loadcnt_dscnt 0x901
	v_mul_f64_e32 v[179:180], v[171:172], v[32:33]
	v_mul_f64_e32 v[32:33], v[173:174], v[32:33]
	scratch_load_b128 v[26:29], off, off offset:320
	s_wait_loadcnt_dscnt 0x900
	v_mul_f64_e32 v[185:186], v[2:3], v[36:37]
	v_mul_f64_e32 v[36:37], v[4:5], v[36:37]
	v_add_f64_e32 v[175:176], v[175:176], v[163:164]
	v_add_f64_e32 v[177:178], v[177:178], v[165:166]
	ds_load_b128 v[163:166], v1 offset:1120
	v_fma_f64 v[173:174], v[173:174], v[30:31], v[179:180]
	v_fma_f64 v[171:172], v[171:172], v[30:31], -v[32:33]
	scratch_load_b128 v[30:33], off, off offset:336
	v_add_f64_e32 v[175:176], v[175:176], v[183:184]
	v_add_f64_e32 v[177:178], v[177:178], v[181:182]
	v_fma_f64 v[183:184], v[4:5], v[34:35], v[185:186]
	v_fma_f64 v[185:186], v[2:3], v[34:35], -v[36:37]
	ds_load_b128 v[2:5], v1 offset:1136
	s_wait_loadcnt_dscnt 0x801
	v_mul_f64_e32 v[179:180], v[163:164], v[169:170]
	v_mul_f64_e32 v[181:182], v[165:166], v[169:170]
	scratch_load_b128 v[34:37], off, off offset:352
	v_add_f64_e32 v[175:176], v[175:176], v[171:172]
	v_add_f64_e32 v[173:174], v[177:178], v[173:174]
	ds_load_b128 v[169:172], v1 offset:1152
	v_fma_f64 v[179:180], v[165:166], v[167:168], v[179:180]
	v_fma_f64 v[167:168], v[163:164], v[167:168], -v[181:182]
	scratch_load_b128 v[163:166], off, off offset:368
	s_wait_loadcnt_dscnt 0x901
	v_mul_f64_e32 v[177:178], v[2:3], v[40:41]
	v_mul_f64_e32 v[40:41], v[4:5], v[40:41]
	v_add_f64_e32 v[175:176], v[175:176], v[185:186]
	v_add_f64_e32 v[173:174], v[173:174], v[183:184]
	s_delay_alu instid0(VALU_DEP_4) | instskip(NEXT) | instid1(VALU_DEP_4)
	v_fma_f64 v[177:178], v[4:5], v[38:39], v[177:178]
	v_fma_f64 v[183:184], v[2:3], v[38:39], -v[40:41]
	ds_load_b128 v[2:5], v1 offset:1168
	s_wait_loadcnt_dscnt 0x801
	v_mul_f64_e32 v[181:182], v[169:170], v[8:9]
	v_mul_f64_e32 v[8:9], v[171:172], v[8:9]
	scratch_load_b128 v[38:41], off, off offset:384
	s_wait_loadcnt_dscnt 0x800
	v_mul_f64_e32 v[185:186], v[2:3], v[12:13]
	v_add_f64_e32 v[167:168], v[175:176], v[167:168]
	v_add_f64_e32 v[179:180], v[173:174], v[179:180]
	v_mul_f64_e32 v[12:13], v[4:5], v[12:13]
	ds_load_b128 v[173:176], v1 offset:1184
	v_fma_f64 v[171:172], v[171:172], v[6:7], v[181:182]
	v_fma_f64 v[169:170], v[169:170], v[6:7], -v[8:9]
	scratch_load_b128 v[6:9], off, off offset:400
	v_fma_f64 v[181:182], v[4:5], v[10:11], v[185:186]
	v_add_f64_e32 v[167:168], v[167:168], v[183:184]
	v_add_f64_e32 v[177:178], v[179:180], v[177:178]
	v_fma_f64 v[183:184], v[2:3], v[10:11], -v[12:13]
	ds_load_b128 v[2:5], v1 offset:1200
	s_wait_loadcnt_dscnt 0x801
	v_mul_f64_e32 v[179:180], v[173:174], v[16:17]
	v_mul_f64_e32 v[16:17], v[175:176], v[16:17]
	scratch_load_b128 v[10:13], off, off offset:416
	v_add_f64_e32 v[185:186], v[167:168], v[169:170]
	v_add_f64_e32 v[171:172], v[177:178], v[171:172]
	s_wait_loadcnt_dscnt 0x800
	v_mul_f64_e32 v[177:178], v[2:3], v[20:21]
	v_mul_f64_e32 v[20:21], v[4:5], v[20:21]
	v_fma_f64 v[175:176], v[175:176], v[14:15], v[179:180]
	v_fma_f64 v[173:174], v[173:174], v[14:15], -v[16:17]
	ds_load_b128 v[167:170], v1 offset:1216
	scratch_load_b128 v[14:17], off, off offset:432
	v_add_f64_e32 v[179:180], v[185:186], v[183:184]
	v_add_f64_e32 v[171:172], v[171:172], v[181:182]
	v_fma_f64 v[177:178], v[4:5], v[18:19], v[177:178]
	v_fma_f64 v[183:184], v[2:3], v[18:19], -v[20:21]
	ds_load_b128 v[2:5], v1 offset:1232
	s_wait_loadcnt_dscnt 0x801
	v_mul_f64_e32 v[181:182], v[167:168], v[24:25]
	v_mul_f64_e32 v[24:25], v[169:170], v[24:25]
	scratch_load_b128 v[18:21], off, off offset:448
	s_wait_loadcnt_dscnt 0x800
	v_mul_f64_e32 v[185:186], v[2:3], v[28:29]
	v_mul_f64_e32 v[28:29], v[4:5], v[28:29]
	v_add_f64_e32 v[179:180], v[179:180], v[173:174]
	v_add_f64_e32 v[175:176], v[171:172], v[175:176]
	ds_load_b128 v[171:174], v1 offset:1248
	v_fma_f64 v[169:170], v[169:170], v[22:23], v[181:182]
	v_fma_f64 v[167:168], v[167:168], v[22:23], -v[24:25]
	scratch_load_b128 v[22:25], off, off offset:464
	v_fma_f64 v[181:182], v[4:5], v[26:27], v[185:186]
	v_add_f64_e32 v[179:180], v[179:180], v[183:184]
	v_add_f64_e32 v[175:176], v[175:176], v[177:178]
	v_fma_f64 v[183:184], v[2:3], v[26:27], -v[28:29]
	ds_load_b128 v[2:5], v1 offset:1264
	s_wait_loadcnt_dscnt 0x801
	v_mul_f64_e32 v[177:178], v[171:172], v[32:33]
	v_mul_f64_e32 v[32:33], v[173:174], v[32:33]
	scratch_load_b128 v[26:29], off, off offset:480
	s_wait_loadcnt_dscnt 0x800
	v_mul_f64_e32 v[185:186], v[2:3], v[36:37]
	v_mul_f64_e32 v[36:37], v[4:5], v[36:37]
	v_add_f64_e32 v[179:180], v[179:180], v[167:168]
	v_add_f64_e32 v[175:176], v[175:176], v[169:170]
	ds_load_b128 v[167:170], v1 offset:1280
	v_fma_f64 v[173:174], v[173:174], v[30:31], v[177:178]
	v_fma_f64 v[171:172], v[171:172], v[30:31], -v[32:33]
	scratch_load_b128 v[30:33], off, off offset:496
	v_add_f64_e32 v[177:178], v[179:180], v[183:184]
	v_add_f64_e32 v[175:176], v[175:176], v[181:182]
	v_fma_f64 v[181:182], v[4:5], v[34:35], v[185:186]
	v_fma_f64 v[183:184], v[2:3], v[34:35], -v[36:37]
	ds_load_b128 v[2:5], v1 offset:1296
	s_wait_loadcnt_dscnt 0x801
	v_mul_f64_e32 v[179:180], v[167:168], v[165:166]
	v_mul_f64_e32 v[165:166], v[169:170], v[165:166]
	scratch_load_b128 v[34:37], off, off offset:512
	s_wait_loadcnt_dscnt 0x800
	v_mul_f64_e32 v[185:186], v[2:3], v[40:41]
	v_mul_f64_e32 v[40:41], v[4:5], v[40:41]
	v_add_f64_e32 v[177:178], v[177:178], v[171:172]
	v_add_f64_e32 v[175:176], v[175:176], v[173:174]
	ds_load_b128 v[171:174], v1 offset:1312
	v_fma_f64 v[169:170], v[169:170], v[163:164], v[179:180]
	v_fma_f64 v[167:168], v[167:168], v[163:164], -v[165:166]
	scratch_load_b128 v[163:166], off, off offset:528
	v_add_f64_e32 v[177:178], v[177:178], v[183:184]
	v_add_f64_e32 v[175:176], v[175:176], v[181:182]
	v_fma_f64 v[181:182], v[4:5], v[38:39], v[185:186]
	;; [unrolled: 18-line block ×6, first 2 shown]
	v_fma_f64 v[185:186], v[2:3], v[34:35], -v[36:37]
	ds_load_b128 v[2:5], v1 offset:1456
	s_wait_loadcnt_dscnt 0x801
	v_mul_f64_e32 v[179:180], v[171:172], v[165:166]
	v_mul_f64_e32 v[181:182], v[173:174], v[165:166]
	scratch_load_b128 v[34:37], off, off offset:672
	v_add_f64_e32 v[177:178], v[177:178], v[167:168]
	v_add_f64_e32 v[169:170], v[175:176], v[169:170]
	s_wait_loadcnt_dscnt 0x800
	v_mul_f64_e32 v[175:176], v[2:3], v[40:41]
	v_mul_f64_e32 v[40:41], v[4:5], v[40:41]
	ds_load_b128 v[165:168], v1 offset:1472
	v_fma_f64 v[173:174], v[173:174], v[163:164], v[179:180]
	v_fma_f64 v[163:164], v[171:172], v[163:164], -v[181:182]
	v_add_f64_e32 v[177:178], v[177:178], v[185:186]
	v_add_f64_e32 v[179:180], v[169:170], v[183:184]
	scratch_load_b128 v[169:172], off, off offset:688
	v_fma_f64 v[183:184], v[4:5], v[38:39], v[175:176]
	v_fma_f64 v[185:186], v[2:3], v[38:39], -v[40:41]
	ds_load_b128 v[2:5], v1 offset:1488
	s_wait_loadcnt_dscnt 0x801
	v_mul_f64_e32 v[181:182], v[165:166], v[8:9]
	v_mul_f64_e32 v[8:9], v[167:168], v[8:9]
	scratch_load_b128 v[38:41], off, off offset:704
	v_add_f64_e32 v[163:164], v[177:178], v[163:164]
	v_add_f64_e32 v[177:178], v[179:180], v[173:174]
	s_wait_loadcnt_dscnt 0x800
	v_mul_f64_e32 v[179:180], v[2:3], v[12:13]
	v_mul_f64_e32 v[12:13], v[4:5], v[12:13]
	ds_load_b128 v[173:176], v1 offset:1504
	v_fma_f64 v[167:168], v[167:168], v[6:7], v[181:182]
	v_fma_f64 v[165:166], v[165:166], v[6:7], -v[8:9]
	scratch_load_b128 v[6:9], off, off offset:720
	v_add_f64_e32 v[163:164], v[163:164], v[185:186]
	v_add_f64_e32 v[177:178], v[177:178], v[183:184]
	v_fma_f64 v[179:180], v[4:5], v[10:11], v[179:180]
	v_fma_f64 v[183:184], v[2:3], v[10:11], -v[12:13]
	ds_load_b128 v[2:5], v1 offset:1520
	s_wait_loadcnt_dscnt 0x801
	v_mul_f64_e32 v[181:182], v[173:174], v[16:17]
	v_mul_f64_e32 v[16:17], v[175:176], v[16:17]
	scratch_load_b128 v[10:13], off, off offset:736
	v_add_f64_e32 v[185:186], v[163:164], v[165:166]
	v_add_f64_e32 v[167:168], v[177:178], v[167:168]
	s_wait_loadcnt_dscnt 0x800
	v_mul_f64_e32 v[177:178], v[2:3], v[20:21]
	v_mul_f64_e32 v[20:21], v[4:5], v[20:21]
	ds_load_b128 v[163:166], v1 offset:1536
	v_fma_f64 v[175:176], v[175:176], v[14:15], v[181:182]
	v_fma_f64 v[173:174], v[173:174], v[14:15], -v[16:17]
	scratch_load_b128 v[14:17], off, off offset:752
	v_add_f64_e32 v[181:182], v[185:186], v[183:184]
	v_add_f64_e32 v[167:168], v[167:168], v[179:180]
	v_fma_f64 v[177:178], v[4:5], v[18:19], v[177:178]
	v_fma_f64 v[183:184], v[2:3], v[18:19], -v[20:21]
	ds_load_b128 v[2:5], v1 offset:1552
	s_wait_loadcnt_dscnt 0x801
	v_mul_f64_e32 v[179:180], v[163:164], v[24:25]
	v_mul_f64_e32 v[24:25], v[165:166], v[24:25]
	scratch_load_b128 v[18:21], off, off offset:768
	s_wait_loadcnt_dscnt 0x800
	v_mul_f64_e32 v[185:186], v[2:3], v[28:29]
	v_mul_f64_e32 v[28:29], v[4:5], v[28:29]
	v_add_f64_e32 v[181:182], v[181:182], v[173:174]
	v_add_f64_e32 v[167:168], v[167:168], v[175:176]
	ds_load_b128 v[173:176], v1 offset:1568
	v_fma_f64 v[165:166], v[165:166], v[22:23], v[179:180]
	v_fma_f64 v[163:164], v[163:164], v[22:23], -v[24:25]
	scratch_load_b128 v[22:25], off, off offset:784
	v_add_f64_e32 v[179:180], v[181:182], v[183:184]
	v_add_f64_e32 v[167:168], v[167:168], v[177:178]
	v_fma_f64 v[181:182], v[4:5], v[26:27], v[185:186]
	v_fma_f64 v[183:184], v[2:3], v[26:27], -v[28:29]
	ds_load_b128 v[2:5], v1 offset:1584
	s_wait_loadcnt_dscnt 0x801
	v_mul_f64_e32 v[177:178], v[173:174], v[32:33]
	v_mul_f64_e32 v[32:33], v[175:176], v[32:33]
	scratch_load_b128 v[26:29], off, off offset:800
	s_wait_loadcnt_dscnt 0x800
	v_mul_f64_e32 v[185:186], v[2:3], v[36:37]
	v_mul_f64_e32 v[36:37], v[4:5], v[36:37]
	v_add_f64_e32 v[179:180], v[179:180], v[163:164]
	v_add_f64_e32 v[167:168], v[167:168], v[165:166]
	ds_load_b128 v[163:166], v1 offset:1600
	v_fma_f64 v[175:176], v[175:176], v[30:31], v[177:178]
	v_fma_f64 v[173:174], v[173:174], v[30:31], -v[32:33]
	scratch_load_b128 v[30:33], off, off offset:816
	v_add_f64_e32 v[177:178], v[179:180], v[183:184]
	v_add_f64_e32 v[167:168], v[167:168], v[181:182]
	v_fma_f64 v[183:184], v[4:5], v[34:35], v[185:186]
	v_fma_f64 v[185:186], v[2:3], v[34:35], -v[36:37]
	ds_load_b128 v[2:5], v1 offset:1616
	scratch_load_b128 v[34:37], off, off offset:832
	s_wait_loadcnt_dscnt 0x901
	v_mul_f64_e32 v[179:180], v[163:164], v[171:172]
	v_mul_f64_e32 v[181:182], v[165:166], v[171:172]
	v_add_f64_e32 v[177:178], v[177:178], v[173:174]
	v_add_f64_e32 v[167:168], v[167:168], v[175:176]
	s_wait_loadcnt_dscnt 0x800
	v_mul_f64_e32 v[175:176], v[2:3], v[40:41]
	v_mul_f64_e32 v[40:41], v[4:5], v[40:41]
	ds_load_b128 v[171:174], v1 offset:1632
	v_fma_f64 v[179:180], v[165:166], v[169:170], v[179:180]
	v_fma_f64 v[169:170], v[163:164], v[169:170], -v[181:182]
	scratch_load_b128 v[163:166], off, off offset:848
	v_add_f64_e32 v[177:178], v[177:178], v[185:186]
	v_add_f64_e32 v[167:168], v[167:168], v[183:184]
	v_fma_f64 v[175:176], v[4:5], v[38:39], v[175:176]
	v_fma_f64 v[183:184], v[2:3], v[38:39], -v[40:41]
	ds_load_b128 v[2:5], v1 offset:1648
	s_wait_loadcnt_dscnt 0x801
	v_mul_f64_e32 v[181:182], v[171:172], v[8:9]
	v_mul_f64_e32 v[8:9], v[173:174], v[8:9]
	scratch_load_b128 v[38:41], off, off offset:864
	s_wait_loadcnt_dscnt 0x800
	v_mul_f64_e32 v[185:186], v[2:3], v[12:13]
	v_mul_f64_e32 v[12:13], v[4:5], v[12:13]
	v_add_f64_e32 v[177:178], v[177:178], v[169:170]
	v_add_f64_e32 v[179:180], v[167:168], v[179:180]
	ds_load_b128 v[167:170], v1 offset:1664
	v_fma_f64 v[173:174], v[173:174], v[6:7], v[181:182]
	v_fma_f64 v[171:172], v[171:172], v[6:7], -v[8:9]
	scratch_load_b128 v[6:9], off, off offset:880
	v_fma_f64 v[181:182], v[4:5], v[10:11], v[185:186]
	v_add_f64_e32 v[177:178], v[177:178], v[183:184]
	v_add_f64_e32 v[175:176], v[179:180], v[175:176]
	v_fma_f64 v[183:184], v[2:3], v[10:11], -v[12:13]
	ds_load_b128 v[2:5], v1 offset:1680
	s_wait_loadcnt_dscnt 0x801
	v_mul_f64_e32 v[179:180], v[167:168], v[16:17]
	v_mul_f64_e32 v[16:17], v[169:170], v[16:17]
	scratch_load_b128 v[10:13], off, off offset:896
	s_wait_loadcnt_dscnt 0x800
	v_mul_f64_e32 v[185:186], v[2:3], v[20:21]
	v_mul_f64_e32 v[20:21], v[4:5], v[20:21]
	v_add_f64_e32 v[177:178], v[177:178], v[171:172]
	v_add_f64_e32 v[175:176], v[175:176], v[173:174]
	ds_load_b128 v[171:174], v1 offset:1696
	v_fma_f64 v[169:170], v[169:170], v[14:15], v[179:180]
	v_fma_f64 v[167:168], v[167:168], v[14:15], -v[16:17]
	scratch_load_b128 v[14:17], off, off offset:912
	v_add_f64_e32 v[177:178], v[177:178], v[183:184]
	v_add_f64_e32 v[175:176], v[175:176], v[181:182]
	v_fma_f64 v[181:182], v[4:5], v[18:19], v[185:186]
	v_fma_f64 v[183:184], v[2:3], v[18:19], -v[20:21]
	ds_load_b128 v[2:5], v1 offset:1712
	s_wait_loadcnt_dscnt 0x801
	v_mul_f64_e32 v[179:180], v[171:172], v[24:25]
	v_mul_f64_e32 v[24:25], v[173:174], v[24:25]
	scratch_load_b128 v[18:21], off, off offset:928
	s_wait_loadcnt_dscnt 0x800
	v_mul_f64_e32 v[185:186], v[2:3], v[28:29]
	v_mul_f64_e32 v[28:29], v[4:5], v[28:29]
	v_add_f64_e32 v[177:178], v[177:178], v[167:168]
	v_add_f64_e32 v[175:176], v[175:176], v[169:170]
	ds_load_b128 v[167:170], v1 offset:1728
	v_fma_f64 v[173:174], v[173:174], v[22:23], v[179:180]
	v_fma_f64 v[22:23], v[171:172], v[22:23], -v[24:25]
	v_add_f64_e32 v[24:25], v[177:178], v[183:184]
	v_add_f64_e32 v[171:172], v[175:176], v[181:182]
	s_wait_loadcnt_dscnt 0x700
	v_mul_f64_e32 v[175:176], v[167:168], v[32:33]
	v_mul_f64_e32 v[32:33], v[169:170], v[32:33]
	v_fma_f64 v[177:178], v[4:5], v[26:27], v[185:186]
	v_fma_f64 v[26:27], v[2:3], v[26:27], -v[28:29]
	v_add_f64_e32 v[28:29], v[24:25], v[22:23]
	v_add_f64_e32 v[171:172], v[171:172], v[173:174]
	ds_load_b128 v[2:5], v1 offset:1744
	ds_load_b128 v[22:25], v1 offset:1760
	v_fma_f64 v[169:170], v[169:170], v[30:31], v[175:176]
	v_fma_f64 v[30:31], v[167:168], v[30:31], -v[32:33]
	s_wait_loadcnt_dscnt 0x601
	v_mul_f64_e32 v[173:174], v[2:3], v[36:37]
	v_mul_f64_e32 v[36:37], v[4:5], v[36:37]
	s_wait_loadcnt_dscnt 0x500
	v_mul_f64_e32 v[32:33], v[22:23], v[165:166]
	v_mul_f64_e32 v[165:166], v[24:25], v[165:166]
	v_add_f64_e32 v[26:27], v[28:29], v[26:27]
	v_add_f64_e32 v[28:29], v[171:172], v[177:178]
	v_fma_f64 v[167:168], v[4:5], v[34:35], v[173:174]
	v_fma_f64 v[34:35], v[2:3], v[34:35], -v[36:37]
	v_fma_f64 v[24:25], v[24:25], v[163:164], v[32:33]
	v_fma_f64 v[22:23], v[22:23], v[163:164], -v[165:166]
	v_add_f64_e32 v[30:31], v[26:27], v[30:31]
	v_add_f64_e32 v[36:37], v[28:29], v[169:170]
	ds_load_b128 v[2:5], v1 offset:1776
	ds_load_b128 v[26:29], v1 offset:1792
	s_wait_loadcnt_dscnt 0x401
	v_mul_f64_e32 v[169:170], v[2:3], v[40:41]
	v_mul_f64_e32 v[40:41], v[4:5], v[40:41]
	v_add_f64_e32 v[30:31], v[30:31], v[34:35]
	v_add_f64_e32 v[32:33], v[36:37], v[167:168]
	s_wait_loadcnt_dscnt 0x300
	v_mul_f64_e32 v[34:35], v[26:27], v[8:9]
	v_mul_f64_e32 v[8:9], v[28:29], v[8:9]
	v_fma_f64 v[36:37], v[4:5], v[38:39], v[169:170]
	v_fma_f64 v[38:39], v[2:3], v[38:39], -v[40:41]
	v_add_f64_e32 v[30:31], v[30:31], v[22:23]
	v_add_f64_e32 v[32:33], v[32:33], v[24:25]
	ds_load_b128 v[2:5], v1 offset:1808
	ds_load_b128 v[22:25], v1 offset:1824
	v_fma_f64 v[28:29], v[28:29], v[6:7], v[34:35]
	v_fma_f64 v[6:7], v[26:27], v[6:7], -v[8:9]
	s_wait_loadcnt_dscnt 0x201
	v_mul_f64_e32 v[40:41], v[2:3], v[12:13]
	v_mul_f64_e32 v[12:13], v[4:5], v[12:13]
	v_add_f64_e32 v[8:9], v[30:31], v[38:39]
	v_add_f64_e32 v[26:27], v[32:33], v[36:37]
	s_wait_loadcnt_dscnt 0x100
	v_mul_f64_e32 v[30:31], v[22:23], v[16:17]
	v_mul_f64_e32 v[16:17], v[24:25], v[16:17]
	v_fma_f64 v[32:33], v[4:5], v[10:11], v[40:41]
	v_fma_f64 v[10:11], v[2:3], v[10:11], -v[12:13]
	ds_load_b128 v[2:5], v1 offset:1840
	v_add_f64_e32 v[6:7], v[8:9], v[6:7]
	v_add_f64_e32 v[8:9], v[26:27], v[28:29]
	v_fma_f64 v[24:25], v[24:25], v[14:15], v[30:31]
	v_fma_f64 v[14:15], v[22:23], v[14:15], -v[16:17]
	s_wait_loadcnt_dscnt 0x0
	v_mul_f64_e32 v[12:13], v[2:3], v[20:21]
	v_mul_f64_e32 v[20:21], v[4:5], v[20:21]
	v_add_f64_e32 v[6:7], v[6:7], v[10:11]
	v_add_f64_e32 v[8:9], v[8:9], v[32:33]
	s_delay_alu instid0(VALU_DEP_4) | instskip(NEXT) | instid1(VALU_DEP_4)
	v_fma_f64 v[4:5], v[4:5], v[18:19], v[12:13]
	v_fma_f64 v[2:3], v[2:3], v[18:19], -v[20:21]
	s_delay_alu instid0(VALU_DEP_4) | instskip(NEXT) | instid1(VALU_DEP_4)
	v_add_f64_e32 v[6:7], v[6:7], v[14:15]
	v_add_f64_e32 v[8:9], v[8:9], v[24:25]
	s_delay_alu instid0(VALU_DEP_2) | instskip(NEXT) | instid1(VALU_DEP_2)
	v_add_f64_e32 v[2:3], v[6:7], v[2:3]
	v_add_f64_e32 v[4:5], v[8:9], v[4:5]
	s_delay_alu instid0(VALU_DEP_2) | instskip(NEXT) | instid1(VALU_DEP_2)
	v_add_f64_e64 v[2:3], v[42:43], -v[2:3]
	v_add_f64_e64 v[4:5], v[44:45], -v[4:5]
	scratch_store_b128 off, v[2:5], off offset:48
	v_cmpx_lt_u32_e32 1, v0
	s_cbranch_execz .LBB57_359
; %bb.358:
	scratch_load_b128 v[5:8], off, s53
	v_dual_mov_b32 v2, v1 :: v_dual_mov_b32 v3, v1
	v_mov_b32_e32 v4, v1
	scratch_store_b128 off, v[1:4], off offset:32
	s_wait_loadcnt 0x0
	ds_store_b128 v162, v[5:8]
.LBB57_359:
	s_wait_alu 0xfffe
	s_or_b32 exec_lo, exec_lo, s0
	s_wait_storecnt_dscnt 0x0
	s_barrier_signal -1
	s_barrier_wait -1
	global_inv scope:SCOPE_SE
	s_clause 0x8
	scratch_load_b128 v[2:5], off, off offset:48
	scratch_load_b128 v[6:9], off, off offset:64
	;; [unrolled: 1-line block ×9, first 2 shown]
	ds_load_b128 v[42:45], v1 offset:960
	ds_load_b128 v[38:41], v1 offset:976
	s_clause 0x1
	scratch_load_b128 v[163:166], off, off offset:32
	scratch_load_b128 v[167:170], off, off offset:192
	s_mov_b32 s0, exec_lo
	s_wait_loadcnt_dscnt 0xa01
	v_mul_f64_e32 v[171:172], v[44:45], v[4:5]
	v_mul_f64_e32 v[4:5], v[42:43], v[4:5]
	s_wait_loadcnt_dscnt 0x900
	v_mul_f64_e32 v[175:176], v[38:39], v[8:9]
	v_mul_f64_e32 v[8:9], v[40:41], v[8:9]
	s_delay_alu instid0(VALU_DEP_4) | instskip(NEXT) | instid1(VALU_DEP_4)
	v_fma_f64 v[177:178], v[42:43], v[2:3], -v[171:172]
	v_fma_f64 v[179:180], v[44:45], v[2:3], v[4:5]
	ds_load_b128 v[2:5], v1 offset:992
	ds_load_b128 v[171:174], v1 offset:1008
	scratch_load_b128 v[42:45], off, off offset:208
	v_fma_f64 v[40:41], v[40:41], v[6:7], v[175:176]
	v_fma_f64 v[38:39], v[38:39], v[6:7], -v[8:9]
	scratch_load_b128 v[6:9], off, off offset:224
	s_wait_loadcnt_dscnt 0xa01
	v_mul_f64_e32 v[181:182], v[2:3], v[12:13]
	v_mul_f64_e32 v[12:13], v[4:5], v[12:13]
	v_add_f64_e32 v[175:176], 0, v[177:178]
	v_add_f64_e32 v[177:178], 0, v[179:180]
	s_wait_loadcnt_dscnt 0x900
	v_mul_f64_e32 v[179:180], v[171:172], v[16:17]
	v_mul_f64_e32 v[16:17], v[173:174], v[16:17]
	v_fma_f64 v[181:182], v[4:5], v[10:11], v[181:182]
	v_fma_f64 v[183:184], v[2:3], v[10:11], -v[12:13]
	ds_load_b128 v[2:5], v1 offset:1024
	scratch_load_b128 v[10:13], off, off offset:240
	v_add_f64_e32 v[175:176], v[175:176], v[38:39]
	v_add_f64_e32 v[177:178], v[177:178], v[40:41]
	ds_load_b128 v[38:41], v1 offset:1040
	v_fma_f64 v[173:174], v[173:174], v[14:15], v[179:180]
	v_fma_f64 v[171:172], v[171:172], v[14:15], -v[16:17]
	scratch_load_b128 v[14:17], off, off offset:256
	s_wait_loadcnt_dscnt 0xa01
	v_mul_f64_e32 v[185:186], v[2:3], v[20:21]
	v_mul_f64_e32 v[20:21], v[4:5], v[20:21]
	s_wait_loadcnt_dscnt 0x900
	v_mul_f64_e32 v[179:180], v[38:39], v[24:25]
	v_mul_f64_e32 v[24:25], v[40:41], v[24:25]
	v_add_f64_e32 v[175:176], v[175:176], v[183:184]
	v_add_f64_e32 v[177:178], v[177:178], v[181:182]
	v_fma_f64 v[181:182], v[4:5], v[18:19], v[185:186]
	v_fma_f64 v[183:184], v[2:3], v[18:19], -v[20:21]
	ds_load_b128 v[2:5], v1 offset:1056
	scratch_load_b128 v[18:21], off, off offset:272
	v_fma_f64 v[40:41], v[40:41], v[22:23], v[179:180]
	v_fma_f64 v[38:39], v[38:39], v[22:23], -v[24:25]
	scratch_load_b128 v[22:25], off, off offset:288
	v_add_f64_e32 v[175:176], v[175:176], v[171:172]
	v_add_f64_e32 v[177:178], v[177:178], v[173:174]
	ds_load_b128 v[171:174], v1 offset:1072
	s_wait_loadcnt_dscnt 0xa01
	v_mul_f64_e32 v[185:186], v[2:3], v[28:29]
	v_mul_f64_e32 v[28:29], v[4:5], v[28:29]
	s_wait_loadcnt_dscnt 0x900
	v_mul_f64_e32 v[179:180], v[171:172], v[32:33]
	v_mul_f64_e32 v[32:33], v[173:174], v[32:33]
	v_add_f64_e32 v[175:176], v[175:176], v[183:184]
	v_add_f64_e32 v[177:178], v[177:178], v[181:182]
	v_fma_f64 v[181:182], v[4:5], v[26:27], v[185:186]
	v_fma_f64 v[183:184], v[2:3], v[26:27], -v[28:29]
	ds_load_b128 v[2:5], v1 offset:1088
	scratch_load_b128 v[26:29], off, off offset:304
	v_fma_f64 v[173:174], v[173:174], v[30:31], v[179:180]
	v_fma_f64 v[171:172], v[171:172], v[30:31], -v[32:33]
	scratch_load_b128 v[30:33], off, off offset:320
	v_add_f64_e32 v[175:176], v[175:176], v[38:39]
	v_add_f64_e32 v[177:178], v[177:178], v[40:41]
	ds_load_b128 v[38:41], v1 offset:1104
	s_wait_loadcnt_dscnt 0xa01
	v_mul_f64_e32 v[185:186], v[2:3], v[36:37]
	v_mul_f64_e32 v[36:37], v[4:5], v[36:37]
	s_wait_loadcnt_dscnt 0x800
	v_mul_f64_e32 v[179:180], v[38:39], v[169:170]
	v_add_f64_e32 v[175:176], v[175:176], v[183:184]
	v_add_f64_e32 v[177:178], v[177:178], v[181:182]
	v_mul_f64_e32 v[181:182], v[40:41], v[169:170]
	v_fma_f64 v[183:184], v[4:5], v[34:35], v[185:186]
	v_fma_f64 v[185:186], v[2:3], v[34:35], -v[36:37]
	ds_load_b128 v[2:5], v1 offset:1120
	scratch_load_b128 v[34:37], off, off offset:336
	v_fma_f64 v[179:180], v[40:41], v[167:168], v[179:180]
	v_add_f64_e32 v[175:176], v[175:176], v[171:172]
	v_add_f64_e32 v[173:174], v[177:178], v[173:174]
	ds_load_b128 v[169:172], v1 offset:1136
	v_fma_f64 v[167:168], v[38:39], v[167:168], -v[181:182]
	scratch_load_b128 v[38:41], off, off offset:352
	s_wait_loadcnt_dscnt 0x901
	v_mul_f64_e32 v[177:178], v[2:3], v[44:45]
	v_mul_f64_e32 v[44:45], v[4:5], v[44:45]
	s_wait_loadcnt_dscnt 0x800
	v_mul_f64_e32 v[181:182], v[169:170], v[8:9]
	v_mul_f64_e32 v[8:9], v[171:172], v[8:9]
	v_add_f64_e32 v[175:176], v[175:176], v[185:186]
	v_add_f64_e32 v[173:174], v[173:174], v[183:184]
	v_fma_f64 v[177:178], v[4:5], v[42:43], v[177:178]
	v_fma_f64 v[183:184], v[2:3], v[42:43], -v[44:45]
	ds_load_b128 v[2:5], v1 offset:1152
	scratch_load_b128 v[42:45], off, off offset:368
	v_fma_f64 v[171:172], v[171:172], v[6:7], v[181:182]
	v_fma_f64 v[169:170], v[169:170], v[6:7], -v[8:9]
	scratch_load_b128 v[6:9], off, off offset:384
	v_add_f64_e32 v[167:168], v[175:176], v[167:168]
	v_add_f64_e32 v[179:180], v[173:174], v[179:180]
	ds_load_b128 v[173:176], v1 offset:1168
	s_wait_loadcnt_dscnt 0x901
	v_mul_f64_e32 v[185:186], v[2:3], v[12:13]
	v_mul_f64_e32 v[12:13], v[4:5], v[12:13]
	v_add_f64_e32 v[167:168], v[167:168], v[183:184]
	v_add_f64_e32 v[177:178], v[179:180], v[177:178]
	s_wait_loadcnt_dscnt 0x800
	v_mul_f64_e32 v[179:180], v[173:174], v[16:17]
	v_mul_f64_e32 v[16:17], v[175:176], v[16:17]
	v_fma_f64 v[181:182], v[4:5], v[10:11], v[185:186]
	v_fma_f64 v[183:184], v[2:3], v[10:11], -v[12:13]
	ds_load_b128 v[2:5], v1 offset:1184
	scratch_load_b128 v[10:13], off, off offset:400
	v_add_f64_e32 v[185:186], v[167:168], v[169:170]
	v_add_f64_e32 v[171:172], v[177:178], v[171:172]
	ds_load_b128 v[167:170], v1 offset:1200
	s_wait_loadcnt_dscnt 0x801
	v_mul_f64_e32 v[177:178], v[2:3], v[20:21]
	v_mul_f64_e32 v[20:21], v[4:5], v[20:21]
	v_fma_f64 v[175:176], v[175:176], v[14:15], v[179:180]
	v_fma_f64 v[173:174], v[173:174], v[14:15], -v[16:17]
	scratch_load_b128 v[14:17], off, off offset:416
	v_add_f64_e32 v[179:180], v[185:186], v[183:184]
	v_add_f64_e32 v[171:172], v[171:172], v[181:182]
	s_wait_loadcnt_dscnt 0x800
	v_mul_f64_e32 v[181:182], v[167:168], v[24:25]
	v_mul_f64_e32 v[24:25], v[169:170], v[24:25]
	v_fma_f64 v[177:178], v[4:5], v[18:19], v[177:178]
	v_fma_f64 v[183:184], v[2:3], v[18:19], -v[20:21]
	ds_load_b128 v[2:5], v1 offset:1216
	scratch_load_b128 v[18:21], off, off offset:432
	v_add_f64_e32 v[179:180], v[179:180], v[173:174]
	v_add_f64_e32 v[175:176], v[171:172], v[175:176]
	ds_load_b128 v[171:174], v1 offset:1232
	s_wait_loadcnt_dscnt 0x801
	v_mul_f64_e32 v[185:186], v[2:3], v[28:29]
	v_mul_f64_e32 v[28:29], v[4:5], v[28:29]
	v_fma_f64 v[169:170], v[169:170], v[22:23], v[181:182]
	v_fma_f64 v[167:168], v[167:168], v[22:23], -v[24:25]
	scratch_load_b128 v[22:25], off, off offset:448
	;; [unrolled: 18-line block ×4, first 2 shown]
	s_wait_loadcnt_dscnt 0x800
	v_mul_f64_e32 v[179:180], v[171:172], v[8:9]
	v_mul_f64_e32 v[8:9], v[173:174], v[8:9]
	v_add_f64_e32 v[177:178], v[177:178], v[183:184]
	v_add_f64_e32 v[175:176], v[175:176], v[181:182]
	v_fma_f64 v[181:182], v[4:5], v[42:43], v[185:186]
	v_fma_f64 v[183:184], v[2:3], v[42:43], -v[44:45]
	ds_load_b128 v[2:5], v1 offset:1312
	scratch_load_b128 v[42:45], off, off offset:528
	v_fma_f64 v[173:174], v[173:174], v[6:7], v[179:180]
	v_fma_f64 v[171:172], v[171:172], v[6:7], -v[8:9]
	scratch_load_b128 v[6:9], off, off offset:544
	v_add_f64_e32 v[177:178], v[177:178], v[167:168]
	v_add_f64_e32 v[175:176], v[175:176], v[169:170]
	ds_load_b128 v[167:170], v1 offset:1328
	s_wait_loadcnt_dscnt 0x901
	v_mul_f64_e32 v[185:186], v[2:3], v[12:13]
	v_mul_f64_e32 v[12:13], v[4:5], v[12:13]
	s_wait_loadcnt_dscnt 0x800
	v_mul_f64_e32 v[179:180], v[167:168], v[16:17]
	v_mul_f64_e32 v[16:17], v[169:170], v[16:17]
	v_add_f64_e32 v[177:178], v[177:178], v[183:184]
	v_add_f64_e32 v[175:176], v[175:176], v[181:182]
	v_fma_f64 v[181:182], v[4:5], v[10:11], v[185:186]
	v_fma_f64 v[183:184], v[2:3], v[10:11], -v[12:13]
	ds_load_b128 v[2:5], v1 offset:1344
	scratch_load_b128 v[10:13], off, off offset:560
	v_fma_f64 v[169:170], v[169:170], v[14:15], v[179:180]
	v_fma_f64 v[167:168], v[167:168], v[14:15], -v[16:17]
	scratch_load_b128 v[14:17], off, off offset:576
	v_add_f64_e32 v[177:178], v[177:178], v[171:172]
	v_add_f64_e32 v[175:176], v[175:176], v[173:174]
	ds_load_b128 v[171:174], v1 offset:1360
	s_wait_loadcnt_dscnt 0x901
	v_mul_f64_e32 v[185:186], v[2:3], v[20:21]
	v_mul_f64_e32 v[20:21], v[4:5], v[20:21]
	;; [unrolled: 18-line block ×13, first 2 shown]
	s_wait_loadcnt_dscnt 0x800
	v_mul_f64_e32 v[179:180], v[167:168], v[32:33]
	v_mul_f64_e32 v[32:33], v[169:170], v[32:33]
	v_add_f64_e32 v[177:178], v[177:178], v[183:184]
	v_add_f64_e32 v[175:176], v[175:176], v[181:182]
	v_fma_f64 v[181:182], v[4:5], v[26:27], v[185:186]
	v_fma_f64 v[183:184], v[2:3], v[26:27], -v[28:29]
	ds_load_b128 v[2:5], v1 offset:1728
	ds_load_b128 v[26:29], v1 offset:1744
	v_fma_f64 v[169:170], v[169:170], v[30:31], v[179:180]
	v_fma_f64 v[30:31], v[167:168], v[30:31], -v[32:33]
	v_add_f64_e32 v[171:172], v[177:178], v[171:172]
	v_add_f64_e32 v[173:174], v[175:176], v[173:174]
	s_wait_loadcnt_dscnt 0x701
	v_mul_f64_e32 v[175:176], v[2:3], v[36:37]
	v_mul_f64_e32 v[36:37], v[4:5], v[36:37]
	s_delay_alu instid0(VALU_DEP_4) | instskip(NEXT) | instid1(VALU_DEP_4)
	v_add_f64_e32 v[32:33], v[171:172], v[183:184]
	v_add_f64_e32 v[167:168], v[173:174], v[181:182]
	s_wait_loadcnt_dscnt 0x600
	v_mul_f64_e32 v[171:172], v[26:27], v[40:41]
	v_mul_f64_e32 v[40:41], v[28:29], v[40:41]
	v_fma_f64 v[173:174], v[4:5], v[34:35], v[175:176]
	v_fma_f64 v[34:35], v[2:3], v[34:35], -v[36:37]
	v_add_f64_e32 v[36:37], v[32:33], v[30:31]
	v_add_f64_e32 v[167:168], v[167:168], v[169:170]
	ds_load_b128 v[2:5], v1 offset:1760
	ds_load_b128 v[30:33], v1 offset:1776
	v_fma_f64 v[28:29], v[28:29], v[38:39], v[171:172]
	v_fma_f64 v[26:27], v[26:27], v[38:39], -v[40:41]
	s_wait_loadcnt_dscnt 0x501
	v_mul_f64_e32 v[169:170], v[2:3], v[44:45]
	v_mul_f64_e32 v[44:45], v[4:5], v[44:45]
	s_wait_loadcnt_dscnt 0x400
	v_mul_f64_e32 v[38:39], v[30:31], v[8:9]
	v_mul_f64_e32 v[8:9], v[32:33], v[8:9]
	v_add_f64_e32 v[34:35], v[36:37], v[34:35]
	v_add_f64_e32 v[36:37], v[167:168], v[173:174]
	v_fma_f64 v[40:41], v[4:5], v[42:43], v[169:170]
	v_fma_f64 v[42:43], v[2:3], v[42:43], -v[44:45]
	v_fma_f64 v[32:33], v[32:33], v[6:7], v[38:39]
	v_fma_f64 v[6:7], v[30:31], v[6:7], -v[8:9]
	v_add_f64_e32 v[34:35], v[34:35], v[26:27]
	v_add_f64_e32 v[36:37], v[36:37], v[28:29]
	ds_load_b128 v[2:5], v1 offset:1792
	ds_load_b128 v[26:29], v1 offset:1808
	s_wait_loadcnt_dscnt 0x301
	v_mul_f64_e32 v[44:45], v[2:3], v[12:13]
	v_mul_f64_e32 v[12:13], v[4:5], v[12:13]
	v_add_f64_e32 v[8:9], v[34:35], v[42:43]
	v_add_f64_e32 v[30:31], v[36:37], v[40:41]
	s_wait_loadcnt_dscnt 0x200
	v_mul_f64_e32 v[34:35], v[26:27], v[16:17]
	v_mul_f64_e32 v[16:17], v[28:29], v[16:17]
	v_fma_f64 v[36:37], v[4:5], v[10:11], v[44:45]
	v_fma_f64 v[10:11], v[2:3], v[10:11], -v[12:13]
	v_add_f64_e32 v[12:13], v[8:9], v[6:7]
	v_add_f64_e32 v[30:31], v[30:31], v[32:33]
	ds_load_b128 v[2:5], v1 offset:1824
	ds_load_b128 v[6:9], v1 offset:1840
	v_fma_f64 v[28:29], v[28:29], v[14:15], v[34:35]
	v_fma_f64 v[14:15], v[26:27], v[14:15], -v[16:17]
	s_wait_loadcnt_dscnt 0x101
	v_mul_f64_e32 v[32:33], v[2:3], v[20:21]
	v_mul_f64_e32 v[20:21], v[4:5], v[20:21]
	s_wait_loadcnt_dscnt 0x0
	v_mul_f64_e32 v[16:17], v[6:7], v[24:25]
	v_mul_f64_e32 v[24:25], v[8:9], v[24:25]
	v_add_f64_e32 v[10:11], v[12:13], v[10:11]
	v_add_f64_e32 v[12:13], v[30:31], v[36:37]
	v_fma_f64 v[4:5], v[4:5], v[18:19], v[32:33]
	v_fma_f64 v[1:2], v[2:3], v[18:19], -v[20:21]
	v_fma_f64 v[8:9], v[8:9], v[22:23], v[16:17]
	v_fma_f64 v[6:7], v[6:7], v[22:23], -v[24:25]
	v_add_f64_e32 v[10:11], v[10:11], v[14:15]
	v_add_f64_e32 v[12:13], v[12:13], v[28:29]
	s_delay_alu instid0(VALU_DEP_2) | instskip(NEXT) | instid1(VALU_DEP_2)
	v_add_f64_e32 v[1:2], v[10:11], v[1:2]
	v_add_f64_e32 v[3:4], v[12:13], v[4:5]
	s_delay_alu instid0(VALU_DEP_2) | instskip(NEXT) | instid1(VALU_DEP_2)
	v_add_f64_e32 v[1:2], v[1:2], v[6:7]
	v_add_f64_e32 v[3:4], v[3:4], v[8:9]
	s_delay_alu instid0(VALU_DEP_2) | instskip(NEXT) | instid1(VALU_DEP_2)
	v_add_f64_e64 v[1:2], v[163:164], -v[1:2]
	v_add_f64_e64 v[3:4], v[165:166], -v[3:4]
	scratch_store_b128 off, v[1:4], off offset:32
	v_cmpx_ne_u32_e32 0, v0
	s_cbranch_execz .LBB57_361
; %bb.360:
	scratch_load_b128 v[0:3], off, off offset:16
	v_mov_b32_e32 v4, 0
	s_delay_alu instid0(VALU_DEP_1)
	v_dual_mov_b32 v5, v4 :: v_dual_mov_b32 v6, v4
	v_mov_b32_e32 v7, v4
	scratch_store_b128 off, v[4:7], off offset:16
	s_wait_loadcnt 0x0
	ds_store_b128 v162, v[0:3]
.LBB57_361:
	s_wait_alu 0xfffe
	s_or_b32 exec_lo, exec_lo, s0
	s_wait_storecnt_dscnt 0x0
	s_barrier_signal -1
	s_barrier_wait -1
	global_inv scope:SCOPE_SE
	s_clause 0x7
	scratch_load_b128 v[0:3], off, off offset:32
	scratch_load_b128 v[4:7], off, off offset:48
	;; [unrolled: 1-line block ×8, first 2 shown]
	v_mov_b32_e32 v40, 0
	s_and_b32 vcc_lo, exec_lo, s18
	ds_load_b128 v[36:39], v40 offset:944
	s_clause 0x1
	scratch_load_b128 v[32:35], off, off offset:160
	scratch_load_b128 v[41:44], off, off offset:16
	ds_load_b128 v[162:165], v40 offset:960
	scratch_load_b128 v[166:169], off, off offset:176
	s_wait_loadcnt_dscnt 0xa01
	v_mul_f64_e32 v[170:171], v[38:39], v[2:3]
	v_mul_f64_e32 v[2:3], v[36:37], v[2:3]
	s_delay_alu instid0(VALU_DEP_2) | instskip(NEXT) | instid1(VALU_DEP_2)
	v_fma_f64 v[176:177], v[36:37], v[0:1], -v[170:171]
	v_fma_f64 v[178:179], v[38:39], v[0:1], v[2:3]
	ds_load_b128 v[0:3], v40 offset:976
	s_wait_loadcnt_dscnt 0x901
	v_mul_f64_e32 v[174:175], v[162:163], v[6:7]
	v_mul_f64_e32 v[6:7], v[164:165], v[6:7]
	scratch_load_b128 v[36:39], off, off offset:192
	ds_load_b128 v[170:173], v40 offset:992
	s_wait_loadcnt_dscnt 0x901
	v_mul_f64_e32 v[180:181], v[0:1], v[10:11]
	v_mul_f64_e32 v[10:11], v[2:3], v[10:11]
	v_fma_f64 v[164:165], v[164:165], v[4:5], v[174:175]
	v_fma_f64 v[162:163], v[162:163], v[4:5], -v[6:7]
	v_add_f64_e32 v[174:175], 0, v[176:177]
	v_add_f64_e32 v[176:177], 0, v[178:179]
	scratch_load_b128 v[4:7], off, off offset:208
	v_fma_f64 v[180:181], v[2:3], v[8:9], v[180:181]
	v_fma_f64 v[182:183], v[0:1], v[8:9], -v[10:11]
	ds_load_b128 v[0:3], v40 offset:1008
	s_wait_loadcnt_dscnt 0x901
	v_mul_f64_e32 v[178:179], v[170:171], v[14:15]
	v_mul_f64_e32 v[14:15], v[172:173], v[14:15]
	scratch_load_b128 v[8:11], off, off offset:224
	v_add_f64_e32 v[174:175], v[174:175], v[162:163]
	v_add_f64_e32 v[176:177], v[176:177], v[164:165]
	s_wait_loadcnt_dscnt 0x900
	v_mul_f64_e32 v[184:185], v[0:1], v[18:19]
	v_mul_f64_e32 v[18:19], v[2:3], v[18:19]
	ds_load_b128 v[162:165], v40 offset:1024
	v_fma_f64 v[172:173], v[172:173], v[12:13], v[178:179]
	v_fma_f64 v[170:171], v[170:171], v[12:13], -v[14:15]
	scratch_load_b128 v[12:15], off, off offset:240
	v_add_f64_e32 v[174:175], v[174:175], v[182:183]
	v_add_f64_e32 v[176:177], v[176:177], v[180:181]
	v_fma_f64 v[180:181], v[2:3], v[16:17], v[184:185]
	v_fma_f64 v[182:183], v[0:1], v[16:17], -v[18:19]
	ds_load_b128 v[0:3], v40 offset:1040
	s_wait_loadcnt_dscnt 0x901
	v_mul_f64_e32 v[178:179], v[162:163], v[22:23]
	v_mul_f64_e32 v[22:23], v[164:165], v[22:23]
	scratch_load_b128 v[16:19], off, off offset:256
	s_wait_loadcnt_dscnt 0x900
	v_mul_f64_e32 v[184:185], v[0:1], v[26:27]
	v_mul_f64_e32 v[26:27], v[2:3], v[26:27]
	v_add_f64_e32 v[174:175], v[174:175], v[170:171]
	v_add_f64_e32 v[176:177], v[176:177], v[172:173]
	ds_load_b128 v[170:173], v40 offset:1056
	v_fma_f64 v[164:165], v[164:165], v[20:21], v[178:179]
	v_fma_f64 v[162:163], v[162:163], v[20:21], -v[22:23]
	scratch_load_b128 v[20:23], off, off offset:272
	v_add_f64_e32 v[174:175], v[174:175], v[182:183]
	v_add_f64_e32 v[176:177], v[176:177], v[180:181]
	v_fma_f64 v[180:181], v[2:3], v[24:25], v[184:185]
	v_fma_f64 v[182:183], v[0:1], v[24:25], -v[26:27]
	ds_load_b128 v[0:3], v40 offset:1072
	s_wait_loadcnt_dscnt 0x901
	v_mul_f64_e32 v[178:179], v[170:171], v[30:31]
	v_mul_f64_e32 v[30:31], v[172:173], v[30:31]
	scratch_load_b128 v[24:27], off, off offset:288
	s_wait_loadcnt_dscnt 0x900
	v_mul_f64_e32 v[184:185], v[0:1], v[34:35]
	v_mul_f64_e32 v[34:35], v[2:3], v[34:35]
	v_add_f64_e32 v[174:175], v[174:175], v[162:163]
	v_add_f64_e32 v[176:177], v[176:177], v[164:165]
	ds_load_b128 v[162:165], v40 offset:1088
	v_fma_f64 v[172:173], v[172:173], v[28:29], v[178:179]
	v_fma_f64 v[170:171], v[170:171], v[28:29], -v[30:31]
	scratch_load_b128 v[28:31], off, off offset:304
	v_add_f64_e32 v[174:175], v[174:175], v[182:183]
	v_add_f64_e32 v[176:177], v[176:177], v[180:181]
	v_fma_f64 v[182:183], v[2:3], v[32:33], v[184:185]
	v_fma_f64 v[184:185], v[0:1], v[32:33], -v[34:35]
	ds_load_b128 v[0:3], v40 offset:1104
	s_wait_loadcnt_dscnt 0x801
	v_mul_f64_e32 v[178:179], v[162:163], v[168:169]
	v_mul_f64_e32 v[180:181], v[164:165], v[168:169]
	scratch_load_b128 v[32:35], off, off offset:320
	v_add_f64_e32 v[174:175], v[174:175], v[170:171]
	v_add_f64_e32 v[172:173], v[176:177], v[172:173]
	ds_load_b128 v[168:171], v40 offset:1120
	v_fma_f64 v[178:179], v[164:165], v[166:167], v[178:179]
	v_fma_f64 v[166:167], v[162:163], v[166:167], -v[180:181]
	scratch_load_b128 v[162:165], off, off offset:336
	s_wait_loadcnt_dscnt 0x901
	v_mul_f64_e32 v[176:177], v[0:1], v[38:39]
	v_mul_f64_e32 v[38:39], v[2:3], v[38:39]
	v_add_f64_e32 v[174:175], v[174:175], v[184:185]
	v_add_f64_e32 v[172:173], v[172:173], v[182:183]
	s_delay_alu instid0(VALU_DEP_4) | instskip(NEXT) | instid1(VALU_DEP_4)
	v_fma_f64 v[176:177], v[2:3], v[36:37], v[176:177]
	v_fma_f64 v[182:183], v[0:1], v[36:37], -v[38:39]
	ds_load_b128 v[0:3], v40 offset:1136
	s_wait_loadcnt_dscnt 0x801
	v_mul_f64_e32 v[180:181], v[168:169], v[6:7]
	v_mul_f64_e32 v[6:7], v[170:171], v[6:7]
	scratch_load_b128 v[36:39], off, off offset:352
	s_wait_loadcnt_dscnt 0x800
	v_mul_f64_e32 v[184:185], v[0:1], v[10:11]
	v_add_f64_e32 v[166:167], v[174:175], v[166:167]
	v_add_f64_e32 v[178:179], v[172:173], v[178:179]
	v_mul_f64_e32 v[10:11], v[2:3], v[10:11]
	ds_load_b128 v[172:175], v40 offset:1152
	v_fma_f64 v[170:171], v[170:171], v[4:5], v[180:181]
	v_fma_f64 v[168:169], v[168:169], v[4:5], -v[6:7]
	scratch_load_b128 v[4:7], off, off offset:368
	v_fma_f64 v[180:181], v[2:3], v[8:9], v[184:185]
	v_add_f64_e32 v[166:167], v[166:167], v[182:183]
	v_add_f64_e32 v[176:177], v[178:179], v[176:177]
	v_fma_f64 v[182:183], v[0:1], v[8:9], -v[10:11]
	ds_load_b128 v[0:3], v40 offset:1168
	s_wait_loadcnt_dscnt 0x801
	v_mul_f64_e32 v[178:179], v[172:173], v[14:15]
	v_mul_f64_e32 v[14:15], v[174:175], v[14:15]
	scratch_load_b128 v[8:11], off, off offset:384
	v_add_f64_e32 v[184:185], v[166:167], v[168:169]
	v_add_f64_e32 v[170:171], v[176:177], v[170:171]
	s_wait_loadcnt_dscnt 0x800
	v_mul_f64_e32 v[176:177], v[0:1], v[18:19]
	v_mul_f64_e32 v[18:19], v[2:3], v[18:19]
	v_fma_f64 v[174:175], v[174:175], v[12:13], v[178:179]
	v_fma_f64 v[172:173], v[172:173], v[12:13], -v[14:15]
	ds_load_b128 v[166:169], v40 offset:1184
	scratch_load_b128 v[12:15], off, off offset:400
	v_add_f64_e32 v[178:179], v[184:185], v[182:183]
	v_add_f64_e32 v[170:171], v[170:171], v[180:181]
	v_fma_f64 v[176:177], v[2:3], v[16:17], v[176:177]
	v_fma_f64 v[182:183], v[0:1], v[16:17], -v[18:19]
	ds_load_b128 v[0:3], v40 offset:1200
	s_wait_loadcnt_dscnt 0x801
	v_mul_f64_e32 v[180:181], v[166:167], v[22:23]
	v_mul_f64_e32 v[22:23], v[168:169], v[22:23]
	scratch_load_b128 v[16:19], off, off offset:416
	s_wait_loadcnt_dscnt 0x800
	v_mul_f64_e32 v[184:185], v[0:1], v[26:27]
	v_mul_f64_e32 v[26:27], v[2:3], v[26:27]
	v_add_f64_e32 v[178:179], v[178:179], v[172:173]
	v_add_f64_e32 v[174:175], v[170:171], v[174:175]
	ds_load_b128 v[170:173], v40 offset:1216
	v_fma_f64 v[168:169], v[168:169], v[20:21], v[180:181]
	v_fma_f64 v[166:167], v[166:167], v[20:21], -v[22:23]
	scratch_load_b128 v[20:23], off, off offset:432
	v_fma_f64 v[180:181], v[2:3], v[24:25], v[184:185]
	v_add_f64_e32 v[178:179], v[178:179], v[182:183]
	v_add_f64_e32 v[174:175], v[174:175], v[176:177]
	v_fma_f64 v[182:183], v[0:1], v[24:25], -v[26:27]
	ds_load_b128 v[0:3], v40 offset:1232
	s_wait_loadcnt_dscnt 0x801
	v_mul_f64_e32 v[176:177], v[170:171], v[30:31]
	v_mul_f64_e32 v[30:31], v[172:173], v[30:31]
	scratch_load_b128 v[24:27], off, off offset:448
	s_wait_loadcnt_dscnt 0x800
	v_mul_f64_e32 v[184:185], v[0:1], v[34:35]
	v_mul_f64_e32 v[34:35], v[2:3], v[34:35]
	v_add_f64_e32 v[178:179], v[178:179], v[166:167]
	v_add_f64_e32 v[174:175], v[174:175], v[168:169]
	ds_load_b128 v[166:169], v40 offset:1248
	v_fma_f64 v[172:173], v[172:173], v[28:29], v[176:177]
	v_fma_f64 v[170:171], v[170:171], v[28:29], -v[30:31]
	scratch_load_b128 v[28:31], off, off offset:464
	v_add_f64_e32 v[176:177], v[178:179], v[182:183]
	v_add_f64_e32 v[174:175], v[174:175], v[180:181]
	v_fma_f64 v[180:181], v[2:3], v[32:33], v[184:185]
	v_fma_f64 v[182:183], v[0:1], v[32:33], -v[34:35]
	ds_load_b128 v[0:3], v40 offset:1264
	s_wait_loadcnt_dscnt 0x801
	v_mul_f64_e32 v[178:179], v[166:167], v[164:165]
	v_mul_f64_e32 v[164:165], v[168:169], v[164:165]
	scratch_load_b128 v[32:35], off, off offset:480
	s_wait_loadcnt_dscnt 0x800
	v_mul_f64_e32 v[184:185], v[0:1], v[38:39]
	v_mul_f64_e32 v[38:39], v[2:3], v[38:39]
	v_add_f64_e32 v[176:177], v[176:177], v[170:171]
	v_add_f64_e32 v[174:175], v[174:175], v[172:173]
	ds_load_b128 v[170:173], v40 offset:1280
	v_fma_f64 v[168:169], v[168:169], v[162:163], v[178:179]
	v_fma_f64 v[166:167], v[166:167], v[162:163], -v[164:165]
	scratch_load_b128 v[162:165], off, off offset:496
	v_add_f64_e32 v[176:177], v[176:177], v[182:183]
	v_add_f64_e32 v[174:175], v[174:175], v[180:181]
	v_fma_f64 v[180:181], v[2:3], v[36:37], v[184:185]
	;; [unrolled: 18-line block ×6, first 2 shown]
	v_fma_f64 v[184:185], v[0:1], v[32:33], -v[34:35]
	ds_load_b128 v[0:3], v40 offset:1424
	s_wait_loadcnt_dscnt 0x801
	v_mul_f64_e32 v[178:179], v[170:171], v[164:165]
	v_mul_f64_e32 v[180:181], v[172:173], v[164:165]
	scratch_load_b128 v[32:35], off, off offset:640
	v_add_f64_e32 v[176:177], v[176:177], v[166:167]
	v_add_f64_e32 v[168:169], v[174:175], v[168:169]
	s_wait_loadcnt_dscnt 0x800
	v_mul_f64_e32 v[174:175], v[0:1], v[38:39]
	v_mul_f64_e32 v[38:39], v[2:3], v[38:39]
	ds_load_b128 v[164:167], v40 offset:1440
	v_fma_f64 v[172:173], v[172:173], v[162:163], v[178:179]
	v_fma_f64 v[162:163], v[170:171], v[162:163], -v[180:181]
	v_add_f64_e32 v[176:177], v[176:177], v[184:185]
	v_add_f64_e32 v[178:179], v[168:169], v[182:183]
	scratch_load_b128 v[168:171], off, off offset:656
	v_fma_f64 v[182:183], v[2:3], v[36:37], v[174:175]
	v_fma_f64 v[184:185], v[0:1], v[36:37], -v[38:39]
	ds_load_b128 v[0:3], v40 offset:1456
	s_wait_loadcnt_dscnt 0x801
	v_mul_f64_e32 v[180:181], v[164:165], v[6:7]
	v_mul_f64_e32 v[6:7], v[166:167], v[6:7]
	scratch_load_b128 v[36:39], off, off offset:672
	v_add_f64_e32 v[162:163], v[176:177], v[162:163]
	v_add_f64_e32 v[176:177], v[178:179], v[172:173]
	s_wait_loadcnt_dscnt 0x800
	v_mul_f64_e32 v[178:179], v[0:1], v[10:11]
	v_mul_f64_e32 v[10:11], v[2:3], v[10:11]
	ds_load_b128 v[172:175], v40 offset:1472
	v_fma_f64 v[166:167], v[166:167], v[4:5], v[180:181]
	v_fma_f64 v[164:165], v[164:165], v[4:5], -v[6:7]
	scratch_load_b128 v[4:7], off, off offset:688
	v_add_f64_e32 v[162:163], v[162:163], v[184:185]
	v_add_f64_e32 v[176:177], v[176:177], v[182:183]
	v_fma_f64 v[178:179], v[2:3], v[8:9], v[178:179]
	v_fma_f64 v[182:183], v[0:1], v[8:9], -v[10:11]
	ds_load_b128 v[0:3], v40 offset:1488
	s_wait_loadcnt_dscnt 0x801
	v_mul_f64_e32 v[180:181], v[172:173], v[14:15]
	v_mul_f64_e32 v[14:15], v[174:175], v[14:15]
	scratch_load_b128 v[8:11], off, off offset:704
	v_add_f64_e32 v[184:185], v[162:163], v[164:165]
	v_add_f64_e32 v[166:167], v[176:177], v[166:167]
	s_wait_loadcnt_dscnt 0x800
	v_mul_f64_e32 v[176:177], v[0:1], v[18:19]
	v_mul_f64_e32 v[18:19], v[2:3], v[18:19]
	ds_load_b128 v[162:165], v40 offset:1504
	v_fma_f64 v[174:175], v[174:175], v[12:13], v[180:181]
	v_fma_f64 v[172:173], v[172:173], v[12:13], -v[14:15]
	scratch_load_b128 v[12:15], off, off offset:720
	v_add_f64_e32 v[180:181], v[184:185], v[182:183]
	v_add_f64_e32 v[166:167], v[166:167], v[178:179]
	v_fma_f64 v[176:177], v[2:3], v[16:17], v[176:177]
	v_fma_f64 v[182:183], v[0:1], v[16:17], -v[18:19]
	ds_load_b128 v[0:3], v40 offset:1520
	s_wait_loadcnt_dscnt 0x801
	v_mul_f64_e32 v[178:179], v[162:163], v[22:23]
	v_mul_f64_e32 v[22:23], v[164:165], v[22:23]
	scratch_load_b128 v[16:19], off, off offset:736
	s_wait_loadcnt_dscnt 0x800
	v_mul_f64_e32 v[184:185], v[0:1], v[26:27]
	v_mul_f64_e32 v[26:27], v[2:3], v[26:27]
	v_add_f64_e32 v[180:181], v[180:181], v[172:173]
	v_add_f64_e32 v[166:167], v[166:167], v[174:175]
	ds_load_b128 v[172:175], v40 offset:1536
	v_fma_f64 v[164:165], v[164:165], v[20:21], v[178:179]
	v_fma_f64 v[162:163], v[162:163], v[20:21], -v[22:23]
	scratch_load_b128 v[20:23], off, off offset:752
	v_add_f64_e32 v[178:179], v[180:181], v[182:183]
	v_add_f64_e32 v[166:167], v[166:167], v[176:177]
	v_fma_f64 v[180:181], v[2:3], v[24:25], v[184:185]
	v_fma_f64 v[182:183], v[0:1], v[24:25], -v[26:27]
	ds_load_b128 v[0:3], v40 offset:1552
	s_wait_loadcnt_dscnt 0x801
	v_mul_f64_e32 v[176:177], v[172:173], v[30:31]
	v_mul_f64_e32 v[30:31], v[174:175], v[30:31]
	scratch_load_b128 v[24:27], off, off offset:768
	s_wait_loadcnt_dscnt 0x800
	v_mul_f64_e32 v[184:185], v[0:1], v[34:35]
	v_mul_f64_e32 v[34:35], v[2:3], v[34:35]
	v_add_f64_e32 v[178:179], v[178:179], v[162:163]
	v_add_f64_e32 v[166:167], v[166:167], v[164:165]
	ds_load_b128 v[162:165], v40 offset:1568
	v_fma_f64 v[174:175], v[174:175], v[28:29], v[176:177]
	v_fma_f64 v[172:173], v[172:173], v[28:29], -v[30:31]
	scratch_load_b128 v[28:31], off, off offset:784
	v_add_f64_e32 v[176:177], v[178:179], v[182:183]
	v_add_f64_e32 v[166:167], v[166:167], v[180:181]
	v_fma_f64 v[182:183], v[2:3], v[32:33], v[184:185]
	v_fma_f64 v[184:185], v[0:1], v[32:33], -v[34:35]
	ds_load_b128 v[0:3], v40 offset:1584
	scratch_load_b128 v[32:35], off, off offset:800
	s_wait_loadcnt_dscnt 0x901
	v_mul_f64_e32 v[178:179], v[162:163], v[170:171]
	v_mul_f64_e32 v[180:181], v[164:165], v[170:171]
	v_add_f64_e32 v[176:177], v[176:177], v[172:173]
	v_add_f64_e32 v[166:167], v[166:167], v[174:175]
	s_wait_loadcnt_dscnt 0x800
	v_mul_f64_e32 v[174:175], v[0:1], v[38:39]
	v_mul_f64_e32 v[38:39], v[2:3], v[38:39]
	ds_load_b128 v[170:173], v40 offset:1600
	v_fma_f64 v[178:179], v[164:165], v[168:169], v[178:179]
	v_fma_f64 v[168:169], v[162:163], v[168:169], -v[180:181]
	scratch_load_b128 v[162:165], off, off offset:816
	v_add_f64_e32 v[176:177], v[176:177], v[184:185]
	v_add_f64_e32 v[166:167], v[166:167], v[182:183]
	v_fma_f64 v[174:175], v[2:3], v[36:37], v[174:175]
	v_fma_f64 v[182:183], v[0:1], v[36:37], -v[38:39]
	ds_load_b128 v[0:3], v40 offset:1616
	s_wait_loadcnt_dscnt 0x801
	v_mul_f64_e32 v[180:181], v[170:171], v[6:7]
	v_mul_f64_e32 v[6:7], v[172:173], v[6:7]
	scratch_load_b128 v[36:39], off, off offset:832
	s_wait_loadcnt_dscnt 0x800
	v_mul_f64_e32 v[184:185], v[0:1], v[10:11]
	v_mul_f64_e32 v[10:11], v[2:3], v[10:11]
	v_add_f64_e32 v[176:177], v[176:177], v[168:169]
	v_add_f64_e32 v[178:179], v[166:167], v[178:179]
	ds_load_b128 v[166:169], v40 offset:1632
	v_fma_f64 v[172:173], v[172:173], v[4:5], v[180:181]
	v_fma_f64 v[170:171], v[170:171], v[4:5], -v[6:7]
	scratch_load_b128 v[4:7], off, off offset:848
	v_fma_f64 v[180:181], v[2:3], v[8:9], v[184:185]
	v_add_f64_e32 v[176:177], v[176:177], v[182:183]
	v_add_f64_e32 v[174:175], v[178:179], v[174:175]
	v_fma_f64 v[182:183], v[0:1], v[8:9], -v[10:11]
	ds_load_b128 v[0:3], v40 offset:1648
	s_wait_loadcnt_dscnt 0x801
	v_mul_f64_e32 v[178:179], v[166:167], v[14:15]
	v_mul_f64_e32 v[14:15], v[168:169], v[14:15]
	scratch_load_b128 v[8:11], off, off offset:864
	s_wait_loadcnt_dscnt 0x800
	v_mul_f64_e32 v[184:185], v[0:1], v[18:19]
	v_mul_f64_e32 v[18:19], v[2:3], v[18:19]
	v_add_f64_e32 v[176:177], v[176:177], v[170:171]
	v_add_f64_e32 v[174:175], v[174:175], v[172:173]
	ds_load_b128 v[170:173], v40 offset:1664
	v_fma_f64 v[168:169], v[168:169], v[12:13], v[178:179]
	v_fma_f64 v[166:167], v[166:167], v[12:13], -v[14:15]
	scratch_load_b128 v[12:15], off, off offset:880
	v_add_f64_e32 v[176:177], v[176:177], v[182:183]
	v_add_f64_e32 v[174:175], v[174:175], v[180:181]
	v_fma_f64 v[180:181], v[2:3], v[16:17], v[184:185]
	v_fma_f64 v[182:183], v[0:1], v[16:17], -v[18:19]
	ds_load_b128 v[0:3], v40 offset:1680
	s_wait_loadcnt_dscnt 0x801
	v_mul_f64_e32 v[178:179], v[170:171], v[22:23]
	v_mul_f64_e32 v[22:23], v[172:173], v[22:23]
	scratch_load_b128 v[16:19], off, off offset:896
	s_wait_loadcnt_dscnt 0x800
	v_mul_f64_e32 v[184:185], v[0:1], v[26:27]
	v_mul_f64_e32 v[26:27], v[2:3], v[26:27]
	v_add_f64_e32 v[176:177], v[176:177], v[166:167]
	v_add_f64_e32 v[174:175], v[174:175], v[168:169]
	ds_load_b128 v[166:169], v40 offset:1696
	v_fma_f64 v[172:173], v[172:173], v[20:21], v[178:179]
	v_fma_f64 v[170:171], v[170:171], v[20:21], -v[22:23]
	scratch_load_b128 v[20:23], off, off offset:912
	v_add_f64_e32 v[176:177], v[176:177], v[182:183]
	v_add_f64_e32 v[174:175], v[174:175], v[180:181]
	v_fma_f64 v[180:181], v[2:3], v[24:25], v[184:185]
	v_fma_f64 v[182:183], v[0:1], v[24:25], -v[26:27]
	ds_load_b128 v[0:3], v40 offset:1712
	s_wait_loadcnt_dscnt 0x801
	v_mul_f64_e32 v[178:179], v[166:167], v[30:31]
	v_mul_f64_e32 v[30:31], v[168:169], v[30:31]
	scratch_load_b128 v[24:27], off, off offset:928
	s_wait_loadcnt_dscnt 0x800
	v_mul_f64_e32 v[184:185], v[0:1], v[34:35]
	v_mul_f64_e32 v[34:35], v[2:3], v[34:35]
	v_add_f64_e32 v[176:177], v[176:177], v[170:171]
	v_add_f64_e32 v[174:175], v[174:175], v[172:173]
	ds_load_b128 v[170:173], v40 offset:1728
	v_fma_f64 v[168:169], v[168:169], v[28:29], v[178:179]
	v_fma_f64 v[28:29], v[166:167], v[28:29], -v[30:31]
	v_add_f64_e32 v[30:31], v[176:177], v[182:183]
	v_add_f64_e32 v[166:167], v[174:175], v[180:181]
	s_wait_loadcnt_dscnt 0x700
	v_mul_f64_e32 v[174:175], v[170:171], v[164:165]
	v_mul_f64_e32 v[164:165], v[172:173], v[164:165]
	v_fma_f64 v[176:177], v[2:3], v[32:33], v[184:185]
	v_fma_f64 v[32:33], v[0:1], v[32:33], -v[34:35]
	v_add_f64_e32 v[34:35], v[30:31], v[28:29]
	v_add_f64_e32 v[166:167], v[166:167], v[168:169]
	ds_load_b128 v[0:3], v40 offset:1744
	ds_load_b128 v[28:31], v40 offset:1760
	v_fma_f64 v[172:173], v[172:173], v[162:163], v[174:175]
	v_fma_f64 v[162:163], v[170:171], v[162:163], -v[164:165]
	s_wait_loadcnt_dscnt 0x601
	v_mul_f64_e32 v[168:169], v[0:1], v[38:39]
	v_mul_f64_e32 v[38:39], v[2:3], v[38:39]
	s_wait_loadcnt_dscnt 0x500
	v_mul_f64_e32 v[164:165], v[28:29], v[6:7]
	v_mul_f64_e32 v[6:7], v[30:31], v[6:7]
	v_add_f64_e32 v[32:33], v[34:35], v[32:33]
	v_add_f64_e32 v[34:35], v[166:167], v[176:177]
	v_fma_f64 v[166:167], v[2:3], v[36:37], v[168:169]
	v_fma_f64 v[36:37], v[0:1], v[36:37], -v[38:39]
	v_fma_f64 v[30:31], v[30:31], v[4:5], v[164:165]
	v_fma_f64 v[4:5], v[28:29], v[4:5], -v[6:7]
	v_add_f64_e32 v[38:39], v[32:33], v[162:163]
	v_add_f64_e32 v[162:163], v[34:35], v[172:173]
	ds_load_b128 v[0:3], v40 offset:1776
	ds_load_b128 v[32:35], v40 offset:1792
	s_wait_loadcnt_dscnt 0x401
	v_mul_f64_e32 v[168:169], v[0:1], v[10:11]
	v_mul_f64_e32 v[10:11], v[2:3], v[10:11]
	v_add_f64_e32 v[6:7], v[38:39], v[36:37]
	v_add_f64_e32 v[28:29], v[162:163], v[166:167]
	s_wait_loadcnt_dscnt 0x300
	v_mul_f64_e32 v[36:37], v[32:33], v[14:15]
	v_mul_f64_e32 v[14:15], v[34:35], v[14:15]
	v_fma_f64 v[38:39], v[2:3], v[8:9], v[168:169]
	v_fma_f64 v[8:9], v[0:1], v[8:9], -v[10:11]
	v_add_f64_e32 v[10:11], v[6:7], v[4:5]
	v_add_f64_e32 v[28:29], v[28:29], v[30:31]
	ds_load_b128 v[0:3], v40 offset:1808
	ds_load_b128 v[4:7], v40 offset:1824
	v_fma_f64 v[34:35], v[34:35], v[12:13], v[36:37]
	v_fma_f64 v[12:13], v[32:33], v[12:13], -v[14:15]
	s_wait_loadcnt_dscnt 0x201
	v_mul_f64_e32 v[30:31], v[0:1], v[18:19]
	v_mul_f64_e32 v[18:19], v[2:3], v[18:19]
	s_wait_loadcnt_dscnt 0x100
	v_mul_f64_e32 v[14:15], v[4:5], v[22:23]
	v_mul_f64_e32 v[22:23], v[6:7], v[22:23]
	v_add_f64_e32 v[8:9], v[10:11], v[8:9]
	v_add_f64_e32 v[10:11], v[28:29], v[38:39]
	v_fma_f64 v[28:29], v[2:3], v[16:17], v[30:31]
	v_fma_f64 v[16:17], v[0:1], v[16:17], -v[18:19]
	ds_load_b128 v[0:3], v40 offset:1840
	v_fma_f64 v[6:7], v[6:7], v[20:21], v[14:15]
	v_fma_f64 v[4:5], v[4:5], v[20:21], -v[22:23]
	v_add_f64_e32 v[8:9], v[8:9], v[12:13]
	v_add_f64_e32 v[10:11], v[10:11], v[34:35]
	s_wait_loadcnt_dscnt 0x0
	v_mul_f64_e32 v[12:13], v[0:1], v[26:27]
	v_mul_f64_e32 v[18:19], v[2:3], v[26:27]
	s_delay_alu instid0(VALU_DEP_4) | instskip(NEXT) | instid1(VALU_DEP_4)
	v_add_f64_e32 v[8:9], v[8:9], v[16:17]
	v_add_f64_e32 v[10:11], v[10:11], v[28:29]
	s_delay_alu instid0(VALU_DEP_4) | instskip(NEXT) | instid1(VALU_DEP_4)
	v_fma_f64 v[2:3], v[2:3], v[24:25], v[12:13]
	v_fma_f64 v[0:1], v[0:1], v[24:25], -v[18:19]
	s_delay_alu instid0(VALU_DEP_4) | instskip(NEXT) | instid1(VALU_DEP_4)
	v_add_f64_e32 v[4:5], v[8:9], v[4:5]
	v_add_f64_e32 v[6:7], v[10:11], v[6:7]
	s_delay_alu instid0(VALU_DEP_2) | instskip(NEXT) | instid1(VALU_DEP_2)
	v_add_f64_e32 v[0:1], v[4:5], v[0:1]
	v_add_f64_e32 v[2:3], v[6:7], v[2:3]
	s_delay_alu instid0(VALU_DEP_2) | instskip(NEXT) | instid1(VALU_DEP_2)
	v_add_f64_e64 v[0:1], v[41:42], -v[0:1]
	v_add_f64_e64 v[2:3], v[43:44], -v[2:3]
	scratch_store_b128 off, v[0:3], off offset:16
	s_wait_alu 0xfffe
	s_cbranch_vccz .LBB57_476
; %bb.362:
	global_load_b32 v0, v40, s[2:3] offset:224
	s_wait_loadcnt 0x0
	v_cmp_ne_u32_e32 vcc_lo, 57, v0
	s_cbranch_vccz .LBB57_364
; %bb.363:
	v_lshlrev_b32_e32 v0, 4, v0
	s_delay_alu instid0(VALU_DEP_1)
	v_add_nc_u32_e32 v8, 16, v0
	s_clause 0x1
	scratch_load_b128 v[0:3], v8, off offset:-16
	scratch_load_b128 v[4:7], off, s25
	s_wait_loadcnt 0x1
	scratch_store_b128 off, v[0:3], s25
	s_wait_loadcnt 0x0
	scratch_store_b128 v8, v[4:7], off offset:-16
.LBB57_364:
	v_mov_b32_e32 v0, 0
	global_load_b32 v1, v0, s[2:3] offset:220
	s_wait_loadcnt 0x0
	v_cmp_eq_u32_e32 vcc_lo, 56, v1
	s_cbranch_vccnz .LBB57_366
; %bb.365:
	v_lshlrev_b32_e32 v1, 4, v1
	s_delay_alu instid0(VALU_DEP_1)
	v_add_nc_u32_e32 v9, 16, v1
	s_clause 0x1
	scratch_load_b128 v[1:4], v9, off offset:-16
	scratch_load_b128 v[5:8], off, s24
	s_wait_loadcnt 0x1
	scratch_store_b128 off, v[1:4], s24
	s_wait_loadcnt 0x0
	scratch_store_b128 v9, v[5:8], off offset:-16
.LBB57_366:
	global_load_b32 v0, v0, s[2:3] offset:216
	s_wait_loadcnt 0x0
	v_cmp_eq_u32_e32 vcc_lo, 55, v0
	s_cbranch_vccnz .LBB57_368
; %bb.367:
	v_lshlrev_b32_e32 v0, 4, v0
	s_delay_alu instid0(VALU_DEP_1)
	v_add_nc_u32_e32 v8, 16, v0
	s_clause 0x1
	scratch_load_b128 v[0:3], v8, off offset:-16
	scratch_load_b128 v[4:7], off, s29
	s_wait_loadcnt 0x1
	scratch_store_b128 off, v[0:3], s29
	s_wait_loadcnt 0x0
	scratch_store_b128 v8, v[4:7], off offset:-16
.LBB57_368:
	v_mov_b32_e32 v0, 0
	global_load_b32 v1, v0, s[2:3] offset:212
	s_wait_loadcnt 0x0
	v_cmp_eq_u32_e32 vcc_lo, 54, v1
	s_cbranch_vccnz .LBB57_370
; %bb.369:
	v_lshlrev_b32_e32 v1, 4, v1
	s_delay_alu instid0(VALU_DEP_1)
	v_add_nc_u32_e32 v9, 16, v1
	s_clause 0x1
	scratch_load_b128 v[1:4], v9, off offset:-16
	scratch_load_b128 v[5:8], off, s28
	s_wait_loadcnt 0x1
	scratch_store_b128 off, v[1:4], s28
	s_wait_loadcnt 0x0
	scratch_store_b128 v9, v[5:8], off offset:-16
.LBB57_370:
	global_load_b32 v0, v0, s[2:3] offset:208
	s_wait_loadcnt 0x0
	v_cmp_eq_u32_e32 vcc_lo, 53, v0
	s_cbranch_vccnz .LBB57_372
; %bb.371:
	v_lshlrev_b32_e32 v0, 4, v0
	s_delay_alu instid0(VALU_DEP_1)
	v_add_nc_u32_e32 v8, 16, v0
	s_clause 0x1
	scratch_load_b128 v[0:3], v8, off offset:-16
	scratch_load_b128 v[4:7], off, s34
	s_wait_loadcnt 0x1
	scratch_store_b128 off, v[0:3], s34
	s_wait_loadcnt 0x0
	scratch_store_b128 v8, v[4:7], off offset:-16
.LBB57_372:
	;; [unrolled: 33-line block ×27, first 2 shown]
	v_mov_b32_e32 v0, 0
	global_load_b32 v1, v0, s[2:3] offset:4
	s_wait_loadcnt 0x0
	v_cmp_eq_u32_e32 vcc_lo, 2, v1
	s_cbranch_vccnz .LBB57_474
; %bb.473:
	v_lshlrev_b32_e32 v1, 4, v1
	s_delay_alu instid0(VALU_DEP_1)
	v_add_nc_u32_e32 v9, 16, v1
	s_clause 0x1
	scratch_load_b128 v[1:4], v9, off offset:-16
	scratch_load_b128 v[5:8], off, s53
	s_wait_loadcnt 0x1
	scratch_store_b128 off, v[1:4], s53
	s_wait_loadcnt 0x0
	scratch_store_b128 v9, v[5:8], off offset:-16
.LBB57_474:
	global_load_b32 v0, v0, s[2:3]
	s_wait_loadcnt 0x0
	v_cmp_eq_u32_e32 vcc_lo, 1, v0
	s_cbranch_vccnz .LBB57_476
; %bb.475:
	v_lshlrev_b32_e32 v0, 4, v0
	s_delay_alu instid0(VALU_DEP_1)
	v_add_nc_u32_e32 v8, 16, v0
	scratch_load_b128 v[0:3], v8, off offset:-16
	scratch_load_b128 v[4:7], off, off offset:16
	s_wait_loadcnt 0x1
	scratch_store_b128 off, v[0:3], off offset:16
	s_wait_loadcnt 0x0
	scratch_store_b128 v8, v[4:7], off offset:-16
.LBB57_476:
	scratch_load_b128 v[0:3], off, off offset:16
	s_clause 0x10
	scratch_load_b128 v[4:7], off, s53
	scratch_load_b128 v[8:11], off, s52
	;; [unrolled: 1-line block ×17, first 2 shown]
	s_wait_loadcnt 0x11
	global_store_b128 v[46:47], v[0:3], off
	scratch_load_b128 v[0:3], off, s49
	s_wait_loadcnt 0x11
	global_store_b128 v[48:49], v[4:7], off
	s_clause 0x1
	scratch_load_b128 v[4:7], off, s47
	scratch_load_b128 v[44:47], off, s48
	s_wait_loadcnt 0x12
	global_store_b128 v[50:51], v[8:11], off
	scratch_load_b128 v[8:11], off, s46
	s_wait_loadcnt 0x12
	global_store_b128 v[52:53], v[12:15], off
	s_clause 0x1
	scratch_load_b128 v[12:15], off, s44
	scratch_load_b128 v[48:51], off, s45
	;; [unrolled: 8-line block ×4, first 2 shown]
	s_wait_loadcnt 0x15
	global_store_b128 v[62:63], v[32:35], off
	s_wait_loadcnt 0x14
	global_store_b128 v[64:65], v[36:39], off
	s_clause 0x1
	scratch_load_b128 v[32:35], off, s30
	scratch_load_b128 v[36:39], off, s31
	s_wait_loadcnt 0x15
	global_store_b128 v[66:67], v[40:43], off
	s_clause 0x1
	scratch_load_b128 v[40:43], off, s26
	scratch_load_b128 v[60:63], off, s27
	s_wait_loadcnt 0x16
	global_store_b128 v[68:69], v[162:165], off
	s_clause 0x1
	scratch_load_b128 v[64:67], off, s22
	scratch_load_b128 v[162:165], off, s23
	s_wait_loadcnt 0x17
	global_store_b128 v[70:71], v[166:169], off
	s_wait_loadcnt 0x16
	global_store_b128 v[72:73], v[170:173], off
	s_clause 0x1
	scratch_load_b128 v[68:71], off, s20
	scratch_load_b128 v[166:169], off, s21
	s_wait_loadcnt 0x17
	global_store_b128 v[76:77], v[174:177], off
	s_clause 0x1
	scratch_load_b128 v[170:173], off, s15
	scratch_load_b128 v[174:177], off, s19
	s_wait_loadcnt 0x18
	global_store_b128 v[74:75], v[178:181], off
	s_clause 0x1
	scratch_load_b128 v[72:75], off, s13
	scratch_load_b128 v[178:181], off, s14
	;; [unrolled: 17-line block ×4, first 2 shown]
	s_wait_loadcnt 0x1c
	global_store_b128 v[94:95], v[20:23], off
	s_wait_loadcnt 0x1b
	global_store_b128 v[96:97], v[52:55], off
	s_clause 0x1
	scratch_load_b128 v[20:23], off, s28
	scratch_load_b128 v[52:55], off, s29
	s_wait_loadcnt 0x1c
	global_store_b128 v[98:99], v[24:27], off
	s_clause 0x1
	scratch_load_b128 v[24:27], off, s24
	scratch_load_b128 v[92:95], off, s25
	s_wait_loadcnt 0x1d
	global_store_b128 v[100:101], v[28:31], off
	s_wait_loadcnt 0x1c
	global_store_b128 v[102:103], v[56:59], off
	;; [unrolled: 2-line block ×29, first 2 shown]
	s_wait_loadcnt 0x0
	s_clause 0x1
	global_store_b128 v[158:159], v[92:95], off
	global_store_b128 v[160:161], v[186:189], off
	s_nop 0
	s_sendmsg sendmsg(MSG_DEALLOC_VGPRS)
	s_endpgm
	.section	.rodata,"a",@progbits
	.p2align	6, 0x0
	.amdhsa_kernel _ZN9rocsolver6v33100L18getri_kernel_smallILi58E19rocblas_complex_numIdEPS3_EEvT1_iilPiilS6_bb
		.amdhsa_group_segment_fixed_size 1864
		.amdhsa_private_segment_fixed_size 960
		.amdhsa_kernarg_size 60
		.amdhsa_user_sgpr_count 2
		.amdhsa_user_sgpr_dispatch_ptr 0
		.amdhsa_user_sgpr_queue_ptr 0
		.amdhsa_user_sgpr_kernarg_segment_ptr 1
		.amdhsa_user_sgpr_dispatch_id 0
		.amdhsa_user_sgpr_private_segment_size 0
		.amdhsa_wavefront_size32 1
		.amdhsa_uses_dynamic_stack 0
		.amdhsa_enable_private_segment 1
		.amdhsa_system_sgpr_workgroup_id_x 1
		.amdhsa_system_sgpr_workgroup_id_y 0
		.amdhsa_system_sgpr_workgroup_id_z 0
		.amdhsa_system_sgpr_workgroup_info 0
		.amdhsa_system_vgpr_workitem_id 0
		.amdhsa_next_free_vgpr 208
		.amdhsa_next_free_sgpr 90
		.amdhsa_reserve_vcc 1
		.amdhsa_float_round_mode_32 0
		.amdhsa_float_round_mode_16_64 0
		.amdhsa_float_denorm_mode_32 3
		.amdhsa_float_denorm_mode_16_64 3
		.amdhsa_fp16_overflow 0
		.amdhsa_workgroup_processor_mode 1
		.amdhsa_memory_ordered 1
		.amdhsa_forward_progress 1
		.amdhsa_inst_pref_size 255
		.amdhsa_round_robin_scheduling 0
		.amdhsa_exception_fp_ieee_invalid_op 0
		.amdhsa_exception_fp_denorm_src 0
		.amdhsa_exception_fp_ieee_div_zero 0
		.amdhsa_exception_fp_ieee_overflow 0
		.amdhsa_exception_fp_ieee_underflow 0
		.amdhsa_exception_fp_ieee_inexact 0
		.amdhsa_exception_int_div_zero 0
	.end_amdhsa_kernel
	.section	.text._ZN9rocsolver6v33100L18getri_kernel_smallILi58E19rocblas_complex_numIdEPS3_EEvT1_iilPiilS6_bb,"axG",@progbits,_ZN9rocsolver6v33100L18getri_kernel_smallILi58E19rocblas_complex_numIdEPS3_EEvT1_iilPiilS6_bb,comdat
.Lfunc_end57:
	.size	_ZN9rocsolver6v33100L18getri_kernel_smallILi58E19rocblas_complex_numIdEPS3_EEvT1_iilPiilS6_bb, .Lfunc_end57-_ZN9rocsolver6v33100L18getri_kernel_smallILi58E19rocblas_complex_numIdEPS3_EEvT1_iilPiilS6_bb
                                        ; -- End function
	.set _ZN9rocsolver6v33100L18getri_kernel_smallILi58E19rocblas_complex_numIdEPS3_EEvT1_iilPiilS6_bb.num_vgpr, 208
	.set _ZN9rocsolver6v33100L18getri_kernel_smallILi58E19rocblas_complex_numIdEPS3_EEvT1_iilPiilS6_bb.num_agpr, 0
	.set _ZN9rocsolver6v33100L18getri_kernel_smallILi58E19rocblas_complex_numIdEPS3_EEvT1_iilPiilS6_bb.numbered_sgpr, 90
	.set _ZN9rocsolver6v33100L18getri_kernel_smallILi58E19rocblas_complex_numIdEPS3_EEvT1_iilPiilS6_bb.num_named_barrier, 0
	.set _ZN9rocsolver6v33100L18getri_kernel_smallILi58E19rocblas_complex_numIdEPS3_EEvT1_iilPiilS6_bb.private_seg_size, 960
	.set _ZN9rocsolver6v33100L18getri_kernel_smallILi58E19rocblas_complex_numIdEPS3_EEvT1_iilPiilS6_bb.uses_vcc, 1
	.set _ZN9rocsolver6v33100L18getri_kernel_smallILi58E19rocblas_complex_numIdEPS3_EEvT1_iilPiilS6_bb.uses_flat_scratch, 1
	.set _ZN9rocsolver6v33100L18getri_kernel_smallILi58E19rocblas_complex_numIdEPS3_EEvT1_iilPiilS6_bb.has_dyn_sized_stack, 0
	.set _ZN9rocsolver6v33100L18getri_kernel_smallILi58E19rocblas_complex_numIdEPS3_EEvT1_iilPiilS6_bb.has_recursion, 0
	.set _ZN9rocsolver6v33100L18getri_kernel_smallILi58E19rocblas_complex_numIdEPS3_EEvT1_iilPiilS6_bb.has_indirect_call, 0
	.section	.AMDGPU.csdata,"",@progbits
; Kernel info:
; codeLenInByte = 131444
; TotalNumSgprs: 92
; NumVgprs: 208
; ScratchSize: 960
; MemoryBound: 0
; FloatMode: 240
; IeeeMode: 1
; LDSByteSize: 1864 bytes/workgroup (compile time only)
; SGPRBlocks: 0
; VGPRBlocks: 25
; NumSGPRsForWavesPerEU: 92
; NumVGPRsForWavesPerEU: 208
; Occupancy: 7
; WaveLimiterHint : 1
; COMPUTE_PGM_RSRC2:SCRATCH_EN: 1
; COMPUTE_PGM_RSRC2:USER_SGPR: 2
; COMPUTE_PGM_RSRC2:TRAP_HANDLER: 0
; COMPUTE_PGM_RSRC2:TGID_X_EN: 1
; COMPUTE_PGM_RSRC2:TGID_Y_EN: 0
; COMPUTE_PGM_RSRC2:TGID_Z_EN: 0
; COMPUTE_PGM_RSRC2:TIDIG_COMP_CNT: 0
	.section	.text._ZN9rocsolver6v33100L18getri_kernel_smallILi59E19rocblas_complex_numIdEPS3_EEvT1_iilPiilS6_bb,"axG",@progbits,_ZN9rocsolver6v33100L18getri_kernel_smallILi59E19rocblas_complex_numIdEPS3_EEvT1_iilPiilS6_bb,comdat
	.globl	_ZN9rocsolver6v33100L18getri_kernel_smallILi59E19rocblas_complex_numIdEPS3_EEvT1_iilPiilS6_bb ; -- Begin function _ZN9rocsolver6v33100L18getri_kernel_smallILi59E19rocblas_complex_numIdEPS3_EEvT1_iilPiilS6_bb
	.p2align	8
	.type	_ZN9rocsolver6v33100L18getri_kernel_smallILi59E19rocblas_complex_numIdEPS3_EEvT1_iilPiilS6_bb,@function
_ZN9rocsolver6v33100L18getri_kernel_smallILi59E19rocblas_complex_numIdEPS3_EEvT1_iilPiilS6_bb: ; @_ZN9rocsolver6v33100L18getri_kernel_smallILi59E19rocblas_complex_numIdEPS3_EEvT1_iilPiilS6_bb
; %bb.0:
	s_mov_b32 s2, exec_lo
	v_cmpx_gt_u32_e32 59, v0
	s_cbranch_execz .LBB58_250
; %bb.1:
	s_clause 0x2
	s_load_b32 s2, s[0:1], 0x38
	s_load_b128 s[12:15], s[0:1], 0x10
	s_load_b128 s[4:7], s[0:1], 0x28
	s_mov_b32 s16, ttmp9
	s_wait_kmcnt 0x0
	s_bitcmp1_b32 s2, 8
	s_cselect_b32 s18, -1, 0
	s_bfe_u32 s2, s2, 0x10008
	s_ashr_i32 s17, ttmp9, 31
	s_cmp_eq_u32 s2, 0
                                        ; implicit-def: $sgpr2_sgpr3
	s_cbranch_scc1 .LBB58_3
; %bb.2:
	s_load_b32 s2, s[0:1], 0x20
	s_mul_u64 s[4:5], s[4:5], s[16:17]
	s_delay_alu instid0(SALU_CYCLE_1) | instskip(NEXT) | instid1(SALU_CYCLE_1)
	s_lshl_b64 s[4:5], s[4:5], 2
	s_add_nc_u64 s[4:5], s[14:15], s[4:5]
	s_wait_kmcnt 0x0
	s_ashr_i32 s3, s2, 31
	s_delay_alu instid0(SALU_CYCLE_1) | instskip(NEXT) | instid1(SALU_CYCLE_1)
	s_lshl_b64 s[2:3], s[2:3], 2
	s_add_nc_u64 s[2:3], s[4:5], s[2:3]
.LBB58_3:
	s_clause 0x1
	s_load_b128 s[8:11], s[0:1], 0x0
	s_load_b32 s68, s[0:1], 0x38
	s_mul_u64 s[0:1], s[12:13], s[16:17]
	v_lshlrev_b32_e32 v13, 4, v0
	s_lshl_b64 s[0:1], s[0:1], 4
	s_movk_i32 s13, 0xe0
	s_movk_i32 s15, 0x100
	;; [unrolled: 1-line block ×15, first 2 shown]
	s_wait_kmcnt 0x0
	v_add3_u32 v5, s11, s11, v0
	s_ashr_i32 s5, s10, 31
	s_mov_b32 s4, s10
	s_add_nc_u64 s[0:1], s[8:9], s[0:1]
	s_lshl_b64 s[4:5], s[4:5], 4
	v_add_nc_u32_e32 v7, s11, v5
	v_ashrrev_i32_e32 v6, 31, v5
	s_add_nc_u64 s[0:1], s[0:1], s[4:5]
	s_ashr_i32 s9, s11, 31
	v_add_co_u32 v46, s4, s0, v13
	v_add_nc_u32_e32 v9, s11, v7
	s_mov_b32 s8, s11
	v_ashrrev_i32_e32 v8, 31, v7
	v_lshlrev_b64_e32 v[5:6], 4, v[5:6]
	v_add_co_ci_u32_e64 v47, null, s1, 0, s4
	s_lshl_b64 s[8:9], s[8:9], 4
	v_ashrrev_i32_e32 v10, 31, v9
	v_add_nc_u32_e32 v11, s11, v9
	v_add_co_u32 v48, vcc_lo, v46, s8
	v_lshlrev_b64_e32 v[7:8], 4, v[7:8]
	v_add_co_ci_u32_e64 v49, null, s9, v47, vcc_lo
	v_add_co_u32 v50, vcc_lo, s0, v5
	s_wait_alu 0xfffd
	v_add_co_ci_u32_e64 v51, null, s1, v6, vcc_lo
	v_lshlrev_b64_e32 v[5:6], 4, v[9:10]
	v_ashrrev_i32_e32 v12, 31, v11
	v_add_nc_u32_e32 v9, s11, v11
	v_add_co_u32 v52, vcc_lo, s0, v7
	s_wait_alu 0xfffd
	v_add_co_ci_u32_e64 v53, null, s1, v8, vcc_lo
	v_lshlrev_b64_e32 v[7:8], 4, v[11:12]
	v_ashrrev_i32_e32 v10, 31, v9
	v_add_nc_u32_e32 v11, s11, v9
	;; [unrolled: 6-line block ×3, first 2 shown]
	v_add_co_u32 v56, vcc_lo, s0, v7
	s_wait_alu 0xfffd
	v_add_co_ci_u32_e64 v57, null, s1, v8, vcc_lo
	v_lshlrev_b64_e32 v[7:8], 4, v[11:12]
	v_add_nc_u32_e32 v11, s11, v9
	v_ashrrev_i32_e32 v10, 31, v9
	v_add_co_u32 v58, vcc_lo, s0, v5
	s_wait_alu 0xfffd
	v_add_co_ci_u32_e64 v59, null, s1, v6, vcc_lo
	v_add_nc_u32_e32 v20, s11, v11
	v_ashrrev_i32_e32 v12, 31, v11
	v_lshlrev_b64_e32 v[18:19], 4, v[9:10]
	v_add_co_u32 v60, vcc_lo, s0, v7
	s_delay_alu instid0(VALU_DEP_4)
	v_add_nc_u32_e32 v24, s11, v20
	v_ashrrev_i32_e32 v21, 31, v20
	global_load_b128 v[1:4], v13, s[0:1]
	s_wait_alu 0xfffd
	v_add_co_ci_u32_e64 v61, null, s1, v8, vcc_lo
	v_add_nc_u32_e32 v28, s11, v24
	v_lshlrev_b64_e32 v[22:23], 4, v[11:12]
	s_clause 0x1
	global_load_b128 v[5:8], v[48:49], off
	global_load_b128 v[9:12], v[50:51], off
	v_lshlrev_b64_e32 v[26:27], 4, v[20:21]
	v_add_co_u32 v62, vcc_lo, s0, v18
	v_add_nc_u32_e32 v32, s11, v28
	v_ashrrev_i32_e32 v25, 31, v24
	v_ashrrev_i32_e32 v29, 31, v28
	s_wait_alu 0xfffd
	v_add_co_ci_u32_e64 v63, null, s1, v19, vcc_lo
	v_add_nc_u32_e32 v40, s11, v32
	v_add_co_u32 v64, vcc_lo, s0, v22
	s_wait_alu 0xfffd
	v_add_co_ci_u32_e64 v65, null, s1, v23, vcc_lo
	v_add_co_u32 v66, vcc_lo, s0, v26
	global_load_b128 v[14:17], v[52:53], off
	v_lshlrev_b64_e32 v[30:31], 4, v[24:25]
	s_clause 0x1
	global_load_b128 v[18:21], v[54:55], off
	global_load_b128 v[22:25], v[56:57], off
	s_wait_alu 0xfffd
	v_add_co_ci_u32_e64 v67, null, s1, v27, vcc_lo
	v_lshlrev_b64_e32 v[38:39], 4, v[28:29]
	global_load_b128 v[26:29], v[58:59], off
	v_add_nc_u32_e32 v44, s11, v40
	v_ashrrev_i32_e32 v33, 31, v32
	v_add_co_u32 v68, vcc_lo, s0, v30
	v_ashrrev_i32_e32 v41, 31, v40
	s_delay_alu instid0(VALU_DEP_4)
	v_add_nc_u32_e32 v76, s11, v44
	s_wait_alu 0xfffd
	v_add_co_ci_u32_e64 v69, null, s1, v31, vcc_lo
	v_lshlrev_b64_e32 v[42:43], 4, v[32:33]
	s_clause 0x1
	global_load_b128 v[30:33], v[60:61], off
	global_load_b128 v[34:37], v[62:63], off
	v_ashrrev_i32_e32 v45, 31, v44
	v_add_nc_u32_e32 v80, s11, v76
	v_ashrrev_i32_e32 v77, 31, v76
	v_lshlrev_b64_e32 v[74:75], 4, v[40:41]
	v_add_co_u32 v70, vcc_lo, s0, v38
	v_lshlrev_b64_e32 v[78:79], 4, v[44:45]
	v_add_nc_u32_e32 v84, s11, v80
	s_wait_alu 0xfffd
	v_add_co_ci_u32_e64 v71, null, s1, v39, vcc_lo
	v_add_co_u32 v72, vcc_lo, s0, v42
	v_lshlrev_b64_e32 v[82:83], 4, v[76:77]
	s_wait_alu 0xfffd
	v_add_co_ci_u32_e64 v73, null, s1, v43, vcc_lo
	v_add_co_u32 v74, vcc_lo, s0, v74
	s_clause 0x2
	global_load_b128 v[38:41], v[64:65], off
	global_load_b128 v[42:45], v[66:67], off
	;; [unrolled: 1-line block ×3, first 2 shown]
	v_ashrrev_i32_e32 v85, 31, v84
	v_add_nc_u32_e32 v86, s11, v84
	s_wait_alu 0xfffd
	v_add_co_ci_u32_e64 v75, null, s1, v75, vcc_lo
	v_add_co_u32 v76, vcc_lo, s0, v78
	s_wait_alu 0xfffd
	v_add_co_ci_u32_e64 v77, null, s1, v79, vcc_lo
	v_add_co_u32 v78, vcc_lo, s0, v82
	s_wait_alu 0xfffd
	v_add_co_ci_u32_e64 v79, null, s1, v83, vcc_lo
	v_lshlrev_b64_e32 v[82:83], 4, v[84:85]
	v_add_nc_u32_e32 v84, s11, v86
	v_ashrrev_i32_e32 v81, 31, v80
	global_load_b128 v[146:149], v[70:71], off
	v_ashrrev_i32_e32 v87, 31, v86
	s_clause 0x1
	global_load_b128 v[150:153], v[72:73], off
	global_load_b128 v[154:157], v[74:75], off
	v_add_nc_u32_e32 v88, s11, v84
	v_lshlrev_b64_e32 v[80:81], 4, v[80:81]
	v_ashrrev_i32_e32 v85, 31, v84
	v_lshlrev_b64_e32 v[86:87], 4, v[86:87]
	global_load_b128 v[158:161], v[76:77], off
	v_add_nc_u32_e32 v92, s11, v88
	v_ashrrev_i32_e32 v89, 31, v88
	v_add_co_u32 v80, vcc_lo, s0, v80
	s_wait_alu 0xfffd
	v_add_co_ci_u32_e64 v81, null, s1, v81, vcc_lo
	v_add_co_u32 v82, vcc_lo, s0, v82
	v_lshlrev_b64_e32 v[90:91], 4, v[84:85]
	v_add_nc_u32_e32 v94, s11, v92
	s_wait_alu 0xfffd
	v_add_co_ci_u32_e64 v83, null, s1, v83, vcc_lo
	v_add_co_u32 v84, vcc_lo, s0, v86
	v_ashrrev_i32_e32 v93, 31, v92
	s_wait_alu 0xfffd
	v_add_co_ci_u32_e64 v85, null, s1, v87, vcc_lo
	v_lshlrev_b64_e32 v[86:87], 4, v[88:89]
	v_add_co_u32 v88, vcc_lo, s0, v90
	v_add_nc_u32_e32 v96, s11, v94
	s_wait_alu 0xfffd
	v_add_co_ci_u32_e64 v89, null, s1, v91, vcc_lo
	v_lshlrev_b64_e32 v[90:91], 4, v[92:93]
	v_ashrrev_i32_e32 v95, 31, v94
	v_add_co_u32 v86, vcc_lo, s0, v86
	v_ashrrev_i32_e32 v97, 31, v96
	s_wait_alu 0xfffd
	v_add_co_ci_u32_e64 v87, null, s1, v87, vcc_lo
	v_lshlrev_b64_e32 v[92:93], 4, v[94:95]
	v_add_co_u32 v94, vcc_lo, s0, v90
	s_clause 0x4
	global_load_b128 v[162:165], v[78:79], off
	global_load_b128 v[166:169], v[80:81], off
	;; [unrolled: 1-line block ×5, first 2 shown]
	s_wait_alu 0xfffd
	v_add_co_ci_u32_e64 v95, null, s1, v91, vcc_lo
	v_lshlrev_b64_e32 v[90:91], 4, v[96:97]
	global_load_b128 v[182:185], v[86:87], off
	v_add_co_u32 v92, vcc_lo, s0, v92
	s_wait_alu 0xfffd
	v_add_co_ci_u32_e64 v93, null, s1, v93, vcc_lo
	v_add_co_u32 v90, vcc_lo, s0, v90
	s_wait_alu 0xfffd
	v_add_co_ci_u32_e64 v91, null, s1, v91, vcc_lo
	s_clause 0x2
	global_load_b128 v[186:189], v[94:95], off
	global_load_b128 v[190:193], v[92:93], off
	;; [unrolled: 1-line block ×3, first 2 shown]
	v_add_nc_u32_e32 v96, s11, v96
	s_movk_i32 s4, 0x70
	s_movk_i32 s5, 0x80
	;; [unrolled: 1-line block ×4, first 2 shown]
	v_add_nc_u32_e32 v98, s11, v96
	v_ashrrev_i32_e32 v97, 31, v96
	s_movk_i32 s10, 0xb0
	s_movk_i32 s34, 0x1c0
	;; [unrolled: 1-line block ×3, first 2 shown]
	v_add_nc_u32_e32 v100, s11, v98
	v_ashrrev_i32_e32 v99, 31, v98
	v_lshlrev_b64_e32 v[96:97], 4, v[96:97]
	s_movk_i32 s37, 0x1e0
	s_movk_i32 s38, 0x1f0
	v_add_nc_u32_e32 v102, s11, v100
	v_ashrrev_i32_e32 v101, 31, v100
	v_lshlrev_b64_e32 v[98:99], 4, v[98:99]
	v_add_co_u32 v96, vcc_lo, s0, v96
	s_delay_alu instid0(VALU_DEP_4)
	v_add_nc_u32_e32 v104, s11, v102
	v_ashrrev_i32_e32 v103, 31, v102
	v_lshlrev_b64_e32 v[100:101], 4, v[100:101]
	s_wait_alu 0xfffd
	v_add_co_ci_u32_e64 v97, null, s1, v97, vcc_lo
	v_add_nc_u32_e32 v106, s11, v104
	v_ashrrev_i32_e32 v105, 31, v104
	v_lshlrev_b64_e32 v[102:103], 4, v[102:103]
	v_add_co_u32 v98, vcc_lo, s0, v98
	s_delay_alu instid0(VALU_DEP_4)
	v_add_nc_u32_e32 v108, s11, v106
	v_ashrrev_i32_e32 v107, 31, v106
	v_lshlrev_b64_e32 v[104:105], 4, v[104:105]
	s_wait_alu 0xfffd
	v_add_co_ci_u32_e64 v99, null, s1, v99, vcc_lo
	v_add_nc_u32_e32 v110, s11, v108
	v_ashrrev_i32_e32 v109, 31, v108
	v_add_co_u32 v100, vcc_lo, s0, v100
	v_lshlrev_b64_e32 v[106:107], 4, v[106:107]
	s_delay_alu instid0(VALU_DEP_4)
	v_add_nc_u32_e32 v112, s11, v110
	v_ashrrev_i32_e32 v111, 31, v110
	s_wait_alu 0xfffd
	v_add_co_ci_u32_e64 v101, null, s1, v101, vcc_lo
	v_add_co_u32 v102, vcc_lo, s0, v102
	v_add_nc_u32_e32 v114, s11, v112
	v_ashrrev_i32_e32 v113, 31, v112
	v_lshlrev_b64_e32 v[108:109], 4, v[108:109]
	s_wait_alu 0xfffd
	v_add_co_ci_u32_e64 v103, null, s1, v103, vcc_lo
	v_add_nc_u32_e32 v116, s11, v114
	v_ashrrev_i32_e32 v115, 31, v114
	v_add_co_u32 v104, vcc_lo, s0, v104
	v_lshlrev_b64_e32 v[110:111], 4, v[110:111]
	s_delay_alu instid0(VALU_DEP_4)
	v_add_nc_u32_e32 v118, s11, v116
	v_ashrrev_i32_e32 v117, 31, v116
	s_wait_alu 0xfffd
	v_add_co_ci_u32_e64 v105, null, s1, v105, vcc_lo
	v_add_co_u32 v106, vcc_lo, s0, v106
	v_add_nc_u32_e32 v120, s11, v118
	v_lshlrev_b64_e32 v[112:113], 4, v[112:113]
	v_ashrrev_i32_e32 v119, 31, v118
	s_wait_alu 0xfffd
	v_add_co_ci_u32_e64 v107, null, s1, v107, vcc_lo
	v_add_nc_u32_e32 v122, s11, v120
	v_add_co_u32 v108, vcc_lo, s0, v108
	v_lshlrev_b64_e32 v[114:115], 4, v[114:115]
	v_ashrrev_i32_e32 v121, 31, v120
	s_delay_alu instid0(VALU_DEP_4) | instskip(SKIP_3) | instid1(VALU_DEP_3)
	v_add_nc_u32_e32 v124, s11, v122
	s_wait_alu 0xfffd
	v_add_co_ci_u32_e64 v109, null, s1, v109, vcc_lo
	v_add_co_u32 v110, vcc_lo, s0, v110
	v_add_nc_u32_e32 v126, s11, v124
	v_lshlrev_b64_e32 v[116:117], 4, v[116:117]
	v_ashrrev_i32_e32 v123, 31, v122
	s_wait_alu 0xfffd
	v_add_co_ci_u32_e64 v111, null, s1, v111, vcc_lo
	v_add_nc_u32_e32 v128, s11, v126
	v_add_co_u32 v112, vcc_lo, s0, v112
	v_lshlrev_b64_e32 v[118:119], 4, v[118:119]
	v_ashrrev_i32_e32 v125, 31, v124
	s_delay_alu instid0(VALU_DEP_4)
	v_add_nc_u32_e32 v130, s11, v128
	s_wait_alu 0xfffd
	v_add_co_ci_u32_e64 v113, null, s1, v113, vcc_lo
	v_add_co_u32 v114, vcc_lo, s0, v114
	v_lshlrev_b64_e32 v[120:121], 4, v[120:121]
	v_add_nc_u32_e32 v132, s11, v130
	v_ashrrev_i32_e32 v127, 31, v126
	s_wait_alu 0xfffd
	v_add_co_ci_u32_e64 v115, null, s1, v115, vcc_lo
	v_add_co_u32 v116, vcc_lo, s0, v116
	v_lshlrev_b64_e32 v[122:123], 4, v[122:123]
	v_ashrrev_i32_e32 v129, 31, v128
	s_wait_alu 0xfffd
	v_add_co_ci_u32_e64 v117, null, s1, v117, vcc_lo
	v_add_co_u32 v118, vcc_lo, s0, v118
	v_lshlrev_b64_e32 v[124:125], 4, v[124:125]
	v_ashrrev_i32_e32 v131, 31, v130
	v_add_nc_u32_e32 v134, s11, v132
	s_wait_alu 0xfffd
	v_add_co_ci_u32_e64 v119, null, s1, v119, vcc_lo
	v_add_co_u32 v120, vcc_lo, s0, v120
	v_lshlrev_b64_e32 v[126:127], 4, v[126:127]
	v_ashrrev_i32_e32 v133, 31, v132
	s_wait_alu 0xfffd
	v_add_co_ci_u32_e64 v121, null, s1, v121, vcc_lo
	v_add_co_u32 v122, vcc_lo, s0, v122
	v_lshlrev_b64_e32 v[128:129], 4, v[128:129]
	s_wait_alu 0xfffd
	v_add_co_ci_u32_e64 v123, null, s1, v123, vcc_lo
	v_add_co_u32 v124, vcc_lo, s0, v124
	v_add_nc_u32_e32 v136, s11, v134
	s_wait_alu 0xfffd
	v_add_co_ci_u32_e64 v125, null, s1, v125, vcc_lo
	v_add_co_u32 v126, vcc_lo, s0, v126
	s_wait_alu 0xfffd
	v_add_co_ci_u32_e64 v127, null, s1, v127, vcc_lo
	v_add_co_u32 v128, vcc_lo, s0, v128
	v_add_nc_u32_e32 v138, s11, v136
	s_wait_alu 0xfffd
	v_add_co_ci_u32_e64 v129, null, s1, v129, vcc_lo
	v_ashrrev_i32_e32 v135, 31, v134
	v_ashrrev_i32_e32 v137, 31, v136
	v_ashrrev_i32_e32 v139, 31, v138
	s_movk_i32 s39, 0x200
	s_movk_i32 s69, 0x210
	;; [unrolled: 1-line block ×23, first 2 shown]
	s_add_co_i32 s58, s13, 16
	s_add_co_i32 s56, s15, 16
	s_wait_alu 0xfffe
	s_add_co_i32 s65, s4, 16
	s_add_co_i32 s64, s5, 16
	;; [unrolled: 1-line block ×27, first 2 shown]
	s_wait_loadcnt 0x18
	scratch_store_b128 off, v[1:4], off offset:16
	s_wait_loadcnt 0x17
	scratch_store_b128 off, v[5:8], off offset:32
	;; [unrolled: 2-line block ×3, first 2 shown]
	v_lshlrev_b64_e32 v[9:10], 4, v[130:131]
	v_lshlrev_b64_e32 v[11:12], 4, v[132:133]
	s_clause 0x1
	global_load_b128 v[1:4], v[96:97], off
	global_load_b128 v[5:8], v[98:99], off
	s_add_co_i32 s34, s73, 16
	s_add_co_i32 s31, s74, 16
	;; [unrolled: 1-line block ×3, first 2 shown]
	v_add_co_u32 v130, vcc_lo, s0, v9
	s_wait_alu 0xfffd
	v_add_co_ci_u32_e64 v131, null, s1, v10, vcc_lo
	v_add_co_u32 v132, vcc_lo, s0, v11
	s_wait_alu 0xfffd
	v_add_co_ci_u32_e64 v133, null, s1, v12, vcc_lo
	s_add_co_i32 s27, s76, 16
	s_wait_loadcnt 0x17
	scratch_store_b128 off, v[14:17], off offset:64
	s_wait_loadcnt 0x16
	scratch_store_b128 off, v[18:21], off offset:80
	;; [unrolled: 2-line block ×3, first 2 shown]
	s_clause 0x1
	global_load_b128 v[9:12], v[100:101], off
	global_load_b128 v[14:17], v[102:103], off
	v_lshlrev_b64_e32 v[18:19], 4, v[134:135]
	v_lshlrev_b64_e32 v[20:21], 4, v[136:137]
	s_wait_loadcnt 0x16
	scratch_store_b128 off, v[26:29], off offset:112
	v_add_nc_u32_e32 v26, s11, v138
	s_wait_loadcnt 0x15
	scratch_store_b128 off, v[30:33], off offset:128
	s_wait_loadcnt 0x14
	scratch_store_b128 off, v[34:37], off offset:144
	v_add_nc_u32_e32 v198, s11, v26
	v_add_co_u32 v134, vcc_lo, s0, v18
	v_ashrrev_i32_e32 v27, 31, v26
	s_wait_alu 0xfffd
	v_add_co_ci_u32_e64 v135, null, s1, v19, vcc_lo
	v_add_nc_u32_e32 v34, s11, v198
	v_add_co_u32 v136, vcc_lo, s0, v20
	s_wait_alu 0xfffd
	v_add_co_ci_u32_e64 v137, null, s1, v21, vcc_lo
	s_delay_alu instid0(VALU_DEP_3)
	v_add_nc_u32_e32 v200, s11, v34
	s_clause 0x1
	global_load_b128 v[18:21], v[104:105], off
	global_load_b128 v[22:25], v[106:107], off
	v_lshlrev_b64_e32 v[28:29], 4, v[138:139]
	v_ashrrev_i32_e32 v199, 31, v198
	v_lshlrev_b64_e32 v[26:27], 4, v[26:27]
	v_ashrrev_i32_e32 v35, 31, v34
	s_wait_loadcnt 0x15
	scratch_store_b128 off, v[38:41], off offset:160
	s_wait_loadcnt 0x14
	scratch_store_b128 off, v[42:45], off offset:176
	;; [unrolled: 2-line block ×3, first 2 shown]
	v_add_nc_u32_e32 v42, s11, v200
	v_lshlrev_b64_e32 v[36:37], 4, v[198:199]
	v_add_co_u32 v138, vcc_lo, s0, v28
	s_wait_alu 0xfffd
	v_add_co_ci_u32_e64 v139, null, s1, v29, vcc_lo
	v_add_nc_u32_e32 v198, s11, v42
	v_add_co_u32 v140, vcc_lo, s0, v26
	v_ashrrev_i32_e32 v201, 31, v200
	s_wait_alu 0xfffd
	v_add_co_ci_u32_e64 v141, null, s1, v27, vcc_lo
	s_clause 0x1
	global_load_b128 v[26:29], v[108:109], off
	global_load_b128 v[30:33], v[110:111], off
	v_ashrrev_i32_e32 v43, 31, v42
	v_lshlrev_b64_e32 v[34:35], 4, v[34:35]
	s_wait_loadcnt 0x14
	scratch_store_b128 off, v[146:149], off offset:208
	s_wait_loadcnt 0x13
	scratch_store_b128 off, v[150:153], off offset:224
	s_wait_loadcnt 0x12
	scratch_store_b128 off, v[154:157], off offset:240
	v_add_nc_u32_e32 v150, s11, v198
	v_ashrrev_i32_e32 v199, 31, v198
	v_lshlrev_b64_e32 v[44:45], 4, v[200:201]
	v_add_co_u32 v142, vcc_lo, s0, v36
	s_delay_alu instid0(VALU_DEP_4)
	v_ashrrev_i32_e32 v151, 31, v150
	v_lshlrev_b64_e32 v[42:43], 4, v[42:43]
	v_add_nc_u32_e32 v154, s11, v150
	s_wait_alu 0xfffd
	v_add_co_ci_u32_e64 v143, null, s1, v37, vcc_lo
	v_add_co_u32 v144, vcc_lo, s0, v34
	v_lshlrev_b64_e32 v[152:153], 4, v[198:199]
	s_wait_alu 0xfffd
	v_add_co_ci_u32_e64 v145, null, s1, v35, vcc_lo
	v_add_co_u32 v146, vcc_lo, s0, v44
	v_lshlrev_b64_e32 v[156:157], 4, v[150:151]
	s_clause 0x1
	global_load_b128 v[34:37], v[112:113], off
	global_load_b128 v[38:41], v[114:115], off
	s_wait_loadcnt 0x13
	scratch_store_b128 off, v[158:161], off offset:256
	v_add_nc_u32_e32 v158, s11, v154
	s_wait_alu 0xfffd
	v_add_co_ci_u32_e64 v147, null, s1, v45, vcc_lo
	v_add_co_u32 v148, vcc_lo, s0, v42
	s_wait_alu 0xfffd
	v_add_co_ci_u32_e64 v149, null, s1, v43, vcc_lo
	v_add_co_u32 v150, vcc_lo, s0, v152
	;; [unrolled: 3-line block ×3, first 2 shown]
	v_add_nc_u32_e32 v156, s11, v158
	v_ashrrev_i32_e32 v155, 31, v154
	v_ashrrev_i32_e32 v159, 31, v158
	s_wait_alu 0xfffd
	v_add_co_ci_u32_e64 v153, null, s1, v157, vcc_lo
	v_add_nc_u32_e32 v160, s11, v156
	v_ashrrev_i32_e32 v157, 31, v156
	s_wait_loadcnt 0x12
	scratch_store_b128 off, v[162:165], off offset:272
	s_wait_loadcnt 0x11
	scratch_store_b128 off, v[166:169], off offset:288
	v_lshlrev_b64_e32 v[154:155], 4, v[154:155]
	s_clause 0x1
	global_load_b128 v[42:45], v[116:117], off
	global_load_b128 v[164:167], v[118:119], off
	s_wait_loadcnt 0x12
	scratch_store_b128 off, v[170:173], off offset:304
	s_wait_loadcnt 0x11
	scratch_store_b128 off, v[174:177], off offset:320
	;; [unrolled: 2-line block ×3, first 2 shown]
	s_clause 0x1
	global_load_b128 v[168:171], v[120:121], off
	global_load_b128 v[172:175], v[122:123], off
	v_lshlrev_b64_e32 v[158:159], 4, v[158:159]
	s_wait_loadcnt 0x11
	scratch_store_b128 off, v[182:185], off offset:352
	v_add_nc_u32_e32 v184, s11, v160
	v_lshlrev_b64_e32 v[162:163], 4, v[156:157]
	v_add_co_u32 v154, vcc_lo, s0, v154
	s_wait_alu 0xfffd
	v_add_co_ci_u32_e64 v155, null, s1, v155, vcc_lo
	v_ashrrev_i32_e32 v185, 31, v184
	v_add_co_u32 v156, vcc_lo, s0, v158
	s_wait_alu 0xfffd
	v_add_co_ci_u32_e64 v157, null, s1, v159, vcc_lo
	v_add_co_u32 v158, vcc_lo, s0, v162
	s_wait_loadcnt 0x10
	scratch_store_b128 off, v[186:189], off offset:368
	s_wait_loadcnt 0xf
	scratch_store_b128 off, v[190:193], off offset:384
	s_clause 0x1
	global_load_b128 v[176:179], v[124:125], off
	global_load_b128 v[180:183], v[126:127], off
	s_wait_alu 0xfffd
	v_add_co_ci_u32_e64 v159, null, s1, v163, vcc_lo
	v_lshlrev_b64_e32 v[162:163], 4, v[184:185]
	global_load_b128 v[184:187], v[128:129], off
	v_ashrrev_i32_e32 v161, 31, v160
	s_wait_loadcnt 0x11
	scratch_store_b128 off, v[194:197], off offset:400
	s_movk_i32 s11, 0xc0
	s_add_co_i32 s26, s77, 16
	s_wait_alu 0xfffe
	s_add_co_i32 s60, s11, 16
	v_lshlrev_b64_e32 v[160:161], 4, v[160:161]
	s_add_co_i32 s24, s78, 16
	s_add_co_i32 s21, s79, 16
	;; [unrolled: 1-line block ×5, first 2 shown]
	v_add_co_u32 v160, vcc_lo, s0, v160
	s_wait_alu 0xfffd
	v_add_co_ci_u32_e64 v161, null, s1, v161, vcc_lo
	v_add_co_u32 v162, vcc_lo, s0, v162
	s_wait_alu 0xfffd
	v_add_co_ci_u32_e64 v163, null, s1, v163, vcc_lo
	s_movk_i32 s0, 0x50
	s_movk_i32 s1, 0x60
	s_wait_alu 0xfffe
	s_add_co_i32 s67, s0, 16
	s_add_co_i32 s66, s1, 16
	s_movk_i32 s0, 0x370
	s_movk_i32 s1, 0x380
	s_wait_alu 0xfffe
	s_add_co_i32 s15, s0, 16
	s_add_co_i32 s13, s1, 16
	s_movk_i32 s0, 0x390
	s_movk_i32 s1, 0x3a0
	s_add_co_i32 s9, s83, 16
	s_add_co_i32 s8, s84, 16
	;; [unrolled: 1-line block ×8, first 2 shown]
	s_wait_alu 0xfffe
	s_add_co_i32 s14, s0, 16
	s_add_co_i32 s11, s1, 16
	s_mov_b32 s35, 32
	s_mov_b32 s33, 48
	;; [unrolled: 1-line block ×3, first 2 shown]
	s_movk_i32 s29, 0x50
	s_bitcmp0_b32 s68, 0
	s_mov_b32 s1, -1
	s_wait_loadcnt 0x10
	scratch_store_b128 off, v[1:4], off offset:416
	global_load_b128 v[1:4], v[130:131], off
	s_wait_loadcnt 0x10
	scratch_store_b128 off, v[5:8], off offset:432
	s_wait_loadcnt 0xf
	scratch_store_b128 off, v[9:12], off offset:448
	s_clause 0x1
	global_load_b128 v[5:8], v[132:133], off
	global_load_b128 v[9:12], v[134:135], off
	s_wait_loadcnt 0x10
	scratch_store_b128 off, v[14:17], off offset:464
	s_wait_loadcnt 0xf
	scratch_store_b128 off, v[18:21], off offset:480
	s_clause 0x1
	global_load_b128 v[14:17], v[136:137], off
	;; [unrolled: 7-line block ×7, first 2 shown]
	global_load_b128 v[176:179], v[158:159], off
	s_wait_loadcnt 0x10
	scratch_store_b128 off, v[180:183], off offset:656
	global_load_b128 v[180:183], v[160:161], off
	s_wait_loadcnt 0x10
	scratch_store_b128 off, v[184:187], off offset:672
	global_load_b128 v[184:187], v[162:163], off
	s_wait_loadcnt 0x10
	scratch_store_b128 off, v[1:4], off offset:688
	s_wait_loadcnt 0xf
	scratch_store_b128 off, v[5:8], off offset:704
	s_wait_loadcnt 0xe
	scratch_store_b128 off, v[9:12], off offset:720
	;; [unrolled: 2-line block ×16, first 2 shown]
	s_cbranch_scc1 .LBB58_248
; %bb.4:
	v_cmp_eq_u32_e64 s0, 0, v0
	s_and_saveexec_b32 s1, s0
; %bb.5:
	v_mov_b32_e32 v1, 0
	ds_store_b32 v1, v1 offset:1888
; %bb.6:
	s_wait_alu 0xfffe
	s_or_b32 exec_lo, exec_lo, s1
	s_wait_storecnt_dscnt 0x0
	s_barrier_signal -1
	s_barrier_wait -1
	global_inv scope:SCOPE_SE
	scratch_load_b128 v[1:4], v13, off offset:16
	s_wait_loadcnt 0x0
	v_cmp_eq_f64_e32 vcc_lo, 0, v[1:2]
	v_cmp_eq_f64_e64 s1, 0, v[3:4]
	s_and_b32 s1, vcc_lo, s1
	s_wait_alu 0xfffe
	s_and_saveexec_b32 s68, s1
	s_cbranch_execz .LBB58_10
; %bb.7:
	v_mov_b32_e32 v1, 0
	s_mov_b32 s69, 0
	ds_load_b32 v2, v1 offset:1888
	s_wait_dscnt 0x0
	v_readfirstlane_b32 s1, v2
	v_add_nc_u32_e32 v2, 1, v0
	s_cmp_eq_u32 s1, 0
	s_delay_alu instid0(VALU_DEP_1) | instskip(SKIP_1) | instid1(SALU_CYCLE_1)
	v_cmp_gt_i32_e32 vcc_lo, s1, v2
	s_cselect_b32 s70, -1, 0
	s_or_b32 s70, s70, vcc_lo
	s_delay_alu instid0(SALU_CYCLE_1)
	s_and_b32 exec_lo, exec_lo, s70
	s_cbranch_execz .LBB58_10
; %bb.8:
	v_mov_b32_e32 v3, s1
.LBB58_9:                               ; =>This Inner Loop Header: Depth=1
	ds_cmpstore_rtn_b32 v3, v1, v2, v3 offset:1888
	s_wait_dscnt 0x0
	v_cmp_ne_u32_e32 vcc_lo, 0, v3
	v_cmp_le_i32_e64 s1, v3, v2
	s_and_b32 s1, vcc_lo, s1
	s_wait_alu 0xfffe
	s_and_b32 s1, exec_lo, s1
	s_wait_alu 0xfffe
	s_or_b32 s69, s1, s69
	s_delay_alu instid0(SALU_CYCLE_1)
	s_and_not1_b32 exec_lo, exec_lo, s69
	s_cbranch_execnz .LBB58_9
.LBB58_10:
	s_or_b32 exec_lo, exec_lo, s68
	v_mov_b32_e32 v1, 0
	s_barrier_signal -1
	s_barrier_wait -1
	global_inv scope:SCOPE_SE
	ds_load_b32 v2, v1 offset:1888
	s_and_saveexec_b32 s1, s0
	s_cbranch_execz .LBB58_12
; %bb.11:
	s_lshl_b64 s[68:69], s[16:17], 2
	s_delay_alu instid0(SALU_CYCLE_1)
	s_add_nc_u64 s[68:69], s[6:7], s[68:69]
	s_wait_dscnt 0x0
	global_store_b32 v1, v2, s[68:69]
.LBB58_12:
	s_wait_alu 0xfffe
	s_or_b32 exec_lo, exec_lo, s1
	s_wait_dscnt 0x0
	v_cmp_ne_u32_e32 vcc_lo, 0, v2
	s_mov_b32 s1, 0
	s_cbranch_vccnz .LBB58_248
; %bb.13:
	v_add_nc_u32_e32 v14, 16, v13
                                        ; implicit-def: $vgpr1_vgpr2
                                        ; implicit-def: $vgpr9_vgpr10
	scratch_load_b128 v[5:8], v14, off
	s_wait_loadcnt 0x0
	v_cmp_ngt_f64_e64 s1, |v[5:6]|, |v[7:8]|
	s_wait_alu 0xfffe
	s_and_saveexec_b32 s68, s1
	s_delay_alu instid0(SALU_CYCLE_1)
	s_xor_b32 s1, exec_lo, s68
	s_cbranch_execz .LBB58_15
; %bb.14:
	v_div_scale_f64 v[1:2], null, v[7:8], v[7:8], v[5:6]
	v_div_scale_f64 v[11:12], vcc_lo, v[5:6], v[7:8], v[5:6]
	s_delay_alu instid0(VALU_DEP_2) | instskip(NEXT) | instid1(TRANS32_DEP_1)
	v_rcp_f64_e32 v[3:4], v[1:2]
	v_fma_f64 v[9:10], -v[1:2], v[3:4], 1.0
	s_delay_alu instid0(VALU_DEP_1) | instskip(NEXT) | instid1(VALU_DEP_1)
	v_fma_f64 v[3:4], v[3:4], v[9:10], v[3:4]
	v_fma_f64 v[9:10], -v[1:2], v[3:4], 1.0
	s_delay_alu instid0(VALU_DEP_1) | instskip(NEXT) | instid1(VALU_DEP_1)
	v_fma_f64 v[3:4], v[3:4], v[9:10], v[3:4]
	v_mul_f64_e32 v[9:10], v[11:12], v[3:4]
	s_delay_alu instid0(VALU_DEP_1) | instskip(SKIP_1) | instid1(VALU_DEP_1)
	v_fma_f64 v[1:2], -v[1:2], v[9:10], v[11:12]
	s_wait_alu 0xfffd
	v_div_fmas_f64 v[1:2], v[1:2], v[3:4], v[9:10]
	s_delay_alu instid0(VALU_DEP_1) | instskip(NEXT) | instid1(VALU_DEP_1)
	v_div_fixup_f64 v[1:2], v[1:2], v[7:8], v[5:6]
	v_fma_f64 v[3:4], v[5:6], v[1:2], v[7:8]
	s_delay_alu instid0(VALU_DEP_1) | instskip(SKIP_1) | instid1(VALU_DEP_2)
	v_div_scale_f64 v[5:6], null, v[3:4], v[3:4], 1.0
	v_div_scale_f64 v[11:12], vcc_lo, 1.0, v[3:4], 1.0
	v_rcp_f64_e32 v[7:8], v[5:6]
	s_delay_alu instid0(TRANS32_DEP_1) | instskip(NEXT) | instid1(VALU_DEP_1)
	v_fma_f64 v[9:10], -v[5:6], v[7:8], 1.0
	v_fma_f64 v[7:8], v[7:8], v[9:10], v[7:8]
	s_delay_alu instid0(VALU_DEP_1) | instskip(NEXT) | instid1(VALU_DEP_1)
	v_fma_f64 v[9:10], -v[5:6], v[7:8], 1.0
	v_fma_f64 v[7:8], v[7:8], v[9:10], v[7:8]
	s_delay_alu instid0(VALU_DEP_1) | instskip(NEXT) | instid1(VALU_DEP_1)
	v_mul_f64_e32 v[9:10], v[11:12], v[7:8]
	v_fma_f64 v[5:6], -v[5:6], v[9:10], v[11:12]
	s_wait_alu 0xfffd
	s_delay_alu instid0(VALU_DEP_1) | instskip(NEXT) | instid1(VALU_DEP_1)
	v_div_fmas_f64 v[5:6], v[5:6], v[7:8], v[9:10]
	v_div_fixup_f64 v[3:4], v[5:6], v[3:4], 1.0
                                        ; implicit-def: $vgpr5_vgpr6
	s_delay_alu instid0(VALU_DEP_1) | instskip(SKIP_1) | instid1(VALU_DEP_2)
	v_mul_f64_e32 v[1:2], v[1:2], v[3:4]
	v_xor_b32_e32 v4, 0x80000000, v4
	v_xor_b32_e32 v10, 0x80000000, v2
	s_delay_alu instid0(VALU_DEP_3)
	v_mov_b32_e32 v9, v1
.LBB58_15:
	s_wait_alu 0xfffe
	s_and_not1_saveexec_b32 s1, s1
	s_cbranch_execz .LBB58_17
; %bb.16:
	v_div_scale_f64 v[1:2], null, v[5:6], v[5:6], v[7:8]
	v_div_scale_f64 v[11:12], vcc_lo, v[7:8], v[5:6], v[7:8]
	s_delay_alu instid0(VALU_DEP_2) | instskip(NEXT) | instid1(TRANS32_DEP_1)
	v_rcp_f64_e32 v[3:4], v[1:2]
	v_fma_f64 v[9:10], -v[1:2], v[3:4], 1.0
	s_delay_alu instid0(VALU_DEP_1) | instskip(NEXT) | instid1(VALU_DEP_1)
	v_fma_f64 v[3:4], v[3:4], v[9:10], v[3:4]
	v_fma_f64 v[9:10], -v[1:2], v[3:4], 1.0
	s_delay_alu instid0(VALU_DEP_1) | instskip(NEXT) | instid1(VALU_DEP_1)
	v_fma_f64 v[3:4], v[3:4], v[9:10], v[3:4]
	v_mul_f64_e32 v[9:10], v[11:12], v[3:4]
	s_delay_alu instid0(VALU_DEP_1) | instskip(SKIP_1) | instid1(VALU_DEP_1)
	v_fma_f64 v[1:2], -v[1:2], v[9:10], v[11:12]
	s_wait_alu 0xfffd
	v_div_fmas_f64 v[1:2], v[1:2], v[3:4], v[9:10]
	s_delay_alu instid0(VALU_DEP_1) | instskip(NEXT) | instid1(VALU_DEP_1)
	v_div_fixup_f64 v[3:4], v[1:2], v[5:6], v[7:8]
	v_fma_f64 v[1:2], v[7:8], v[3:4], v[5:6]
	s_delay_alu instid0(VALU_DEP_1) | instskip(NEXT) | instid1(VALU_DEP_1)
	v_div_scale_f64 v[5:6], null, v[1:2], v[1:2], 1.0
	v_rcp_f64_e32 v[7:8], v[5:6]
	s_delay_alu instid0(TRANS32_DEP_1) | instskip(NEXT) | instid1(VALU_DEP_1)
	v_fma_f64 v[9:10], -v[5:6], v[7:8], 1.0
	v_fma_f64 v[7:8], v[7:8], v[9:10], v[7:8]
	s_delay_alu instid0(VALU_DEP_1) | instskip(NEXT) | instid1(VALU_DEP_1)
	v_fma_f64 v[9:10], -v[5:6], v[7:8], 1.0
	v_fma_f64 v[7:8], v[7:8], v[9:10], v[7:8]
	v_div_scale_f64 v[9:10], vcc_lo, 1.0, v[1:2], 1.0
	s_delay_alu instid0(VALU_DEP_1) | instskip(NEXT) | instid1(VALU_DEP_1)
	v_mul_f64_e32 v[11:12], v[9:10], v[7:8]
	v_fma_f64 v[5:6], -v[5:6], v[11:12], v[9:10]
	s_wait_alu 0xfffd
	s_delay_alu instid0(VALU_DEP_1) | instskip(NEXT) | instid1(VALU_DEP_1)
	v_div_fmas_f64 v[5:6], v[5:6], v[7:8], v[11:12]
	v_div_fixup_f64 v[1:2], v[5:6], v[1:2], 1.0
	s_delay_alu instid0(VALU_DEP_1)
	v_mul_f64_e64 v[3:4], v[3:4], -v[1:2]
	v_xor_b32_e32 v10, 0x80000000, v2
	v_mov_b32_e32 v9, v1
.LBB58_17:
	s_wait_alu 0xfffe
	s_or_b32 exec_lo, exec_lo, s1
	scratch_store_b128 v14, v[1:4], off
	scratch_load_b128 v[15:18], off, s35
	v_xor_b32_e32 v12, 0x80000000, v4
	v_mov_b32_e32 v11, v3
	v_add_nc_u32_e32 v5, 0x3b0, v13
	ds_store_b128 v13, v[9:12]
	s_wait_loadcnt 0x0
	ds_store_b128 v13, v[15:18] offset:944
	s_wait_storecnt_dscnt 0x0
	s_barrier_signal -1
	s_barrier_wait -1
	global_inv scope:SCOPE_SE
	s_and_saveexec_b32 s1, s0
	s_cbranch_execz .LBB58_19
; %bb.18:
	scratch_load_b128 v[1:4], v14, off
	ds_load_b128 v[6:9], v5
	v_mov_b32_e32 v10, 0
	ds_load_b128 v[15:18], v10 offset:16
	s_wait_loadcnt_dscnt 0x1
	v_mul_f64_e32 v[10:11], v[6:7], v[3:4]
	v_mul_f64_e32 v[3:4], v[8:9], v[3:4]
	s_delay_alu instid0(VALU_DEP_2) | instskip(NEXT) | instid1(VALU_DEP_2)
	v_fma_f64 v[8:9], v[8:9], v[1:2], v[10:11]
	v_fma_f64 v[1:2], v[6:7], v[1:2], -v[3:4]
	s_delay_alu instid0(VALU_DEP_2) | instskip(NEXT) | instid1(VALU_DEP_2)
	v_add_f64_e32 v[3:4], 0, v[8:9]
	v_add_f64_e32 v[1:2], 0, v[1:2]
	s_wait_dscnt 0x0
	s_delay_alu instid0(VALU_DEP_2) | instskip(NEXT) | instid1(VALU_DEP_2)
	v_mul_f64_e32 v[6:7], v[3:4], v[17:18]
	v_mul_f64_e32 v[8:9], v[1:2], v[17:18]
	s_delay_alu instid0(VALU_DEP_2) | instskip(NEXT) | instid1(VALU_DEP_2)
	v_fma_f64 v[1:2], v[1:2], v[15:16], -v[6:7]
	v_fma_f64 v[3:4], v[3:4], v[15:16], v[8:9]
	scratch_store_b128 off, v[1:4], off offset:32
.LBB58_19:
	s_wait_alu 0xfffe
	s_or_b32 exec_lo, exec_lo, s1
	s_wait_loadcnt 0x0
	s_wait_storecnt 0x0
	s_barrier_signal -1
	s_barrier_wait -1
	global_inv scope:SCOPE_SE
	scratch_load_b128 v[1:4], off, s33
	s_mov_b32 s1, exec_lo
	s_wait_loadcnt 0x0
	ds_store_b128 v5, v[1:4]
	s_wait_dscnt 0x0
	s_barrier_signal -1
	s_barrier_wait -1
	global_inv scope:SCOPE_SE
	v_cmpx_gt_u32_e32 2, v0
	s_cbranch_execz .LBB58_23
; %bb.20:
	scratch_load_b128 v[1:4], v14, off
	ds_load_b128 v[6:9], v5
	s_wait_loadcnt_dscnt 0x0
	v_mul_f64_e32 v[10:11], v[8:9], v[3:4]
	v_mul_f64_e32 v[3:4], v[6:7], v[3:4]
	s_delay_alu instid0(VALU_DEP_2) | instskip(NEXT) | instid1(VALU_DEP_2)
	v_fma_f64 v[6:7], v[6:7], v[1:2], -v[10:11]
	v_fma_f64 v[3:4], v[8:9], v[1:2], v[3:4]
	s_delay_alu instid0(VALU_DEP_2) | instskip(NEXT) | instid1(VALU_DEP_2)
	v_add_f64_e32 v[1:2], 0, v[6:7]
	v_add_f64_e32 v[3:4], 0, v[3:4]
	s_and_saveexec_b32 s68, s0
	s_cbranch_execz .LBB58_22
; %bb.21:
	scratch_load_b128 v[6:9], off, off offset:32
	v_mov_b32_e32 v10, 0
	ds_load_b128 v[15:18], v10 offset:960
	s_wait_loadcnt_dscnt 0x0
	v_mul_f64_e32 v[10:11], v[15:16], v[8:9]
	v_mul_f64_e32 v[8:9], v[17:18], v[8:9]
	s_delay_alu instid0(VALU_DEP_2) | instskip(NEXT) | instid1(VALU_DEP_2)
	v_fma_f64 v[10:11], v[17:18], v[6:7], v[10:11]
	v_fma_f64 v[6:7], v[15:16], v[6:7], -v[8:9]
	s_delay_alu instid0(VALU_DEP_2) | instskip(NEXT) | instid1(VALU_DEP_2)
	v_add_f64_e32 v[3:4], v[3:4], v[10:11]
	v_add_f64_e32 v[1:2], v[1:2], v[6:7]
.LBB58_22:
	s_or_b32 exec_lo, exec_lo, s68
	v_mov_b32_e32 v6, 0
	ds_load_b128 v[6:9], v6 offset:32
	s_wait_dscnt 0x0
	v_mul_f64_e32 v[10:11], v[3:4], v[8:9]
	v_mul_f64_e32 v[8:9], v[1:2], v[8:9]
	s_delay_alu instid0(VALU_DEP_2) | instskip(NEXT) | instid1(VALU_DEP_2)
	v_fma_f64 v[1:2], v[1:2], v[6:7], -v[10:11]
	v_fma_f64 v[3:4], v[3:4], v[6:7], v[8:9]
	scratch_store_b128 off, v[1:4], off offset:48
.LBB58_23:
	s_wait_alu 0xfffe
	s_or_b32 exec_lo, exec_lo, s1
	s_wait_loadcnt 0x0
	s_wait_storecnt 0x0
	s_barrier_signal -1
	s_barrier_wait -1
	global_inv scope:SCOPE_SE
	scratch_load_b128 v[1:4], off, s30
	v_add_nc_u32_e32 v6, -1, v0
	s_mov_b32 s0, exec_lo
	s_wait_loadcnt 0x0
	ds_store_b128 v5, v[1:4]
	s_wait_dscnt 0x0
	s_barrier_signal -1
	s_barrier_wait -1
	global_inv scope:SCOPE_SE
	v_cmpx_gt_u32_e32 3, v0
	s_cbranch_execz .LBB58_27
; %bb.24:
	v_dual_mov_b32 v1, 0 :: v_dual_add_nc_u32 v8, 0x3b0, v13
	v_mov_b32_e32 v3, 0
	v_dual_mov_b32 v2, 0 :: v_dual_add_nc_u32 v7, -1, v0
	v_mov_b32_e32 v4, 0
	v_or_b32_e32 v9, 8, v14
	s_mov_b32 s1, 0
.LBB58_25:                              ; =>This Inner Loop Header: Depth=1
	scratch_load_b128 v[15:18], v9, off offset:-8
	ds_load_b128 v[19:22], v8
	v_add_nc_u32_e32 v7, 1, v7
	v_add_nc_u32_e32 v8, 16, v8
	v_add_nc_u32_e32 v9, 16, v9
	s_delay_alu instid0(VALU_DEP_3)
	v_cmp_lt_u32_e32 vcc_lo, 1, v7
	s_wait_alu 0xfffe
	s_or_b32 s1, vcc_lo, s1
	s_wait_loadcnt_dscnt 0x0
	v_mul_f64_e32 v[10:11], v[21:22], v[17:18]
	v_mul_f64_e32 v[17:18], v[19:20], v[17:18]
	s_delay_alu instid0(VALU_DEP_2) | instskip(NEXT) | instid1(VALU_DEP_2)
	v_fma_f64 v[10:11], v[19:20], v[15:16], -v[10:11]
	v_fma_f64 v[15:16], v[21:22], v[15:16], v[17:18]
	s_delay_alu instid0(VALU_DEP_2) | instskip(NEXT) | instid1(VALU_DEP_2)
	v_add_f64_e32 v[3:4], v[3:4], v[10:11]
	v_add_f64_e32 v[1:2], v[1:2], v[15:16]
	s_wait_alu 0xfffe
	s_and_not1_b32 exec_lo, exec_lo, s1
	s_cbranch_execnz .LBB58_25
; %bb.26:
	s_or_b32 exec_lo, exec_lo, s1
	v_mov_b32_e32 v7, 0
	ds_load_b128 v[7:10], v7 offset:48
	s_wait_dscnt 0x0
	v_mul_f64_e32 v[11:12], v[1:2], v[9:10]
	v_mul_f64_e32 v[15:16], v[3:4], v[9:10]
	s_delay_alu instid0(VALU_DEP_2) | instskip(NEXT) | instid1(VALU_DEP_2)
	v_fma_f64 v[9:10], v[3:4], v[7:8], -v[11:12]
	v_fma_f64 v[11:12], v[1:2], v[7:8], v[15:16]
	scratch_store_b128 off, v[9:12], off offset:64
.LBB58_27:
	s_wait_alu 0xfffe
	s_or_b32 exec_lo, exec_lo, s0
	s_wait_loadcnt 0x0
	s_wait_storecnt 0x0
	s_barrier_signal -1
	s_barrier_wait -1
	global_inv scope:SCOPE_SE
	scratch_load_b128 v[1:4], off, s29
	s_mov_b32 s0, exec_lo
	s_wait_loadcnt 0x0
	ds_store_b128 v5, v[1:4]
	s_wait_dscnt 0x0
	s_barrier_signal -1
	s_barrier_wait -1
	global_inv scope:SCOPE_SE
	v_cmpx_gt_u32_e32 4, v0
	s_cbranch_execz .LBB58_31
; %bb.28:
	v_dual_mov_b32 v1, 0 :: v_dual_add_nc_u32 v8, 0x3b0, v13
	v_mov_b32_e32 v3, 0
	v_dual_mov_b32 v2, 0 :: v_dual_add_nc_u32 v7, -1, v0
	v_mov_b32_e32 v4, 0
	v_or_b32_e32 v9, 8, v14
	s_mov_b32 s1, 0
.LBB58_29:                              ; =>This Inner Loop Header: Depth=1
	scratch_load_b128 v[15:18], v9, off offset:-8
	ds_load_b128 v[19:22], v8
	v_add_nc_u32_e32 v7, 1, v7
	v_add_nc_u32_e32 v8, 16, v8
	v_add_nc_u32_e32 v9, 16, v9
	s_delay_alu instid0(VALU_DEP_3)
	v_cmp_lt_u32_e32 vcc_lo, 2, v7
	s_wait_alu 0xfffe
	s_or_b32 s1, vcc_lo, s1
	s_wait_loadcnt_dscnt 0x0
	v_mul_f64_e32 v[10:11], v[21:22], v[17:18]
	v_mul_f64_e32 v[17:18], v[19:20], v[17:18]
	s_delay_alu instid0(VALU_DEP_2) | instskip(NEXT) | instid1(VALU_DEP_2)
	v_fma_f64 v[10:11], v[19:20], v[15:16], -v[10:11]
	v_fma_f64 v[15:16], v[21:22], v[15:16], v[17:18]
	s_delay_alu instid0(VALU_DEP_2) | instskip(NEXT) | instid1(VALU_DEP_2)
	v_add_f64_e32 v[3:4], v[3:4], v[10:11]
	v_add_f64_e32 v[1:2], v[1:2], v[15:16]
	s_wait_alu 0xfffe
	s_and_not1_b32 exec_lo, exec_lo, s1
	s_cbranch_execnz .LBB58_29
; %bb.30:
	s_or_b32 exec_lo, exec_lo, s1
	v_mov_b32_e32 v7, 0
	ds_load_b128 v[7:10], v7 offset:64
	s_wait_dscnt 0x0
	v_mul_f64_e32 v[11:12], v[1:2], v[9:10]
	v_mul_f64_e32 v[15:16], v[3:4], v[9:10]
	s_delay_alu instid0(VALU_DEP_2) | instskip(NEXT) | instid1(VALU_DEP_2)
	v_fma_f64 v[9:10], v[3:4], v[7:8], -v[11:12]
	v_fma_f64 v[11:12], v[1:2], v[7:8], v[15:16]
	scratch_store_b128 off, v[9:12], off offset:80
.LBB58_31:
	s_wait_alu 0xfffe
	s_or_b32 exec_lo, exec_lo, s0
	s_wait_loadcnt 0x0
	s_wait_storecnt 0x0
	s_barrier_signal -1
	s_barrier_wait -1
	global_inv scope:SCOPE_SE
	scratch_load_b128 v[1:4], off, s67
	s_mov_b32 s0, exec_lo
	s_wait_loadcnt 0x0
	ds_store_b128 v5, v[1:4]
	s_wait_dscnt 0x0
	s_barrier_signal -1
	s_barrier_wait -1
	global_inv scope:SCOPE_SE
	v_cmpx_gt_u32_e32 5, v0
	s_cbranch_execz .LBB58_35
; %bb.32:
	v_dual_mov_b32 v1, 0 :: v_dual_add_nc_u32 v8, 0x3b0, v13
	v_mov_b32_e32 v3, 0
	v_dual_mov_b32 v2, 0 :: v_dual_add_nc_u32 v7, -1, v0
	v_mov_b32_e32 v4, 0
	v_or_b32_e32 v9, 8, v14
	s_mov_b32 s1, 0
.LBB58_33:                              ; =>This Inner Loop Header: Depth=1
	scratch_load_b128 v[15:18], v9, off offset:-8
	ds_load_b128 v[19:22], v8
	v_add_nc_u32_e32 v7, 1, v7
	v_add_nc_u32_e32 v8, 16, v8
	v_add_nc_u32_e32 v9, 16, v9
	s_delay_alu instid0(VALU_DEP_3)
	v_cmp_lt_u32_e32 vcc_lo, 3, v7
	s_wait_alu 0xfffe
	s_or_b32 s1, vcc_lo, s1
	s_wait_loadcnt_dscnt 0x0
	v_mul_f64_e32 v[10:11], v[21:22], v[17:18]
	v_mul_f64_e32 v[17:18], v[19:20], v[17:18]
	s_delay_alu instid0(VALU_DEP_2) | instskip(NEXT) | instid1(VALU_DEP_2)
	v_fma_f64 v[10:11], v[19:20], v[15:16], -v[10:11]
	v_fma_f64 v[15:16], v[21:22], v[15:16], v[17:18]
	s_delay_alu instid0(VALU_DEP_2) | instskip(NEXT) | instid1(VALU_DEP_2)
	v_add_f64_e32 v[3:4], v[3:4], v[10:11]
	v_add_f64_e32 v[1:2], v[1:2], v[15:16]
	s_wait_alu 0xfffe
	s_and_not1_b32 exec_lo, exec_lo, s1
	s_cbranch_execnz .LBB58_33
; %bb.34:
	s_or_b32 exec_lo, exec_lo, s1
	v_mov_b32_e32 v7, 0
	ds_load_b128 v[7:10], v7 offset:80
	s_wait_dscnt 0x0
	v_mul_f64_e32 v[11:12], v[1:2], v[9:10]
	v_mul_f64_e32 v[15:16], v[3:4], v[9:10]
	s_delay_alu instid0(VALU_DEP_2) | instskip(NEXT) | instid1(VALU_DEP_2)
	v_fma_f64 v[9:10], v[3:4], v[7:8], -v[11:12]
	v_fma_f64 v[11:12], v[1:2], v[7:8], v[15:16]
	scratch_store_b128 off, v[9:12], off offset:96
.LBB58_35:
	s_wait_alu 0xfffe
	s_or_b32 exec_lo, exec_lo, s0
	s_wait_loadcnt 0x0
	s_wait_storecnt 0x0
	s_barrier_signal -1
	s_barrier_wait -1
	global_inv scope:SCOPE_SE
	scratch_load_b128 v[1:4], off, s66
	s_mov_b32 s0, exec_lo
	s_wait_loadcnt 0x0
	ds_store_b128 v5, v[1:4]
	s_wait_dscnt 0x0
	s_barrier_signal -1
	s_barrier_wait -1
	global_inv scope:SCOPE_SE
	v_cmpx_gt_u32_e32 6, v0
	s_cbranch_execz .LBB58_39
; %bb.36:
	v_dual_mov_b32 v1, 0 :: v_dual_add_nc_u32 v8, 0x3b0, v13
	v_mov_b32_e32 v3, 0
	v_dual_mov_b32 v2, 0 :: v_dual_add_nc_u32 v7, -1, v0
	v_mov_b32_e32 v4, 0
	v_or_b32_e32 v9, 8, v14
	s_mov_b32 s1, 0
.LBB58_37:                              ; =>This Inner Loop Header: Depth=1
	scratch_load_b128 v[15:18], v9, off offset:-8
	ds_load_b128 v[19:22], v8
	v_add_nc_u32_e32 v7, 1, v7
	v_add_nc_u32_e32 v8, 16, v8
	v_add_nc_u32_e32 v9, 16, v9
	s_delay_alu instid0(VALU_DEP_3)
	v_cmp_lt_u32_e32 vcc_lo, 4, v7
	s_wait_alu 0xfffe
	s_or_b32 s1, vcc_lo, s1
	s_wait_loadcnt_dscnt 0x0
	v_mul_f64_e32 v[10:11], v[21:22], v[17:18]
	v_mul_f64_e32 v[17:18], v[19:20], v[17:18]
	s_delay_alu instid0(VALU_DEP_2) | instskip(NEXT) | instid1(VALU_DEP_2)
	v_fma_f64 v[10:11], v[19:20], v[15:16], -v[10:11]
	v_fma_f64 v[15:16], v[21:22], v[15:16], v[17:18]
	s_delay_alu instid0(VALU_DEP_2) | instskip(NEXT) | instid1(VALU_DEP_2)
	v_add_f64_e32 v[3:4], v[3:4], v[10:11]
	v_add_f64_e32 v[1:2], v[1:2], v[15:16]
	s_wait_alu 0xfffe
	s_and_not1_b32 exec_lo, exec_lo, s1
	s_cbranch_execnz .LBB58_37
; %bb.38:
	s_or_b32 exec_lo, exec_lo, s1
	v_mov_b32_e32 v7, 0
	ds_load_b128 v[7:10], v7 offset:96
	s_wait_dscnt 0x0
	v_mul_f64_e32 v[11:12], v[1:2], v[9:10]
	v_mul_f64_e32 v[15:16], v[3:4], v[9:10]
	s_delay_alu instid0(VALU_DEP_2) | instskip(NEXT) | instid1(VALU_DEP_2)
	v_fma_f64 v[9:10], v[3:4], v[7:8], -v[11:12]
	v_fma_f64 v[11:12], v[1:2], v[7:8], v[15:16]
	scratch_store_b128 off, v[9:12], off offset:112
.LBB58_39:
	s_wait_alu 0xfffe
	s_or_b32 exec_lo, exec_lo, s0
	s_wait_loadcnt 0x0
	s_wait_storecnt 0x0
	s_barrier_signal -1
	s_barrier_wait -1
	global_inv scope:SCOPE_SE
	scratch_load_b128 v[1:4], off, s65
	s_mov_b32 s0, exec_lo
	s_wait_loadcnt 0x0
	ds_store_b128 v5, v[1:4]
	s_wait_dscnt 0x0
	s_barrier_signal -1
	s_barrier_wait -1
	global_inv scope:SCOPE_SE
	v_cmpx_gt_u32_e32 7, v0
	s_cbranch_execz .LBB58_43
; %bb.40:
	v_dual_mov_b32 v1, 0 :: v_dual_add_nc_u32 v8, 0x3b0, v13
	v_mov_b32_e32 v3, 0
	v_dual_mov_b32 v2, 0 :: v_dual_add_nc_u32 v7, -1, v0
	v_mov_b32_e32 v4, 0
	v_or_b32_e32 v9, 8, v14
	s_mov_b32 s1, 0
.LBB58_41:                              ; =>This Inner Loop Header: Depth=1
	scratch_load_b128 v[15:18], v9, off offset:-8
	ds_load_b128 v[19:22], v8
	v_add_nc_u32_e32 v7, 1, v7
	v_add_nc_u32_e32 v8, 16, v8
	v_add_nc_u32_e32 v9, 16, v9
	s_delay_alu instid0(VALU_DEP_3)
	v_cmp_lt_u32_e32 vcc_lo, 5, v7
	s_wait_alu 0xfffe
	s_or_b32 s1, vcc_lo, s1
	s_wait_loadcnt_dscnt 0x0
	v_mul_f64_e32 v[10:11], v[21:22], v[17:18]
	v_mul_f64_e32 v[17:18], v[19:20], v[17:18]
	s_delay_alu instid0(VALU_DEP_2) | instskip(NEXT) | instid1(VALU_DEP_2)
	v_fma_f64 v[10:11], v[19:20], v[15:16], -v[10:11]
	v_fma_f64 v[15:16], v[21:22], v[15:16], v[17:18]
	s_delay_alu instid0(VALU_DEP_2) | instskip(NEXT) | instid1(VALU_DEP_2)
	v_add_f64_e32 v[3:4], v[3:4], v[10:11]
	v_add_f64_e32 v[1:2], v[1:2], v[15:16]
	s_wait_alu 0xfffe
	s_and_not1_b32 exec_lo, exec_lo, s1
	s_cbranch_execnz .LBB58_41
; %bb.42:
	s_or_b32 exec_lo, exec_lo, s1
	v_mov_b32_e32 v7, 0
	ds_load_b128 v[7:10], v7 offset:112
	s_wait_dscnt 0x0
	v_mul_f64_e32 v[11:12], v[1:2], v[9:10]
	v_mul_f64_e32 v[15:16], v[3:4], v[9:10]
	s_delay_alu instid0(VALU_DEP_2) | instskip(NEXT) | instid1(VALU_DEP_2)
	v_fma_f64 v[9:10], v[3:4], v[7:8], -v[11:12]
	v_fma_f64 v[11:12], v[1:2], v[7:8], v[15:16]
	scratch_store_b128 off, v[9:12], off offset:128
.LBB58_43:
	s_wait_alu 0xfffe
	s_or_b32 exec_lo, exec_lo, s0
	s_wait_loadcnt 0x0
	s_wait_storecnt 0x0
	s_barrier_signal -1
	s_barrier_wait -1
	global_inv scope:SCOPE_SE
	scratch_load_b128 v[1:4], off, s64
	s_mov_b32 s0, exec_lo
	s_wait_loadcnt 0x0
	ds_store_b128 v5, v[1:4]
	s_wait_dscnt 0x0
	s_barrier_signal -1
	s_barrier_wait -1
	global_inv scope:SCOPE_SE
	v_cmpx_gt_u32_e32 8, v0
	s_cbranch_execz .LBB58_47
; %bb.44:
	v_dual_mov_b32 v1, 0 :: v_dual_add_nc_u32 v8, 0x3b0, v13
	v_mov_b32_e32 v3, 0
	v_dual_mov_b32 v2, 0 :: v_dual_add_nc_u32 v7, -1, v0
	v_mov_b32_e32 v4, 0
	v_or_b32_e32 v9, 8, v14
	s_mov_b32 s1, 0
.LBB58_45:                              ; =>This Inner Loop Header: Depth=1
	scratch_load_b128 v[15:18], v9, off offset:-8
	ds_load_b128 v[19:22], v8
	v_add_nc_u32_e32 v7, 1, v7
	v_add_nc_u32_e32 v8, 16, v8
	v_add_nc_u32_e32 v9, 16, v9
	s_delay_alu instid0(VALU_DEP_3)
	v_cmp_lt_u32_e32 vcc_lo, 6, v7
	s_wait_alu 0xfffe
	s_or_b32 s1, vcc_lo, s1
	s_wait_loadcnt_dscnt 0x0
	v_mul_f64_e32 v[10:11], v[21:22], v[17:18]
	v_mul_f64_e32 v[17:18], v[19:20], v[17:18]
	s_delay_alu instid0(VALU_DEP_2) | instskip(NEXT) | instid1(VALU_DEP_2)
	v_fma_f64 v[10:11], v[19:20], v[15:16], -v[10:11]
	v_fma_f64 v[15:16], v[21:22], v[15:16], v[17:18]
	s_delay_alu instid0(VALU_DEP_2) | instskip(NEXT) | instid1(VALU_DEP_2)
	v_add_f64_e32 v[3:4], v[3:4], v[10:11]
	v_add_f64_e32 v[1:2], v[1:2], v[15:16]
	s_wait_alu 0xfffe
	s_and_not1_b32 exec_lo, exec_lo, s1
	s_cbranch_execnz .LBB58_45
; %bb.46:
	s_or_b32 exec_lo, exec_lo, s1
	v_mov_b32_e32 v7, 0
	ds_load_b128 v[7:10], v7 offset:128
	s_wait_dscnt 0x0
	v_mul_f64_e32 v[11:12], v[1:2], v[9:10]
	v_mul_f64_e32 v[15:16], v[3:4], v[9:10]
	s_delay_alu instid0(VALU_DEP_2) | instskip(NEXT) | instid1(VALU_DEP_2)
	v_fma_f64 v[9:10], v[3:4], v[7:8], -v[11:12]
	v_fma_f64 v[11:12], v[1:2], v[7:8], v[15:16]
	scratch_store_b128 off, v[9:12], off offset:144
.LBB58_47:
	s_wait_alu 0xfffe
	s_or_b32 exec_lo, exec_lo, s0
	s_wait_loadcnt 0x0
	s_wait_storecnt 0x0
	s_barrier_signal -1
	s_barrier_wait -1
	global_inv scope:SCOPE_SE
	scratch_load_b128 v[1:4], off, s63
	s_mov_b32 s0, exec_lo
	s_wait_loadcnt 0x0
	ds_store_b128 v5, v[1:4]
	s_wait_dscnt 0x0
	s_barrier_signal -1
	s_barrier_wait -1
	global_inv scope:SCOPE_SE
	v_cmpx_gt_u32_e32 9, v0
	s_cbranch_execz .LBB58_51
; %bb.48:
	v_dual_mov_b32 v1, 0 :: v_dual_add_nc_u32 v8, 0x3b0, v13
	v_mov_b32_e32 v3, 0
	v_dual_mov_b32 v2, 0 :: v_dual_add_nc_u32 v7, -1, v0
	v_mov_b32_e32 v4, 0
	v_or_b32_e32 v9, 8, v14
	s_mov_b32 s1, 0
.LBB58_49:                              ; =>This Inner Loop Header: Depth=1
	scratch_load_b128 v[15:18], v9, off offset:-8
	ds_load_b128 v[19:22], v8
	v_add_nc_u32_e32 v7, 1, v7
	v_add_nc_u32_e32 v8, 16, v8
	v_add_nc_u32_e32 v9, 16, v9
	s_delay_alu instid0(VALU_DEP_3)
	v_cmp_lt_u32_e32 vcc_lo, 7, v7
	s_wait_alu 0xfffe
	s_or_b32 s1, vcc_lo, s1
	s_wait_loadcnt_dscnt 0x0
	v_mul_f64_e32 v[10:11], v[21:22], v[17:18]
	v_mul_f64_e32 v[17:18], v[19:20], v[17:18]
	s_delay_alu instid0(VALU_DEP_2) | instskip(NEXT) | instid1(VALU_DEP_2)
	v_fma_f64 v[10:11], v[19:20], v[15:16], -v[10:11]
	v_fma_f64 v[15:16], v[21:22], v[15:16], v[17:18]
	s_delay_alu instid0(VALU_DEP_2) | instskip(NEXT) | instid1(VALU_DEP_2)
	v_add_f64_e32 v[3:4], v[3:4], v[10:11]
	v_add_f64_e32 v[1:2], v[1:2], v[15:16]
	s_wait_alu 0xfffe
	s_and_not1_b32 exec_lo, exec_lo, s1
	s_cbranch_execnz .LBB58_49
; %bb.50:
	s_or_b32 exec_lo, exec_lo, s1
	v_mov_b32_e32 v7, 0
	ds_load_b128 v[7:10], v7 offset:144
	s_wait_dscnt 0x0
	v_mul_f64_e32 v[11:12], v[1:2], v[9:10]
	v_mul_f64_e32 v[15:16], v[3:4], v[9:10]
	s_delay_alu instid0(VALU_DEP_2) | instskip(NEXT) | instid1(VALU_DEP_2)
	v_fma_f64 v[9:10], v[3:4], v[7:8], -v[11:12]
	v_fma_f64 v[11:12], v[1:2], v[7:8], v[15:16]
	scratch_store_b128 off, v[9:12], off offset:160
.LBB58_51:
	s_wait_alu 0xfffe
	s_or_b32 exec_lo, exec_lo, s0
	s_wait_loadcnt 0x0
	s_wait_storecnt 0x0
	s_barrier_signal -1
	s_barrier_wait -1
	global_inv scope:SCOPE_SE
	scratch_load_b128 v[1:4], off, s62
	s_mov_b32 s0, exec_lo
	s_wait_loadcnt 0x0
	ds_store_b128 v5, v[1:4]
	s_wait_dscnt 0x0
	s_barrier_signal -1
	s_barrier_wait -1
	global_inv scope:SCOPE_SE
	v_cmpx_gt_u32_e32 10, v0
	s_cbranch_execz .LBB58_55
; %bb.52:
	v_dual_mov_b32 v1, 0 :: v_dual_add_nc_u32 v8, 0x3b0, v13
	v_mov_b32_e32 v3, 0
	v_dual_mov_b32 v2, 0 :: v_dual_add_nc_u32 v7, -1, v0
	v_mov_b32_e32 v4, 0
	v_or_b32_e32 v9, 8, v14
	s_mov_b32 s1, 0
.LBB58_53:                              ; =>This Inner Loop Header: Depth=1
	scratch_load_b128 v[15:18], v9, off offset:-8
	ds_load_b128 v[19:22], v8
	v_add_nc_u32_e32 v7, 1, v7
	v_add_nc_u32_e32 v8, 16, v8
	v_add_nc_u32_e32 v9, 16, v9
	s_delay_alu instid0(VALU_DEP_3)
	v_cmp_lt_u32_e32 vcc_lo, 8, v7
	s_wait_alu 0xfffe
	s_or_b32 s1, vcc_lo, s1
	s_wait_loadcnt_dscnt 0x0
	v_mul_f64_e32 v[10:11], v[21:22], v[17:18]
	v_mul_f64_e32 v[17:18], v[19:20], v[17:18]
	s_delay_alu instid0(VALU_DEP_2) | instskip(NEXT) | instid1(VALU_DEP_2)
	v_fma_f64 v[10:11], v[19:20], v[15:16], -v[10:11]
	v_fma_f64 v[15:16], v[21:22], v[15:16], v[17:18]
	s_delay_alu instid0(VALU_DEP_2) | instskip(NEXT) | instid1(VALU_DEP_2)
	v_add_f64_e32 v[3:4], v[3:4], v[10:11]
	v_add_f64_e32 v[1:2], v[1:2], v[15:16]
	s_wait_alu 0xfffe
	s_and_not1_b32 exec_lo, exec_lo, s1
	s_cbranch_execnz .LBB58_53
; %bb.54:
	s_or_b32 exec_lo, exec_lo, s1
	v_mov_b32_e32 v7, 0
	ds_load_b128 v[7:10], v7 offset:160
	s_wait_dscnt 0x0
	v_mul_f64_e32 v[11:12], v[1:2], v[9:10]
	v_mul_f64_e32 v[15:16], v[3:4], v[9:10]
	s_delay_alu instid0(VALU_DEP_2) | instskip(NEXT) | instid1(VALU_DEP_2)
	v_fma_f64 v[9:10], v[3:4], v[7:8], -v[11:12]
	v_fma_f64 v[11:12], v[1:2], v[7:8], v[15:16]
	scratch_store_b128 off, v[9:12], off offset:176
.LBB58_55:
	s_wait_alu 0xfffe
	s_or_b32 exec_lo, exec_lo, s0
	s_wait_loadcnt 0x0
	s_wait_storecnt 0x0
	s_barrier_signal -1
	s_barrier_wait -1
	global_inv scope:SCOPE_SE
	scratch_load_b128 v[1:4], off, s61
	s_mov_b32 s0, exec_lo
	s_wait_loadcnt 0x0
	ds_store_b128 v5, v[1:4]
	s_wait_dscnt 0x0
	s_barrier_signal -1
	s_barrier_wait -1
	global_inv scope:SCOPE_SE
	v_cmpx_gt_u32_e32 11, v0
	s_cbranch_execz .LBB58_59
; %bb.56:
	v_dual_mov_b32 v1, 0 :: v_dual_add_nc_u32 v8, 0x3b0, v13
	v_mov_b32_e32 v3, 0
	v_dual_mov_b32 v2, 0 :: v_dual_add_nc_u32 v7, -1, v0
	v_mov_b32_e32 v4, 0
	v_or_b32_e32 v9, 8, v14
	s_mov_b32 s1, 0
.LBB58_57:                              ; =>This Inner Loop Header: Depth=1
	scratch_load_b128 v[15:18], v9, off offset:-8
	ds_load_b128 v[19:22], v8
	v_add_nc_u32_e32 v7, 1, v7
	v_add_nc_u32_e32 v8, 16, v8
	v_add_nc_u32_e32 v9, 16, v9
	s_delay_alu instid0(VALU_DEP_3)
	v_cmp_lt_u32_e32 vcc_lo, 9, v7
	s_wait_alu 0xfffe
	s_or_b32 s1, vcc_lo, s1
	s_wait_loadcnt_dscnt 0x0
	v_mul_f64_e32 v[10:11], v[21:22], v[17:18]
	v_mul_f64_e32 v[17:18], v[19:20], v[17:18]
	s_delay_alu instid0(VALU_DEP_2) | instskip(NEXT) | instid1(VALU_DEP_2)
	v_fma_f64 v[10:11], v[19:20], v[15:16], -v[10:11]
	v_fma_f64 v[15:16], v[21:22], v[15:16], v[17:18]
	s_delay_alu instid0(VALU_DEP_2) | instskip(NEXT) | instid1(VALU_DEP_2)
	v_add_f64_e32 v[3:4], v[3:4], v[10:11]
	v_add_f64_e32 v[1:2], v[1:2], v[15:16]
	s_wait_alu 0xfffe
	s_and_not1_b32 exec_lo, exec_lo, s1
	s_cbranch_execnz .LBB58_57
; %bb.58:
	s_or_b32 exec_lo, exec_lo, s1
	v_mov_b32_e32 v7, 0
	ds_load_b128 v[7:10], v7 offset:176
	s_wait_dscnt 0x0
	v_mul_f64_e32 v[11:12], v[1:2], v[9:10]
	v_mul_f64_e32 v[15:16], v[3:4], v[9:10]
	s_delay_alu instid0(VALU_DEP_2) | instskip(NEXT) | instid1(VALU_DEP_2)
	v_fma_f64 v[9:10], v[3:4], v[7:8], -v[11:12]
	v_fma_f64 v[11:12], v[1:2], v[7:8], v[15:16]
	scratch_store_b128 off, v[9:12], off offset:192
.LBB58_59:
	s_wait_alu 0xfffe
	s_or_b32 exec_lo, exec_lo, s0
	s_wait_loadcnt 0x0
	s_wait_storecnt 0x0
	s_barrier_signal -1
	s_barrier_wait -1
	global_inv scope:SCOPE_SE
	scratch_load_b128 v[1:4], off, s60
	s_mov_b32 s0, exec_lo
	s_wait_loadcnt 0x0
	ds_store_b128 v5, v[1:4]
	s_wait_dscnt 0x0
	s_barrier_signal -1
	s_barrier_wait -1
	global_inv scope:SCOPE_SE
	v_cmpx_gt_u32_e32 12, v0
	s_cbranch_execz .LBB58_63
; %bb.60:
	v_dual_mov_b32 v1, 0 :: v_dual_add_nc_u32 v8, 0x3b0, v13
	v_mov_b32_e32 v3, 0
	v_dual_mov_b32 v2, 0 :: v_dual_add_nc_u32 v7, -1, v0
	v_mov_b32_e32 v4, 0
	v_or_b32_e32 v9, 8, v14
	s_mov_b32 s1, 0
.LBB58_61:                              ; =>This Inner Loop Header: Depth=1
	scratch_load_b128 v[15:18], v9, off offset:-8
	ds_load_b128 v[19:22], v8
	v_add_nc_u32_e32 v7, 1, v7
	v_add_nc_u32_e32 v8, 16, v8
	v_add_nc_u32_e32 v9, 16, v9
	s_delay_alu instid0(VALU_DEP_3)
	v_cmp_lt_u32_e32 vcc_lo, 10, v7
	s_wait_alu 0xfffe
	s_or_b32 s1, vcc_lo, s1
	s_wait_loadcnt_dscnt 0x0
	v_mul_f64_e32 v[10:11], v[21:22], v[17:18]
	v_mul_f64_e32 v[17:18], v[19:20], v[17:18]
	s_delay_alu instid0(VALU_DEP_2) | instskip(NEXT) | instid1(VALU_DEP_2)
	v_fma_f64 v[10:11], v[19:20], v[15:16], -v[10:11]
	v_fma_f64 v[15:16], v[21:22], v[15:16], v[17:18]
	s_delay_alu instid0(VALU_DEP_2) | instskip(NEXT) | instid1(VALU_DEP_2)
	v_add_f64_e32 v[3:4], v[3:4], v[10:11]
	v_add_f64_e32 v[1:2], v[1:2], v[15:16]
	s_wait_alu 0xfffe
	s_and_not1_b32 exec_lo, exec_lo, s1
	s_cbranch_execnz .LBB58_61
; %bb.62:
	s_or_b32 exec_lo, exec_lo, s1
	v_mov_b32_e32 v7, 0
	ds_load_b128 v[7:10], v7 offset:192
	s_wait_dscnt 0x0
	v_mul_f64_e32 v[11:12], v[1:2], v[9:10]
	v_mul_f64_e32 v[15:16], v[3:4], v[9:10]
	s_delay_alu instid0(VALU_DEP_2) | instskip(NEXT) | instid1(VALU_DEP_2)
	v_fma_f64 v[9:10], v[3:4], v[7:8], -v[11:12]
	v_fma_f64 v[11:12], v[1:2], v[7:8], v[15:16]
	scratch_store_b128 off, v[9:12], off offset:208
.LBB58_63:
	s_wait_alu 0xfffe
	s_or_b32 exec_lo, exec_lo, s0
	s_wait_loadcnt 0x0
	s_wait_storecnt 0x0
	s_barrier_signal -1
	s_barrier_wait -1
	global_inv scope:SCOPE_SE
	scratch_load_b128 v[1:4], off, s59
	s_mov_b32 s0, exec_lo
	s_wait_loadcnt 0x0
	ds_store_b128 v5, v[1:4]
	s_wait_dscnt 0x0
	s_barrier_signal -1
	s_barrier_wait -1
	global_inv scope:SCOPE_SE
	v_cmpx_gt_u32_e32 13, v0
	s_cbranch_execz .LBB58_67
; %bb.64:
	v_dual_mov_b32 v1, 0 :: v_dual_add_nc_u32 v8, 0x3b0, v13
	v_mov_b32_e32 v3, 0
	v_dual_mov_b32 v2, 0 :: v_dual_add_nc_u32 v7, -1, v0
	v_mov_b32_e32 v4, 0
	v_or_b32_e32 v9, 8, v14
	s_mov_b32 s1, 0
.LBB58_65:                              ; =>This Inner Loop Header: Depth=1
	scratch_load_b128 v[15:18], v9, off offset:-8
	ds_load_b128 v[19:22], v8
	v_add_nc_u32_e32 v7, 1, v7
	v_add_nc_u32_e32 v8, 16, v8
	v_add_nc_u32_e32 v9, 16, v9
	s_delay_alu instid0(VALU_DEP_3)
	v_cmp_lt_u32_e32 vcc_lo, 11, v7
	s_wait_alu 0xfffe
	s_or_b32 s1, vcc_lo, s1
	s_wait_loadcnt_dscnt 0x0
	v_mul_f64_e32 v[10:11], v[21:22], v[17:18]
	v_mul_f64_e32 v[17:18], v[19:20], v[17:18]
	s_delay_alu instid0(VALU_DEP_2) | instskip(NEXT) | instid1(VALU_DEP_2)
	v_fma_f64 v[10:11], v[19:20], v[15:16], -v[10:11]
	v_fma_f64 v[15:16], v[21:22], v[15:16], v[17:18]
	s_delay_alu instid0(VALU_DEP_2) | instskip(NEXT) | instid1(VALU_DEP_2)
	v_add_f64_e32 v[3:4], v[3:4], v[10:11]
	v_add_f64_e32 v[1:2], v[1:2], v[15:16]
	s_wait_alu 0xfffe
	s_and_not1_b32 exec_lo, exec_lo, s1
	s_cbranch_execnz .LBB58_65
; %bb.66:
	s_or_b32 exec_lo, exec_lo, s1
	v_mov_b32_e32 v7, 0
	ds_load_b128 v[7:10], v7 offset:208
	s_wait_dscnt 0x0
	v_mul_f64_e32 v[11:12], v[1:2], v[9:10]
	v_mul_f64_e32 v[15:16], v[3:4], v[9:10]
	s_delay_alu instid0(VALU_DEP_2) | instskip(NEXT) | instid1(VALU_DEP_2)
	v_fma_f64 v[9:10], v[3:4], v[7:8], -v[11:12]
	v_fma_f64 v[11:12], v[1:2], v[7:8], v[15:16]
	scratch_store_b128 off, v[9:12], off offset:224
.LBB58_67:
	s_wait_alu 0xfffe
	s_or_b32 exec_lo, exec_lo, s0
	s_wait_loadcnt 0x0
	s_wait_storecnt 0x0
	s_barrier_signal -1
	s_barrier_wait -1
	global_inv scope:SCOPE_SE
	scratch_load_b128 v[1:4], off, s58
	s_mov_b32 s0, exec_lo
	s_wait_loadcnt 0x0
	ds_store_b128 v5, v[1:4]
	s_wait_dscnt 0x0
	s_barrier_signal -1
	s_barrier_wait -1
	global_inv scope:SCOPE_SE
	v_cmpx_gt_u32_e32 14, v0
	s_cbranch_execz .LBB58_71
; %bb.68:
	v_dual_mov_b32 v1, 0 :: v_dual_add_nc_u32 v8, 0x3b0, v13
	v_mov_b32_e32 v3, 0
	v_dual_mov_b32 v2, 0 :: v_dual_add_nc_u32 v7, -1, v0
	v_mov_b32_e32 v4, 0
	v_or_b32_e32 v9, 8, v14
	s_mov_b32 s1, 0
.LBB58_69:                              ; =>This Inner Loop Header: Depth=1
	scratch_load_b128 v[15:18], v9, off offset:-8
	ds_load_b128 v[19:22], v8
	v_add_nc_u32_e32 v7, 1, v7
	v_add_nc_u32_e32 v8, 16, v8
	v_add_nc_u32_e32 v9, 16, v9
	s_delay_alu instid0(VALU_DEP_3)
	v_cmp_lt_u32_e32 vcc_lo, 12, v7
	s_wait_alu 0xfffe
	s_or_b32 s1, vcc_lo, s1
	s_wait_loadcnt_dscnt 0x0
	v_mul_f64_e32 v[10:11], v[21:22], v[17:18]
	v_mul_f64_e32 v[17:18], v[19:20], v[17:18]
	s_delay_alu instid0(VALU_DEP_2) | instskip(NEXT) | instid1(VALU_DEP_2)
	v_fma_f64 v[10:11], v[19:20], v[15:16], -v[10:11]
	v_fma_f64 v[15:16], v[21:22], v[15:16], v[17:18]
	s_delay_alu instid0(VALU_DEP_2) | instskip(NEXT) | instid1(VALU_DEP_2)
	v_add_f64_e32 v[3:4], v[3:4], v[10:11]
	v_add_f64_e32 v[1:2], v[1:2], v[15:16]
	s_wait_alu 0xfffe
	s_and_not1_b32 exec_lo, exec_lo, s1
	s_cbranch_execnz .LBB58_69
; %bb.70:
	s_or_b32 exec_lo, exec_lo, s1
	v_mov_b32_e32 v7, 0
	ds_load_b128 v[7:10], v7 offset:224
	s_wait_dscnt 0x0
	v_mul_f64_e32 v[11:12], v[1:2], v[9:10]
	v_mul_f64_e32 v[15:16], v[3:4], v[9:10]
	s_delay_alu instid0(VALU_DEP_2) | instskip(NEXT) | instid1(VALU_DEP_2)
	v_fma_f64 v[9:10], v[3:4], v[7:8], -v[11:12]
	v_fma_f64 v[11:12], v[1:2], v[7:8], v[15:16]
	scratch_store_b128 off, v[9:12], off offset:240
.LBB58_71:
	s_wait_alu 0xfffe
	s_or_b32 exec_lo, exec_lo, s0
	s_wait_loadcnt 0x0
	s_wait_storecnt 0x0
	s_barrier_signal -1
	s_barrier_wait -1
	global_inv scope:SCOPE_SE
	scratch_load_b128 v[1:4], off, s57
	s_mov_b32 s0, exec_lo
	s_wait_loadcnt 0x0
	ds_store_b128 v5, v[1:4]
	s_wait_dscnt 0x0
	s_barrier_signal -1
	s_barrier_wait -1
	global_inv scope:SCOPE_SE
	v_cmpx_gt_u32_e32 15, v0
	s_cbranch_execz .LBB58_75
; %bb.72:
	v_dual_mov_b32 v1, 0 :: v_dual_add_nc_u32 v8, 0x3b0, v13
	v_mov_b32_e32 v3, 0
	v_dual_mov_b32 v2, 0 :: v_dual_add_nc_u32 v7, -1, v0
	v_mov_b32_e32 v4, 0
	v_or_b32_e32 v9, 8, v14
	s_mov_b32 s1, 0
.LBB58_73:                              ; =>This Inner Loop Header: Depth=1
	scratch_load_b128 v[15:18], v9, off offset:-8
	ds_load_b128 v[19:22], v8
	v_add_nc_u32_e32 v7, 1, v7
	v_add_nc_u32_e32 v8, 16, v8
	v_add_nc_u32_e32 v9, 16, v9
	s_delay_alu instid0(VALU_DEP_3)
	v_cmp_lt_u32_e32 vcc_lo, 13, v7
	s_wait_alu 0xfffe
	s_or_b32 s1, vcc_lo, s1
	s_wait_loadcnt_dscnt 0x0
	v_mul_f64_e32 v[10:11], v[21:22], v[17:18]
	v_mul_f64_e32 v[17:18], v[19:20], v[17:18]
	s_delay_alu instid0(VALU_DEP_2) | instskip(NEXT) | instid1(VALU_DEP_2)
	v_fma_f64 v[10:11], v[19:20], v[15:16], -v[10:11]
	v_fma_f64 v[15:16], v[21:22], v[15:16], v[17:18]
	s_delay_alu instid0(VALU_DEP_2) | instskip(NEXT) | instid1(VALU_DEP_2)
	v_add_f64_e32 v[3:4], v[3:4], v[10:11]
	v_add_f64_e32 v[1:2], v[1:2], v[15:16]
	s_wait_alu 0xfffe
	s_and_not1_b32 exec_lo, exec_lo, s1
	s_cbranch_execnz .LBB58_73
; %bb.74:
	s_or_b32 exec_lo, exec_lo, s1
	v_mov_b32_e32 v7, 0
	ds_load_b128 v[7:10], v7 offset:240
	s_wait_dscnt 0x0
	v_mul_f64_e32 v[11:12], v[1:2], v[9:10]
	v_mul_f64_e32 v[15:16], v[3:4], v[9:10]
	s_delay_alu instid0(VALU_DEP_2) | instskip(NEXT) | instid1(VALU_DEP_2)
	v_fma_f64 v[9:10], v[3:4], v[7:8], -v[11:12]
	v_fma_f64 v[11:12], v[1:2], v[7:8], v[15:16]
	scratch_store_b128 off, v[9:12], off offset:256
.LBB58_75:
	s_wait_alu 0xfffe
	s_or_b32 exec_lo, exec_lo, s0
	s_wait_loadcnt 0x0
	s_wait_storecnt 0x0
	s_barrier_signal -1
	s_barrier_wait -1
	global_inv scope:SCOPE_SE
	scratch_load_b128 v[1:4], off, s56
	s_mov_b32 s0, exec_lo
	s_wait_loadcnt 0x0
	ds_store_b128 v5, v[1:4]
	s_wait_dscnt 0x0
	s_barrier_signal -1
	s_barrier_wait -1
	global_inv scope:SCOPE_SE
	v_cmpx_gt_u32_e32 16, v0
	s_cbranch_execz .LBB58_79
; %bb.76:
	v_dual_mov_b32 v1, 0 :: v_dual_add_nc_u32 v8, 0x3b0, v13
	v_mov_b32_e32 v3, 0
	v_dual_mov_b32 v2, 0 :: v_dual_add_nc_u32 v7, -1, v0
	v_mov_b32_e32 v4, 0
	v_or_b32_e32 v9, 8, v14
	s_mov_b32 s1, 0
.LBB58_77:                              ; =>This Inner Loop Header: Depth=1
	scratch_load_b128 v[15:18], v9, off offset:-8
	ds_load_b128 v[19:22], v8
	v_add_nc_u32_e32 v7, 1, v7
	v_add_nc_u32_e32 v8, 16, v8
	v_add_nc_u32_e32 v9, 16, v9
	s_delay_alu instid0(VALU_DEP_3)
	v_cmp_lt_u32_e32 vcc_lo, 14, v7
	s_wait_alu 0xfffe
	s_or_b32 s1, vcc_lo, s1
	s_wait_loadcnt_dscnt 0x0
	v_mul_f64_e32 v[10:11], v[21:22], v[17:18]
	v_mul_f64_e32 v[17:18], v[19:20], v[17:18]
	s_delay_alu instid0(VALU_DEP_2) | instskip(NEXT) | instid1(VALU_DEP_2)
	v_fma_f64 v[10:11], v[19:20], v[15:16], -v[10:11]
	v_fma_f64 v[15:16], v[21:22], v[15:16], v[17:18]
	s_delay_alu instid0(VALU_DEP_2) | instskip(NEXT) | instid1(VALU_DEP_2)
	v_add_f64_e32 v[3:4], v[3:4], v[10:11]
	v_add_f64_e32 v[1:2], v[1:2], v[15:16]
	s_wait_alu 0xfffe
	s_and_not1_b32 exec_lo, exec_lo, s1
	s_cbranch_execnz .LBB58_77
; %bb.78:
	s_or_b32 exec_lo, exec_lo, s1
	v_mov_b32_e32 v7, 0
	ds_load_b128 v[7:10], v7 offset:256
	s_wait_dscnt 0x0
	v_mul_f64_e32 v[11:12], v[1:2], v[9:10]
	v_mul_f64_e32 v[15:16], v[3:4], v[9:10]
	s_delay_alu instid0(VALU_DEP_2) | instskip(NEXT) | instid1(VALU_DEP_2)
	v_fma_f64 v[9:10], v[3:4], v[7:8], -v[11:12]
	v_fma_f64 v[11:12], v[1:2], v[7:8], v[15:16]
	scratch_store_b128 off, v[9:12], off offset:272
.LBB58_79:
	s_wait_alu 0xfffe
	s_or_b32 exec_lo, exec_lo, s0
	s_wait_loadcnt 0x0
	s_wait_storecnt 0x0
	s_barrier_signal -1
	s_barrier_wait -1
	global_inv scope:SCOPE_SE
	scratch_load_b128 v[1:4], off, s55
	s_mov_b32 s0, exec_lo
	s_wait_loadcnt 0x0
	ds_store_b128 v5, v[1:4]
	s_wait_dscnt 0x0
	s_barrier_signal -1
	s_barrier_wait -1
	global_inv scope:SCOPE_SE
	v_cmpx_gt_u32_e32 17, v0
	s_cbranch_execz .LBB58_83
; %bb.80:
	v_dual_mov_b32 v1, 0 :: v_dual_add_nc_u32 v8, 0x3b0, v13
	v_mov_b32_e32 v3, 0
	v_dual_mov_b32 v2, 0 :: v_dual_add_nc_u32 v7, -1, v0
	v_mov_b32_e32 v4, 0
	v_or_b32_e32 v9, 8, v14
	s_mov_b32 s1, 0
.LBB58_81:                              ; =>This Inner Loop Header: Depth=1
	scratch_load_b128 v[15:18], v9, off offset:-8
	ds_load_b128 v[19:22], v8
	v_add_nc_u32_e32 v7, 1, v7
	v_add_nc_u32_e32 v8, 16, v8
	v_add_nc_u32_e32 v9, 16, v9
	s_delay_alu instid0(VALU_DEP_3)
	v_cmp_lt_u32_e32 vcc_lo, 15, v7
	s_wait_alu 0xfffe
	s_or_b32 s1, vcc_lo, s1
	s_wait_loadcnt_dscnt 0x0
	v_mul_f64_e32 v[10:11], v[21:22], v[17:18]
	v_mul_f64_e32 v[17:18], v[19:20], v[17:18]
	s_delay_alu instid0(VALU_DEP_2) | instskip(NEXT) | instid1(VALU_DEP_2)
	v_fma_f64 v[10:11], v[19:20], v[15:16], -v[10:11]
	v_fma_f64 v[15:16], v[21:22], v[15:16], v[17:18]
	s_delay_alu instid0(VALU_DEP_2) | instskip(NEXT) | instid1(VALU_DEP_2)
	v_add_f64_e32 v[3:4], v[3:4], v[10:11]
	v_add_f64_e32 v[1:2], v[1:2], v[15:16]
	s_wait_alu 0xfffe
	s_and_not1_b32 exec_lo, exec_lo, s1
	s_cbranch_execnz .LBB58_81
; %bb.82:
	s_or_b32 exec_lo, exec_lo, s1
	v_mov_b32_e32 v7, 0
	ds_load_b128 v[7:10], v7 offset:272
	s_wait_dscnt 0x0
	v_mul_f64_e32 v[11:12], v[1:2], v[9:10]
	v_mul_f64_e32 v[15:16], v[3:4], v[9:10]
	s_delay_alu instid0(VALU_DEP_2) | instskip(NEXT) | instid1(VALU_DEP_2)
	v_fma_f64 v[9:10], v[3:4], v[7:8], -v[11:12]
	v_fma_f64 v[11:12], v[1:2], v[7:8], v[15:16]
	scratch_store_b128 off, v[9:12], off offset:288
.LBB58_83:
	s_wait_alu 0xfffe
	s_or_b32 exec_lo, exec_lo, s0
	s_wait_loadcnt 0x0
	s_wait_storecnt 0x0
	s_barrier_signal -1
	s_barrier_wait -1
	global_inv scope:SCOPE_SE
	scratch_load_b128 v[1:4], off, s54
	s_mov_b32 s0, exec_lo
	s_wait_loadcnt 0x0
	ds_store_b128 v5, v[1:4]
	s_wait_dscnt 0x0
	s_barrier_signal -1
	s_barrier_wait -1
	global_inv scope:SCOPE_SE
	v_cmpx_gt_u32_e32 18, v0
	s_cbranch_execz .LBB58_87
; %bb.84:
	v_dual_mov_b32 v1, 0 :: v_dual_add_nc_u32 v8, 0x3b0, v13
	v_mov_b32_e32 v3, 0
	v_dual_mov_b32 v2, 0 :: v_dual_add_nc_u32 v7, -1, v0
	v_mov_b32_e32 v4, 0
	v_or_b32_e32 v9, 8, v14
	s_mov_b32 s1, 0
.LBB58_85:                              ; =>This Inner Loop Header: Depth=1
	scratch_load_b128 v[15:18], v9, off offset:-8
	ds_load_b128 v[19:22], v8
	v_add_nc_u32_e32 v7, 1, v7
	v_add_nc_u32_e32 v8, 16, v8
	v_add_nc_u32_e32 v9, 16, v9
	s_delay_alu instid0(VALU_DEP_3)
	v_cmp_lt_u32_e32 vcc_lo, 16, v7
	s_wait_alu 0xfffe
	s_or_b32 s1, vcc_lo, s1
	s_wait_loadcnt_dscnt 0x0
	v_mul_f64_e32 v[10:11], v[21:22], v[17:18]
	v_mul_f64_e32 v[17:18], v[19:20], v[17:18]
	s_delay_alu instid0(VALU_DEP_2) | instskip(NEXT) | instid1(VALU_DEP_2)
	v_fma_f64 v[10:11], v[19:20], v[15:16], -v[10:11]
	v_fma_f64 v[15:16], v[21:22], v[15:16], v[17:18]
	s_delay_alu instid0(VALU_DEP_2) | instskip(NEXT) | instid1(VALU_DEP_2)
	v_add_f64_e32 v[3:4], v[3:4], v[10:11]
	v_add_f64_e32 v[1:2], v[1:2], v[15:16]
	s_wait_alu 0xfffe
	s_and_not1_b32 exec_lo, exec_lo, s1
	s_cbranch_execnz .LBB58_85
; %bb.86:
	s_or_b32 exec_lo, exec_lo, s1
	v_mov_b32_e32 v7, 0
	ds_load_b128 v[7:10], v7 offset:288
	s_wait_dscnt 0x0
	v_mul_f64_e32 v[11:12], v[1:2], v[9:10]
	v_mul_f64_e32 v[15:16], v[3:4], v[9:10]
	s_delay_alu instid0(VALU_DEP_2) | instskip(NEXT) | instid1(VALU_DEP_2)
	v_fma_f64 v[9:10], v[3:4], v[7:8], -v[11:12]
	v_fma_f64 v[11:12], v[1:2], v[7:8], v[15:16]
	scratch_store_b128 off, v[9:12], off offset:304
.LBB58_87:
	s_wait_alu 0xfffe
	s_or_b32 exec_lo, exec_lo, s0
	s_wait_loadcnt 0x0
	s_wait_storecnt 0x0
	s_barrier_signal -1
	s_barrier_wait -1
	global_inv scope:SCOPE_SE
	scratch_load_b128 v[1:4], off, s53
	s_mov_b32 s0, exec_lo
	s_wait_loadcnt 0x0
	ds_store_b128 v5, v[1:4]
	s_wait_dscnt 0x0
	s_barrier_signal -1
	s_barrier_wait -1
	global_inv scope:SCOPE_SE
	v_cmpx_gt_u32_e32 19, v0
	s_cbranch_execz .LBB58_91
; %bb.88:
	v_dual_mov_b32 v1, 0 :: v_dual_add_nc_u32 v8, 0x3b0, v13
	v_mov_b32_e32 v3, 0
	v_dual_mov_b32 v2, 0 :: v_dual_add_nc_u32 v7, -1, v0
	v_mov_b32_e32 v4, 0
	v_or_b32_e32 v9, 8, v14
	s_mov_b32 s1, 0
.LBB58_89:                              ; =>This Inner Loop Header: Depth=1
	scratch_load_b128 v[15:18], v9, off offset:-8
	ds_load_b128 v[19:22], v8
	v_add_nc_u32_e32 v7, 1, v7
	v_add_nc_u32_e32 v8, 16, v8
	v_add_nc_u32_e32 v9, 16, v9
	s_delay_alu instid0(VALU_DEP_3)
	v_cmp_lt_u32_e32 vcc_lo, 17, v7
	s_wait_alu 0xfffe
	s_or_b32 s1, vcc_lo, s1
	s_wait_loadcnt_dscnt 0x0
	v_mul_f64_e32 v[10:11], v[21:22], v[17:18]
	v_mul_f64_e32 v[17:18], v[19:20], v[17:18]
	s_delay_alu instid0(VALU_DEP_2) | instskip(NEXT) | instid1(VALU_DEP_2)
	v_fma_f64 v[10:11], v[19:20], v[15:16], -v[10:11]
	v_fma_f64 v[15:16], v[21:22], v[15:16], v[17:18]
	s_delay_alu instid0(VALU_DEP_2) | instskip(NEXT) | instid1(VALU_DEP_2)
	v_add_f64_e32 v[3:4], v[3:4], v[10:11]
	v_add_f64_e32 v[1:2], v[1:2], v[15:16]
	s_wait_alu 0xfffe
	s_and_not1_b32 exec_lo, exec_lo, s1
	s_cbranch_execnz .LBB58_89
; %bb.90:
	s_or_b32 exec_lo, exec_lo, s1
	v_mov_b32_e32 v7, 0
	ds_load_b128 v[7:10], v7 offset:304
	s_wait_dscnt 0x0
	v_mul_f64_e32 v[11:12], v[1:2], v[9:10]
	v_mul_f64_e32 v[15:16], v[3:4], v[9:10]
	s_delay_alu instid0(VALU_DEP_2) | instskip(NEXT) | instid1(VALU_DEP_2)
	v_fma_f64 v[9:10], v[3:4], v[7:8], -v[11:12]
	v_fma_f64 v[11:12], v[1:2], v[7:8], v[15:16]
	scratch_store_b128 off, v[9:12], off offset:320
.LBB58_91:
	s_wait_alu 0xfffe
	s_or_b32 exec_lo, exec_lo, s0
	s_wait_loadcnt 0x0
	s_wait_storecnt 0x0
	s_barrier_signal -1
	s_barrier_wait -1
	global_inv scope:SCOPE_SE
	scratch_load_b128 v[1:4], off, s52
	s_mov_b32 s0, exec_lo
	s_wait_loadcnt 0x0
	ds_store_b128 v5, v[1:4]
	s_wait_dscnt 0x0
	s_barrier_signal -1
	s_barrier_wait -1
	global_inv scope:SCOPE_SE
	v_cmpx_gt_u32_e32 20, v0
	s_cbranch_execz .LBB58_95
; %bb.92:
	v_dual_mov_b32 v1, 0 :: v_dual_add_nc_u32 v8, 0x3b0, v13
	v_mov_b32_e32 v3, 0
	v_dual_mov_b32 v2, 0 :: v_dual_add_nc_u32 v7, -1, v0
	v_mov_b32_e32 v4, 0
	v_or_b32_e32 v9, 8, v14
	s_mov_b32 s1, 0
.LBB58_93:                              ; =>This Inner Loop Header: Depth=1
	scratch_load_b128 v[15:18], v9, off offset:-8
	ds_load_b128 v[19:22], v8
	v_add_nc_u32_e32 v7, 1, v7
	v_add_nc_u32_e32 v8, 16, v8
	v_add_nc_u32_e32 v9, 16, v9
	s_delay_alu instid0(VALU_DEP_3)
	v_cmp_lt_u32_e32 vcc_lo, 18, v7
	s_wait_alu 0xfffe
	s_or_b32 s1, vcc_lo, s1
	s_wait_loadcnt_dscnt 0x0
	v_mul_f64_e32 v[10:11], v[21:22], v[17:18]
	v_mul_f64_e32 v[17:18], v[19:20], v[17:18]
	s_delay_alu instid0(VALU_DEP_2) | instskip(NEXT) | instid1(VALU_DEP_2)
	v_fma_f64 v[10:11], v[19:20], v[15:16], -v[10:11]
	v_fma_f64 v[15:16], v[21:22], v[15:16], v[17:18]
	s_delay_alu instid0(VALU_DEP_2) | instskip(NEXT) | instid1(VALU_DEP_2)
	v_add_f64_e32 v[3:4], v[3:4], v[10:11]
	v_add_f64_e32 v[1:2], v[1:2], v[15:16]
	s_wait_alu 0xfffe
	s_and_not1_b32 exec_lo, exec_lo, s1
	s_cbranch_execnz .LBB58_93
; %bb.94:
	s_or_b32 exec_lo, exec_lo, s1
	v_mov_b32_e32 v7, 0
	ds_load_b128 v[7:10], v7 offset:320
	s_wait_dscnt 0x0
	v_mul_f64_e32 v[11:12], v[1:2], v[9:10]
	v_mul_f64_e32 v[15:16], v[3:4], v[9:10]
	s_delay_alu instid0(VALU_DEP_2) | instskip(NEXT) | instid1(VALU_DEP_2)
	v_fma_f64 v[9:10], v[3:4], v[7:8], -v[11:12]
	v_fma_f64 v[11:12], v[1:2], v[7:8], v[15:16]
	scratch_store_b128 off, v[9:12], off offset:336
.LBB58_95:
	s_wait_alu 0xfffe
	s_or_b32 exec_lo, exec_lo, s0
	s_wait_loadcnt 0x0
	s_wait_storecnt 0x0
	s_barrier_signal -1
	s_barrier_wait -1
	global_inv scope:SCOPE_SE
	scratch_load_b128 v[1:4], off, s51
	s_mov_b32 s0, exec_lo
	s_wait_loadcnt 0x0
	ds_store_b128 v5, v[1:4]
	s_wait_dscnt 0x0
	s_barrier_signal -1
	s_barrier_wait -1
	global_inv scope:SCOPE_SE
	v_cmpx_gt_u32_e32 21, v0
	s_cbranch_execz .LBB58_99
; %bb.96:
	v_dual_mov_b32 v1, 0 :: v_dual_add_nc_u32 v8, 0x3b0, v13
	v_mov_b32_e32 v3, 0
	v_dual_mov_b32 v2, 0 :: v_dual_add_nc_u32 v7, -1, v0
	v_mov_b32_e32 v4, 0
	v_or_b32_e32 v9, 8, v14
	s_mov_b32 s1, 0
.LBB58_97:                              ; =>This Inner Loop Header: Depth=1
	scratch_load_b128 v[15:18], v9, off offset:-8
	ds_load_b128 v[19:22], v8
	v_add_nc_u32_e32 v7, 1, v7
	v_add_nc_u32_e32 v8, 16, v8
	v_add_nc_u32_e32 v9, 16, v9
	s_delay_alu instid0(VALU_DEP_3)
	v_cmp_lt_u32_e32 vcc_lo, 19, v7
	s_wait_alu 0xfffe
	s_or_b32 s1, vcc_lo, s1
	s_wait_loadcnt_dscnt 0x0
	v_mul_f64_e32 v[10:11], v[21:22], v[17:18]
	v_mul_f64_e32 v[17:18], v[19:20], v[17:18]
	s_delay_alu instid0(VALU_DEP_2) | instskip(NEXT) | instid1(VALU_DEP_2)
	v_fma_f64 v[10:11], v[19:20], v[15:16], -v[10:11]
	v_fma_f64 v[15:16], v[21:22], v[15:16], v[17:18]
	s_delay_alu instid0(VALU_DEP_2) | instskip(NEXT) | instid1(VALU_DEP_2)
	v_add_f64_e32 v[3:4], v[3:4], v[10:11]
	v_add_f64_e32 v[1:2], v[1:2], v[15:16]
	s_wait_alu 0xfffe
	s_and_not1_b32 exec_lo, exec_lo, s1
	s_cbranch_execnz .LBB58_97
; %bb.98:
	s_or_b32 exec_lo, exec_lo, s1
	v_mov_b32_e32 v7, 0
	ds_load_b128 v[7:10], v7 offset:336
	s_wait_dscnt 0x0
	v_mul_f64_e32 v[11:12], v[1:2], v[9:10]
	v_mul_f64_e32 v[15:16], v[3:4], v[9:10]
	s_delay_alu instid0(VALU_DEP_2) | instskip(NEXT) | instid1(VALU_DEP_2)
	v_fma_f64 v[9:10], v[3:4], v[7:8], -v[11:12]
	v_fma_f64 v[11:12], v[1:2], v[7:8], v[15:16]
	scratch_store_b128 off, v[9:12], off offset:352
.LBB58_99:
	s_wait_alu 0xfffe
	s_or_b32 exec_lo, exec_lo, s0
	s_wait_loadcnt 0x0
	s_wait_storecnt 0x0
	s_barrier_signal -1
	s_barrier_wait -1
	global_inv scope:SCOPE_SE
	scratch_load_b128 v[1:4], off, s50
	s_mov_b32 s0, exec_lo
	s_wait_loadcnt 0x0
	ds_store_b128 v5, v[1:4]
	s_wait_dscnt 0x0
	s_barrier_signal -1
	s_barrier_wait -1
	global_inv scope:SCOPE_SE
	v_cmpx_gt_u32_e32 22, v0
	s_cbranch_execz .LBB58_103
; %bb.100:
	v_dual_mov_b32 v1, 0 :: v_dual_add_nc_u32 v8, 0x3b0, v13
	v_mov_b32_e32 v3, 0
	v_dual_mov_b32 v2, 0 :: v_dual_add_nc_u32 v7, -1, v0
	v_mov_b32_e32 v4, 0
	v_or_b32_e32 v9, 8, v14
	s_mov_b32 s1, 0
.LBB58_101:                             ; =>This Inner Loop Header: Depth=1
	scratch_load_b128 v[15:18], v9, off offset:-8
	ds_load_b128 v[19:22], v8
	v_add_nc_u32_e32 v7, 1, v7
	v_add_nc_u32_e32 v8, 16, v8
	v_add_nc_u32_e32 v9, 16, v9
	s_delay_alu instid0(VALU_DEP_3)
	v_cmp_lt_u32_e32 vcc_lo, 20, v7
	s_wait_alu 0xfffe
	s_or_b32 s1, vcc_lo, s1
	s_wait_loadcnt_dscnt 0x0
	v_mul_f64_e32 v[10:11], v[21:22], v[17:18]
	v_mul_f64_e32 v[17:18], v[19:20], v[17:18]
	s_delay_alu instid0(VALU_DEP_2) | instskip(NEXT) | instid1(VALU_DEP_2)
	v_fma_f64 v[10:11], v[19:20], v[15:16], -v[10:11]
	v_fma_f64 v[15:16], v[21:22], v[15:16], v[17:18]
	s_delay_alu instid0(VALU_DEP_2) | instskip(NEXT) | instid1(VALU_DEP_2)
	v_add_f64_e32 v[3:4], v[3:4], v[10:11]
	v_add_f64_e32 v[1:2], v[1:2], v[15:16]
	s_wait_alu 0xfffe
	s_and_not1_b32 exec_lo, exec_lo, s1
	s_cbranch_execnz .LBB58_101
; %bb.102:
	s_or_b32 exec_lo, exec_lo, s1
	v_mov_b32_e32 v7, 0
	ds_load_b128 v[7:10], v7 offset:352
	s_wait_dscnt 0x0
	v_mul_f64_e32 v[11:12], v[1:2], v[9:10]
	v_mul_f64_e32 v[15:16], v[3:4], v[9:10]
	s_delay_alu instid0(VALU_DEP_2) | instskip(NEXT) | instid1(VALU_DEP_2)
	v_fma_f64 v[9:10], v[3:4], v[7:8], -v[11:12]
	v_fma_f64 v[11:12], v[1:2], v[7:8], v[15:16]
	scratch_store_b128 off, v[9:12], off offset:368
.LBB58_103:
	s_wait_alu 0xfffe
	s_or_b32 exec_lo, exec_lo, s0
	s_wait_loadcnt 0x0
	s_wait_storecnt 0x0
	s_barrier_signal -1
	s_barrier_wait -1
	global_inv scope:SCOPE_SE
	scratch_load_b128 v[1:4], off, s49
	s_mov_b32 s0, exec_lo
	s_wait_loadcnt 0x0
	ds_store_b128 v5, v[1:4]
	s_wait_dscnt 0x0
	s_barrier_signal -1
	s_barrier_wait -1
	global_inv scope:SCOPE_SE
	v_cmpx_gt_u32_e32 23, v0
	s_cbranch_execz .LBB58_107
; %bb.104:
	v_dual_mov_b32 v1, 0 :: v_dual_add_nc_u32 v8, 0x3b0, v13
	v_mov_b32_e32 v3, 0
	v_dual_mov_b32 v2, 0 :: v_dual_add_nc_u32 v7, -1, v0
	v_mov_b32_e32 v4, 0
	v_or_b32_e32 v9, 8, v14
	s_mov_b32 s1, 0
.LBB58_105:                             ; =>This Inner Loop Header: Depth=1
	scratch_load_b128 v[15:18], v9, off offset:-8
	ds_load_b128 v[19:22], v8
	v_add_nc_u32_e32 v7, 1, v7
	v_add_nc_u32_e32 v8, 16, v8
	v_add_nc_u32_e32 v9, 16, v9
	s_delay_alu instid0(VALU_DEP_3)
	v_cmp_lt_u32_e32 vcc_lo, 21, v7
	s_wait_alu 0xfffe
	s_or_b32 s1, vcc_lo, s1
	s_wait_loadcnt_dscnt 0x0
	v_mul_f64_e32 v[10:11], v[21:22], v[17:18]
	v_mul_f64_e32 v[17:18], v[19:20], v[17:18]
	s_delay_alu instid0(VALU_DEP_2) | instskip(NEXT) | instid1(VALU_DEP_2)
	v_fma_f64 v[10:11], v[19:20], v[15:16], -v[10:11]
	v_fma_f64 v[15:16], v[21:22], v[15:16], v[17:18]
	s_delay_alu instid0(VALU_DEP_2) | instskip(NEXT) | instid1(VALU_DEP_2)
	v_add_f64_e32 v[3:4], v[3:4], v[10:11]
	v_add_f64_e32 v[1:2], v[1:2], v[15:16]
	s_wait_alu 0xfffe
	s_and_not1_b32 exec_lo, exec_lo, s1
	s_cbranch_execnz .LBB58_105
; %bb.106:
	s_or_b32 exec_lo, exec_lo, s1
	v_mov_b32_e32 v7, 0
	ds_load_b128 v[7:10], v7 offset:368
	s_wait_dscnt 0x0
	v_mul_f64_e32 v[11:12], v[1:2], v[9:10]
	v_mul_f64_e32 v[15:16], v[3:4], v[9:10]
	s_delay_alu instid0(VALU_DEP_2) | instskip(NEXT) | instid1(VALU_DEP_2)
	v_fma_f64 v[9:10], v[3:4], v[7:8], -v[11:12]
	v_fma_f64 v[11:12], v[1:2], v[7:8], v[15:16]
	scratch_store_b128 off, v[9:12], off offset:384
.LBB58_107:
	s_wait_alu 0xfffe
	s_or_b32 exec_lo, exec_lo, s0
	s_wait_loadcnt 0x0
	s_wait_storecnt 0x0
	s_barrier_signal -1
	s_barrier_wait -1
	global_inv scope:SCOPE_SE
	scratch_load_b128 v[1:4], off, s48
	;; [unrolled: 58-line block ×36, first 2 shown]
	s_mov_b32 s0, exec_lo
	s_wait_loadcnt 0x0
	ds_store_b128 v5, v[1:4]
	s_wait_dscnt 0x0
	s_barrier_signal -1
	s_barrier_wait -1
	global_inv scope:SCOPE_SE
	v_cmpx_ne_u32_e32 58, v0
	s_cbranch_execz .LBB58_247
; %bb.244:
	v_mov_b32_e32 v1, 0
	v_dual_mov_b32 v2, 0 :: v_dual_mov_b32 v3, 0
	v_mov_b32_e32 v4, 0
	v_or_b32_e32 v7, 8, v14
	s_mov_b32 s1, 0
.LBB58_245:                             ; =>This Inner Loop Header: Depth=1
	scratch_load_b128 v[8:11], v7, off offset:-8
	ds_load_b128 v[12:15], v5
	v_add_nc_u32_e32 v6, 1, v6
	v_add_nc_u32_e32 v5, 16, v5
	;; [unrolled: 1-line block ×3, first 2 shown]
	s_delay_alu instid0(VALU_DEP_3)
	v_cmp_lt_u32_e32 vcc_lo, 56, v6
	s_wait_alu 0xfffe
	s_or_b32 s1, vcc_lo, s1
	s_wait_loadcnt_dscnt 0x0
	v_mul_f64_e32 v[16:17], v[14:15], v[10:11]
	v_mul_f64_e32 v[10:11], v[12:13], v[10:11]
	s_delay_alu instid0(VALU_DEP_2) | instskip(NEXT) | instid1(VALU_DEP_2)
	v_fma_f64 v[12:13], v[12:13], v[8:9], -v[16:17]
	v_fma_f64 v[8:9], v[14:15], v[8:9], v[10:11]
	s_delay_alu instid0(VALU_DEP_2) | instskip(NEXT) | instid1(VALU_DEP_2)
	v_add_f64_e32 v[3:4], v[3:4], v[12:13]
	v_add_f64_e32 v[1:2], v[1:2], v[8:9]
	s_wait_alu 0xfffe
	s_and_not1_b32 exec_lo, exec_lo, s1
	s_cbranch_execnz .LBB58_245
; %bb.246:
	s_or_b32 exec_lo, exec_lo, s1
	v_mov_b32_e32 v5, 0
	ds_load_b128 v[5:8], v5 offset:928
	s_wait_dscnt 0x0
	v_mul_f64_e32 v[9:10], v[1:2], v[7:8]
	v_mul_f64_e32 v[7:8], v[3:4], v[7:8]
	s_delay_alu instid0(VALU_DEP_2) | instskip(NEXT) | instid1(VALU_DEP_2)
	v_fma_f64 v[3:4], v[3:4], v[5:6], -v[9:10]
	v_fma_f64 v[5:6], v[1:2], v[5:6], v[7:8]
	scratch_store_b128 off, v[3:6], off offset:944
.LBB58_247:
	s_wait_alu 0xfffe
	s_or_b32 exec_lo, exec_lo, s0
	s_mov_b32 s1, -1
	s_wait_loadcnt 0x0
	s_wait_storecnt 0x0
	s_barrier_signal -1
	s_barrier_wait -1
	global_inv scope:SCOPE_SE
.LBB58_248:
	s_wait_alu 0xfffe
	s_and_b32 vcc_lo, exec_lo, s1
	s_wait_alu 0xfffe
	s_cbranch_vccz .LBB58_250
; %bb.249:
	v_mov_b32_e32 v1, 0
	s_lshl_b64 s[0:1], s[16:17], 2
	s_wait_alu 0xfffe
	s_add_nc_u64 s[0:1], s[6:7], s[0:1]
	global_load_b32 v1, v1, s[0:1]
	s_wait_loadcnt 0x0
	v_cmp_ne_u32_e32 vcc_lo, 0, v1
	s_cbranch_vccz .LBB58_251
.LBB58_250:
	s_nop 0
	s_sendmsg sendmsg(MSG_DEALLOC_VGPRS)
	s_endpgm
.LBB58_251:
	v_lshl_add_u32 v164, v0, 4, 0x3b0
	s_mov_b32 s0, exec_lo
	v_cmpx_eq_u32_e32 58, v0
	s_cbranch_execz .LBB58_253
; %bb.252:
	scratch_load_b128 v[1:4], off, s14
	v_mov_b32_e32 v5, 0
	s_delay_alu instid0(VALU_DEP_1)
	v_dual_mov_b32 v6, v5 :: v_dual_mov_b32 v7, v5
	v_mov_b32_e32 v8, v5
	scratch_store_b128 off, v[5:8], off offset:928
	s_wait_loadcnt 0x0
	ds_store_b128 v164, v[1:4]
.LBB58_253:
	s_wait_alu 0xfffe
	s_or_b32 exec_lo, exec_lo, s0
	s_wait_storecnt_dscnt 0x0
	s_barrier_signal -1
	s_barrier_wait -1
	global_inv scope:SCOPE_SE
	s_clause 0x1
	scratch_load_b128 v[2:5], off, off offset:944
	scratch_load_b128 v[6:9], off, off offset:928
	v_mov_b32_e32 v1, 0
	s_mov_b32 s0, exec_lo
	ds_load_b128 v[10:13], v1 offset:1872
	s_wait_loadcnt_dscnt 0x100
	v_mul_f64_e32 v[14:15], v[12:13], v[4:5]
	v_mul_f64_e32 v[4:5], v[10:11], v[4:5]
	s_delay_alu instid0(VALU_DEP_2) | instskip(NEXT) | instid1(VALU_DEP_2)
	v_fma_f64 v[10:11], v[10:11], v[2:3], -v[14:15]
	v_fma_f64 v[2:3], v[12:13], v[2:3], v[4:5]
	s_delay_alu instid0(VALU_DEP_2) | instskip(NEXT) | instid1(VALU_DEP_2)
	v_add_f64_e32 v[4:5], 0, v[10:11]
	v_add_f64_e32 v[10:11], 0, v[2:3]
	s_wait_loadcnt 0x0
	s_delay_alu instid0(VALU_DEP_2) | instskip(NEXT) | instid1(VALU_DEP_2)
	v_add_f64_e64 v[2:3], v[6:7], -v[4:5]
	v_add_f64_e64 v[4:5], v[8:9], -v[10:11]
	scratch_store_b128 off, v[2:5], off offset:928
	v_cmpx_lt_u32_e32 56, v0
	s_cbranch_execz .LBB58_255
; %bb.254:
	scratch_load_b128 v[5:8], off, s13
	v_dual_mov_b32 v2, v1 :: v_dual_mov_b32 v3, v1
	v_mov_b32_e32 v4, v1
	scratch_store_b128 off, v[1:4], off offset:912
	s_wait_loadcnt 0x0
	ds_store_b128 v164, v[5:8]
.LBB58_255:
	s_wait_alu 0xfffe
	s_or_b32 exec_lo, exec_lo, s0
	s_wait_storecnt_dscnt 0x0
	s_barrier_signal -1
	s_barrier_wait -1
	global_inv scope:SCOPE_SE
	s_clause 0x2
	scratch_load_b128 v[2:5], off, off offset:928
	scratch_load_b128 v[6:9], off, off offset:944
	;; [unrolled: 1-line block ×3, first 2 shown]
	ds_load_b128 v[14:17], v1 offset:1856
	ds_load_b128 v[18:21], v1 offset:1872
	s_mov_b32 s0, exec_lo
	s_wait_loadcnt_dscnt 0x201
	v_mul_f64_e32 v[22:23], v[16:17], v[4:5]
	v_mul_f64_e32 v[4:5], v[14:15], v[4:5]
	s_wait_loadcnt_dscnt 0x100
	v_mul_f64_e32 v[24:25], v[18:19], v[8:9]
	v_mul_f64_e32 v[8:9], v[20:21], v[8:9]
	s_delay_alu instid0(VALU_DEP_4) | instskip(NEXT) | instid1(VALU_DEP_4)
	v_fma_f64 v[14:15], v[14:15], v[2:3], -v[22:23]
	v_fma_f64 v[1:2], v[16:17], v[2:3], v[4:5]
	s_delay_alu instid0(VALU_DEP_4) | instskip(NEXT) | instid1(VALU_DEP_4)
	v_fma_f64 v[3:4], v[20:21], v[6:7], v[24:25]
	v_fma_f64 v[5:6], v[18:19], v[6:7], -v[8:9]
	s_delay_alu instid0(VALU_DEP_4) | instskip(NEXT) | instid1(VALU_DEP_4)
	v_add_f64_e32 v[7:8], 0, v[14:15]
	v_add_f64_e32 v[1:2], 0, v[1:2]
	s_delay_alu instid0(VALU_DEP_2) | instskip(NEXT) | instid1(VALU_DEP_2)
	v_add_f64_e32 v[5:6], v[7:8], v[5:6]
	v_add_f64_e32 v[3:4], v[1:2], v[3:4]
	s_wait_loadcnt 0x0
	s_delay_alu instid0(VALU_DEP_2) | instskip(NEXT) | instid1(VALU_DEP_2)
	v_add_f64_e64 v[1:2], v[10:11], -v[5:6]
	v_add_f64_e64 v[3:4], v[12:13], -v[3:4]
	scratch_store_b128 off, v[1:4], off offset:912
	v_cmpx_lt_u32_e32 55, v0
	s_cbranch_execz .LBB58_257
; %bb.256:
	scratch_load_b128 v[1:4], off, s15
	v_mov_b32_e32 v5, 0
	s_delay_alu instid0(VALU_DEP_1)
	v_dual_mov_b32 v6, v5 :: v_dual_mov_b32 v7, v5
	v_mov_b32_e32 v8, v5
	scratch_store_b128 off, v[5:8], off offset:896
	s_wait_loadcnt 0x0
	ds_store_b128 v164, v[1:4]
.LBB58_257:
	s_wait_alu 0xfffe
	s_or_b32 exec_lo, exec_lo, s0
	s_wait_storecnt_dscnt 0x0
	s_barrier_signal -1
	s_barrier_wait -1
	global_inv scope:SCOPE_SE
	s_clause 0x3
	scratch_load_b128 v[2:5], off, off offset:912
	scratch_load_b128 v[6:9], off, off offset:928
	;; [unrolled: 1-line block ×4, first 2 shown]
	v_mov_b32_e32 v1, 0
	ds_load_b128 v[18:21], v1 offset:1840
	ds_load_b128 v[22:25], v1 offset:1856
	s_mov_b32 s0, exec_lo
	s_wait_loadcnt_dscnt 0x301
	v_mul_f64_e32 v[26:27], v[20:21], v[4:5]
	v_mul_f64_e32 v[4:5], v[18:19], v[4:5]
	s_wait_loadcnt_dscnt 0x200
	v_mul_f64_e32 v[28:29], v[22:23], v[8:9]
	v_mul_f64_e32 v[8:9], v[24:25], v[8:9]
	s_delay_alu instid0(VALU_DEP_4) | instskip(NEXT) | instid1(VALU_DEP_4)
	v_fma_f64 v[18:19], v[18:19], v[2:3], -v[26:27]
	v_fma_f64 v[20:21], v[20:21], v[2:3], v[4:5]
	ds_load_b128 v[2:5], v1 offset:1872
	v_fma_f64 v[24:25], v[24:25], v[6:7], v[28:29]
	v_fma_f64 v[6:7], v[22:23], v[6:7], -v[8:9]
	s_wait_loadcnt_dscnt 0x100
	v_mul_f64_e32 v[26:27], v[2:3], v[12:13]
	v_mul_f64_e32 v[12:13], v[4:5], v[12:13]
	v_add_f64_e32 v[8:9], 0, v[18:19]
	v_add_f64_e32 v[18:19], 0, v[20:21]
	s_delay_alu instid0(VALU_DEP_4) | instskip(NEXT) | instid1(VALU_DEP_4)
	v_fma_f64 v[4:5], v[4:5], v[10:11], v[26:27]
	v_fma_f64 v[2:3], v[2:3], v[10:11], -v[12:13]
	s_delay_alu instid0(VALU_DEP_4) | instskip(NEXT) | instid1(VALU_DEP_4)
	v_add_f64_e32 v[6:7], v[8:9], v[6:7]
	v_add_f64_e32 v[8:9], v[18:19], v[24:25]
	s_delay_alu instid0(VALU_DEP_2) | instskip(NEXT) | instid1(VALU_DEP_2)
	v_add_f64_e32 v[2:3], v[6:7], v[2:3]
	v_add_f64_e32 v[4:5], v[8:9], v[4:5]
	s_wait_loadcnt 0x0
	s_delay_alu instid0(VALU_DEP_2) | instskip(NEXT) | instid1(VALU_DEP_2)
	v_add_f64_e64 v[2:3], v[14:15], -v[2:3]
	v_add_f64_e64 v[4:5], v[16:17], -v[4:5]
	scratch_store_b128 off, v[2:5], off offset:896
	v_cmpx_lt_u32_e32 54, v0
	s_cbranch_execz .LBB58_259
; %bb.258:
	scratch_load_b128 v[5:8], off, s20
	v_dual_mov_b32 v2, v1 :: v_dual_mov_b32 v3, v1
	v_mov_b32_e32 v4, v1
	scratch_store_b128 off, v[1:4], off offset:880
	s_wait_loadcnt 0x0
	ds_store_b128 v164, v[5:8]
.LBB58_259:
	s_wait_alu 0xfffe
	s_or_b32 exec_lo, exec_lo, s0
	s_wait_storecnt_dscnt 0x0
	s_barrier_signal -1
	s_barrier_wait -1
	global_inv scope:SCOPE_SE
	s_clause 0x4
	scratch_load_b128 v[2:5], off, off offset:896
	scratch_load_b128 v[6:9], off, off offset:912
	;; [unrolled: 1-line block ×5, first 2 shown]
	ds_load_b128 v[22:25], v1 offset:1824
	ds_load_b128 v[26:29], v1 offset:1840
	s_mov_b32 s0, exec_lo
	s_wait_loadcnt_dscnt 0x401
	v_mul_f64_e32 v[30:31], v[24:25], v[4:5]
	v_mul_f64_e32 v[4:5], v[22:23], v[4:5]
	s_wait_loadcnt_dscnt 0x300
	v_mul_f64_e32 v[32:33], v[26:27], v[8:9]
	v_mul_f64_e32 v[8:9], v[28:29], v[8:9]
	s_delay_alu instid0(VALU_DEP_4) | instskip(NEXT) | instid1(VALU_DEP_4)
	v_fma_f64 v[30:31], v[22:23], v[2:3], -v[30:31]
	v_fma_f64 v[34:35], v[24:25], v[2:3], v[4:5]
	ds_load_b128 v[2:5], v1 offset:1856
	ds_load_b128 v[22:25], v1 offset:1872
	v_fma_f64 v[28:29], v[28:29], v[6:7], v[32:33]
	v_fma_f64 v[6:7], v[26:27], v[6:7], -v[8:9]
	s_wait_loadcnt_dscnt 0x201
	v_mul_f64_e32 v[36:37], v[2:3], v[12:13]
	v_mul_f64_e32 v[12:13], v[4:5], v[12:13]
	v_add_f64_e32 v[8:9], 0, v[30:31]
	v_add_f64_e32 v[26:27], 0, v[34:35]
	s_wait_loadcnt_dscnt 0x100
	v_mul_f64_e32 v[30:31], v[22:23], v[16:17]
	v_mul_f64_e32 v[16:17], v[24:25], v[16:17]
	v_fma_f64 v[4:5], v[4:5], v[10:11], v[36:37]
	v_fma_f64 v[1:2], v[2:3], v[10:11], -v[12:13]
	v_add_f64_e32 v[6:7], v[8:9], v[6:7]
	v_add_f64_e32 v[8:9], v[26:27], v[28:29]
	v_fma_f64 v[10:11], v[24:25], v[14:15], v[30:31]
	v_fma_f64 v[12:13], v[22:23], v[14:15], -v[16:17]
	s_delay_alu instid0(VALU_DEP_4) | instskip(NEXT) | instid1(VALU_DEP_4)
	v_add_f64_e32 v[1:2], v[6:7], v[1:2]
	v_add_f64_e32 v[3:4], v[8:9], v[4:5]
	s_delay_alu instid0(VALU_DEP_2) | instskip(NEXT) | instid1(VALU_DEP_2)
	v_add_f64_e32 v[1:2], v[1:2], v[12:13]
	v_add_f64_e32 v[3:4], v[3:4], v[10:11]
	s_wait_loadcnt 0x0
	s_delay_alu instid0(VALU_DEP_2) | instskip(NEXT) | instid1(VALU_DEP_2)
	v_add_f64_e64 v[1:2], v[18:19], -v[1:2]
	v_add_f64_e64 v[3:4], v[20:21], -v[3:4]
	scratch_store_b128 off, v[1:4], off offset:880
	v_cmpx_lt_u32_e32 53, v0
	s_cbranch_execz .LBB58_261
; %bb.260:
	scratch_load_b128 v[1:4], off, s22
	v_mov_b32_e32 v5, 0
	s_delay_alu instid0(VALU_DEP_1)
	v_dual_mov_b32 v6, v5 :: v_dual_mov_b32 v7, v5
	v_mov_b32_e32 v8, v5
	scratch_store_b128 off, v[5:8], off offset:864
	s_wait_loadcnt 0x0
	ds_store_b128 v164, v[1:4]
.LBB58_261:
	s_wait_alu 0xfffe
	s_or_b32 exec_lo, exec_lo, s0
	s_wait_storecnt_dscnt 0x0
	s_barrier_signal -1
	s_barrier_wait -1
	global_inv scope:SCOPE_SE
	s_clause 0x5
	scratch_load_b128 v[2:5], off, off offset:880
	scratch_load_b128 v[6:9], off, off offset:896
	scratch_load_b128 v[10:13], off, off offset:912
	scratch_load_b128 v[14:17], off, off offset:928
	scratch_load_b128 v[18:21], off, off offset:944
	scratch_load_b128 v[22:25], off, off offset:864
	v_mov_b32_e32 v1, 0
	ds_load_b128 v[26:29], v1 offset:1808
	ds_load_b128 v[30:33], v1 offset:1824
	s_mov_b32 s0, exec_lo
	s_wait_loadcnt_dscnt 0x501
	v_mul_f64_e32 v[34:35], v[28:29], v[4:5]
	v_mul_f64_e32 v[4:5], v[26:27], v[4:5]
	s_wait_loadcnt_dscnt 0x400
	v_mul_f64_e32 v[36:37], v[30:31], v[8:9]
	v_mul_f64_e32 v[8:9], v[32:33], v[8:9]
	s_delay_alu instid0(VALU_DEP_4) | instskip(NEXT) | instid1(VALU_DEP_4)
	v_fma_f64 v[34:35], v[26:27], v[2:3], -v[34:35]
	v_fma_f64 v[38:39], v[28:29], v[2:3], v[4:5]
	ds_load_b128 v[2:5], v1 offset:1840
	ds_load_b128 v[26:29], v1 offset:1856
	v_fma_f64 v[32:33], v[32:33], v[6:7], v[36:37]
	v_fma_f64 v[6:7], v[30:31], v[6:7], -v[8:9]
	s_wait_loadcnt_dscnt 0x301
	v_mul_f64_e32 v[40:41], v[2:3], v[12:13]
	v_mul_f64_e32 v[12:13], v[4:5], v[12:13]
	v_add_f64_e32 v[8:9], 0, v[34:35]
	v_add_f64_e32 v[30:31], 0, v[38:39]
	s_wait_loadcnt_dscnt 0x200
	v_mul_f64_e32 v[34:35], v[26:27], v[16:17]
	v_mul_f64_e32 v[16:17], v[28:29], v[16:17]
	v_fma_f64 v[36:37], v[4:5], v[10:11], v[40:41]
	v_fma_f64 v[10:11], v[2:3], v[10:11], -v[12:13]
	ds_load_b128 v[2:5], v1 offset:1872
	v_add_f64_e32 v[6:7], v[8:9], v[6:7]
	v_add_f64_e32 v[8:9], v[30:31], v[32:33]
	v_fma_f64 v[28:29], v[28:29], v[14:15], v[34:35]
	v_fma_f64 v[14:15], v[26:27], v[14:15], -v[16:17]
	s_wait_loadcnt_dscnt 0x100
	v_mul_f64_e32 v[12:13], v[2:3], v[20:21]
	v_mul_f64_e32 v[20:21], v[4:5], v[20:21]
	v_add_f64_e32 v[6:7], v[6:7], v[10:11]
	v_add_f64_e32 v[8:9], v[8:9], v[36:37]
	s_delay_alu instid0(VALU_DEP_4) | instskip(NEXT) | instid1(VALU_DEP_4)
	v_fma_f64 v[4:5], v[4:5], v[18:19], v[12:13]
	v_fma_f64 v[2:3], v[2:3], v[18:19], -v[20:21]
	s_delay_alu instid0(VALU_DEP_4) | instskip(NEXT) | instid1(VALU_DEP_4)
	v_add_f64_e32 v[6:7], v[6:7], v[14:15]
	v_add_f64_e32 v[8:9], v[8:9], v[28:29]
	s_delay_alu instid0(VALU_DEP_2) | instskip(NEXT) | instid1(VALU_DEP_2)
	v_add_f64_e32 v[2:3], v[6:7], v[2:3]
	v_add_f64_e32 v[4:5], v[8:9], v[4:5]
	s_wait_loadcnt 0x0
	s_delay_alu instid0(VALU_DEP_2) | instskip(NEXT) | instid1(VALU_DEP_2)
	v_add_f64_e64 v[2:3], v[22:23], -v[2:3]
	v_add_f64_e64 v[4:5], v[24:25], -v[4:5]
	scratch_store_b128 off, v[2:5], off offset:864
	v_cmpx_lt_u32_e32 52, v0
	s_cbranch_execz .LBB58_263
; %bb.262:
	scratch_load_b128 v[5:8], off, s23
	v_dual_mov_b32 v2, v1 :: v_dual_mov_b32 v3, v1
	v_mov_b32_e32 v4, v1
	scratch_store_b128 off, v[1:4], off offset:848
	s_wait_loadcnt 0x0
	ds_store_b128 v164, v[5:8]
.LBB58_263:
	s_wait_alu 0xfffe
	s_or_b32 exec_lo, exec_lo, s0
	s_wait_storecnt_dscnt 0x0
	s_barrier_signal -1
	s_barrier_wait -1
	global_inv scope:SCOPE_SE
	s_clause 0x5
	scratch_load_b128 v[2:5], off, off offset:864
	scratch_load_b128 v[6:9], off, off offset:880
	;; [unrolled: 1-line block ×6, first 2 shown]
	ds_load_b128 v[26:29], v1 offset:1792
	ds_load_b128 v[34:37], v1 offset:1808
	scratch_load_b128 v[30:33], off, off offset:848
	s_mov_b32 s0, exec_lo
	s_wait_loadcnt_dscnt 0x601
	v_mul_f64_e32 v[38:39], v[28:29], v[4:5]
	v_mul_f64_e32 v[4:5], v[26:27], v[4:5]
	s_wait_loadcnt_dscnt 0x500
	v_mul_f64_e32 v[40:41], v[34:35], v[8:9]
	v_mul_f64_e32 v[8:9], v[36:37], v[8:9]
	s_delay_alu instid0(VALU_DEP_4) | instskip(NEXT) | instid1(VALU_DEP_4)
	v_fma_f64 v[38:39], v[26:27], v[2:3], -v[38:39]
	v_fma_f64 v[42:43], v[28:29], v[2:3], v[4:5]
	ds_load_b128 v[2:5], v1 offset:1824
	ds_load_b128 v[26:29], v1 offset:1840
	v_fma_f64 v[36:37], v[36:37], v[6:7], v[40:41]
	v_fma_f64 v[6:7], v[34:35], v[6:7], -v[8:9]
	s_wait_loadcnt_dscnt 0x401
	v_mul_f64_e32 v[44:45], v[2:3], v[12:13]
	v_mul_f64_e32 v[12:13], v[4:5], v[12:13]
	v_add_f64_e32 v[8:9], 0, v[38:39]
	v_add_f64_e32 v[34:35], 0, v[42:43]
	s_wait_loadcnt_dscnt 0x300
	v_mul_f64_e32 v[38:39], v[26:27], v[16:17]
	v_mul_f64_e32 v[16:17], v[28:29], v[16:17]
	v_fma_f64 v[40:41], v[4:5], v[10:11], v[44:45]
	v_fma_f64 v[10:11], v[2:3], v[10:11], -v[12:13]
	v_add_f64_e32 v[12:13], v[8:9], v[6:7]
	v_add_f64_e32 v[34:35], v[34:35], v[36:37]
	ds_load_b128 v[2:5], v1 offset:1856
	ds_load_b128 v[6:9], v1 offset:1872
	v_fma_f64 v[28:29], v[28:29], v[14:15], v[38:39]
	v_fma_f64 v[14:15], v[26:27], v[14:15], -v[16:17]
	s_wait_loadcnt_dscnt 0x201
	v_mul_f64_e32 v[36:37], v[2:3], v[20:21]
	v_mul_f64_e32 v[20:21], v[4:5], v[20:21]
	s_wait_loadcnt_dscnt 0x100
	v_mul_f64_e32 v[16:17], v[6:7], v[24:25]
	v_mul_f64_e32 v[24:25], v[8:9], v[24:25]
	v_add_f64_e32 v[10:11], v[12:13], v[10:11]
	v_add_f64_e32 v[12:13], v[34:35], v[40:41]
	v_fma_f64 v[4:5], v[4:5], v[18:19], v[36:37]
	v_fma_f64 v[1:2], v[2:3], v[18:19], -v[20:21]
	v_fma_f64 v[8:9], v[8:9], v[22:23], v[16:17]
	v_fma_f64 v[6:7], v[6:7], v[22:23], -v[24:25]
	v_add_f64_e32 v[10:11], v[10:11], v[14:15]
	v_add_f64_e32 v[12:13], v[12:13], v[28:29]
	s_delay_alu instid0(VALU_DEP_2) | instskip(NEXT) | instid1(VALU_DEP_2)
	v_add_f64_e32 v[1:2], v[10:11], v[1:2]
	v_add_f64_e32 v[3:4], v[12:13], v[4:5]
	s_delay_alu instid0(VALU_DEP_2) | instskip(NEXT) | instid1(VALU_DEP_2)
	v_add_f64_e32 v[1:2], v[1:2], v[6:7]
	v_add_f64_e32 v[3:4], v[3:4], v[8:9]
	s_wait_loadcnt 0x0
	s_delay_alu instid0(VALU_DEP_2) | instskip(NEXT) | instid1(VALU_DEP_2)
	v_add_f64_e64 v[1:2], v[30:31], -v[1:2]
	v_add_f64_e64 v[3:4], v[32:33], -v[3:4]
	scratch_store_b128 off, v[1:4], off offset:848
	v_cmpx_lt_u32_e32 51, v0
	s_cbranch_execz .LBB58_265
; %bb.264:
	scratch_load_b128 v[1:4], off, s25
	v_mov_b32_e32 v5, 0
	s_delay_alu instid0(VALU_DEP_1)
	v_dual_mov_b32 v6, v5 :: v_dual_mov_b32 v7, v5
	v_mov_b32_e32 v8, v5
	scratch_store_b128 off, v[5:8], off offset:832
	s_wait_loadcnt 0x0
	ds_store_b128 v164, v[1:4]
.LBB58_265:
	s_wait_alu 0xfffe
	s_or_b32 exec_lo, exec_lo, s0
	s_wait_storecnt_dscnt 0x0
	s_barrier_signal -1
	s_barrier_wait -1
	global_inv scope:SCOPE_SE
	s_clause 0x6
	scratch_load_b128 v[2:5], off, off offset:848
	scratch_load_b128 v[6:9], off, off offset:864
	;; [unrolled: 1-line block ×7, first 2 shown]
	v_mov_b32_e32 v1, 0
	scratch_load_b128 v[38:41], off, off offset:832
	s_mov_b32 s0, exec_lo
	ds_load_b128 v[30:33], v1 offset:1776
	ds_load_b128 v[34:37], v1 offset:1792
	s_wait_loadcnt_dscnt 0x701
	v_mul_f64_e32 v[42:43], v[32:33], v[4:5]
	v_mul_f64_e32 v[4:5], v[30:31], v[4:5]
	s_wait_loadcnt_dscnt 0x600
	v_mul_f64_e32 v[44:45], v[34:35], v[8:9]
	v_mul_f64_e32 v[8:9], v[36:37], v[8:9]
	s_delay_alu instid0(VALU_DEP_4) | instskip(NEXT) | instid1(VALU_DEP_4)
	v_fma_f64 v[30:31], v[30:31], v[2:3], -v[42:43]
	v_fma_f64 v[32:33], v[32:33], v[2:3], v[4:5]
	ds_load_b128 v[2:5], v1 offset:1808
	v_fma_f64 v[36:37], v[36:37], v[6:7], v[44:45]
	v_fma_f64 v[34:35], v[34:35], v[6:7], -v[8:9]
	ds_load_b128 v[6:9], v1 offset:1824
	s_wait_loadcnt_dscnt 0x501
	v_mul_f64_e32 v[42:43], v[2:3], v[12:13]
	v_mul_f64_e32 v[12:13], v[4:5], v[12:13]
	s_wait_loadcnt_dscnt 0x400
	v_mul_f64_e32 v[44:45], v[6:7], v[16:17]
	v_mul_f64_e32 v[16:17], v[8:9], v[16:17]
	v_add_f64_e32 v[30:31], 0, v[30:31]
	v_add_f64_e32 v[32:33], 0, v[32:33]
	v_fma_f64 v[42:43], v[4:5], v[10:11], v[42:43]
	v_fma_f64 v[10:11], v[2:3], v[10:11], -v[12:13]
	ds_load_b128 v[2:5], v1 offset:1840
	v_add_f64_e32 v[12:13], v[30:31], v[34:35]
	v_add_f64_e32 v[30:31], v[32:33], v[36:37]
	v_fma_f64 v[34:35], v[8:9], v[14:15], v[44:45]
	v_fma_f64 v[14:15], v[6:7], v[14:15], -v[16:17]
	ds_load_b128 v[6:9], v1 offset:1856
	s_wait_loadcnt_dscnt 0x301
	v_mul_f64_e32 v[32:33], v[2:3], v[20:21]
	v_mul_f64_e32 v[20:21], v[4:5], v[20:21]
	s_wait_loadcnt_dscnt 0x200
	v_mul_f64_e32 v[16:17], v[6:7], v[24:25]
	v_mul_f64_e32 v[24:25], v[8:9], v[24:25]
	v_add_f64_e32 v[10:11], v[12:13], v[10:11]
	v_add_f64_e32 v[12:13], v[30:31], v[42:43]
	v_fma_f64 v[30:31], v[4:5], v[18:19], v[32:33]
	v_fma_f64 v[18:19], v[2:3], v[18:19], -v[20:21]
	ds_load_b128 v[2:5], v1 offset:1872
	v_fma_f64 v[8:9], v[8:9], v[22:23], v[16:17]
	v_fma_f64 v[6:7], v[6:7], v[22:23], -v[24:25]
	s_wait_loadcnt_dscnt 0x100
	v_mul_f64_e32 v[20:21], v[4:5], v[28:29]
	v_add_f64_e32 v[10:11], v[10:11], v[14:15]
	v_add_f64_e32 v[12:13], v[12:13], v[34:35]
	v_mul_f64_e32 v[14:15], v[2:3], v[28:29]
	s_delay_alu instid0(VALU_DEP_4) | instskip(NEXT) | instid1(VALU_DEP_4)
	v_fma_f64 v[2:3], v[2:3], v[26:27], -v[20:21]
	v_add_f64_e32 v[10:11], v[10:11], v[18:19]
	s_delay_alu instid0(VALU_DEP_4) | instskip(NEXT) | instid1(VALU_DEP_4)
	v_add_f64_e32 v[12:13], v[12:13], v[30:31]
	v_fma_f64 v[4:5], v[4:5], v[26:27], v[14:15]
	s_delay_alu instid0(VALU_DEP_3) | instskip(NEXT) | instid1(VALU_DEP_3)
	v_add_f64_e32 v[6:7], v[10:11], v[6:7]
	v_add_f64_e32 v[8:9], v[12:13], v[8:9]
	s_delay_alu instid0(VALU_DEP_2) | instskip(NEXT) | instid1(VALU_DEP_2)
	v_add_f64_e32 v[2:3], v[6:7], v[2:3]
	v_add_f64_e32 v[4:5], v[8:9], v[4:5]
	s_wait_loadcnt 0x0
	s_delay_alu instid0(VALU_DEP_2) | instskip(NEXT) | instid1(VALU_DEP_2)
	v_add_f64_e64 v[2:3], v[38:39], -v[2:3]
	v_add_f64_e64 v[4:5], v[40:41], -v[4:5]
	scratch_store_b128 off, v[2:5], off offset:832
	v_cmpx_lt_u32_e32 50, v0
	s_cbranch_execz .LBB58_267
; %bb.266:
	scratch_load_b128 v[5:8], off, s4
	v_dual_mov_b32 v2, v1 :: v_dual_mov_b32 v3, v1
	v_mov_b32_e32 v4, v1
	scratch_store_b128 off, v[1:4], off offset:816
	s_wait_loadcnt 0x0
	ds_store_b128 v164, v[5:8]
.LBB58_267:
	s_wait_alu 0xfffe
	s_or_b32 exec_lo, exec_lo, s0
	s_wait_storecnt_dscnt 0x0
	s_barrier_signal -1
	s_barrier_wait -1
	global_inv scope:SCOPE_SE
	s_clause 0x7
	scratch_load_b128 v[2:5], off, off offset:832
	scratch_load_b128 v[6:9], off, off offset:848
	;; [unrolled: 1-line block ×8, first 2 shown]
	ds_load_b128 v[34:37], v1 offset:1760
	ds_load_b128 v[38:41], v1 offset:1776
	s_mov_b32 s0, exec_lo
	s_wait_loadcnt_dscnt 0x701
	v_mul_f64_e32 v[42:43], v[36:37], v[4:5]
	v_mul_f64_e32 v[4:5], v[34:35], v[4:5]
	s_wait_loadcnt_dscnt 0x600
	v_mul_f64_e32 v[44:45], v[38:39], v[8:9]
	v_mul_f64_e32 v[8:9], v[40:41], v[8:9]
	s_delay_alu instid0(VALU_DEP_4) | instskip(NEXT) | instid1(VALU_DEP_4)
	v_fma_f64 v[42:43], v[34:35], v[2:3], -v[42:43]
	v_fma_f64 v[165:166], v[36:37], v[2:3], v[4:5]
	ds_load_b128 v[2:5], v1 offset:1792
	scratch_load_b128 v[34:37], off, off offset:816
	v_fma_f64 v[40:41], v[40:41], v[6:7], v[44:45]
	v_fma_f64 v[38:39], v[38:39], v[6:7], -v[8:9]
	ds_load_b128 v[6:9], v1 offset:1808
	s_wait_loadcnt_dscnt 0x601
	v_mul_f64_e32 v[167:168], v[2:3], v[12:13]
	v_mul_f64_e32 v[12:13], v[4:5], v[12:13]
	v_add_f64_e32 v[42:43], 0, v[42:43]
	v_add_f64_e32 v[44:45], 0, v[165:166]
	s_wait_loadcnt_dscnt 0x500
	v_mul_f64_e32 v[165:166], v[6:7], v[16:17]
	v_mul_f64_e32 v[16:17], v[8:9], v[16:17]
	v_fma_f64 v[167:168], v[4:5], v[10:11], v[167:168]
	v_fma_f64 v[10:11], v[2:3], v[10:11], -v[12:13]
	ds_load_b128 v[2:5], v1 offset:1824
	v_add_f64_e32 v[12:13], v[42:43], v[38:39]
	v_add_f64_e32 v[38:39], v[44:45], v[40:41]
	v_fma_f64 v[42:43], v[8:9], v[14:15], v[165:166]
	v_fma_f64 v[14:15], v[6:7], v[14:15], -v[16:17]
	ds_load_b128 v[6:9], v1 offset:1840
	s_wait_loadcnt_dscnt 0x401
	v_mul_f64_e32 v[40:41], v[2:3], v[20:21]
	v_mul_f64_e32 v[20:21], v[4:5], v[20:21]
	s_wait_loadcnt_dscnt 0x300
	v_mul_f64_e32 v[16:17], v[6:7], v[24:25]
	v_mul_f64_e32 v[24:25], v[8:9], v[24:25]
	v_add_f64_e32 v[10:11], v[12:13], v[10:11]
	v_add_f64_e32 v[12:13], v[38:39], v[167:168]
	v_fma_f64 v[38:39], v[4:5], v[18:19], v[40:41]
	v_fma_f64 v[18:19], v[2:3], v[18:19], -v[20:21]
	ds_load_b128 v[2:5], v1 offset:1856
	v_fma_f64 v[16:17], v[8:9], v[22:23], v[16:17]
	v_fma_f64 v[22:23], v[6:7], v[22:23], -v[24:25]
	ds_load_b128 v[6:9], v1 offset:1872
	s_wait_loadcnt_dscnt 0x201
	v_mul_f64_e32 v[20:21], v[4:5], v[28:29]
	v_add_f64_e32 v[10:11], v[10:11], v[14:15]
	v_add_f64_e32 v[12:13], v[12:13], v[42:43]
	v_mul_f64_e32 v[14:15], v[2:3], v[28:29]
	s_wait_loadcnt_dscnt 0x100
	v_mul_f64_e32 v[24:25], v[8:9], v[32:33]
	v_fma_f64 v[1:2], v[2:3], v[26:27], -v[20:21]
	v_add_f64_e32 v[10:11], v[10:11], v[18:19]
	v_add_f64_e32 v[12:13], v[12:13], v[38:39]
	v_mul_f64_e32 v[18:19], v[6:7], v[32:33]
	v_fma_f64 v[4:5], v[4:5], v[26:27], v[14:15]
	v_fma_f64 v[6:7], v[6:7], v[30:31], -v[24:25]
	v_add_f64_e32 v[10:11], v[10:11], v[22:23]
	v_add_f64_e32 v[12:13], v[12:13], v[16:17]
	v_fma_f64 v[8:9], v[8:9], v[30:31], v[18:19]
	s_delay_alu instid0(VALU_DEP_3) | instskip(NEXT) | instid1(VALU_DEP_3)
	v_add_f64_e32 v[1:2], v[10:11], v[1:2]
	v_add_f64_e32 v[3:4], v[12:13], v[4:5]
	s_delay_alu instid0(VALU_DEP_2) | instskip(NEXT) | instid1(VALU_DEP_2)
	v_add_f64_e32 v[1:2], v[1:2], v[6:7]
	v_add_f64_e32 v[3:4], v[3:4], v[8:9]
	s_wait_loadcnt 0x0
	s_delay_alu instid0(VALU_DEP_2) | instskip(NEXT) | instid1(VALU_DEP_2)
	v_add_f64_e64 v[1:2], v[34:35], -v[1:2]
	v_add_f64_e64 v[3:4], v[36:37], -v[3:4]
	scratch_store_b128 off, v[1:4], off offset:816
	v_cmpx_lt_u32_e32 49, v0
	s_cbranch_execz .LBB58_269
; %bb.268:
	scratch_load_b128 v[1:4], off, s5
	v_mov_b32_e32 v5, 0
	s_delay_alu instid0(VALU_DEP_1)
	v_dual_mov_b32 v6, v5 :: v_dual_mov_b32 v7, v5
	v_mov_b32_e32 v8, v5
	scratch_store_b128 off, v[5:8], off offset:800
	s_wait_loadcnt 0x0
	ds_store_b128 v164, v[1:4]
.LBB58_269:
	s_wait_alu 0xfffe
	s_or_b32 exec_lo, exec_lo, s0
	s_wait_storecnt_dscnt 0x0
	s_barrier_signal -1
	s_barrier_wait -1
	global_inv scope:SCOPE_SE
	s_clause 0x7
	scratch_load_b128 v[2:5], off, off offset:816
	scratch_load_b128 v[6:9], off, off offset:832
	;; [unrolled: 1-line block ×8, first 2 shown]
	v_mov_b32_e32 v1, 0
	s_mov_b32 s0, exec_lo
	ds_load_b128 v[34:37], v1 offset:1744
	s_clause 0x1
	scratch_load_b128 v[38:41], off, off offset:944
	scratch_load_b128 v[42:45], off, off offset:800
	ds_load_b128 v[165:168], v1 offset:1760
	s_wait_loadcnt_dscnt 0x901
	v_mul_f64_e32 v[169:170], v[36:37], v[4:5]
	v_mul_f64_e32 v[4:5], v[34:35], v[4:5]
	s_wait_loadcnt_dscnt 0x800
	v_mul_f64_e32 v[171:172], v[165:166], v[8:9]
	v_mul_f64_e32 v[8:9], v[167:168], v[8:9]
	s_delay_alu instid0(VALU_DEP_4) | instskip(NEXT) | instid1(VALU_DEP_4)
	v_fma_f64 v[169:170], v[34:35], v[2:3], -v[169:170]
	v_fma_f64 v[173:174], v[36:37], v[2:3], v[4:5]
	ds_load_b128 v[2:5], v1 offset:1776
	ds_load_b128 v[34:37], v1 offset:1792
	v_fma_f64 v[167:168], v[167:168], v[6:7], v[171:172]
	v_fma_f64 v[6:7], v[165:166], v[6:7], -v[8:9]
	s_wait_loadcnt_dscnt 0x701
	v_mul_f64_e32 v[175:176], v[2:3], v[12:13]
	v_mul_f64_e32 v[12:13], v[4:5], v[12:13]
	v_add_f64_e32 v[8:9], 0, v[169:170]
	v_add_f64_e32 v[165:166], 0, v[173:174]
	s_wait_loadcnt_dscnt 0x600
	v_mul_f64_e32 v[169:170], v[34:35], v[16:17]
	v_mul_f64_e32 v[16:17], v[36:37], v[16:17]
	v_fma_f64 v[171:172], v[4:5], v[10:11], v[175:176]
	v_fma_f64 v[10:11], v[2:3], v[10:11], -v[12:13]
	v_add_f64_e32 v[12:13], v[8:9], v[6:7]
	v_add_f64_e32 v[165:166], v[165:166], v[167:168]
	ds_load_b128 v[2:5], v1 offset:1808
	ds_load_b128 v[6:9], v1 offset:1824
	v_fma_f64 v[36:37], v[36:37], v[14:15], v[169:170]
	v_fma_f64 v[14:15], v[34:35], v[14:15], -v[16:17]
	s_wait_loadcnt_dscnt 0x501
	v_mul_f64_e32 v[167:168], v[2:3], v[20:21]
	v_mul_f64_e32 v[20:21], v[4:5], v[20:21]
	s_wait_loadcnt_dscnt 0x400
	v_mul_f64_e32 v[16:17], v[6:7], v[24:25]
	v_mul_f64_e32 v[24:25], v[8:9], v[24:25]
	v_add_f64_e32 v[10:11], v[12:13], v[10:11]
	v_add_f64_e32 v[12:13], v[165:166], v[171:172]
	v_fma_f64 v[34:35], v[4:5], v[18:19], v[167:168]
	v_fma_f64 v[18:19], v[2:3], v[18:19], -v[20:21]
	v_fma_f64 v[8:9], v[8:9], v[22:23], v[16:17]
	v_fma_f64 v[6:7], v[6:7], v[22:23], -v[24:25]
	v_add_f64_e32 v[14:15], v[10:11], v[14:15]
	v_add_f64_e32 v[20:21], v[12:13], v[36:37]
	ds_load_b128 v[2:5], v1 offset:1840
	ds_load_b128 v[10:13], v1 offset:1856
	s_wait_loadcnt_dscnt 0x301
	v_mul_f64_e32 v[36:37], v[2:3], v[28:29]
	v_mul_f64_e32 v[28:29], v[4:5], v[28:29]
	v_add_f64_e32 v[14:15], v[14:15], v[18:19]
	v_add_f64_e32 v[16:17], v[20:21], v[34:35]
	s_wait_loadcnt_dscnt 0x200
	v_mul_f64_e32 v[18:19], v[10:11], v[32:33]
	v_mul_f64_e32 v[20:21], v[12:13], v[32:33]
	v_fma_f64 v[22:23], v[4:5], v[26:27], v[36:37]
	v_fma_f64 v[24:25], v[2:3], v[26:27], -v[28:29]
	ds_load_b128 v[2:5], v1 offset:1872
	v_add_f64_e32 v[6:7], v[14:15], v[6:7]
	v_add_f64_e32 v[8:9], v[16:17], v[8:9]
	v_fma_f64 v[12:13], v[12:13], v[30:31], v[18:19]
	v_fma_f64 v[10:11], v[10:11], v[30:31], -v[20:21]
	s_wait_loadcnt_dscnt 0x100
	v_mul_f64_e32 v[14:15], v[2:3], v[40:41]
	v_mul_f64_e32 v[16:17], v[4:5], v[40:41]
	v_add_f64_e32 v[6:7], v[6:7], v[24:25]
	v_add_f64_e32 v[8:9], v[8:9], v[22:23]
	s_delay_alu instid0(VALU_DEP_4) | instskip(NEXT) | instid1(VALU_DEP_4)
	v_fma_f64 v[4:5], v[4:5], v[38:39], v[14:15]
	v_fma_f64 v[2:3], v[2:3], v[38:39], -v[16:17]
	s_delay_alu instid0(VALU_DEP_4) | instskip(NEXT) | instid1(VALU_DEP_4)
	v_add_f64_e32 v[6:7], v[6:7], v[10:11]
	v_add_f64_e32 v[8:9], v[8:9], v[12:13]
	s_delay_alu instid0(VALU_DEP_2) | instskip(NEXT) | instid1(VALU_DEP_2)
	v_add_f64_e32 v[2:3], v[6:7], v[2:3]
	v_add_f64_e32 v[4:5], v[8:9], v[4:5]
	s_wait_loadcnt 0x0
	s_delay_alu instid0(VALU_DEP_2) | instskip(NEXT) | instid1(VALU_DEP_2)
	v_add_f64_e64 v[2:3], v[42:43], -v[2:3]
	v_add_f64_e64 v[4:5], v[44:45], -v[4:5]
	scratch_store_b128 off, v[2:5], off offset:800
	v_cmpx_lt_u32_e32 48, v0
	s_cbranch_execz .LBB58_271
; %bb.270:
	scratch_load_b128 v[5:8], off, s8
	v_dual_mov_b32 v2, v1 :: v_dual_mov_b32 v3, v1
	v_mov_b32_e32 v4, v1
	scratch_store_b128 off, v[1:4], off offset:784
	s_wait_loadcnt 0x0
	ds_store_b128 v164, v[5:8]
.LBB58_271:
	s_wait_alu 0xfffe
	s_or_b32 exec_lo, exec_lo, s0
	s_wait_storecnt_dscnt 0x0
	s_barrier_signal -1
	s_barrier_wait -1
	global_inv scope:SCOPE_SE
	s_clause 0x8
	scratch_load_b128 v[2:5], off, off offset:800
	scratch_load_b128 v[6:9], off, off offset:816
	;; [unrolled: 1-line block ×9, first 2 shown]
	ds_load_b128 v[38:41], v1 offset:1728
	ds_load_b128 v[42:45], v1 offset:1744
	s_clause 0x1
	scratch_load_b128 v[165:168], off, off offset:784
	scratch_load_b128 v[169:172], off, off offset:944
	s_mov_b32 s0, exec_lo
	s_wait_loadcnt_dscnt 0xa01
	v_mul_f64_e32 v[173:174], v[40:41], v[4:5]
	v_mul_f64_e32 v[4:5], v[38:39], v[4:5]
	s_wait_loadcnt_dscnt 0x900
	v_mul_f64_e32 v[175:176], v[42:43], v[8:9]
	v_mul_f64_e32 v[8:9], v[44:45], v[8:9]
	s_delay_alu instid0(VALU_DEP_4) | instskip(NEXT) | instid1(VALU_DEP_4)
	v_fma_f64 v[173:174], v[38:39], v[2:3], -v[173:174]
	v_fma_f64 v[177:178], v[40:41], v[2:3], v[4:5]
	ds_load_b128 v[2:5], v1 offset:1760
	ds_load_b128 v[38:41], v1 offset:1776
	v_fma_f64 v[44:45], v[44:45], v[6:7], v[175:176]
	v_fma_f64 v[6:7], v[42:43], v[6:7], -v[8:9]
	s_wait_loadcnt_dscnt 0x801
	v_mul_f64_e32 v[179:180], v[2:3], v[12:13]
	v_mul_f64_e32 v[12:13], v[4:5], v[12:13]
	v_add_f64_e32 v[8:9], 0, v[173:174]
	v_add_f64_e32 v[42:43], 0, v[177:178]
	s_wait_loadcnt_dscnt 0x700
	v_mul_f64_e32 v[173:174], v[38:39], v[16:17]
	v_mul_f64_e32 v[16:17], v[40:41], v[16:17]
	v_fma_f64 v[175:176], v[4:5], v[10:11], v[179:180]
	v_fma_f64 v[10:11], v[2:3], v[10:11], -v[12:13]
	v_add_f64_e32 v[12:13], v[8:9], v[6:7]
	v_add_f64_e32 v[42:43], v[42:43], v[44:45]
	ds_load_b128 v[2:5], v1 offset:1792
	ds_load_b128 v[6:9], v1 offset:1808
	v_fma_f64 v[40:41], v[40:41], v[14:15], v[173:174]
	v_fma_f64 v[14:15], v[38:39], v[14:15], -v[16:17]
	s_wait_loadcnt_dscnt 0x601
	v_mul_f64_e32 v[44:45], v[2:3], v[20:21]
	v_mul_f64_e32 v[20:21], v[4:5], v[20:21]
	s_wait_loadcnt_dscnt 0x500
	v_mul_f64_e32 v[16:17], v[6:7], v[24:25]
	v_mul_f64_e32 v[24:25], v[8:9], v[24:25]
	v_add_f64_e32 v[10:11], v[12:13], v[10:11]
	v_add_f64_e32 v[12:13], v[42:43], v[175:176]
	v_fma_f64 v[38:39], v[4:5], v[18:19], v[44:45]
	v_fma_f64 v[18:19], v[2:3], v[18:19], -v[20:21]
	v_fma_f64 v[8:9], v[8:9], v[22:23], v[16:17]
	v_fma_f64 v[6:7], v[6:7], v[22:23], -v[24:25]
	v_add_f64_e32 v[14:15], v[10:11], v[14:15]
	v_add_f64_e32 v[20:21], v[12:13], v[40:41]
	ds_load_b128 v[2:5], v1 offset:1824
	ds_load_b128 v[10:13], v1 offset:1840
	s_wait_loadcnt_dscnt 0x401
	v_mul_f64_e32 v[40:41], v[2:3], v[28:29]
	v_mul_f64_e32 v[28:29], v[4:5], v[28:29]
	v_add_f64_e32 v[14:15], v[14:15], v[18:19]
	v_add_f64_e32 v[16:17], v[20:21], v[38:39]
	s_wait_loadcnt_dscnt 0x300
	v_mul_f64_e32 v[18:19], v[10:11], v[32:33]
	v_mul_f64_e32 v[20:21], v[12:13], v[32:33]
	v_fma_f64 v[22:23], v[4:5], v[26:27], v[40:41]
	v_fma_f64 v[24:25], v[2:3], v[26:27], -v[28:29]
	v_add_f64_e32 v[14:15], v[14:15], v[6:7]
	v_add_f64_e32 v[16:17], v[16:17], v[8:9]
	ds_load_b128 v[2:5], v1 offset:1856
	ds_load_b128 v[6:9], v1 offset:1872
	v_fma_f64 v[12:13], v[12:13], v[30:31], v[18:19]
	v_fma_f64 v[10:11], v[10:11], v[30:31], -v[20:21]
	s_wait_loadcnt_dscnt 0x201
	v_mul_f64_e32 v[26:27], v[2:3], v[36:37]
	v_mul_f64_e32 v[28:29], v[4:5], v[36:37]
	s_wait_loadcnt_dscnt 0x0
	v_mul_f64_e32 v[18:19], v[6:7], v[171:172]
	v_mul_f64_e32 v[20:21], v[8:9], v[171:172]
	v_add_f64_e32 v[14:15], v[14:15], v[24:25]
	v_add_f64_e32 v[16:17], v[16:17], v[22:23]
	v_fma_f64 v[4:5], v[4:5], v[34:35], v[26:27]
	v_fma_f64 v[1:2], v[2:3], v[34:35], -v[28:29]
	v_fma_f64 v[8:9], v[8:9], v[169:170], v[18:19]
	v_fma_f64 v[6:7], v[6:7], v[169:170], -v[20:21]
	v_add_f64_e32 v[10:11], v[14:15], v[10:11]
	v_add_f64_e32 v[12:13], v[16:17], v[12:13]
	s_delay_alu instid0(VALU_DEP_2) | instskip(NEXT) | instid1(VALU_DEP_2)
	v_add_f64_e32 v[1:2], v[10:11], v[1:2]
	v_add_f64_e32 v[3:4], v[12:13], v[4:5]
	s_delay_alu instid0(VALU_DEP_2) | instskip(NEXT) | instid1(VALU_DEP_2)
	;; [unrolled: 3-line block ×3, first 2 shown]
	v_add_f64_e64 v[1:2], v[165:166], -v[1:2]
	v_add_f64_e64 v[3:4], v[167:168], -v[3:4]
	scratch_store_b128 off, v[1:4], off offset:784
	v_cmpx_lt_u32_e32 47, v0
	s_cbranch_execz .LBB58_273
; %bb.272:
	scratch_load_b128 v[1:4], off, s9
	v_mov_b32_e32 v5, 0
	s_delay_alu instid0(VALU_DEP_1)
	v_dual_mov_b32 v6, v5 :: v_dual_mov_b32 v7, v5
	v_mov_b32_e32 v8, v5
	scratch_store_b128 off, v[5:8], off offset:768
	s_wait_loadcnt 0x0
	ds_store_b128 v164, v[1:4]
.LBB58_273:
	s_wait_alu 0xfffe
	s_or_b32 exec_lo, exec_lo, s0
	s_wait_storecnt_dscnt 0x0
	s_barrier_signal -1
	s_barrier_wait -1
	global_inv scope:SCOPE_SE
	s_clause 0x7
	scratch_load_b128 v[2:5], off, off offset:784
	scratch_load_b128 v[6:9], off, off offset:800
	;; [unrolled: 1-line block ×8, first 2 shown]
	v_mov_b32_e32 v1, 0
	s_mov_b32 s0, exec_lo
	ds_load_b128 v[34:37], v1 offset:1712
	s_clause 0x1
	scratch_load_b128 v[38:41], off, off offset:912
	scratch_load_b128 v[42:45], off, off offset:768
	ds_load_b128 v[165:168], v1 offset:1728
	scratch_load_b128 v[169:172], off, off offset:928
	s_wait_loadcnt_dscnt 0xa01
	v_mul_f64_e32 v[173:174], v[36:37], v[4:5]
	v_mul_f64_e32 v[4:5], v[34:35], v[4:5]
	s_delay_alu instid0(VALU_DEP_2) | instskip(NEXT) | instid1(VALU_DEP_2)
	v_fma_f64 v[179:180], v[34:35], v[2:3], -v[173:174]
	v_fma_f64 v[181:182], v[36:37], v[2:3], v[4:5]
	ds_load_b128 v[2:5], v1 offset:1744
	s_wait_loadcnt_dscnt 0x901
	v_mul_f64_e32 v[177:178], v[165:166], v[8:9]
	v_mul_f64_e32 v[8:9], v[167:168], v[8:9]
	scratch_load_b128 v[34:37], off, off offset:944
	ds_load_b128 v[173:176], v1 offset:1760
	s_wait_loadcnt_dscnt 0x901
	v_mul_f64_e32 v[183:184], v[2:3], v[12:13]
	v_mul_f64_e32 v[12:13], v[4:5], v[12:13]
	v_fma_f64 v[167:168], v[167:168], v[6:7], v[177:178]
	v_fma_f64 v[6:7], v[165:166], v[6:7], -v[8:9]
	v_add_f64_e32 v[8:9], 0, v[179:180]
	v_add_f64_e32 v[165:166], 0, v[181:182]
	s_wait_loadcnt_dscnt 0x800
	v_mul_f64_e32 v[177:178], v[173:174], v[16:17]
	v_mul_f64_e32 v[16:17], v[175:176], v[16:17]
	v_fma_f64 v[179:180], v[4:5], v[10:11], v[183:184]
	v_fma_f64 v[10:11], v[2:3], v[10:11], -v[12:13]
	v_add_f64_e32 v[12:13], v[8:9], v[6:7]
	v_add_f64_e32 v[165:166], v[165:166], v[167:168]
	ds_load_b128 v[2:5], v1 offset:1776
	ds_load_b128 v[6:9], v1 offset:1792
	v_fma_f64 v[175:176], v[175:176], v[14:15], v[177:178]
	v_fma_f64 v[14:15], v[173:174], v[14:15], -v[16:17]
	s_wait_loadcnt_dscnt 0x701
	v_mul_f64_e32 v[167:168], v[2:3], v[20:21]
	v_mul_f64_e32 v[20:21], v[4:5], v[20:21]
	s_wait_loadcnt_dscnt 0x600
	v_mul_f64_e32 v[16:17], v[6:7], v[24:25]
	v_mul_f64_e32 v[24:25], v[8:9], v[24:25]
	v_add_f64_e32 v[10:11], v[12:13], v[10:11]
	v_add_f64_e32 v[12:13], v[165:166], v[179:180]
	v_fma_f64 v[165:166], v[4:5], v[18:19], v[167:168]
	v_fma_f64 v[18:19], v[2:3], v[18:19], -v[20:21]
	v_fma_f64 v[8:9], v[8:9], v[22:23], v[16:17]
	v_fma_f64 v[6:7], v[6:7], v[22:23], -v[24:25]
	v_add_f64_e32 v[14:15], v[10:11], v[14:15]
	v_add_f64_e32 v[20:21], v[12:13], v[175:176]
	ds_load_b128 v[2:5], v1 offset:1808
	ds_load_b128 v[10:13], v1 offset:1824
	s_wait_loadcnt_dscnt 0x501
	v_mul_f64_e32 v[167:168], v[2:3], v[28:29]
	v_mul_f64_e32 v[28:29], v[4:5], v[28:29]
	v_add_f64_e32 v[14:15], v[14:15], v[18:19]
	v_add_f64_e32 v[16:17], v[20:21], v[165:166]
	s_wait_loadcnt_dscnt 0x400
	v_mul_f64_e32 v[18:19], v[10:11], v[32:33]
	v_mul_f64_e32 v[20:21], v[12:13], v[32:33]
	v_fma_f64 v[22:23], v[4:5], v[26:27], v[167:168]
	v_fma_f64 v[24:25], v[2:3], v[26:27], -v[28:29]
	v_add_f64_e32 v[14:15], v[14:15], v[6:7]
	v_add_f64_e32 v[16:17], v[16:17], v[8:9]
	ds_load_b128 v[2:5], v1 offset:1840
	ds_load_b128 v[6:9], v1 offset:1856
	v_fma_f64 v[12:13], v[12:13], v[30:31], v[18:19]
	v_fma_f64 v[10:11], v[10:11], v[30:31], -v[20:21]
	s_wait_loadcnt_dscnt 0x301
	v_mul_f64_e32 v[26:27], v[2:3], v[40:41]
	v_mul_f64_e32 v[28:29], v[4:5], v[40:41]
	s_wait_loadcnt_dscnt 0x100
	v_mul_f64_e32 v[18:19], v[6:7], v[171:172]
	v_mul_f64_e32 v[20:21], v[8:9], v[171:172]
	v_add_f64_e32 v[14:15], v[14:15], v[24:25]
	v_add_f64_e32 v[16:17], v[16:17], v[22:23]
	v_fma_f64 v[22:23], v[4:5], v[38:39], v[26:27]
	v_fma_f64 v[24:25], v[2:3], v[38:39], -v[28:29]
	ds_load_b128 v[2:5], v1 offset:1872
	v_fma_f64 v[8:9], v[8:9], v[169:170], v[18:19]
	v_fma_f64 v[6:7], v[6:7], v[169:170], -v[20:21]
	v_add_f64_e32 v[10:11], v[14:15], v[10:11]
	v_add_f64_e32 v[12:13], v[16:17], v[12:13]
	s_wait_loadcnt_dscnt 0x0
	v_mul_f64_e32 v[14:15], v[2:3], v[36:37]
	v_mul_f64_e32 v[16:17], v[4:5], v[36:37]
	s_delay_alu instid0(VALU_DEP_4) | instskip(NEXT) | instid1(VALU_DEP_4)
	v_add_f64_e32 v[10:11], v[10:11], v[24:25]
	v_add_f64_e32 v[12:13], v[12:13], v[22:23]
	s_delay_alu instid0(VALU_DEP_4) | instskip(NEXT) | instid1(VALU_DEP_4)
	v_fma_f64 v[4:5], v[4:5], v[34:35], v[14:15]
	v_fma_f64 v[2:3], v[2:3], v[34:35], -v[16:17]
	s_delay_alu instid0(VALU_DEP_4) | instskip(NEXT) | instid1(VALU_DEP_4)
	v_add_f64_e32 v[6:7], v[10:11], v[6:7]
	v_add_f64_e32 v[8:9], v[12:13], v[8:9]
	s_delay_alu instid0(VALU_DEP_2) | instskip(NEXT) | instid1(VALU_DEP_2)
	v_add_f64_e32 v[2:3], v[6:7], v[2:3]
	v_add_f64_e32 v[4:5], v[8:9], v[4:5]
	s_delay_alu instid0(VALU_DEP_2) | instskip(NEXT) | instid1(VALU_DEP_2)
	v_add_f64_e64 v[2:3], v[42:43], -v[2:3]
	v_add_f64_e64 v[4:5], v[44:45], -v[4:5]
	scratch_store_b128 off, v[2:5], off offset:768
	v_cmpx_lt_u32_e32 46, v0
	s_cbranch_execz .LBB58_275
; %bb.274:
	scratch_load_b128 v[5:8], off, s10
	v_dual_mov_b32 v2, v1 :: v_dual_mov_b32 v3, v1
	v_mov_b32_e32 v4, v1
	scratch_store_b128 off, v[1:4], off offset:752
	s_wait_loadcnt 0x0
	ds_store_b128 v164, v[5:8]
.LBB58_275:
	s_wait_alu 0xfffe
	s_or_b32 exec_lo, exec_lo, s0
	s_wait_storecnt_dscnt 0x0
	s_barrier_signal -1
	s_barrier_wait -1
	global_inv scope:SCOPE_SE
	s_clause 0x8
	scratch_load_b128 v[2:5], off, off offset:768
	scratch_load_b128 v[6:9], off, off offset:784
	;; [unrolled: 1-line block ×9, first 2 shown]
	ds_load_b128 v[38:41], v1 offset:1696
	ds_load_b128 v[42:45], v1 offset:1712
	s_clause 0x1
	scratch_load_b128 v[165:168], off, off offset:752
	scratch_load_b128 v[169:172], off, off offset:912
	s_mov_b32 s0, exec_lo
	s_wait_loadcnt_dscnt 0xa01
	v_mul_f64_e32 v[173:174], v[40:41], v[4:5]
	v_mul_f64_e32 v[4:5], v[38:39], v[4:5]
	s_wait_loadcnt_dscnt 0x900
	v_mul_f64_e32 v[177:178], v[42:43], v[8:9]
	v_mul_f64_e32 v[8:9], v[44:45], v[8:9]
	s_delay_alu instid0(VALU_DEP_4) | instskip(NEXT) | instid1(VALU_DEP_4)
	v_fma_f64 v[179:180], v[38:39], v[2:3], -v[173:174]
	v_fma_f64 v[181:182], v[40:41], v[2:3], v[4:5]
	ds_load_b128 v[2:5], v1 offset:1728
	ds_load_b128 v[173:176], v1 offset:1744
	scratch_load_b128 v[38:41], off, off offset:928
	v_fma_f64 v[44:45], v[44:45], v[6:7], v[177:178]
	v_fma_f64 v[42:43], v[42:43], v[6:7], -v[8:9]
	scratch_load_b128 v[6:9], off, off offset:944
	s_wait_loadcnt_dscnt 0xa01
	v_mul_f64_e32 v[183:184], v[2:3], v[12:13]
	v_mul_f64_e32 v[12:13], v[4:5], v[12:13]
	v_add_f64_e32 v[177:178], 0, v[179:180]
	v_add_f64_e32 v[179:180], 0, v[181:182]
	s_wait_loadcnt_dscnt 0x900
	v_mul_f64_e32 v[181:182], v[173:174], v[16:17]
	v_mul_f64_e32 v[16:17], v[175:176], v[16:17]
	v_fma_f64 v[183:184], v[4:5], v[10:11], v[183:184]
	v_fma_f64 v[185:186], v[2:3], v[10:11], -v[12:13]
	ds_load_b128 v[2:5], v1 offset:1760
	ds_load_b128 v[10:13], v1 offset:1776
	v_add_f64_e32 v[42:43], v[177:178], v[42:43]
	v_add_f64_e32 v[44:45], v[179:180], v[44:45]
	v_fma_f64 v[175:176], v[175:176], v[14:15], v[181:182]
	v_fma_f64 v[14:15], v[173:174], v[14:15], -v[16:17]
	s_wait_loadcnt_dscnt 0x801
	v_mul_f64_e32 v[177:178], v[2:3], v[20:21]
	v_mul_f64_e32 v[20:21], v[4:5], v[20:21]
	v_add_f64_e32 v[16:17], v[42:43], v[185:186]
	v_add_f64_e32 v[42:43], v[44:45], v[183:184]
	s_wait_loadcnt_dscnt 0x700
	v_mul_f64_e32 v[44:45], v[10:11], v[24:25]
	v_mul_f64_e32 v[24:25], v[12:13], v[24:25]
	v_fma_f64 v[173:174], v[4:5], v[18:19], v[177:178]
	v_fma_f64 v[18:19], v[2:3], v[18:19], -v[20:21]
	v_add_f64_e32 v[20:21], v[16:17], v[14:15]
	v_add_f64_e32 v[42:43], v[42:43], v[175:176]
	ds_load_b128 v[2:5], v1 offset:1792
	ds_load_b128 v[14:17], v1 offset:1808
	v_fma_f64 v[12:13], v[12:13], v[22:23], v[44:45]
	v_fma_f64 v[10:11], v[10:11], v[22:23], -v[24:25]
	s_wait_loadcnt_dscnt 0x601
	v_mul_f64_e32 v[175:176], v[2:3], v[28:29]
	v_mul_f64_e32 v[28:29], v[4:5], v[28:29]
	s_wait_loadcnt_dscnt 0x500
	v_mul_f64_e32 v[22:23], v[14:15], v[32:33]
	v_mul_f64_e32 v[24:25], v[16:17], v[32:33]
	v_add_f64_e32 v[18:19], v[20:21], v[18:19]
	v_add_f64_e32 v[20:21], v[42:43], v[173:174]
	v_fma_f64 v[32:33], v[4:5], v[26:27], v[175:176]
	v_fma_f64 v[26:27], v[2:3], v[26:27], -v[28:29]
	v_fma_f64 v[16:17], v[16:17], v[30:31], v[22:23]
	v_fma_f64 v[14:15], v[14:15], v[30:31], -v[24:25]
	v_add_f64_e32 v[18:19], v[18:19], v[10:11]
	v_add_f64_e32 v[20:21], v[20:21], v[12:13]
	ds_load_b128 v[2:5], v1 offset:1824
	ds_load_b128 v[10:13], v1 offset:1840
	s_wait_loadcnt_dscnt 0x401
	v_mul_f64_e32 v[28:29], v[2:3], v[36:37]
	v_mul_f64_e32 v[36:37], v[4:5], v[36:37]
	s_wait_loadcnt_dscnt 0x200
	v_mul_f64_e32 v[22:23], v[10:11], v[171:172]
	v_mul_f64_e32 v[24:25], v[12:13], v[171:172]
	v_add_f64_e32 v[18:19], v[18:19], v[26:27]
	v_add_f64_e32 v[20:21], v[20:21], v[32:33]
	v_fma_f64 v[26:27], v[4:5], v[34:35], v[28:29]
	v_fma_f64 v[28:29], v[2:3], v[34:35], -v[36:37]
	v_fma_f64 v[12:13], v[12:13], v[169:170], v[22:23]
	v_fma_f64 v[10:11], v[10:11], v[169:170], -v[24:25]
	v_add_f64_e32 v[18:19], v[18:19], v[14:15]
	v_add_f64_e32 v[20:21], v[20:21], v[16:17]
	ds_load_b128 v[2:5], v1 offset:1856
	ds_load_b128 v[14:17], v1 offset:1872
	s_wait_loadcnt_dscnt 0x101
	v_mul_f64_e32 v[30:31], v[2:3], v[40:41]
	v_mul_f64_e32 v[32:33], v[4:5], v[40:41]
	s_wait_loadcnt_dscnt 0x0
	v_mul_f64_e32 v[22:23], v[14:15], v[8:9]
	v_mul_f64_e32 v[8:9], v[16:17], v[8:9]
	v_add_f64_e32 v[18:19], v[18:19], v[28:29]
	v_add_f64_e32 v[20:21], v[20:21], v[26:27]
	v_fma_f64 v[4:5], v[4:5], v[38:39], v[30:31]
	v_fma_f64 v[1:2], v[2:3], v[38:39], -v[32:33]
	v_fma_f64 v[16:17], v[16:17], v[6:7], v[22:23]
	v_fma_f64 v[6:7], v[14:15], v[6:7], -v[8:9]
	v_add_f64_e32 v[10:11], v[18:19], v[10:11]
	v_add_f64_e32 v[12:13], v[20:21], v[12:13]
	s_delay_alu instid0(VALU_DEP_2) | instskip(NEXT) | instid1(VALU_DEP_2)
	v_add_f64_e32 v[1:2], v[10:11], v[1:2]
	v_add_f64_e32 v[3:4], v[12:13], v[4:5]
	s_delay_alu instid0(VALU_DEP_2) | instskip(NEXT) | instid1(VALU_DEP_2)
	;; [unrolled: 3-line block ×3, first 2 shown]
	v_add_f64_e64 v[1:2], v[165:166], -v[1:2]
	v_add_f64_e64 v[3:4], v[167:168], -v[3:4]
	scratch_store_b128 off, v[1:4], off offset:752
	v_cmpx_lt_u32_e32 45, v0
	s_cbranch_execz .LBB58_277
; %bb.276:
	scratch_load_b128 v[1:4], off, s12
	v_mov_b32_e32 v5, 0
	s_delay_alu instid0(VALU_DEP_1)
	v_dual_mov_b32 v6, v5 :: v_dual_mov_b32 v7, v5
	v_mov_b32_e32 v8, v5
	scratch_store_b128 off, v[5:8], off offset:736
	s_wait_loadcnt 0x0
	ds_store_b128 v164, v[1:4]
.LBB58_277:
	s_wait_alu 0xfffe
	s_or_b32 exec_lo, exec_lo, s0
	s_wait_storecnt_dscnt 0x0
	s_barrier_signal -1
	s_barrier_wait -1
	global_inv scope:SCOPE_SE
	s_clause 0x7
	scratch_load_b128 v[2:5], off, off offset:752
	scratch_load_b128 v[6:9], off, off offset:768
	;; [unrolled: 1-line block ×8, first 2 shown]
	v_mov_b32_e32 v1, 0
	s_mov_b32 s0, exec_lo
	ds_load_b128 v[34:37], v1 offset:1680
	s_clause 0x1
	scratch_load_b128 v[38:41], off, off offset:880
	scratch_load_b128 v[42:45], off, off offset:736
	ds_load_b128 v[165:168], v1 offset:1696
	scratch_load_b128 v[169:172], off, off offset:896
	s_wait_loadcnt_dscnt 0xa01
	v_mul_f64_e32 v[173:174], v[36:37], v[4:5]
	v_mul_f64_e32 v[4:5], v[34:35], v[4:5]
	s_delay_alu instid0(VALU_DEP_2) | instskip(NEXT) | instid1(VALU_DEP_2)
	v_fma_f64 v[179:180], v[34:35], v[2:3], -v[173:174]
	v_fma_f64 v[181:182], v[36:37], v[2:3], v[4:5]
	ds_load_b128 v[2:5], v1 offset:1712
	s_wait_loadcnt_dscnt 0x901
	v_mul_f64_e32 v[177:178], v[165:166], v[8:9]
	v_mul_f64_e32 v[8:9], v[167:168], v[8:9]
	scratch_load_b128 v[34:37], off, off offset:912
	ds_load_b128 v[173:176], v1 offset:1728
	s_wait_loadcnt_dscnt 0x901
	v_mul_f64_e32 v[183:184], v[2:3], v[12:13]
	v_mul_f64_e32 v[12:13], v[4:5], v[12:13]
	v_fma_f64 v[167:168], v[167:168], v[6:7], v[177:178]
	v_fma_f64 v[165:166], v[165:166], v[6:7], -v[8:9]
	v_add_f64_e32 v[177:178], 0, v[179:180]
	v_add_f64_e32 v[179:180], 0, v[181:182]
	scratch_load_b128 v[6:9], off, off offset:928
	v_fma_f64 v[183:184], v[4:5], v[10:11], v[183:184]
	v_fma_f64 v[185:186], v[2:3], v[10:11], -v[12:13]
	ds_load_b128 v[2:5], v1 offset:1744
	s_wait_loadcnt_dscnt 0x901
	v_mul_f64_e32 v[181:182], v[173:174], v[16:17]
	v_mul_f64_e32 v[16:17], v[175:176], v[16:17]
	scratch_load_b128 v[10:13], off, off offset:944
	v_add_f64_e32 v[177:178], v[177:178], v[165:166]
	v_add_f64_e32 v[179:180], v[179:180], v[167:168]
	s_wait_loadcnt_dscnt 0x900
	v_mul_f64_e32 v[187:188], v[2:3], v[20:21]
	v_mul_f64_e32 v[20:21], v[4:5], v[20:21]
	ds_load_b128 v[165:168], v1 offset:1760
	v_fma_f64 v[175:176], v[175:176], v[14:15], v[181:182]
	v_fma_f64 v[14:15], v[173:174], v[14:15], -v[16:17]
	v_add_f64_e32 v[16:17], v[177:178], v[185:186]
	v_add_f64_e32 v[173:174], v[179:180], v[183:184]
	s_wait_loadcnt_dscnt 0x800
	v_mul_f64_e32 v[177:178], v[165:166], v[24:25]
	v_mul_f64_e32 v[24:25], v[167:168], v[24:25]
	v_fma_f64 v[179:180], v[4:5], v[18:19], v[187:188]
	v_fma_f64 v[18:19], v[2:3], v[18:19], -v[20:21]
	v_add_f64_e32 v[20:21], v[16:17], v[14:15]
	v_add_f64_e32 v[173:174], v[173:174], v[175:176]
	ds_load_b128 v[2:5], v1 offset:1776
	ds_load_b128 v[14:17], v1 offset:1792
	v_fma_f64 v[167:168], v[167:168], v[22:23], v[177:178]
	v_fma_f64 v[22:23], v[165:166], v[22:23], -v[24:25]
	s_wait_loadcnt_dscnt 0x701
	v_mul_f64_e32 v[175:176], v[2:3], v[28:29]
	v_mul_f64_e32 v[28:29], v[4:5], v[28:29]
	s_wait_loadcnt_dscnt 0x600
	v_mul_f64_e32 v[24:25], v[14:15], v[32:33]
	v_mul_f64_e32 v[32:33], v[16:17], v[32:33]
	v_add_f64_e32 v[18:19], v[20:21], v[18:19]
	v_add_f64_e32 v[20:21], v[173:174], v[179:180]
	v_fma_f64 v[165:166], v[4:5], v[26:27], v[175:176]
	v_fma_f64 v[26:27], v[2:3], v[26:27], -v[28:29]
	v_fma_f64 v[16:17], v[16:17], v[30:31], v[24:25]
	v_fma_f64 v[14:15], v[14:15], v[30:31], -v[32:33]
	v_add_f64_e32 v[22:23], v[18:19], v[22:23]
	v_add_f64_e32 v[28:29], v[20:21], v[167:168]
	ds_load_b128 v[2:5], v1 offset:1808
	ds_load_b128 v[18:21], v1 offset:1824
	s_wait_loadcnt_dscnt 0x501
	v_mul_f64_e32 v[167:168], v[2:3], v[40:41]
	v_mul_f64_e32 v[40:41], v[4:5], v[40:41]
	v_add_f64_e32 v[22:23], v[22:23], v[26:27]
	v_add_f64_e32 v[24:25], v[28:29], v[165:166]
	s_wait_loadcnt_dscnt 0x300
	v_mul_f64_e32 v[26:27], v[18:19], v[171:172]
	v_mul_f64_e32 v[28:29], v[20:21], v[171:172]
	v_fma_f64 v[30:31], v[4:5], v[38:39], v[167:168]
	v_fma_f64 v[32:33], v[2:3], v[38:39], -v[40:41]
	v_add_f64_e32 v[22:23], v[22:23], v[14:15]
	v_add_f64_e32 v[24:25], v[24:25], v[16:17]
	ds_load_b128 v[2:5], v1 offset:1840
	ds_load_b128 v[14:17], v1 offset:1856
	v_fma_f64 v[20:21], v[20:21], v[169:170], v[26:27]
	v_fma_f64 v[18:19], v[18:19], v[169:170], -v[28:29]
	s_wait_loadcnt_dscnt 0x201
	v_mul_f64_e32 v[38:39], v[2:3], v[36:37]
	v_mul_f64_e32 v[36:37], v[4:5], v[36:37]
	v_add_f64_e32 v[22:23], v[22:23], v[32:33]
	v_add_f64_e32 v[24:25], v[24:25], v[30:31]
	s_wait_loadcnt_dscnt 0x100
	v_mul_f64_e32 v[26:27], v[14:15], v[8:9]
	v_mul_f64_e32 v[8:9], v[16:17], v[8:9]
	v_fma_f64 v[28:29], v[4:5], v[34:35], v[38:39]
	v_fma_f64 v[30:31], v[2:3], v[34:35], -v[36:37]
	ds_load_b128 v[2:5], v1 offset:1872
	v_add_f64_e32 v[18:19], v[22:23], v[18:19]
	v_add_f64_e32 v[20:21], v[24:25], v[20:21]
	s_wait_loadcnt_dscnt 0x0
	v_mul_f64_e32 v[22:23], v[2:3], v[12:13]
	v_mul_f64_e32 v[12:13], v[4:5], v[12:13]
	v_fma_f64 v[16:17], v[16:17], v[6:7], v[26:27]
	v_fma_f64 v[6:7], v[14:15], v[6:7], -v[8:9]
	v_add_f64_e32 v[8:9], v[18:19], v[30:31]
	v_add_f64_e32 v[14:15], v[20:21], v[28:29]
	v_fma_f64 v[4:5], v[4:5], v[10:11], v[22:23]
	v_fma_f64 v[2:3], v[2:3], v[10:11], -v[12:13]
	s_delay_alu instid0(VALU_DEP_4) | instskip(NEXT) | instid1(VALU_DEP_4)
	v_add_f64_e32 v[6:7], v[8:9], v[6:7]
	v_add_f64_e32 v[8:9], v[14:15], v[16:17]
	s_delay_alu instid0(VALU_DEP_2) | instskip(NEXT) | instid1(VALU_DEP_2)
	v_add_f64_e32 v[2:3], v[6:7], v[2:3]
	v_add_f64_e32 v[4:5], v[8:9], v[4:5]
	s_delay_alu instid0(VALU_DEP_2) | instskip(NEXT) | instid1(VALU_DEP_2)
	v_add_f64_e64 v[2:3], v[42:43], -v[2:3]
	v_add_f64_e64 v[4:5], v[44:45], -v[4:5]
	scratch_store_b128 off, v[2:5], off offset:736
	v_cmpx_lt_u32_e32 44, v0
	s_cbranch_execz .LBB58_279
; %bb.278:
	scratch_load_b128 v[5:8], off, s19
	v_dual_mov_b32 v2, v1 :: v_dual_mov_b32 v3, v1
	v_mov_b32_e32 v4, v1
	scratch_store_b128 off, v[1:4], off offset:720
	s_wait_loadcnt 0x0
	ds_store_b128 v164, v[5:8]
.LBB58_279:
	s_wait_alu 0xfffe
	s_or_b32 exec_lo, exec_lo, s0
	s_wait_storecnt_dscnt 0x0
	s_barrier_signal -1
	s_barrier_wait -1
	global_inv scope:SCOPE_SE
	s_clause 0x8
	scratch_load_b128 v[2:5], off, off offset:736
	scratch_load_b128 v[6:9], off, off offset:752
	;; [unrolled: 1-line block ×9, first 2 shown]
	ds_load_b128 v[38:41], v1 offset:1664
	ds_load_b128 v[42:45], v1 offset:1680
	s_clause 0x1
	scratch_load_b128 v[165:168], off, off offset:720
	scratch_load_b128 v[169:172], off, off offset:880
	s_mov_b32 s0, exec_lo
	s_wait_loadcnt_dscnt 0xa01
	v_mul_f64_e32 v[173:174], v[40:41], v[4:5]
	v_mul_f64_e32 v[4:5], v[38:39], v[4:5]
	s_wait_loadcnt_dscnt 0x900
	v_mul_f64_e32 v[177:178], v[42:43], v[8:9]
	v_mul_f64_e32 v[8:9], v[44:45], v[8:9]
	s_delay_alu instid0(VALU_DEP_4) | instskip(NEXT) | instid1(VALU_DEP_4)
	v_fma_f64 v[179:180], v[38:39], v[2:3], -v[173:174]
	v_fma_f64 v[181:182], v[40:41], v[2:3], v[4:5]
	ds_load_b128 v[2:5], v1 offset:1696
	ds_load_b128 v[173:176], v1 offset:1712
	scratch_load_b128 v[38:41], off, off offset:896
	v_fma_f64 v[44:45], v[44:45], v[6:7], v[177:178]
	v_fma_f64 v[42:43], v[42:43], v[6:7], -v[8:9]
	scratch_load_b128 v[6:9], off, off offset:912
	s_wait_loadcnt_dscnt 0xa01
	v_mul_f64_e32 v[183:184], v[2:3], v[12:13]
	v_mul_f64_e32 v[12:13], v[4:5], v[12:13]
	v_add_f64_e32 v[177:178], 0, v[179:180]
	v_add_f64_e32 v[179:180], 0, v[181:182]
	s_wait_loadcnt_dscnt 0x900
	v_mul_f64_e32 v[181:182], v[173:174], v[16:17]
	v_mul_f64_e32 v[16:17], v[175:176], v[16:17]
	v_fma_f64 v[183:184], v[4:5], v[10:11], v[183:184]
	v_fma_f64 v[185:186], v[2:3], v[10:11], -v[12:13]
	ds_load_b128 v[2:5], v1 offset:1728
	scratch_load_b128 v[10:13], off, off offset:928
	v_add_f64_e32 v[177:178], v[177:178], v[42:43]
	v_add_f64_e32 v[179:180], v[179:180], v[44:45]
	ds_load_b128 v[42:45], v1 offset:1744
	v_fma_f64 v[175:176], v[175:176], v[14:15], v[181:182]
	v_fma_f64 v[173:174], v[173:174], v[14:15], -v[16:17]
	scratch_load_b128 v[14:17], off, off offset:944
	s_wait_loadcnt_dscnt 0xa01
	v_mul_f64_e32 v[187:188], v[2:3], v[20:21]
	v_mul_f64_e32 v[20:21], v[4:5], v[20:21]
	s_wait_loadcnt_dscnt 0x900
	v_mul_f64_e32 v[181:182], v[42:43], v[24:25]
	v_mul_f64_e32 v[24:25], v[44:45], v[24:25]
	v_add_f64_e32 v[177:178], v[177:178], v[185:186]
	v_add_f64_e32 v[179:180], v[179:180], v[183:184]
	v_fma_f64 v[183:184], v[4:5], v[18:19], v[187:188]
	v_fma_f64 v[185:186], v[2:3], v[18:19], -v[20:21]
	ds_load_b128 v[2:5], v1 offset:1760
	ds_load_b128 v[18:21], v1 offset:1776
	v_fma_f64 v[44:45], v[44:45], v[22:23], v[181:182]
	v_fma_f64 v[22:23], v[42:43], v[22:23], -v[24:25]
	v_add_f64_e32 v[173:174], v[177:178], v[173:174]
	v_add_f64_e32 v[175:176], v[179:180], v[175:176]
	s_wait_loadcnt_dscnt 0x801
	v_mul_f64_e32 v[177:178], v[2:3], v[28:29]
	v_mul_f64_e32 v[28:29], v[4:5], v[28:29]
	s_delay_alu instid0(VALU_DEP_4) | instskip(NEXT) | instid1(VALU_DEP_4)
	v_add_f64_e32 v[24:25], v[173:174], v[185:186]
	v_add_f64_e32 v[42:43], v[175:176], v[183:184]
	s_wait_loadcnt_dscnt 0x700
	v_mul_f64_e32 v[173:174], v[18:19], v[32:33]
	v_mul_f64_e32 v[32:33], v[20:21], v[32:33]
	v_fma_f64 v[175:176], v[4:5], v[26:27], v[177:178]
	v_fma_f64 v[26:27], v[2:3], v[26:27], -v[28:29]
	v_add_f64_e32 v[28:29], v[24:25], v[22:23]
	v_add_f64_e32 v[42:43], v[42:43], v[44:45]
	ds_load_b128 v[2:5], v1 offset:1792
	ds_load_b128 v[22:25], v1 offset:1808
	v_fma_f64 v[20:21], v[20:21], v[30:31], v[173:174]
	v_fma_f64 v[18:19], v[18:19], v[30:31], -v[32:33]
	s_wait_loadcnt_dscnt 0x601
	v_mul_f64_e32 v[44:45], v[2:3], v[36:37]
	v_mul_f64_e32 v[36:37], v[4:5], v[36:37]
	s_wait_loadcnt_dscnt 0x400
	v_mul_f64_e32 v[30:31], v[22:23], v[171:172]
	v_mul_f64_e32 v[32:33], v[24:25], v[171:172]
	v_add_f64_e32 v[26:27], v[28:29], v[26:27]
	v_add_f64_e32 v[28:29], v[42:43], v[175:176]
	v_fma_f64 v[42:43], v[4:5], v[34:35], v[44:45]
	v_fma_f64 v[34:35], v[2:3], v[34:35], -v[36:37]
	v_fma_f64 v[24:25], v[24:25], v[169:170], v[30:31]
	v_fma_f64 v[22:23], v[22:23], v[169:170], -v[32:33]
	v_add_f64_e32 v[26:27], v[26:27], v[18:19]
	v_add_f64_e32 v[28:29], v[28:29], v[20:21]
	ds_load_b128 v[2:5], v1 offset:1824
	ds_load_b128 v[18:21], v1 offset:1840
	s_wait_loadcnt_dscnt 0x301
	v_mul_f64_e32 v[36:37], v[2:3], v[40:41]
	v_mul_f64_e32 v[40:41], v[4:5], v[40:41]
	s_wait_loadcnt_dscnt 0x200
	v_mul_f64_e32 v[30:31], v[18:19], v[8:9]
	v_mul_f64_e32 v[8:9], v[20:21], v[8:9]
	v_add_f64_e32 v[26:27], v[26:27], v[34:35]
	v_add_f64_e32 v[28:29], v[28:29], v[42:43]
	v_fma_f64 v[32:33], v[4:5], v[38:39], v[36:37]
	v_fma_f64 v[34:35], v[2:3], v[38:39], -v[40:41]
	v_fma_f64 v[20:21], v[20:21], v[6:7], v[30:31]
	v_fma_f64 v[6:7], v[18:19], v[6:7], -v[8:9]
	v_add_f64_e32 v[26:27], v[26:27], v[22:23]
	v_add_f64_e32 v[28:29], v[28:29], v[24:25]
	ds_load_b128 v[2:5], v1 offset:1856
	ds_load_b128 v[22:25], v1 offset:1872
	s_wait_loadcnt_dscnt 0x101
	v_mul_f64_e32 v[36:37], v[2:3], v[12:13]
	v_mul_f64_e32 v[12:13], v[4:5], v[12:13]
	v_add_f64_e32 v[8:9], v[26:27], v[34:35]
	v_add_f64_e32 v[18:19], v[28:29], v[32:33]
	s_wait_loadcnt_dscnt 0x0
	v_mul_f64_e32 v[26:27], v[22:23], v[16:17]
	v_mul_f64_e32 v[16:17], v[24:25], v[16:17]
	v_fma_f64 v[4:5], v[4:5], v[10:11], v[36:37]
	v_fma_f64 v[1:2], v[2:3], v[10:11], -v[12:13]
	v_add_f64_e32 v[6:7], v[8:9], v[6:7]
	v_add_f64_e32 v[8:9], v[18:19], v[20:21]
	v_fma_f64 v[10:11], v[24:25], v[14:15], v[26:27]
	v_fma_f64 v[12:13], v[22:23], v[14:15], -v[16:17]
	s_delay_alu instid0(VALU_DEP_4) | instskip(NEXT) | instid1(VALU_DEP_4)
	v_add_f64_e32 v[1:2], v[6:7], v[1:2]
	v_add_f64_e32 v[3:4], v[8:9], v[4:5]
	s_delay_alu instid0(VALU_DEP_2) | instskip(NEXT) | instid1(VALU_DEP_2)
	v_add_f64_e32 v[1:2], v[1:2], v[12:13]
	v_add_f64_e32 v[3:4], v[3:4], v[10:11]
	s_delay_alu instid0(VALU_DEP_2) | instskip(NEXT) | instid1(VALU_DEP_2)
	v_add_f64_e64 v[1:2], v[165:166], -v[1:2]
	v_add_f64_e64 v[3:4], v[167:168], -v[3:4]
	scratch_store_b128 off, v[1:4], off offset:720
	v_cmpx_lt_u32_e32 43, v0
	s_cbranch_execz .LBB58_281
; %bb.280:
	scratch_load_b128 v[1:4], off, s21
	v_mov_b32_e32 v5, 0
	s_delay_alu instid0(VALU_DEP_1)
	v_dual_mov_b32 v6, v5 :: v_dual_mov_b32 v7, v5
	v_mov_b32_e32 v8, v5
	scratch_store_b128 off, v[5:8], off offset:704
	s_wait_loadcnt 0x0
	ds_store_b128 v164, v[1:4]
.LBB58_281:
	s_wait_alu 0xfffe
	s_or_b32 exec_lo, exec_lo, s0
	s_wait_storecnt_dscnt 0x0
	s_barrier_signal -1
	s_barrier_wait -1
	global_inv scope:SCOPE_SE
	s_clause 0x7
	scratch_load_b128 v[2:5], off, off offset:720
	scratch_load_b128 v[6:9], off, off offset:736
	;; [unrolled: 1-line block ×8, first 2 shown]
	v_mov_b32_e32 v1, 0
	s_mov_b32 s0, exec_lo
	ds_load_b128 v[34:37], v1 offset:1648
	s_clause 0x1
	scratch_load_b128 v[38:41], off, off offset:848
	scratch_load_b128 v[42:45], off, off offset:704
	ds_load_b128 v[165:168], v1 offset:1664
	scratch_load_b128 v[169:172], off, off offset:864
	s_wait_loadcnt_dscnt 0xa01
	v_mul_f64_e32 v[173:174], v[36:37], v[4:5]
	v_mul_f64_e32 v[4:5], v[34:35], v[4:5]
	s_delay_alu instid0(VALU_DEP_2) | instskip(NEXT) | instid1(VALU_DEP_2)
	v_fma_f64 v[179:180], v[34:35], v[2:3], -v[173:174]
	v_fma_f64 v[181:182], v[36:37], v[2:3], v[4:5]
	ds_load_b128 v[2:5], v1 offset:1680
	s_wait_loadcnt_dscnt 0x901
	v_mul_f64_e32 v[177:178], v[165:166], v[8:9]
	v_mul_f64_e32 v[8:9], v[167:168], v[8:9]
	scratch_load_b128 v[34:37], off, off offset:880
	ds_load_b128 v[173:176], v1 offset:1696
	s_wait_loadcnt_dscnt 0x901
	v_mul_f64_e32 v[183:184], v[2:3], v[12:13]
	v_mul_f64_e32 v[12:13], v[4:5], v[12:13]
	v_fma_f64 v[167:168], v[167:168], v[6:7], v[177:178]
	v_fma_f64 v[165:166], v[165:166], v[6:7], -v[8:9]
	v_add_f64_e32 v[177:178], 0, v[179:180]
	v_add_f64_e32 v[179:180], 0, v[181:182]
	scratch_load_b128 v[6:9], off, off offset:896
	v_fma_f64 v[183:184], v[4:5], v[10:11], v[183:184]
	v_fma_f64 v[185:186], v[2:3], v[10:11], -v[12:13]
	ds_load_b128 v[2:5], v1 offset:1712
	s_wait_loadcnt_dscnt 0x901
	v_mul_f64_e32 v[181:182], v[173:174], v[16:17]
	v_mul_f64_e32 v[16:17], v[175:176], v[16:17]
	scratch_load_b128 v[10:13], off, off offset:912
	v_add_f64_e32 v[177:178], v[177:178], v[165:166]
	v_add_f64_e32 v[179:180], v[179:180], v[167:168]
	s_wait_loadcnt_dscnt 0x900
	v_mul_f64_e32 v[187:188], v[2:3], v[20:21]
	v_mul_f64_e32 v[20:21], v[4:5], v[20:21]
	ds_load_b128 v[165:168], v1 offset:1728
	v_fma_f64 v[175:176], v[175:176], v[14:15], v[181:182]
	v_fma_f64 v[173:174], v[173:174], v[14:15], -v[16:17]
	scratch_load_b128 v[14:17], off, off offset:928
	v_add_f64_e32 v[177:178], v[177:178], v[185:186]
	v_add_f64_e32 v[179:180], v[179:180], v[183:184]
	v_fma_f64 v[183:184], v[4:5], v[18:19], v[187:188]
	v_fma_f64 v[185:186], v[2:3], v[18:19], -v[20:21]
	ds_load_b128 v[2:5], v1 offset:1744
	s_wait_loadcnt_dscnt 0x901
	v_mul_f64_e32 v[181:182], v[165:166], v[24:25]
	v_mul_f64_e32 v[24:25], v[167:168], v[24:25]
	scratch_load_b128 v[18:21], off, off offset:944
	s_wait_loadcnt_dscnt 0x900
	v_mul_f64_e32 v[187:188], v[2:3], v[28:29]
	v_mul_f64_e32 v[28:29], v[4:5], v[28:29]
	v_add_f64_e32 v[177:178], v[177:178], v[173:174]
	v_add_f64_e32 v[179:180], v[179:180], v[175:176]
	ds_load_b128 v[173:176], v1 offset:1760
	v_fma_f64 v[167:168], v[167:168], v[22:23], v[181:182]
	v_fma_f64 v[22:23], v[165:166], v[22:23], -v[24:25]
	v_add_f64_e32 v[24:25], v[177:178], v[185:186]
	v_add_f64_e32 v[165:166], v[179:180], v[183:184]
	s_wait_loadcnt_dscnt 0x800
	v_mul_f64_e32 v[177:178], v[173:174], v[32:33]
	v_mul_f64_e32 v[32:33], v[175:176], v[32:33]
	v_fma_f64 v[179:180], v[4:5], v[26:27], v[187:188]
	v_fma_f64 v[26:27], v[2:3], v[26:27], -v[28:29]
	v_add_f64_e32 v[28:29], v[24:25], v[22:23]
	v_add_f64_e32 v[165:166], v[165:166], v[167:168]
	ds_load_b128 v[2:5], v1 offset:1776
	ds_load_b128 v[22:25], v1 offset:1792
	v_fma_f64 v[175:176], v[175:176], v[30:31], v[177:178]
	v_fma_f64 v[30:31], v[173:174], v[30:31], -v[32:33]
	s_wait_loadcnt_dscnt 0x701
	v_mul_f64_e32 v[167:168], v[2:3], v[40:41]
	v_mul_f64_e32 v[40:41], v[4:5], v[40:41]
	s_wait_loadcnt_dscnt 0x500
	v_mul_f64_e32 v[32:33], v[22:23], v[171:172]
	v_add_f64_e32 v[26:27], v[28:29], v[26:27]
	v_add_f64_e32 v[28:29], v[165:166], v[179:180]
	v_mul_f64_e32 v[165:166], v[24:25], v[171:172]
	v_fma_f64 v[167:168], v[4:5], v[38:39], v[167:168]
	v_fma_f64 v[38:39], v[2:3], v[38:39], -v[40:41]
	v_fma_f64 v[24:25], v[24:25], v[169:170], v[32:33]
	v_add_f64_e32 v[30:31], v[26:27], v[30:31]
	v_add_f64_e32 v[40:41], v[28:29], v[175:176]
	ds_load_b128 v[2:5], v1 offset:1808
	ds_load_b128 v[26:29], v1 offset:1824
	v_fma_f64 v[22:23], v[22:23], v[169:170], -v[165:166]
	s_wait_loadcnt_dscnt 0x401
	v_mul_f64_e32 v[171:172], v[2:3], v[36:37]
	v_mul_f64_e32 v[36:37], v[4:5], v[36:37]
	v_add_f64_e32 v[30:31], v[30:31], v[38:39]
	v_add_f64_e32 v[32:33], v[40:41], v[167:168]
	s_wait_loadcnt_dscnt 0x300
	v_mul_f64_e32 v[38:39], v[26:27], v[8:9]
	v_mul_f64_e32 v[8:9], v[28:29], v[8:9]
	v_fma_f64 v[40:41], v[4:5], v[34:35], v[171:172]
	v_fma_f64 v[34:35], v[2:3], v[34:35], -v[36:37]
	v_add_f64_e32 v[30:31], v[30:31], v[22:23]
	v_add_f64_e32 v[32:33], v[32:33], v[24:25]
	ds_load_b128 v[2:5], v1 offset:1840
	ds_load_b128 v[22:25], v1 offset:1856
	v_fma_f64 v[28:29], v[28:29], v[6:7], v[38:39]
	v_fma_f64 v[6:7], v[26:27], v[6:7], -v[8:9]
	s_wait_loadcnt_dscnt 0x201
	v_mul_f64_e32 v[36:37], v[2:3], v[12:13]
	v_mul_f64_e32 v[12:13], v[4:5], v[12:13]
	v_add_f64_e32 v[8:9], v[30:31], v[34:35]
	v_add_f64_e32 v[26:27], v[32:33], v[40:41]
	s_wait_loadcnt_dscnt 0x100
	v_mul_f64_e32 v[30:31], v[22:23], v[16:17]
	v_mul_f64_e32 v[16:17], v[24:25], v[16:17]
	v_fma_f64 v[32:33], v[4:5], v[10:11], v[36:37]
	v_fma_f64 v[10:11], v[2:3], v[10:11], -v[12:13]
	ds_load_b128 v[2:5], v1 offset:1872
	v_add_f64_e32 v[6:7], v[8:9], v[6:7]
	v_add_f64_e32 v[8:9], v[26:27], v[28:29]
	v_fma_f64 v[24:25], v[24:25], v[14:15], v[30:31]
	v_fma_f64 v[14:15], v[22:23], v[14:15], -v[16:17]
	s_wait_loadcnt_dscnt 0x0
	v_mul_f64_e32 v[12:13], v[2:3], v[20:21]
	v_mul_f64_e32 v[20:21], v[4:5], v[20:21]
	v_add_f64_e32 v[6:7], v[6:7], v[10:11]
	v_add_f64_e32 v[8:9], v[8:9], v[32:33]
	s_delay_alu instid0(VALU_DEP_4) | instskip(NEXT) | instid1(VALU_DEP_4)
	v_fma_f64 v[4:5], v[4:5], v[18:19], v[12:13]
	v_fma_f64 v[2:3], v[2:3], v[18:19], -v[20:21]
	s_delay_alu instid0(VALU_DEP_4) | instskip(NEXT) | instid1(VALU_DEP_4)
	v_add_f64_e32 v[6:7], v[6:7], v[14:15]
	v_add_f64_e32 v[8:9], v[8:9], v[24:25]
	s_delay_alu instid0(VALU_DEP_2) | instskip(NEXT) | instid1(VALU_DEP_2)
	v_add_f64_e32 v[2:3], v[6:7], v[2:3]
	v_add_f64_e32 v[4:5], v[8:9], v[4:5]
	s_delay_alu instid0(VALU_DEP_2) | instskip(NEXT) | instid1(VALU_DEP_2)
	v_add_f64_e64 v[2:3], v[42:43], -v[2:3]
	v_add_f64_e64 v[4:5], v[44:45], -v[4:5]
	scratch_store_b128 off, v[2:5], off offset:704
	v_cmpx_lt_u32_e32 42, v0
	s_cbranch_execz .LBB58_283
; %bb.282:
	scratch_load_b128 v[5:8], off, s24
	v_dual_mov_b32 v2, v1 :: v_dual_mov_b32 v3, v1
	v_mov_b32_e32 v4, v1
	scratch_store_b128 off, v[1:4], off offset:688
	s_wait_loadcnt 0x0
	ds_store_b128 v164, v[5:8]
.LBB58_283:
	s_wait_alu 0xfffe
	s_or_b32 exec_lo, exec_lo, s0
	s_wait_storecnt_dscnt 0x0
	s_barrier_signal -1
	s_barrier_wait -1
	global_inv scope:SCOPE_SE
	s_clause 0x8
	scratch_load_b128 v[2:5], off, off offset:704
	scratch_load_b128 v[6:9], off, off offset:720
	;; [unrolled: 1-line block ×9, first 2 shown]
	ds_load_b128 v[38:41], v1 offset:1632
	ds_load_b128 v[42:45], v1 offset:1648
	s_clause 0x1
	scratch_load_b128 v[165:168], off, off offset:688
	scratch_load_b128 v[169:172], off, off offset:848
	s_mov_b32 s0, exec_lo
	s_wait_loadcnt_dscnt 0xa01
	v_mul_f64_e32 v[173:174], v[40:41], v[4:5]
	v_mul_f64_e32 v[4:5], v[38:39], v[4:5]
	s_wait_loadcnt_dscnt 0x900
	v_mul_f64_e32 v[177:178], v[42:43], v[8:9]
	v_mul_f64_e32 v[8:9], v[44:45], v[8:9]
	s_delay_alu instid0(VALU_DEP_4) | instskip(NEXT) | instid1(VALU_DEP_4)
	v_fma_f64 v[179:180], v[38:39], v[2:3], -v[173:174]
	v_fma_f64 v[181:182], v[40:41], v[2:3], v[4:5]
	ds_load_b128 v[2:5], v1 offset:1664
	ds_load_b128 v[173:176], v1 offset:1680
	scratch_load_b128 v[38:41], off, off offset:864
	v_fma_f64 v[44:45], v[44:45], v[6:7], v[177:178]
	v_fma_f64 v[42:43], v[42:43], v[6:7], -v[8:9]
	scratch_load_b128 v[6:9], off, off offset:880
	s_wait_loadcnt_dscnt 0xa01
	v_mul_f64_e32 v[183:184], v[2:3], v[12:13]
	v_mul_f64_e32 v[12:13], v[4:5], v[12:13]
	v_add_f64_e32 v[177:178], 0, v[179:180]
	v_add_f64_e32 v[179:180], 0, v[181:182]
	s_wait_loadcnt_dscnt 0x900
	v_mul_f64_e32 v[181:182], v[173:174], v[16:17]
	v_mul_f64_e32 v[16:17], v[175:176], v[16:17]
	v_fma_f64 v[183:184], v[4:5], v[10:11], v[183:184]
	v_fma_f64 v[185:186], v[2:3], v[10:11], -v[12:13]
	ds_load_b128 v[2:5], v1 offset:1696
	scratch_load_b128 v[10:13], off, off offset:896
	v_add_f64_e32 v[177:178], v[177:178], v[42:43]
	v_add_f64_e32 v[179:180], v[179:180], v[44:45]
	ds_load_b128 v[42:45], v1 offset:1712
	v_fma_f64 v[175:176], v[175:176], v[14:15], v[181:182]
	v_fma_f64 v[173:174], v[173:174], v[14:15], -v[16:17]
	scratch_load_b128 v[14:17], off, off offset:912
	s_wait_loadcnt_dscnt 0xa01
	v_mul_f64_e32 v[187:188], v[2:3], v[20:21]
	v_mul_f64_e32 v[20:21], v[4:5], v[20:21]
	s_wait_loadcnt_dscnt 0x900
	v_mul_f64_e32 v[181:182], v[42:43], v[24:25]
	v_mul_f64_e32 v[24:25], v[44:45], v[24:25]
	v_add_f64_e32 v[177:178], v[177:178], v[185:186]
	v_add_f64_e32 v[179:180], v[179:180], v[183:184]
	v_fma_f64 v[183:184], v[4:5], v[18:19], v[187:188]
	v_fma_f64 v[185:186], v[2:3], v[18:19], -v[20:21]
	ds_load_b128 v[2:5], v1 offset:1728
	scratch_load_b128 v[18:21], off, off offset:928
	v_fma_f64 v[44:45], v[44:45], v[22:23], v[181:182]
	v_fma_f64 v[42:43], v[42:43], v[22:23], -v[24:25]
	scratch_load_b128 v[22:25], off, off offset:944
	v_add_f64_e32 v[177:178], v[177:178], v[173:174]
	v_add_f64_e32 v[179:180], v[179:180], v[175:176]
	ds_load_b128 v[173:176], v1 offset:1744
	s_wait_loadcnt_dscnt 0xa01
	v_mul_f64_e32 v[187:188], v[2:3], v[28:29]
	v_mul_f64_e32 v[28:29], v[4:5], v[28:29]
	s_wait_loadcnt_dscnt 0x900
	v_mul_f64_e32 v[181:182], v[173:174], v[32:33]
	v_mul_f64_e32 v[32:33], v[175:176], v[32:33]
	v_add_f64_e32 v[177:178], v[177:178], v[185:186]
	v_add_f64_e32 v[179:180], v[179:180], v[183:184]
	v_fma_f64 v[183:184], v[4:5], v[26:27], v[187:188]
	v_fma_f64 v[185:186], v[2:3], v[26:27], -v[28:29]
	ds_load_b128 v[2:5], v1 offset:1760
	ds_load_b128 v[26:29], v1 offset:1776
	v_fma_f64 v[175:176], v[175:176], v[30:31], v[181:182]
	v_fma_f64 v[30:31], v[173:174], v[30:31], -v[32:33]
	v_add_f64_e32 v[42:43], v[177:178], v[42:43]
	v_add_f64_e32 v[44:45], v[179:180], v[44:45]
	s_wait_loadcnt_dscnt 0x801
	v_mul_f64_e32 v[177:178], v[2:3], v[36:37]
	v_mul_f64_e32 v[36:37], v[4:5], v[36:37]
	s_delay_alu instid0(VALU_DEP_4) | instskip(NEXT) | instid1(VALU_DEP_4)
	v_add_f64_e32 v[32:33], v[42:43], v[185:186]
	v_add_f64_e32 v[42:43], v[44:45], v[183:184]
	s_wait_loadcnt_dscnt 0x600
	v_mul_f64_e32 v[44:45], v[26:27], v[171:172]
	v_mul_f64_e32 v[171:172], v[28:29], v[171:172]
	v_fma_f64 v[173:174], v[4:5], v[34:35], v[177:178]
	v_fma_f64 v[34:35], v[2:3], v[34:35], -v[36:37]
	v_add_f64_e32 v[36:37], v[32:33], v[30:31]
	v_add_f64_e32 v[42:43], v[42:43], v[175:176]
	ds_load_b128 v[2:5], v1 offset:1792
	ds_load_b128 v[30:33], v1 offset:1808
	v_fma_f64 v[28:29], v[28:29], v[169:170], v[44:45]
	v_fma_f64 v[26:27], v[26:27], v[169:170], -v[171:172]
	s_wait_loadcnt_dscnt 0x501
	v_mul_f64_e32 v[175:176], v[2:3], v[40:41]
	v_mul_f64_e32 v[40:41], v[4:5], v[40:41]
	v_add_f64_e32 v[34:35], v[36:37], v[34:35]
	v_add_f64_e32 v[36:37], v[42:43], v[173:174]
	s_wait_loadcnt_dscnt 0x400
	v_mul_f64_e32 v[42:43], v[30:31], v[8:9]
	v_mul_f64_e32 v[8:9], v[32:33], v[8:9]
	v_fma_f64 v[44:45], v[4:5], v[38:39], v[175:176]
	v_fma_f64 v[38:39], v[2:3], v[38:39], -v[40:41]
	v_add_f64_e32 v[34:35], v[34:35], v[26:27]
	v_add_f64_e32 v[36:37], v[36:37], v[28:29]
	ds_load_b128 v[2:5], v1 offset:1824
	ds_load_b128 v[26:29], v1 offset:1840
	v_fma_f64 v[32:33], v[32:33], v[6:7], v[42:43]
	v_fma_f64 v[6:7], v[30:31], v[6:7], -v[8:9]
	s_wait_loadcnt_dscnt 0x301
	v_mul_f64_e32 v[40:41], v[2:3], v[12:13]
	v_mul_f64_e32 v[12:13], v[4:5], v[12:13]
	;; [unrolled: 16-line block ×3, first 2 shown]
	s_wait_loadcnt_dscnt 0x0
	v_mul_f64_e32 v[16:17], v[6:7], v[24:25]
	v_mul_f64_e32 v[24:25], v[8:9], v[24:25]
	v_add_f64_e32 v[10:11], v[12:13], v[10:11]
	v_add_f64_e32 v[12:13], v[30:31], v[36:37]
	v_fma_f64 v[4:5], v[4:5], v[18:19], v[32:33]
	v_fma_f64 v[1:2], v[2:3], v[18:19], -v[20:21]
	v_fma_f64 v[8:9], v[8:9], v[22:23], v[16:17]
	v_fma_f64 v[6:7], v[6:7], v[22:23], -v[24:25]
	v_add_f64_e32 v[10:11], v[10:11], v[14:15]
	v_add_f64_e32 v[12:13], v[12:13], v[28:29]
	s_delay_alu instid0(VALU_DEP_2) | instskip(NEXT) | instid1(VALU_DEP_2)
	v_add_f64_e32 v[1:2], v[10:11], v[1:2]
	v_add_f64_e32 v[3:4], v[12:13], v[4:5]
	s_delay_alu instid0(VALU_DEP_2) | instskip(NEXT) | instid1(VALU_DEP_2)
	;; [unrolled: 3-line block ×3, first 2 shown]
	v_add_f64_e64 v[1:2], v[165:166], -v[1:2]
	v_add_f64_e64 v[3:4], v[167:168], -v[3:4]
	scratch_store_b128 off, v[1:4], off offset:688
	v_cmpx_lt_u32_e32 41, v0
	s_cbranch_execz .LBB58_285
; %bb.284:
	scratch_load_b128 v[1:4], off, s26
	v_mov_b32_e32 v5, 0
	s_delay_alu instid0(VALU_DEP_1)
	v_dual_mov_b32 v6, v5 :: v_dual_mov_b32 v7, v5
	v_mov_b32_e32 v8, v5
	scratch_store_b128 off, v[5:8], off offset:672
	s_wait_loadcnt 0x0
	ds_store_b128 v164, v[1:4]
.LBB58_285:
	s_wait_alu 0xfffe
	s_or_b32 exec_lo, exec_lo, s0
	s_wait_storecnt_dscnt 0x0
	s_barrier_signal -1
	s_barrier_wait -1
	global_inv scope:SCOPE_SE
	s_clause 0x7
	scratch_load_b128 v[2:5], off, off offset:688
	scratch_load_b128 v[6:9], off, off offset:704
	;; [unrolled: 1-line block ×8, first 2 shown]
	v_mov_b32_e32 v1, 0
	s_mov_b32 s0, exec_lo
	ds_load_b128 v[34:37], v1 offset:1616
	s_clause 0x1
	scratch_load_b128 v[38:41], off, off offset:816
	scratch_load_b128 v[42:45], off, off offset:672
	ds_load_b128 v[165:168], v1 offset:1632
	scratch_load_b128 v[169:172], off, off offset:832
	s_wait_loadcnt_dscnt 0xa01
	v_mul_f64_e32 v[173:174], v[36:37], v[4:5]
	v_mul_f64_e32 v[4:5], v[34:35], v[4:5]
	s_delay_alu instid0(VALU_DEP_2) | instskip(NEXT) | instid1(VALU_DEP_2)
	v_fma_f64 v[179:180], v[34:35], v[2:3], -v[173:174]
	v_fma_f64 v[181:182], v[36:37], v[2:3], v[4:5]
	ds_load_b128 v[2:5], v1 offset:1648
	s_wait_loadcnt_dscnt 0x901
	v_mul_f64_e32 v[177:178], v[165:166], v[8:9]
	v_mul_f64_e32 v[8:9], v[167:168], v[8:9]
	scratch_load_b128 v[34:37], off, off offset:848
	ds_load_b128 v[173:176], v1 offset:1664
	s_wait_loadcnt_dscnt 0x901
	v_mul_f64_e32 v[183:184], v[2:3], v[12:13]
	v_mul_f64_e32 v[12:13], v[4:5], v[12:13]
	v_fma_f64 v[167:168], v[167:168], v[6:7], v[177:178]
	v_fma_f64 v[165:166], v[165:166], v[6:7], -v[8:9]
	v_add_f64_e32 v[177:178], 0, v[179:180]
	v_add_f64_e32 v[179:180], 0, v[181:182]
	scratch_load_b128 v[6:9], off, off offset:864
	v_fma_f64 v[183:184], v[4:5], v[10:11], v[183:184]
	v_fma_f64 v[185:186], v[2:3], v[10:11], -v[12:13]
	ds_load_b128 v[2:5], v1 offset:1680
	s_wait_loadcnt_dscnt 0x901
	v_mul_f64_e32 v[181:182], v[173:174], v[16:17]
	v_mul_f64_e32 v[16:17], v[175:176], v[16:17]
	scratch_load_b128 v[10:13], off, off offset:880
	v_add_f64_e32 v[177:178], v[177:178], v[165:166]
	v_add_f64_e32 v[179:180], v[179:180], v[167:168]
	s_wait_loadcnt_dscnt 0x900
	v_mul_f64_e32 v[187:188], v[2:3], v[20:21]
	v_mul_f64_e32 v[20:21], v[4:5], v[20:21]
	ds_load_b128 v[165:168], v1 offset:1696
	v_fma_f64 v[175:176], v[175:176], v[14:15], v[181:182]
	v_fma_f64 v[173:174], v[173:174], v[14:15], -v[16:17]
	scratch_load_b128 v[14:17], off, off offset:896
	v_add_f64_e32 v[177:178], v[177:178], v[185:186]
	v_add_f64_e32 v[179:180], v[179:180], v[183:184]
	v_fma_f64 v[183:184], v[4:5], v[18:19], v[187:188]
	v_fma_f64 v[185:186], v[2:3], v[18:19], -v[20:21]
	ds_load_b128 v[2:5], v1 offset:1712
	s_wait_loadcnt_dscnt 0x901
	v_mul_f64_e32 v[181:182], v[165:166], v[24:25]
	v_mul_f64_e32 v[24:25], v[167:168], v[24:25]
	scratch_load_b128 v[18:21], off, off offset:912
	s_wait_loadcnt_dscnt 0x900
	v_mul_f64_e32 v[187:188], v[2:3], v[28:29]
	v_mul_f64_e32 v[28:29], v[4:5], v[28:29]
	v_add_f64_e32 v[177:178], v[177:178], v[173:174]
	v_add_f64_e32 v[179:180], v[179:180], v[175:176]
	ds_load_b128 v[173:176], v1 offset:1728
	v_fma_f64 v[167:168], v[167:168], v[22:23], v[181:182]
	v_fma_f64 v[165:166], v[165:166], v[22:23], -v[24:25]
	scratch_load_b128 v[22:25], off, off offset:928
	v_add_f64_e32 v[177:178], v[177:178], v[185:186]
	v_add_f64_e32 v[179:180], v[179:180], v[183:184]
	v_fma_f64 v[183:184], v[4:5], v[26:27], v[187:188]
	v_fma_f64 v[185:186], v[2:3], v[26:27], -v[28:29]
	ds_load_b128 v[2:5], v1 offset:1744
	s_wait_loadcnt_dscnt 0x901
	v_mul_f64_e32 v[181:182], v[173:174], v[32:33]
	v_mul_f64_e32 v[32:33], v[175:176], v[32:33]
	scratch_load_b128 v[26:29], off, off offset:944
	s_wait_loadcnt_dscnt 0x900
	v_mul_f64_e32 v[187:188], v[2:3], v[40:41]
	v_mul_f64_e32 v[40:41], v[4:5], v[40:41]
	v_add_f64_e32 v[177:178], v[177:178], v[165:166]
	v_add_f64_e32 v[179:180], v[179:180], v[167:168]
	ds_load_b128 v[165:168], v1 offset:1760
	v_fma_f64 v[175:176], v[175:176], v[30:31], v[181:182]
	v_fma_f64 v[30:31], v[173:174], v[30:31], -v[32:33]
	v_add_f64_e32 v[32:33], v[177:178], v[185:186]
	v_add_f64_e32 v[173:174], v[179:180], v[183:184]
	s_wait_loadcnt_dscnt 0x700
	v_mul_f64_e32 v[177:178], v[165:166], v[171:172]
	v_mul_f64_e32 v[171:172], v[167:168], v[171:172]
	v_fma_f64 v[179:180], v[4:5], v[38:39], v[187:188]
	v_fma_f64 v[38:39], v[2:3], v[38:39], -v[40:41]
	v_add_f64_e32 v[40:41], v[32:33], v[30:31]
	v_add_f64_e32 v[173:174], v[173:174], v[175:176]
	ds_load_b128 v[2:5], v1 offset:1776
	ds_load_b128 v[30:33], v1 offset:1792
	v_fma_f64 v[167:168], v[167:168], v[169:170], v[177:178]
	v_fma_f64 v[165:166], v[165:166], v[169:170], -v[171:172]
	s_wait_loadcnt_dscnt 0x601
	v_mul_f64_e32 v[175:176], v[2:3], v[36:37]
	v_mul_f64_e32 v[36:37], v[4:5], v[36:37]
	v_add_f64_e32 v[38:39], v[40:41], v[38:39]
	v_add_f64_e32 v[40:41], v[173:174], v[179:180]
	s_wait_loadcnt_dscnt 0x500
	v_mul_f64_e32 v[169:170], v[30:31], v[8:9]
	v_mul_f64_e32 v[8:9], v[32:33], v[8:9]
	v_fma_f64 v[171:172], v[4:5], v[34:35], v[175:176]
	v_fma_f64 v[173:174], v[2:3], v[34:35], -v[36:37]
	ds_load_b128 v[2:5], v1 offset:1808
	ds_load_b128 v[34:37], v1 offset:1824
	v_add_f64_e32 v[38:39], v[38:39], v[165:166]
	v_add_f64_e32 v[40:41], v[40:41], v[167:168]
	s_wait_loadcnt_dscnt 0x401
	v_mul_f64_e32 v[165:166], v[2:3], v[12:13]
	v_mul_f64_e32 v[12:13], v[4:5], v[12:13]
	v_fma_f64 v[32:33], v[32:33], v[6:7], v[169:170]
	v_fma_f64 v[6:7], v[30:31], v[6:7], -v[8:9]
	v_add_f64_e32 v[8:9], v[38:39], v[173:174]
	v_add_f64_e32 v[30:31], v[40:41], v[171:172]
	s_wait_loadcnt_dscnt 0x300
	v_mul_f64_e32 v[38:39], v[34:35], v[16:17]
	v_mul_f64_e32 v[16:17], v[36:37], v[16:17]
	v_fma_f64 v[40:41], v[4:5], v[10:11], v[165:166]
	v_fma_f64 v[10:11], v[2:3], v[10:11], -v[12:13]
	v_add_f64_e32 v[12:13], v[8:9], v[6:7]
	v_add_f64_e32 v[30:31], v[30:31], v[32:33]
	ds_load_b128 v[2:5], v1 offset:1840
	ds_load_b128 v[6:9], v1 offset:1856
	v_fma_f64 v[36:37], v[36:37], v[14:15], v[38:39]
	v_fma_f64 v[14:15], v[34:35], v[14:15], -v[16:17]
	s_wait_loadcnt_dscnt 0x201
	v_mul_f64_e32 v[32:33], v[2:3], v[20:21]
	v_mul_f64_e32 v[20:21], v[4:5], v[20:21]
	s_wait_loadcnt_dscnt 0x100
	v_mul_f64_e32 v[16:17], v[6:7], v[24:25]
	v_mul_f64_e32 v[24:25], v[8:9], v[24:25]
	v_add_f64_e32 v[10:11], v[12:13], v[10:11]
	v_add_f64_e32 v[12:13], v[30:31], v[40:41]
	v_fma_f64 v[30:31], v[4:5], v[18:19], v[32:33]
	v_fma_f64 v[18:19], v[2:3], v[18:19], -v[20:21]
	ds_load_b128 v[2:5], v1 offset:1872
	v_fma_f64 v[8:9], v[8:9], v[22:23], v[16:17]
	v_fma_f64 v[6:7], v[6:7], v[22:23], -v[24:25]
	v_add_f64_e32 v[10:11], v[10:11], v[14:15]
	v_add_f64_e32 v[12:13], v[12:13], v[36:37]
	s_wait_loadcnt_dscnt 0x0
	v_mul_f64_e32 v[14:15], v[2:3], v[28:29]
	v_mul_f64_e32 v[20:21], v[4:5], v[28:29]
	s_delay_alu instid0(VALU_DEP_4) | instskip(NEXT) | instid1(VALU_DEP_4)
	v_add_f64_e32 v[10:11], v[10:11], v[18:19]
	v_add_f64_e32 v[12:13], v[12:13], v[30:31]
	s_delay_alu instid0(VALU_DEP_4) | instskip(NEXT) | instid1(VALU_DEP_4)
	v_fma_f64 v[4:5], v[4:5], v[26:27], v[14:15]
	v_fma_f64 v[2:3], v[2:3], v[26:27], -v[20:21]
	s_delay_alu instid0(VALU_DEP_4) | instskip(NEXT) | instid1(VALU_DEP_4)
	v_add_f64_e32 v[6:7], v[10:11], v[6:7]
	v_add_f64_e32 v[8:9], v[12:13], v[8:9]
	s_delay_alu instid0(VALU_DEP_2) | instskip(NEXT) | instid1(VALU_DEP_2)
	v_add_f64_e32 v[2:3], v[6:7], v[2:3]
	v_add_f64_e32 v[4:5], v[8:9], v[4:5]
	s_delay_alu instid0(VALU_DEP_2) | instskip(NEXT) | instid1(VALU_DEP_2)
	v_add_f64_e64 v[2:3], v[42:43], -v[2:3]
	v_add_f64_e64 v[4:5], v[44:45], -v[4:5]
	scratch_store_b128 off, v[2:5], off offset:672
	v_cmpx_lt_u32_e32 40, v0
	s_cbranch_execz .LBB58_287
; %bb.286:
	scratch_load_b128 v[5:8], off, s27
	v_dual_mov_b32 v2, v1 :: v_dual_mov_b32 v3, v1
	v_mov_b32_e32 v4, v1
	scratch_store_b128 off, v[1:4], off offset:656
	s_wait_loadcnt 0x0
	ds_store_b128 v164, v[5:8]
.LBB58_287:
	s_wait_alu 0xfffe
	s_or_b32 exec_lo, exec_lo, s0
	s_wait_storecnt_dscnt 0x0
	s_barrier_signal -1
	s_barrier_wait -1
	global_inv scope:SCOPE_SE
	s_clause 0x8
	scratch_load_b128 v[2:5], off, off offset:672
	scratch_load_b128 v[6:9], off, off offset:688
	;; [unrolled: 1-line block ×9, first 2 shown]
	ds_load_b128 v[38:41], v1 offset:1600
	ds_load_b128 v[42:45], v1 offset:1616
	s_clause 0x1
	scratch_load_b128 v[165:168], off, off offset:656
	scratch_load_b128 v[169:172], off, off offset:816
	s_mov_b32 s0, exec_lo
	s_wait_loadcnt_dscnt 0xa01
	v_mul_f64_e32 v[173:174], v[40:41], v[4:5]
	v_mul_f64_e32 v[4:5], v[38:39], v[4:5]
	s_wait_loadcnt_dscnt 0x900
	v_mul_f64_e32 v[177:178], v[42:43], v[8:9]
	v_mul_f64_e32 v[8:9], v[44:45], v[8:9]
	s_delay_alu instid0(VALU_DEP_4) | instskip(NEXT) | instid1(VALU_DEP_4)
	v_fma_f64 v[179:180], v[38:39], v[2:3], -v[173:174]
	v_fma_f64 v[181:182], v[40:41], v[2:3], v[4:5]
	ds_load_b128 v[2:5], v1 offset:1632
	ds_load_b128 v[173:176], v1 offset:1648
	scratch_load_b128 v[38:41], off, off offset:832
	v_fma_f64 v[44:45], v[44:45], v[6:7], v[177:178]
	v_fma_f64 v[42:43], v[42:43], v[6:7], -v[8:9]
	scratch_load_b128 v[6:9], off, off offset:848
	s_wait_loadcnt_dscnt 0xa01
	v_mul_f64_e32 v[183:184], v[2:3], v[12:13]
	v_mul_f64_e32 v[12:13], v[4:5], v[12:13]
	v_add_f64_e32 v[177:178], 0, v[179:180]
	v_add_f64_e32 v[179:180], 0, v[181:182]
	s_wait_loadcnt_dscnt 0x900
	v_mul_f64_e32 v[181:182], v[173:174], v[16:17]
	v_mul_f64_e32 v[16:17], v[175:176], v[16:17]
	v_fma_f64 v[183:184], v[4:5], v[10:11], v[183:184]
	v_fma_f64 v[185:186], v[2:3], v[10:11], -v[12:13]
	ds_load_b128 v[2:5], v1 offset:1664
	scratch_load_b128 v[10:13], off, off offset:864
	v_add_f64_e32 v[177:178], v[177:178], v[42:43]
	v_add_f64_e32 v[179:180], v[179:180], v[44:45]
	ds_load_b128 v[42:45], v1 offset:1680
	v_fma_f64 v[175:176], v[175:176], v[14:15], v[181:182]
	v_fma_f64 v[173:174], v[173:174], v[14:15], -v[16:17]
	scratch_load_b128 v[14:17], off, off offset:880
	s_wait_loadcnt_dscnt 0xa01
	v_mul_f64_e32 v[187:188], v[2:3], v[20:21]
	v_mul_f64_e32 v[20:21], v[4:5], v[20:21]
	s_wait_loadcnt_dscnt 0x900
	v_mul_f64_e32 v[181:182], v[42:43], v[24:25]
	v_mul_f64_e32 v[24:25], v[44:45], v[24:25]
	v_add_f64_e32 v[177:178], v[177:178], v[185:186]
	v_add_f64_e32 v[179:180], v[179:180], v[183:184]
	v_fma_f64 v[183:184], v[4:5], v[18:19], v[187:188]
	v_fma_f64 v[185:186], v[2:3], v[18:19], -v[20:21]
	ds_load_b128 v[2:5], v1 offset:1696
	scratch_load_b128 v[18:21], off, off offset:896
	v_fma_f64 v[44:45], v[44:45], v[22:23], v[181:182]
	v_fma_f64 v[42:43], v[42:43], v[22:23], -v[24:25]
	scratch_load_b128 v[22:25], off, off offset:912
	v_add_f64_e32 v[177:178], v[177:178], v[173:174]
	v_add_f64_e32 v[179:180], v[179:180], v[175:176]
	ds_load_b128 v[173:176], v1 offset:1712
	s_wait_loadcnt_dscnt 0xa01
	v_mul_f64_e32 v[187:188], v[2:3], v[28:29]
	v_mul_f64_e32 v[28:29], v[4:5], v[28:29]
	s_wait_loadcnt_dscnt 0x900
	v_mul_f64_e32 v[181:182], v[173:174], v[32:33]
	v_mul_f64_e32 v[32:33], v[175:176], v[32:33]
	v_add_f64_e32 v[177:178], v[177:178], v[185:186]
	v_add_f64_e32 v[179:180], v[179:180], v[183:184]
	v_fma_f64 v[183:184], v[4:5], v[26:27], v[187:188]
	v_fma_f64 v[185:186], v[2:3], v[26:27], -v[28:29]
	ds_load_b128 v[2:5], v1 offset:1728
	scratch_load_b128 v[26:29], off, off offset:928
	v_fma_f64 v[175:176], v[175:176], v[30:31], v[181:182]
	v_fma_f64 v[173:174], v[173:174], v[30:31], -v[32:33]
	scratch_load_b128 v[30:33], off, off offset:944
	v_add_f64_e32 v[177:178], v[177:178], v[42:43]
	v_add_f64_e32 v[179:180], v[179:180], v[44:45]
	ds_load_b128 v[42:45], v1 offset:1744
	s_wait_loadcnt_dscnt 0xa01
	v_mul_f64_e32 v[187:188], v[2:3], v[36:37]
	v_mul_f64_e32 v[36:37], v[4:5], v[36:37]
	s_wait_loadcnt_dscnt 0x800
	v_mul_f64_e32 v[181:182], v[42:43], v[171:172]
	v_mul_f64_e32 v[171:172], v[44:45], v[171:172]
	v_add_f64_e32 v[177:178], v[177:178], v[185:186]
	v_add_f64_e32 v[179:180], v[179:180], v[183:184]
	v_fma_f64 v[183:184], v[4:5], v[34:35], v[187:188]
	v_fma_f64 v[185:186], v[2:3], v[34:35], -v[36:37]
	ds_load_b128 v[2:5], v1 offset:1760
	ds_load_b128 v[34:37], v1 offset:1776
	v_fma_f64 v[44:45], v[44:45], v[169:170], v[181:182]
	v_fma_f64 v[42:43], v[42:43], v[169:170], -v[171:172]
	v_add_f64_e32 v[173:174], v[177:178], v[173:174]
	v_add_f64_e32 v[175:176], v[179:180], v[175:176]
	s_wait_loadcnt_dscnt 0x701
	v_mul_f64_e32 v[177:178], v[2:3], v[40:41]
	v_mul_f64_e32 v[40:41], v[4:5], v[40:41]
	s_delay_alu instid0(VALU_DEP_4) | instskip(NEXT) | instid1(VALU_DEP_4)
	v_add_f64_e32 v[169:170], v[173:174], v[185:186]
	v_add_f64_e32 v[171:172], v[175:176], v[183:184]
	s_wait_loadcnt_dscnt 0x600
	v_mul_f64_e32 v[173:174], v[34:35], v[8:9]
	v_mul_f64_e32 v[8:9], v[36:37], v[8:9]
	v_fma_f64 v[175:176], v[4:5], v[38:39], v[177:178]
	v_fma_f64 v[177:178], v[2:3], v[38:39], -v[40:41]
	ds_load_b128 v[2:5], v1 offset:1792
	ds_load_b128 v[38:41], v1 offset:1808
	v_add_f64_e32 v[42:43], v[169:170], v[42:43]
	v_add_f64_e32 v[44:45], v[171:172], v[44:45]
	v_fma_f64 v[36:37], v[36:37], v[6:7], v[173:174]
	s_wait_loadcnt_dscnt 0x501
	v_mul_f64_e32 v[169:170], v[2:3], v[12:13]
	v_mul_f64_e32 v[12:13], v[4:5], v[12:13]
	v_fma_f64 v[6:7], v[34:35], v[6:7], -v[8:9]
	v_add_f64_e32 v[8:9], v[42:43], v[177:178]
	v_add_f64_e32 v[34:35], v[44:45], v[175:176]
	s_wait_loadcnt_dscnt 0x400
	v_mul_f64_e32 v[42:43], v[38:39], v[16:17]
	v_mul_f64_e32 v[16:17], v[40:41], v[16:17]
	v_fma_f64 v[44:45], v[4:5], v[10:11], v[169:170]
	v_fma_f64 v[10:11], v[2:3], v[10:11], -v[12:13]
	v_add_f64_e32 v[12:13], v[8:9], v[6:7]
	v_add_f64_e32 v[34:35], v[34:35], v[36:37]
	ds_load_b128 v[2:5], v1 offset:1824
	ds_load_b128 v[6:9], v1 offset:1840
	v_fma_f64 v[40:41], v[40:41], v[14:15], v[42:43]
	v_fma_f64 v[14:15], v[38:39], v[14:15], -v[16:17]
	s_wait_loadcnt_dscnt 0x301
	v_mul_f64_e32 v[36:37], v[2:3], v[20:21]
	v_mul_f64_e32 v[20:21], v[4:5], v[20:21]
	s_wait_loadcnt_dscnt 0x200
	v_mul_f64_e32 v[16:17], v[6:7], v[24:25]
	v_mul_f64_e32 v[24:25], v[8:9], v[24:25]
	v_add_f64_e32 v[10:11], v[12:13], v[10:11]
	v_add_f64_e32 v[12:13], v[34:35], v[44:45]
	v_fma_f64 v[34:35], v[4:5], v[18:19], v[36:37]
	v_fma_f64 v[18:19], v[2:3], v[18:19], -v[20:21]
	v_fma_f64 v[8:9], v[8:9], v[22:23], v[16:17]
	v_fma_f64 v[6:7], v[6:7], v[22:23], -v[24:25]
	v_add_f64_e32 v[14:15], v[10:11], v[14:15]
	v_add_f64_e32 v[20:21], v[12:13], v[40:41]
	ds_load_b128 v[2:5], v1 offset:1856
	ds_load_b128 v[10:13], v1 offset:1872
	s_wait_loadcnt_dscnt 0x101
	v_mul_f64_e32 v[36:37], v[2:3], v[28:29]
	v_mul_f64_e32 v[28:29], v[4:5], v[28:29]
	v_add_f64_e32 v[14:15], v[14:15], v[18:19]
	v_add_f64_e32 v[16:17], v[20:21], v[34:35]
	s_wait_loadcnt_dscnt 0x0
	v_mul_f64_e32 v[18:19], v[10:11], v[32:33]
	v_mul_f64_e32 v[20:21], v[12:13], v[32:33]
	v_fma_f64 v[4:5], v[4:5], v[26:27], v[36:37]
	v_fma_f64 v[1:2], v[2:3], v[26:27], -v[28:29]
	v_add_f64_e32 v[6:7], v[14:15], v[6:7]
	v_add_f64_e32 v[8:9], v[16:17], v[8:9]
	v_fma_f64 v[12:13], v[12:13], v[30:31], v[18:19]
	v_fma_f64 v[10:11], v[10:11], v[30:31], -v[20:21]
	s_delay_alu instid0(VALU_DEP_4) | instskip(NEXT) | instid1(VALU_DEP_4)
	v_add_f64_e32 v[1:2], v[6:7], v[1:2]
	v_add_f64_e32 v[3:4], v[8:9], v[4:5]
	s_delay_alu instid0(VALU_DEP_2) | instskip(NEXT) | instid1(VALU_DEP_2)
	v_add_f64_e32 v[1:2], v[1:2], v[10:11]
	v_add_f64_e32 v[3:4], v[3:4], v[12:13]
	s_delay_alu instid0(VALU_DEP_2) | instskip(NEXT) | instid1(VALU_DEP_2)
	v_add_f64_e64 v[1:2], v[165:166], -v[1:2]
	v_add_f64_e64 v[3:4], v[167:168], -v[3:4]
	scratch_store_b128 off, v[1:4], off offset:656
	v_cmpx_lt_u32_e32 39, v0
	s_cbranch_execz .LBB58_289
; %bb.288:
	scratch_load_b128 v[1:4], off, s28
	v_mov_b32_e32 v5, 0
	s_delay_alu instid0(VALU_DEP_1)
	v_dual_mov_b32 v6, v5 :: v_dual_mov_b32 v7, v5
	v_mov_b32_e32 v8, v5
	scratch_store_b128 off, v[5:8], off offset:640
	s_wait_loadcnt 0x0
	ds_store_b128 v164, v[1:4]
.LBB58_289:
	s_wait_alu 0xfffe
	s_or_b32 exec_lo, exec_lo, s0
	s_wait_storecnt_dscnt 0x0
	s_barrier_signal -1
	s_barrier_wait -1
	global_inv scope:SCOPE_SE
	s_clause 0x7
	scratch_load_b128 v[2:5], off, off offset:656
	scratch_load_b128 v[6:9], off, off offset:672
	;; [unrolled: 1-line block ×8, first 2 shown]
	v_mov_b32_e32 v1, 0
	s_mov_b32 s0, exec_lo
	ds_load_b128 v[34:37], v1 offset:1584
	s_clause 0x1
	scratch_load_b128 v[38:41], off, off offset:784
	scratch_load_b128 v[42:45], off, off offset:640
	ds_load_b128 v[165:168], v1 offset:1600
	scratch_load_b128 v[169:172], off, off offset:800
	s_wait_loadcnt_dscnt 0xa01
	v_mul_f64_e32 v[173:174], v[36:37], v[4:5]
	v_mul_f64_e32 v[4:5], v[34:35], v[4:5]
	s_delay_alu instid0(VALU_DEP_2) | instskip(NEXT) | instid1(VALU_DEP_2)
	v_fma_f64 v[179:180], v[34:35], v[2:3], -v[173:174]
	v_fma_f64 v[181:182], v[36:37], v[2:3], v[4:5]
	ds_load_b128 v[2:5], v1 offset:1616
	s_wait_loadcnt_dscnt 0x901
	v_mul_f64_e32 v[177:178], v[165:166], v[8:9]
	v_mul_f64_e32 v[8:9], v[167:168], v[8:9]
	scratch_load_b128 v[34:37], off, off offset:816
	ds_load_b128 v[173:176], v1 offset:1632
	s_wait_loadcnt_dscnt 0x901
	v_mul_f64_e32 v[183:184], v[2:3], v[12:13]
	v_mul_f64_e32 v[12:13], v[4:5], v[12:13]
	v_fma_f64 v[167:168], v[167:168], v[6:7], v[177:178]
	v_fma_f64 v[165:166], v[165:166], v[6:7], -v[8:9]
	v_add_f64_e32 v[177:178], 0, v[179:180]
	v_add_f64_e32 v[179:180], 0, v[181:182]
	scratch_load_b128 v[6:9], off, off offset:832
	v_fma_f64 v[183:184], v[4:5], v[10:11], v[183:184]
	v_fma_f64 v[185:186], v[2:3], v[10:11], -v[12:13]
	ds_load_b128 v[2:5], v1 offset:1648
	s_wait_loadcnt_dscnt 0x901
	v_mul_f64_e32 v[181:182], v[173:174], v[16:17]
	v_mul_f64_e32 v[16:17], v[175:176], v[16:17]
	scratch_load_b128 v[10:13], off, off offset:848
	v_add_f64_e32 v[177:178], v[177:178], v[165:166]
	v_add_f64_e32 v[179:180], v[179:180], v[167:168]
	s_wait_loadcnt_dscnt 0x900
	v_mul_f64_e32 v[187:188], v[2:3], v[20:21]
	v_mul_f64_e32 v[20:21], v[4:5], v[20:21]
	ds_load_b128 v[165:168], v1 offset:1664
	v_fma_f64 v[175:176], v[175:176], v[14:15], v[181:182]
	v_fma_f64 v[173:174], v[173:174], v[14:15], -v[16:17]
	scratch_load_b128 v[14:17], off, off offset:864
	v_add_f64_e32 v[177:178], v[177:178], v[185:186]
	v_add_f64_e32 v[179:180], v[179:180], v[183:184]
	v_fma_f64 v[183:184], v[4:5], v[18:19], v[187:188]
	v_fma_f64 v[185:186], v[2:3], v[18:19], -v[20:21]
	ds_load_b128 v[2:5], v1 offset:1680
	s_wait_loadcnt_dscnt 0x901
	v_mul_f64_e32 v[181:182], v[165:166], v[24:25]
	v_mul_f64_e32 v[24:25], v[167:168], v[24:25]
	scratch_load_b128 v[18:21], off, off offset:880
	s_wait_loadcnt_dscnt 0x900
	v_mul_f64_e32 v[187:188], v[2:3], v[28:29]
	v_mul_f64_e32 v[28:29], v[4:5], v[28:29]
	v_add_f64_e32 v[177:178], v[177:178], v[173:174]
	v_add_f64_e32 v[179:180], v[179:180], v[175:176]
	ds_load_b128 v[173:176], v1 offset:1696
	v_fma_f64 v[167:168], v[167:168], v[22:23], v[181:182]
	v_fma_f64 v[165:166], v[165:166], v[22:23], -v[24:25]
	scratch_load_b128 v[22:25], off, off offset:896
	v_add_f64_e32 v[177:178], v[177:178], v[185:186]
	v_add_f64_e32 v[179:180], v[179:180], v[183:184]
	v_fma_f64 v[183:184], v[4:5], v[26:27], v[187:188]
	v_fma_f64 v[185:186], v[2:3], v[26:27], -v[28:29]
	ds_load_b128 v[2:5], v1 offset:1712
	s_wait_loadcnt_dscnt 0x901
	v_mul_f64_e32 v[181:182], v[173:174], v[32:33]
	v_mul_f64_e32 v[32:33], v[175:176], v[32:33]
	scratch_load_b128 v[26:29], off, off offset:912
	s_wait_loadcnt_dscnt 0x900
	v_mul_f64_e32 v[187:188], v[2:3], v[40:41]
	v_mul_f64_e32 v[40:41], v[4:5], v[40:41]
	v_add_f64_e32 v[177:178], v[177:178], v[165:166]
	v_add_f64_e32 v[179:180], v[179:180], v[167:168]
	ds_load_b128 v[165:168], v1 offset:1728
	v_fma_f64 v[175:176], v[175:176], v[30:31], v[181:182]
	v_fma_f64 v[173:174], v[173:174], v[30:31], -v[32:33]
	scratch_load_b128 v[30:33], off, off offset:928
	v_add_f64_e32 v[177:178], v[177:178], v[185:186]
	v_add_f64_e32 v[179:180], v[179:180], v[183:184]
	v_fma_f64 v[185:186], v[4:5], v[38:39], v[187:188]
	v_fma_f64 v[187:188], v[2:3], v[38:39], -v[40:41]
	ds_load_b128 v[2:5], v1 offset:1744
	s_wait_loadcnt_dscnt 0x801
	v_mul_f64_e32 v[181:182], v[165:166], v[171:172]
	v_mul_f64_e32 v[183:184], v[167:168], v[171:172]
	scratch_load_b128 v[38:41], off, off offset:944
	v_add_f64_e32 v[177:178], v[177:178], v[173:174]
	v_add_f64_e32 v[175:176], v[179:180], v[175:176]
	ds_load_b128 v[171:174], v1 offset:1760
	v_fma_f64 v[167:168], v[167:168], v[169:170], v[181:182]
	v_fma_f64 v[165:166], v[165:166], v[169:170], -v[183:184]
	s_wait_loadcnt_dscnt 0x801
	v_mul_f64_e32 v[179:180], v[2:3], v[36:37]
	v_mul_f64_e32 v[36:37], v[4:5], v[36:37]
	v_add_f64_e32 v[169:170], v[177:178], v[187:188]
	v_add_f64_e32 v[175:176], v[175:176], v[185:186]
	s_delay_alu instid0(VALU_DEP_4) | instskip(NEXT) | instid1(VALU_DEP_4)
	v_fma_f64 v[179:180], v[4:5], v[34:35], v[179:180]
	v_fma_f64 v[181:182], v[2:3], v[34:35], -v[36:37]
	s_wait_loadcnt_dscnt 0x700
	v_mul_f64_e32 v[177:178], v[171:172], v[8:9]
	v_mul_f64_e32 v[8:9], v[173:174], v[8:9]
	ds_load_b128 v[2:5], v1 offset:1776
	ds_load_b128 v[34:37], v1 offset:1792
	v_add_f64_e32 v[165:166], v[169:170], v[165:166]
	v_add_f64_e32 v[167:168], v[175:176], v[167:168]
	s_wait_loadcnt_dscnt 0x601
	v_mul_f64_e32 v[169:170], v[2:3], v[12:13]
	v_mul_f64_e32 v[12:13], v[4:5], v[12:13]
	v_fma_f64 v[173:174], v[173:174], v[6:7], v[177:178]
	v_fma_f64 v[6:7], v[171:172], v[6:7], -v[8:9]
	v_add_f64_e32 v[8:9], v[165:166], v[181:182]
	v_add_f64_e32 v[165:166], v[167:168], v[179:180]
	s_wait_loadcnt_dscnt 0x500
	v_mul_f64_e32 v[167:168], v[34:35], v[16:17]
	v_mul_f64_e32 v[16:17], v[36:37], v[16:17]
	v_fma_f64 v[169:170], v[4:5], v[10:11], v[169:170]
	v_fma_f64 v[10:11], v[2:3], v[10:11], -v[12:13]
	v_add_f64_e32 v[12:13], v[8:9], v[6:7]
	v_add_f64_e32 v[165:166], v[165:166], v[173:174]
	ds_load_b128 v[2:5], v1 offset:1808
	ds_load_b128 v[6:9], v1 offset:1824
	v_fma_f64 v[36:37], v[36:37], v[14:15], v[167:168]
	v_fma_f64 v[14:15], v[34:35], v[14:15], -v[16:17]
	s_wait_loadcnt_dscnt 0x401
	v_mul_f64_e32 v[171:172], v[2:3], v[20:21]
	v_mul_f64_e32 v[20:21], v[4:5], v[20:21]
	s_wait_loadcnt_dscnt 0x300
	v_mul_f64_e32 v[16:17], v[6:7], v[24:25]
	v_mul_f64_e32 v[24:25], v[8:9], v[24:25]
	v_add_f64_e32 v[10:11], v[12:13], v[10:11]
	v_add_f64_e32 v[12:13], v[165:166], v[169:170]
	v_fma_f64 v[34:35], v[4:5], v[18:19], v[171:172]
	v_fma_f64 v[18:19], v[2:3], v[18:19], -v[20:21]
	v_fma_f64 v[8:9], v[8:9], v[22:23], v[16:17]
	v_fma_f64 v[6:7], v[6:7], v[22:23], -v[24:25]
	v_add_f64_e32 v[14:15], v[10:11], v[14:15]
	v_add_f64_e32 v[20:21], v[12:13], v[36:37]
	ds_load_b128 v[2:5], v1 offset:1840
	ds_load_b128 v[10:13], v1 offset:1856
	s_wait_loadcnt_dscnt 0x201
	v_mul_f64_e32 v[36:37], v[2:3], v[28:29]
	v_mul_f64_e32 v[28:29], v[4:5], v[28:29]
	v_add_f64_e32 v[14:15], v[14:15], v[18:19]
	v_add_f64_e32 v[16:17], v[20:21], v[34:35]
	s_wait_loadcnt_dscnt 0x100
	v_mul_f64_e32 v[18:19], v[10:11], v[32:33]
	v_mul_f64_e32 v[20:21], v[12:13], v[32:33]
	v_fma_f64 v[22:23], v[4:5], v[26:27], v[36:37]
	v_fma_f64 v[24:25], v[2:3], v[26:27], -v[28:29]
	ds_load_b128 v[2:5], v1 offset:1872
	v_add_f64_e32 v[6:7], v[14:15], v[6:7]
	v_add_f64_e32 v[8:9], v[16:17], v[8:9]
	v_fma_f64 v[12:13], v[12:13], v[30:31], v[18:19]
	v_fma_f64 v[10:11], v[10:11], v[30:31], -v[20:21]
	s_wait_loadcnt_dscnt 0x0
	v_mul_f64_e32 v[14:15], v[2:3], v[40:41]
	v_mul_f64_e32 v[16:17], v[4:5], v[40:41]
	v_add_f64_e32 v[6:7], v[6:7], v[24:25]
	v_add_f64_e32 v[8:9], v[8:9], v[22:23]
	s_delay_alu instid0(VALU_DEP_4) | instskip(NEXT) | instid1(VALU_DEP_4)
	v_fma_f64 v[4:5], v[4:5], v[38:39], v[14:15]
	v_fma_f64 v[2:3], v[2:3], v[38:39], -v[16:17]
	s_delay_alu instid0(VALU_DEP_4) | instskip(NEXT) | instid1(VALU_DEP_4)
	v_add_f64_e32 v[6:7], v[6:7], v[10:11]
	v_add_f64_e32 v[8:9], v[8:9], v[12:13]
	s_delay_alu instid0(VALU_DEP_2) | instskip(NEXT) | instid1(VALU_DEP_2)
	v_add_f64_e32 v[2:3], v[6:7], v[2:3]
	v_add_f64_e32 v[4:5], v[8:9], v[4:5]
	s_delay_alu instid0(VALU_DEP_2) | instskip(NEXT) | instid1(VALU_DEP_2)
	v_add_f64_e64 v[2:3], v[42:43], -v[2:3]
	v_add_f64_e64 v[4:5], v[44:45], -v[4:5]
	scratch_store_b128 off, v[2:5], off offset:640
	v_cmpx_lt_u32_e32 38, v0
	s_cbranch_execz .LBB58_291
; %bb.290:
	scratch_load_b128 v[5:8], off, s31
	v_dual_mov_b32 v2, v1 :: v_dual_mov_b32 v3, v1
	v_mov_b32_e32 v4, v1
	scratch_store_b128 off, v[1:4], off offset:624
	s_wait_loadcnt 0x0
	ds_store_b128 v164, v[5:8]
.LBB58_291:
	s_wait_alu 0xfffe
	s_or_b32 exec_lo, exec_lo, s0
	s_wait_storecnt_dscnt 0x0
	s_barrier_signal -1
	s_barrier_wait -1
	global_inv scope:SCOPE_SE
	s_clause 0x8
	scratch_load_b128 v[2:5], off, off offset:640
	scratch_load_b128 v[6:9], off, off offset:656
	;; [unrolled: 1-line block ×9, first 2 shown]
	ds_load_b128 v[38:41], v1 offset:1568
	ds_load_b128 v[42:45], v1 offset:1584
	s_clause 0x1
	scratch_load_b128 v[165:168], off, off offset:624
	scratch_load_b128 v[169:172], off, off offset:784
	s_mov_b32 s0, exec_lo
	s_wait_loadcnt_dscnt 0xa01
	v_mul_f64_e32 v[173:174], v[40:41], v[4:5]
	v_mul_f64_e32 v[4:5], v[38:39], v[4:5]
	s_wait_loadcnt_dscnt 0x900
	v_mul_f64_e32 v[177:178], v[42:43], v[8:9]
	v_mul_f64_e32 v[8:9], v[44:45], v[8:9]
	s_delay_alu instid0(VALU_DEP_4) | instskip(NEXT) | instid1(VALU_DEP_4)
	v_fma_f64 v[179:180], v[38:39], v[2:3], -v[173:174]
	v_fma_f64 v[181:182], v[40:41], v[2:3], v[4:5]
	ds_load_b128 v[2:5], v1 offset:1600
	ds_load_b128 v[173:176], v1 offset:1616
	scratch_load_b128 v[38:41], off, off offset:800
	v_fma_f64 v[44:45], v[44:45], v[6:7], v[177:178]
	v_fma_f64 v[42:43], v[42:43], v[6:7], -v[8:9]
	scratch_load_b128 v[6:9], off, off offset:816
	s_wait_loadcnt_dscnt 0xa01
	v_mul_f64_e32 v[183:184], v[2:3], v[12:13]
	v_mul_f64_e32 v[12:13], v[4:5], v[12:13]
	v_add_f64_e32 v[177:178], 0, v[179:180]
	v_add_f64_e32 v[179:180], 0, v[181:182]
	s_wait_loadcnt_dscnt 0x900
	v_mul_f64_e32 v[181:182], v[173:174], v[16:17]
	v_mul_f64_e32 v[16:17], v[175:176], v[16:17]
	v_fma_f64 v[183:184], v[4:5], v[10:11], v[183:184]
	v_fma_f64 v[185:186], v[2:3], v[10:11], -v[12:13]
	ds_load_b128 v[2:5], v1 offset:1632
	scratch_load_b128 v[10:13], off, off offset:832
	v_add_f64_e32 v[177:178], v[177:178], v[42:43]
	v_add_f64_e32 v[179:180], v[179:180], v[44:45]
	ds_load_b128 v[42:45], v1 offset:1648
	v_fma_f64 v[175:176], v[175:176], v[14:15], v[181:182]
	v_fma_f64 v[173:174], v[173:174], v[14:15], -v[16:17]
	scratch_load_b128 v[14:17], off, off offset:848
	s_wait_loadcnt_dscnt 0xa01
	v_mul_f64_e32 v[187:188], v[2:3], v[20:21]
	v_mul_f64_e32 v[20:21], v[4:5], v[20:21]
	s_wait_loadcnt_dscnt 0x900
	v_mul_f64_e32 v[181:182], v[42:43], v[24:25]
	v_mul_f64_e32 v[24:25], v[44:45], v[24:25]
	v_add_f64_e32 v[177:178], v[177:178], v[185:186]
	v_add_f64_e32 v[179:180], v[179:180], v[183:184]
	v_fma_f64 v[183:184], v[4:5], v[18:19], v[187:188]
	v_fma_f64 v[185:186], v[2:3], v[18:19], -v[20:21]
	ds_load_b128 v[2:5], v1 offset:1664
	scratch_load_b128 v[18:21], off, off offset:864
	v_fma_f64 v[44:45], v[44:45], v[22:23], v[181:182]
	v_fma_f64 v[42:43], v[42:43], v[22:23], -v[24:25]
	scratch_load_b128 v[22:25], off, off offset:880
	v_add_f64_e32 v[177:178], v[177:178], v[173:174]
	v_add_f64_e32 v[179:180], v[179:180], v[175:176]
	ds_load_b128 v[173:176], v1 offset:1680
	s_wait_loadcnt_dscnt 0xa01
	v_mul_f64_e32 v[187:188], v[2:3], v[28:29]
	v_mul_f64_e32 v[28:29], v[4:5], v[28:29]
	s_wait_loadcnt_dscnt 0x900
	v_mul_f64_e32 v[181:182], v[173:174], v[32:33]
	v_mul_f64_e32 v[32:33], v[175:176], v[32:33]
	v_add_f64_e32 v[177:178], v[177:178], v[185:186]
	v_add_f64_e32 v[179:180], v[179:180], v[183:184]
	v_fma_f64 v[183:184], v[4:5], v[26:27], v[187:188]
	v_fma_f64 v[185:186], v[2:3], v[26:27], -v[28:29]
	ds_load_b128 v[2:5], v1 offset:1696
	scratch_load_b128 v[26:29], off, off offset:896
	v_fma_f64 v[175:176], v[175:176], v[30:31], v[181:182]
	v_fma_f64 v[173:174], v[173:174], v[30:31], -v[32:33]
	scratch_load_b128 v[30:33], off, off offset:912
	v_add_f64_e32 v[177:178], v[177:178], v[42:43]
	v_add_f64_e32 v[179:180], v[179:180], v[44:45]
	ds_load_b128 v[42:45], v1 offset:1712
	s_wait_loadcnt_dscnt 0xa01
	v_mul_f64_e32 v[187:188], v[2:3], v[36:37]
	v_mul_f64_e32 v[36:37], v[4:5], v[36:37]
	s_wait_loadcnt_dscnt 0x800
	v_mul_f64_e32 v[181:182], v[42:43], v[171:172]
	v_add_f64_e32 v[177:178], v[177:178], v[185:186]
	v_add_f64_e32 v[179:180], v[179:180], v[183:184]
	v_mul_f64_e32 v[183:184], v[44:45], v[171:172]
	v_fma_f64 v[185:186], v[4:5], v[34:35], v[187:188]
	v_fma_f64 v[187:188], v[2:3], v[34:35], -v[36:37]
	ds_load_b128 v[2:5], v1 offset:1728
	scratch_load_b128 v[34:37], off, off offset:928
	v_fma_f64 v[44:45], v[44:45], v[169:170], v[181:182]
	v_add_f64_e32 v[177:178], v[177:178], v[173:174]
	v_add_f64_e32 v[175:176], v[179:180], v[175:176]
	ds_load_b128 v[171:174], v1 offset:1744
	v_fma_f64 v[169:170], v[42:43], v[169:170], -v[183:184]
	s_wait_loadcnt_dscnt 0x801
	v_mul_f64_e32 v[179:180], v[2:3], v[40:41]
	v_mul_f64_e32 v[189:190], v[4:5], v[40:41]
	scratch_load_b128 v[40:43], off, off offset:944
	s_wait_loadcnt_dscnt 0x800
	v_mul_f64_e32 v[181:182], v[171:172], v[8:9]
	v_mul_f64_e32 v[8:9], v[173:174], v[8:9]
	v_add_f64_e32 v[177:178], v[177:178], v[187:188]
	v_add_f64_e32 v[175:176], v[175:176], v[185:186]
	v_fma_f64 v[179:180], v[4:5], v[38:39], v[179:180]
	v_fma_f64 v[38:39], v[2:3], v[38:39], -v[189:190]
	v_fma_f64 v[173:174], v[173:174], v[6:7], v[181:182]
	v_fma_f64 v[6:7], v[171:172], v[6:7], -v[8:9]
	v_add_f64_e32 v[169:170], v[177:178], v[169:170]
	v_add_f64_e32 v[44:45], v[175:176], v[44:45]
	ds_load_b128 v[2:5], v1 offset:1760
	ds_load_b128 v[175:178], v1 offset:1776
	s_wait_loadcnt_dscnt 0x701
	v_mul_f64_e32 v[183:184], v[2:3], v[12:13]
	v_mul_f64_e32 v[12:13], v[4:5], v[12:13]
	v_add_f64_e32 v[8:9], v[169:170], v[38:39]
	v_add_f64_e32 v[38:39], v[44:45], v[179:180]
	s_wait_loadcnt_dscnt 0x600
	v_mul_f64_e32 v[44:45], v[175:176], v[16:17]
	v_mul_f64_e32 v[16:17], v[177:178], v[16:17]
	v_fma_f64 v[169:170], v[4:5], v[10:11], v[183:184]
	v_fma_f64 v[10:11], v[2:3], v[10:11], -v[12:13]
	v_add_f64_e32 v[12:13], v[8:9], v[6:7]
	v_add_f64_e32 v[38:39], v[38:39], v[173:174]
	ds_load_b128 v[2:5], v1 offset:1792
	ds_load_b128 v[6:9], v1 offset:1808
	v_fma_f64 v[44:45], v[177:178], v[14:15], v[44:45]
	v_fma_f64 v[14:15], v[175:176], v[14:15], -v[16:17]
	s_wait_loadcnt_dscnt 0x501
	v_mul_f64_e32 v[171:172], v[2:3], v[20:21]
	v_mul_f64_e32 v[20:21], v[4:5], v[20:21]
	s_wait_loadcnt_dscnt 0x400
	v_mul_f64_e32 v[16:17], v[6:7], v[24:25]
	v_mul_f64_e32 v[24:25], v[8:9], v[24:25]
	v_add_f64_e32 v[10:11], v[12:13], v[10:11]
	v_add_f64_e32 v[12:13], v[38:39], v[169:170]
	v_fma_f64 v[38:39], v[4:5], v[18:19], v[171:172]
	v_fma_f64 v[18:19], v[2:3], v[18:19], -v[20:21]
	v_fma_f64 v[8:9], v[8:9], v[22:23], v[16:17]
	v_fma_f64 v[6:7], v[6:7], v[22:23], -v[24:25]
	v_add_f64_e32 v[14:15], v[10:11], v[14:15]
	v_add_f64_e32 v[20:21], v[12:13], v[44:45]
	ds_load_b128 v[2:5], v1 offset:1824
	ds_load_b128 v[10:13], v1 offset:1840
	s_wait_loadcnt_dscnt 0x301
	v_mul_f64_e32 v[44:45], v[2:3], v[28:29]
	v_mul_f64_e32 v[28:29], v[4:5], v[28:29]
	v_add_f64_e32 v[14:15], v[14:15], v[18:19]
	v_add_f64_e32 v[16:17], v[20:21], v[38:39]
	s_wait_loadcnt_dscnt 0x200
	v_mul_f64_e32 v[18:19], v[10:11], v[32:33]
	v_mul_f64_e32 v[20:21], v[12:13], v[32:33]
	v_fma_f64 v[22:23], v[4:5], v[26:27], v[44:45]
	v_fma_f64 v[24:25], v[2:3], v[26:27], -v[28:29]
	v_add_f64_e32 v[14:15], v[14:15], v[6:7]
	v_add_f64_e32 v[16:17], v[16:17], v[8:9]
	ds_load_b128 v[2:5], v1 offset:1856
	ds_load_b128 v[6:9], v1 offset:1872
	v_fma_f64 v[12:13], v[12:13], v[30:31], v[18:19]
	v_fma_f64 v[10:11], v[10:11], v[30:31], -v[20:21]
	s_wait_loadcnt_dscnt 0x101
	v_mul_f64_e32 v[26:27], v[2:3], v[36:37]
	v_mul_f64_e32 v[28:29], v[4:5], v[36:37]
	s_wait_loadcnt_dscnt 0x0
	v_mul_f64_e32 v[18:19], v[6:7], v[42:43]
	v_add_f64_e32 v[14:15], v[14:15], v[24:25]
	v_add_f64_e32 v[16:17], v[16:17], v[22:23]
	v_mul_f64_e32 v[20:21], v[8:9], v[42:43]
	v_fma_f64 v[4:5], v[4:5], v[34:35], v[26:27]
	v_fma_f64 v[1:2], v[2:3], v[34:35], -v[28:29]
	v_fma_f64 v[8:9], v[8:9], v[40:41], v[18:19]
	v_add_f64_e32 v[10:11], v[14:15], v[10:11]
	v_add_f64_e32 v[12:13], v[16:17], v[12:13]
	v_fma_f64 v[6:7], v[6:7], v[40:41], -v[20:21]
	s_delay_alu instid0(VALU_DEP_3) | instskip(NEXT) | instid1(VALU_DEP_3)
	v_add_f64_e32 v[1:2], v[10:11], v[1:2]
	v_add_f64_e32 v[3:4], v[12:13], v[4:5]
	s_delay_alu instid0(VALU_DEP_2) | instskip(NEXT) | instid1(VALU_DEP_2)
	v_add_f64_e32 v[1:2], v[1:2], v[6:7]
	v_add_f64_e32 v[3:4], v[3:4], v[8:9]
	s_delay_alu instid0(VALU_DEP_2) | instskip(NEXT) | instid1(VALU_DEP_2)
	v_add_f64_e64 v[1:2], v[165:166], -v[1:2]
	v_add_f64_e64 v[3:4], v[167:168], -v[3:4]
	scratch_store_b128 off, v[1:4], off offset:624
	v_cmpx_lt_u32_e32 37, v0
	s_cbranch_execz .LBB58_293
; %bb.292:
	scratch_load_b128 v[1:4], off, s34
	v_mov_b32_e32 v5, 0
	s_delay_alu instid0(VALU_DEP_1)
	v_dual_mov_b32 v6, v5 :: v_dual_mov_b32 v7, v5
	v_mov_b32_e32 v8, v5
	scratch_store_b128 off, v[5:8], off offset:608
	s_wait_loadcnt 0x0
	ds_store_b128 v164, v[1:4]
.LBB58_293:
	s_wait_alu 0xfffe
	s_or_b32 exec_lo, exec_lo, s0
	s_wait_storecnt_dscnt 0x0
	s_barrier_signal -1
	s_barrier_wait -1
	global_inv scope:SCOPE_SE
	s_clause 0x7
	scratch_load_b128 v[2:5], off, off offset:624
	scratch_load_b128 v[6:9], off, off offset:640
	;; [unrolled: 1-line block ×8, first 2 shown]
	v_mov_b32_e32 v1, 0
	s_mov_b32 s0, exec_lo
	ds_load_b128 v[34:37], v1 offset:1552
	s_clause 0x1
	scratch_load_b128 v[38:41], off, off offset:752
	scratch_load_b128 v[42:45], off, off offset:608
	ds_load_b128 v[165:168], v1 offset:1568
	scratch_load_b128 v[169:172], off, off offset:768
	s_wait_loadcnt_dscnt 0xa01
	v_mul_f64_e32 v[173:174], v[36:37], v[4:5]
	v_mul_f64_e32 v[4:5], v[34:35], v[4:5]
	s_delay_alu instid0(VALU_DEP_2) | instskip(NEXT) | instid1(VALU_DEP_2)
	v_fma_f64 v[179:180], v[34:35], v[2:3], -v[173:174]
	v_fma_f64 v[181:182], v[36:37], v[2:3], v[4:5]
	ds_load_b128 v[2:5], v1 offset:1584
	s_wait_loadcnt_dscnt 0x901
	v_mul_f64_e32 v[177:178], v[165:166], v[8:9]
	v_mul_f64_e32 v[8:9], v[167:168], v[8:9]
	scratch_load_b128 v[34:37], off, off offset:784
	ds_load_b128 v[173:176], v1 offset:1600
	s_wait_loadcnt_dscnt 0x901
	v_mul_f64_e32 v[183:184], v[2:3], v[12:13]
	v_mul_f64_e32 v[12:13], v[4:5], v[12:13]
	v_fma_f64 v[167:168], v[167:168], v[6:7], v[177:178]
	v_fma_f64 v[165:166], v[165:166], v[6:7], -v[8:9]
	v_add_f64_e32 v[177:178], 0, v[179:180]
	v_add_f64_e32 v[179:180], 0, v[181:182]
	scratch_load_b128 v[6:9], off, off offset:800
	v_fma_f64 v[183:184], v[4:5], v[10:11], v[183:184]
	v_fma_f64 v[185:186], v[2:3], v[10:11], -v[12:13]
	ds_load_b128 v[2:5], v1 offset:1616
	s_wait_loadcnt_dscnt 0x901
	v_mul_f64_e32 v[181:182], v[173:174], v[16:17]
	v_mul_f64_e32 v[16:17], v[175:176], v[16:17]
	scratch_load_b128 v[10:13], off, off offset:816
	v_add_f64_e32 v[177:178], v[177:178], v[165:166]
	v_add_f64_e32 v[179:180], v[179:180], v[167:168]
	s_wait_loadcnt_dscnt 0x900
	v_mul_f64_e32 v[187:188], v[2:3], v[20:21]
	v_mul_f64_e32 v[20:21], v[4:5], v[20:21]
	ds_load_b128 v[165:168], v1 offset:1632
	v_fma_f64 v[175:176], v[175:176], v[14:15], v[181:182]
	v_fma_f64 v[173:174], v[173:174], v[14:15], -v[16:17]
	scratch_load_b128 v[14:17], off, off offset:832
	v_add_f64_e32 v[177:178], v[177:178], v[185:186]
	v_add_f64_e32 v[179:180], v[179:180], v[183:184]
	v_fma_f64 v[183:184], v[4:5], v[18:19], v[187:188]
	v_fma_f64 v[185:186], v[2:3], v[18:19], -v[20:21]
	ds_load_b128 v[2:5], v1 offset:1648
	s_wait_loadcnt_dscnt 0x901
	v_mul_f64_e32 v[181:182], v[165:166], v[24:25]
	v_mul_f64_e32 v[24:25], v[167:168], v[24:25]
	scratch_load_b128 v[18:21], off, off offset:848
	s_wait_loadcnt_dscnt 0x900
	v_mul_f64_e32 v[187:188], v[2:3], v[28:29]
	v_mul_f64_e32 v[28:29], v[4:5], v[28:29]
	v_add_f64_e32 v[177:178], v[177:178], v[173:174]
	v_add_f64_e32 v[179:180], v[179:180], v[175:176]
	ds_load_b128 v[173:176], v1 offset:1664
	v_fma_f64 v[167:168], v[167:168], v[22:23], v[181:182]
	v_fma_f64 v[165:166], v[165:166], v[22:23], -v[24:25]
	scratch_load_b128 v[22:25], off, off offset:864
	v_add_f64_e32 v[177:178], v[177:178], v[185:186]
	v_add_f64_e32 v[179:180], v[179:180], v[183:184]
	v_fma_f64 v[183:184], v[4:5], v[26:27], v[187:188]
	v_fma_f64 v[185:186], v[2:3], v[26:27], -v[28:29]
	ds_load_b128 v[2:5], v1 offset:1680
	s_wait_loadcnt_dscnt 0x901
	v_mul_f64_e32 v[181:182], v[173:174], v[32:33]
	v_mul_f64_e32 v[32:33], v[175:176], v[32:33]
	scratch_load_b128 v[26:29], off, off offset:880
	s_wait_loadcnt_dscnt 0x900
	v_mul_f64_e32 v[187:188], v[2:3], v[40:41]
	v_mul_f64_e32 v[40:41], v[4:5], v[40:41]
	v_add_f64_e32 v[177:178], v[177:178], v[165:166]
	v_add_f64_e32 v[179:180], v[179:180], v[167:168]
	ds_load_b128 v[165:168], v1 offset:1696
	v_fma_f64 v[175:176], v[175:176], v[30:31], v[181:182]
	v_fma_f64 v[173:174], v[173:174], v[30:31], -v[32:33]
	scratch_load_b128 v[30:33], off, off offset:896
	v_add_f64_e32 v[177:178], v[177:178], v[185:186]
	v_add_f64_e32 v[179:180], v[179:180], v[183:184]
	v_fma_f64 v[185:186], v[4:5], v[38:39], v[187:188]
	v_fma_f64 v[187:188], v[2:3], v[38:39], -v[40:41]
	ds_load_b128 v[2:5], v1 offset:1712
	s_wait_loadcnt_dscnt 0x801
	v_mul_f64_e32 v[181:182], v[165:166], v[171:172]
	v_mul_f64_e32 v[183:184], v[167:168], v[171:172]
	scratch_load_b128 v[38:41], off, off offset:912
	v_add_f64_e32 v[177:178], v[177:178], v[173:174]
	v_add_f64_e32 v[175:176], v[179:180], v[175:176]
	ds_load_b128 v[171:174], v1 offset:1728
	v_fma_f64 v[181:182], v[167:168], v[169:170], v[181:182]
	v_fma_f64 v[169:170], v[165:166], v[169:170], -v[183:184]
	scratch_load_b128 v[165:168], off, off offset:928
	s_wait_loadcnt_dscnt 0x901
	v_mul_f64_e32 v[179:180], v[2:3], v[36:37]
	v_mul_f64_e32 v[36:37], v[4:5], v[36:37]
	v_add_f64_e32 v[177:178], v[177:178], v[187:188]
	v_add_f64_e32 v[175:176], v[175:176], v[185:186]
	s_delay_alu instid0(VALU_DEP_4) | instskip(NEXT) | instid1(VALU_DEP_4)
	v_fma_f64 v[179:180], v[4:5], v[34:35], v[179:180]
	v_fma_f64 v[185:186], v[2:3], v[34:35], -v[36:37]
	ds_load_b128 v[2:5], v1 offset:1744
	s_wait_loadcnt_dscnt 0x801
	v_mul_f64_e32 v[183:184], v[171:172], v[8:9]
	v_mul_f64_e32 v[8:9], v[173:174], v[8:9]
	scratch_load_b128 v[34:37], off, off offset:944
	s_wait_loadcnt_dscnt 0x800
	v_mul_f64_e32 v[187:188], v[2:3], v[12:13]
	v_add_f64_e32 v[169:170], v[177:178], v[169:170]
	v_add_f64_e32 v[181:182], v[175:176], v[181:182]
	v_mul_f64_e32 v[12:13], v[4:5], v[12:13]
	ds_load_b128 v[175:178], v1 offset:1760
	v_fma_f64 v[173:174], v[173:174], v[6:7], v[183:184]
	v_fma_f64 v[6:7], v[171:172], v[6:7], -v[8:9]
	s_wait_loadcnt_dscnt 0x700
	v_mul_f64_e32 v[171:172], v[175:176], v[16:17]
	v_add_f64_e32 v[8:9], v[169:170], v[185:186]
	v_add_f64_e32 v[169:170], v[181:182], v[179:180]
	v_mul_f64_e32 v[16:17], v[177:178], v[16:17]
	v_fma_f64 v[179:180], v[4:5], v[10:11], v[187:188]
	v_fma_f64 v[10:11], v[2:3], v[10:11], -v[12:13]
	v_fma_f64 v[171:172], v[177:178], v[14:15], v[171:172]
	v_add_f64_e32 v[12:13], v[8:9], v[6:7]
	v_add_f64_e32 v[169:170], v[169:170], v[173:174]
	ds_load_b128 v[2:5], v1 offset:1776
	ds_load_b128 v[6:9], v1 offset:1792
	v_fma_f64 v[14:15], v[175:176], v[14:15], -v[16:17]
	s_wait_loadcnt_dscnt 0x601
	v_mul_f64_e32 v[173:174], v[2:3], v[20:21]
	v_mul_f64_e32 v[20:21], v[4:5], v[20:21]
	s_wait_loadcnt_dscnt 0x500
	v_mul_f64_e32 v[16:17], v[6:7], v[24:25]
	v_mul_f64_e32 v[24:25], v[8:9], v[24:25]
	v_add_f64_e32 v[10:11], v[12:13], v[10:11]
	v_add_f64_e32 v[12:13], v[169:170], v[179:180]
	v_fma_f64 v[169:170], v[4:5], v[18:19], v[173:174]
	v_fma_f64 v[18:19], v[2:3], v[18:19], -v[20:21]
	v_fma_f64 v[8:9], v[8:9], v[22:23], v[16:17]
	v_fma_f64 v[6:7], v[6:7], v[22:23], -v[24:25]
	v_add_f64_e32 v[14:15], v[10:11], v[14:15]
	v_add_f64_e32 v[20:21], v[12:13], v[171:172]
	ds_load_b128 v[2:5], v1 offset:1808
	ds_load_b128 v[10:13], v1 offset:1824
	s_wait_loadcnt_dscnt 0x401
	v_mul_f64_e32 v[171:172], v[2:3], v[28:29]
	v_mul_f64_e32 v[28:29], v[4:5], v[28:29]
	v_add_f64_e32 v[14:15], v[14:15], v[18:19]
	v_add_f64_e32 v[16:17], v[20:21], v[169:170]
	s_wait_loadcnt_dscnt 0x300
	v_mul_f64_e32 v[18:19], v[10:11], v[32:33]
	v_mul_f64_e32 v[20:21], v[12:13], v[32:33]
	v_fma_f64 v[22:23], v[4:5], v[26:27], v[171:172]
	v_fma_f64 v[24:25], v[2:3], v[26:27], -v[28:29]
	v_add_f64_e32 v[14:15], v[14:15], v[6:7]
	v_add_f64_e32 v[16:17], v[16:17], v[8:9]
	ds_load_b128 v[2:5], v1 offset:1840
	ds_load_b128 v[6:9], v1 offset:1856
	v_fma_f64 v[12:13], v[12:13], v[30:31], v[18:19]
	v_fma_f64 v[10:11], v[10:11], v[30:31], -v[20:21]
	s_wait_loadcnt_dscnt 0x201
	v_mul_f64_e32 v[26:27], v[2:3], v[40:41]
	v_mul_f64_e32 v[28:29], v[4:5], v[40:41]
	s_wait_loadcnt_dscnt 0x100
	v_mul_f64_e32 v[18:19], v[6:7], v[167:168]
	v_mul_f64_e32 v[20:21], v[8:9], v[167:168]
	v_add_f64_e32 v[14:15], v[14:15], v[24:25]
	v_add_f64_e32 v[16:17], v[16:17], v[22:23]
	v_fma_f64 v[22:23], v[4:5], v[38:39], v[26:27]
	v_fma_f64 v[24:25], v[2:3], v[38:39], -v[28:29]
	ds_load_b128 v[2:5], v1 offset:1872
	v_fma_f64 v[8:9], v[8:9], v[165:166], v[18:19]
	v_fma_f64 v[6:7], v[6:7], v[165:166], -v[20:21]
	v_add_f64_e32 v[10:11], v[14:15], v[10:11]
	v_add_f64_e32 v[12:13], v[16:17], v[12:13]
	s_wait_loadcnt_dscnt 0x0
	v_mul_f64_e32 v[14:15], v[2:3], v[36:37]
	v_mul_f64_e32 v[16:17], v[4:5], v[36:37]
	s_delay_alu instid0(VALU_DEP_4) | instskip(NEXT) | instid1(VALU_DEP_4)
	v_add_f64_e32 v[10:11], v[10:11], v[24:25]
	v_add_f64_e32 v[12:13], v[12:13], v[22:23]
	s_delay_alu instid0(VALU_DEP_4) | instskip(NEXT) | instid1(VALU_DEP_4)
	v_fma_f64 v[4:5], v[4:5], v[34:35], v[14:15]
	v_fma_f64 v[2:3], v[2:3], v[34:35], -v[16:17]
	s_delay_alu instid0(VALU_DEP_4) | instskip(NEXT) | instid1(VALU_DEP_4)
	v_add_f64_e32 v[6:7], v[10:11], v[6:7]
	v_add_f64_e32 v[8:9], v[12:13], v[8:9]
	s_delay_alu instid0(VALU_DEP_2) | instskip(NEXT) | instid1(VALU_DEP_2)
	v_add_f64_e32 v[2:3], v[6:7], v[2:3]
	v_add_f64_e32 v[4:5], v[8:9], v[4:5]
	s_delay_alu instid0(VALU_DEP_2) | instskip(NEXT) | instid1(VALU_DEP_2)
	v_add_f64_e64 v[2:3], v[42:43], -v[2:3]
	v_add_f64_e64 v[4:5], v[44:45], -v[4:5]
	scratch_store_b128 off, v[2:5], off offset:608
	v_cmpx_lt_u32_e32 36, v0
	s_cbranch_execz .LBB58_295
; %bb.294:
	scratch_load_b128 v[5:8], off, s36
	v_dual_mov_b32 v2, v1 :: v_dual_mov_b32 v3, v1
	v_mov_b32_e32 v4, v1
	scratch_store_b128 off, v[1:4], off offset:592
	s_wait_loadcnt 0x0
	ds_store_b128 v164, v[5:8]
.LBB58_295:
	s_wait_alu 0xfffe
	s_or_b32 exec_lo, exec_lo, s0
	s_wait_storecnt_dscnt 0x0
	s_barrier_signal -1
	s_barrier_wait -1
	global_inv scope:SCOPE_SE
	s_clause 0x8
	scratch_load_b128 v[2:5], off, off offset:608
	scratch_load_b128 v[6:9], off, off offset:624
	;; [unrolled: 1-line block ×9, first 2 shown]
	ds_load_b128 v[38:41], v1 offset:1536
	ds_load_b128 v[42:45], v1 offset:1552
	s_clause 0x1
	scratch_load_b128 v[165:168], off, off offset:592
	scratch_load_b128 v[169:172], off, off offset:752
	s_mov_b32 s0, exec_lo
	s_wait_loadcnt_dscnt 0xa01
	v_mul_f64_e32 v[173:174], v[40:41], v[4:5]
	v_mul_f64_e32 v[4:5], v[38:39], v[4:5]
	s_wait_loadcnt_dscnt 0x900
	v_mul_f64_e32 v[177:178], v[42:43], v[8:9]
	v_mul_f64_e32 v[8:9], v[44:45], v[8:9]
	s_delay_alu instid0(VALU_DEP_4) | instskip(NEXT) | instid1(VALU_DEP_4)
	v_fma_f64 v[179:180], v[38:39], v[2:3], -v[173:174]
	v_fma_f64 v[181:182], v[40:41], v[2:3], v[4:5]
	ds_load_b128 v[2:5], v1 offset:1568
	ds_load_b128 v[173:176], v1 offset:1584
	scratch_load_b128 v[38:41], off, off offset:768
	v_fma_f64 v[44:45], v[44:45], v[6:7], v[177:178]
	v_fma_f64 v[42:43], v[42:43], v[6:7], -v[8:9]
	scratch_load_b128 v[6:9], off, off offset:784
	s_wait_loadcnt_dscnt 0xa01
	v_mul_f64_e32 v[183:184], v[2:3], v[12:13]
	v_mul_f64_e32 v[12:13], v[4:5], v[12:13]
	v_add_f64_e32 v[177:178], 0, v[179:180]
	v_add_f64_e32 v[179:180], 0, v[181:182]
	s_wait_loadcnt_dscnt 0x900
	v_mul_f64_e32 v[181:182], v[173:174], v[16:17]
	v_mul_f64_e32 v[16:17], v[175:176], v[16:17]
	v_fma_f64 v[183:184], v[4:5], v[10:11], v[183:184]
	v_fma_f64 v[185:186], v[2:3], v[10:11], -v[12:13]
	ds_load_b128 v[2:5], v1 offset:1600
	scratch_load_b128 v[10:13], off, off offset:800
	v_add_f64_e32 v[177:178], v[177:178], v[42:43]
	v_add_f64_e32 v[179:180], v[179:180], v[44:45]
	ds_load_b128 v[42:45], v1 offset:1616
	v_fma_f64 v[175:176], v[175:176], v[14:15], v[181:182]
	v_fma_f64 v[173:174], v[173:174], v[14:15], -v[16:17]
	scratch_load_b128 v[14:17], off, off offset:816
	s_wait_loadcnt_dscnt 0xa01
	v_mul_f64_e32 v[187:188], v[2:3], v[20:21]
	v_mul_f64_e32 v[20:21], v[4:5], v[20:21]
	s_wait_loadcnt_dscnt 0x900
	v_mul_f64_e32 v[181:182], v[42:43], v[24:25]
	v_mul_f64_e32 v[24:25], v[44:45], v[24:25]
	v_add_f64_e32 v[177:178], v[177:178], v[185:186]
	v_add_f64_e32 v[179:180], v[179:180], v[183:184]
	v_fma_f64 v[183:184], v[4:5], v[18:19], v[187:188]
	v_fma_f64 v[185:186], v[2:3], v[18:19], -v[20:21]
	ds_load_b128 v[2:5], v1 offset:1632
	scratch_load_b128 v[18:21], off, off offset:832
	v_fma_f64 v[44:45], v[44:45], v[22:23], v[181:182]
	v_fma_f64 v[42:43], v[42:43], v[22:23], -v[24:25]
	scratch_load_b128 v[22:25], off, off offset:848
	v_add_f64_e32 v[177:178], v[177:178], v[173:174]
	v_add_f64_e32 v[179:180], v[179:180], v[175:176]
	ds_load_b128 v[173:176], v1 offset:1648
	s_wait_loadcnt_dscnt 0xa01
	v_mul_f64_e32 v[187:188], v[2:3], v[28:29]
	v_mul_f64_e32 v[28:29], v[4:5], v[28:29]
	s_wait_loadcnt_dscnt 0x900
	v_mul_f64_e32 v[181:182], v[173:174], v[32:33]
	v_mul_f64_e32 v[32:33], v[175:176], v[32:33]
	v_add_f64_e32 v[177:178], v[177:178], v[185:186]
	v_add_f64_e32 v[179:180], v[179:180], v[183:184]
	v_fma_f64 v[183:184], v[4:5], v[26:27], v[187:188]
	v_fma_f64 v[185:186], v[2:3], v[26:27], -v[28:29]
	ds_load_b128 v[2:5], v1 offset:1664
	scratch_load_b128 v[26:29], off, off offset:864
	v_fma_f64 v[175:176], v[175:176], v[30:31], v[181:182]
	v_fma_f64 v[173:174], v[173:174], v[30:31], -v[32:33]
	scratch_load_b128 v[30:33], off, off offset:880
	v_add_f64_e32 v[177:178], v[177:178], v[42:43]
	v_add_f64_e32 v[179:180], v[179:180], v[44:45]
	ds_load_b128 v[42:45], v1 offset:1680
	s_wait_loadcnt_dscnt 0xa01
	v_mul_f64_e32 v[187:188], v[2:3], v[36:37]
	v_mul_f64_e32 v[36:37], v[4:5], v[36:37]
	s_wait_loadcnt_dscnt 0x800
	v_mul_f64_e32 v[181:182], v[42:43], v[171:172]
	v_add_f64_e32 v[177:178], v[177:178], v[185:186]
	v_add_f64_e32 v[179:180], v[179:180], v[183:184]
	v_mul_f64_e32 v[183:184], v[44:45], v[171:172]
	v_fma_f64 v[185:186], v[4:5], v[34:35], v[187:188]
	v_fma_f64 v[187:188], v[2:3], v[34:35], -v[36:37]
	ds_load_b128 v[2:5], v1 offset:1696
	scratch_load_b128 v[34:37], off, off offset:896
	v_fma_f64 v[44:45], v[44:45], v[169:170], v[181:182]
	v_add_f64_e32 v[177:178], v[177:178], v[173:174]
	v_add_f64_e32 v[175:176], v[179:180], v[175:176]
	ds_load_b128 v[171:174], v1 offset:1712
	v_fma_f64 v[169:170], v[42:43], v[169:170], -v[183:184]
	s_wait_loadcnt_dscnt 0x801
	v_mul_f64_e32 v[179:180], v[2:3], v[40:41]
	v_mul_f64_e32 v[189:190], v[4:5], v[40:41]
	scratch_load_b128 v[40:43], off, off offset:912
	s_wait_loadcnt_dscnt 0x800
	v_mul_f64_e32 v[183:184], v[171:172], v[8:9]
	v_mul_f64_e32 v[8:9], v[173:174], v[8:9]
	v_add_f64_e32 v[177:178], v[177:178], v[187:188]
	v_add_f64_e32 v[175:176], v[175:176], v[185:186]
	v_fma_f64 v[185:186], v[4:5], v[38:39], v[179:180]
	v_fma_f64 v[38:39], v[2:3], v[38:39], -v[189:190]
	ds_load_b128 v[2:5], v1 offset:1728
	ds_load_b128 v[179:182], v1 offset:1744
	v_fma_f64 v[173:174], v[173:174], v[6:7], v[183:184]
	v_fma_f64 v[171:172], v[171:172], v[6:7], -v[8:9]
	scratch_load_b128 v[6:9], off, off offset:944
	v_add_f64_e32 v[169:170], v[177:178], v[169:170]
	v_add_f64_e32 v[44:45], v[175:176], v[44:45]
	scratch_load_b128 v[175:178], off, off offset:928
	s_wait_loadcnt_dscnt 0x901
	v_mul_f64_e32 v[187:188], v[2:3], v[12:13]
	v_mul_f64_e32 v[12:13], v[4:5], v[12:13]
	v_add_f64_e32 v[38:39], v[169:170], v[38:39]
	v_add_f64_e32 v[44:45], v[44:45], v[185:186]
	s_wait_loadcnt_dscnt 0x800
	v_mul_f64_e32 v[169:170], v[179:180], v[16:17]
	v_mul_f64_e32 v[16:17], v[181:182], v[16:17]
	v_fma_f64 v[183:184], v[4:5], v[10:11], v[187:188]
	v_fma_f64 v[185:186], v[2:3], v[10:11], -v[12:13]
	ds_load_b128 v[2:5], v1 offset:1760
	ds_load_b128 v[10:13], v1 offset:1776
	v_add_f64_e32 v[38:39], v[38:39], v[171:172]
	v_add_f64_e32 v[44:45], v[44:45], v[173:174]
	s_wait_loadcnt_dscnt 0x701
	v_mul_f64_e32 v[171:172], v[2:3], v[20:21]
	v_mul_f64_e32 v[20:21], v[4:5], v[20:21]
	v_fma_f64 v[169:170], v[181:182], v[14:15], v[169:170]
	v_fma_f64 v[14:15], v[179:180], v[14:15], -v[16:17]
	v_add_f64_e32 v[16:17], v[38:39], v[185:186]
	v_add_f64_e32 v[38:39], v[44:45], v[183:184]
	s_wait_loadcnt_dscnt 0x600
	v_mul_f64_e32 v[44:45], v[10:11], v[24:25]
	v_mul_f64_e32 v[24:25], v[12:13], v[24:25]
	v_fma_f64 v[171:172], v[4:5], v[18:19], v[171:172]
	v_fma_f64 v[18:19], v[2:3], v[18:19], -v[20:21]
	v_add_f64_e32 v[20:21], v[16:17], v[14:15]
	v_add_f64_e32 v[38:39], v[38:39], v[169:170]
	ds_load_b128 v[2:5], v1 offset:1792
	ds_load_b128 v[14:17], v1 offset:1808
	v_fma_f64 v[12:13], v[12:13], v[22:23], v[44:45]
	v_fma_f64 v[10:11], v[10:11], v[22:23], -v[24:25]
	s_wait_loadcnt_dscnt 0x501
	v_mul_f64_e32 v[169:170], v[2:3], v[28:29]
	v_mul_f64_e32 v[28:29], v[4:5], v[28:29]
	s_wait_loadcnt_dscnt 0x400
	v_mul_f64_e32 v[22:23], v[14:15], v[32:33]
	v_mul_f64_e32 v[24:25], v[16:17], v[32:33]
	v_add_f64_e32 v[18:19], v[20:21], v[18:19]
	v_add_f64_e32 v[20:21], v[38:39], v[171:172]
	v_fma_f64 v[32:33], v[4:5], v[26:27], v[169:170]
	v_fma_f64 v[26:27], v[2:3], v[26:27], -v[28:29]
	v_fma_f64 v[16:17], v[16:17], v[30:31], v[22:23]
	v_fma_f64 v[14:15], v[14:15], v[30:31], -v[24:25]
	v_add_f64_e32 v[18:19], v[18:19], v[10:11]
	v_add_f64_e32 v[20:21], v[20:21], v[12:13]
	ds_load_b128 v[2:5], v1 offset:1824
	ds_load_b128 v[10:13], v1 offset:1840
	s_wait_loadcnt_dscnt 0x301
	v_mul_f64_e32 v[28:29], v[2:3], v[36:37]
	v_mul_f64_e32 v[36:37], v[4:5], v[36:37]
	s_wait_loadcnt_dscnt 0x200
	v_mul_f64_e32 v[22:23], v[10:11], v[42:43]
	v_add_f64_e32 v[18:19], v[18:19], v[26:27]
	v_add_f64_e32 v[20:21], v[20:21], v[32:33]
	v_mul_f64_e32 v[24:25], v[12:13], v[42:43]
	v_fma_f64 v[26:27], v[4:5], v[34:35], v[28:29]
	v_fma_f64 v[28:29], v[2:3], v[34:35], -v[36:37]
	v_fma_f64 v[12:13], v[12:13], v[40:41], v[22:23]
	v_add_f64_e32 v[18:19], v[18:19], v[14:15]
	v_add_f64_e32 v[20:21], v[20:21], v[16:17]
	ds_load_b128 v[2:5], v1 offset:1856
	ds_load_b128 v[14:17], v1 offset:1872
	v_fma_f64 v[10:11], v[10:11], v[40:41], -v[24:25]
	s_wait_loadcnt_dscnt 0x1
	v_mul_f64_e32 v[30:31], v[2:3], v[177:178]
	v_mul_f64_e32 v[32:33], v[4:5], v[177:178]
	s_wait_dscnt 0x0
	v_mul_f64_e32 v[22:23], v[14:15], v[8:9]
	v_mul_f64_e32 v[8:9], v[16:17], v[8:9]
	v_add_f64_e32 v[18:19], v[18:19], v[28:29]
	v_add_f64_e32 v[20:21], v[20:21], v[26:27]
	v_fma_f64 v[4:5], v[4:5], v[175:176], v[30:31]
	v_fma_f64 v[1:2], v[2:3], v[175:176], -v[32:33]
	v_fma_f64 v[16:17], v[16:17], v[6:7], v[22:23]
	v_fma_f64 v[6:7], v[14:15], v[6:7], -v[8:9]
	v_add_f64_e32 v[10:11], v[18:19], v[10:11]
	v_add_f64_e32 v[12:13], v[20:21], v[12:13]
	s_delay_alu instid0(VALU_DEP_2) | instskip(NEXT) | instid1(VALU_DEP_2)
	v_add_f64_e32 v[1:2], v[10:11], v[1:2]
	v_add_f64_e32 v[3:4], v[12:13], v[4:5]
	s_delay_alu instid0(VALU_DEP_2) | instskip(NEXT) | instid1(VALU_DEP_2)
	;; [unrolled: 3-line block ×3, first 2 shown]
	v_add_f64_e64 v[1:2], v[165:166], -v[1:2]
	v_add_f64_e64 v[3:4], v[167:168], -v[3:4]
	scratch_store_b128 off, v[1:4], off offset:592
	v_cmpx_lt_u32_e32 35, v0
	s_cbranch_execz .LBB58_297
; %bb.296:
	scratch_load_b128 v[1:4], off, s37
	v_mov_b32_e32 v5, 0
	s_delay_alu instid0(VALU_DEP_1)
	v_dual_mov_b32 v6, v5 :: v_dual_mov_b32 v7, v5
	v_mov_b32_e32 v8, v5
	scratch_store_b128 off, v[5:8], off offset:576
	s_wait_loadcnt 0x0
	ds_store_b128 v164, v[1:4]
.LBB58_297:
	s_wait_alu 0xfffe
	s_or_b32 exec_lo, exec_lo, s0
	s_wait_storecnt_dscnt 0x0
	s_barrier_signal -1
	s_barrier_wait -1
	global_inv scope:SCOPE_SE
	s_clause 0x7
	scratch_load_b128 v[2:5], off, off offset:592
	scratch_load_b128 v[6:9], off, off offset:608
	;; [unrolled: 1-line block ×8, first 2 shown]
	v_mov_b32_e32 v1, 0
	s_mov_b32 s0, exec_lo
	ds_load_b128 v[34:37], v1 offset:1520
	s_clause 0x1
	scratch_load_b128 v[38:41], off, off offset:720
	scratch_load_b128 v[42:45], off, off offset:576
	ds_load_b128 v[165:168], v1 offset:1536
	scratch_load_b128 v[169:172], off, off offset:736
	s_wait_loadcnt_dscnt 0xa01
	v_mul_f64_e32 v[173:174], v[36:37], v[4:5]
	v_mul_f64_e32 v[4:5], v[34:35], v[4:5]
	s_delay_alu instid0(VALU_DEP_2) | instskip(NEXT) | instid1(VALU_DEP_2)
	v_fma_f64 v[179:180], v[34:35], v[2:3], -v[173:174]
	v_fma_f64 v[181:182], v[36:37], v[2:3], v[4:5]
	ds_load_b128 v[2:5], v1 offset:1552
	s_wait_loadcnt_dscnt 0x901
	v_mul_f64_e32 v[177:178], v[165:166], v[8:9]
	v_mul_f64_e32 v[8:9], v[167:168], v[8:9]
	scratch_load_b128 v[34:37], off, off offset:752
	ds_load_b128 v[173:176], v1 offset:1568
	s_wait_loadcnt_dscnt 0x901
	v_mul_f64_e32 v[183:184], v[2:3], v[12:13]
	v_mul_f64_e32 v[12:13], v[4:5], v[12:13]
	v_fma_f64 v[167:168], v[167:168], v[6:7], v[177:178]
	v_fma_f64 v[165:166], v[165:166], v[6:7], -v[8:9]
	v_add_f64_e32 v[177:178], 0, v[179:180]
	v_add_f64_e32 v[179:180], 0, v[181:182]
	scratch_load_b128 v[6:9], off, off offset:768
	v_fma_f64 v[183:184], v[4:5], v[10:11], v[183:184]
	v_fma_f64 v[185:186], v[2:3], v[10:11], -v[12:13]
	ds_load_b128 v[2:5], v1 offset:1584
	s_wait_loadcnt_dscnt 0x901
	v_mul_f64_e32 v[181:182], v[173:174], v[16:17]
	v_mul_f64_e32 v[16:17], v[175:176], v[16:17]
	scratch_load_b128 v[10:13], off, off offset:784
	v_add_f64_e32 v[177:178], v[177:178], v[165:166]
	v_add_f64_e32 v[179:180], v[179:180], v[167:168]
	s_wait_loadcnt_dscnt 0x900
	v_mul_f64_e32 v[187:188], v[2:3], v[20:21]
	v_mul_f64_e32 v[20:21], v[4:5], v[20:21]
	ds_load_b128 v[165:168], v1 offset:1600
	v_fma_f64 v[175:176], v[175:176], v[14:15], v[181:182]
	v_fma_f64 v[173:174], v[173:174], v[14:15], -v[16:17]
	scratch_load_b128 v[14:17], off, off offset:800
	v_add_f64_e32 v[177:178], v[177:178], v[185:186]
	v_add_f64_e32 v[179:180], v[179:180], v[183:184]
	v_fma_f64 v[183:184], v[4:5], v[18:19], v[187:188]
	v_fma_f64 v[185:186], v[2:3], v[18:19], -v[20:21]
	ds_load_b128 v[2:5], v1 offset:1616
	s_wait_loadcnt_dscnt 0x901
	v_mul_f64_e32 v[181:182], v[165:166], v[24:25]
	v_mul_f64_e32 v[24:25], v[167:168], v[24:25]
	scratch_load_b128 v[18:21], off, off offset:816
	s_wait_loadcnt_dscnt 0x900
	v_mul_f64_e32 v[187:188], v[2:3], v[28:29]
	v_mul_f64_e32 v[28:29], v[4:5], v[28:29]
	v_add_f64_e32 v[177:178], v[177:178], v[173:174]
	v_add_f64_e32 v[179:180], v[179:180], v[175:176]
	ds_load_b128 v[173:176], v1 offset:1632
	v_fma_f64 v[167:168], v[167:168], v[22:23], v[181:182]
	v_fma_f64 v[165:166], v[165:166], v[22:23], -v[24:25]
	scratch_load_b128 v[22:25], off, off offset:832
	v_add_f64_e32 v[177:178], v[177:178], v[185:186]
	v_add_f64_e32 v[179:180], v[179:180], v[183:184]
	v_fma_f64 v[183:184], v[4:5], v[26:27], v[187:188]
	v_fma_f64 v[185:186], v[2:3], v[26:27], -v[28:29]
	ds_load_b128 v[2:5], v1 offset:1648
	s_wait_loadcnt_dscnt 0x901
	v_mul_f64_e32 v[181:182], v[173:174], v[32:33]
	v_mul_f64_e32 v[32:33], v[175:176], v[32:33]
	scratch_load_b128 v[26:29], off, off offset:848
	s_wait_loadcnt_dscnt 0x900
	v_mul_f64_e32 v[187:188], v[2:3], v[40:41]
	v_mul_f64_e32 v[40:41], v[4:5], v[40:41]
	v_add_f64_e32 v[177:178], v[177:178], v[165:166]
	v_add_f64_e32 v[179:180], v[179:180], v[167:168]
	ds_load_b128 v[165:168], v1 offset:1664
	v_fma_f64 v[175:176], v[175:176], v[30:31], v[181:182]
	v_fma_f64 v[173:174], v[173:174], v[30:31], -v[32:33]
	scratch_load_b128 v[30:33], off, off offset:864
	v_add_f64_e32 v[177:178], v[177:178], v[185:186]
	v_add_f64_e32 v[179:180], v[179:180], v[183:184]
	v_fma_f64 v[185:186], v[4:5], v[38:39], v[187:188]
	v_fma_f64 v[187:188], v[2:3], v[38:39], -v[40:41]
	ds_load_b128 v[2:5], v1 offset:1680
	s_wait_loadcnt_dscnt 0x801
	v_mul_f64_e32 v[181:182], v[165:166], v[171:172]
	v_mul_f64_e32 v[183:184], v[167:168], v[171:172]
	scratch_load_b128 v[38:41], off, off offset:880
	v_add_f64_e32 v[177:178], v[177:178], v[173:174]
	v_add_f64_e32 v[175:176], v[179:180], v[175:176]
	ds_load_b128 v[171:174], v1 offset:1696
	v_fma_f64 v[181:182], v[167:168], v[169:170], v[181:182]
	v_fma_f64 v[169:170], v[165:166], v[169:170], -v[183:184]
	scratch_load_b128 v[165:168], off, off offset:896
	s_wait_loadcnt_dscnt 0x901
	v_mul_f64_e32 v[179:180], v[2:3], v[36:37]
	v_mul_f64_e32 v[36:37], v[4:5], v[36:37]
	v_add_f64_e32 v[177:178], v[177:178], v[187:188]
	v_add_f64_e32 v[175:176], v[175:176], v[185:186]
	s_delay_alu instid0(VALU_DEP_4) | instskip(NEXT) | instid1(VALU_DEP_4)
	v_fma_f64 v[179:180], v[4:5], v[34:35], v[179:180]
	v_fma_f64 v[185:186], v[2:3], v[34:35], -v[36:37]
	ds_load_b128 v[2:5], v1 offset:1712
	s_wait_loadcnt_dscnt 0x801
	v_mul_f64_e32 v[183:184], v[171:172], v[8:9]
	v_mul_f64_e32 v[8:9], v[173:174], v[8:9]
	scratch_load_b128 v[34:37], off, off offset:912
	s_wait_loadcnt_dscnt 0x800
	v_mul_f64_e32 v[187:188], v[2:3], v[12:13]
	v_add_f64_e32 v[169:170], v[177:178], v[169:170]
	v_add_f64_e32 v[181:182], v[175:176], v[181:182]
	v_mul_f64_e32 v[12:13], v[4:5], v[12:13]
	ds_load_b128 v[175:178], v1 offset:1728
	v_fma_f64 v[173:174], v[173:174], v[6:7], v[183:184]
	v_fma_f64 v[171:172], v[171:172], v[6:7], -v[8:9]
	scratch_load_b128 v[6:9], off, off offset:928
	v_fma_f64 v[183:184], v[4:5], v[10:11], v[187:188]
	v_add_f64_e32 v[169:170], v[169:170], v[185:186]
	v_add_f64_e32 v[179:180], v[181:182], v[179:180]
	v_fma_f64 v[185:186], v[2:3], v[10:11], -v[12:13]
	ds_load_b128 v[2:5], v1 offset:1744
	s_wait_loadcnt_dscnt 0x801
	v_mul_f64_e32 v[181:182], v[175:176], v[16:17]
	v_mul_f64_e32 v[16:17], v[177:178], v[16:17]
	scratch_load_b128 v[10:13], off, off offset:944
	v_add_f64_e32 v[187:188], v[169:170], v[171:172]
	v_add_f64_e32 v[173:174], v[179:180], v[173:174]
	s_wait_loadcnt_dscnt 0x800
	v_mul_f64_e32 v[179:180], v[2:3], v[20:21]
	v_mul_f64_e32 v[20:21], v[4:5], v[20:21]
	v_fma_f64 v[177:178], v[177:178], v[14:15], v[181:182]
	v_fma_f64 v[14:15], v[175:176], v[14:15], -v[16:17]
	ds_load_b128 v[169:172], v1 offset:1760
	s_wait_loadcnt_dscnt 0x700
	v_mul_f64_e32 v[175:176], v[169:170], v[24:25]
	v_mul_f64_e32 v[24:25], v[171:172], v[24:25]
	v_add_f64_e32 v[16:17], v[187:188], v[185:186]
	v_add_f64_e32 v[173:174], v[173:174], v[183:184]
	v_fma_f64 v[179:180], v[4:5], v[18:19], v[179:180]
	v_fma_f64 v[18:19], v[2:3], v[18:19], -v[20:21]
	v_fma_f64 v[171:172], v[171:172], v[22:23], v[175:176]
	v_fma_f64 v[22:23], v[169:170], v[22:23], -v[24:25]
	v_add_f64_e32 v[20:21], v[16:17], v[14:15]
	v_add_f64_e32 v[173:174], v[173:174], v[177:178]
	ds_load_b128 v[2:5], v1 offset:1776
	ds_load_b128 v[14:17], v1 offset:1792
	s_wait_loadcnt_dscnt 0x601
	v_mul_f64_e32 v[177:178], v[2:3], v[28:29]
	v_mul_f64_e32 v[28:29], v[4:5], v[28:29]
	s_wait_loadcnt_dscnt 0x500
	v_mul_f64_e32 v[24:25], v[14:15], v[32:33]
	v_mul_f64_e32 v[32:33], v[16:17], v[32:33]
	v_add_f64_e32 v[18:19], v[20:21], v[18:19]
	v_add_f64_e32 v[20:21], v[173:174], v[179:180]
	v_fma_f64 v[169:170], v[4:5], v[26:27], v[177:178]
	v_fma_f64 v[26:27], v[2:3], v[26:27], -v[28:29]
	v_fma_f64 v[16:17], v[16:17], v[30:31], v[24:25]
	v_fma_f64 v[14:15], v[14:15], v[30:31], -v[32:33]
	v_add_f64_e32 v[22:23], v[18:19], v[22:23]
	v_add_f64_e32 v[28:29], v[20:21], v[171:172]
	ds_load_b128 v[2:5], v1 offset:1808
	ds_load_b128 v[18:21], v1 offset:1824
	s_wait_loadcnt_dscnt 0x401
	v_mul_f64_e32 v[171:172], v[2:3], v[40:41]
	v_mul_f64_e32 v[40:41], v[4:5], v[40:41]
	v_add_f64_e32 v[22:23], v[22:23], v[26:27]
	v_add_f64_e32 v[24:25], v[28:29], v[169:170]
	s_wait_loadcnt_dscnt 0x300
	v_mul_f64_e32 v[26:27], v[18:19], v[167:168]
	v_mul_f64_e32 v[28:29], v[20:21], v[167:168]
	v_fma_f64 v[30:31], v[4:5], v[38:39], v[171:172]
	v_fma_f64 v[32:33], v[2:3], v[38:39], -v[40:41]
	v_add_f64_e32 v[22:23], v[22:23], v[14:15]
	v_add_f64_e32 v[24:25], v[24:25], v[16:17]
	ds_load_b128 v[2:5], v1 offset:1840
	ds_load_b128 v[14:17], v1 offset:1856
	v_fma_f64 v[20:21], v[20:21], v[165:166], v[26:27]
	v_fma_f64 v[18:19], v[18:19], v[165:166], -v[28:29]
	s_wait_loadcnt_dscnt 0x201
	v_mul_f64_e32 v[38:39], v[2:3], v[36:37]
	v_mul_f64_e32 v[36:37], v[4:5], v[36:37]
	s_wait_loadcnt_dscnt 0x100
	v_mul_f64_e32 v[26:27], v[14:15], v[8:9]
	v_mul_f64_e32 v[8:9], v[16:17], v[8:9]
	v_add_f64_e32 v[22:23], v[22:23], v[32:33]
	v_add_f64_e32 v[24:25], v[24:25], v[30:31]
	v_fma_f64 v[28:29], v[4:5], v[34:35], v[38:39]
	v_fma_f64 v[30:31], v[2:3], v[34:35], -v[36:37]
	ds_load_b128 v[2:5], v1 offset:1872
	v_fma_f64 v[16:17], v[16:17], v[6:7], v[26:27]
	v_fma_f64 v[6:7], v[14:15], v[6:7], -v[8:9]
	v_add_f64_e32 v[18:19], v[22:23], v[18:19]
	v_add_f64_e32 v[20:21], v[24:25], v[20:21]
	s_wait_loadcnt_dscnt 0x0
	v_mul_f64_e32 v[22:23], v[2:3], v[12:13]
	v_mul_f64_e32 v[12:13], v[4:5], v[12:13]
	s_delay_alu instid0(VALU_DEP_4) | instskip(NEXT) | instid1(VALU_DEP_4)
	v_add_f64_e32 v[8:9], v[18:19], v[30:31]
	v_add_f64_e32 v[14:15], v[20:21], v[28:29]
	s_delay_alu instid0(VALU_DEP_4) | instskip(NEXT) | instid1(VALU_DEP_4)
	v_fma_f64 v[4:5], v[4:5], v[10:11], v[22:23]
	v_fma_f64 v[2:3], v[2:3], v[10:11], -v[12:13]
	s_delay_alu instid0(VALU_DEP_4) | instskip(NEXT) | instid1(VALU_DEP_4)
	v_add_f64_e32 v[6:7], v[8:9], v[6:7]
	v_add_f64_e32 v[8:9], v[14:15], v[16:17]
	s_delay_alu instid0(VALU_DEP_2) | instskip(NEXT) | instid1(VALU_DEP_2)
	v_add_f64_e32 v[2:3], v[6:7], v[2:3]
	v_add_f64_e32 v[4:5], v[8:9], v[4:5]
	s_delay_alu instid0(VALU_DEP_2) | instskip(NEXT) | instid1(VALU_DEP_2)
	v_add_f64_e64 v[2:3], v[42:43], -v[2:3]
	v_add_f64_e64 v[4:5], v[44:45], -v[4:5]
	scratch_store_b128 off, v[2:5], off offset:576
	v_cmpx_lt_u32_e32 34, v0
	s_cbranch_execz .LBB58_299
; %bb.298:
	scratch_load_b128 v[5:8], off, s38
	v_dual_mov_b32 v2, v1 :: v_dual_mov_b32 v3, v1
	v_mov_b32_e32 v4, v1
	scratch_store_b128 off, v[1:4], off offset:560
	s_wait_loadcnt 0x0
	ds_store_b128 v164, v[5:8]
.LBB58_299:
	s_wait_alu 0xfffe
	s_or_b32 exec_lo, exec_lo, s0
	s_wait_storecnt_dscnt 0x0
	s_barrier_signal -1
	s_barrier_wait -1
	global_inv scope:SCOPE_SE
	s_clause 0x8
	scratch_load_b128 v[2:5], off, off offset:576
	scratch_load_b128 v[6:9], off, off offset:592
	;; [unrolled: 1-line block ×9, first 2 shown]
	ds_load_b128 v[38:41], v1 offset:1504
	ds_load_b128 v[42:45], v1 offset:1520
	s_clause 0x1
	scratch_load_b128 v[165:168], off, off offset:560
	scratch_load_b128 v[169:172], off, off offset:720
	s_mov_b32 s0, exec_lo
	s_wait_loadcnt_dscnt 0xa01
	v_mul_f64_e32 v[173:174], v[40:41], v[4:5]
	v_mul_f64_e32 v[4:5], v[38:39], v[4:5]
	s_wait_loadcnt_dscnt 0x900
	v_mul_f64_e32 v[177:178], v[42:43], v[8:9]
	v_mul_f64_e32 v[8:9], v[44:45], v[8:9]
	s_delay_alu instid0(VALU_DEP_4) | instskip(NEXT) | instid1(VALU_DEP_4)
	v_fma_f64 v[179:180], v[38:39], v[2:3], -v[173:174]
	v_fma_f64 v[181:182], v[40:41], v[2:3], v[4:5]
	ds_load_b128 v[2:5], v1 offset:1536
	ds_load_b128 v[173:176], v1 offset:1552
	scratch_load_b128 v[38:41], off, off offset:736
	v_fma_f64 v[44:45], v[44:45], v[6:7], v[177:178]
	v_fma_f64 v[42:43], v[42:43], v[6:7], -v[8:9]
	scratch_load_b128 v[6:9], off, off offset:752
	s_wait_loadcnt_dscnt 0xa01
	v_mul_f64_e32 v[183:184], v[2:3], v[12:13]
	v_mul_f64_e32 v[12:13], v[4:5], v[12:13]
	v_add_f64_e32 v[177:178], 0, v[179:180]
	v_add_f64_e32 v[179:180], 0, v[181:182]
	s_wait_loadcnt_dscnt 0x900
	v_mul_f64_e32 v[181:182], v[173:174], v[16:17]
	v_mul_f64_e32 v[16:17], v[175:176], v[16:17]
	v_fma_f64 v[183:184], v[4:5], v[10:11], v[183:184]
	v_fma_f64 v[185:186], v[2:3], v[10:11], -v[12:13]
	ds_load_b128 v[2:5], v1 offset:1568
	scratch_load_b128 v[10:13], off, off offset:768
	v_add_f64_e32 v[177:178], v[177:178], v[42:43]
	v_add_f64_e32 v[179:180], v[179:180], v[44:45]
	ds_load_b128 v[42:45], v1 offset:1584
	v_fma_f64 v[175:176], v[175:176], v[14:15], v[181:182]
	v_fma_f64 v[173:174], v[173:174], v[14:15], -v[16:17]
	scratch_load_b128 v[14:17], off, off offset:784
	s_wait_loadcnt_dscnt 0xa01
	v_mul_f64_e32 v[187:188], v[2:3], v[20:21]
	v_mul_f64_e32 v[20:21], v[4:5], v[20:21]
	s_wait_loadcnt_dscnt 0x900
	v_mul_f64_e32 v[181:182], v[42:43], v[24:25]
	v_mul_f64_e32 v[24:25], v[44:45], v[24:25]
	v_add_f64_e32 v[177:178], v[177:178], v[185:186]
	v_add_f64_e32 v[179:180], v[179:180], v[183:184]
	v_fma_f64 v[183:184], v[4:5], v[18:19], v[187:188]
	v_fma_f64 v[185:186], v[2:3], v[18:19], -v[20:21]
	ds_load_b128 v[2:5], v1 offset:1600
	scratch_load_b128 v[18:21], off, off offset:800
	v_fma_f64 v[44:45], v[44:45], v[22:23], v[181:182]
	v_fma_f64 v[42:43], v[42:43], v[22:23], -v[24:25]
	scratch_load_b128 v[22:25], off, off offset:816
	v_add_f64_e32 v[177:178], v[177:178], v[173:174]
	v_add_f64_e32 v[179:180], v[179:180], v[175:176]
	ds_load_b128 v[173:176], v1 offset:1616
	s_wait_loadcnt_dscnt 0xa01
	v_mul_f64_e32 v[187:188], v[2:3], v[28:29]
	v_mul_f64_e32 v[28:29], v[4:5], v[28:29]
	s_wait_loadcnt_dscnt 0x900
	v_mul_f64_e32 v[181:182], v[173:174], v[32:33]
	v_mul_f64_e32 v[32:33], v[175:176], v[32:33]
	v_add_f64_e32 v[177:178], v[177:178], v[185:186]
	v_add_f64_e32 v[179:180], v[179:180], v[183:184]
	v_fma_f64 v[183:184], v[4:5], v[26:27], v[187:188]
	v_fma_f64 v[185:186], v[2:3], v[26:27], -v[28:29]
	ds_load_b128 v[2:5], v1 offset:1632
	scratch_load_b128 v[26:29], off, off offset:832
	v_fma_f64 v[175:176], v[175:176], v[30:31], v[181:182]
	v_fma_f64 v[173:174], v[173:174], v[30:31], -v[32:33]
	scratch_load_b128 v[30:33], off, off offset:848
	v_add_f64_e32 v[177:178], v[177:178], v[42:43]
	v_add_f64_e32 v[179:180], v[179:180], v[44:45]
	ds_load_b128 v[42:45], v1 offset:1648
	s_wait_loadcnt_dscnt 0xa01
	v_mul_f64_e32 v[187:188], v[2:3], v[36:37]
	v_mul_f64_e32 v[36:37], v[4:5], v[36:37]
	s_wait_loadcnt_dscnt 0x800
	v_mul_f64_e32 v[181:182], v[42:43], v[171:172]
	v_add_f64_e32 v[177:178], v[177:178], v[185:186]
	v_add_f64_e32 v[179:180], v[179:180], v[183:184]
	v_mul_f64_e32 v[183:184], v[44:45], v[171:172]
	v_fma_f64 v[185:186], v[4:5], v[34:35], v[187:188]
	v_fma_f64 v[187:188], v[2:3], v[34:35], -v[36:37]
	ds_load_b128 v[2:5], v1 offset:1664
	scratch_load_b128 v[34:37], off, off offset:864
	v_fma_f64 v[44:45], v[44:45], v[169:170], v[181:182]
	v_add_f64_e32 v[177:178], v[177:178], v[173:174]
	v_add_f64_e32 v[175:176], v[179:180], v[175:176]
	ds_load_b128 v[171:174], v1 offset:1680
	v_fma_f64 v[169:170], v[42:43], v[169:170], -v[183:184]
	s_wait_loadcnt_dscnt 0x801
	v_mul_f64_e32 v[179:180], v[2:3], v[40:41]
	v_mul_f64_e32 v[189:190], v[4:5], v[40:41]
	scratch_load_b128 v[40:43], off, off offset:880
	s_wait_loadcnt_dscnt 0x800
	v_mul_f64_e32 v[183:184], v[171:172], v[8:9]
	v_mul_f64_e32 v[8:9], v[173:174], v[8:9]
	v_add_f64_e32 v[177:178], v[177:178], v[187:188]
	v_add_f64_e32 v[175:176], v[175:176], v[185:186]
	v_fma_f64 v[185:186], v[4:5], v[38:39], v[179:180]
	v_fma_f64 v[38:39], v[2:3], v[38:39], -v[189:190]
	ds_load_b128 v[2:5], v1 offset:1696
	ds_load_b128 v[179:182], v1 offset:1712
	v_fma_f64 v[173:174], v[173:174], v[6:7], v[183:184]
	v_fma_f64 v[171:172], v[171:172], v[6:7], -v[8:9]
	scratch_load_b128 v[6:9], off, off offset:912
	v_add_f64_e32 v[169:170], v[177:178], v[169:170]
	v_add_f64_e32 v[44:45], v[175:176], v[44:45]
	scratch_load_b128 v[175:178], off, off offset:896
	s_wait_loadcnt_dscnt 0x901
	v_mul_f64_e32 v[187:188], v[2:3], v[12:13]
	v_mul_f64_e32 v[12:13], v[4:5], v[12:13]
	s_wait_loadcnt_dscnt 0x800
	v_mul_f64_e32 v[183:184], v[179:180], v[16:17]
	v_mul_f64_e32 v[16:17], v[181:182], v[16:17]
	v_add_f64_e32 v[38:39], v[169:170], v[38:39]
	v_add_f64_e32 v[44:45], v[44:45], v[185:186]
	v_fma_f64 v[185:186], v[4:5], v[10:11], v[187:188]
	v_fma_f64 v[187:188], v[2:3], v[10:11], -v[12:13]
	ds_load_b128 v[2:5], v1 offset:1728
	scratch_load_b128 v[10:13], off, off offset:928
	v_fma_f64 v[181:182], v[181:182], v[14:15], v[183:184]
	v_fma_f64 v[179:180], v[179:180], v[14:15], -v[16:17]
	scratch_load_b128 v[14:17], off, off offset:944
	v_add_f64_e32 v[38:39], v[38:39], v[171:172]
	v_add_f64_e32 v[44:45], v[44:45], v[173:174]
	ds_load_b128 v[169:172], v1 offset:1744
	s_wait_loadcnt_dscnt 0x901
	v_mul_f64_e32 v[173:174], v[2:3], v[20:21]
	v_mul_f64_e32 v[20:21], v[4:5], v[20:21]
	s_wait_loadcnt_dscnt 0x800
	v_mul_f64_e32 v[183:184], v[169:170], v[24:25]
	v_mul_f64_e32 v[24:25], v[171:172], v[24:25]
	v_add_f64_e32 v[38:39], v[38:39], v[187:188]
	v_add_f64_e32 v[44:45], v[44:45], v[185:186]
	v_fma_f64 v[173:174], v[4:5], v[18:19], v[173:174]
	v_fma_f64 v[185:186], v[2:3], v[18:19], -v[20:21]
	ds_load_b128 v[2:5], v1 offset:1760
	ds_load_b128 v[18:21], v1 offset:1776
	v_fma_f64 v[171:172], v[171:172], v[22:23], v[183:184]
	v_fma_f64 v[22:23], v[169:170], v[22:23], -v[24:25]
	v_add_f64_e32 v[38:39], v[38:39], v[179:180]
	v_add_f64_e32 v[44:45], v[44:45], v[181:182]
	s_wait_loadcnt_dscnt 0x701
	v_mul_f64_e32 v[179:180], v[2:3], v[28:29]
	v_mul_f64_e32 v[28:29], v[4:5], v[28:29]
	s_delay_alu instid0(VALU_DEP_4) | instskip(NEXT) | instid1(VALU_DEP_4)
	v_add_f64_e32 v[24:25], v[38:39], v[185:186]
	v_add_f64_e32 v[38:39], v[44:45], v[173:174]
	s_wait_loadcnt_dscnt 0x600
	v_mul_f64_e32 v[44:45], v[18:19], v[32:33]
	v_mul_f64_e32 v[32:33], v[20:21], v[32:33]
	v_fma_f64 v[169:170], v[4:5], v[26:27], v[179:180]
	v_fma_f64 v[26:27], v[2:3], v[26:27], -v[28:29]
	v_add_f64_e32 v[28:29], v[24:25], v[22:23]
	v_add_f64_e32 v[38:39], v[38:39], v[171:172]
	ds_load_b128 v[2:5], v1 offset:1792
	ds_load_b128 v[22:25], v1 offset:1808
	v_fma_f64 v[20:21], v[20:21], v[30:31], v[44:45]
	v_fma_f64 v[18:19], v[18:19], v[30:31], -v[32:33]
	s_wait_loadcnt_dscnt 0x501
	v_mul_f64_e32 v[171:172], v[2:3], v[36:37]
	v_mul_f64_e32 v[36:37], v[4:5], v[36:37]
	s_wait_loadcnt_dscnt 0x400
	v_mul_f64_e32 v[30:31], v[22:23], v[42:43]
	v_add_f64_e32 v[26:27], v[28:29], v[26:27]
	v_add_f64_e32 v[28:29], v[38:39], v[169:170]
	v_mul_f64_e32 v[32:33], v[24:25], v[42:43]
	v_fma_f64 v[38:39], v[4:5], v[34:35], v[171:172]
	v_fma_f64 v[34:35], v[2:3], v[34:35], -v[36:37]
	v_fma_f64 v[24:25], v[24:25], v[40:41], v[30:31]
	v_add_f64_e32 v[26:27], v[26:27], v[18:19]
	v_add_f64_e32 v[28:29], v[28:29], v[20:21]
	ds_load_b128 v[2:5], v1 offset:1824
	ds_load_b128 v[18:21], v1 offset:1840
	v_fma_f64 v[22:23], v[22:23], v[40:41], -v[32:33]
	s_wait_loadcnt_dscnt 0x201
	v_mul_f64_e32 v[36:37], v[2:3], v[177:178]
	v_mul_f64_e32 v[42:43], v[4:5], v[177:178]
	s_wait_dscnt 0x0
	v_mul_f64_e32 v[30:31], v[18:19], v[8:9]
	v_mul_f64_e32 v[8:9], v[20:21], v[8:9]
	v_add_f64_e32 v[26:27], v[26:27], v[34:35]
	v_add_f64_e32 v[28:29], v[28:29], v[38:39]
	v_fma_f64 v[32:33], v[4:5], v[175:176], v[36:37]
	v_fma_f64 v[34:35], v[2:3], v[175:176], -v[42:43]
	v_fma_f64 v[20:21], v[20:21], v[6:7], v[30:31]
	v_fma_f64 v[6:7], v[18:19], v[6:7], -v[8:9]
	v_add_f64_e32 v[26:27], v[26:27], v[22:23]
	v_add_f64_e32 v[28:29], v[28:29], v[24:25]
	ds_load_b128 v[2:5], v1 offset:1856
	ds_load_b128 v[22:25], v1 offset:1872
	s_wait_loadcnt_dscnt 0x101
	v_mul_f64_e32 v[36:37], v[2:3], v[12:13]
	v_mul_f64_e32 v[12:13], v[4:5], v[12:13]
	v_add_f64_e32 v[8:9], v[26:27], v[34:35]
	v_add_f64_e32 v[18:19], v[28:29], v[32:33]
	s_wait_loadcnt_dscnt 0x0
	v_mul_f64_e32 v[26:27], v[22:23], v[16:17]
	v_mul_f64_e32 v[16:17], v[24:25], v[16:17]
	v_fma_f64 v[4:5], v[4:5], v[10:11], v[36:37]
	v_fma_f64 v[1:2], v[2:3], v[10:11], -v[12:13]
	v_add_f64_e32 v[6:7], v[8:9], v[6:7]
	v_add_f64_e32 v[8:9], v[18:19], v[20:21]
	v_fma_f64 v[10:11], v[24:25], v[14:15], v[26:27]
	v_fma_f64 v[12:13], v[22:23], v[14:15], -v[16:17]
	s_delay_alu instid0(VALU_DEP_4) | instskip(NEXT) | instid1(VALU_DEP_4)
	v_add_f64_e32 v[1:2], v[6:7], v[1:2]
	v_add_f64_e32 v[3:4], v[8:9], v[4:5]
	s_delay_alu instid0(VALU_DEP_2) | instskip(NEXT) | instid1(VALU_DEP_2)
	v_add_f64_e32 v[1:2], v[1:2], v[12:13]
	v_add_f64_e32 v[3:4], v[3:4], v[10:11]
	s_delay_alu instid0(VALU_DEP_2) | instskip(NEXT) | instid1(VALU_DEP_2)
	v_add_f64_e64 v[1:2], v[165:166], -v[1:2]
	v_add_f64_e64 v[3:4], v[167:168], -v[3:4]
	scratch_store_b128 off, v[1:4], off offset:560
	v_cmpx_lt_u32_e32 33, v0
	s_cbranch_execz .LBB58_301
; %bb.300:
	scratch_load_b128 v[1:4], off, s39
	v_mov_b32_e32 v5, 0
	s_delay_alu instid0(VALU_DEP_1)
	v_dual_mov_b32 v6, v5 :: v_dual_mov_b32 v7, v5
	v_mov_b32_e32 v8, v5
	scratch_store_b128 off, v[5:8], off offset:544
	s_wait_loadcnt 0x0
	ds_store_b128 v164, v[1:4]
.LBB58_301:
	s_wait_alu 0xfffe
	s_or_b32 exec_lo, exec_lo, s0
	s_wait_storecnt_dscnt 0x0
	s_barrier_signal -1
	s_barrier_wait -1
	global_inv scope:SCOPE_SE
	s_clause 0x7
	scratch_load_b128 v[2:5], off, off offset:560
	scratch_load_b128 v[6:9], off, off offset:576
	;; [unrolled: 1-line block ×8, first 2 shown]
	v_mov_b32_e32 v1, 0
	s_mov_b32 s0, exec_lo
	ds_load_b128 v[34:37], v1 offset:1488
	s_clause 0x1
	scratch_load_b128 v[38:41], off, off offset:688
	scratch_load_b128 v[42:45], off, off offset:544
	ds_load_b128 v[165:168], v1 offset:1504
	scratch_load_b128 v[169:172], off, off offset:704
	s_wait_loadcnt_dscnt 0xa01
	v_mul_f64_e32 v[173:174], v[36:37], v[4:5]
	v_mul_f64_e32 v[4:5], v[34:35], v[4:5]
	s_delay_alu instid0(VALU_DEP_2) | instskip(NEXT) | instid1(VALU_DEP_2)
	v_fma_f64 v[179:180], v[34:35], v[2:3], -v[173:174]
	v_fma_f64 v[181:182], v[36:37], v[2:3], v[4:5]
	ds_load_b128 v[2:5], v1 offset:1520
	s_wait_loadcnt_dscnt 0x901
	v_mul_f64_e32 v[177:178], v[165:166], v[8:9]
	v_mul_f64_e32 v[8:9], v[167:168], v[8:9]
	scratch_load_b128 v[34:37], off, off offset:720
	ds_load_b128 v[173:176], v1 offset:1536
	s_wait_loadcnt_dscnt 0x901
	v_mul_f64_e32 v[183:184], v[2:3], v[12:13]
	v_mul_f64_e32 v[12:13], v[4:5], v[12:13]
	v_fma_f64 v[167:168], v[167:168], v[6:7], v[177:178]
	v_fma_f64 v[165:166], v[165:166], v[6:7], -v[8:9]
	v_add_f64_e32 v[177:178], 0, v[179:180]
	v_add_f64_e32 v[179:180], 0, v[181:182]
	scratch_load_b128 v[6:9], off, off offset:736
	v_fma_f64 v[183:184], v[4:5], v[10:11], v[183:184]
	v_fma_f64 v[185:186], v[2:3], v[10:11], -v[12:13]
	ds_load_b128 v[2:5], v1 offset:1552
	s_wait_loadcnt_dscnt 0x901
	v_mul_f64_e32 v[181:182], v[173:174], v[16:17]
	v_mul_f64_e32 v[16:17], v[175:176], v[16:17]
	scratch_load_b128 v[10:13], off, off offset:752
	v_add_f64_e32 v[177:178], v[177:178], v[165:166]
	v_add_f64_e32 v[179:180], v[179:180], v[167:168]
	s_wait_loadcnt_dscnt 0x900
	v_mul_f64_e32 v[187:188], v[2:3], v[20:21]
	v_mul_f64_e32 v[20:21], v[4:5], v[20:21]
	ds_load_b128 v[165:168], v1 offset:1568
	v_fma_f64 v[175:176], v[175:176], v[14:15], v[181:182]
	v_fma_f64 v[173:174], v[173:174], v[14:15], -v[16:17]
	scratch_load_b128 v[14:17], off, off offset:768
	v_add_f64_e32 v[177:178], v[177:178], v[185:186]
	v_add_f64_e32 v[179:180], v[179:180], v[183:184]
	v_fma_f64 v[183:184], v[4:5], v[18:19], v[187:188]
	v_fma_f64 v[185:186], v[2:3], v[18:19], -v[20:21]
	ds_load_b128 v[2:5], v1 offset:1584
	s_wait_loadcnt_dscnt 0x901
	v_mul_f64_e32 v[181:182], v[165:166], v[24:25]
	v_mul_f64_e32 v[24:25], v[167:168], v[24:25]
	scratch_load_b128 v[18:21], off, off offset:784
	s_wait_loadcnt_dscnt 0x900
	v_mul_f64_e32 v[187:188], v[2:3], v[28:29]
	v_mul_f64_e32 v[28:29], v[4:5], v[28:29]
	v_add_f64_e32 v[177:178], v[177:178], v[173:174]
	v_add_f64_e32 v[179:180], v[179:180], v[175:176]
	ds_load_b128 v[173:176], v1 offset:1600
	v_fma_f64 v[167:168], v[167:168], v[22:23], v[181:182]
	v_fma_f64 v[165:166], v[165:166], v[22:23], -v[24:25]
	scratch_load_b128 v[22:25], off, off offset:800
	v_add_f64_e32 v[177:178], v[177:178], v[185:186]
	v_add_f64_e32 v[179:180], v[179:180], v[183:184]
	v_fma_f64 v[183:184], v[4:5], v[26:27], v[187:188]
	v_fma_f64 v[185:186], v[2:3], v[26:27], -v[28:29]
	ds_load_b128 v[2:5], v1 offset:1616
	s_wait_loadcnt_dscnt 0x901
	v_mul_f64_e32 v[181:182], v[173:174], v[32:33]
	v_mul_f64_e32 v[32:33], v[175:176], v[32:33]
	scratch_load_b128 v[26:29], off, off offset:816
	s_wait_loadcnt_dscnt 0x900
	v_mul_f64_e32 v[187:188], v[2:3], v[40:41]
	v_mul_f64_e32 v[40:41], v[4:5], v[40:41]
	v_add_f64_e32 v[177:178], v[177:178], v[165:166]
	v_add_f64_e32 v[179:180], v[179:180], v[167:168]
	ds_load_b128 v[165:168], v1 offset:1632
	v_fma_f64 v[175:176], v[175:176], v[30:31], v[181:182]
	v_fma_f64 v[173:174], v[173:174], v[30:31], -v[32:33]
	scratch_load_b128 v[30:33], off, off offset:832
	v_add_f64_e32 v[177:178], v[177:178], v[185:186]
	v_add_f64_e32 v[179:180], v[179:180], v[183:184]
	v_fma_f64 v[185:186], v[4:5], v[38:39], v[187:188]
	v_fma_f64 v[187:188], v[2:3], v[38:39], -v[40:41]
	ds_load_b128 v[2:5], v1 offset:1648
	s_wait_loadcnt_dscnt 0x801
	v_mul_f64_e32 v[181:182], v[165:166], v[171:172]
	v_mul_f64_e32 v[183:184], v[167:168], v[171:172]
	scratch_load_b128 v[38:41], off, off offset:848
	v_add_f64_e32 v[177:178], v[177:178], v[173:174]
	v_add_f64_e32 v[175:176], v[179:180], v[175:176]
	ds_load_b128 v[171:174], v1 offset:1664
	v_fma_f64 v[181:182], v[167:168], v[169:170], v[181:182]
	v_fma_f64 v[169:170], v[165:166], v[169:170], -v[183:184]
	scratch_load_b128 v[165:168], off, off offset:864
	s_wait_loadcnt_dscnt 0x901
	v_mul_f64_e32 v[179:180], v[2:3], v[36:37]
	v_mul_f64_e32 v[36:37], v[4:5], v[36:37]
	v_add_f64_e32 v[177:178], v[177:178], v[187:188]
	v_add_f64_e32 v[175:176], v[175:176], v[185:186]
	s_delay_alu instid0(VALU_DEP_4) | instskip(NEXT) | instid1(VALU_DEP_4)
	v_fma_f64 v[179:180], v[4:5], v[34:35], v[179:180]
	v_fma_f64 v[185:186], v[2:3], v[34:35], -v[36:37]
	ds_load_b128 v[2:5], v1 offset:1680
	s_wait_loadcnt_dscnt 0x801
	v_mul_f64_e32 v[183:184], v[171:172], v[8:9]
	v_mul_f64_e32 v[8:9], v[173:174], v[8:9]
	scratch_load_b128 v[34:37], off, off offset:880
	s_wait_loadcnt_dscnt 0x800
	v_mul_f64_e32 v[187:188], v[2:3], v[12:13]
	v_add_f64_e32 v[169:170], v[177:178], v[169:170]
	v_add_f64_e32 v[181:182], v[175:176], v[181:182]
	v_mul_f64_e32 v[12:13], v[4:5], v[12:13]
	ds_load_b128 v[175:178], v1 offset:1696
	v_fma_f64 v[173:174], v[173:174], v[6:7], v[183:184]
	v_fma_f64 v[171:172], v[171:172], v[6:7], -v[8:9]
	scratch_load_b128 v[6:9], off, off offset:896
	v_fma_f64 v[183:184], v[4:5], v[10:11], v[187:188]
	v_add_f64_e32 v[169:170], v[169:170], v[185:186]
	v_add_f64_e32 v[179:180], v[181:182], v[179:180]
	v_fma_f64 v[185:186], v[2:3], v[10:11], -v[12:13]
	ds_load_b128 v[2:5], v1 offset:1712
	s_wait_loadcnt_dscnt 0x801
	v_mul_f64_e32 v[181:182], v[175:176], v[16:17]
	v_mul_f64_e32 v[16:17], v[177:178], v[16:17]
	scratch_load_b128 v[10:13], off, off offset:912
	v_add_f64_e32 v[187:188], v[169:170], v[171:172]
	v_add_f64_e32 v[173:174], v[179:180], v[173:174]
	s_wait_loadcnt_dscnt 0x800
	v_mul_f64_e32 v[179:180], v[2:3], v[20:21]
	v_mul_f64_e32 v[20:21], v[4:5], v[20:21]
	v_fma_f64 v[177:178], v[177:178], v[14:15], v[181:182]
	v_fma_f64 v[175:176], v[175:176], v[14:15], -v[16:17]
	ds_load_b128 v[169:172], v1 offset:1728
	scratch_load_b128 v[14:17], off, off offset:928
	v_add_f64_e32 v[181:182], v[187:188], v[185:186]
	v_add_f64_e32 v[173:174], v[173:174], v[183:184]
	v_fma_f64 v[179:180], v[4:5], v[18:19], v[179:180]
	v_fma_f64 v[185:186], v[2:3], v[18:19], -v[20:21]
	ds_load_b128 v[2:5], v1 offset:1744
	s_wait_loadcnt_dscnt 0x801
	v_mul_f64_e32 v[183:184], v[169:170], v[24:25]
	v_mul_f64_e32 v[24:25], v[171:172], v[24:25]
	scratch_load_b128 v[18:21], off, off offset:944
	s_wait_loadcnt_dscnt 0x800
	v_mul_f64_e32 v[187:188], v[2:3], v[28:29]
	v_mul_f64_e32 v[28:29], v[4:5], v[28:29]
	v_add_f64_e32 v[181:182], v[181:182], v[175:176]
	v_add_f64_e32 v[177:178], v[173:174], v[177:178]
	ds_load_b128 v[173:176], v1 offset:1760
	v_fma_f64 v[171:172], v[171:172], v[22:23], v[183:184]
	v_fma_f64 v[22:23], v[169:170], v[22:23], -v[24:25]
	v_add_f64_e32 v[24:25], v[181:182], v[185:186]
	v_add_f64_e32 v[169:170], v[177:178], v[179:180]
	s_wait_loadcnt_dscnt 0x700
	v_mul_f64_e32 v[177:178], v[173:174], v[32:33]
	v_mul_f64_e32 v[32:33], v[175:176], v[32:33]
	v_fma_f64 v[179:180], v[4:5], v[26:27], v[187:188]
	v_fma_f64 v[26:27], v[2:3], v[26:27], -v[28:29]
	v_add_f64_e32 v[28:29], v[24:25], v[22:23]
	v_add_f64_e32 v[169:170], v[169:170], v[171:172]
	ds_load_b128 v[2:5], v1 offset:1776
	ds_load_b128 v[22:25], v1 offset:1792
	v_fma_f64 v[175:176], v[175:176], v[30:31], v[177:178]
	v_fma_f64 v[30:31], v[173:174], v[30:31], -v[32:33]
	s_wait_loadcnt_dscnt 0x601
	v_mul_f64_e32 v[171:172], v[2:3], v[40:41]
	v_mul_f64_e32 v[40:41], v[4:5], v[40:41]
	s_wait_loadcnt_dscnt 0x500
	v_mul_f64_e32 v[32:33], v[22:23], v[167:168]
	v_mul_f64_e32 v[167:168], v[24:25], v[167:168]
	v_add_f64_e32 v[26:27], v[28:29], v[26:27]
	v_add_f64_e32 v[28:29], v[169:170], v[179:180]
	v_fma_f64 v[169:170], v[4:5], v[38:39], v[171:172]
	v_fma_f64 v[38:39], v[2:3], v[38:39], -v[40:41]
	v_fma_f64 v[24:25], v[24:25], v[165:166], v[32:33]
	v_fma_f64 v[22:23], v[22:23], v[165:166], -v[167:168]
	v_add_f64_e32 v[30:31], v[26:27], v[30:31]
	v_add_f64_e32 v[40:41], v[28:29], v[175:176]
	ds_load_b128 v[2:5], v1 offset:1808
	ds_load_b128 v[26:29], v1 offset:1824
	s_wait_loadcnt_dscnt 0x401
	v_mul_f64_e32 v[171:172], v[2:3], v[36:37]
	v_mul_f64_e32 v[36:37], v[4:5], v[36:37]
	v_add_f64_e32 v[30:31], v[30:31], v[38:39]
	v_add_f64_e32 v[32:33], v[40:41], v[169:170]
	s_wait_loadcnt_dscnt 0x300
	v_mul_f64_e32 v[38:39], v[26:27], v[8:9]
	v_mul_f64_e32 v[8:9], v[28:29], v[8:9]
	v_fma_f64 v[40:41], v[4:5], v[34:35], v[171:172]
	v_fma_f64 v[34:35], v[2:3], v[34:35], -v[36:37]
	v_add_f64_e32 v[30:31], v[30:31], v[22:23]
	v_add_f64_e32 v[32:33], v[32:33], v[24:25]
	ds_load_b128 v[2:5], v1 offset:1840
	ds_load_b128 v[22:25], v1 offset:1856
	v_fma_f64 v[28:29], v[28:29], v[6:7], v[38:39]
	v_fma_f64 v[6:7], v[26:27], v[6:7], -v[8:9]
	s_wait_loadcnt_dscnt 0x201
	v_mul_f64_e32 v[36:37], v[2:3], v[12:13]
	v_mul_f64_e32 v[12:13], v[4:5], v[12:13]
	v_add_f64_e32 v[8:9], v[30:31], v[34:35]
	v_add_f64_e32 v[26:27], v[32:33], v[40:41]
	s_wait_loadcnt_dscnt 0x100
	v_mul_f64_e32 v[30:31], v[22:23], v[16:17]
	v_mul_f64_e32 v[16:17], v[24:25], v[16:17]
	v_fma_f64 v[32:33], v[4:5], v[10:11], v[36:37]
	v_fma_f64 v[10:11], v[2:3], v[10:11], -v[12:13]
	ds_load_b128 v[2:5], v1 offset:1872
	v_add_f64_e32 v[6:7], v[8:9], v[6:7]
	v_add_f64_e32 v[8:9], v[26:27], v[28:29]
	v_fma_f64 v[24:25], v[24:25], v[14:15], v[30:31]
	v_fma_f64 v[14:15], v[22:23], v[14:15], -v[16:17]
	s_wait_loadcnt_dscnt 0x0
	v_mul_f64_e32 v[12:13], v[2:3], v[20:21]
	v_mul_f64_e32 v[20:21], v[4:5], v[20:21]
	v_add_f64_e32 v[6:7], v[6:7], v[10:11]
	v_add_f64_e32 v[8:9], v[8:9], v[32:33]
	s_delay_alu instid0(VALU_DEP_4) | instskip(NEXT) | instid1(VALU_DEP_4)
	v_fma_f64 v[4:5], v[4:5], v[18:19], v[12:13]
	v_fma_f64 v[2:3], v[2:3], v[18:19], -v[20:21]
	s_delay_alu instid0(VALU_DEP_4) | instskip(NEXT) | instid1(VALU_DEP_4)
	v_add_f64_e32 v[6:7], v[6:7], v[14:15]
	v_add_f64_e32 v[8:9], v[8:9], v[24:25]
	s_delay_alu instid0(VALU_DEP_2) | instskip(NEXT) | instid1(VALU_DEP_2)
	v_add_f64_e32 v[2:3], v[6:7], v[2:3]
	v_add_f64_e32 v[4:5], v[8:9], v[4:5]
	s_delay_alu instid0(VALU_DEP_2) | instskip(NEXT) | instid1(VALU_DEP_2)
	v_add_f64_e64 v[2:3], v[42:43], -v[2:3]
	v_add_f64_e64 v[4:5], v[44:45], -v[4:5]
	scratch_store_b128 off, v[2:5], off offset:544
	v_cmpx_lt_u32_e32 32, v0
	s_cbranch_execz .LBB58_303
; %bb.302:
	scratch_load_b128 v[5:8], off, s40
	v_dual_mov_b32 v2, v1 :: v_dual_mov_b32 v3, v1
	v_mov_b32_e32 v4, v1
	scratch_store_b128 off, v[1:4], off offset:528
	s_wait_loadcnt 0x0
	ds_store_b128 v164, v[5:8]
.LBB58_303:
	s_wait_alu 0xfffe
	s_or_b32 exec_lo, exec_lo, s0
	s_wait_storecnt_dscnt 0x0
	s_barrier_signal -1
	s_barrier_wait -1
	global_inv scope:SCOPE_SE
	s_clause 0x8
	scratch_load_b128 v[2:5], off, off offset:544
	scratch_load_b128 v[6:9], off, off offset:560
	;; [unrolled: 1-line block ×9, first 2 shown]
	ds_load_b128 v[38:41], v1 offset:1472
	ds_load_b128 v[42:45], v1 offset:1488
	s_clause 0x1
	scratch_load_b128 v[165:168], off, off offset:528
	scratch_load_b128 v[169:172], off, off offset:688
	s_mov_b32 s0, exec_lo
	s_wait_loadcnt_dscnt 0xa01
	v_mul_f64_e32 v[173:174], v[40:41], v[4:5]
	v_mul_f64_e32 v[4:5], v[38:39], v[4:5]
	s_wait_loadcnt_dscnt 0x900
	v_mul_f64_e32 v[177:178], v[42:43], v[8:9]
	v_mul_f64_e32 v[8:9], v[44:45], v[8:9]
	s_delay_alu instid0(VALU_DEP_4) | instskip(NEXT) | instid1(VALU_DEP_4)
	v_fma_f64 v[179:180], v[38:39], v[2:3], -v[173:174]
	v_fma_f64 v[181:182], v[40:41], v[2:3], v[4:5]
	ds_load_b128 v[2:5], v1 offset:1504
	ds_load_b128 v[173:176], v1 offset:1520
	scratch_load_b128 v[38:41], off, off offset:704
	v_fma_f64 v[44:45], v[44:45], v[6:7], v[177:178]
	v_fma_f64 v[42:43], v[42:43], v[6:7], -v[8:9]
	scratch_load_b128 v[6:9], off, off offset:720
	s_wait_loadcnt_dscnt 0xa01
	v_mul_f64_e32 v[183:184], v[2:3], v[12:13]
	v_mul_f64_e32 v[12:13], v[4:5], v[12:13]
	v_add_f64_e32 v[177:178], 0, v[179:180]
	v_add_f64_e32 v[179:180], 0, v[181:182]
	s_wait_loadcnt_dscnt 0x900
	v_mul_f64_e32 v[181:182], v[173:174], v[16:17]
	v_mul_f64_e32 v[16:17], v[175:176], v[16:17]
	v_fma_f64 v[183:184], v[4:5], v[10:11], v[183:184]
	v_fma_f64 v[185:186], v[2:3], v[10:11], -v[12:13]
	ds_load_b128 v[2:5], v1 offset:1536
	scratch_load_b128 v[10:13], off, off offset:736
	v_add_f64_e32 v[177:178], v[177:178], v[42:43]
	v_add_f64_e32 v[179:180], v[179:180], v[44:45]
	ds_load_b128 v[42:45], v1 offset:1552
	v_fma_f64 v[175:176], v[175:176], v[14:15], v[181:182]
	v_fma_f64 v[173:174], v[173:174], v[14:15], -v[16:17]
	scratch_load_b128 v[14:17], off, off offset:752
	s_wait_loadcnt_dscnt 0xa01
	v_mul_f64_e32 v[187:188], v[2:3], v[20:21]
	v_mul_f64_e32 v[20:21], v[4:5], v[20:21]
	s_wait_loadcnt_dscnt 0x900
	v_mul_f64_e32 v[181:182], v[42:43], v[24:25]
	v_mul_f64_e32 v[24:25], v[44:45], v[24:25]
	v_add_f64_e32 v[177:178], v[177:178], v[185:186]
	v_add_f64_e32 v[179:180], v[179:180], v[183:184]
	v_fma_f64 v[183:184], v[4:5], v[18:19], v[187:188]
	v_fma_f64 v[185:186], v[2:3], v[18:19], -v[20:21]
	ds_load_b128 v[2:5], v1 offset:1568
	scratch_load_b128 v[18:21], off, off offset:768
	v_fma_f64 v[44:45], v[44:45], v[22:23], v[181:182]
	v_fma_f64 v[42:43], v[42:43], v[22:23], -v[24:25]
	scratch_load_b128 v[22:25], off, off offset:784
	v_add_f64_e32 v[177:178], v[177:178], v[173:174]
	v_add_f64_e32 v[179:180], v[179:180], v[175:176]
	ds_load_b128 v[173:176], v1 offset:1584
	s_wait_loadcnt_dscnt 0xa01
	v_mul_f64_e32 v[187:188], v[2:3], v[28:29]
	v_mul_f64_e32 v[28:29], v[4:5], v[28:29]
	s_wait_loadcnt_dscnt 0x900
	v_mul_f64_e32 v[181:182], v[173:174], v[32:33]
	v_mul_f64_e32 v[32:33], v[175:176], v[32:33]
	v_add_f64_e32 v[177:178], v[177:178], v[185:186]
	v_add_f64_e32 v[179:180], v[179:180], v[183:184]
	v_fma_f64 v[183:184], v[4:5], v[26:27], v[187:188]
	v_fma_f64 v[185:186], v[2:3], v[26:27], -v[28:29]
	ds_load_b128 v[2:5], v1 offset:1600
	scratch_load_b128 v[26:29], off, off offset:800
	v_fma_f64 v[175:176], v[175:176], v[30:31], v[181:182]
	v_fma_f64 v[173:174], v[173:174], v[30:31], -v[32:33]
	scratch_load_b128 v[30:33], off, off offset:816
	v_add_f64_e32 v[177:178], v[177:178], v[42:43]
	v_add_f64_e32 v[179:180], v[179:180], v[44:45]
	ds_load_b128 v[42:45], v1 offset:1616
	s_wait_loadcnt_dscnt 0xa01
	v_mul_f64_e32 v[187:188], v[2:3], v[36:37]
	v_mul_f64_e32 v[36:37], v[4:5], v[36:37]
	s_wait_loadcnt_dscnt 0x800
	v_mul_f64_e32 v[181:182], v[42:43], v[171:172]
	v_add_f64_e32 v[177:178], v[177:178], v[185:186]
	v_add_f64_e32 v[179:180], v[179:180], v[183:184]
	v_mul_f64_e32 v[183:184], v[44:45], v[171:172]
	v_fma_f64 v[185:186], v[4:5], v[34:35], v[187:188]
	v_fma_f64 v[187:188], v[2:3], v[34:35], -v[36:37]
	ds_load_b128 v[2:5], v1 offset:1632
	scratch_load_b128 v[34:37], off, off offset:832
	v_fma_f64 v[44:45], v[44:45], v[169:170], v[181:182]
	v_add_f64_e32 v[177:178], v[177:178], v[173:174]
	v_add_f64_e32 v[175:176], v[179:180], v[175:176]
	ds_load_b128 v[171:174], v1 offset:1648
	v_fma_f64 v[169:170], v[42:43], v[169:170], -v[183:184]
	s_wait_loadcnt_dscnt 0x801
	v_mul_f64_e32 v[179:180], v[2:3], v[40:41]
	v_mul_f64_e32 v[189:190], v[4:5], v[40:41]
	scratch_load_b128 v[40:43], off, off offset:848
	s_wait_loadcnt_dscnt 0x800
	v_mul_f64_e32 v[183:184], v[171:172], v[8:9]
	v_mul_f64_e32 v[8:9], v[173:174], v[8:9]
	v_add_f64_e32 v[177:178], v[177:178], v[187:188]
	v_add_f64_e32 v[175:176], v[175:176], v[185:186]
	v_fma_f64 v[185:186], v[4:5], v[38:39], v[179:180]
	v_fma_f64 v[38:39], v[2:3], v[38:39], -v[189:190]
	ds_load_b128 v[2:5], v1 offset:1664
	ds_load_b128 v[179:182], v1 offset:1680
	v_fma_f64 v[173:174], v[173:174], v[6:7], v[183:184]
	v_fma_f64 v[171:172], v[171:172], v[6:7], -v[8:9]
	scratch_load_b128 v[6:9], off, off offset:880
	v_add_f64_e32 v[169:170], v[177:178], v[169:170]
	v_add_f64_e32 v[44:45], v[175:176], v[44:45]
	scratch_load_b128 v[175:178], off, off offset:864
	s_wait_loadcnt_dscnt 0x901
	v_mul_f64_e32 v[187:188], v[2:3], v[12:13]
	v_mul_f64_e32 v[12:13], v[4:5], v[12:13]
	s_wait_loadcnt_dscnt 0x800
	v_mul_f64_e32 v[183:184], v[179:180], v[16:17]
	v_mul_f64_e32 v[16:17], v[181:182], v[16:17]
	v_add_f64_e32 v[38:39], v[169:170], v[38:39]
	v_add_f64_e32 v[44:45], v[44:45], v[185:186]
	v_fma_f64 v[185:186], v[4:5], v[10:11], v[187:188]
	v_fma_f64 v[187:188], v[2:3], v[10:11], -v[12:13]
	ds_load_b128 v[2:5], v1 offset:1696
	scratch_load_b128 v[10:13], off, off offset:896
	v_fma_f64 v[181:182], v[181:182], v[14:15], v[183:184]
	v_fma_f64 v[179:180], v[179:180], v[14:15], -v[16:17]
	scratch_load_b128 v[14:17], off, off offset:912
	v_add_f64_e32 v[38:39], v[38:39], v[171:172]
	v_add_f64_e32 v[44:45], v[44:45], v[173:174]
	ds_load_b128 v[169:172], v1 offset:1712
	s_wait_loadcnt_dscnt 0x901
	v_mul_f64_e32 v[173:174], v[2:3], v[20:21]
	v_mul_f64_e32 v[20:21], v[4:5], v[20:21]
	s_wait_loadcnt_dscnt 0x800
	v_mul_f64_e32 v[183:184], v[169:170], v[24:25]
	v_mul_f64_e32 v[24:25], v[171:172], v[24:25]
	v_add_f64_e32 v[38:39], v[38:39], v[187:188]
	v_add_f64_e32 v[44:45], v[44:45], v[185:186]
	v_fma_f64 v[173:174], v[4:5], v[18:19], v[173:174]
	v_fma_f64 v[185:186], v[2:3], v[18:19], -v[20:21]
	ds_load_b128 v[2:5], v1 offset:1728
	scratch_load_b128 v[18:21], off, off offset:928
	v_fma_f64 v[171:172], v[171:172], v[22:23], v[183:184]
	v_fma_f64 v[169:170], v[169:170], v[22:23], -v[24:25]
	scratch_load_b128 v[22:25], off, off offset:944
	v_add_f64_e32 v[38:39], v[38:39], v[179:180]
	v_add_f64_e32 v[44:45], v[44:45], v[181:182]
	ds_load_b128 v[179:182], v1 offset:1744
	s_wait_loadcnt_dscnt 0x901
	v_mul_f64_e32 v[187:188], v[2:3], v[28:29]
	v_mul_f64_e32 v[28:29], v[4:5], v[28:29]
	v_add_f64_e32 v[38:39], v[38:39], v[185:186]
	v_add_f64_e32 v[44:45], v[44:45], v[173:174]
	s_wait_loadcnt_dscnt 0x800
	v_mul_f64_e32 v[173:174], v[179:180], v[32:33]
	v_mul_f64_e32 v[32:33], v[181:182], v[32:33]
	v_fma_f64 v[183:184], v[4:5], v[26:27], v[187:188]
	v_fma_f64 v[185:186], v[2:3], v[26:27], -v[28:29]
	ds_load_b128 v[2:5], v1 offset:1760
	ds_load_b128 v[26:29], v1 offset:1776
	v_add_f64_e32 v[38:39], v[38:39], v[169:170]
	v_add_f64_e32 v[44:45], v[44:45], v[171:172]
	s_wait_loadcnt_dscnt 0x701
	v_mul_f64_e32 v[169:170], v[2:3], v[36:37]
	v_mul_f64_e32 v[36:37], v[4:5], v[36:37]
	v_fma_f64 v[171:172], v[181:182], v[30:31], v[173:174]
	v_fma_f64 v[30:31], v[179:180], v[30:31], -v[32:33]
	v_add_f64_e32 v[32:33], v[38:39], v[185:186]
	v_add_f64_e32 v[38:39], v[44:45], v[183:184]
	s_wait_loadcnt_dscnt 0x600
	v_mul_f64_e32 v[44:45], v[26:27], v[42:43]
	v_mul_f64_e32 v[42:43], v[28:29], v[42:43]
	v_fma_f64 v[169:170], v[4:5], v[34:35], v[169:170]
	v_fma_f64 v[34:35], v[2:3], v[34:35], -v[36:37]
	v_add_f64_e32 v[36:37], v[32:33], v[30:31]
	v_add_f64_e32 v[38:39], v[38:39], v[171:172]
	ds_load_b128 v[2:5], v1 offset:1792
	ds_load_b128 v[30:33], v1 offset:1808
	v_fma_f64 v[28:29], v[28:29], v[40:41], v[44:45]
	v_fma_f64 v[26:27], v[26:27], v[40:41], -v[42:43]
	s_wait_loadcnt_dscnt 0x401
	v_mul_f64_e32 v[171:172], v[2:3], v[177:178]
	v_mul_f64_e32 v[173:174], v[4:5], v[177:178]
	v_add_f64_e32 v[34:35], v[36:37], v[34:35]
	v_add_f64_e32 v[36:37], v[38:39], v[169:170]
	s_wait_dscnt 0x0
	v_mul_f64_e32 v[38:39], v[30:31], v[8:9]
	v_mul_f64_e32 v[8:9], v[32:33], v[8:9]
	v_fma_f64 v[40:41], v[4:5], v[175:176], v[171:172]
	v_fma_f64 v[42:43], v[2:3], v[175:176], -v[173:174]
	v_add_f64_e32 v[34:35], v[34:35], v[26:27]
	v_add_f64_e32 v[36:37], v[36:37], v[28:29]
	ds_load_b128 v[2:5], v1 offset:1824
	ds_load_b128 v[26:29], v1 offset:1840
	v_fma_f64 v[32:33], v[32:33], v[6:7], v[38:39]
	v_fma_f64 v[6:7], v[30:31], v[6:7], -v[8:9]
	s_wait_loadcnt_dscnt 0x301
	v_mul_f64_e32 v[44:45], v[2:3], v[12:13]
	v_mul_f64_e32 v[12:13], v[4:5], v[12:13]
	v_add_f64_e32 v[8:9], v[34:35], v[42:43]
	v_add_f64_e32 v[30:31], v[36:37], v[40:41]
	s_wait_loadcnt_dscnt 0x200
	v_mul_f64_e32 v[34:35], v[26:27], v[16:17]
	v_mul_f64_e32 v[16:17], v[28:29], v[16:17]
	v_fma_f64 v[36:37], v[4:5], v[10:11], v[44:45]
	v_fma_f64 v[10:11], v[2:3], v[10:11], -v[12:13]
	v_add_f64_e32 v[12:13], v[8:9], v[6:7]
	v_add_f64_e32 v[30:31], v[30:31], v[32:33]
	ds_load_b128 v[2:5], v1 offset:1856
	ds_load_b128 v[6:9], v1 offset:1872
	v_fma_f64 v[28:29], v[28:29], v[14:15], v[34:35]
	v_fma_f64 v[14:15], v[26:27], v[14:15], -v[16:17]
	s_wait_loadcnt_dscnt 0x101
	v_mul_f64_e32 v[32:33], v[2:3], v[20:21]
	v_mul_f64_e32 v[20:21], v[4:5], v[20:21]
	s_wait_loadcnt_dscnt 0x0
	v_mul_f64_e32 v[16:17], v[6:7], v[24:25]
	v_mul_f64_e32 v[24:25], v[8:9], v[24:25]
	v_add_f64_e32 v[10:11], v[12:13], v[10:11]
	v_add_f64_e32 v[12:13], v[30:31], v[36:37]
	v_fma_f64 v[4:5], v[4:5], v[18:19], v[32:33]
	v_fma_f64 v[1:2], v[2:3], v[18:19], -v[20:21]
	v_fma_f64 v[8:9], v[8:9], v[22:23], v[16:17]
	v_fma_f64 v[6:7], v[6:7], v[22:23], -v[24:25]
	v_add_f64_e32 v[10:11], v[10:11], v[14:15]
	v_add_f64_e32 v[12:13], v[12:13], v[28:29]
	s_delay_alu instid0(VALU_DEP_2) | instskip(NEXT) | instid1(VALU_DEP_2)
	v_add_f64_e32 v[1:2], v[10:11], v[1:2]
	v_add_f64_e32 v[3:4], v[12:13], v[4:5]
	s_delay_alu instid0(VALU_DEP_2) | instskip(NEXT) | instid1(VALU_DEP_2)
	;; [unrolled: 3-line block ×3, first 2 shown]
	v_add_f64_e64 v[1:2], v[165:166], -v[1:2]
	v_add_f64_e64 v[3:4], v[167:168], -v[3:4]
	scratch_store_b128 off, v[1:4], off offset:528
	v_cmpx_lt_u32_e32 31, v0
	s_cbranch_execz .LBB58_305
; %bb.304:
	scratch_load_b128 v[1:4], off, s41
	v_mov_b32_e32 v5, 0
	s_delay_alu instid0(VALU_DEP_1)
	v_dual_mov_b32 v6, v5 :: v_dual_mov_b32 v7, v5
	v_mov_b32_e32 v8, v5
	scratch_store_b128 off, v[5:8], off offset:512
	s_wait_loadcnt 0x0
	ds_store_b128 v164, v[1:4]
.LBB58_305:
	s_wait_alu 0xfffe
	s_or_b32 exec_lo, exec_lo, s0
	s_wait_storecnt_dscnt 0x0
	s_barrier_signal -1
	s_barrier_wait -1
	global_inv scope:SCOPE_SE
	s_clause 0x7
	scratch_load_b128 v[2:5], off, off offset:528
	scratch_load_b128 v[6:9], off, off offset:544
	;; [unrolled: 1-line block ×8, first 2 shown]
	v_mov_b32_e32 v1, 0
	s_mov_b32 s0, exec_lo
	ds_load_b128 v[34:37], v1 offset:1456
	s_clause 0x1
	scratch_load_b128 v[38:41], off, off offset:656
	scratch_load_b128 v[42:45], off, off offset:512
	ds_load_b128 v[165:168], v1 offset:1472
	scratch_load_b128 v[169:172], off, off offset:672
	s_wait_loadcnt_dscnt 0xa01
	v_mul_f64_e32 v[173:174], v[36:37], v[4:5]
	v_mul_f64_e32 v[4:5], v[34:35], v[4:5]
	s_delay_alu instid0(VALU_DEP_2) | instskip(NEXT) | instid1(VALU_DEP_2)
	v_fma_f64 v[179:180], v[34:35], v[2:3], -v[173:174]
	v_fma_f64 v[181:182], v[36:37], v[2:3], v[4:5]
	ds_load_b128 v[2:5], v1 offset:1488
	s_wait_loadcnt_dscnt 0x901
	v_mul_f64_e32 v[177:178], v[165:166], v[8:9]
	v_mul_f64_e32 v[8:9], v[167:168], v[8:9]
	scratch_load_b128 v[34:37], off, off offset:688
	ds_load_b128 v[173:176], v1 offset:1504
	s_wait_loadcnt_dscnt 0x901
	v_mul_f64_e32 v[183:184], v[2:3], v[12:13]
	v_mul_f64_e32 v[12:13], v[4:5], v[12:13]
	v_fma_f64 v[167:168], v[167:168], v[6:7], v[177:178]
	v_fma_f64 v[165:166], v[165:166], v[6:7], -v[8:9]
	v_add_f64_e32 v[177:178], 0, v[179:180]
	v_add_f64_e32 v[179:180], 0, v[181:182]
	scratch_load_b128 v[6:9], off, off offset:704
	v_fma_f64 v[183:184], v[4:5], v[10:11], v[183:184]
	v_fma_f64 v[185:186], v[2:3], v[10:11], -v[12:13]
	ds_load_b128 v[2:5], v1 offset:1520
	s_wait_loadcnt_dscnt 0x901
	v_mul_f64_e32 v[181:182], v[173:174], v[16:17]
	v_mul_f64_e32 v[16:17], v[175:176], v[16:17]
	scratch_load_b128 v[10:13], off, off offset:720
	v_add_f64_e32 v[177:178], v[177:178], v[165:166]
	v_add_f64_e32 v[179:180], v[179:180], v[167:168]
	s_wait_loadcnt_dscnt 0x900
	v_mul_f64_e32 v[187:188], v[2:3], v[20:21]
	v_mul_f64_e32 v[20:21], v[4:5], v[20:21]
	ds_load_b128 v[165:168], v1 offset:1536
	v_fma_f64 v[175:176], v[175:176], v[14:15], v[181:182]
	v_fma_f64 v[173:174], v[173:174], v[14:15], -v[16:17]
	scratch_load_b128 v[14:17], off, off offset:736
	v_add_f64_e32 v[177:178], v[177:178], v[185:186]
	v_add_f64_e32 v[179:180], v[179:180], v[183:184]
	v_fma_f64 v[183:184], v[4:5], v[18:19], v[187:188]
	v_fma_f64 v[185:186], v[2:3], v[18:19], -v[20:21]
	ds_load_b128 v[2:5], v1 offset:1552
	s_wait_loadcnt_dscnt 0x901
	v_mul_f64_e32 v[181:182], v[165:166], v[24:25]
	v_mul_f64_e32 v[24:25], v[167:168], v[24:25]
	scratch_load_b128 v[18:21], off, off offset:752
	s_wait_loadcnt_dscnt 0x900
	v_mul_f64_e32 v[187:188], v[2:3], v[28:29]
	v_mul_f64_e32 v[28:29], v[4:5], v[28:29]
	v_add_f64_e32 v[177:178], v[177:178], v[173:174]
	v_add_f64_e32 v[179:180], v[179:180], v[175:176]
	ds_load_b128 v[173:176], v1 offset:1568
	v_fma_f64 v[167:168], v[167:168], v[22:23], v[181:182]
	v_fma_f64 v[165:166], v[165:166], v[22:23], -v[24:25]
	scratch_load_b128 v[22:25], off, off offset:768
	v_add_f64_e32 v[177:178], v[177:178], v[185:186]
	v_add_f64_e32 v[179:180], v[179:180], v[183:184]
	v_fma_f64 v[183:184], v[4:5], v[26:27], v[187:188]
	v_fma_f64 v[185:186], v[2:3], v[26:27], -v[28:29]
	ds_load_b128 v[2:5], v1 offset:1584
	s_wait_loadcnt_dscnt 0x901
	v_mul_f64_e32 v[181:182], v[173:174], v[32:33]
	v_mul_f64_e32 v[32:33], v[175:176], v[32:33]
	scratch_load_b128 v[26:29], off, off offset:784
	s_wait_loadcnt_dscnt 0x900
	v_mul_f64_e32 v[187:188], v[2:3], v[40:41]
	v_mul_f64_e32 v[40:41], v[4:5], v[40:41]
	v_add_f64_e32 v[177:178], v[177:178], v[165:166]
	v_add_f64_e32 v[179:180], v[179:180], v[167:168]
	ds_load_b128 v[165:168], v1 offset:1600
	v_fma_f64 v[175:176], v[175:176], v[30:31], v[181:182]
	v_fma_f64 v[173:174], v[173:174], v[30:31], -v[32:33]
	scratch_load_b128 v[30:33], off, off offset:800
	v_add_f64_e32 v[177:178], v[177:178], v[185:186]
	v_add_f64_e32 v[179:180], v[179:180], v[183:184]
	v_fma_f64 v[185:186], v[4:5], v[38:39], v[187:188]
	v_fma_f64 v[187:188], v[2:3], v[38:39], -v[40:41]
	ds_load_b128 v[2:5], v1 offset:1616
	s_wait_loadcnt_dscnt 0x801
	v_mul_f64_e32 v[181:182], v[165:166], v[171:172]
	v_mul_f64_e32 v[183:184], v[167:168], v[171:172]
	scratch_load_b128 v[38:41], off, off offset:816
	v_add_f64_e32 v[177:178], v[177:178], v[173:174]
	v_add_f64_e32 v[175:176], v[179:180], v[175:176]
	ds_load_b128 v[171:174], v1 offset:1632
	v_fma_f64 v[181:182], v[167:168], v[169:170], v[181:182]
	v_fma_f64 v[169:170], v[165:166], v[169:170], -v[183:184]
	scratch_load_b128 v[165:168], off, off offset:832
	s_wait_loadcnt_dscnt 0x901
	v_mul_f64_e32 v[179:180], v[2:3], v[36:37]
	v_mul_f64_e32 v[36:37], v[4:5], v[36:37]
	v_add_f64_e32 v[177:178], v[177:178], v[187:188]
	v_add_f64_e32 v[175:176], v[175:176], v[185:186]
	s_delay_alu instid0(VALU_DEP_4) | instskip(NEXT) | instid1(VALU_DEP_4)
	v_fma_f64 v[179:180], v[4:5], v[34:35], v[179:180]
	v_fma_f64 v[185:186], v[2:3], v[34:35], -v[36:37]
	ds_load_b128 v[2:5], v1 offset:1648
	s_wait_loadcnt_dscnt 0x801
	v_mul_f64_e32 v[183:184], v[171:172], v[8:9]
	v_mul_f64_e32 v[8:9], v[173:174], v[8:9]
	scratch_load_b128 v[34:37], off, off offset:848
	s_wait_loadcnt_dscnt 0x800
	v_mul_f64_e32 v[187:188], v[2:3], v[12:13]
	v_add_f64_e32 v[169:170], v[177:178], v[169:170]
	v_add_f64_e32 v[181:182], v[175:176], v[181:182]
	v_mul_f64_e32 v[12:13], v[4:5], v[12:13]
	ds_load_b128 v[175:178], v1 offset:1664
	v_fma_f64 v[173:174], v[173:174], v[6:7], v[183:184]
	v_fma_f64 v[171:172], v[171:172], v[6:7], -v[8:9]
	scratch_load_b128 v[6:9], off, off offset:864
	v_fma_f64 v[183:184], v[4:5], v[10:11], v[187:188]
	v_add_f64_e32 v[169:170], v[169:170], v[185:186]
	v_add_f64_e32 v[179:180], v[181:182], v[179:180]
	v_fma_f64 v[185:186], v[2:3], v[10:11], -v[12:13]
	ds_load_b128 v[2:5], v1 offset:1680
	s_wait_loadcnt_dscnt 0x801
	v_mul_f64_e32 v[181:182], v[175:176], v[16:17]
	v_mul_f64_e32 v[16:17], v[177:178], v[16:17]
	scratch_load_b128 v[10:13], off, off offset:880
	v_add_f64_e32 v[187:188], v[169:170], v[171:172]
	v_add_f64_e32 v[173:174], v[179:180], v[173:174]
	s_wait_loadcnt_dscnt 0x800
	v_mul_f64_e32 v[179:180], v[2:3], v[20:21]
	v_mul_f64_e32 v[20:21], v[4:5], v[20:21]
	v_fma_f64 v[177:178], v[177:178], v[14:15], v[181:182]
	v_fma_f64 v[175:176], v[175:176], v[14:15], -v[16:17]
	ds_load_b128 v[169:172], v1 offset:1696
	scratch_load_b128 v[14:17], off, off offset:896
	v_add_f64_e32 v[181:182], v[187:188], v[185:186]
	v_add_f64_e32 v[173:174], v[173:174], v[183:184]
	v_fma_f64 v[179:180], v[4:5], v[18:19], v[179:180]
	v_fma_f64 v[185:186], v[2:3], v[18:19], -v[20:21]
	ds_load_b128 v[2:5], v1 offset:1712
	s_wait_loadcnt_dscnt 0x801
	v_mul_f64_e32 v[183:184], v[169:170], v[24:25]
	v_mul_f64_e32 v[24:25], v[171:172], v[24:25]
	scratch_load_b128 v[18:21], off, off offset:912
	s_wait_loadcnt_dscnt 0x800
	v_mul_f64_e32 v[187:188], v[2:3], v[28:29]
	v_mul_f64_e32 v[28:29], v[4:5], v[28:29]
	v_add_f64_e32 v[181:182], v[181:182], v[175:176]
	v_add_f64_e32 v[177:178], v[173:174], v[177:178]
	ds_load_b128 v[173:176], v1 offset:1728
	v_fma_f64 v[171:172], v[171:172], v[22:23], v[183:184]
	v_fma_f64 v[169:170], v[169:170], v[22:23], -v[24:25]
	scratch_load_b128 v[22:25], off, off offset:928
	v_fma_f64 v[183:184], v[4:5], v[26:27], v[187:188]
	v_add_f64_e32 v[181:182], v[181:182], v[185:186]
	v_add_f64_e32 v[177:178], v[177:178], v[179:180]
	v_fma_f64 v[185:186], v[2:3], v[26:27], -v[28:29]
	ds_load_b128 v[2:5], v1 offset:1744
	s_wait_loadcnt_dscnt 0x801
	v_mul_f64_e32 v[179:180], v[173:174], v[32:33]
	v_mul_f64_e32 v[32:33], v[175:176], v[32:33]
	scratch_load_b128 v[26:29], off, off offset:944
	s_wait_loadcnt_dscnt 0x800
	v_mul_f64_e32 v[187:188], v[2:3], v[40:41]
	v_mul_f64_e32 v[40:41], v[4:5], v[40:41]
	v_add_f64_e32 v[181:182], v[181:182], v[169:170]
	v_add_f64_e32 v[177:178], v[177:178], v[171:172]
	ds_load_b128 v[169:172], v1 offset:1760
	v_fma_f64 v[175:176], v[175:176], v[30:31], v[179:180]
	v_fma_f64 v[30:31], v[173:174], v[30:31], -v[32:33]
	v_fma_f64 v[179:180], v[4:5], v[38:39], v[187:188]
	v_fma_f64 v[38:39], v[2:3], v[38:39], -v[40:41]
	v_add_f64_e32 v[32:33], v[181:182], v[185:186]
	v_add_f64_e32 v[173:174], v[177:178], v[183:184]
	s_wait_loadcnt_dscnt 0x700
	v_mul_f64_e32 v[177:178], v[169:170], v[167:168]
	v_mul_f64_e32 v[167:168], v[171:172], v[167:168]
	s_delay_alu instid0(VALU_DEP_4) | instskip(NEXT) | instid1(VALU_DEP_4)
	v_add_f64_e32 v[40:41], v[32:33], v[30:31]
	v_add_f64_e32 v[173:174], v[173:174], v[175:176]
	ds_load_b128 v[2:5], v1 offset:1776
	ds_load_b128 v[30:33], v1 offset:1792
	v_fma_f64 v[171:172], v[171:172], v[165:166], v[177:178]
	v_fma_f64 v[165:166], v[169:170], v[165:166], -v[167:168]
	s_wait_loadcnt_dscnt 0x601
	v_mul_f64_e32 v[175:176], v[2:3], v[36:37]
	v_mul_f64_e32 v[36:37], v[4:5], v[36:37]
	s_wait_loadcnt_dscnt 0x500
	v_mul_f64_e32 v[167:168], v[30:31], v[8:9]
	v_mul_f64_e32 v[8:9], v[32:33], v[8:9]
	v_add_f64_e32 v[38:39], v[40:41], v[38:39]
	v_add_f64_e32 v[40:41], v[173:174], v[179:180]
	v_fma_f64 v[169:170], v[4:5], v[34:35], v[175:176]
	v_fma_f64 v[173:174], v[2:3], v[34:35], -v[36:37]
	ds_load_b128 v[2:5], v1 offset:1808
	ds_load_b128 v[34:37], v1 offset:1824
	v_fma_f64 v[32:33], v[32:33], v[6:7], v[167:168]
	v_fma_f64 v[6:7], v[30:31], v[6:7], -v[8:9]
	v_add_f64_e32 v[38:39], v[38:39], v[165:166]
	v_add_f64_e32 v[40:41], v[40:41], v[171:172]
	s_wait_loadcnt_dscnt 0x401
	v_mul_f64_e32 v[165:166], v[2:3], v[12:13]
	v_mul_f64_e32 v[12:13], v[4:5], v[12:13]
	s_delay_alu instid0(VALU_DEP_4) | instskip(NEXT) | instid1(VALU_DEP_4)
	v_add_f64_e32 v[8:9], v[38:39], v[173:174]
	v_add_f64_e32 v[30:31], v[40:41], v[169:170]
	s_wait_loadcnt_dscnt 0x300
	v_mul_f64_e32 v[38:39], v[34:35], v[16:17]
	v_mul_f64_e32 v[16:17], v[36:37], v[16:17]
	v_fma_f64 v[40:41], v[4:5], v[10:11], v[165:166]
	v_fma_f64 v[10:11], v[2:3], v[10:11], -v[12:13]
	v_add_f64_e32 v[12:13], v[8:9], v[6:7]
	v_add_f64_e32 v[30:31], v[30:31], v[32:33]
	ds_load_b128 v[2:5], v1 offset:1840
	ds_load_b128 v[6:9], v1 offset:1856
	v_fma_f64 v[36:37], v[36:37], v[14:15], v[38:39]
	v_fma_f64 v[14:15], v[34:35], v[14:15], -v[16:17]
	s_wait_loadcnt_dscnt 0x201
	v_mul_f64_e32 v[32:33], v[2:3], v[20:21]
	v_mul_f64_e32 v[20:21], v[4:5], v[20:21]
	s_wait_loadcnt_dscnt 0x100
	v_mul_f64_e32 v[16:17], v[6:7], v[24:25]
	v_mul_f64_e32 v[24:25], v[8:9], v[24:25]
	v_add_f64_e32 v[10:11], v[12:13], v[10:11]
	v_add_f64_e32 v[12:13], v[30:31], v[40:41]
	v_fma_f64 v[30:31], v[4:5], v[18:19], v[32:33]
	v_fma_f64 v[18:19], v[2:3], v[18:19], -v[20:21]
	ds_load_b128 v[2:5], v1 offset:1872
	v_fma_f64 v[8:9], v[8:9], v[22:23], v[16:17]
	v_fma_f64 v[6:7], v[6:7], v[22:23], -v[24:25]
	v_add_f64_e32 v[10:11], v[10:11], v[14:15]
	v_add_f64_e32 v[12:13], v[12:13], v[36:37]
	s_wait_loadcnt_dscnt 0x0
	v_mul_f64_e32 v[14:15], v[2:3], v[28:29]
	v_mul_f64_e32 v[20:21], v[4:5], v[28:29]
	s_delay_alu instid0(VALU_DEP_4) | instskip(NEXT) | instid1(VALU_DEP_4)
	v_add_f64_e32 v[10:11], v[10:11], v[18:19]
	v_add_f64_e32 v[12:13], v[12:13], v[30:31]
	s_delay_alu instid0(VALU_DEP_4) | instskip(NEXT) | instid1(VALU_DEP_4)
	v_fma_f64 v[4:5], v[4:5], v[26:27], v[14:15]
	v_fma_f64 v[2:3], v[2:3], v[26:27], -v[20:21]
	s_delay_alu instid0(VALU_DEP_4) | instskip(NEXT) | instid1(VALU_DEP_4)
	v_add_f64_e32 v[6:7], v[10:11], v[6:7]
	v_add_f64_e32 v[8:9], v[12:13], v[8:9]
	s_delay_alu instid0(VALU_DEP_2) | instskip(NEXT) | instid1(VALU_DEP_2)
	v_add_f64_e32 v[2:3], v[6:7], v[2:3]
	v_add_f64_e32 v[4:5], v[8:9], v[4:5]
	s_delay_alu instid0(VALU_DEP_2) | instskip(NEXT) | instid1(VALU_DEP_2)
	v_add_f64_e64 v[2:3], v[42:43], -v[2:3]
	v_add_f64_e64 v[4:5], v[44:45], -v[4:5]
	scratch_store_b128 off, v[2:5], off offset:512
	v_cmpx_lt_u32_e32 30, v0
	s_cbranch_execz .LBB58_307
; %bb.306:
	scratch_load_b128 v[5:8], off, s42
	v_dual_mov_b32 v2, v1 :: v_dual_mov_b32 v3, v1
	v_mov_b32_e32 v4, v1
	scratch_store_b128 off, v[1:4], off offset:496
	s_wait_loadcnt 0x0
	ds_store_b128 v164, v[5:8]
.LBB58_307:
	s_wait_alu 0xfffe
	s_or_b32 exec_lo, exec_lo, s0
	s_wait_storecnt_dscnt 0x0
	s_barrier_signal -1
	s_barrier_wait -1
	global_inv scope:SCOPE_SE
	s_clause 0x8
	scratch_load_b128 v[2:5], off, off offset:512
	scratch_load_b128 v[6:9], off, off offset:528
	;; [unrolled: 1-line block ×9, first 2 shown]
	ds_load_b128 v[38:41], v1 offset:1440
	ds_load_b128 v[42:45], v1 offset:1456
	s_clause 0x1
	scratch_load_b128 v[165:168], off, off offset:496
	scratch_load_b128 v[169:172], off, off offset:656
	s_mov_b32 s0, exec_lo
	s_wait_loadcnt_dscnt 0xa01
	v_mul_f64_e32 v[173:174], v[40:41], v[4:5]
	v_mul_f64_e32 v[4:5], v[38:39], v[4:5]
	s_wait_loadcnt_dscnt 0x900
	v_mul_f64_e32 v[177:178], v[42:43], v[8:9]
	v_mul_f64_e32 v[8:9], v[44:45], v[8:9]
	s_delay_alu instid0(VALU_DEP_4) | instskip(NEXT) | instid1(VALU_DEP_4)
	v_fma_f64 v[179:180], v[38:39], v[2:3], -v[173:174]
	v_fma_f64 v[181:182], v[40:41], v[2:3], v[4:5]
	ds_load_b128 v[2:5], v1 offset:1472
	ds_load_b128 v[173:176], v1 offset:1488
	scratch_load_b128 v[38:41], off, off offset:672
	v_fma_f64 v[44:45], v[44:45], v[6:7], v[177:178]
	v_fma_f64 v[42:43], v[42:43], v[6:7], -v[8:9]
	scratch_load_b128 v[6:9], off, off offset:688
	s_wait_loadcnt_dscnt 0xa01
	v_mul_f64_e32 v[183:184], v[2:3], v[12:13]
	v_mul_f64_e32 v[12:13], v[4:5], v[12:13]
	v_add_f64_e32 v[177:178], 0, v[179:180]
	v_add_f64_e32 v[179:180], 0, v[181:182]
	s_wait_loadcnt_dscnt 0x900
	v_mul_f64_e32 v[181:182], v[173:174], v[16:17]
	v_mul_f64_e32 v[16:17], v[175:176], v[16:17]
	v_fma_f64 v[183:184], v[4:5], v[10:11], v[183:184]
	v_fma_f64 v[185:186], v[2:3], v[10:11], -v[12:13]
	ds_load_b128 v[2:5], v1 offset:1504
	scratch_load_b128 v[10:13], off, off offset:704
	v_add_f64_e32 v[177:178], v[177:178], v[42:43]
	v_add_f64_e32 v[179:180], v[179:180], v[44:45]
	ds_load_b128 v[42:45], v1 offset:1520
	v_fma_f64 v[175:176], v[175:176], v[14:15], v[181:182]
	v_fma_f64 v[173:174], v[173:174], v[14:15], -v[16:17]
	scratch_load_b128 v[14:17], off, off offset:720
	s_wait_loadcnt_dscnt 0xa01
	v_mul_f64_e32 v[187:188], v[2:3], v[20:21]
	v_mul_f64_e32 v[20:21], v[4:5], v[20:21]
	s_wait_loadcnt_dscnt 0x900
	v_mul_f64_e32 v[181:182], v[42:43], v[24:25]
	v_mul_f64_e32 v[24:25], v[44:45], v[24:25]
	v_add_f64_e32 v[177:178], v[177:178], v[185:186]
	v_add_f64_e32 v[179:180], v[179:180], v[183:184]
	v_fma_f64 v[183:184], v[4:5], v[18:19], v[187:188]
	v_fma_f64 v[185:186], v[2:3], v[18:19], -v[20:21]
	ds_load_b128 v[2:5], v1 offset:1536
	scratch_load_b128 v[18:21], off, off offset:736
	v_fma_f64 v[44:45], v[44:45], v[22:23], v[181:182]
	v_fma_f64 v[42:43], v[42:43], v[22:23], -v[24:25]
	scratch_load_b128 v[22:25], off, off offset:752
	v_add_f64_e32 v[177:178], v[177:178], v[173:174]
	v_add_f64_e32 v[179:180], v[179:180], v[175:176]
	ds_load_b128 v[173:176], v1 offset:1552
	s_wait_loadcnt_dscnt 0xa01
	v_mul_f64_e32 v[187:188], v[2:3], v[28:29]
	v_mul_f64_e32 v[28:29], v[4:5], v[28:29]
	s_wait_loadcnt_dscnt 0x900
	v_mul_f64_e32 v[181:182], v[173:174], v[32:33]
	v_mul_f64_e32 v[32:33], v[175:176], v[32:33]
	v_add_f64_e32 v[177:178], v[177:178], v[185:186]
	v_add_f64_e32 v[179:180], v[179:180], v[183:184]
	v_fma_f64 v[183:184], v[4:5], v[26:27], v[187:188]
	v_fma_f64 v[185:186], v[2:3], v[26:27], -v[28:29]
	ds_load_b128 v[2:5], v1 offset:1568
	scratch_load_b128 v[26:29], off, off offset:768
	v_fma_f64 v[175:176], v[175:176], v[30:31], v[181:182]
	v_fma_f64 v[173:174], v[173:174], v[30:31], -v[32:33]
	scratch_load_b128 v[30:33], off, off offset:784
	v_add_f64_e32 v[177:178], v[177:178], v[42:43]
	v_add_f64_e32 v[179:180], v[179:180], v[44:45]
	ds_load_b128 v[42:45], v1 offset:1584
	s_wait_loadcnt_dscnt 0xa01
	v_mul_f64_e32 v[187:188], v[2:3], v[36:37]
	v_mul_f64_e32 v[36:37], v[4:5], v[36:37]
	s_wait_loadcnt_dscnt 0x800
	v_mul_f64_e32 v[181:182], v[42:43], v[171:172]
	v_add_f64_e32 v[177:178], v[177:178], v[185:186]
	v_add_f64_e32 v[179:180], v[179:180], v[183:184]
	v_mul_f64_e32 v[183:184], v[44:45], v[171:172]
	v_fma_f64 v[185:186], v[4:5], v[34:35], v[187:188]
	v_fma_f64 v[187:188], v[2:3], v[34:35], -v[36:37]
	ds_load_b128 v[2:5], v1 offset:1600
	scratch_load_b128 v[34:37], off, off offset:800
	v_fma_f64 v[44:45], v[44:45], v[169:170], v[181:182]
	v_add_f64_e32 v[177:178], v[177:178], v[173:174]
	v_add_f64_e32 v[175:176], v[179:180], v[175:176]
	ds_load_b128 v[171:174], v1 offset:1616
	v_fma_f64 v[169:170], v[42:43], v[169:170], -v[183:184]
	s_wait_loadcnt_dscnt 0x801
	v_mul_f64_e32 v[179:180], v[2:3], v[40:41]
	v_mul_f64_e32 v[189:190], v[4:5], v[40:41]
	scratch_load_b128 v[40:43], off, off offset:816
	s_wait_loadcnt_dscnt 0x800
	v_mul_f64_e32 v[183:184], v[171:172], v[8:9]
	v_mul_f64_e32 v[8:9], v[173:174], v[8:9]
	v_add_f64_e32 v[177:178], v[177:178], v[187:188]
	v_add_f64_e32 v[175:176], v[175:176], v[185:186]
	v_fma_f64 v[185:186], v[4:5], v[38:39], v[179:180]
	v_fma_f64 v[38:39], v[2:3], v[38:39], -v[189:190]
	ds_load_b128 v[2:5], v1 offset:1632
	ds_load_b128 v[179:182], v1 offset:1648
	v_fma_f64 v[173:174], v[173:174], v[6:7], v[183:184]
	v_fma_f64 v[171:172], v[171:172], v[6:7], -v[8:9]
	scratch_load_b128 v[6:9], off, off offset:848
	v_add_f64_e32 v[169:170], v[177:178], v[169:170]
	v_add_f64_e32 v[44:45], v[175:176], v[44:45]
	scratch_load_b128 v[175:178], off, off offset:832
	s_wait_loadcnt_dscnt 0x901
	v_mul_f64_e32 v[187:188], v[2:3], v[12:13]
	v_mul_f64_e32 v[12:13], v[4:5], v[12:13]
	s_wait_loadcnt_dscnt 0x800
	v_mul_f64_e32 v[183:184], v[179:180], v[16:17]
	v_mul_f64_e32 v[16:17], v[181:182], v[16:17]
	v_add_f64_e32 v[38:39], v[169:170], v[38:39]
	v_add_f64_e32 v[44:45], v[44:45], v[185:186]
	v_fma_f64 v[185:186], v[4:5], v[10:11], v[187:188]
	v_fma_f64 v[187:188], v[2:3], v[10:11], -v[12:13]
	ds_load_b128 v[2:5], v1 offset:1664
	scratch_load_b128 v[10:13], off, off offset:864
	v_fma_f64 v[181:182], v[181:182], v[14:15], v[183:184]
	v_fma_f64 v[179:180], v[179:180], v[14:15], -v[16:17]
	scratch_load_b128 v[14:17], off, off offset:880
	v_add_f64_e32 v[38:39], v[38:39], v[171:172]
	v_add_f64_e32 v[44:45], v[44:45], v[173:174]
	ds_load_b128 v[169:172], v1 offset:1680
	s_wait_loadcnt_dscnt 0x901
	v_mul_f64_e32 v[173:174], v[2:3], v[20:21]
	v_mul_f64_e32 v[20:21], v[4:5], v[20:21]
	s_wait_loadcnt_dscnt 0x800
	v_mul_f64_e32 v[183:184], v[169:170], v[24:25]
	v_mul_f64_e32 v[24:25], v[171:172], v[24:25]
	v_add_f64_e32 v[38:39], v[38:39], v[187:188]
	v_add_f64_e32 v[44:45], v[44:45], v[185:186]
	v_fma_f64 v[173:174], v[4:5], v[18:19], v[173:174]
	v_fma_f64 v[185:186], v[2:3], v[18:19], -v[20:21]
	ds_load_b128 v[2:5], v1 offset:1696
	scratch_load_b128 v[18:21], off, off offset:896
	v_fma_f64 v[171:172], v[171:172], v[22:23], v[183:184]
	v_fma_f64 v[169:170], v[169:170], v[22:23], -v[24:25]
	scratch_load_b128 v[22:25], off, off offset:912
	v_add_f64_e32 v[38:39], v[38:39], v[179:180]
	v_add_f64_e32 v[44:45], v[44:45], v[181:182]
	ds_load_b128 v[179:182], v1 offset:1712
	s_wait_loadcnt_dscnt 0x901
	v_mul_f64_e32 v[187:188], v[2:3], v[28:29]
	v_mul_f64_e32 v[28:29], v[4:5], v[28:29]
	v_add_f64_e32 v[38:39], v[38:39], v[185:186]
	v_add_f64_e32 v[44:45], v[44:45], v[173:174]
	s_wait_loadcnt_dscnt 0x800
	v_mul_f64_e32 v[173:174], v[179:180], v[32:33]
	v_mul_f64_e32 v[32:33], v[181:182], v[32:33]
	v_fma_f64 v[183:184], v[4:5], v[26:27], v[187:188]
	v_fma_f64 v[185:186], v[2:3], v[26:27], -v[28:29]
	ds_load_b128 v[2:5], v1 offset:1728
	scratch_load_b128 v[26:29], off, off offset:928
	v_add_f64_e32 v[38:39], v[38:39], v[169:170]
	v_add_f64_e32 v[44:45], v[44:45], v[171:172]
	ds_load_b128 v[169:172], v1 offset:1744
	s_wait_loadcnt_dscnt 0x801
	v_mul_f64_e32 v[187:188], v[2:3], v[36:37]
	v_mul_f64_e32 v[36:37], v[4:5], v[36:37]
	v_fma_f64 v[173:174], v[181:182], v[30:31], v[173:174]
	v_fma_f64 v[179:180], v[179:180], v[30:31], -v[32:33]
	scratch_load_b128 v[30:33], off, off offset:944
	s_wait_loadcnt_dscnt 0x800
	v_mul_f64_e32 v[181:182], v[169:170], v[42:43]
	v_add_f64_e32 v[38:39], v[38:39], v[185:186]
	v_add_f64_e32 v[44:45], v[44:45], v[183:184]
	v_mul_f64_e32 v[42:43], v[171:172], v[42:43]
	v_fma_f64 v[183:184], v[4:5], v[34:35], v[187:188]
	v_fma_f64 v[185:186], v[2:3], v[34:35], -v[36:37]
	ds_load_b128 v[2:5], v1 offset:1760
	ds_load_b128 v[34:37], v1 offset:1776
	v_fma_f64 v[171:172], v[171:172], v[40:41], v[181:182]
	v_add_f64_e32 v[38:39], v[38:39], v[179:180]
	v_add_f64_e32 v[44:45], v[44:45], v[173:174]
	v_fma_f64 v[40:41], v[169:170], v[40:41], -v[42:43]
	s_wait_loadcnt_dscnt 0x601
	v_mul_f64_e32 v[173:174], v[2:3], v[177:178]
	v_mul_f64_e32 v[177:178], v[4:5], v[177:178]
	v_add_f64_e32 v[38:39], v[38:39], v[185:186]
	v_add_f64_e32 v[42:43], v[44:45], v[183:184]
	s_wait_dscnt 0x0
	v_mul_f64_e32 v[44:45], v[34:35], v[8:9]
	v_mul_f64_e32 v[8:9], v[36:37], v[8:9]
	v_fma_f64 v[169:170], v[4:5], v[175:176], v[173:174]
	v_fma_f64 v[173:174], v[2:3], v[175:176], -v[177:178]
	v_add_f64_e32 v[175:176], v[38:39], v[40:41]
	v_add_f64_e32 v[42:43], v[42:43], v[171:172]
	ds_load_b128 v[2:5], v1 offset:1792
	ds_load_b128 v[38:41], v1 offset:1808
	v_fma_f64 v[36:37], v[36:37], v[6:7], v[44:45]
	v_fma_f64 v[6:7], v[34:35], v[6:7], -v[8:9]
	s_wait_loadcnt_dscnt 0x501
	v_mul_f64_e32 v[171:172], v[2:3], v[12:13]
	v_mul_f64_e32 v[12:13], v[4:5], v[12:13]
	v_add_f64_e32 v[8:9], v[175:176], v[173:174]
	v_add_f64_e32 v[34:35], v[42:43], v[169:170]
	s_wait_loadcnt_dscnt 0x400
	v_mul_f64_e32 v[42:43], v[38:39], v[16:17]
	v_mul_f64_e32 v[16:17], v[40:41], v[16:17]
	v_fma_f64 v[44:45], v[4:5], v[10:11], v[171:172]
	v_fma_f64 v[10:11], v[2:3], v[10:11], -v[12:13]
	v_add_f64_e32 v[12:13], v[8:9], v[6:7]
	v_add_f64_e32 v[34:35], v[34:35], v[36:37]
	ds_load_b128 v[2:5], v1 offset:1824
	ds_load_b128 v[6:9], v1 offset:1840
	v_fma_f64 v[40:41], v[40:41], v[14:15], v[42:43]
	v_fma_f64 v[14:15], v[38:39], v[14:15], -v[16:17]
	s_wait_loadcnt_dscnt 0x301
	v_mul_f64_e32 v[36:37], v[2:3], v[20:21]
	v_mul_f64_e32 v[20:21], v[4:5], v[20:21]
	s_wait_loadcnt_dscnt 0x200
	v_mul_f64_e32 v[16:17], v[6:7], v[24:25]
	v_mul_f64_e32 v[24:25], v[8:9], v[24:25]
	v_add_f64_e32 v[10:11], v[12:13], v[10:11]
	v_add_f64_e32 v[12:13], v[34:35], v[44:45]
	v_fma_f64 v[34:35], v[4:5], v[18:19], v[36:37]
	v_fma_f64 v[18:19], v[2:3], v[18:19], -v[20:21]
	v_fma_f64 v[8:9], v[8:9], v[22:23], v[16:17]
	v_fma_f64 v[6:7], v[6:7], v[22:23], -v[24:25]
	v_add_f64_e32 v[14:15], v[10:11], v[14:15]
	v_add_f64_e32 v[20:21], v[12:13], v[40:41]
	ds_load_b128 v[2:5], v1 offset:1856
	ds_load_b128 v[10:13], v1 offset:1872
	s_wait_loadcnt_dscnt 0x101
	v_mul_f64_e32 v[36:37], v[2:3], v[28:29]
	v_mul_f64_e32 v[28:29], v[4:5], v[28:29]
	v_add_f64_e32 v[14:15], v[14:15], v[18:19]
	v_add_f64_e32 v[16:17], v[20:21], v[34:35]
	s_wait_loadcnt_dscnt 0x0
	v_mul_f64_e32 v[18:19], v[10:11], v[32:33]
	v_mul_f64_e32 v[20:21], v[12:13], v[32:33]
	v_fma_f64 v[4:5], v[4:5], v[26:27], v[36:37]
	v_fma_f64 v[1:2], v[2:3], v[26:27], -v[28:29]
	v_add_f64_e32 v[6:7], v[14:15], v[6:7]
	v_add_f64_e32 v[8:9], v[16:17], v[8:9]
	v_fma_f64 v[12:13], v[12:13], v[30:31], v[18:19]
	v_fma_f64 v[10:11], v[10:11], v[30:31], -v[20:21]
	s_delay_alu instid0(VALU_DEP_4) | instskip(NEXT) | instid1(VALU_DEP_4)
	v_add_f64_e32 v[1:2], v[6:7], v[1:2]
	v_add_f64_e32 v[3:4], v[8:9], v[4:5]
	s_delay_alu instid0(VALU_DEP_2) | instskip(NEXT) | instid1(VALU_DEP_2)
	v_add_f64_e32 v[1:2], v[1:2], v[10:11]
	v_add_f64_e32 v[3:4], v[3:4], v[12:13]
	s_delay_alu instid0(VALU_DEP_2) | instskip(NEXT) | instid1(VALU_DEP_2)
	v_add_f64_e64 v[1:2], v[165:166], -v[1:2]
	v_add_f64_e64 v[3:4], v[167:168], -v[3:4]
	scratch_store_b128 off, v[1:4], off offset:496
	v_cmpx_lt_u32_e32 29, v0
	s_cbranch_execz .LBB58_309
; %bb.308:
	scratch_load_b128 v[1:4], off, s43
	v_mov_b32_e32 v5, 0
	s_delay_alu instid0(VALU_DEP_1)
	v_dual_mov_b32 v6, v5 :: v_dual_mov_b32 v7, v5
	v_mov_b32_e32 v8, v5
	scratch_store_b128 off, v[5:8], off offset:480
	s_wait_loadcnt 0x0
	ds_store_b128 v164, v[1:4]
.LBB58_309:
	s_wait_alu 0xfffe
	s_or_b32 exec_lo, exec_lo, s0
	s_wait_storecnt_dscnt 0x0
	s_barrier_signal -1
	s_barrier_wait -1
	global_inv scope:SCOPE_SE
	s_clause 0x7
	scratch_load_b128 v[2:5], off, off offset:496
	scratch_load_b128 v[6:9], off, off offset:512
	;; [unrolled: 1-line block ×8, first 2 shown]
	v_mov_b32_e32 v1, 0
	s_mov_b32 s0, exec_lo
	ds_load_b128 v[34:37], v1 offset:1424
	s_clause 0x1
	scratch_load_b128 v[38:41], off, off offset:624
	scratch_load_b128 v[42:45], off, off offset:480
	ds_load_b128 v[165:168], v1 offset:1440
	scratch_load_b128 v[169:172], off, off offset:640
	s_wait_loadcnt_dscnt 0xa01
	v_mul_f64_e32 v[173:174], v[36:37], v[4:5]
	v_mul_f64_e32 v[4:5], v[34:35], v[4:5]
	s_delay_alu instid0(VALU_DEP_2) | instskip(NEXT) | instid1(VALU_DEP_2)
	v_fma_f64 v[179:180], v[34:35], v[2:3], -v[173:174]
	v_fma_f64 v[181:182], v[36:37], v[2:3], v[4:5]
	ds_load_b128 v[2:5], v1 offset:1456
	s_wait_loadcnt_dscnt 0x901
	v_mul_f64_e32 v[177:178], v[165:166], v[8:9]
	v_mul_f64_e32 v[8:9], v[167:168], v[8:9]
	scratch_load_b128 v[34:37], off, off offset:656
	ds_load_b128 v[173:176], v1 offset:1472
	s_wait_loadcnt_dscnt 0x901
	v_mul_f64_e32 v[183:184], v[2:3], v[12:13]
	v_mul_f64_e32 v[12:13], v[4:5], v[12:13]
	v_fma_f64 v[167:168], v[167:168], v[6:7], v[177:178]
	v_fma_f64 v[165:166], v[165:166], v[6:7], -v[8:9]
	v_add_f64_e32 v[177:178], 0, v[179:180]
	v_add_f64_e32 v[179:180], 0, v[181:182]
	scratch_load_b128 v[6:9], off, off offset:672
	v_fma_f64 v[183:184], v[4:5], v[10:11], v[183:184]
	v_fma_f64 v[185:186], v[2:3], v[10:11], -v[12:13]
	ds_load_b128 v[2:5], v1 offset:1488
	s_wait_loadcnt_dscnt 0x901
	v_mul_f64_e32 v[181:182], v[173:174], v[16:17]
	v_mul_f64_e32 v[16:17], v[175:176], v[16:17]
	scratch_load_b128 v[10:13], off, off offset:688
	v_add_f64_e32 v[177:178], v[177:178], v[165:166]
	v_add_f64_e32 v[179:180], v[179:180], v[167:168]
	s_wait_loadcnt_dscnt 0x900
	v_mul_f64_e32 v[187:188], v[2:3], v[20:21]
	v_mul_f64_e32 v[20:21], v[4:5], v[20:21]
	ds_load_b128 v[165:168], v1 offset:1504
	v_fma_f64 v[175:176], v[175:176], v[14:15], v[181:182]
	v_fma_f64 v[173:174], v[173:174], v[14:15], -v[16:17]
	scratch_load_b128 v[14:17], off, off offset:704
	v_add_f64_e32 v[177:178], v[177:178], v[185:186]
	v_add_f64_e32 v[179:180], v[179:180], v[183:184]
	v_fma_f64 v[183:184], v[4:5], v[18:19], v[187:188]
	v_fma_f64 v[185:186], v[2:3], v[18:19], -v[20:21]
	ds_load_b128 v[2:5], v1 offset:1520
	s_wait_loadcnt_dscnt 0x901
	v_mul_f64_e32 v[181:182], v[165:166], v[24:25]
	v_mul_f64_e32 v[24:25], v[167:168], v[24:25]
	scratch_load_b128 v[18:21], off, off offset:720
	s_wait_loadcnt_dscnt 0x900
	v_mul_f64_e32 v[187:188], v[2:3], v[28:29]
	v_mul_f64_e32 v[28:29], v[4:5], v[28:29]
	v_add_f64_e32 v[177:178], v[177:178], v[173:174]
	v_add_f64_e32 v[179:180], v[179:180], v[175:176]
	ds_load_b128 v[173:176], v1 offset:1536
	v_fma_f64 v[167:168], v[167:168], v[22:23], v[181:182]
	v_fma_f64 v[165:166], v[165:166], v[22:23], -v[24:25]
	scratch_load_b128 v[22:25], off, off offset:736
	v_add_f64_e32 v[177:178], v[177:178], v[185:186]
	v_add_f64_e32 v[179:180], v[179:180], v[183:184]
	v_fma_f64 v[183:184], v[4:5], v[26:27], v[187:188]
	v_fma_f64 v[185:186], v[2:3], v[26:27], -v[28:29]
	ds_load_b128 v[2:5], v1 offset:1552
	s_wait_loadcnt_dscnt 0x901
	v_mul_f64_e32 v[181:182], v[173:174], v[32:33]
	v_mul_f64_e32 v[32:33], v[175:176], v[32:33]
	scratch_load_b128 v[26:29], off, off offset:752
	s_wait_loadcnt_dscnt 0x900
	v_mul_f64_e32 v[187:188], v[2:3], v[40:41]
	v_mul_f64_e32 v[40:41], v[4:5], v[40:41]
	v_add_f64_e32 v[177:178], v[177:178], v[165:166]
	v_add_f64_e32 v[179:180], v[179:180], v[167:168]
	ds_load_b128 v[165:168], v1 offset:1568
	v_fma_f64 v[175:176], v[175:176], v[30:31], v[181:182]
	v_fma_f64 v[173:174], v[173:174], v[30:31], -v[32:33]
	scratch_load_b128 v[30:33], off, off offset:768
	v_add_f64_e32 v[177:178], v[177:178], v[185:186]
	v_add_f64_e32 v[179:180], v[179:180], v[183:184]
	v_fma_f64 v[185:186], v[4:5], v[38:39], v[187:188]
	v_fma_f64 v[187:188], v[2:3], v[38:39], -v[40:41]
	ds_load_b128 v[2:5], v1 offset:1584
	s_wait_loadcnt_dscnt 0x801
	v_mul_f64_e32 v[181:182], v[165:166], v[171:172]
	v_mul_f64_e32 v[183:184], v[167:168], v[171:172]
	scratch_load_b128 v[38:41], off, off offset:784
	v_add_f64_e32 v[177:178], v[177:178], v[173:174]
	v_add_f64_e32 v[175:176], v[179:180], v[175:176]
	ds_load_b128 v[171:174], v1 offset:1600
	v_fma_f64 v[181:182], v[167:168], v[169:170], v[181:182]
	v_fma_f64 v[169:170], v[165:166], v[169:170], -v[183:184]
	scratch_load_b128 v[165:168], off, off offset:800
	s_wait_loadcnt_dscnt 0x901
	v_mul_f64_e32 v[179:180], v[2:3], v[36:37]
	v_mul_f64_e32 v[36:37], v[4:5], v[36:37]
	v_add_f64_e32 v[177:178], v[177:178], v[187:188]
	v_add_f64_e32 v[175:176], v[175:176], v[185:186]
	s_delay_alu instid0(VALU_DEP_4) | instskip(NEXT) | instid1(VALU_DEP_4)
	v_fma_f64 v[179:180], v[4:5], v[34:35], v[179:180]
	v_fma_f64 v[185:186], v[2:3], v[34:35], -v[36:37]
	ds_load_b128 v[2:5], v1 offset:1616
	s_wait_loadcnt_dscnt 0x801
	v_mul_f64_e32 v[183:184], v[171:172], v[8:9]
	v_mul_f64_e32 v[8:9], v[173:174], v[8:9]
	scratch_load_b128 v[34:37], off, off offset:816
	s_wait_loadcnt_dscnt 0x800
	v_mul_f64_e32 v[187:188], v[2:3], v[12:13]
	v_add_f64_e32 v[169:170], v[177:178], v[169:170]
	v_add_f64_e32 v[181:182], v[175:176], v[181:182]
	v_mul_f64_e32 v[12:13], v[4:5], v[12:13]
	ds_load_b128 v[175:178], v1 offset:1632
	v_fma_f64 v[173:174], v[173:174], v[6:7], v[183:184]
	v_fma_f64 v[171:172], v[171:172], v[6:7], -v[8:9]
	scratch_load_b128 v[6:9], off, off offset:832
	v_fma_f64 v[183:184], v[4:5], v[10:11], v[187:188]
	v_add_f64_e32 v[169:170], v[169:170], v[185:186]
	v_add_f64_e32 v[179:180], v[181:182], v[179:180]
	v_fma_f64 v[185:186], v[2:3], v[10:11], -v[12:13]
	ds_load_b128 v[2:5], v1 offset:1648
	s_wait_loadcnt_dscnt 0x801
	v_mul_f64_e32 v[181:182], v[175:176], v[16:17]
	v_mul_f64_e32 v[16:17], v[177:178], v[16:17]
	scratch_load_b128 v[10:13], off, off offset:848
	v_add_f64_e32 v[187:188], v[169:170], v[171:172]
	v_add_f64_e32 v[173:174], v[179:180], v[173:174]
	s_wait_loadcnt_dscnt 0x800
	v_mul_f64_e32 v[179:180], v[2:3], v[20:21]
	v_mul_f64_e32 v[20:21], v[4:5], v[20:21]
	v_fma_f64 v[177:178], v[177:178], v[14:15], v[181:182]
	v_fma_f64 v[175:176], v[175:176], v[14:15], -v[16:17]
	ds_load_b128 v[169:172], v1 offset:1664
	scratch_load_b128 v[14:17], off, off offset:864
	v_add_f64_e32 v[181:182], v[187:188], v[185:186]
	v_add_f64_e32 v[173:174], v[173:174], v[183:184]
	v_fma_f64 v[179:180], v[4:5], v[18:19], v[179:180]
	v_fma_f64 v[185:186], v[2:3], v[18:19], -v[20:21]
	ds_load_b128 v[2:5], v1 offset:1680
	s_wait_loadcnt_dscnt 0x801
	v_mul_f64_e32 v[183:184], v[169:170], v[24:25]
	v_mul_f64_e32 v[24:25], v[171:172], v[24:25]
	scratch_load_b128 v[18:21], off, off offset:880
	s_wait_loadcnt_dscnt 0x800
	v_mul_f64_e32 v[187:188], v[2:3], v[28:29]
	v_mul_f64_e32 v[28:29], v[4:5], v[28:29]
	v_add_f64_e32 v[181:182], v[181:182], v[175:176]
	v_add_f64_e32 v[177:178], v[173:174], v[177:178]
	ds_load_b128 v[173:176], v1 offset:1696
	v_fma_f64 v[171:172], v[171:172], v[22:23], v[183:184]
	v_fma_f64 v[169:170], v[169:170], v[22:23], -v[24:25]
	scratch_load_b128 v[22:25], off, off offset:896
	v_fma_f64 v[183:184], v[4:5], v[26:27], v[187:188]
	v_add_f64_e32 v[181:182], v[181:182], v[185:186]
	v_add_f64_e32 v[177:178], v[177:178], v[179:180]
	v_fma_f64 v[185:186], v[2:3], v[26:27], -v[28:29]
	ds_load_b128 v[2:5], v1 offset:1712
	s_wait_loadcnt_dscnt 0x801
	v_mul_f64_e32 v[179:180], v[173:174], v[32:33]
	v_mul_f64_e32 v[32:33], v[175:176], v[32:33]
	scratch_load_b128 v[26:29], off, off offset:912
	s_wait_loadcnt_dscnt 0x800
	v_mul_f64_e32 v[187:188], v[2:3], v[40:41]
	v_mul_f64_e32 v[40:41], v[4:5], v[40:41]
	v_add_f64_e32 v[181:182], v[181:182], v[169:170]
	v_add_f64_e32 v[177:178], v[177:178], v[171:172]
	ds_load_b128 v[169:172], v1 offset:1728
	v_fma_f64 v[175:176], v[175:176], v[30:31], v[179:180]
	v_fma_f64 v[173:174], v[173:174], v[30:31], -v[32:33]
	scratch_load_b128 v[30:33], off, off offset:928
	v_add_f64_e32 v[179:180], v[181:182], v[185:186]
	v_add_f64_e32 v[177:178], v[177:178], v[183:184]
	v_fma_f64 v[183:184], v[4:5], v[38:39], v[187:188]
	v_fma_f64 v[185:186], v[2:3], v[38:39], -v[40:41]
	ds_load_b128 v[2:5], v1 offset:1744
	s_wait_loadcnt_dscnt 0x801
	v_mul_f64_e32 v[181:182], v[169:170], v[167:168]
	v_mul_f64_e32 v[167:168], v[171:172], v[167:168]
	scratch_load_b128 v[38:41], off, off offset:944
	s_wait_loadcnt_dscnt 0x800
	v_mul_f64_e32 v[187:188], v[2:3], v[36:37]
	v_mul_f64_e32 v[36:37], v[4:5], v[36:37]
	v_add_f64_e32 v[179:180], v[179:180], v[173:174]
	v_add_f64_e32 v[177:178], v[177:178], v[175:176]
	ds_load_b128 v[173:176], v1 offset:1760
	v_fma_f64 v[171:172], v[171:172], v[165:166], v[181:182]
	v_fma_f64 v[165:166], v[169:170], v[165:166], -v[167:168]
	v_fma_f64 v[181:182], v[2:3], v[34:35], -v[36:37]
	v_add_f64_e32 v[167:168], v[179:180], v[185:186]
	v_add_f64_e32 v[169:170], v[177:178], v[183:184]
	s_wait_loadcnt_dscnt 0x700
	v_mul_f64_e32 v[177:178], v[173:174], v[8:9]
	v_mul_f64_e32 v[8:9], v[175:176], v[8:9]
	v_fma_f64 v[179:180], v[4:5], v[34:35], v[187:188]
	ds_load_b128 v[2:5], v1 offset:1776
	ds_load_b128 v[34:37], v1 offset:1792
	v_add_f64_e32 v[165:166], v[167:168], v[165:166]
	v_add_f64_e32 v[167:168], v[169:170], v[171:172]
	s_wait_loadcnt_dscnt 0x601
	v_mul_f64_e32 v[169:170], v[2:3], v[12:13]
	v_mul_f64_e32 v[12:13], v[4:5], v[12:13]
	v_fma_f64 v[171:172], v[175:176], v[6:7], v[177:178]
	v_fma_f64 v[6:7], v[173:174], v[6:7], -v[8:9]
	v_add_f64_e32 v[8:9], v[165:166], v[181:182]
	v_add_f64_e32 v[165:166], v[167:168], v[179:180]
	s_wait_loadcnt_dscnt 0x500
	v_mul_f64_e32 v[167:168], v[34:35], v[16:17]
	v_mul_f64_e32 v[16:17], v[36:37], v[16:17]
	v_fma_f64 v[169:170], v[4:5], v[10:11], v[169:170]
	v_fma_f64 v[10:11], v[2:3], v[10:11], -v[12:13]
	v_add_f64_e32 v[12:13], v[8:9], v[6:7]
	v_add_f64_e32 v[165:166], v[165:166], v[171:172]
	ds_load_b128 v[2:5], v1 offset:1808
	ds_load_b128 v[6:9], v1 offset:1824
	v_fma_f64 v[36:37], v[36:37], v[14:15], v[167:168]
	v_fma_f64 v[14:15], v[34:35], v[14:15], -v[16:17]
	s_wait_loadcnt_dscnt 0x401
	v_mul_f64_e32 v[171:172], v[2:3], v[20:21]
	v_mul_f64_e32 v[20:21], v[4:5], v[20:21]
	s_wait_loadcnt_dscnt 0x300
	v_mul_f64_e32 v[16:17], v[6:7], v[24:25]
	v_mul_f64_e32 v[24:25], v[8:9], v[24:25]
	v_add_f64_e32 v[10:11], v[12:13], v[10:11]
	v_add_f64_e32 v[12:13], v[165:166], v[169:170]
	v_fma_f64 v[34:35], v[4:5], v[18:19], v[171:172]
	v_fma_f64 v[18:19], v[2:3], v[18:19], -v[20:21]
	v_fma_f64 v[8:9], v[8:9], v[22:23], v[16:17]
	v_fma_f64 v[6:7], v[6:7], v[22:23], -v[24:25]
	v_add_f64_e32 v[14:15], v[10:11], v[14:15]
	v_add_f64_e32 v[20:21], v[12:13], v[36:37]
	ds_load_b128 v[2:5], v1 offset:1840
	ds_load_b128 v[10:13], v1 offset:1856
	s_wait_loadcnt_dscnt 0x201
	v_mul_f64_e32 v[36:37], v[2:3], v[28:29]
	v_mul_f64_e32 v[28:29], v[4:5], v[28:29]
	v_add_f64_e32 v[14:15], v[14:15], v[18:19]
	v_add_f64_e32 v[16:17], v[20:21], v[34:35]
	s_wait_loadcnt_dscnt 0x100
	v_mul_f64_e32 v[18:19], v[10:11], v[32:33]
	v_mul_f64_e32 v[20:21], v[12:13], v[32:33]
	v_fma_f64 v[22:23], v[4:5], v[26:27], v[36:37]
	v_fma_f64 v[24:25], v[2:3], v[26:27], -v[28:29]
	ds_load_b128 v[2:5], v1 offset:1872
	v_add_f64_e32 v[6:7], v[14:15], v[6:7]
	v_add_f64_e32 v[8:9], v[16:17], v[8:9]
	v_fma_f64 v[12:13], v[12:13], v[30:31], v[18:19]
	v_fma_f64 v[10:11], v[10:11], v[30:31], -v[20:21]
	s_wait_loadcnt_dscnt 0x0
	v_mul_f64_e32 v[14:15], v[2:3], v[40:41]
	v_mul_f64_e32 v[16:17], v[4:5], v[40:41]
	v_add_f64_e32 v[6:7], v[6:7], v[24:25]
	v_add_f64_e32 v[8:9], v[8:9], v[22:23]
	s_delay_alu instid0(VALU_DEP_4) | instskip(NEXT) | instid1(VALU_DEP_4)
	v_fma_f64 v[4:5], v[4:5], v[38:39], v[14:15]
	v_fma_f64 v[2:3], v[2:3], v[38:39], -v[16:17]
	s_delay_alu instid0(VALU_DEP_4) | instskip(NEXT) | instid1(VALU_DEP_4)
	v_add_f64_e32 v[6:7], v[6:7], v[10:11]
	v_add_f64_e32 v[8:9], v[8:9], v[12:13]
	s_delay_alu instid0(VALU_DEP_2) | instskip(NEXT) | instid1(VALU_DEP_2)
	v_add_f64_e32 v[2:3], v[6:7], v[2:3]
	v_add_f64_e32 v[4:5], v[8:9], v[4:5]
	s_delay_alu instid0(VALU_DEP_2) | instskip(NEXT) | instid1(VALU_DEP_2)
	v_add_f64_e64 v[2:3], v[42:43], -v[2:3]
	v_add_f64_e64 v[4:5], v[44:45], -v[4:5]
	scratch_store_b128 off, v[2:5], off offset:480
	v_cmpx_lt_u32_e32 28, v0
	s_cbranch_execz .LBB58_311
; %bb.310:
	scratch_load_b128 v[5:8], off, s44
	v_dual_mov_b32 v2, v1 :: v_dual_mov_b32 v3, v1
	v_mov_b32_e32 v4, v1
	scratch_store_b128 off, v[1:4], off offset:464
	s_wait_loadcnt 0x0
	ds_store_b128 v164, v[5:8]
.LBB58_311:
	s_wait_alu 0xfffe
	s_or_b32 exec_lo, exec_lo, s0
	s_wait_storecnt_dscnt 0x0
	s_barrier_signal -1
	s_barrier_wait -1
	global_inv scope:SCOPE_SE
	s_clause 0x8
	scratch_load_b128 v[2:5], off, off offset:480
	scratch_load_b128 v[6:9], off, off offset:496
	;; [unrolled: 1-line block ×9, first 2 shown]
	ds_load_b128 v[38:41], v1 offset:1408
	ds_load_b128 v[42:45], v1 offset:1424
	s_clause 0x1
	scratch_load_b128 v[165:168], off, off offset:464
	scratch_load_b128 v[169:172], off, off offset:624
	s_mov_b32 s0, exec_lo
	s_wait_loadcnt_dscnt 0xa01
	v_mul_f64_e32 v[173:174], v[40:41], v[4:5]
	v_mul_f64_e32 v[4:5], v[38:39], v[4:5]
	s_wait_loadcnt_dscnt 0x900
	v_mul_f64_e32 v[177:178], v[42:43], v[8:9]
	v_mul_f64_e32 v[8:9], v[44:45], v[8:9]
	s_delay_alu instid0(VALU_DEP_4) | instskip(NEXT) | instid1(VALU_DEP_4)
	v_fma_f64 v[179:180], v[38:39], v[2:3], -v[173:174]
	v_fma_f64 v[181:182], v[40:41], v[2:3], v[4:5]
	ds_load_b128 v[2:5], v1 offset:1440
	ds_load_b128 v[173:176], v1 offset:1456
	scratch_load_b128 v[38:41], off, off offset:640
	v_fma_f64 v[44:45], v[44:45], v[6:7], v[177:178]
	v_fma_f64 v[42:43], v[42:43], v[6:7], -v[8:9]
	scratch_load_b128 v[6:9], off, off offset:656
	s_wait_loadcnt_dscnt 0xa01
	v_mul_f64_e32 v[183:184], v[2:3], v[12:13]
	v_mul_f64_e32 v[12:13], v[4:5], v[12:13]
	v_add_f64_e32 v[177:178], 0, v[179:180]
	v_add_f64_e32 v[179:180], 0, v[181:182]
	s_wait_loadcnt_dscnt 0x900
	v_mul_f64_e32 v[181:182], v[173:174], v[16:17]
	v_mul_f64_e32 v[16:17], v[175:176], v[16:17]
	v_fma_f64 v[183:184], v[4:5], v[10:11], v[183:184]
	v_fma_f64 v[185:186], v[2:3], v[10:11], -v[12:13]
	ds_load_b128 v[2:5], v1 offset:1472
	scratch_load_b128 v[10:13], off, off offset:672
	v_add_f64_e32 v[177:178], v[177:178], v[42:43]
	v_add_f64_e32 v[179:180], v[179:180], v[44:45]
	ds_load_b128 v[42:45], v1 offset:1488
	v_fma_f64 v[175:176], v[175:176], v[14:15], v[181:182]
	v_fma_f64 v[173:174], v[173:174], v[14:15], -v[16:17]
	scratch_load_b128 v[14:17], off, off offset:688
	s_wait_loadcnt_dscnt 0xa01
	v_mul_f64_e32 v[187:188], v[2:3], v[20:21]
	v_mul_f64_e32 v[20:21], v[4:5], v[20:21]
	s_wait_loadcnt_dscnt 0x900
	v_mul_f64_e32 v[181:182], v[42:43], v[24:25]
	v_mul_f64_e32 v[24:25], v[44:45], v[24:25]
	v_add_f64_e32 v[177:178], v[177:178], v[185:186]
	v_add_f64_e32 v[179:180], v[179:180], v[183:184]
	v_fma_f64 v[183:184], v[4:5], v[18:19], v[187:188]
	v_fma_f64 v[185:186], v[2:3], v[18:19], -v[20:21]
	ds_load_b128 v[2:5], v1 offset:1504
	scratch_load_b128 v[18:21], off, off offset:704
	v_fma_f64 v[44:45], v[44:45], v[22:23], v[181:182]
	v_fma_f64 v[42:43], v[42:43], v[22:23], -v[24:25]
	scratch_load_b128 v[22:25], off, off offset:720
	v_add_f64_e32 v[177:178], v[177:178], v[173:174]
	v_add_f64_e32 v[179:180], v[179:180], v[175:176]
	ds_load_b128 v[173:176], v1 offset:1520
	s_wait_loadcnt_dscnt 0xa01
	v_mul_f64_e32 v[187:188], v[2:3], v[28:29]
	v_mul_f64_e32 v[28:29], v[4:5], v[28:29]
	s_wait_loadcnt_dscnt 0x900
	v_mul_f64_e32 v[181:182], v[173:174], v[32:33]
	v_mul_f64_e32 v[32:33], v[175:176], v[32:33]
	v_add_f64_e32 v[177:178], v[177:178], v[185:186]
	v_add_f64_e32 v[179:180], v[179:180], v[183:184]
	v_fma_f64 v[183:184], v[4:5], v[26:27], v[187:188]
	v_fma_f64 v[185:186], v[2:3], v[26:27], -v[28:29]
	ds_load_b128 v[2:5], v1 offset:1536
	scratch_load_b128 v[26:29], off, off offset:736
	v_fma_f64 v[175:176], v[175:176], v[30:31], v[181:182]
	v_fma_f64 v[173:174], v[173:174], v[30:31], -v[32:33]
	scratch_load_b128 v[30:33], off, off offset:752
	v_add_f64_e32 v[177:178], v[177:178], v[42:43]
	v_add_f64_e32 v[179:180], v[179:180], v[44:45]
	ds_load_b128 v[42:45], v1 offset:1552
	s_wait_loadcnt_dscnt 0xa01
	v_mul_f64_e32 v[187:188], v[2:3], v[36:37]
	v_mul_f64_e32 v[36:37], v[4:5], v[36:37]
	s_wait_loadcnt_dscnt 0x800
	v_mul_f64_e32 v[181:182], v[42:43], v[171:172]
	v_add_f64_e32 v[177:178], v[177:178], v[185:186]
	v_add_f64_e32 v[179:180], v[179:180], v[183:184]
	v_mul_f64_e32 v[183:184], v[44:45], v[171:172]
	v_fma_f64 v[185:186], v[4:5], v[34:35], v[187:188]
	v_fma_f64 v[187:188], v[2:3], v[34:35], -v[36:37]
	ds_load_b128 v[2:5], v1 offset:1568
	scratch_load_b128 v[34:37], off, off offset:768
	v_fma_f64 v[44:45], v[44:45], v[169:170], v[181:182]
	v_add_f64_e32 v[177:178], v[177:178], v[173:174]
	v_add_f64_e32 v[175:176], v[179:180], v[175:176]
	ds_load_b128 v[171:174], v1 offset:1584
	v_fma_f64 v[169:170], v[42:43], v[169:170], -v[183:184]
	s_wait_loadcnt_dscnt 0x801
	v_mul_f64_e32 v[179:180], v[2:3], v[40:41]
	v_mul_f64_e32 v[189:190], v[4:5], v[40:41]
	scratch_load_b128 v[40:43], off, off offset:784
	s_wait_loadcnt_dscnt 0x800
	v_mul_f64_e32 v[183:184], v[171:172], v[8:9]
	v_mul_f64_e32 v[8:9], v[173:174], v[8:9]
	v_add_f64_e32 v[177:178], v[177:178], v[187:188]
	v_add_f64_e32 v[175:176], v[175:176], v[185:186]
	v_fma_f64 v[185:186], v[4:5], v[38:39], v[179:180]
	v_fma_f64 v[38:39], v[2:3], v[38:39], -v[189:190]
	ds_load_b128 v[2:5], v1 offset:1600
	ds_load_b128 v[179:182], v1 offset:1616
	v_fma_f64 v[173:174], v[173:174], v[6:7], v[183:184]
	v_fma_f64 v[171:172], v[171:172], v[6:7], -v[8:9]
	scratch_load_b128 v[6:9], off, off offset:816
	v_add_f64_e32 v[169:170], v[177:178], v[169:170]
	v_add_f64_e32 v[44:45], v[175:176], v[44:45]
	scratch_load_b128 v[175:178], off, off offset:800
	s_wait_loadcnt_dscnt 0x901
	v_mul_f64_e32 v[187:188], v[2:3], v[12:13]
	v_mul_f64_e32 v[12:13], v[4:5], v[12:13]
	s_wait_loadcnt_dscnt 0x800
	v_mul_f64_e32 v[183:184], v[179:180], v[16:17]
	v_mul_f64_e32 v[16:17], v[181:182], v[16:17]
	v_add_f64_e32 v[38:39], v[169:170], v[38:39]
	v_add_f64_e32 v[44:45], v[44:45], v[185:186]
	v_fma_f64 v[185:186], v[4:5], v[10:11], v[187:188]
	v_fma_f64 v[187:188], v[2:3], v[10:11], -v[12:13]
	ds_load_b128 v[2:5], v1 offset:1632
	scratch_load_b128 v[10:13], off, off offset:832
	v_fma_f64 v[181:182], v[181:182], v[14:15], v[183:184]
	v_fma_f64 v[179:180], v[179:180], v[14:15], -v[16:17]
	scratch_load_b128 v[14:17], off, off offset:848
	v_add_f64_e32 v[38:39], v[38:39], v[171:172]
	v_add_f64_e32 v[44:45], v[44:45], v[173:174]
	ds_load_b128 v[169:172], v1 offset:1648
	s_wait_loadcnt_dscnt 0x901
	v_mul_f64_e32 v[173:174], v[2:3], v[20:21]
	v_mul_f64_e32 v[20:21], v[4:5], v[20:21]
	s_wait_loadcnt_dscnt 0x800
	v_mul_f64_e32 v[183:184], v[169:170], v[24:25]
	v_mul_f64_e32 v[24:25], v[171:172], v[24:25]
	v_add_f64_e32 v[38:39], v[38:39], v[187:188]
	v_add_f64_e32 v[44:45], v[44:45], v[185:186]
	v_fma_f64 v[173:174], v[4:5], v[18:19], v[173:174]
	v_fma_f64 v[185:186], v[2:3], v[18:19], -v[20:21]
	ds_load_b128 v[2:5], v1 offset:1664
	scratch_load_b128 v[18:21], off, off offset:864
	v_fma_f64 v[171:172], v[171:172], v[22:23], v[183:184]
	v_fma_f64 v[169:170], v[169:170], v[22:23], -v[24:25]
	scratch_load_b128 v[22:25], off, off offset:880
	v_add_f64_e32 v[38:39], v[38:39], v[179:180]
	v_add_f64_e32 v[44:45], v[44:45], v[181:182]
	ds_load_b128 v[179:182], v1 offset:1680
	s_wait_loadcnt_dscnt 0x901
	v_mul_f64_e32 v[187:188], v[2:3], v[28:29]
	v_mul_f64_e32 v[28:29], v[4:5], v[28:29]
	v_add_f64_e32 v[38:39], v[38:39], v[185:186]
	v_add_f64_e32 v[44:45], v[44:45], v[173:174]
	s_wait_loadcnt_dscnt 0x800
	v_mul_f64_e32 v[173:174], v[179:180], v[32:33]
	v_mul_f64_e32 v[32:33], v[181:182], v[32:33]
	v_fma_f64 v[183:184], v[4:5], v[26:27], v[187:188]
	v_fma_f64 v[185:186], v[2:3], v[26:27], -v[28:29]
	ds_load_b128 v[2:5], v1 offset:1696
	scratch_load_b128 v[26:29], off, off offset:896
	v_add_f64_e32 v[38:39], v[38:39], v[169:170]
	v_add_f64_e32 v[44:45], v[44:45], v[171:172]
	ds_load_b128 v[169:172], v1 offset:1712
	s_wait_loadcnt_dscnt 0x801
	v_mul_f64_e32 v[187:188], v[2:3], v[36:37]
	v_mul_f64_e32 v[36:37], v[4:5], v[36:37]
	v_fma_f64 v[173:174], v[181:182], v[30:31], v[173:174]
	v_fma_f64 v[179:180], v[179:180], v[30:31], -v[32:33]
	scratch_load_b128 v[30:33], off, off offset:912
	s_wait_loadcnt_dscnt 0x800
	v_mul_f64_e32 v[181:182], v[169:170], v[42:43]
	v_add_f64_e32 v[38:39], v[38:39], v[185:186]
	v_add_f64_e32 v[44:45], v[44:45], v[183:184]
	v_mul_f64_e32 v[183:184], v[171:172], v[42:43]
	v_fma_f64 v[185:186], v[4:5], v[34:35], v[187:188]
	v_fma_f64 v[187:188], v[2:3], v[34:35], -v[36:37]
	ds_load_b128 v[2:5], v1 offset:1728
	scratch_load_b128 v[34:37], off, off offset:928
	v_fma_f64 v[171:172], v[171:172], v[40:41], v[181:182]
	v_add_f64_e32 v[38:39], v[38:39], v[179:180]
	v_add_f64_e32 v[173:174], v[44:45], v[173:174]
	ds_load_b128 v[42:45], v1 offset:1744
	v_fma_f64 v[169:170], v[169:170], v[40:41], -v[183:184]
	s_wait_loadcnt_dscnt 0x701
	v_mul_f64_e32 v[179:180], v[2:3], v[177:178]
	v_mul_f64_e32 v[177:178], v[4:5], v[177:178]
	s_wait_dscnt 0x0
	v_mul_f64_e32 v[183:184], v[42:43], v[8:9]
	v_mul_f64_e32 v[8:9], v[44:45], v[8:9]
	v_add_f64_e32 v[181:182], v[38:39], v[187:188]
	v_add_f64_e32 v[173:174], v[173:174], v[185:186]
	scratch_load_b128 v[38:41], off, off offset:944
	v_fma_f64 v[179:180], v[4:5], v[175:176], v[179:180]
	v_fma_f64 v[175:176], v[2:3], v[175:176], -v[177:178]
	v_fma_f64 v[44:45], v[44:45], v[6:7], v[183:184]
	v_fma_f64 v[6:7], v[42:43], v[6:7], -v[8:9]
	v_add_f64_e32 v[177:178], v[181:182], v[169:170]
	v_add_f64_e32 v[173:174], v[173:174], v[171:172]
	ds_load_b128 v[2:5], v1 offset:1760
	ds_load_b128 v[169:172], v1 offset:1776
	s_wait_loadcnt_dscnt 0x701
	v_mul_f64_e32 v[181:182], v[2:3], v[12:13]
	v_mul_f64_e32 v[12:13], v[4:5], v[12:13]
	v_add_f64_e32 v[8:9], v[177:178], v[175:176]
	v_add_f64_e32 v[42:43], v[173:174], v[179:180]
	s_wait_loadcnt_dscnt 0x600
	v_mul_f64_e32 v[173:174], v[169:170], v[16:17]
	v_mul_f64_e32 v[16:17], v[171:172], v[16:17]
	v_fma_f64 v[175:176], v[4:5], v[10:11], v[181:182]
	v_fma_f64 v[10:11], v[2:3], v[10:11], -v[12:13]
	v_add_f64_e32 v[12:13], v[8:9], v[6:7]
	v_add_f64_e32 v[42:43], v[42:43], v[44:45]
	ds_load_b128 v[2:5], v1 offset:1792
	ds_load_b128 v[6:9], v1 offset:1808
	v_fma_f64 v[171:172], v[171:172], v[14:15], v[173:174]
	v_fma_f64 v[14:15], v[169:170], v[14:15], -v[16:17]
	s_wait_loadcnt_dscnt 0x501
	v_mul_f64_e32 v[44:45], v[2:3], v[20:21]
	v_mul_f64_e32 v[20:21], v[4:5], v[20:21]
	s_wait_loadcnt_dscnt 0x400
	v_mul_f64_e32 v[16:17], v[6:7], v[24:25]
	v_mul_f64_e32 v[24:25], v[8:9], v[24:25]
	v_add_f64_e32 v[10:11], v[12:13], v[10:11]
	v_add_f64_e32 v[12:13], v[42:43], v[175:176]
	v_fma_f64 v[42:43], v[4:5], v[18:19], v[44:45]
	v_fma_f64 v[18:19], v[2:3], v[18:19], -v[20:21]
	v_fma_f64 v[8:9], v[8:9], v[22:23], v[16:17]
	v_fma_f64 v[6:7], v[6:7], v[22:23], -v[24:25]
	v_add_f64_e32 v[14:15], v[10:11], v[14:15]
	v_add_f64_e32 v[20:21], v[12:13], v[171:172]
	ds_load_b128 v[2:5], v1 offset:1824
	ds_load_b128 v[10:13], v1 offset:1840
	s_wait_loadcnt_dscnt 0x301
	v_mul_f64_e32 v[44:45], v[2:3], v[28:29]
	v_mul_f64_e32 v[28:29], v[4:5], v[28:29]
	v_add_f64_e32 v[14:15], v[14:15], v[18:19]
	v_add_f64_e32 v[16:17], v[20:21], v[42:43]
	s_wait_loadcnt_dscnt 0x200
	v_mul_f64_e32 v[18:19], v[10:11], v[32:33]
	v_mul_f64_e32 v[20:21], v[12:13], v[32:33]
	v_fma_f64 v[22:23], v[4:5], v[26:27], v[44:45]
	v_fma_f64 v[24:25], v[2:3], v[26:27], -v[28:29]
	v_add_f64_e32 v[14:15], v[14:15], v[6:7]
	v_add_f64_e32 v[16:17], v[16:17], v[8:9]
	ds_load_b128 v[2:5], v1 offset:1856
	ds_load_b128 v[6:9], v1 offset:1872
	v_fma_f64 v[12:13], v[12:13], v[30:31], v[18:19]
	v_fma_f64 v[10:11], v[10:11], v[30:31], -v[20:21]
	s_wait_loadcnt_dscnt 0x101
	v_mul_f64_e32 v[26:27], v[2:3], v[36:37]
	v_mul_f64_e32 v[28:29], v[4:5], v[36:37]
	v_add_f64_e32 v[14:15], v[14:15], v[24:25]
	v_add_f64_e32 v[16:17], v[16:17], v[22:23]
	s_wait_loadcnt_dscnt 0x0
	v_mul_f64_e32 v[18:19], v[6:7], v[40:41]
	v_mul_f64_e32 v[20:21], v[8:9], v[40:41]
	v_fma_f64 v[4:5], v[4:5], v[34:35], v[26:27]
	v_fma_f64 v[1:2], v[2:3], v[34:35], -v[28:29]
	v_add_f64_e32 v[10:11], v[14:15], v[10:11]
	v_add_f64_e32 v[12:13], v[16:17], v[12:13]
	v_fma_f64 v[8:9], v[8:9], v[38:39], v[18:19]
	v_fma_f64 v[6:7], v[6:7], v[38:39], -v[20:21]
	s_delay_alu instid0(VALU_DEP_4) | instskip(NEXT) | instid1(VALU_DEP_4)
	v_add_f64_e32 v[1:2], v[10:11], v[1:2]
	v_add_f64_e32 v[3:4], v[12:13], v[4:5]
	s_delay_alu instid0(VALU_DEP_2) | instskip(NEXT) | instid1(VALU_DEP_2)
	v_add_f64_e32 v[1:2], v[1:2], v[6:7]
	v_add_f64_e32 v[3:4], v[3:4], v[8:9]
	s_delay_alu instid0(VALU_DEP_2) | instskip(NEXT) | instid1(VALU_DEP_2)
	v_add_f64_e64 v[1:2], v[165:166], -v[1:2]
	v_add_f64_e64 v[3:4], v[167:168], -v[3:4]
	scratch_store_b128 off, v[1:4], off offset:464
	v_cmpx_lt_u32_e32 27, v0
	s_cbranch_execz .LBB58_313
; %bb.312:
	scratch_load_b128 v[1:4], off, s45
	v_mov_b32_e32 v5, 0
	s_delay_alu instid0(VALU_DEP_1)
	v_dual_mov_b32 v6, v5 :: v_dual_mov_b32 v7, v5
	v_mov_b32_e32 v8, v5
	scratch_store_b128 off, v[5:8], off offset:448
	s_wait_loadcnt 0x0
	ds_store_b128 v164, v[1:4]
.LBB58_313:
	s_wait_alu 0xfffe
	s_or_b32 exec_lo, exec_lo, s0
	s_wait_storecnt_dscnt 0x0
	s_barrier_signal -1
	s_barrier_wait -1
	global_inv scope:SCOPE_SE
	s_clause 0x7
	scratch_load_b128 v[2:5], off, off offset:464
	scratch_load_b128 v[6:9], off, off offset:480
	;; [unrolled: 1-line block ×8, first 2 shown]
	v_mov_b32_e32 v1, 0
	s_mov_b32 s0, exec_lo
	ds_load_b128 v[34:37], v1 offset:1392
	s_clause 0x1
	scratch_load_b128 v[38:41], off, off offset:592
	scratch_load_b128 v[42:45], off, off offset:448
	ds_load_b128 v[165:168], v1 offset:1408
	scratch_load_b128 v[169:172], off, off offset:608
	s_wait_loadcnt_dscnt 0xa01
	v_mul_f64_e32 v[173:174], v[36:37], v[4:5]
	v_mul_f64_e32 v[4:5], v[34:35], v[4:5]
	s_delay_alu instid0(VALU_DEP_2) | instskip(NEXT) | instid1(VALU_DEP_2)
	v_fma_f64 v[179:180], v[34:35], v[2:3], -v[173:174]
	v_fma_f64 v[181:182], v[36:37], v[2:3], v[4:5]
	ds_load_b128 v[2:5], v1 offset:1424
	s_wait_loadcnt_dscnt 0x901
	v_mul_f64_e32 v[177:178], v[165:166], v[8:9]
	v_mul_f64_e32 v[8:9], v[167:168], v[8:9]
	scratch_load_b128 v[34:37], off, off offset:624
	ds_load_b128 v[173:176], v1 offset:1440
	s_wait_loadcnt_dscnt 0x901
	v_mul_f64_e32 v[183:184], v[2:3], v[12:13]
	v_mul_f64_e32 v[12:13], v[4:5], v[12:13]
	v_fma_f64 v[167:168], v[167:168], v[6:7], v[177:178]
	v_fma_f64 v[165:166], v[165:166], v[6:7], -v[8:9]
	v_add_f64_e32 v[177:178], 0, v[179:180]
	v_add_f64_e32 v[179:180], 0, v[181:182]
	scratch_load_b128 v[6:9], off, off offset:640
	v_fma_f64 v[183:184], v[4:5], v[10:11], v[183:184]
	v_fma_f64 v[185:186], v[2:3], v[10:11], -v[12:13]
	ds_load_b128 v[2:5], v1 offset:1456
	s_wait_loadcnt_dscnt 0x901
	v_mul_f64_e32 v[181:182], v[173:174], v[16:17]
	v_mul_f64_e32 v[16:17], v[175:176], v[16:17]
	scratch_load_b128 v[10:13], off, off offset:656
	v_add_f64_e32 v[177:178], v[177:178], v[165:166]
	v_add_f64_e32 v[179:180], v[179:180], v[167:168]
	s_wait_loadcnt_dscnt 0x900
	v_mul_f64_e32 v[187:188], v[2:3], v[20:21]
	v_mul_f64_e32 v[20:21], v[4:5], v[20:21]
	ds_load_b128 v[165:168], v1 offset:1472
	v_fma_f64 v[175:176], v[175:176], v[14:15], v[181:182]
	v_fma_f64 v[173:174], v[173:174], v[14:15], -v[16:17]
	scratch_load_b128 v[14:17], off, off offset:672
	v_add_f64_e32 v[177:178], v[177:178], v[185:186]
	v_add_f64_e32 v[179:180], v[179:180], v[183:184]
	v_fma_f64 v[183:184], v[4:5], v[18:19], v[187:188]
	v_fma_f64 v[185:186], v[2:3], v[18:19], -v[20:21]
	ds_load_b128 v[2:5], v1 offset:1488
	s_wait_loadcnt_dscnt 0x901
	v_mul_f64_e32 v[181:182], v[165:166], v[24:25]
	v_mul_f64_e32 v[24:25], v[167:168], v[24:25]
	scratch_load_b128 v[18:21], off, off offset:688
	s_wait_loadcnt_dscnt 0x900
	v_mul_f64_e32 v[187:188], v[2:3], v[28:29]
	v_mul_f64_e32 v[28:29], v[4:5], v[28:29]
	v_add_f64_e32 v[177:178], v[177:178], v[173:174]
	v_add_f64_e32 v[179:180], v[179:180], v[175:176]
	ds_load_b128 v[173:176], v1 offset:1504
	v_fma_f64 v[167:168], v[167:168], v[22:23], v[181:182]
	v_fma_f64 v[165:166], v[165:166], v[22:23], -v[24:25]
	scratch_load_b128 v[22:25], off, off offset:704
	v_add_f64_e32 v[177:178], v[177:178], v[185:186]
	v_add_f64_e32 v[179:180], v[179:180], v[183:184]
	v_fma_f64 v[183:184], v[4:5], v[26:27], v[187:188]
	v_fma_f64 v[185:186], v[2:3], v[26:27], -v[28:29]
	ds_load_b128 v[2:5], v1 offset:1520
	s_wait_loadcnt_dscnt 0x901
	v_mul_f64_e32 v[181:182], v[173:174], v[32:33]
	v_mul_f64_e32 v[32:33], v[175:176], v[32:33]
	scratch_load_b128 v[26:29], off, off offset:720
	s_wait_loadcnt_dscnt 0x900
	v_mul_f64_e32 v[187:188], v[2:3], v[40:41]
	v_mul_f64_e32 v[40:41], v[4:5], v[40:41]
	v_add_f64_e32 v[177:178], v[177:178], v[165:166]
	v_add_f64_e32 v[179:180], v[179:180], v[167:168]
	ds_load_b128 v[165:168], v1 offset:1536
	v_fma_f64 v[175:176], v[175:176], v[30:31], v[181:182]
	v_fma_f64 v[173:174], v[173:174], v[30:31], -v[32:33]
	scratch_load_b128 v[30:33], off, off offset:736
	v_add_f64_e32 v[177:178], v[177:178], v[185:186]
	v_add_f64_e32 v[179:180], v[179:180], v[183:184]
	v_fma_f64 v[185:186], v[4:5], v[38:39], v[187:188]
	v_fma_f64 v[187:188], v[2:3], v[38:39], -v[40:41]
	ds_load_b128 v[2:5], v1 offset:1552
	s_wait_loadcnt_dscnt 0x801
	v_mul_f64_e32 v[181:182], v[165:166], v[171:172]
	v_mul_f64_e32 v[183:184], v[167:168], v[171:172]
	scratch_load_b128 v[38:41], off, off offset:752
	v_add_f64_e32 v[177:178], v[177:178], v[173:174]
	v_add_f64_e32 v[175:176], v[179:180], v[175:176]
	ds_load_b128 v[171:174], v1 offset:1568
	v_fma_f64 v[181:182], v[167:168], v[169:170], v[181:182]
	v_fma_f64 v[169:170], v[165:166], v[169:170], -v[183:184]
	scratch_load_b128 v[165:168], off, off offset:768
	s_wait_loadcnt_dscnt 0x901
	v_mul_f64_e32 v[179:180], v[2:3], v[36:37]
	v_mul_f64_e32 v[36:37], v[4:5], v[36:37]
	v_add_f64_e32 v[177:178], v[177:178], v[187:188]
	v_add_f64_e32 v[175:176], v[175:176], v[185:186]
	s_delay_alu instid0(VALU_DEP_4) | instskip(NEXT) | instid1(VALU_DEP_4)
	v_fma_f64 v[179:180], v[4:5], v[34:35], v[179:180]
	v_fma_f64 v[185:186], v[2:3], v[34:35], -v[36:37]
	ds_load_b128 v[2:5], v1 offset:1584
	s_wait_loadcnt_dscnt 0x801
	v_mul_f64_e32 v[183:184], v[171:172], v[8:9]
	v_mul_f64_e32 v[8:9], v[173:174], v[8:9]
	scratch_load_b128 v[34:37], off, off offset:784
	s_wait_loadcnt_dscnt 0x800
	v_mul_f64_e32 v[187:188], v[2:3], v[12:13]
	v_add_f64_e32 v[169:170], v[177:178], v[169:170]
	v_add_f64_e32 v[181:182], v[175:176], v[181:182]
	v_mul_f64_e32 v[12:13], v[4:5], v[12:13]
	ds_load_b128 v[175:178], v1 offset:1600
	v_fma_f64 v[173:174], v[173:174], v[6:7], v[183:184]
	v_fma_f64 v[171:172], v[171:172], v[6:7], -v[8:9]
	scratch_load_b128 v[6:9], off, off offset:800
	v_fma_f64 v[183:184], v[4:5], v[10:11], v[187:188]
	v_add_f64_e32 v[169:170], v[169:170], v[185:186]
	v_add_f64_e32 v[179:180], v[181:182], v[179:180]
	v_fma_f64 v[185:186], v[2:3], v[10:11], -v[12:13]
	ds_load_b128 v[2:5], v1 offset:1616
	s_wait_loadcnt_dscnt 0x801
	v_mul_f64_e32 v[181:182], v[175:176], v[16:17]
	v_mul_f64_e32 v[16:17], v[177:178], v[16:17]
	scratch_load_b128 v[10:13], off, off offset:816
	v_add_f64_e32 v[187:188], v[169:170], v[171:172]
	v_add_f64_e32 v[173:174], v[179:180], v[173:174]
	s_wait_loadcnt_dscnt 0x800
	v_mul_f64_e32 v[179:180], v[2:3], v[20:21]
	v_mul_f64_e32 v[20:21], v[4:5], v[20:21]
	v_fma_f64 v[177:178], v[177:178], v[14:15], v[181:182]
	v_fma_f64 v[175:176], v[175:176], v[14:15], -v[16:17]
	ds_load_b128 v[169:172], v1 offset:1632
	scratch_load_b128 v[14:17], off, off offset:832
	v_add_f64_e32 v[181:182], v[187:188], v[185:186]
	v_add_f64_e32 v[173:174], v[173:174], v[183:184]
	v_fma_f64 v[179:180], v[4:5], v[18:19], v[179:180]
	v_fma_f64 v[185:186], v[2:3], v[18:19], -v[20:21]
	ds_load_b128 v[2:5], v1 offset:1648
	s_wait_loadcnt_dscnt 0x801
	v_mul_f64_e32 v[183:184], v[169:170], v[24:25]
	v_mul_f64_e32 v[24:25], v[171:172], v[24:25]
	scratch_load_b128 v[18:21], off, off offset:848
	s_wait_loadcnt_dscnt 0x800
	v_mul_f64_e32 v[187:188], v[2:3], v[28:29]
	v_mul_f64_e32 v[28:29], v[4:5], v[28:29]
	v_add_f64_e32 v[181:182], v[181:182], v[175:176]
	v_add_f64_e32 v[177:178], v[173:174], v[177:178]
	ds_load_b128 v[173:176], v1 offset:1664
	v_fma_f64 v[171:172], v[171:172], v[22:23], v[183:184]
	v_fma_f64 v[169:170], v[169:170], v[22:23], -v[24:25]
	scratch_load_b128 v[22:25], off, off offset:864
	v_fma_f64 v[183:184], v[4:5], v[26:27], v[187:188]
	v_add_f64_e32 v[181:182], v[181:182], v[185:186]
	v_add_f64_e32 v[177:178], v[177:178], v[179:180]
	v_fma_f64 v[185:186], v[2:3], v[26:27], -v[28:29]
	ds_load_b128 v[2:5], v1 offset:1680
	s_wait_loadcnt_dscnt 0x801
	v_mul_f64_e32 v[179:180], v[173:174], v[32:33]
	v_mul_f64_e32 v[32:33], v[175:176], v[32:33]
	scratch_load_b128 v[26:29], off, off offset:880
	s_wait_loadcnt_dscnt 0x800
	v_mul_f64_e32 v[187:188], v[2:3], v[40:41]
	v_mul_f64_e32 v[40:41], v[4:5], v[40:41]
	v_add_f64_e32 v[181:182], v[181:182], v[169:170]
	v_add_f64_e32 v[177:178], v[177:178], v[171:172]
	ds_load_b128 v[169:172], v1 offset:1696
	v_fma_f64 v[175:176], v[175:176], v[30:31], v[179:180]
	v_fma_f64 v[173:174], v[173:174], v[30:31], -v[32:33]
	scratch_load_b128 v[30:33], off, off offset:896
	v_add_f64_e32 v[179:180], v[181:182], v[185:186]
	v_add_f64_e32 v[177:178], v[177:178], v[183:184]
	v_fma_f64 v[183:184], v[4:5], v[38:39], v[187:188]
	v_fma_f64 v[185:186], v[2:3], v[38:39], -v[40:41]
	ds_load_b128 v[2:5], v1 offset:1712
	s_wait_loadcnt_dscnt 0x801
	v_mul_f64_e32 v[181:182], v[169:170], v[167:168]
	v_mul_f64_e32 v[167:168], v[171:172], v[167:168]
	scratch_load_b128 v[38:41], off, off offset:912
	s_wait_loadcnt_dscnt 0x800
	v_mul_f64_e32 v[187:188], v[2:3], v[36:37]
	v_mul_f64_e32 v[36:37], v[4:5], v[36:37]
	v_add_f64_e32 v[179:180], v[179:180], v[173:174]
	v_add_f64_e32 v[177:178], v[177:178], v[175:176]
	ds_load_b128 v[173:176], v1 offset:1728
	v_fma_f64 v[171:172], v[171:172], v[165:166], v[181:182]
	v_fma_f64 v[169:170], v[169:170], v[165:166], -v[167:168]
	scratch_load_b128 v[165:168], off, off offset:928
	v_add_f64_e32 v[179:180], v[179:180], v[185:186]
	v_add_f64_e32 v[177:178], v[177:178], v[183:184]
	v_fma_f64 v[183:184], v[4:5], v[34:35], v[187:188]
	v_fma_f64 v[185:186], v[2:3], v[34:35], -v[36:37]
	ds_load_b128 v[2:5], v1 offset:1744
	s_wait_loadcnt_dscnt 0x801
	v_mul_f64_e32 v[181:182], v[173:174], v[8:9]
	v_mul_f64_e32 v[8:9], v[175:176], v[8:9]
	scratch_load_b128 v[34:37], off, off offset:944
	s_wait_loadcnt_dscnt 0x800
	v_mul_f64_e32 v[187:188], v[2:3], v[12:13]
	v_mul_f64_e32 v[12:13], v[4:5], v[12:13]
	v_add_f64_e32 v[179:180], v[179:180], v[169:170]
	v_add_f64_e32 v[177:178], v[177:178], v[171:172]
	ds_load_b128 v[169:172], v1 offset:1760
	v_fma_f64 v[175:176], v[175:176], v[6:7], v[181:182]
	v_fma_f64 v[6:7], v[173:174], v[6:7], -v[8:9]
	v_add_f64_e32 v[8:9], v[179:180], v[185:186]
	v_add_f64_e32 v[173:174], v[177:178], v[183:184]
	s_wait_loadcnt_dscnt 0x700
	v_mul_f64_e32 v[177:178], v[169:170], v[16:17]
	v_mul_f64_e32 v[16:17], v[171:172], v[16:17]
	v_fma_f64 v[179:180], v[4:5], v[10:11], v[187:188]
	v_fma_f64 v[10:11], v[2:3], v[10:11], -v[12:13]
	v_add_f64_e32 v[12:13], v[8:9], v[6:7]
	v_add_f64_e32 v[173:174], v[173:174], v[175:176]
	ds_load_b128 v[2:5], v1 offset:1776
	ds_load_b128 v[6:9], v1 offset:1792
	v_fma_f64 v[171:172], v[171:172], v[14:15], v[177:178]
	v_fma_f64 v[14:15], v[169:170], v[14:15], -v[16:17]
	s_wait_loadcnt_dscnt 0x601
	v_mul_f64_e32 v[175:176], v[2:3], v[20:21]
	v_mul_f64_e32 v[20:21], v[4:5], v[20:21]
	s_wait_loadcnt_dscnt 0x500
	v_mul_f64_e32 v[16:17], v[6:7], v[24:25]
	v_mul_f64_e32 v[24:25], v[8:9], v[24:25]
	v_add_f64_e32 v[10:11], v[12:13], v[10:11]
	v_add_f64_e32 v[12:13], v[173:174], v[179:180]
	v_fma_f64 v[169:170], v[4:5], v[18:19], v[175:176]
	v_fma_f64 v[18:19], v[2:3], v[18:19], -v[20:21]
	v_fma_f64 v[8:9], v[8:9], v[22:23], v[16:17]
	v_fma_f64 v[6:7], v[6:7], v[22:23], -v[24:25]
	v_add_f64_e32 v[14:15], v[10:11], v[14:15]
	v_add_f64_e32 v[20:21], v[12:13], v[171:172]
	ds_load_b128 v[2:5], v1 offset:1808
	ds_load_b128 v[10:13], v1 offset:1824
	s_wait_loadcnt_dscnt 0x401
	v_mul_f64_e32 v[171:172], v[2:3], v[28:29]
	v_mul_f64_e32 v[28:29], v[4:5], v[28:29]
	v_add_f64_e32 v[14:15], v[14:15], v[18:19]
	v_add_f64_e32 v[16:17], v[20:21], v[169:170]
	s_wait_loadcnt_dscnt 0x300
	v_mul_f64_e32 v[18:19], v[10:11], v[32:33]
	v_mul_f64_e32 v[20:21], v[12:13], v[32:33]
	v_fma_f64 v[22:23], v[4:5], v[26:27], v[171:172]
	v_fma_f64 v[24:25], v[2:3], v[26:27], -v[28:29]
	v_add_f64_e32 v[14:15], v[14:15], v[6:7]
	v_add_f64_e32 v[16:17], v[16:17], v[8:9]
	ds_load_b128 v[2:5], v1 offset:1840
	ds_load_b128 v[6:9], v1 offset:1856
	v_fma_f64 v[12:13], v[12:13], v[30:31], v[18:19]
	v_fma_f64 v[10:11], v[10:11], v[30:31], -v[20:21]
	s_wait_loadcnt_dscnt 0x201
	v_mul_f64_e32 v[26:27], v[2:3], v[40:41]
	v_mul_f64_e32 v[28:29], v[4:5], v[40:41]
	s_wait_loadcnt_dscnt 0x100
	v_mul_f64_e32 v[18:19], v[6:7], v[167:168]
	v_mul_f64_e32 v[20:21], v[8:9], v[167:168]
	v_add_f64_e32 v[14:15], v[14:15], v[24:25]
	v_add_f64_e32 v[16:17], v[16:17], v[22:23]
	v_fma_f64 v[22:23], v[4:5], v[38:39], v[26:27]
	v_fma_f64 v[24:25], v[2:3], v[38:39], -v[28:29]
	ds_load_b128 v[2:5], v1 offset:1872
	v_fma_f64 v[8:9], v[8:9], v[165:166], v[18:19]
	v_fma_f64 v[6:7], v[6:7], v[165:166], -v[20:21]
	v_add_f64_e32 v[10:11], v[14:15], v[10:11]
	v_add_f64_e32 v[12:13], v[16:17], v[12:13]
	s_wait_loadcnt_dscnt 0x0
	v_mul_f64_e32 v[14:15], v[2:3], v[36:37]
	v_mul_f64_e32 v[16:17], v[4:5], v[36:37]
	s_delay_alu instid0(VALU_DEP_4) | instskip(NEXT) | instid1(VALU_DEP_4)
	v_add_f64_e32 v[10:11], v[10:11], v[24:25]
	v_add_f64_e32 v[12:13], v[12:13], v[22:23]
	s_delay_alu instid0(VALU_DEP_4) | instskip(NEXT) | instid1(VALU_DEP_4)
	v_fma_f64 v[4:5], v[4:5], v[34:35], v[14:15]
	v_fma_f64 v[2:3], v[2:3], v[34:35], -v[16:17]
	s_delay_alu instid0(VALU_DEP_4) | instskip(NEXT) | instid1(VALU_DEP_4)
	v_add_f64_e32 v[6:7], v[10:11], v[6:7]
	v_add_f64_e32 v[8:9], v[12:13], v[8:9]
	s_delay_alu instid0(VALU_DEP_2) | instskip(NEXT) | instid1(VALU_DEP_2)
	v_add_f64_e32 v[2:3], v[6:7], v[2:3]
	v_add_f64_e32 v[4:5], v[8:9], v[4:5]
	s_delay_alu instid0(VALU_DEP_2) | instskip(NEXT) | instid1(VALU_DEP_2)
	v_add_f64_e64 v[2:3], v[42:43], -v[2:3]
	v_add_f64_e64 v[4:5], v[44:45], -v[4:5]
	scratch_store_b128 off, v[2:5], off offset:448
	v_cmpx_lt_u32_e32 26, v0
	s_cbranch_execz .LBB58_315
; %bb.314:
	scratch_load_b128 v[5:8], off, s46
	v_dual_mov_b32 v2, v1 :: v_dual_mov_b32 v3, v1
	v_mov_b32_e32 v4, v1
	scratch_store_b128 off, v[1:4], off offset:432
	s_wait_loadcnt 0x0
	ds_store_b128 v164, v[5:8]
.LBB58_315:
	s_wait_alu 0xfffe
	s_or_b32 exec_lo, exec_lo, s0
	s_wait_storecnt_dscnt 0x0
	s_barrier_signal -1
	s_barrier_wait -1
	global_inv scope:SCOPE_SE
	s_clause 0x8
	scratch_load_b128 v[2:5], off, off offset:448
	scratch_load_b128 v[6:9], off, off offset:464
	;; [unrolled: 1-line block ×9, first 2 shown]
	ds_load_b128 v[38:41], v1 offset:1376
	ds_load_b128 v[42:45], v1 offset:1392
	s_clause 0x1
	scratch_load_b128 v[165:168], off, off offset:432
	scratch_load_b128 v[169:172], off, off offset:592
	s_mov_b32 s0, exec_lo
	s_wait_loadcnt_dscnt 0xa01
	v_mul_f64_e32 v[173:174], v[40:41], v[4:5]
	v_mul_f64_e32 v[4:5], v[38:39], v[4:5]
	s_wait_loadcnt_dscnt 0x900
	v_mul_f64_e32 v[177:178], v[42:43], v[8:9]
	v_mul_f64_e32 v[8:9], v[44:45], v[8:9]
	s_delay_alu instid0(VALU_DEP_4) | instskip(NEXT) | instid1(VALU_DEP_4)
	v_fma_f64 v[179:180], v[38:39], v[2:3], -v[173:174]
	v_fma_f64 v[181:182], v[40:41], v[2:3], v[4:5]
	ds_load_b128 v[2:5], v1 offset:1408
	ds_load_b128 v[173:176], v1 offset:1424
	scratch_load_b128 v[38:41], off, off offset:608
	v_fma_f64 v[44:45], v[44:45], v[6:7], v[177:178]
	v_fma_f64 v[42:43], v[42:43], v[6:7], -v[8:9]
	scratch_load_b128 v[6:9], off, off offset:624
	s_wait_loadcnt_dscnt 0xa01
	v_mul_f64_e32 v[183:184], v[2:3], v[12:13]
	v_mul_f64_e32 v[12:13], v[4:5], v[12:13]
	v_add_f64_e32 v[177:178], 0, v[179:180]
	v_add_f64_e32 v[179:180], 0, v[181:182]
	s_wait_loadcnt_dscnt 0x900
	v_mul_f64_e32 v[181:182], v[173:174], v[16:17]
	v_mul_f64_e32 v[16:17], v[175:176], v[16:17]
	v_fma_f64 v[183:184], v[4:5], v[10:11], v[183:184]
	v_fma_f64 v[185:186], v[2:3], v[10:11], -v[12:13]
	ds_load_b128 v[2:5], v1 offset:1440
	scratch_load_b128 v[10:13], off, off offset:640
	v_add_f64_e32 v[177:178], v[177:178], v[42:43]
	v_add_f64_e32 v[179:180], v[179:180], v[44:45]
	ds_load_b128 v[42:45], v1 offset:1456
	v_fma_f64 v[175:176], v[175:176], v[14:15], v[181:182]
	v_fma_f64 v[173:174], v[173:174], v[14:15], -v[16:17]
	scratch_load_b128 v[14:17], off, off offset:656
	s_wait_loadcnt_dscnt 0xa01
	v_mul_f64_e32 v[187:188], v[2:3], v[20:21]
	v_mul_f64_e32 v[20:21], v[4:5], v[20:21]
	s_wait_loadcnt_dscnt 0x900
	v_mul_f64_e32 v[181:182], v[42:43], v[24:25]
	v_mul_f64_e32 v[24:25], v[44:45], v[24:25]
	v_add_f64_e32 v[177:178], v[177:178], v[185:186]
	v_add_f64_e32 v[179:180], v[179:180], v[183:184]
	v_fma_f64 v[183:184], v[4:5], v[18:19], v[187:188]
	v_fma_f64 v[185:186], v[2:3], v[18:19], -v[20:21]
	ds_load_b128 v[2:5], v1 offset:1472
	scratch_load_b128 v[18:21], off, off offset:672
	v_fma_f64 v[44:45], v[44:45], v[22:23], v[181:182]
	v_fma_f64 v[42:43], v[42:43], v[22:23], -v[24:25]
	scratch_load_b128 v[22:25], off, off offset:688
	v_add_f64_e32 v[177:178], v[177:178], v[173:174]
	v_add_f64_e32 v[179:180], v[179:180], v[175:176]
	ds_load_b128 v[173:176], v1 offset:1488
	s_wait_loadcnt_dscnt 0xa01
	v_mul_f64_e32 v[187:188], v[2:3], v[28:29]
	v_mul_f64_e32 v[28:29], v[4:5], v[28:29]
	s_wait_loadcnt_dscnt 0x900
	v_mul_f64_e32 v[181:182], v[173:174], v[32:33]
	v_mul_f64_e32 v[32:33], v[175:176], v[32:33]
	v_add_f64_e32 v[177:178], v[177:178], v[185:186]
	v_add_f64_e32 v[179:180], v[179:180], v[183:184]
	v_fma_f64 v[183:184], v[4:5], v[26:27], v[187:188]
	v_fma_f64 v[185:186], v[2:3], v[26:27], -v[28:29]
	ds_load_b128 v[2:5], v1 offset:1504
	scratch_load_b128 v[26:29], off, off offset:704
	v_fma_f64 v[175:176], v[175:176], v[30:31], v[181:182]
	v_fma_f64 v[173:174], v[173:174], v[30:31], -v[32:33]
	scratch_load_b128 v[30:33], off, off offset:720
	v_add_f64_e32 v[177:178], v[177:178], v[42:43]
	v_add_f64_e32 v[179:180], v[179:180], v[44:45]
	ds_load_b128 v[42:45], v1 offset:1520
	s_wait_loadcnt_dscnt 0xa01
	v_mul_f64_e32 v[187:188], v[2:3], v[36:37]
	v_mul_f64_e32 v[36:37], v[4:5], v[36:37]
	s_wait_loadcnt_dscnt 0x800
	v_mul_f64_e32 v[181:182], v[42:43], v[171:172]
	v_add_f64_e32 v[177:178], v[177:178], v[185:186]
	v_add_f64_e32 v[179:180], v[179:180], v[183:184]
	v_mul_f64_e32 v[183:184], v[44:45], v[171:172]
	v_fma_f64 v[185:186], v[4:5], v[34:35], v[187:188]
	v_fma_f64 v[187:188], v[2:3], v[34:35], -v[36:37]
	ds_load_b128 v[2:5], v1 offset:1536
	scratch_load_b128 v[34:37], off, off offset:736
	v_fma_f64 v[44:45], v[44:45], v[169:170], v[181:182]
	v_add_f64_e32 v[177:178], v[177:178], v[173:174]
	v_add_f64_e32 v[175:176], v[179:180], v[175:176]
	ds_load_b128 v[171:174], v1 offset:1552
	v_fma_f64 v[169:170], v[42:43], v[169:170], -v[183:184]
	s_wait_loadcnt_dscnt 0x801
	v_mul_f64_e32 v[179:180], v[2:3], v[40:41]
	v_mul_f64_e32 v[189:190], v[4:5], v[40:41]
	scratch_load_b128 v[40:43], off, off offset:752
	s_wait_loadcnt_dscnt 0x800
	v_mul_f64_e32 v[183:184], v[171:172], v[8:9]
	v_mul_f64_e32 v[8:9], v[173:174], v[8:9]
	v_add_f64_e32 v[177:178], v[177:178], v[187:188]
	v_add_f64_e32 v[175:176], v[175:176], v[185:186]
	v_fma_f64 v[185:186], v[4:5], v[38:39], v[179:180]
	v_fma_f64 v[38:39], v[2:3], v[38:39], -v[189:190]
	ds_load_b128 v[2:5], v1 offset:1568
	ds_load_b128 v[179:182], v1 offset:1584
	v_fma_f64 v[173:174], v[173:174], v[6:7], v[183:184]
	v_fma_f64 v[171:172], v[171:172], v[6:7], -v[8:9]
	scratch_load_b128 v[6:9], off, off offset:784
	v_add_f64_e32 v[169:170], v[177:178], v[169:170]
	v_add_f64_e32 v[44:45], v[175:176], v[44:45]
	scratch_load_b128 v[175:178], off, off offset:768
	s_wait_loadcnt_dscnt 0x901
	v_mul_f64_e32 v[187:188], v[2:3], v[12:13]
	v_mul_f64_e32 v[12:13], v[4:5], v[12:13]
	s_wait_loadcnt_dscnt 0x800
	v_mul_f64_e32 v[183:184], v[179:180], v[16:17]
	v_mul_f64_e32 v[16:17], v[181:182], v[16:17]
	v_add_f64_e32 v[38:39], v[169:170], v[38:39]
	v_add_f64_e32 v[44:45], v[44:45], v[185:186]
	v_fma_f64 v[185:186], v[4:5], v[10:11], v[187:188]
	v_fma_f64 v[187:188], v[2:3], v[10:11], -v[12:13]
	ds_load_b128 v[2:5], v1 offset:1600
	scratch_load_b128 v[10:13], off, off offset:800
	v_fma_f64 v[181:182], v[181:182], v[14:15], v[183:184]
	v_fma_f64 v[179:180], v[179:180], v[14:15], -v[16:17]
	scratch_load_b128 v[14:17], off, off offset:816
	v_add_f64_e32 v[38:39], v[38:39], v[171:172]
	v_add_f64_e32 v[44:45], v[44:45], v[173:174]
	ds_load_b128 v[169:172], v1 offset:1616
	s_wait_loadcnt_dscnt 0x901
	v_mul_f64_e32 v[173:174], v[2:3], v[20:21]
	v_mul_f64_e32 v[20:21], v[4:5], v[20:21]
	s_wait_loadcnt_dscnt 0x800
	v_mul_f64_e32 v[183:184], v[169:170], v[24:25]
	v_mul_f64_e32 v[24:25], v[171:172], v[24:25]
	v_add_f64_e32 v[38:39], v[38:39], v[187:188]
	v_add_f64_e32 v[44:45], v[44:45], v[185:186]
	v_fma_f64 v[173:174], v[4:5], v[18:19], v[173:174]
	v_fma_f64 v[185:186], v[2:3], v[18:19], -v[20:21]
	ds_load_b128 v[2:5], v1 offset:1632
	scratch_load_b128 v[18:21], off, off offset:832
	v_fma_f64 v[171:172], v[171:172], v[22:23], v[183:184]
	v_fma_f64 v[169:170], v[169:170], v[22:23], -v[24:25]
	scratch_load_b128 v[22:25], off, off offset:848
	v_add_f64_e32 v[38:39], v[38:39], v[179:180]
	v_add_f64_e32 v[44:45], v[44:45], v[181:182]
	ds_load_b128 v[179:182], v1 offset:1648
	s_wait_loadcnt_dscnt 0x901
	v_mul_f64_e32 v[187:188], v[2:3], v[28:29]
	v_mul_f64_e32 v[28:29], v[4:5], v[28:29]
	v_add_f64_e32 v[38:39], v[38:39], v[185:186]
	v_add_f64_e32 v[44:45], v[44:45], v[173:174]
	s_wait_loadcnt_dscnt 0x800
	v_mul_f64_e32 v[173:174], v[179:180], v[32:33]
	v_mul_f64_e32 v[32:33], v[181:182], v[32:33]
	v_fma_f64 v[183:184], v[4:5], v[26:27], v[187:188]
	v_fma_f64 v[185:186], v[2:3], v[26:27], -v[28:29]
	ds_load_b128 v[2:5], v1 offset:1664
	scratch_load_b128 v[26:29], off, off offset:864
	v_add_f64_e32 v[38:39], v[38:39], v[169:170]
	v_add_f64_e32 v[44:45], v[44:45], v[171:172]
	ds_load_b128 v[169:172], v1 offset:1680
	s_wait_loadcnt_dscnt 0x801
	v_mul_f64_e32 v[187:188], v[2:3], v[36:37]
	v_mul_f64_e32 v[36:37], v[4:5], v[36:37]
	v_fma_f64 v[173:174], v[181:182], v[30:31], v[173:174]
	v_fma_f64 v[179:180], v[179:180], v[30:31], -v[32:33]
	scratch_load_b128 v[30:33], off, off offset:880
	s_wait_loadcnt_dscnt 0x800
	v_mul_f64_e32 v[181:182], v[169:170], v[42:43]
	v_add_f64_e32 v[38:39], v[38:39], v[185:186]
	v_add_f64_e32 v[44:45], v[44:45], v[183:184]
	v_mul_f64_e32 v[183:184], v[171:172], v[42:43]
	v_fma_f64 v[185:186], v[4:5], v[34:35], v[187:188]
	v_fma_f64 v[187:188], v[2:3], v[34:35], -v[36:37]
	ds_load_b128 v[2:5], v1 offset:1696
	scratch_load_b128 v[34:37], off, off offset:896
	v_fma_f64 v[171:172], v[171:172], v[40:41], v[181:182]
	v_add_f64_e32 v[38:39], v[38:39], v[179:180]
	v_add_f64_e32 v[173:174], v[44:45], v[173:174]
	ds_load_b128 v[42:45], v1 offset:1712
	v_fma_f64 v[169:170], v[169:170], v[40:41], -v[183:184]
	s_wait_loadcnt_dscnt 0x701
	v_mul_f64_e32 v[179:180], v[2:3], v[177:178]
	v_mul_f64_e32 v[177:178], v[4:5], v[177:178]
	s_wait_dscnt 0x0
	v_mul_f64_e32 v[183:184], v[42:43], v[8:9]
	v_mul_f64_e32 v[8:9], v[44:45], v[8:9]
	v_add_f64_e32 v[181:182], v[38:39], v[187:188]
	v_add_f64_e32 v[173:174], v[173:174], v[185:186]
	scratch_load_b128 v[38:41], off, off offset:912
	v_fma_f64 v[179:180], v[4:5], v[175:176], v[179:180]
	v_fma_f64 v[177:178], v[2:3], v[175:176], -v[177:178]
	ds_load_b128 v[2:5], v1 offset:1728
	v_fma_f64 v[44:45], v[44:45], v[6:7], v[183:184]
	v_fma_f64 v[42:43], v[42:43], v[6:7], -v[8:9]
	scratch_load_b128 v[6:9], off, off offset:944
	v_add_f64_e32 v[181:182], v[181:182], v[169:170]
	v_add_f64_e32 v[185:186], v[173:174], v[171:172]
	scratch_load_b128 v[169:172], off, off offset:928
	ds_load_b128 v[173:176], v1 offset:1744
	s_wait_loadcnt_dscnt 0x901
	v_mul_f64_e32 v[187:188], v[2:3], v[12:13]
	v_mul_f64_e32 v[12:13], v[4:5], v[12:13]
	v_add_f64_e32 v[177:178], v[181:182], v[177:178]
	v_add_f64_e32 v[179:180], v[185:186], v[179:180]
	s_wait_loadcnt_dscnt 0x800
	v_mul_f64_e32 v[181:182], v[173:174], v[16:17]
	v_mul_f64_e32 v[16:17], v[175:176], v[16:17]
	v_fma_f64 v[183:184], v[4:5], v[10:11], v[187:188]
	v_fma_f64 v[185:186], v[2:3], v[10:11], -v[12:13]
	ds_load_b128 v[2:5], v1 offset:1760
	ds_load_b128 v[10:13], v1 offset:1776
	v_add_f64_e32 v[42:43], v[177:178], v[42:43]
	v_add_f64_e32 v[44:45], v[179:180], v[44:45]
	s_wait_loadcnt_dscnt 0x701
	v_mul_f64_e32 v[177:178], v[2:3], v[20:21]
	v_mul_f64_e32 v[20:21], v[4:5], v[20:21]
	v_fma_f64 v[175:176], v[175:176], v[14:15], v[181:182]
	v_fma_f64 v[14:15], v[173:174], v[14:15], -v[16:17]
	v_add_f64_e32 v[16:17], v[42:43], v[185:186]
	v_add_f64_e32 v[42:43], v[44:45], v[183:184]
	s_wait_loadcnt_dscnt 0x600
	v_mul_f64_e32 v[44:45], v[10:11], v[24:25]
	v_mul_f64_e32 v[24:25], v[12:13], v[24:25]
	v_fma_f64 v[173:174], v[4:5], v[18:19], v[177:178]
	v_fma_f64 v[18:19], v[2:3], v[18:19], -v[20:21]
	v_add_f64_e32 v[20:21], v[16:17], v[14:15]
	v_add_f64_e32 v[42:43], v[42:43], v[175:176]
	ds_load_b128 v[2:5], v1 offset:1792
	ds_load_b128 v[14:17], v1 offset:1808
	v_fma_f64 v[12:13], v[12:13], v[22:23], v[44:45]
	v_fma_f64 v[10:11], v[10:11], v[22:23], -v[24:25]
	s_wait_loadcnt_dscnt 0x501
	v_mul_f64_e32 v[175:176], v[2:3], v[28:29]
	v_mul_f64_e32 v[28:29], v[4:5], v[28:29]
	s_wait_loadcnt_dscnt 0x400
	v_mul_f64_e32 v[22:23], v[14:15], v[32:33]
	v_mul_f64_e32 v[24:25], v[16:17], v[32:33]
	v_add_f64_e32 v[18:19], v[20:21], v[18:19]
	v_add_f64_e32 v[20:21], v[42:43], v[173:174]
	v_fma_f64 v[32:33], v[4:5], v[26:27], v[175:176]
	v_fma_f64 v[26:27], v[2:3], v[26:27], -v[28:29]
	v_fma_f64 v[16:17], v[16:17], v[30:31], v[22:23]
	v_fma_f64 v[14:15], v[14:15], v[30:31], -v[24:25]
	v_add_f64_e32 v[18:19], v[18:19], v[10:11]
	v_add_f64_e32 v[20:21], v[20:21], v[12:13]
	ds_load_b128 v[2:5], v1 offset:1824
	ds_load_b128 v[10:13], v1 offset:1840
	s_wait_loadcnt_dscnt 0x301
	v_mul_f64_e32 v[28:29], v[2:3], v[36:37]
	v_mul_f64_e32 v[36:37], v[4:5], v[36:37]
	v_add_f64_e32 v[18:19], v[18:19], v[26:27]
	v_add_f64_e32 v[20:21], v[20:21], v[32:33]
	s_wait_loadcnt_dscnt 0x200
	v_mul_f64_e32 v[22:23], v[10:11], v[40:41]
	v_mul_f64_e32 v[24:25], v[12:13], v[40:41]
	v_fma_f64 v[26:27], v[4:5], v[34:35], v[28:29]
	v_fma_f64 v[28:29], v[2:3], v[34:35], -v[36:37]
	v_add_f64_e32 v[18:19], v[18:19], v[14:15]
	v_add_f64_e32 v[20:21], v[20:21], v[16:17]
	ds_load_b128 v[2:5], v1 offset:1856
	ds_load_b128 v[14:17], v1 offset:1872
	v_fma_f64 v[12:13], v[12:13], v[38:39], v[22:23]
	v_fma_f64 v[10:11], v[10:11], v[38:39], -v[24:25]
	s_wait_loadcnt_dscnt 0x1
	v_mul_f64_e32 v[30:31], v[2:3], v[171:172]
	v_mul_f64_e32 v[32:33], v[4:5], v[171:172]
	s_wait_dscnt 0x0
	v_mul_f64_e32 v[22:23], v[14:15], v[8:9]
	v_mul_f64_e32 v[8:9], v[16:17], v[8:9]
	v_add_f64_e32 v[18:19], v[18:19], v[28:29]
	v_add_f64_e32 v[20:21], v[20:21], v[26:27]
	v_fma_f64 v[4:5], v[4:5], v[169:170], v[30:31]
	v_fma_f64 v[1:2], v[2:3], v[169:170], -v[32:33]
	v_fma_f64 v[16:17], v[16:17], v[6:7], v[22:23]
	v_fma_f64 v[6:7], v[14:15], v[6:7], -v[8:9]
	v_add_f64_e32 v[10:11], v[18:19], v[10:11]
	v_add_f64_e32 v[12:13], v[20:21], v[12:13]
	s_delay_alu instid0(VALU_DEP_2) | instskip(NEXT) | instid1(VALU_DEP_2)
	v_add_f64_e32 v[1:2], v[10:11], v[1:2]
	v_add_f64_e32 v[3:4], v[12:13], v[4:5]
	s_delay_alu instid0(VALU_DEP_2) | instskip(NEXT) | instid1(VALU_DEP_2)
	;; [unrolled: 3-line block ×3, first 2 shown]
	v_add_f64_e64 v[1:2], v[165:166], -v[1:2]
	v_add_f64_e64 v[3:4], v[167:168], -v[3:4]
	scratch_store_b128 off, v[1:4], off offset:432
	v_cmpx_lt_u32_e32 25, v0
	s_cbranch_execz .LBB58_317
; %bb.316:
	scratch_load_b128 v[1:4], off, s47
	v_mov_b32_e32 v5, 0
	s_delay_alu instid0(VALU_DEP_1)
	v_dual_mov_b32 v6, v5 :: v_dual_mov_b32 v7, v5
	v_mov_b32_e32 v8, v5
	scratch_store_b128 off, v[5:8], off offset:416
	s_wait_loadcnt 0x0
	ds_store_b128 v164, v[1:4]
.LBB58_317:
	s_wait_alu 0xfffe
	s_or_b32 exec_lo, exec_lo, s0
	s_wait_storecnt_dscnt 0x0
	s_barrier_signal -1
	s_barrier_wait -1
	global_inv scope:SCOPE_SE
	s_clause 0x7
	scratch_load_b128 v[2:5], off, off offset:432
	scratch_load_b128 v[6:9], off, off offset:448
	;; [unrolled: 1-line block ×8, first 2 shown]
	v_mov_b32_e32 v1, 0
	s_mov_b32 s0, exec_lo
	ds_load_b128 v[34:37], v1 offset:1360
	s_clause 0x1
	scratch_load_b128 v[38:41], off, off offset:560
	scratch_load_b128 v[42:45], off, off offset:416
	ds_load_b128 v[165:168], v1 offset:1376
	scratch_load_b128 v[169:172], off, off offset:576
	s_wait_loadcnt_dscnt 0xa01
	v_mul_f64_e32 v[173:174], v[36:37], v[4:5]
	v_mul_f64_e32 v[4:5], v[34:35], v[4:5]
	s_delay_alu instid0(VALU_DEP_2) | instskip(NEXT) | instid1(VALU_DEP_2)
	v_fma_f64 v[179:180], v[34:35], v[2:3], -v[173:174]
	v_fma_f64 v[181:182], v[36:37], v[2:3], v[4:5]
	ds_load_b128 v[2:5], v1 offset:1392
	s_wait_loadcnt_dscnt 0x901
	v_mul_f64_e32 v[177:178], v[165:166], v[8:9]
	v_mul_f64_e32 v[8:9], v[167:168], v[8:9]
	scratch_load_b128 v[34:37], off, off offset:592
	ds_load_b128 v[173:176], v1 offset:1408
	s_wait_loadcnt_dscnt 0x901
	v_mul_f64_e32 v[183:184], v[2:3], v[12:13]
	v_mul_f64_e32 v[12:13], v[4:5], v[12:13]
	v_fma_f64 v[167:168], v[167:168], v[6:7], v[177:178]
	v_fma_f64 v[165:166], v[165:166], v[6:7], -v[8:9]
	v_add_f64_e32 v[177:178], 0, v[179:180]
	v_add_f64_e32 v[179:180], 0, v[181:182]
	scratch_load_b128 v[6:9], off, off offset:608
	v_fma_f64 v[183:184], v[4:5], v[10:11], v[183:184]
	v_fma_f64 v[185:186], v[2:3], v[10:11], -v[12:13]
	ds_load_b128 v[2:5], v1 offset:1424
	s_wait_loadcnt_dscnt 0x901
	v_mul_f64_e32 v[181:182], v[173:174], v[16:17]
	v_mul_f64_e32 v[16:17], v[175:176], v[16:17]
	scratch_load_b128 v[10:13], off, off offset:624
	v_add_f64_e32 v[177:178], v[177:178], v[165:166]
	v_add_f64_e32 v[179:180], v[179:180], v[167:168]
	s_wait_loadcnt_dscnt 0x900
	v_mul_f64_e32 v[187:188], v[2:3], v[20:21]
	v_mul_f64_e32 v[20:21], v[4:5], v[20:21]
	ds_load_b128 v[165:168], v1 offset:1440
	v_fma_f64 v[175:176], v[175:176], v[14:15], v[181:182]
	v_fma_f64 v[173:174], v[173:174], v[14:15], -v[16:17]
	scratch_load_b128 v[14:17], off, off offset:640
	v_add_f64_e32 v[177:178], v[177:178], v[185:186]
	v_add_f64_e32 v[179:180], v[179:180], v[183:184]
	v_fma_f64 v[183:184], v[4:5], v[18:19], v[187:188]
	v_fma_f64 v[185:186], v[2:3], v[18:19], -v[20:21]
	ds_load_b128 v[2:5], v1 offset:1456
	s_wait_loadcnt_dscnt 0x901
	v_mul_f64_e32 v[181:182], v[165:166], v[24:25]
	v_mul_f64_e32 v[24:25], v[167:168], v[24:25]
	scratch_load_b128 v[18:21], off, off offset:656
	s_wait_loadcnt_dscnt 0x900
	v_mul_f64_e32 v[187:188], v[2:3], v[28:29]
	v_mul_f64_e32 v[28:29], v[4:5], v[28:29]
	v_add_f64_e32 v[177:178], v[177:178], v[173:174]
	v_add_f64_e32 v[179:180], v[179:180], v[175:176]
	ds_load_b128 v[173:176], v1 offset:1472
	v_fma_f64 v[167:168], v[167:168], v[22:23], v[181:182]
	v_fma_f64 v[165:166], v[165:166], v[22:23], -v[24:25]
	scratch_load_b128 v[22:25], off, off offset:672
	v_add_f64_e32 v[177:178], v[177:178], v[185:186]
	v_add_f64_e32 v[179:180], v[179:180], v[183:184]
	v_fma_f64 v[183:184], v[4:5], v[26:27], v[187:188]
	v_fma_f64 v[185:186], v[2:3], v[26:27], -v[28:29]
	ds_load_b128 v[2:5], v1 offset:1488
	s_wait_loadcnt_dscnt 0x901
	v_mul_f64_e32 v[181:182], v[173:174], v[32:33]
	v_mul_f64_e32 v[32:33], v[175:176], v[32:33]
	scratch_load_b128 v[26:29], off, off offset:688
	s_wait_loadcnt_dscnt 0x900
	v_mul_f64_e32 v[187:188], v[2:3], v[40:41]
	v_mul_f64_e32 v[40:41], v[4:5], v[40:41]
	v_add_f64_e32 v[177:178], v[177:178], v[165:166]
	v_add_f64_e32 v[179:180], v[179:180], v[167:168]
	ds_load_b128 v[165:168], v1 offset:1504
	v_fma_f64 v[175:176], v[175:176], v[30:31], v[181:182]
	v_fma_f64 v[173:174], v[173:174], v[30:31], -v[32:33]
	scratch_load_b128 v[30:33], off, off offset:704
	v_add_f64_e32 v[177:178], v[177:178], v[185:186]
	v_add_f64_e32 v[179:180], v[179:180], v[183:184]
	v_fma_f64 v[185:186], v[4:5], v[38:39], v[187:188]
	v_fma_f64 v[187:188], v[2:3], v[38:39], -v[40:41]
	ds_load_b128 v[2:5], v1 offset:1520
	s_wait_loadcnt_dscnt 0x801
	v_mul_f64_e32 v[181:182], v[165:166], v[171:172]
	v_mul_f64_e32 v[183:184], v[167:168], v[171:172]
	scratch_load_b128 v[38:41], off, off offset:720
	v_add_f64_e32 v[177:178], v[177:178], v[173:174]
	v_add_f64_e32 v[175:176], v[179:180], v[175:176]
	ds_load_b128 v[171:174], v1 offset:1536
	v_fma_f64 v[181:182], v[167:168], v[169:170], v[181:182]
	v_fma_f64 v[169:170], v[165:166], v[169:170], -v[183:184]
	scratch_load_b128 v[165:168], off, off offset:736
	s_wait_loadcnt_dscnt 0x901
	v_mul_f64_e32 v[179:180], v[2:3], v[36:37]
	v_mul_f64_e32 v[36:37], v[4:5], v[36:37]
	v_add_f64_e32 v[177:178], v[177:178], v[187:188]
	v_add_f64_e32 v[175:176], v[175:176], v[185:186]
	s_delay_alu instid0(VALU_DEP_4) | instskip(NEXT) | instid1(VALU_DEP_4)
	v_fma_f64 v[179:180], v[4:5], v[34:35], v[179:180]
	v_fma_f64 v[185:186], v[2:3], v[34:35], -v[36:37]
	ds_load_b128 v[2:5], v1 offset:1552
	s_wait_loadcnt_dscnt 0x801
	v_mul_f64_e32 v[183:184], v[171:172], v[8:9]
	v_mul_f64_e32 v[8:9], v[173:174], v[8:9]
	scratch_load_b128 v[34:37], off, off offset:752
	s_wait_loadcnt_dscnt 0x800
	v_mul_f64_e32 v[187:188], v[2:3], v[12:13]
	v_add_f64_e32 v[169:170], v[177:178], v[169:170]
	v_add_f64_e32 v[181:182], v[175:176], v[181:182]
	v_mul_f64_e32 v[12:13], v[4:5], v[12:13]
	ds_load_b128 v[175:178], v1 offset:1568
	v_fma_f64 v[173:174], v[173:174], v[6:7], v[183:184]
	v_fma_f64 v[171:172], v[171:172], v[6:7], -v[8:9]
	scratch_load_b128 v[6:9], off, off offset:768
	v_fma_f64 v[183:184], v[4:5], v[10:11], v[187:188]
	v_add_f64_e32 v[169:170], v[169:170], v[185:186]
	v_add_f64_e32 v[179:180], v[181:182], v[179:180]
	v_fma_f64 v[185:186], v[2:3], v[10:11], -v[12:13]
	ds_load_b128 v[2:5], v1 offset:1584
	s_wait_loadcnt_dscnt 0x801
	v_mul_f64_e32 v[181:182], v[175:176], v[16:17]
	v_mul_f64_e32 v[16:17], v[177:178], v[16:17]
	scratch_load_b128 v[10:13], off, off offset:784
	v_add_f64_e32 v[187:188], v[169:170], v[171:172]
	v_add_f64_e32 v[173:174], v[179:180], v[173:174]
	s_wait_loadcnt_dscnt 0x800
	v_mul_f64_e32 v[179:180], v[2:3], v[20:21]
	v_mul_f64_e32 v[20:21], v[4:5], v[20:21]
	v_fma_f64 v[177:178], v[177:178], v[14:15], v[181:182]
	v_fma_f64 v[175:176], v[175:176], v[14:15], -v[16:17]
	ds_load_b128 v[169:172], v1 offset:1600
	scratch_load_b128 v[14:17], off, off offset:800
	v_add_f64_e32 v[181:182], v[187:188], v[185:186]
	v_add_f64_e32 v[173:174], v[173:174], v[183:184]
	v_fma_f64 v[179:180], v[4:5], v[18:19], v[179:180]
	v_fma_f64 v[185:186], v[2:3], v[18:19], -v[20:21]
	ds_load_b128 v[2:5], v1 offset:1616
	s_wait_loadcnt_dscnt 0x801
	v_mul_f64_e32 v[183:184], v[169:170], v[24:25]
	v_mul_f64_e32 v[24:25], v[171:172], v[24:25]
	scratch_load_b128 v[18:21], off, off offset:816
	s_wait_loadcnt_dscnt 0x800
	v_mul_f64_e32 v[187:188], v[2:3], v[28:29]
	v_mul_f64_e32 v[28:29], v[4:5], v[28:29]
	v_add_f64_e32 v[181:182], v[181:182], v[175:176]
	v_add_f64_e32 v[177:178], v[173:174], v[177:178]
	ds_load_b128 v[173:176], v1 offset:1632
	v_fma_f64 v[171:172], v[171:172], v[22:23], v[183:184]
	v_fma_f64 v[169:170], v[169:170], v[22:23], -v[24:25]
	scratch_load_b128 v[22:25], off, off offset:832
	v_fma_f64 v[183:184], v[4:5], v[26:27], v[187:188]
	v_add_f64_e32 v[181:182], v[181:182], v[185:186]
	v_add_f64_e32 v[177:178], v[177:178], v[179:180]
	v_fma_f64 v[185:186], v[2:3], v[26:27], -v[28:29]
	ds_load_b128 v[2:5], v1 offset:1648
	s_wait_loadcnt_dscnt 0x801
	v_mul_f64_e32 v[179:180], v[173:174], v[32:33]
	v_mul_f64_e32 v[32:33], v[175:176], v[32:33]
	scratch_load_b128 v[26:29], off, off offset:848
	s_wait_loadcnt_dscnt 0x800
	v_mul_f64_e32 v[187:188], v[2:3], v[40:41]
	v_mul_f64_e32 v[40:41], v[4:5], v[40:41]
	v_add_f64_e32 v[181:182], v[181:182], v[169:170]
	v_add_f64_e32 v[177:178], v[177:178], v[171:172]
	ds_load_b128 v[169:172], v1 offset:1664
	v_fma_f64 v[175:176], v[175:176], v[30:31], v[179:180]
	v_fma_f64 v[173:174], v[173:174], v[30:31], -v[32:33]
	scratch_load_b128 v[30:33], off, off offset:864
	v_add_f64_e32 v[179:180], v[181:182], v[185:186]
	v_add_f64_e32 v[177:178], v[177:178], v[183:184]
	v_fma_f64 v[183:184], v[4:5], v[38:39], v[187:188]
	v_fma_f64 v[185:186], v[2:3], v[38:39], -v[40:41]
	ds_load_b128 v[2:5], v1 offset:1680
	s_wait_loadcnt_dscnt 0x801
	v_mul_f64_e32 v[181:182], v[169:170], v[167:168]
	v_mul_f64_e32 v[167:168], v[171:172], v[167:168]
	scratch_load_b128 v[38:41], off, off offset:880
	s_wait_loadcnt_dscnt 0x800
	v_mul_f64_e32 v[187:188], v[2:3], v[36:37]
	v_mul_f64_e32 v[36:37], v[4:5], v[36:37]
	v_add_f64_e32 v[179:180], v[179:180], v[173:174]
	v_add_f64_e32 v[177:178], v[177:178], v[175:176]
	ds_load_b128 v[173:176], v1 offset:1696
	v_fma_f64 v[171:172], v[171:172], v[165:166], v[181:182]
	v_fma_f64 v[169:170], v[169:170], v[165:166], -v[167:168]
	scratch_load_b128 v[165:168], off, off offset:896
	v_add_f64_e32 v[179:180], v[179:180], v[185:186]
	v_add_f64_e32 v[177:178], v[177:178], v[183:184]
	v_fma_f64 v[183:184], v[4:5], v[34:35], v[187:188]
	;; [unrolled: 18-line block ×3, first 2 shown]
	v_fma_f64 v[185:186], v[2:3], v[10:11], -v[12:13]
	ds_load_b128 v[2:5], v1 offset:1744
	s_wait_loadcnt_dscnt 0x801
	v_mul_f64_e32 v[181:182], v[169:170], v[16:17]
	v_mul_f64_e32 v[16:17], v[171:172], v[16:17]
	scratch_load_b128 v[10:13], off, off offset:944
	s_wait_loadcnt_dscnt 0x800
	v_mul_f64_e32 v[187:188], v[2:3], v[20:21]
	v_mul_f64_e32 v[20:21], v[4:5], v[20:21]
	v_add_f64_e32 v[179:180], v[179:180], v[173:174]
	v_add_f64_e32 v[177:178], v[177:178], v[175:176]
	ds_load_b128 v[173:176], v1 offset:1760
	v_fma_f64 v[171:172], v[171:172], v[14:15], v[181:182]
	v_fma_f64 v[14:15], v[169:170], v[14:15], -v[16:17]
	v_add_f64_e32 v[16:17], v[179:180], v[185:186]
	v_add_f64_e32 v[169:170], v[177:178], v[183:184]
	s_wait_loadcnt_dscnt 0x700
	v_mul_f64_e32 v[177:178], v[173:174], v[24:25]
	v_mul_f64_e32 v[24:25], v[175:176], v[24:25]
	v_fma_f64 v[179:180], v[4:5], v[18:19], v[187:188]
	v_fma_f64 v[18:19], v[2:3], v[18:19], -v[20:21]
	v_add_f64_e32 v[20:21], v[16:17], v[14:15]
	v_add_f64_e32 v[169:170], v[169:170], v[171:172]
	ds_load_b128 v[2:5], v1 offset:1776
	ds_load_b128 v[14:17], v1 offset:1792
	v_fma_f64 v[175:176], v[175:176], v[22:23], v[177:178]
	v_fma_f64 v[22:23], v[173:174], v[22:23], -v[24:25]
	s_wait_loadcnt_dscnt 0x601
	v_mul_f64_e32 v[171:172], v[2:3], v[28:29]
	v_mul_f64_e32 v[28:29], v[4:5], v[28:29]
	s_wait_loadcnt_dscnt 0x500
	v_mul_f64_e32 v[24:25], v[14:15], v[32:33]
	v_mul_f64_e32 v[32:33], v[16:17], v[32:33]
	v_add_f64_e32 v[18:19], v[20:21], v[18:19]
	v_add_f64_e32 v[20:21], v[169:170], v[179:180]
	v_fma_f64 v[169:170], v[4:5], v[26:27], v[171:172]
	v_fma_f64 v[26:27], v[2:3], v[26:27], -v[28:29]
	v_fma_f64 v[16:17], v[16:17], v[30:31], v[24:25]
	v_fma_f64 v[14:15], v[14:15], v[30:31], -v[32:33]
	v_add_f64_e32 v[22:23], v[18:19], v[22:23]
	v_add_f64_e32 v[28:29], v[20:21], v[175:176]
	ds_load_b128 v[2:5], v1 offset:1808
	ds_load_b128 v[18:21], v1 offset:1824
	s_wait_loadcnt_dscnt 0x401
	v_mul_f64_e32 v[171:172], v[2:3], v[40:41]
	v_mul_f64_e32 v[40:41], v[4:5], v[40:41]
	v_add_f64_e32 v[22:23], v[22:23], v[26:27]
	v_add_f64_e32 v[24:25], v[28:29], v[169:170]
	s_wait_loadcnt_dscnt 0x300
	v_mul_f64_e32 v[26:27], v[18:19], v[167:168]
	v_mul_f64_e32 v[28:29], v[20:21], v[167:168]
	v_fma_f64 v[30:31], v[4:5], v[38:39], v[171:172]
	v_fma_f64 v[32:33], v[2:3], v[38:39], -v[40:41]
	v_add_f64_e32 v[22:23], v[22:23], v[14:15]
	v_add_f64_e32 v[24:25], v[24:25], v[16:17]
	ds_load_b128 v[2:5], v1 offset:1840
	ds_load_b128 v[14:17], v1 offset:1856
	v_fma_f64 v[20:21], v[20:21], v[165:166], v[26:27]
	v_fma_f64 v[18:19], v[18:19], v[165:166], -v[28:29]
	s_wait_loadcnt_dscnt 0x201
	v_mul_f64_e32 v[38:39], v[2:3], v[36:37]
	v_mul_f64_e32 v[36:37], v[4:5], v[36:37]
	s_wait_loadcnt_dscnt 0x100
	v_mul_f64_e32 v[26:27], v[14:15], v[8:9]
	v_mul_f64_e32 v[8:9], v[16:17], v[8:9]
	v_add_f64_e32 v[22:23], v[22:23], v[32:33]
	v_add_f64_e32 v[24:25], v[24:25], v[30:31]
	v_fma_f64 v[28:29], v[4:5], v[34:35], v[38:39]
	v_fma_f64 v[30:31], v[2:3], v[34:35], -v[36:37]
	ds_load_b128 v[2:5], v1 offset:1872
	v_fma_f64 v[16:17], v[16:17], v[6:7], v[26:27]
	v_fma_f64 v[6:7], v[14:15], v[6:7], -v[8:9]
	v_add_f64_e32 v[18:19], v[22:23], v[18:19]
	v_add_f64_e32 v[20:21], v[24:25], v[20:21]
	s_wait_loadcnt_dscnt 0x0
	v_mul_f64_e32 v[22:23], v[2:3], v[12:13]
	v_mul_f64_e32 v[12:13], v[4:5], v[12:13]
	s_delay_alu instid0(VALU_DEP_4) | instskip(NEXT) | instid1(VALU_DEP_4)
	v_add_f64_e32 v[8:9], v[18:19], v[30:31]
	v_add_f64_e32 v[14:15], v[20:21], v[28:29]
	s_delay_alu instid0(VALU_DEP_4) | instskip(NEXT) | instid1(VALU_DEP_4)
	v_fma_f64 v[4:5], v[4:5], v[10:11], v[22:23]
	v_fma_f64 v[2:3], v[2:3], v[10:11], -v[12:13]
	s_delay_alu instid0(VALU_DEP_4) | instskip(NEXT) | instid1(VALU_DEP_4)
	v_add_f64_e32 v[6:7], v[8:9], v[6:7]
	v_add_f64_e32 v[8:9], v[14:15], v[16:17]
	s_delay_alu instid0(VALU_DEP_2) | instskip(NEXT) | instid1(VALU_DEP_2)
	v_add_f64_e32 v[2:3], v[6:7], v[2:3]
	v_add_f64_e32 v[4:5], v[8:9], v[4:5]
	s_delay_alu instid0(VALU_DEP_2) | instskip(NEXT) | instid1(VALU_DEP_2)
	v_add_f64_e64 v[2:3], v[42:43], -v[2:3]
	v_add_f64_e64 v[4:5], v[44:45], -v[4:5]
	scratch_store_b128 off, v[2:5], off offset:416
	v_cmpx_lt_u32_e32 24, v0
	s_cbranch_execz .LBB58_319
; %bb.318:
	scratch_load_b128 v[5:8], off, s48
	v_dual_mov_b32 v2, v1 :: v_dual_mov_b32 v3, v1
	v_mov_b32_e32 v4, v1
	scratch_store_b128 off, v[1:4], off offset:400
	s_wait_loadcnt 0x0
	ds_store_b128 v164, v[5:8]
.LBB58_319:
	s_wait_alu 0xfffe
	s_or_b32 exec_lo, exec_lo, s0
	s_wait_storecnt_dscnt 0x0
	s_barrier_signal -1
	s_barrier_wait -1
	global_inv scope:SCOPE_SE
	s_clause 0x8
	scratch_load_b128 v[2:5], off, off offset:416
	scratch_load_b128 v[6:9], off, off offset:432
	;; [unrolled: 1-line block ×9, first 2 shown]
	ds_load_b128 v[38:41], v1 offset:1344
	ds_load_b128 v[42:45], v1 offset:1360
	s_clause 0x1
	scratch_load_b128 v[165:168], off, off offset:400
	scratch_load_b128 v[169:172], off, off offset:560
	s_mov_b32 s0, exec_lo
	s_wait_loadcnt_dscnt 0xa01
	v_mul_f64_e32 v[173:174], v[40:41], v[4:5]
	v_mul_f64_e32 v[4:5], v[38:39], v[4:5]
	s_wait_loadcnt_dscnt 0x900
	v_mul_f64_e32 v[177:178], v[42:43], v[8:9]
	v_mul_f64_e32 v[8:9], v[44:45], v[8:9]
	s_delay_alu instid0(VALU_DEP_4) | instskip(NEXT) | instid1(VALU_DEP_4)
	v_fma_f64 v[179:180], v[38:39], v[2:3], -v[173:174]
	v_fma_f64 v[181:182], v[40:41], v[2:3], v[4:5]
	ds_load_b128 v[2:5], v1 offset:1376
	ds_load_b128 v[173:176], v1 offset:1392
	scratch_load_b128 v[38:41], off, off offset:576
	v_fma_f64 v[44:45], v[44:45], v[6:7], v[177:178]
	v_fma_f64 v[42:43], v[42:43], v[6:7], -v[8:9]
	scratch_load_b128 v[6:9], off, off offset:592
	s_wait_loadcnt_dscnt 0xa01
	v_mul_f64_e32 v[183:184], v[2:3], v[12:13]
	v_mul_f64_e32 v[12:13], v[4:5], v[12:13]
	v_add_f64_e32 v[177:178], 0, v[179:180]
	v_add_f64_e32 v[179:180], 0, v[181:182]
	s_wait_loadcnt_dscnt 0x900
	v_mul_f64_e32 v[181:182], v[173:174], v[16:17]
	v_mul_f64_e32 v[16:17], v[175:176], v[16:17]
	v_fma_f64 v[183:184], v[4:5], v[10:11], v[183:184]
	v_fma_f64 v[185:186], v[2:3], v[10:11], -v[12:13]
	ds_load_b128 v[2:5], v1 offset:1408
	scratch_load_b128 v[10:13], off, off offset:608
	v_add_f64_e32 v[177:178], v[177:178], v[42:43]
	v_add_f64_e32 v[179:180], v[179:180], v[44:45]
	ds_load_b128 v[42:45], v1 offset:1424
	v_fma_f64 v[175:176], v[175:176], v[14:15], v[181:182]
	v_fma_f64 v[173:174], v[173:174], v[14:15], -v[16:17]
	scratch_load_b128 v[14:17], off, off offset:624
	s_wait_loadcnt_dscnt 0xa01
	v_mul_f64_e32 v[187:188], v[2:3], v[20:21]
	v_mul_f64_e32 v[20:21], v[4:5], v[20:21]
	s_wait_loadcnt_dscnt 0x900
	v_mul_f64_e32 v[181:182], v[42:43], v[24:25]
	v_mul_f64_e32 v[24:25], v[44:45], v[24:25]
	v_add_f64_e32 v[177:178], v[177:178], v[185:186]
	v_add_f64_e32 v[179:180], v[179:180], v[183:184]
	v_fma_f64 v[183:184], v[4:5], v[18:19], v[187:188]
	v_fma_f64 v[185:186], v[2:3], v[18:19], -v[20:21]
	ds_load_b128 v[2:5], v1 offset:1440
	scratch_load_b128 v[18:21], off, off offset:640
	v_fma_f64 v[44:45], v[44:45], v[22:23], v[181:182]
	v_fma_f64 v[42:43], v[42:43], v[22:23], -v[24:25]
	scratch_load_b128 v[22:25], off, off offset:656
	v_add_f64_e32 v[177:178], v[177:178], v[173:174]
	v_add_f64_e32 v[179:180], v[179:180], v[175:176]
	ds_load_b128 v[173:176], v1 offset:1456
	s_wait_loadcnt_dscnt 0xa01
	v_mul_f64_e32 v[187:188], v[2:3], v[28:29]
	v_mul_f64_e32 v[28:29], v[4:5], v[28:29]
	s_wait_loadcnt_dscnt 0x900
	v_mul_f64_e32 v[181:182], v[173:174], v[32:33]
	v_mul_f64_e32 v[32:33], v[175:176], v[32:33]
	v_add_f64_e32 v[177:178], v[177:178], v[185:186]
	v_add_f64_e32 v[179:180], v[179:180], v[183:184]
	v_fma_f64 v[183:184], v[4:5], v[26:27], v[187:188]
	v_fma_f64 v[185:186], v[2:3], v[26:27], -v[28:29]
	ds_load_b128 v[2:5], v1 offset:1472
	scratch_load_b128 v[26:29], off, off offset:672
	v_fma_f64 v[175:176], v[175:176], v[30:31], v[181:182]
	v_fma_f64 v[173:174], v[173:174], v[30:31], -v[32:33]
	scratch_load_b128 v[30:33], off, off offset:688
	v_add_f64_e32 v[177:178], v[177:178], v[42:43]
	v_add_f64_e32 v[179:180], v[179:180], v[44:45]
	ds_load_b128 v[42:45], v1 offset:1488
	s_wait_loadcnt_dscnt 0xa01
	v_mul_f64_e32 v[187:188], v[2:3], v[36:37]
	v_mul_f64_e32 v[36:37], v[4:5], v[36:37]
	s_wait_loadcnt_dscnt 0x800
	v_mul_f64_e32 v[181:182], v[42:43], v[171:172]
	v_add_f64_e32 v[177:178], v[177:178], v[185:186]
	v_add_f64_e32 v[179:180], v[179:180], v[183:184]
	v_mul_f64_e32 v[183:184], v[44:45], v[171:172]
	v_fma_f64 v[185:186], v[4:5], v[34:35], v[187:188]
	v_fma_f64 v[187:188], v[2:3], v[34:35], -v[36:37]
	ds_load_b128 v[2:5], v1 offset:1504
	scratch_load_b128 v[34:37], off, off offset:704
	v_fma_f64 v[44:45], v[44:45], v[169:170], v[181:182]
	v_add_f64_e32 v[177:178], v[177:178], v[173:174]
	v_add_f64_e32 v[175:176], v[179:180], v[175:176]
	ds_load_b128 v[171:174], v1 offset:1520
	v_fma_f64 v[169:170], v[42:43], v[169:170], -v[183:184]
	s_wait_loadcnt_dscnt 0x801
	v_mul_f64_e32 v[179:180], v[2:3], v[40:41]
	v_mul_f64_e32 v[189:190], v[4:5], v[40:41]
	scratch_load_b128 v[40:43], off, off offset:720
	s_wait_loadcnt_dscnt 0x800
	v_mul_f64_e32 v[183:184], v[171:172], v[8:9]
	v_mul_f64_e32 v[8:9], v[173:174], v[8:9]
	v_add_f64_e32 v[177:178], v[177:178], v[187:188]
	v_add_f64_e32 v[175:176], v[175:176], v[185:186]
	v_fma_f64 v[185:186], v[4:5], v[38:39], v[179:180]
	v_fma_f64 v[38:39], v[2:3], v[38:39], -v[189:190]
	ds_load_b128 v[2:5], v1 offset:1536
	ds_load_b128 v[179:182], v1 offset:1552
	v_fma_f64 v[173:174], v[173:174], v[6:7], v[183:184]
	v_fma_f64 v[171:172], v[171:172], v[6:7], -v[8:9]
	scratch_load_b128 v[6:9], off, off offset:752
	v_add_f64_e32 v[169:170], v[177:178], v[169:170]
	v_add_f64_e32 v[44:45], v[175:176], v[44:45]
	scratch_load_b128 v[175:178], off, off offset:736
	s_wait_loadcnt_dscnt 0x901
	v_mul_f64_e32 v[187:188], v[2:3], v[12:13]
	v_mul_f64_e32 v[12:13], v[4:5], v[12:13]
	s_wait_loadcnt_dscnt 0x800
	v_mul_f64_e32 v[183:184], v[179:180], v[16:17]
	v_mul_f64_e32 v[16:17], v[181:182], v[16:17]
	v_add_f64_e32 v[38:39], v[169:170], v[38:39]
	v_add_f64_e32 v[44:45], v[44:45], v[185:186]
	v_fma_f64 v[185:186], v[4:5], v[10:11], v[187:188]
	v_fma_f64 v[187:188], v[2:3], v[10:11], -v[12:13]
	ds_load_b128 v[2:5], v1 offset:1568
	scratch_load_b128 v[10:13], off, off offset:768
	v_fma_f64 v[181:182], v[181:182], v[14:15], v[183:184]
	v_fma_f64 v[179:180], v[179:180], v[14:15], -v[16:17]
	scratch_load_b128 v[14:17], off, off offset:784
	v_add_f64_e32 v[38:39], v[38:39], v[171:172]
	v_add_f64_e32 v[44:45], v[44:45], v[173:174]
	ds_load_b128 v[169:172], v1 offset:1584
	s_wait_loadcnt_dscnt 0x901
	v_mul_f64_e32 v[173:174], v[2:3], v[20:21]
	v_mul_f64_e32 v[20:21], v[4:5], v[20:21]
	s_wait_loadcnt_dscnt 0x800
	v_mul_f64_e32 v[183:184], v[169:170], v[24:25]
	v_mul_f64_e32 v[24:25], v[171:172], v[24:25]
	v_add_f64_e32 v[38:39], v[38:39], v[187:188]
	v_add_f64_e32 v[44:45], v[44:45], v[185:186]
	v_fma_f64 v[173:174], v[4:5], v[18:19], v[173:174]
	v_fma_f64 v[185:186], v[2:3], v[18:19], -v[20:21]
	ds_load_b128 v[2:5], v1 offset:1600
	scratch_load_b128 v[18:21], off, off offset:800
	v_fma_f64 v[171:172], v[171:172], v[22:23], v[183:184]
	v_fma_f64 v[169:170], v[169:170], v[22:23], -v[24:25]
	scratch_load_b128 v[22:25], off, off offset:816
	v_add_f64_e32 v[38:39], v[38:39], v[179:180]
	v_add_f64_e32 v[44:45], v[44:45], v[181:182]
	ds_load_b128 v[179:182], v1 offset:1616
	s_wait_loadcnt_dscnt 0x901
	v_mul_f64_e32 v[187:188], v[2:3], v[28:29]
	v_mul_f64_e32 v[28:29], v[4:5], v[28:29]
	v_add_f64_e32 v[38:39], v[38:39], v[185:186]
	v_add_f64_e32 v[44:45], v[44:45], v[173:174]
	s_wait_loadcnt_dscnt 0x800
	v_mul_f64_e32 v[173:174], v[179:180], v[32:33]
	v_mul_f64_e32 v[32:33], v[181:182], v[32:33]
	v_fma_f64 v[183:184], v[4:5], v[26:27], v[187:188]
	v_fma_f64 v[185:186], v[2:3], v[26:27], -v[28:29]
	ds_load_b128 v[2:5], v1 offset:1632
	scratch_load_b128 v[26:29], off, off offset:832
	v_add_f64_e32 v[38:39], v[38:39], v[169:170]
	v_add_f64_e32 v[44:45], v[44:45], v[171:172]
	ds_load_b128 v[169:172], v1 offset:1648
	s_wait_loadcnt_dscnt 0x801
	v_mul_f64_e32 v[187:188], v[2:3], v[36:37]
	v_mul_f64_e32 v[36:37], v[4:5], v[36:37]
	v_fma_f64 v[173:174], v[181:182], v[30:31], v[173:174]
	v_fma_f64 v[179:180], v[179:180], v[30:31], -v[32:33]
	scratch_load_b128 v[30:33], off, off offset:848
	s_wait_loadcnt_dscnt 0x800
	v_mul_f64_e32 v[181:182], v[169:170], v[42:43]
	v_add_f64_e32 v[38:39], v[38:39], v[185:186]
	v_add_f64_e32 v[44:45], v[44:45], v[183:184]
	v_mul_f64_e32 v[183:184], v[171:172], v[42:43]
	v_fma_f64 v[185:186], v[4:5], v[34:35], v[187:188]
	v_fma_f64 v[187:188], v[2:3], v[34:35], -v[36:37]
	ds_load_b128 v[2:5], v1 offset:1664
	scratch_load_b128 v[34:37], off, off offset:864
	v_fma_f64 v[171:172], v[171:172], v[40:41], v[181:182]
	v_add_f64_e32 v[38:39], v[38:39], v[179:180]
	v_add_f64_e32 v[173:174], v[44:45], v[173:174]
	ds_load_b128 v[42:45], v1 offset:1680
	v_fma_f64 v[169:170], v[169:170], v[40:41], -v[183:184]
	s_wait_loadcnt_dscnt 0x701
	v_mul_f64_e32 v[179:180], v[2:3], v[177:178]
	v_mul_f64_e32 v[177:178], v[4:5], v[177:178]
	s_wait_dscnt 0x0
	v_mul_f64_e32 v[183:184], v[42:43], v[8:9]
	v_mul_f64_e32 v[8:9], v[44:45], v[8:9]
	v_add_f64_e32 v[181:182], v[38:39], v[187:188]
	v_add_f64_e32 v[173:174], v[173:174], v[185:186]
	scratch_load_b128 v[38:41], off, off offset:880
	v_fma_f64 v[179:180], v[4:5], v[175:176], v[179:180]
	v_fma_f64 v[177:178], v[2:3], v[175:176], -v[177:178]
	ds_load_b128 v[2:5], v1 offset:1696
	v_fma_f64 v[44:45], v[44:45], v[6:7], v[183:184]
	v_fma_f64 v[42:43], v[42:43], v[6:7], -v[8:9]
	scratch_load_b128 v[6:9], off, off offset:912
	v_add_f64_e32 v[181:182], v[181:182], v[169:170]
	v_add_f64_e32 v[185:186], v[173:174], v[171:172]
	scratch_load_b128 v[169:172], off, off offset:896
	ds_load_b128 v[173:176], v1 offset:1712
	s_wait_loadcnt_dscnt 0x901
	v_mul_f64_e32 v[187:188], v[2:3], v[12:13]
	v_mul_f64_e32 v[12:13], v[4:5], v[12:13]
	v_add_f64_e32 v[177:178], v[181:182], v[177:178]
	v_add_f64_e32 v[179:180], v[185:186], v[179:180]
	s_wait_loadcnt_dscnt 0x800
	v_mul_f64_e32 v[181:182], v[173:174], v[16:17]
	v_mul_f64_e32 v[16:17], v[175:176], v[16:17]
	v_fma_f64 v[183:184], v[4:5], v[10:11], v[187:188]
	v_fma_f64 v[185:186], v[2:3], v[10:11], -v[12:13]
	ds_load_b128 v[2:5], v1 offset:1728
	scratch_load_b128 v[10:13], off, off offset:928
	v_add_f64_e32 v[177:178], v[177:178], v[42:43]
	v_add_f64_e32 v[179:180], v[179:180], v[44:45]
	ds_load_b128 v[42:45], v1 offset:1744
	s_wait_loadcnt_dscnt 0x801
	v_mul_f64_e32 v[187:188], v[2:3], v[20:21]
	v_mul_f64_e32 v[20:21], v[4:5], v[20:21]
	v_fma_f64 v[175:176], v[175:176], v[14:15], v[181:182]
	v_fma_f64 v[173:174], v[173:174], v[14:15], -v[16:17]
	scratch_load_b128 v[14:17], off, off offset:944
	s_wait_loadcnt_dscnt 0x800
	v_mul_f64_e32 v[181:182], v[42:43], v[24:25]
	v_mul_f64_e32 v[24:25], v[44:45], v[24:25]
	v_add_f64_e32 v[177:178], v[177:178], v[185:186]
	v_add_f64_e32 v[179:180], v[179:180], v[183:184]
	v_fma_f64 v[183:184], v[4:5], v[18:19], v[187:188]
	v_fma_f64 v[185:186], v[2:3], v[18:19], -v[20:21]
	ds_load_b128 v[2:5], v1 offset:1760
	ds_load_b128 v[18:21], v1 offset:1776
	v_fma_f64 v[44:45], v[44:45], v[22:23], v[181:182]
	v_fma_f64 v[22:23], v[42:43], v[22:23], -v[24:25]
	v_add_f64_e32 v[173:174], v[177:178], v[173:174]
	v_add_f64_e32 v[175:176], v[179:180], v[175:176]
	s_wait_loadcnt_dscnt 0x701
	v_mul_f64_e32 v[177:178], v[2:3], v[28:29]
	v_mul_f64_e32 v[28:29], v[4:5], v[28:29]
	s_delay_alu instid0(VALU_DEP_4) | instskip(NEXT) | instid1(VALU_DEP_4)
	v_add_f64_e32 v[24:25], v[173:174], v[185:186]
	v_add_f64_e32 v[42:43], v[175:176], v[183:184]
	s_wait_loadcnt_dscnt 0x600
	v_mul_f64_e32 v[173:174], v[18:19], v[32:33]
	v_mul_f64_e32 v[32:33], v[20:21], v[32:33]
	v_fma_f64 v[175:176], v[4:5], v[26:27], v[177:178]
	v_fma_f64 v[26:27], v[2:3], v[26:27], -v[28:29]
	v_add_f64_e32 v[28:29], v[24:25], v[22:23]
	v_add_f64_e32 v[42:43], v[42:43], v[44:45]
	ds_load_b128 v[2:5], v1 offset:1792
	ds_load_b128 v[22:25], v1 offset:1808
	v_fma_f64 v[20:21], v[20:21], v[30:31], v[173:174]
	v_fma_f64 v[18:19], v[18:19], v[30:31], -v[32:33]
	s_wait_loadcnt_dscnt 0x501
	v_mul_f64_e32 v[44:45], v[2:3], v[36:37]
	v_mul_f64_e32 v[36:37], v[4:5], v[36:37]
	v_add_f64_e32 v[26:27], v[28:29], v[26:27]
	v_add_f64_e32 v[28:29], v[42:43], v[175:176]
	s_wait_loadcnt_dscnt 0x400
	v_mul_f64_e32 v[30:31], v[22:23], v[40:41]
	v_mul_f64_e32 v[32:33], v[24:25], v[40:41]
	v_fma_f64 v[40:41], v[4:5], v[34:35], v[44:45]
	v_fma_f64 v[34:35], v[2:3], v[34:35], -v[36:37]
	v_add_f64_e32 v[26:27], v[26:27], v[18:19]
	v_add_f64_e32 v[28:29], v[28:29], v[20:21]
	ds_load_b128 v[2:5], v1 offset:1824
	ds_load_b128 v[18:21], v1 offset:1840
	v_fma_f64 v[24:25], v[24:25], v[38:39], v[30:31]
	v_fma_f64 v[22:23], v[22:23], v[38:39], -v[32:33]
	s_wait_loadcnt_dscnt 0x201
	v_mul_f64_e32 v[36:37], v[2:3], v[171:172]
	v_mul_f64_e32 v[42:43], v[4:5], v[171:172]
	s_wait_dscnt 0x0
	v_mul_f64_e32 v[30:31], v[18:19], v[8:9]
	v_mul_f64_e32 v[8:9], v[20:21], v[8:9]
	v_add_f64_e32 v[26:27], v[26:27], v[34:35]
	v_add_f64_e32 v[28:29], v[28:29], v[40:41]
	v_fma_f64 v[32:33], v[4:5], v[169:170], v[36:37]
	v_fma_f64 v[34:35], v[2:3], v[169:170], -v[42:43]
	v_fma_f64 v[20:21], v[20:21], v[6:7], v[30:31]
	v_fma_f64 v[6:7], v[18:19], v[6:7], -v[8:9]
	v_add_f64_e32 v[26:27], v[26:27], v[22:23]
	v_add_f64_e32 v[28:29], v[28:29], v[24:25]
	ds_load_b128 v[2:5], v1 offset:1856
	ds_load_b128 v[22:25], v1 offset:1872
	s_wait_loadcnt_dscnt 0x101
	v_mul_f64_e32 v[36:37], v[2:3], v[12:13]
	v_mul_f64_e32 v[12:13], v[4:5], v[12:13]
	v_add_f64_e32 v[8:9], v[26:27], v[34:35]
	v_add_f64_e32 v[18:19], v[28:29], v[32:33]
	s_wait_loadcnt_dscnt 0x0
	v_mul_f64_e32 v[26:27], v[22:23], v[16:17]
	v_mul_f64_e32 v[16:17], v[24:25], v[16:17]
	v_fma_f64 v[4:5], v[4:5], v[10:11], v[36:37]
	v_fma_f64 v[1:2], v[2:3], v[10:11], -v[12:13]
	v_add_f64_e32 v[6:7], v[8:9], v[6:7]
	v_add_f64_e32 v[8:9], v[18:19], v[20:21]
	v_fma_f64 v[10:11], v[24:25], v[14:15], v[26:27]
	v_fma_f64 v[12:13], v[22:23], v[14:15], -v[16:17]
	s_delay_alu instid0(VALU_DEP_4) | instskip(NEXT) | instid1(VALU_DEP_4)
	v_add_f64_e32 v[1:2], v[6:7], v[1:2]
	v_add_f64_e32 v[3:4], v[8:9], v[4:5]
	s_delay_alu instid0(VALU_DEP_2) | instskip(NEXT) | instid1(VALU_DEP_2)
	v_add_f64_e32 v[1:2], v[1:2], v[12:13]
	v_add_f64_e32 v[3:4], v[3:4], v[10:11]
	s_delay_alu instid0(VALU_DEP_2) | instskip(NEXT) | instid1(VALU_DEP_2)
	v_add_f64_e64 v[1:2], v[165:166], -v[1:2]
	v_add_f64_e64 v[3:4], v[167:168], -v[3:4]
	scratch_store_b128 off, v[1:4], off offset:400
	v_cmpx_lt_u32_e32 23, v0
	s_cbranch_execz .LBB58_321
; %bb.320:
	scratch_load_b128 v[1:4], off, s49
	v_mov_b32_e32 v5, 0
	s_delay_alu instid0(VALU_DEP_1)
	v_dual_mov_b32 v6, v5 :: v_dual_mov_b32 v7, v5
	v_mov_b32_e32 v8, v5
	scratch_store_b128 off, v[5:8], off offset:384
	s_wait_loadcnt 0x0
	ds_store_b128 v164, v[1:4]
.LBB58_321:
	s_wait_alu 0xfffe
	s_or_b32 exec_lo, exec_lo, s0
	s_wait_storecnt_dscnt 0x0
	s_barrier_signal -1
	s_barrier_wait -1
	global_inv scope:SCOPE_SE
	s_clause 0x7
	scratch_load_b128 v[2:5], off, off offset:400
	scratch_load_b128 v[6:9], off, off offset:416
	scratch_load_b128 v[10:13], off, off offset:432
	scratch_load_b128 v[14:17], off, off offset:448
	scratch_load_b128 v[18:21], off, off offset:464
	scratch_load_b128 v[22:25], off, off offset:480
	scratch_load_b128 v[26:29], off, off offset:496
	scratch_load_b128 v[30:33], off, off offset:512
	v_mov_b32_e32 v1, 0
	s_mov_b32 s0, exec_lo
	ds_load_b128 v[38:41], v1 offset:1328
	s_clause 0x1
	scratch_load_b128 v[34:37], off, off offset:528
	scratch_load_b128 v[42:45], off, off offset:384
	ds_load_b128 v[165:168], v1 offset:1344
	scratch_load_b128 v[169:172], off, off offset:544
	s_wait_loadcnt_dscnt 0xa01
	v_mul_f64_e32 v[173:174], v[40:41], v[4:5]
	v_mul_f64_e32 v[4:5], v[38:39], v[4:5]
	s_delay_alu instid0(VALU_DEP_2) | instskip(NEXT) | instid1(VALU_DEP_2)
	v_fma_f64 v[179:180], v[38:39], v[2:3], -v[173:174]
	v_fma_f64 v[181:182], v[40:41], v[2:3], v[4:5]
	ds_load_b128 v[2:5], v1 offset:1360
	s_wait_loadcnt_dscnt 0x901
	v_mul_f64_e32 v[177:178], v[165:166], v[8:9]
	v_mul_f64_e32 v[8:9], v[167:168], v[8:9]
	scratch_load_b128 v[38:41], off, off offset:560
	ds_load_b128 v[173:176], v1 offset:1376
	s_wait_loadcnt_dscnt 0x901
	v_mul_f64_e32 v[183:184], v[2:3], v[12:13]
	v_mul_f64_e32 v[12:13], v[4:5], v[12:13]
	v_fma_f64 v[167:168], v[167:168], v[6:7], v[177:178]
	v_fma_f64 v[165:166], v[165:166], v[6:7], -v[8:9]
	v_add_f64_e32 v[177:178], 0, v[179:180]
	v_add_f64_e32 v[179:180], 0, v[181:182]
	scratch_load_b128 v[6:9], off, off offset:576
	v_fma_f64 v[183:184], v[4:5], v[10:11], v[183:184]
	v_fma_f64 v[185:186], v[2:3], v[10:11], -v[12:13]
	ds_load_b128 v[2:5], v1 offset:1392
	s_wait_loadcnt_dscnt 0x901
	v_mul_f64_e32 v[181:182], v[173:174], v[16:17]
	v_mul_f64_e32 v[16:17], v[175:176], v[16:17]
	scratch_load_b128 v[10:13], off, off offset:592
	v_add_f64_e32 v[177:178], v[177:178], v[165:166]
	v_add_f64_e32 v[179:180], v[179:180], v[167:168]
	s_wait_loadcnt_dscnt 0x900
	v_mul_f64_e32 v[187:188], v[2:3], v[20:21]
	v_mul_f64_e32 v[20:21], v[4:5], v[20:21]
	ds_load_b128 v[165:168], v1 offset:1408
	v_fma_f64 v[175:176], v[175:176], v[14:15], v[181:182]
	v_fma_f64 v[173:174], v[173:174], v[14:15], -v[16:17]
	scratch_load_b128 v[14:17], off, off offset:608
	v_add_f64_e32 v[177:178], v[177:178], v[185:186]
	v_add_f64_e32 v[179:180], v[179:180], v[183:184]
	v_fma_f64 v[183:184], v[4:5], v[18:19], v[187:188]
	v_fma_f64 v[185:186], v[2:3], v[18:19], -v[20:21]
	ds_load_b128 v[2:5], v1 offset:1424
	s_wait_loadcnt_dscnt 0x901
	v_mul_f64_e32 v[181:182], v[165:166], v[24:25]
	v_mul_f64_e32 v[24:25], v[167:168], v[24:25]
	scratch_load_b128 v[18:21], off, off offset:624
	s_wait_loadcnt_dscnt 0x900
	v_mul_f64_e32 v[187:188], v[2:3], v[28:29]
	v_mul_f64_e32 v[28:29], v[4:5], v[28:29]
	v_add_f64_e32 v[177:178], v[177:178], v[173:174]
	v_add_f64_e32 v[179:180], v[179:180], v[175:176]
	ds_load_b128 v[173:176], v1 offset:1440
	v_fma_f64 v[167:168], v[167:168], v[22:23], v[181:182]
	v_fma_f64 v[165:166], v[165:166], v[22:23], -v[24:25]
	scratch_load_b128 v[22:25], off, off offset:640
	v_add_f64_e32 v[177:178], v[177:178], v[185:186]
	v_add_f64_e32 v[179:180], v[179:180], v[183:184]
	v_fma_f64 v[183:184], v[4:5], v[26:27], v[187:188]
	v_fma_f64 v[185:186], v[2:3], v[26:27], -v[28:29]
	ds_load_b128 v[2:5], v1 offset:1456
	s_wait_loadcnt_dscnt 0x901
	v_mul_f64_e32 v[181:182], v[173:174], v[32:33]
	v_mul_f64_e32 v[32:33], v[175:176], v[32:33]
	scratch_load_b128 v[26:29], off, off offset:656
	s_wait_loadcnt_dscnt 0x900
	v_mul_f64_e32 v[187:188], v[2:3], v[36:37]
	v_mul_f64_e32 v[36:37], v[4:5], v[36:37]
	v_add_f64_e32 v[177:178], v[177:178], v[165:166]
	v_add_f64_e32 v[179:180], v[179:180], v[167:168]
	ds_load_b128 v[165:168], v1 offset:1472
	v_fma_f64 v[175:176], v[175:176], v[30:31], v[181:182]
	v_fma_f64 v[173:174], v[173:174], v[30:31], -v[32:33]
	scratch_load_b128 v[30:33], off, off offset:672
	v_add_f64_e32 v[177:178], v[177:178], v[185:186]
	v_add_f64_e32 v[179:180], v[179:180], v[183:184]
	v_fma_f64 v[185:186], v[4:5], v[34:35], v[187:188]
	v_fma_f64 v[187:188], v[2:3], v[34:35], -v[36:37]
	ds_load_b128 v[2:5], v1 offset:1488
	s_wait_loadcnt_dscnt 0x801
	v_mul_f64_e32 v[181:182], v[165:166], v[171:172]
	v_mul_f64_e32 v[183:184], v[167:168], v[171:172]
	scratch_load_b128 v[34:37], off, off offset:688
	v_add_f64_e32 v[177:178], v[177:178], v[173:174]
	v_add_f64_e32 v[175:176], v[179:180], v[175:176]
	ds_load_b128 v[171:174], v1 offset:1504
	v_fma_f64 v[181:182], v[167:168], v[169:170], v[181:182]
	v_fma_f64 v[169:170], v[165:166], v[169:170], -v[183:184]
	scratch_load_b128 v[165:168], off, off offset:704
	s_wait_loadcnt_dscnt 0x901
	v_mul_f64_e32 v[179:180], v[2:3], v[40:41]
	v_mul_f64_e32 v[40:41], v[4:5], v[40:41]
	v_add_f64_e32 v[177:178], v[177:178], v[187:188]
	v_add_f64_e32 v[175:176], v[175:176], v[185:186]
	s_delay_alu instid0(VALU_DEP_4) | instskip(NEXT) | instid1(VALU_DEP_4)
	v_fma_f64 v[179:180], v[4:5], v[38:39], v[179:180]
	v_fma_f64 v[185:186], v[2:3], v[38:39], -v[40:41]
	ds_load_b128 v[2:5], v1 offset:1520
	s_wait_loadcnt_dscnt 0x801
	v_mul_f64_e32 v[183:184], v[171:172], v[8:9]
	v_mul_f64_e32 v[8:9], v[173:174], v[8:9]
	scratch_load_b128 v[38:41], off, off offset:720
	s_wait_loadcnt_dscnt 0x800
	v_mul_f64_e32 v[187:188], v[2:3], v[12:13]
	v_add_f64_e32 v[169:170], v[177:178], v[169:170]
	v_add_f64_e32 v[181:182], v[175:176], v[181:182]
	v_mul_f64_e32 v[12:13], v[4:5], v[12:13]
	ds_load_b128 v[175:178], v1 offset:1536
	v_fma_f64 v[173:174], v[173:174], v[6:7], v[183:184]
	v_fma_f64 v[171:172], v[171:172], v[6:7], -v[8:9]
	scratch_load_b128 v[6:9], off, off offset:736
	v_fma_f64 v[183:184], v[4:5], v[10:11], v[187:188]
	v_add_f64_e32 v[169:170], v[169:170], v[185:186]
	v_add_f64_e32 v[179:180], v[181:182], v[179:180]
	v_fma_f64 v[185:186], v[2:3], v[10:11], -v[12:13]
	ds_load_b128 v[2:5], v1 offset:1552
	s_wait_loadcnt_dscnt 0x801
	v_mul_f64_e32 v[181:182], v[175:176], v[16:17]
	v_mul_f64_e32 v[16:17], v[177:178], v[16:17]
	scratch_load_b128 v[10:13], off, off offset:752
	v_add_f64_e32 v[187:188], v[169:170], v[171:172]
	v_add_f64_e32 v[173:174], v[179:180], v[173:174]
	s_wait_loadcnt_dscnt 0x800
	v_mul_f64_e32 v[179:180], v[2:3], v[20:21]
	v_mul_f64_e32 v[20:21], v[4:5], v[20:21]
	v_fma_f64 v[177:178], v[177:178], v[14:15], v[181:182]
	v_fma_f64 v[175:176], v[175:176], v[14:15], -v[16:17]
	ds_load_b128 v[169:172], v1 offset:1568
	scratch_load_b128 v[14:17], off, off offset:768
	v_add_f64_e32 v[181:182], v[187:188], v[185:186]
	v_add_f64_e32 v[173:174], v[173:174], v[183:184]
	v_fma_f64 v[179:180], v[4:5], v[18:19], v[179:180]
	v_fma_f64 v[185:186], v[2:3], v[18:19], -v[20:21]
	ds_load_b128 v[2:5], v1 offset:1584
	s_wait_loadcnt_dscnt 0x801
	v_mul_f64_e32 v[183:184], v[169:170], v[24:25]
	v_mul_f64_e32 v[24:25], v[171:172], v[24:25]
	scratch_load_b128 v[18:21], off, off offset:784
	s_wait_loadcnt_dscnt 0x800
	v_mul_f64_e32 v[187:188], v[2:3], v[28:29]
	v_mul_f64_e32 v[28:29], v[4:5], v[28:29]
	v_add_f64_e32 v[181:182], v[181:182], v[175:176]
	v_add_f64_e32 v[177:178], v[173:174], v[177:178]
	ds_load_b128 v[173:176], v1 offset:1600
	v_fma_f64 v[171:172], v[171:172], v[22:23], v[183:184]
	v_fma_f64 v[169:170], v[169:170], v[22:23], -v[24:25]
	scratch_load_b128 v[22:25], off, off offset:800
	v_fma_f64 v[183:184], v[4:5], v[26:27], v[187:188]
	v_add_f64_e32 v[181:182], v[181:182], v[185:186]
	v_add_f64_e32 v[177:178], v[177:178], v[179:180]
	v_fma_f64 v[185:186], v[2:3], v[26:27], -v[28:29]
	ds_load_b128 v[2:5], v1 offset:1616
	s_wait_loadcnt_dscnt 0x801
	v_mul_f64_e32 v[179:180], v[173:174], v[32:33]
	v_mul_f64_e32 v[32:33], v[175:176], v[32:33]
	scratch_load_b128 v[26:29], off, off offset:816
	s_wait_loadcnt_dscnt 0x800
	v_mul_f64_e32 v[187:188], v[2:3], v[36:37]
	v_mul_f64_e32 v[36:37], v[4:5], v[36:37]
	v_add_f64_e32 v[181:182], v[181:182], v[169:170]
	v_add_f64_e32 v[177:178], v[177:178], v[171:172]
	ds_load_b128 v[169:172], v1 offset:1632
	v_fma_f64 v[175:176], v[175:176], v[30:31], v[179:180]
	v_fma_f64 v[173:174], v[173:174], v[30:31], -v[32:33]
	scratch_load_b128 v[30:33], off, off offset:832
	v_add_f64_e32 v[179:180], v[181:182], v[185:186]
	v_add_f64_e32 v[177:178], v[177:178], v[183:184]
	v_fma_f64 v[183:184], v[4:5], v[34:35], v[187:188]
	v_fma_f64 v[185:186], v[2:3], v[34:35], -v[36:37]
	ds_load_b128 v[2:5], v1 offset:1648
	s_wait_loadcnt_dscnt 0x801
	v_mul_f64_e32 v[181:182], v[169:170], v[167:168]
	v_mul_f64_e32 v[167:168], v[171:172], v[167:168]
	scratch_load_b128 v[34:37], off, off offset:848
	s_wait_loadcnt_dscnt 0x800
	v_mul_f64_e32 v[187:188], v[2:3], v[40:41]
	v_mul_f64_e32 v[40:41], v[4:5], v[40:41]
	v_add_f64_e32 v[179:180], v[179:180], v[173:174]
	v_add_f64_e32 v[177:178], v[177:178], v[175:176]
	ds_load_b128 v[173:176], v1 offset:1664
	v_fma_f64 v[171:172], v[171:172], v[165:166], v[181:182]
	v_fma_f64 v[169:170], v[169:170], v[165:166], -v[167:168]
	scratch_load_b128 v[165:168], off, off offset:864
	v_add_f64_e32 v[179:180], v[179:180], v[185:186]
	v_add_f64_e32 v[177:178], v[177:178], v[183:184]
	v_fma_f64 v[183:184], v[4:5], v[38:39], v[187:188]
	v_fma_f64 v[185:186], v[2:3], v[38:39], -v[40:41]
	ds_load_b128 v[2:5], v1 offset:1680
	s_wait_loadcnt_dscnt 0x801
	v_mul_f64_e32 v[181:182], v[173:174], v[8:9]
	v_mul_f64_e32 v[8:9], v[175:176], v[8:9]
	scratch_load_b128 v[38:41], off, off offset:880
	s_wait_loadcnt_dscnt 0x800
	v_mul_f64_e32 v[187:188], v[2:3], v[12:13]
	v_mul_f64_e32 v[12:13], v[4:5], v[12:13]
	v_add_f64_e32 v[179:180], v[179:180], v[169:170]
	v_add_f64_e32 v[177:178], v[177:178], v[171:172]
	ds_load_b128 v[169:172], v1 offset:1696
	v_fma_f64 v[175:176], v[175:176], v[6:7], v[181:182]
	v_fma_f64 v[173:174], v[173:174], v[6:7], -v[8:9]
	scratch_load_b128 v[6:9], off, off offset:896
	v_add_f64_e32 v[179:180], v[179:180], v[185:186]
	v_add_f64_e32 v[177:178], v[177:178], v[183:184]
	v_fma_f64 v[183:184], v[4:5], v[10:11], v[187:188]
	v_fma_f64 v[185:186], v[2:3], v[10:11], -v[12:13]
	ds_load_b128 v[2:5], v1 offset:1712
	s_wait_loadcnt_dscnt 0x801
	v_mul_f64_e32 v[181:182], v[169:170], v[16:17]
	v_mul_f64_e32 v[16:17], v[171:172], v[16:17]
	scratch_load_b128 v[10:13], off, off offset:912
	s_wait_loadcnt_dscnt 0x800
	v_mul_f64_e32 v[187:188], v[2:3], v[20:21]
	v_mul_f64_e32 v[20:21], v[4:5], v[20:21]
	v_add_f64_e32 v[179:180], v[179:180], v[173:174]
	v_add_f64_e32 v[177:178], v[177:178], v[175:176]
	ds_load_b128 v[173:176], v1 offset:1728
	v_fma_f64 v[171:172], v[171:172], v[14:15], v[181:182]
	v_fma_f64 v[169:170], v[169:170], v[14:15], -v[16:17]
	scratch_load_b128 v[14:17], off, off offset:928
	v_add_f64_e32 v[179:180], v[179:180], v[185:186]
	v_add_f64_e32 v[177:178], v[177:178], v[183:184]
	v_fma_f64 v[183:184], v[4:5], v[18:19], v[187:188]
	v_fma_f64 v[185:186], v[2:3], v[18:19], -v[20:21]
	ds_load_b128 v[2:5], v1 offset:1744
	s_wait_loadcnt_dscnt 0x801
	v_mul_f64_e32 v[181:182], v[173:174], v[24:25]
	v_mul_f64_e32 v[24:25], v[175:176], v[24:25]
	scratch_load_b128 v[18:21], off, off offset:944
	s_wait_loadcnt_dscnt 0x800
	v_mul_f64_e32 v[187:188], v[2:3], v[28:29]
	v_mul_f64_e32 v[28:29], v[4:5], v[28:29]
	v_add_f64_e32 v[179:180], v[179:180], v[169:170]
	v_add_f64_e32 v[177:178], v[177:178], v[171:172]
	ds_load_b128 v[169:172], v1 offset:1760
	v_fma_f64 v[175:176], v[175:176], v[22:23], v[181:182]
	v_fma_f64 v[22:23], v[173:174], v[22:23], -v[24:25]
	v_add_f64_e32 v[24:25], v[179:180], v[185:186]
	v_add_f64_e32 v[173:174], v[177:178], v[183:184]
	s_wait_loadcnt_dscnt 0x700
	v_mul_f64_e32 v[177:178], v[169:170], v[32:33]
	v_mul_f64_e32 v[32:33], v[171:172], v[32:33]
	v_fma_f64 v[179:180], v[4:5], v[26:27], v[187:188]
	v_fma_f64 v[26:27], v[2:3], v[26:27], -v[28:29]
	v_add_f64_e32 v[28:29], v[24:25], v[22:23]
	v_add_f64_e32 v[173:174], v[173:174], v[175:176]
	ds_load_b128 v[2:5], v1 offset:1776
	ds_load_b128 v[22:25], v1 offset:1792
	v_fma_f64 v[171:172], v[171:172], v[30:31], v[177:178]
	v_fma_f64 v[30:31], v[169:170], v[30:31], -v[32:33]
	s_wait_loadcnt_dscnt 0x601
	v_mul_f64_e32 v[175:176], v[2:3], v[36:37]
	v_mul_f64_e32 v[36:37], v[4:5], v[36:37]
	s_wait_loadcnt_dscnt 0x500
	v_mul_f64_e32 v[32:33], v[22:23], v[167:168]
	v_mul_f64_e32 v[167:168], v[24:25], v[167:168]
	v_add_f64_e32 v[26:27], v[28:29], v[26:27]
	v_add_f64_e32 v[28:29], v[173:174], v[179:180]
	v_fma_f64 v[169:170], v[4:5], v[34:35], v[175:176]
	v_fma_f64 v[34:35], v[2:3], v[34:35], -v[36:37]
	v_fma_f64 v[24:25], v[24:25], v[165:166], v[32:33]
	v_fma_f64 v[22:23], v[22:23], v[165:166], -v[167:168]
	v_add_f64_e32 v[30:31], v[26:27], v[30:31]
	v_add_f64_e32 v[36:37], v[28:29], v[171:172]
	ds_load_b128 v[2:5], v1 offset:1808
	ds_load_b128 v[26:29], v1 offset:1824
	s_wait_loadcnt_dscnt 0x401
	v_mul_f64_e32 v[171:172], v[2:3], v[40:41]
	v_mul_f64_e32 v[40:41], v[4:5], v[40:41]
	v_add_f64_e32 v[30:31], v[30:31], v[34:35]
	v_add_f64_e32 v[32:33], v[36:37], v[169:170]
	s_wait_loadcnt_dscnt 0x300
	v_mul_f64_e32 v[34:35], v[26:27], v[8:9]
	v_mul_f64_e32 v[8:9], v[28:29], v[8:9]
	v_fma_f64 v[36:37], v[4:5], v[38:39], v[171:172]
	v_fma_f64 v[38:39], v[2:3], v[38:39], -v[40:41]
	v_add_f64_e32 v[30:31], v[30:31], v[22:23]
	v_add_f64_e32 v[32:33], v[32:33], v[24:25]
	ds_load_b128 v[2:5], v1 offset:1840
	ds_load_b128 v[22:25], v1 offset:1856
	v_fma_f64 v[28:29], v[28:29], v[6:7], v[34:35]
	v_fma_f64 v[6:7], v[26:27], v[6:7], -v[8:9]
	s_wait_loadcnt_dscnt 0x201
	v_mul_f64_e32 v[40:41], v[2:3], v[12:13]
	v_mul_f64_e32 v[12:13], v[4:5], v[12:13]
	v_add_f64_e32 v[8:9], v[30:31], v[38:39]
	v_add_f64_e32 v[26:27], v[32:33], v[36:37]
	s_wait_loadcnt_dscnt 0x100
	v_mul_f64_e32 v[30:31], v[22:23], v[16:17]
	v_mul_f64_e32 v[16:17], v[24:25], v[16:17]
	v_fma_f64 v[32:33], v[4:5], v[10:11], v[40:41]
	v_fma_f64 v[10:11], v[2:3], v[10:11], -v[12:13]
	ds_load_b128 v[2:5], v1 offset:1872
	v_add_f64_e32 v[6:7], v[8:9], v[6:7]
	v_add_f64_e32 v[8:9], v[26:27], v[28:29]
	v_fma_f64 v[24:25], v[24:25], v[14:15], v[30:31]
	v_fma_f64 v[14:15], v[22:23], v[14:15], -v[16:17]
	s_wait_loadcnt_dscnt 0x0
	v_mul_f64_e32 v[12:13], v[2:3], v[20:21]
	v_mul_f64_e32 v[20:21], v[4:5], v[20:21]
	v_add_f64_e32 v[6:7], v[6:7], v[10:11]
	v_add_f64_e32 v[8:9], v[8:9], v[32:33]
	s_delay_alu instid0(VALU_DEP_4) | instskip(NEXT) | instid1(VALU_DEP_4)
	v_fma_f64 v[4:5], v[4:5], v[18:19], v[12:13]
	v_fma_f64 v[2:3], v[2:3], v[18:19], -v[20:21]
	s_delay_alu instid0(VALU_DEP_4) | instskip(NEXT) | instid1(VALU_DEP_4)
	v_add_f64_e32 v[6:7], v[6:7], v[14:15]
	v_add_f64_e32 v[8:9], v[8:9], v[24:25]
	s_delay_alu instid0(VALU_DEP_2) | instskip(NEXT) | instid1(VALU_DEP_2)
	v_add_f64_e32 v[2:3], v[6:7], v[2:3]
	v_add_f64_e32 v[4:5], v[8:9], v[4:5]
	s_delay_alu instid0(VALU_DEP_2) | instskip(NEXT) | instid1(VALU_DEP_2)
	v_add_f64_e64 v[2:3], v[42:43], -v[2:3]
	v_add_f64_e64 v[4:5], v[44:45], -v[4:5]
	scratch_store_b128 off, v[2:5], off offset:384
	v_cmpx_lt_u32_e32 22, v0
	s_cbranch_execz .LBB58_323
; %bb.322:
	scratch_load_b128 v[5:8], off, s50
	v_dual_mov_b32 v2, v1 :: v_dual_mov_b32 v3, v1
	v_mov_b32_e32 v4, v1
	scratch_store_b128 off, v[1:4], off offset:368
	s_wait_loadcnt 0x0
	ds_store_b128 v164, v[5:8]
.LBB58_323:
	s_wait_alu 0xfffe
	s_or_b32 exec_lo, exec_lo, s0
	s_wait_storecnt_dscnt 0x0
	s_barrier_signal -1
	s_barrier_wait -1
	global_inv scope:SCOPE_SE
	s_clause 0x8
	scratch_load_b128 v[2:5], off, off offset:384
	scratch_load_b128 v[6:9], off, off offset:400
	;; [unrolled: 1-line block ×9, first 2 shown]
	ds_load_b128 v[38:41], v1 offset:1312
	ds_load_b128 v[42:45], v1 offset:1328
	s_clause 0x1
	scratch_load_b128 v[165:168], off, off offset:368
	scratch_load_b128 v[169:172], off, off offset:528
	s_mov_b32 s0, exec_lo
	s_wait_loadcnt_dscnt 0xa01
	v_mul_f64_e32 v[173:174], v[40:41], v[4:5]
	v_mul_f64_e32 v[4:5], v[38:39], v[4:5]
	s_wait_loadcnt_dscnt 0x900
	v_mul_f64_e32 v[177:178], v[42:43], v[8:9]
	v_mul_f64_e32 v[8:9], v[44:45], v[8:9]
	s_delay_alu instid0(VALU_DEP_4) | instskip(NEXT) | instid1(VALU_DEP_4)
	v_fma_f64 v[179:180], v[38:39], v[2:3], -v[173:174]
	v_fma_f64 v[181:182], v[40:41], v[2:3], v[4:5]
	ds_load_b128 v[2:5], v1 offset:1344
	ds_load_b128 v[173:176], v1 offset:1360
	scratch_load_b128 v[38:41], off, off offset:544
	v_fma_f64 v[44:45], v[44:45], v[6:7], v[177:178]
	v_fma_f64 v[42:43], v[42:43], v[6:7], -v[8:9]
	scratch_load_b128 v[6:9], off, off offset:560
	s_wait_loadcnt_dscnt 0xa01
	v_mul_f64_e32 v[183:184], v[2:3], v[12:13]
	v_mul_f64_e32 v[12:13], v[4:5], v[12:13]
	v_add_f64_e32 v[177:178], 0, v[179:180]
	v_add_f64_e32 v[179:180], 0, v[181:182]
	s_wait_loadcnt_dscnt 0x900
	v_mul_f64_e32 v[181:182], v[173:174], v[16:17]
	v_mul_f64_e32 v[16:17], v[175:176], v[16:17]
	v_fma_f64 v[183:184], v[4:5], v[10:11], v[183:184]
	v_fma_f64 v[185:186], v[2:3], v[10:11], -v[12:13]
	ds_load_b128 v[2:5], v1 offset:1376
	scratch_load_b128 v[10:13], off, off offset:576
	v_add_f64_e32 v[177:178], v[177:178], v[42:43]
	v_add_f64_e32 v[179:180], v[179:180], v[44:45]
	ds_load_b128 v[42:45], v1 offset:1392
	v_fma_f64 v[175:176], v[175:176], v[14:15], v[181:182]
	v_fma_f64 v[173:174], v[173:174], v[14:15], -v[16:17]
	scratch_load_b128 v[14:17], off, off offset:592
	s_wait_loadcnt_dscnt 0xa01
	v_mul_f64_e32 v[187:188], v[2:3], v[20:21]
	v_mul_f64_e32 v[20:21], v[4:5], v[20:21]
	s_wait_loadcnt_dscnt 0x900
	v_mul_f64_e32 v[181:182], v[42:43], v[24:25]
	v_mul_f64_e32 v[24:25], v[44:45], v[24:25]
	v_add_f64_e32 v[177:178], v[177:178], v[185:186]
	v_add_f64_e32 v[179:180], v[179:180], v[183:184]
	v_fma_f64 v[183:184], v[4:5], v[18:19], v[187:188]
	v_fma_f64 v[185:186], v[2:3], v[18:19], -v[20:21]
	ds_load_b128 v[2:5], v1 offset:1408
	scratch_load_b128 v[18:21], off, off offset:608
	v_fma_f64 v[44:45], v[44:45], v[22:23], v[181:182]
	v_fma_f64 v[42:43], v[42:43], v[22:23], -v[24:25]
	scratch_load_b128 v[22:25], off, off offset:624
	v_add_f64_e32 v[177:178], v[177:178], v[173:174]
	v_add_f64_e32 v[179:180], v[179:180], v[175:176]
	ds_load_b128 v[173:176], v1 offset:1424
	s_wait_loadcnt_dscnt 0xa01
	v_mul_f64_e32 v[187:188], v[2:3], v[28:29]
	v_mul_f64_e32 v[28:29], v[4:5], v[28:29]
	s_wait_loadcnt_dscnt 0x900
	v_mul_f64_e32 v[181:182], v[173:174], v[32:33]
	v_mul_f64_e32 v[32:33], v[175:176], v[32:33]
	v_add_f64_e32 v[177:178], v[177:178], v[185:186]
	v_add_f64_e32 v[179:180], v[179:180], v[183:184]
	v_fma_f64 v[183:184], v[4:5], v[26:27], v[187:188]
	v_fma_f64 v[185:186], v[2:3], v[26:27], -v[28:29]
	ds_load_b128 v[2:5], v1 offset:1440
	scratch_load_b128 v[26:29], off, off offset:640
	v_fma_f64 v[175:176], v[175:176], v[30:31], v[181:182]
	v_fma_f64 v[173:174], v[173:174], v[30:31], -v[32:33]
	scratch_load_b128 v[30:33], off, off offset:656
	v_add_f64_e32 v[177:178], v[177:178], v[42:43]
	v_add_f64_e32 v[179:180], v[179:180], v[44:45]
	ds_load_b128 v[42:45], v1 offset:1456
	s_wait_loadcnt_dscnt 0xa01
	v_mul_f64_e32 v[187:188], v[2:3], v[36:37]
	v_mul_f64_e32 v[36:37], v[4:5], v[36:37]
	s_wait_loadcnt_dscnt 0x800
	v_mul_f64_e32 v[181:182], v[42:43], v[171:172]
	v_add_f64_e32 v[177:178], v[177:178], v[185:186]
	v_add_f64_e32 v[179:180], v[179:180], v[183:184]
	v_mul_f64_e32 v[183:184], v[44:45], v[171:172]
	v_fma_f64 v[185:186], v[4:5], v[34:35], v[187:188]
	v_fma_f64 v[187:188], v[2:3], v[34:35], -v[36:37]
	ds_load_b128 v[2:5], v1 offset:1472
	scratch_load_b128 v[34:37], off, off offset:672
	v_fma_f64 v[44:45], v[44:45], v[169:170], v[181:182]
	v_add_f64_e32 v[177:178], v[177:178], v[173:174]
	v_add_f64_e32 v[175:176], v[179:180], v[175:176]
	ds_load_b128 v[171:174], v1 offset:1488
	v_fma_f64 v[169:170], v[42:43], v[169:170], -v[183:184]
	s_wait_loadcnt_dscnt 0x801
	v_mul_f64_e32 v[179:180], v[2:3], v[40:41]
	v_mul_f64_e32 v[189:190], v[4:5], v[40:41]
	scratch_load_b128 v[40:43], off, off offset:688
	s_wait_loadcnt_dscnt 0x800
	v_mul_f64_e32 v[183:184], v[171:172], v[8:9]
	v_mul_f64_e32 v[8:9], v[173:174], v[8:9]
	v_add_f64_e32 v[177:178], v[177:178], v[187:188]
	v_add_f64_e32 v[175:176], v[175:176], v[185:186]
	v_fma_f64 v[185:186], v[4:5], v[38:39], v[179:180]
	v_fma_f64 v[38:39], v[2:3], v[38:39], -v[189:190]
	ds_load_b128 v[2:5], v1 offset:1504
	ds_load_b128 v[179:182], v1 offset:1520
	v_fma_f64 v[173:174], v[173:174], v[6:7], v[183:184]
	v_fma_f64 v[171:172], v[171:172], v[6:7], -v[8:9]
	scratch_load_b128 v[6:9], off, off offset:720
	v_add_f64_e32 v[169:170], v[177:178], v[169:170]
	v_add_f64_e32 v[44:45], v[175:176], v[44:45]
	scratch_load_b128 v[175:178], off, off offset:704
	s_wait_loadcnt_dscnt 0x901
	v_mul_f64_e32 v[187:188], v[2:3], v[12:13]
	v_mul_f64_e32 v[12:13], v[4:5], v[12:13]
	s_wait_loadcnt_dscnt 0x800
	v_mul_f64_e32 v[183:184], v[179:180], v[16:17]
	v_mul_f64_e32 v[16:17], v[181:182], v[16:17]
	v_add_f64_e32 v[38:39], v[169:170], v[38:39]
	v_add_f64_e32 v[44:45], v[44:45], v[185:186]
	v_fma_f64 v[185:186], v[4:5], v[10:11], v[187:188]
	v_fma_f64 v[187:188], v[2:3], v[10:11], -v[12:13]
	ds_load_b128 v[2:5], v1 offset:1536
	scratch_load_b128 v[10:13], off, off offset:736
	v_fma_f64 v[181:182], v[181:182], v[14:15], v[183:184]
	v_fma_f64 v[179:180], v[179:180], v[14:15], -v[16:17]
	scratch_load_b128 v[14:17], off, off offset:752
	v_add_f64_e32 v[38:39], v[38:39], v[171:172]
	v_add_f64_e32 v[44:45], v[44:45], v[173:174]
	ds_load_b128 v[169:172], v1 offset:1552
	s_wait_loadcnt_dscnt 0x901
	v_mul_f64_e32 v[173:174], v[2:3], v[20:21]
	v_mul_f64_e32 v[20:21], v[4:5], v[20:21]
	s_wait_loadcnt_dscnt 0x800
	v_mul_f64_e32 v[183:184], v[169:170], v[24:25]
	v_mul_f64_e32 v[24:25], v[171:172], v[24:25]
	v_add_f64_e32 v[38:39], v[38:39], v[187:188]
	v_add_f64_e32 v[44:45], v[44:45], v[185:186]
	v_fma_f64 v[173:174], v[4:5], v[18:19], v[173:174]
	v_fma_f64 v[185:186], v[2:3], v[18:19], -v[20:21]
	ds_load_b128 v[2:5], v1 offset:1568
	scratch_load_b128 v[18:21], off, off offset:768
	v_fma_f64 v[171:172], v[171:172], v[22:23], v[183:184]
	v_fma_f64 v[169:170], v[169:170], v[22:23], -v[24:25]
	scratch_load_b128 v[22:25], off, off offset:784
	v_add_f64_e32 v[38:39], v[38:39], v[179:180]
	v_add_f64_e32 v[44:45], v[44:45], v[181:182]
	ds_load_b128 v[179:182], v1 offset:1584
	s_wait_loadcnt_dscnt 0x901
	v_mul_f64_e32 v[187:188], v[2:3], v[28:29]
	v_mul_f64_e32 v[28:29], v[4:5], v[28:29]
	v_add_f64_e32 v[38:39], v[38:39], v[185:186]
	v_add_f64_e32 v[44:45], v[44:45], v[173:174]
	s_wait_loadcnt_dscnt 0x800
	v_mul_f64_e32 v[173:174], v[179:180], v[32:33]
	v_mul_f64_e32 v[32:33], v[181:182], v[32:33]
	v_fma_f64 v[183:184], v[4:5], v[26:27], v[187:188]
	v_fma_f64 v[185:186], v[2:3], v[26:27], -v[28:29]
	ds_load_b128 v[2:5], v1 offset:1600
	scratch_load_b128 v[26:29], off, off offset:800
	v_add_f64_e32 v[38:39], v[38:39], v[169:170]
	v_add_f64_e32 v[44:45], v[44:45], v[171:172]
	ds_load_b128 v[169:172], v1 offset:1616
	s_wait_loadcnt_dscnt 0x801
	v_mul_f64_e32 v[187:188], v[2:3], v[36:37]
	v_mul_f64_e32 v[36:37], v[4:5], v[36:37]
	v_fma_f64 v[173:174], v[181:182], v[30:31], v[173:174]
	v_fma_f64 v[179:180], v[179:180], v[30:31], -v[32:33]
	scratch_load_b128 v[30:33], off, off offset:816
	s_wait_loadcnt_dscnt 0x800
	v_mul_f64_e32 v[181:182], v[169:170], v[42:43]
	v_add_f64_e32 v[38:39], v[38:39], v[185:186]
	v_add_f64_e32 v[44:45], v[44:45], v[183:184]
	v_mul_f64_e32 v[183:184], v[171:172], v[42:43]
	v_fma_f64 v[185:186], v[4:5], v[34:35], v[187:188]
	v_fma_f64 v[187:188], v[2:3], v[34:35], -v[36:37]
	ds_load_b128 v[2:5], v1 offset:1632
	scratch_load_b128 v[34:37], off, off offset:832
	v_fma_f64 v[171:172], v[171:172], v[40:41], v[181:182]
	v_add_f64_e32 v[38:39], v[38:39], v[179:180]
	v_add_f64_e32 v[173:174], v[44:45], v[173:174]
	ds_load_b128 v[42:45], v1 offset:1648
	v_fma_f64 v[169:170], v[169:170], v[40:41], -v[183:184]
	s_wait_loadcnt_dscnt 0x701
	v_mul_f64_e32 v[179:180], v[2:3], v[177:178]
	v_mul_f64_e32 v[177:178], v[4:5], v[177:178]
	s_wait_dscnt 0x0
	v_mul_f64_e32 v[183:184], v[42:43], v[8:9]
	v_mul_f64_e32 v[8:9], v[44:45], v[8:9]
	v_add_f64_e32 v[181:182], v[38:39], v[187:188]
	v_add_f64_e32 v[173:174], v[173:174], v[185:186]
	scratch_load_b128 v[38:41], off, off offset:848
	v_fma_f64 v[179:180], v[4:5], v[175:176], v[179:180]
	v_fma_f64 v[177:178], v[2:3], v[175:176], -v[177:178]
	ds_load_b128 v[2:5], v1 offset:1664
	v_fma_f64 v[44:45], v[44:45], v[6:7], v[183:184]
	v_fma_f64 v[42:43], v[42:43], v[6:7], -v[8:9]
	scratch_load_b128 v[6:9], off, off offset:880
	v_add_f64_e32 v[181:182], v[181:182], v[169:170]
	v_add_f64_e32 v[185:186], v[173:174], v[171:172]
	scratch_load_b128 v[169:172], off, off offset:864
	ds_load_b128 v[173:176], v1 offset:1680
	s_wait_loadcnt_dscnt 0x901
	v_mul_f64_e32 v[187:188], v[2:3], v[12:13]
	v_mul_f64_e32 v[12:13], v[4:5], v[12:13]
	v_add_f64_e32 v[177:178], v[181:182], v[177:178]
	v_add_f64_e32 v[179:180], v[185:186], v[179:180]
	s_wait_loadcnt_dscnt 0x800
	v_mul_f64_e32 v[181:182], v[173:174], v[16:17]
	v_mul_f64_e32 v[16:17], v[175:176], v[16:17]
	v_fma_f64 v[183:184], v[4:5], v[10:11], v[187:188]
	v_fma_f64 v[185:186], v[2:3], v[10:11], -v[12:13]
	ds_load_b128 v[2:5], v1 offset:1696
	scratch_load_b128 v[10:13], off, off offset:896
	v_add_f64_e32 v[177:178], v[177:178], v[42:43]
	v_add_f64_e32 v[179:180], v[179:180], v[44:45]
	ds_load_b128 v[42:45], v1 offset:1712
	s_wait_loadcnt_dscnt 0x801
	v_mul_f64_e32 v[187:188], v[2:3], v[20:21]
	v_mul_f64_e32 v[20:21], v[4:5], v[20:21]
	v_fma_f64 v[175:176], v[175:176], v[14:15], v[181:182]
	v_fma_f64 v[173:174], v[173:174], v[14:15], -v[16:17]
	scratch_load_b128 v[14:17], off, off offset:912
	s_wait_loadcnt_dscnt 0x800
	v_mul_f64_e32 v[181:182], v[42:43], v[24:25]
	v_mul_f64_e32 v[24:25], v[44:45], v[24:25]
	v_add_f64_e32 v[177:178], v[177:178], v[185:186]
	v_add_f64_e32 v[179:180], v[179:180], v[183:184]
	v_fma_f64 v[183:184], v[4:5], v[18:19], v[187:188]
	v_fma_f64 v[185:186], v[2:3], v[18:19], -v[20:21]
	ds_load_b128 v[2:5], v1 offset:1728
	scratch_load_b128 v[18:21], off, off offset:928
	v_fma_f64 v[44:45], v[44:45], v[22:23], v[181:182]
	v_fma_f64 v[42:43], v[42:43], v[22:23], -v[24:25]
	scratch_load_b128 v[22:25], off, off offset:944
	v_add_f64_e32 v[177:178], v[177:178], v[173:174]
	v_add_f64_e32 v[179:180], v[179:180], v[175:176]
	ds_load_b128 v[173:176], v1 offset:1744
	s_wait_loadcnt_dscnt 0x901
	v_mul_f64_e32 v[187:188], v[2:3], v[28:29]
	v_mul_f64_e32 v[28:29], v[4:5], v[28:29]
	s_wait_loadcnt_dscnt 0x800
	v_mul_f64_e32 v[181:182], v[173:174], v[32:33]
	v_mul_f64_e32 v[32:33], v[175:176], v[32:33]
	v_add_f64_e32 v[177:178], v[177:178], v[185:186]
	v_add_f64_e32 v[179:180], v[179:180], v[183:184]
	v_fma_f64 v[183:184], v[4:5], v[26:27], v[187:188]
	v_fma_f64 v[185:186], v[2:3], v[26:27], -v[28:29]
	ds_load_b128 v[2:5], v1 offset:1760
	ds_load_b128 v[26:29], v1 offset:1776
	v_fma_f64 v[175:176], v[175:176], v[30:31], v[181:182]
	v_fma_f64 v[30:31], v[173:174], v[30:31], -v[32:33]
	v_add_f64_e32 v[42:43], v[177:178], v[42:43]
	v_add_f64_e32 v[44:45], v[179:180], v[44:45]
	s_wait_loadcnt_dscnt 0x701
	v_mul_f64_e32 v[177:178], v[2:3], v[36:37]
	v_mul_f64_e32 v[36:37], v[4:5], v[36:37]
	s_delay_alu instid0(VALU_DEP_4) | instskip(NEXT) | instid1(VALU_DEP_4)
	v_add_f64_e32 v[32:33], v[42:43], v[185:186]
	v_add_f64_e32 v[42:43], v[44:45], v[183:184]
	s_delay_alu instid0(VALU_DEP_4) | instskip(NEXT) | instid1(VALU_DEP_4)
	v_fma_f64 v[173:174], v[4:5], v[34:35], v[177:178]
	v_fma_f64 v[34:35], v[2:3], v[34:35], -v[36:37]
	s_wait_loadcnt_dscnt 0x600
	v_mul_f64_e32 v[44:45], v[26:27], v[40:41]
	v_mul_f64_e32 v[40:41], v[28:29], v[40:41]
	v_add_f64_e32 v[36:37], v[32:33], v[30:31]
	v_add_f64_e32 v[42:43], v[42:43], v[175:176]
	ds_load_b128 v[2:5], v1 offset:1792
	ds_load_b128 v[30:33], v1 offset:1808
	v_fma_f64 v[28:29], v[28:29], v[38:39], v[44:45]
	v_fma_f64 v[26:27], v[26:27], v[38:39], -v[40:41]
	s_wait_loadcnt_dscnt 0x401
	v_mul_f64_e32 v[175:176], v[2:3], v[171:172]
	v_mul_f64_e32 v[171:172], v[4:5], v[171:172]
	s_wait_dscnt 0x0
	v_mul_f64_e32 v[38:39], v[30:31], v[8:9]
	v_mul_f64_e32 v[8:9], v[32:33], v[8:9]
	v_add_f64_e32 v[34:35], v[36:37], v[34:35]
	v_add_f64_e32 v[36:37], v[42:43], v[173:174]
	v_fma_f64 v[40:41], v[4:5], v[169:170], v[175:176]
	v_fma_f64 v[42:43], v[2:3], v[169:170], -v[171:172]
	v_fma_f64 v[32:33], v[32:33], v[6:7], v[38:39]
	v_fma_f64 v[6:7], v[30:31], v[6:7], -v[8:9]
	v_add_f64_e32 v[34:35], v[34:35], v[26:27]
	v_add_f64_e32 v[36:37], v[36:37], v[28:29]
	ds_load_b128 v[2:5], v1 offset:1824
	ds_load_b128 v[26:29], v1 offset:1840
	s_wait_loadcnt_dscnt 0x301
	v_mul_f64_e32 v[44:45], v[2:3], v[12:13]
	v_mul_f64_e32 v[12:13], v[4:5], v[12:13]
	v_add_f64_e32 v[8:9], v[34:35], v[42:43]
	v_add_f64_e32 v[30:31], v[36:37], v[40:41]
	s_wait_loadcnt_dscnt 0x200
	v_mul_f64_e32 v[34:35], v[26:27], v[16:17]
	v_mul_f64_e32 v[16:17], v[28:29], v[16:17]
	v_fma_f64 v[36:37], v[4:5], v[10:11], v[44:45]
	v_fma_f64 v[10:11], v[2:3], v[10:11], -v[12:13]
	v_add_f64_e32 v[12:13], v[8:9], v[6:7]
	v_add_f64_e32 v[30:31], v[30:31], v[32:33]
	ds_load_b128 v[2:5], v1 offset:1856
	ds_load_b128 v[6:9], v1 offset:1872
	v_fma_f64 v[28:29], v[28:29], v[14:15], v[34:35]
	v_fma_f64 v[14:15], v[26:27], v[14:15], -v[16:17]
	s_wait_loadcnt_dscnt 0x101
	v_mul_f64_e32 v[32:33], v[2:3], v[20:21]
	v_mul_f64_e32 v[20:21], v[4:5], v[20:21]
	s_wait_loadcnt_dscnt 0x0
	v_mul_f64_e32 v[16:17], v[6:7], v[24:25]
	v_mul_f64_e32 v[24:25], v[8:9], v[24:25]
	v_add_f64_e32 v[10:11], v[12:13], v[10:11]
	v_add_f64_e32 v[12:13], v[30:31], v[36:37]
	v_fma_f64 v[4:5], v[4:5], v[18:19], v[32:33]
	v_fma_f64 v[1:2], v[2:3], v[18:19], -v[20:21]
	v_fma_f64 v[8:9], v[8:9], v[22:23], v[16:17]
	v_fma_f64 v[6:7], v[6:7], v[22:23], -v[24:25]
	v_add_f64_e32 v[10:11], v[10:11], v[14:15]
	v_add_f64_e32 v[12:13], v[12:13], v[28:29]
	s_delay_alu instid0(VALU_DEP_2) | instskip(NEXT) | instid1(VALU_DEP_2)
	v_add_f64_e32 v[1:2], v[10:11], v[1:2]
	v_add_f64_e32 v[3:4], v[12:13], v[4:5]
	s_delay_alu instid0(VALU_DEP_2) | instskip(NEXT) | instid1(VALU_DEP_2)
	;; [unrolled: 3-line block ×3, first 2 shown]
	v_add_f64_e64 v[1:2], v[165:166], -v[1:2]
	v_add_f64_e64 v[3:4], v[167:168], -v[3:4]
	scratch_store_b128 off, v[1:4], off offset:368
	v_cmpx_lt_u32_e32 21, v0
	s_cbranch_execz .LBB58_325
; %bb.324:
	scratch_load_b128 v[1:4], off, s51
	v_mov_b32_e32 v5, 0
	s_delay_alu instid0(VALU_DEP_1)
	v_dual_mov_b32 v6, v5 :: v_dual_mov_b32 v7, v5
	v_mov_b32_e32 v8, v5
	scratch_store_b128 off, v[5:8], off offset:352
	s_wait_loadcnt 0x0
	ds_store_b128 v164, v[1:4]
.LBB58_325:
	s_wait_alu 0xfffe
	s_or_b32 exec_lo, exec_lo, s0
	s_wait_storecnt_dscnt 0x0
	s_barrier_signal -1
	s_barrier_wait -1
	global_inv scope:SCOPE_SE
	s_clause 0x7
	scratch_load_b128 v[2:5], off, off offset:368
	scratch_load_b128 v[6:9], off, off offset:384
	;; [unrolled: 1-line block ×8, first 2 shown]
	v_mov_b32_e32 v1, 0
	s_mov_b32 s0, exec_lo
	ds_load_b128 v[38:41], v1 offset:1296
	s_clause 0x1
	scratch_load_b128 v[34:37], off, off offset:496
	scratch_load_b128 v[42:45], off, off offset:352
	ds_load_b128 v[165:168], v1 offset:1312
	scratch_load_b128 v[169:172], off, off offset:512
	s_wait_loadcnt_dscnt 0xa01
	v_mul_f64_e32 v[173:174], v[40:41], v[4:5]
	v_mul_f64_e32 v[4:5], v[38:39], v[4:5]
	s_delay_alu instid0(VALU_DEP_2) | instskip(NEXT) | instid1(VALU_DEP_2)
	v_fma_f64 v[179:180], v[38:39], v[2:3], -v[173:174]
	v_fma_f64 v[181:182], v[40:41], v[2:3], v[4:5]
	ds_load_b128 v[2:5], v1 offset:1328
	s_wait_loadcnt_dscnt 0x901
	v_mul_f64_e32 v[177:178], v[165:166], v[8:9]
	v_mul_f64_e32 v[8:9], v[167:168], v[8:9]
	scratch_load_b128 v[38:41], off, off offset:528
	ds_load_b128 v[173:176], v1 offset:1344
	s_wait_loadcnt_dscnt 0x901
	v_mul_f64_e32 v[183:184], v[2:3], v[12:13]
	v_mul_f64_e32 v[12:13], v[4:5], v[12:13]
	v_fma_f64 v[167:168], v[167:168], v[6:7], v[177:178]
	v_fma_f64 v[165:166], v[165:166], v[6:7], -v[8:9]
	v_add_f64_e32 v[177:178], 0, v[179:180]
	v_add_f64_e32 v[179:180], 0, v[181:182]
	scratch_load_b128 v[6:9], off, off offset:544
	v_fma_f64 v[183:184], v[4:5], v[10:11], v[183:184]
	v_fma_f64 v[185:186], v[2:3], v[10:11], -v[12:13]
	ds_load_b128 v[2:5], v1 offset:1360
	s_wait_loadcnt_dscnt 0x901
	v_mul_f64_e32 v[181:182], v[173:174], v[16:17]
	v_mul_f64_e32 v[16:17], v[175:176], v[16:17]
	scratch_load_b128 v[10:13], off, off offset:560
	v_add_f64_e32 v[177:178], v[177:178], v[165:166]
	v_add_f64_e32 v[179:180], v[179:180], v[167:168]
	s_wait_loadcnt_dscnt 0x900
	v_mul_f64_e32 v[187:188], v[2:3], v[20:21]
	v_mul_f64_e32 v[20:21], v[4:5], v[20:21]
	ds_load_b128 v[165:168], v1 offset:1376
	v_fma_f64 v[175:176], v[175:176], v[14:15], v[181:182]
	v_fma_f64 v[173:174], v[173:174], v[14:15], -v[16:17]
	scratch_load_b128 v[14:17], off, off offset:576
	v_add_f64_e32 v[177:178], v[177:178], v[185:186]
	v_add_f64_e32 v[179:180], v[179:180], v[183:184]
	v_fma_f64 v[183:184], v[4:5], v[18:19], v[187:188]
	v_fma_f64 v[185:186], v[2:3], v[18:19], -v[20:21]
	ds_load_b128 v[2:5], v1 offset:1392
	s_wait_loadcnt_dscnt 0x901
	v_mul_f64_e32 v[181:182], v[165:166], v[24:25]
	v_mul_f64_e32 v[24:25], v[167:168], v[24:25]
	scratch_load_b128 v[18:21], off, off offset:592
	s_wait_loadcnt_dscnt 0x900
	v_mul_f64_e32 v[187:188], v[2:3], v[28:29]
	v_mul_f64_e32 v[28:29], v[4:5], v[28:29]
	v_add_f64_e32 v[177:178], v[177:178], v[173:174]
	v_add_f64_e32 v[179:180], v[179:180], v[175:176]
	ds_load_b128 v[173:176], v1 offset:1408
	v_fma_f64 v[167:168], v[167:168], v[22:23], v[181:182]
	v_fma_f64 v[165:166], v[165:166], v[22:23], -v[24:25]
	scratch_load_b128 v[22:25], off, off offset:608
	v_add_f64_e32 v[177:178], v[177:178], v[185:186]
	v_add_f64_e32 v[179:180], v[179:180], v[183:184]
	v_fma_f64 v[183:184], v[4:5], v[26:27], v[187:188]
	v_fma_f64 v[185:186], v[2:3], v[26:27], -v[28:29]
	ds_load_b128 v[2:5], v1 offset:1424
	s_wait_loadcnt_dscnt 0x901
	v_mul_f64_e32 v[181:182], v[173:174], v[32:33]
	v_mul_f64_e32 v[32:33], v[175:176], v[32:33]
	scratch_load_b128 v[26:29], off, off offset:624
	s_wait_loadcnt_dscnt 0x900
	v_mul_f64_e32 v[187:188], v[2:3], v[36:37]
	v_mul_f64_e32 v[36:37], v[4:5], v[36:37]
	v_add_f64_e32 v[177:178], v[177:178], v[165:166]
	v_add_f64_e32 v[179:180], v[179:180], v[167:168]
	ds_load_b128 v[165:168], v1 offset:1440
	v_fma_f64 v[175:176], v[175:176], v[30:31], v[181:182]
	v_fma_f64 v[173:174], v[173:174], v[30:31], -v[32:33]
	scratch_load_b128 v[30:33], off, off offset:640
	v_add_f64_e32 v[177:178], v[177:178], v[185:186]
	v_add_f64_e32 v[179:180], v[179:180], v[183:184]
	v_fma_f64 v[185:186], v[4:5], v[34:35], v[187:188]
	v_fma_f64 v[187:188], v[2:3], v[34:35], -v[36:37]
	ds_load_b128 v[2:5], v1 offset:1456
	s_wait_loadcnt_dscnt 0x801
	v_mul_f64_e32 v[181:182], v[165:166], v[171:172]
	v_mul_f64_e32 v[183:184], v[167:168], v[171:172]
	scratch_load_b128 v[34:37], off, off offset:656
	v_add_f64_e32 v[177:178], v[177:178], v[173:174]
	v_add_f64_e32 v[175:176], v[179:180], v[175:176]
	ds_load_b128 v[171:174], v1 offset:1472
	v_fma_f64 v[181:182], v[167:168], v[169:170], v[181:182]
	v_fma_f64 v[169:170], v[165:166], v[169:170], -v[183:184]
	scratch_load_b128 v[165:168], off, off offset:672
	s_wait_loadcnt_dscnt 0x901
	v_mul_f64_e32 v[179:180], v[2:3], v[40:41]
	v_mul_f64_e32 v[40:41], v[4:5], v[40:41]
	v_add_f64_e32 v[177:178], v[177:178], v[187:188]
	v_add_f64_e32 v[175:176], v[175:176], v[185:186]
	s_delay_alu instid0(VALU_DEP_4) | instskip(NEXT) | instid1(VALU_DEP_4)
	v_fma_f64 v[179:180], v[4:5], v[38:39], v[179:180]
	v_fma_f64 v[185:186], v[2:3], v[38:39], -v[40:41]
	ds_load_b128 v[2:5], v1 offset:1488
	s_wait_loadcnt_dscnt 0x801
	v_mul_f64_e32 v[183:184], v[171:172], v[8:9]
	v_mul_f64_e32 v[8:9], v[173:174], v[8:9]
	scratch_load_b128 v[38:41], off, off offset:688
	s_wait_loadcnt_dscnt 0x800
	v_mul_f64_e32 v[187:188], v[2:3], v[12:13]
	v_add_f64_e32 v[169:170], v[177:178], v[169:170]
	v_add_f64_e32 v[181:182], v[175:176], v[181:182]
	v_mul_f64_e32 v[12:13], v[4:5], v[12:13]
	ds_load_b128 v[175:178], v1 offset:1504
	v_fma_f64 v[173:174], v[173:174], v[6:7], v[183:184]
	v_fma_f64 v[171:172], v[171:172], v[6:7], -v[8:9]
	scratch_load_b128 v[6:9], off, off offset:704
	v_fma_f64 v[183:184], v[4:5], v[10:11], v[187:188]
	v_add_f64_e32 v[169:170], v[169:170], v[185:186]
	v_add_f64_e32 v[179:180], v[181:182], v[179:180]
	v_fma_f64 v[185:186], v[2:3], v[10:11], -v[12:13]
	ds_load_b128 v[2:5], v1 offset:1520
	s_wait_loadcnt_dscnt 0x801
	v_mul_f64_e32 v[181:182], v[175:176], v[16:17]
	v_mul_f64_e32 v[16:17], v[177:178], v[16:17]
	scratch_load_b128 v[10:13], off, off offset:720
	v_add_f64_e32 v[187:188], v[169:170], v[171:172]
	v_add_f64_e32 v[173:174], v[179:180], v[173:174]
	s_wait_loadcnt_dscnt 0x800
	v_mul_f64_e32 v[179:180], v[2:3], v[20:21]
	v_mul_f64_e32 v[20:21], v[4:5], v[20:21]
	v_fma_f64 v[177:178], v[177:178], v[14:15], v[181:182]
	v_fma_f64 v[175:176], v[175:176], v[14:15], -v[16:17]
	ds_load_b128 v[169:172], v1 offset:1536
	scratch_load_b128 v[14:17], off, off offset:736
	v_add_f64_e32 v[181:182], v[187:188], v[185:186]
	v_add_f64_e32 v[173:174], v[173:174], v[183:184]
	v_fma_f64 v[179:180], v[4:5], v[18:19], v[179:180]
	v_fma_f64 v[185:186], v[2:3], v[18:19], -v[20:21]
	ds_load_b128 v[2:5], v1 offset:1552
	s_wait_loadcnt_dscnt 0x801
	v_mul_f64_e32 v[183:184], v[169:170], v[24:25]
	v_mul_f64_e32 v[24:25], v[171:172], v[24:25]
	scratch_load_b128 v[18:21], off, off offset:752
	s_wait_loadcnt_dscnt 0x800
	v_mul_f64_e32 v[187:188], v[2:3], v[28:29]
	v_mul_f64_e32 v[28:29], v[4:5], v[28:29]
	v_add_f64_e32 v[181:182], v[181:182], v[175:176]
	v_add_f64_e32 v[177:178], v[173:174], v[177:178]
	ds_load_b128 v[173:176], v1 offset:1568
	v_fma_f64 v[171:172], v[171:172], v[22:23], v[183:184]
	v_fma_f64 v[169:170], v[169:170], v[22:23], -v[24:25]
	scratch_load_b128 v[22:25], off, off offset:768
	v_fma_f64 v[183:184], v[4:5], v[26:27], v[187:188]
	v_add_f64_e32 v[181:182], v[181:182], v[185:186]
	v_add_f64_e32 v[177:178], v[177:178], v[179:180]
	v_fma_f64 v[185:186], v[2:3], v[26:27], -v[28:29]
	ds_load_b128 v[2:5], v1 offset:1584
	s_wait_loadcnt_dscnt 0x801
	v_mul_f64_e32 v[179:180], v[173:174], v[32:33]
	v_mul_f64_e32 v[32:33], v[175:176], v[32:33]
	scratch_load_b128 v[26:29], off, off offset:784
	s_wait_loadcnt_dscnt 0x800
	v_mul_f64_e32 v[187:188], v[2:3], v[36:37]
	v_mul_f64_e32 v[36:37], v[4:5], v[36:37]
	v_add_f64_e32 v[181:182], v[181:182], v[169:170]
	v_add_f64_e32 v[177:178], v[177:178], v[171:172]
	ds_load_b128 v[169:172], v1 offset:1600
	v_fma_f64 v[175:176], v[175:176], v[30:31], v[179:180]
	v_fma_f64 v[173:174], v[173:174], v[30:31], -v[32:33]
	scratch_load_b128 v[30:33], off, off offset:800
	v_add_f64_e32 v[179:180], v[181:182], v[185:186]
	v_add_f64_e32 v[177:178], v[177:178], v[183:184]
	v_fma_f64 v[183:184], v[4:5], v[34:35], v[187:188]
	v_fma_f64 v[185:186], v[2:3], v[34:35], -v[36:37]
	ds_load_b128 v[2:5], v1 offset:1616
	s_wait_loadcnt_dscnt 0x801
	v_mul_f64_e32 v[181:182], v[169:170], v[167:168]
	v_mul_f64_e32 v[167:168], v[171:172], v[167:168]
	scratch_load_b128 v[34:37], off, off offset:816
	s_wait_loadcnt_dscnt 0x800
	v_mul_f64_e32 v[187:188], v[2:3], v[40:41]
	v_mul_f64_e32 v[40:41], v[4:5], v[40:41]
	v_add_f64_e32 v[179:180], v[179:180], v[173:174]
	v_add_f64_e32 v[177:178], v[177:178], v[175:176]
	ds_load_b128 v[173:176], v1 offset:1632
	v_fma_f64 v[171:172], v[171:172], v[165:166], v[181:182]
	v_fma_f64 v[169:170], v[169:170], v[165:166], -v[167:168]
	scratch_load_b128 v[165:168], off, off offset:832
	v_add_f64_e32 v[179:180], v[179:180], v[185:186]
	v_add_f64_e32 v[177:178], v[177:178], v[183:184]
	v_fma_f64 v[183:184], v[4:5], v[38:39], v[187:188]
	;; [unrolled: 18-line block ×5, first 2 shown]
	v_fma_f64 v[185:186], v[2:3], v[26:27], -v[28:29]
	ds_load_b128 v[2:5], v1 offset:1744
	s_wait_loadcnt_dscnt 0x801
	v_mul_f64_e32 v[181:182], v[169:170], v[32:33]
	v_mul_f64_e32 v[32:33], v[171:172], v[32:33]
	scratch_load_b128 v[26:29], off, off offset:944
	s_wait_loadcnt_dscnt 0x800
	v_mul_f64_e32 v[187:188], v[2:3], v[36:37]
	v_mul_f64_e32 v[36:37], v[4:5], v[36:37]
	v_add_f64_e32 v[179:180], v[179:180], v[173:174]
	v_add_f64_e32 v[177:178], v[177:178], v[175:176]
	ds_load_b128 v[173:176], v1 offset:1760
	v_fma_f64 v[171:172], v[171:172], v[30:31], v[181:182]
	v_fma_f64 v[30:31], v[169:170], v[30:31], -v[32:33]
	v_add_f64_e32 v[32:33], v[179:180], v[185:186]
	v_add_f64_e32 v[169:170], v[177:178], v[183:184]
	s_wait_loadcnt_dscnt 0x700
	v_mul_f64_e32 v[177:178], v[173:174], v[167:168]
	v_mul_f64_e32 v[167:168], v[175:176], v[167:168]
	v_fma_f64 v[179:180], v[4:5], v[34:35], v[187:188]
	v_fma_f64 v[34:35], v[2:3], v[34:35], -v[36:37]
	v_add_f64_e32 v[36:37], v[32:33], v[30:31]
	v_add_f64_e32 v[169:170], v[169:170], v[171:172]
	ds_load_b128 v[2:5], v1 offset:1776
	ds_load_b128 v[30:33], v1 offset:1792
	v_fma_f64 v[175:176], v[175:176], v[165:166], v[177:178]
	v_fma_f64 v[165:166], v[173:174], v[165:166], -v[167:168]
	s_wait_loadcnt_dscnt 0x601
	v_mul_f64_e32 v[171:172], v[2:3], v[40:41]
	v_mul_f64_e32 v[40:41], v[4:5], v[40:41]
	s_wait_loadcnt_dscnt 0x500
	v_mul_f64_e32 v[167:168], v[30:31], v[8:9]
	v_mul_f64_e32 v[8:9], v[32:33], v[8:9]
	v_add_f64_e32 v[34:35], v[36:37], v[34:35]
	v_add_f64_e32 v[36:37], v[169:170], v[179:180]
	v_fma_f64 v[169:170], v[4:5], v[38:39], v[171:172]
	v_fma_f64 v[38:39], v[2:3], v[38:39], -v[40:41]
	v_fma_f64 v[32:33], v[32:33], v[6:7], v[167:168]
	v_fma_f64 v[6:7], v[30:31], v[6:7], -v[8:9]
	v_add_f64_e32 v[40:41], v[34:35], v[165:166]
	v_add_f64_e32 v[165:166], v[36:37], v[175:176]
	ds_load_b128 v[2:5], v1 offset:1808
	ds_load_b128 v[34:37], v1 offset:1824
	s_wait_loadcnt_dscnt 0x401
	v_mul_f64_e32 v[171:172], v[2:3], v[12:13]
	v_mul_f64_e32 v[12:13], v[4:5], v[12:13]
	v_add_f64_e32 v[8:9], v[40:41], v[38:39]
	v_add_f64_e32 v[30:31], v[165:166], v[169:170]
	s_wait_loadcnt_dscnt 0x300
	v_mul_f64_e32 v[38:39], v[34:35], v[16:17]
	v_mul_f64_e32 v[16:17], v[36:37], v[16:17]
	v_fma_f64 v[40:41], v[4:5], v[10:11], v[171:172]
	v_fma_f64 v[10:11], v[2:3], v[10:11], -v[12:13]
	v_add_f64_e32 v[12:13], v[8:9], v[6:7]
	v_add_f64_e32 v[30:31], v[30:31], v[32:33]
	ds_load_b128 v[2:5], v1 offset:1840
	ds_load_b128 v[6:9], v1 offset:1856
	v_fma_f64 v[36:37], v[36:37], v[14:15], v[38:39]
	v_fma_f64 v[14:15], v[34:35], v[14:15], -v[16:17]
	s_wait_loadcnt_dscnt 0x201
	v_mul_f64_e32 v[32:33], v[2:3], v[20:21]
	v_mul_f64_e32 v[20:21], v[4:5], v[20:21]
	s_wait_loadcnt_dscnt 0x100
	v_mul_f64_e32 v[16:17], v[6:7], v[24:25]
	v_mul_f64_e32 v[24:25], v[8:9], v[24:25]
	v_add_f64_e32 v[10:11], v[12:13], v[10:11]
	v_add_f64_e32 v[12:13], v[30:31], v[40:41]
	v_fma_f64 v[30:31], v[4:5], v[18:19], v[32:33]
	v_fma_f64 v[18:19], v[2:3], v[18:19], -v[20:21]
	ds_load_b128 v[2:5], v1 offset:1872
	v_fma_f64 v[8:9], v[8:9], v[22:23], v[16:17]
	v_fma_f64 v[6:7], v[6:7], v[22:23], -v[24:25]
	v_add_f64_e32 v[10:11], v[10:11], v[14:15]
	v_add_f64_e32 v[12:13], v[12:13], v[36:37]
	s_wait_loadcnt_dscnt 0x0
	v_mul_f64_e32 v[14:15], v[2:3], v[28:29]
	v_mul_f64_e32 v[20:21], v[4:5], v[28:29]
	s_delay_alu instid0(VALU_DEP_4) | instskip(NEXT) | instid1(VALU_DEP_4)
	v_add_f64_e32 v[10:11], v[10:11], v[18:19]
	v_add_f64_e32 v[12:13], v[12:13], v[30:31]
	s_delay_alu instid0(VALU_DEP_4) | instskip(NEXT) | instid1(VALU_DEP_4)
	v_fma_f64 v[4:5], v[4:5], v[26:27], v[14:15]
	v_fma_f64 v[2:3], v[2:3], v[26:27], -v[20:21]
	s_delay_alu instid0(VALU_DEP_4) | instskip(NEXT) | instid1(VALU_DEP_4)
	v_add_f64_e32 v[6:7], v[10:11], v[6:7]
	v_add_f64_e32 v[8:9], v[12:13], v[8:9]
	s_delay_alu instid0(VALU_DEP_2) | instskip(NEXT) | instid1(VALU_DEP_2)
	v_add_f64_e32 v[2:3], v[6:7], v[2:3]
	v_add_f64_e32 v[4:5], v[8:9], v[4:5]
	s_delay_alu instid0(VALU_DEP_2) | instskip(NEXT) | instid1(VALU_DEP_2)
	v_add_f64_e64 v[2:3], v[42:43], -v[2:3]
	v_add_f64_e64 v[4:5], v[44:45], -v[4:5]
	scratch_store_b128 off, v[2:5], off offset:352
	v_cmpx_lt_u32_e32 20, v0
	s_cbranch_execz .LBB58_327
; %bb.326:
	scratch_load_b128 v[5:8], off, s52
	v_dual_mov_b32 v2, v1 :: v_dual_mov_b32 v3, v1
	v_mov_b32_e32 v4, v1
	scratch_store_b128 off, v[1:4], off offset:336
	s_wait_loadcnt 0x0
	ds_store_b128 v164, v[5:8]
.LBB58_327:
	s_wait_alu 0xfffe
	s_or_b32 exec_lo, exec_lo, s0
	s_wait_storecnt_dscnt 0x0
	s_barrier_signal -1
	s_barrier_wait -1
	global_inv scope:SCOPE_SE
	s_clause 0x8
	scratch_load_b128 v[2:5], off, off offset:352
	scratch_load_b128 v[6:9], off, off offset:368
	;; [unrolled: 1-line block ×9, first 2 shown]
	ds_load_b128 v[42:45], v1 offset:1280
	ds_load_b128 v[38:41], v1 offset:1296
	s_clause 0x1
	scratch_load_b128 v[165:168], off, off offset:336
	scratch_load_b128 v[169:172], off, off offset:496
	s_mov_b32 s0, exec_lo
	s_wait_loadcnt_dscnt 0xa01
	v_mul_f64_e32 v[173:174], v[44:45], v[4:5]
	v_mul_f64_e32 v[4:5], v[42:43], v[4:5]
	s_wait_loadcnt_dscnt 0x900
	v_mul_f64_e32 v[177:178], v[38:39], v[8:9]
	v_mul_f64_e32 v[8:9], v[40:41], v[8:9]
	s_delay_alu instid0(VALU_DEP_4) | instskip(NEXT) | instid1(VALU_DEP_4)
	v_fma_f64 v[179:180], v[42:43], v[2:3], -v[173:174]
	v_fma_f64 v[181:182], v[44:45], v[2:3], v[4:5]
	ds_load_b128 v[2:5], v1 offset:1312
	ds_load_b128 v[173:176], v1 offset:1328
	scratch_load_b128 v[42:45], off, off offset:512
	v_fma_f64 v[40:41], v[40:41], v[6:7], v[177:178]
	v_fma_f64 v[38:39], v[38:39], v[6:7], -v[8:9]
	scratch_load_b128 v[6:9], off, off offset:528
	s_wait_loadcnt_dscnt 0xa01
	v_mul_f64_e32 v[183:184], v[2:3], v[12:13]
	v_mul_f64_e32 v[12:13], v[4:5], v[12:13]
	v_add_f64_e32 v[177:178], 0, v[179:180]
	v_add_f64_e32 v[179:180], 0, v[181:182]
	s_wait_loadcnt_dscnt 0x900
	v_mul_f64_e32 v[181:182], v[173:174], v[16:17]
	v_mul_f64_e32 v[16:17], v[175:176], v[16:17]
	v_fma_f64 v[183:184], v[4:5], v[10:11], v[183:184]
	v_fma_f64 v[185:186], v[2:3], v[10:11], -v[12:13]
	ds_load_b128 v[2:5], v1 offset:1344
	scratch_load_b128 v[10:13], off, off offset:544
	v_add_f64_e32 v[177:178], v[177:178], v[38:39]
	v_add_f64_e32 v[179:180], v[179:180], v[40:41]
	ds_load_b128 v[38:41], v1 offset:1360
	v_fma_f64 v[175:176], v[175:176], v[14:15], v[181:182]
	v_fma_f64 v[173:174], v[173:174], v[14:15], -v[16:17]
	scratch_load_b128 v[14:17], off, off offset:560
	s_wait_loadcnt_dscnt 0xa01
	v_mul_f64_e32 v[187:188], v[2:3], v[20:21]
	v_mul_f64_e32 v[20:21], v[4:5], v[20:21]
	s_wait_loadcnt_dscnt 0x900
	v_mul_f64_e32 v[181:182], v[38:39], v[24:25]
	v_mul_f64_e32 v[24:25], v[40:41], v[24:25]
	v_add_f64_e32 v[177:178], v[177:178], v[185:186]
	v_add_f64_e32 v[179:180], v[179:180], v[183:184]
	v_fma_f64 v[183:184], v[4:5], v[18:19], v[187:188]
	v_fma_f64 v[185:186], v[2:3], v[18:19], -v[20:21]
	ds_load_b128 v[2:5], v1 offset:1376
	scratch_load_b128 v[18:21], off, off offset:576
	v_fma_f64 v[40:41], v[40:41], v[22:23], v[181:182]
	v_fma_f64 v[38:39], v[38:39], v[22:23], -v[24:25]
	scratch_load_b128 v[22:25], off, off offset:592
	v_add_f64_e32 v[177:178], v[177:178], v[173:174]
	v_add_f64_e32 v[179:180], v[179:180], v[175:176]
	ds_load_b128 v[173:176], v1 offset:1392
	s_wait_loadcnt_dscnt 0xa01
	v_mul_f64_e32 v[187:188], v[2:3], v[28:29]
	v_mul_f64_e32 v[28:29], v[4:5], v[28:29]
	s_wait_loadcnt_dscnt 0x900
	v_mul_f64_e32 v[181:182], v[173:174], v[32:33]
	v_mul_f64_e32 v[32:33], v[175:176], v[32:33]
	v_add_f64_e32 v[177:178], v[177:178], v[185:186]
	v_add_f64_e32 v[179:180], v[179:180], v[183:184]
	v_fma_f64 v[183:184], v[4:5], v[26:27], v[187:188]
	v_fma_f64 v[185:186], v[2:3], v[26:27], -v[28:29]
	ds_load_b128 v[2:5], v1 offset:1408
	scratch_load_b128 v[26:29], off, off offset:608
	v_fma_f64 v[175:176], v[175:176], v[30:31], v[181:182]
	v_fma_f64 v[173:174], v[173:174], v[30:31], -v[32:33]
	scratch_load_b128 v[30:33], off, off offset:624
	v_add_f64_e32 v[177:178], v[177:178], v[38:39]
	v_add_f64_e32 v[179:180], v[179:180], v[40:41]
	ds_load_b128 v[38:41], v1 offset:1424
	s_wait_loadcnt_dscnt 0xa01
	v_mul_f64_e32 v[187:188], v[2:3], v[36:37]
	v_mul_f64_e32 v[36:37], v[4:5], v[36:37]
	s_wait_loadcnt_dscnt 0x800
	v_mul_f64_e32 v[181:182], v[38:39], v[171:172]
	v_add_f64_e32 v[177:178], v[177:178], v[185:186]
	v_add_f64_e32 v[179:180], v[179:180], v[183:184]
	v_mul_f64_e32 v[183:184], v[40:41], v[171:172]
	v_fma_f64 v[185:186], v[4:5], v[34:35], v[187:188]
	v_fma_f64 v[187:188], v[2:3], v[34:35], -v[36:37]
	ds_load_b128 v[2:5], v1 offset:1440
	scratch_load_b128 v[34:37], off, off offset:640
	v_fma_f64 v[181:182], v[40:41], v[169:170], v[181:182]
	v_add_f64_e32 v[177:178], v[177:178], v[173:174]
	v_add_f64_e32 v[175:176], v[179:180], v[175:176]
	ds_load_b128 v[171:174], v1 offset:1456
	v_fma_f64 v[169:170], v[38:39], v[169:170], -v[183:184]
	scratch_load_b128 v[38:41], off, off offset:656
	s_wait_loadcnt_dscnt 0x901
	v_mul_f64_e32 v[179:180], v[2:3], v[44:45]
	v_mul_f64_e32 v[44:45], v[4:5], v[44:45]
	s_wait_loadcnt_dscnt 0x800
	v_mul_f64_e32 v[183:184], v[171:172], v[8:9]
	v_mul_f64_e32 v[8:9], v[173:174], v[8:9]
	v_add_f64_e32 v[177:178], v[177:178], v[187:188]
	v_add_f64_e32 v[175:176], v[175:176], v[185:186]
	v_fma_f64 v[179:180], v[4:5], v[42:43], v[179:180]
	v_fma_f64 v[185:186], v[2:3], v[42:43], -v[44:45]
	ds_load_b128 v[2:5], v1 offset:1472
	scratch_load_b128 v[42:45], off, off offset:672
	v_fma_f64 v[173:174], v[173:174], v[6:7], v[183:184]
	v_fma_f64 v[171:172], v[171:172], v[6:7], -v[8:9]
	scratch_load_b128 v[6:9], off, off offset:688
	v_add_f64_e32 v[169:170], v[177:178], v[169:170]
	v_add_f64_e32 v[181:182], v[175:176], v[181:182]
	ds_load_b128 v[175:178], v1 offset:1488
	s_wait_loadcnt_dscnt 0x901
	v_mul_f64_e32 v[187:188], v[2:3], v[12:13]
	v_mul_f64_e32 v[12:13], v[4:5], v[12:13]
	v_add_f64_e32 v[169:170], v[169:170], v[185:186]
	v_add_f64_e32 v[179:180], v[181:182], v[179:180]
	s_wait_loadcnt_dscnt 0x800
	v_mul_f64_e32 v[181:182], v[175:176], v[16:17]
	v_mul_f64_e32 v[16:17], v[177:178], v[16:17]
	v_fma_f64 v[183:184], v[4:5], v[10:11], v[187:188]
	v_fma_f64 v[185:186], v[2:3], v[10:11], -v[12:13]
	ds_load_b128 v[2:5], v1 offset:1504
	scratch_load_b128 v[10:13], off, off offset:704
	v_add_f64_e32 v[187:188], v[169:170], v[171:172]
	v_add_f64_e32 v[173:174], v[179:180], v[173:174]
	ds_load_b128 v[169:172], v1 offset:1520
	s_wait_loadcnt_dscnt 0x801
	v_mul_f64_e32 v[179:180], v[2:3], v[20:21]
	v_mul_f64_e32 v[20:21], v[4:5], v[20:21]
	v_fma_f64 v[177:178], v[177:178], v[14:15], v[181:182]
	v_fma_f64 v[175:176], v[175:176], v[14:15], -v[16:17]
	scratch_load_b128 v[14:17], off, off offset:720
	v_add_f64_e32 v[181:182], v[187:188], v[185:186]
	v_add_f64_e32 v[173:174], v[173:174], v[183:184]
	s_wait_loadcnt_dscnt 0x800
	v_mul_f64_e32 v[183:184], v[169:170], v[24:25]
	v_mul_f64_e32 v[24:25], v[171:172], v[24:25]
	v_fma_f64 v[179:180], v[4:5], v[18:19], v[179:180]
	v_fma_f64 v[185:186], v[2:3], v[18:19], -v[20:21]
	ds_load_b128 v[2:5], v1 offset:1536
	scratch_load_b128 v[18:21], off, off offset:736
	v_add_f64_e32 v[181:182], v[181:182], v[175:176]
	v_add_f64_e32 v[177:178], v[173:174], v[177:178]
	ds_load_b128 v[173:176], v1 offset:1552
	s_wait_loadcnt_dscnt 0x801
	v_mul_f64_e32 v[187:188], v[2:3], v[28:29]
	v_mul_f64_e32 v[28:29], v[4:5], v[28:29]
	v_fma_f64 v[171:172], v[171:172], v[22:23], v[183:184]
	v_fma_f64 v[169:170], v[169:170], v[22:23], -v[24:25]
	scratch_load_b128 v[22:25], off, off offset:752
	;; [unrolled: 18-line block ×4, first 2 shown]
	s_wait_loadcnt_dscnt 0x800
	v_mul_f64_e32 v[181:182], v[173:174], v[8:9]
	v_mul_f64_e32 v[8:9], v[175:176], v[8:9]
	v_add_f64_e32 v[179:180], v[179:180], v[185:186]
	v_add_f64_e32 v[177:178], v[177:178], v[183:184]
	v_fma_f64 v[183:184], v[4:5], v[42:43], v[187:188]
	v_fma_f64 v[185:186], v[2:3], v[42:43], -v[44:45]
	ds_load_b128 v[2:5], v1 offset:1632
	scratch_load_b128 v[42:45], off, off offset:832
	v_fma_f64 v[175:176], v[175:176], v[6:7], v[181:182]
	v_fma_f64 v[173:174], v[173:174], v[6:7], -v[8:9]
	scratch_load_b128 v[6:9], off, off offset:848
	v_add_f64_e32 v[179:180], v[179:180], v[169:170]
	v_add_f64_e32 v[177:178], v[177:178], v[171:172]
	ds_load_b128 v[169:172], v1 offset:1648
	s_wait_loadcnt_dscnt 0x901
	v_mul_f64_e32 v[187:188], v[2:3], v[12:13]
	v_mul_f64_e32 v[12:13], v[4:5], v[12:13]
	s_wait_loadcnt_dscnt 0x800
	v_mul_f64_e32 v[181:182], v[169:170], v[16:17]
	v_mul_f64_e32 v[16:17], v[171:172], v[16:17]
	v_add_f64_e32 v[179:180], v[179:180], v[185:186]
	v_add_f64_e32 v[177:178], v[177:178], v[183:184]
	v_fma_f64 v[183:184], v[4:5], v[10:11], v[187:188]
	v_fma_f64 v[185:186], v[2:3], v[10:11], -v[12:13]
	ds_load_b128 v[2:5], v1 offset:1664
	scratch_load_b128 v[10:13], off, off offset:864
	v_fma_f64 v[171:172], v[171:172], v[14:15], v[181:182]
	v_fma_f64 v[169:170], v[169:170], v[14:15], -v[16:17]
	scratch_load_b128 v[14:17], off, off offset:880
	v_add_f64_e32 v[179:180], v[179:180], v[173:174]
	v_add_f64_e32 v[177:178], v[177:178], v[175:176]
	ds_load_b128 v[173:176], v1 offset:1680
	s_wait_loadcnt_dscnt 0x901
	v_mul_f64_e32 v[187:188], v[2:3], v[20:21]
	v_mul_f64_e32 v[20:21], v[4:5], v[20:21]
	;; [unrolled: 18-line block ×4, first 2 shown]
	s_wait_loadcnt_dscnt 0x800
	v_mul_f64_e32 v[181:182], v[173:174], v[40:41]
	v_mul_f64_e32 v[40:41], v[175:176], v[40:41]
	v_add_f64_e32 v[179:180], v[179:180], v[185:186]
	v_add_f64_e32 v[177:178], v[177:178], v[183:184]
	v_fma_f64 v[183:184], v[4:5], v[34:35], v[187:188]
	v_fma_f64 v[185:186], v[2:3], v[34:35], -v[36:37]
	ds_load_b128 v[2:5], v1 offset:1760
	ds_load_b128 v[34:37], v1 offset:1776
	v_fma_f64 v[175:176], v[175:176], v[38:39], v[181:182]
	v_fma_f64 v[38:39], v[173:174], v[38:39], -v[40:41]
	v_add_f64_e32 v[169:170], v[179:180], v[169:170]
	v_add_f64_e32 v[171:172], v[177:178], v[171:172]
	s_wait_loadcnt_dscnt 0x701
	v_mul_f64_e32 v[177:178], v[2:3], v[44:45]
	v_mul_f64_e32 v[44:45], v[4:5], v[44:45]
	s_delay_alu instid0(VALU_DEP_4) | instskip(NEXT) | instid1(VALU_DEP_4)
	v_add_f64_e32 v[40:41], v[169:170], v[185:186]
	v_add_f64_e32 v[169:170], v[171:172], v[183:184]
	s_wait_loadcnt_dscnt 0x600
	v_mul_f64_e32 v[171:172], v[34:35], v[8:9]
	v_mul_f64_e32 v[8:9], v[36:37], v[8:9]
	v_fma_f64 v[173:174], v[4:5], v[42:43], v[177:178]
	v_fma_f64 v[42:43], v[2:3], v[42:43], -v[44:45]
	v_add_f64_e32 v[44:45], v[40:41], v[38:39]
	v_add_f64_e32 v[169:170], v[169:170], v[175:176]
	ds_load_b128 v[2:5], v1 offset:1792
	ds_load_b128 v[38:41], v1 offset:1808
	v_fma_f64 v[36:37], v[36:37], v[6:7], v[171:172]
	v_fma_f64 v[6:7], v[34:35], v[6:7], -v[8:9]
	s_wait_loadcnt_dscnt 0x501
	v_mul_f64_e32 v[175:176], v[2:3], v[12:13]
	v_mul_f64_e32 v[12:13], v[4:5], v[12:13]
	v_add_f64_e32 v[8:9], v[44:45], v[42:43]
	v_add_f64_e32 v[34:35], v[169:170], v[173:174]
	s_wait_loadcnt_dscnt 0x400
	v_mul_f64_e32 v[42:43], v[38:39], v[16:17]
	v_mul_f64_e32 v[16:17], v[40:41], v[16:17]
	v_fma_f64 v[44:45], v[4:5], v[10:11], v[175:176]
	v_fma_f64 v[10:11], v[2:3], v[10:11], -v[12:13]
	v_add_f64_e32 v[12:13], v[8:9], v[6:7]
	v_add_f64_e32 v[34:35], v[34:35], v[36:37]
	ds_load_b128 v[2:5], v1 offset:1824
	ds_load_b128 v[6:9], v1 offset:1840
	v_fma_f64 v[40:41], v[40:41], v[14:15], v[42:43]
	v_fma_f64 v[14:15], v[38:39], v[14:15], -v[16:17]
	s_wait_loadcnt_dscnt 0x301
	v_mul_f64_e32 v[36:37], v[2:3], v[20:21]
	v_mul_f64_e32 v[20:21], v[4:5], v[20:21]
	s_wait_loadcnt_dscnt 0x200
	v_mul_f64_e32 v[16:17], v[6:7], v[24:25]
	v_mul_f64_e32 v[24:25], v[8:9], v[24:25]
	v_add_f64_e32 v[10:11], v[12:13], v[10:11]
	v_add_f64_e32 v[12:13], v[34:35], v[44:45]
	v_fma_f64 v[34:35], v[4:5], v[18:19], v[36:37]
	v_fma_f64 v[18:19], v[2:3], v[18:19], -v[20:21]
	v_fma_f64 v[8:9], v[8:9], v[22:23], v[16:17]
	v_fma_f64 v[6:7], v[6:7], v[22:23], -v[24:25]
	v_add_f64_e32 v[14:15], v[10:11], v[14:15]
	v_add_f64_e32 v[20:21], v[12:13], v[40:41]
	ds_load_b128 v[2:5], v1 offset:1856
	ds_load_b128 v[10:13], v1 offset:1872
	s_wait_loadcnt_dscnt 0x101
	v_mul_f64_e32 v[36:37], v[2:3], v[28:29]
	v_mul_f64_e32 v[28:29], v[4:5], v[28:29]
	v_add_f64_e32 v[14:15], v[14:15], v[18:19]
	v_add_f64_e32 v[16:17], v[20:21], v[34:35]
	s_wait_loadcnt_dscnt 0x0
	v_mul_f64_e32 v[18:19], v[10:11], v[32:33]
	v_mul_f64_e32 v[20:21], v[12:13], v[32:33]
	v_fma_f64 v[4:5], v[4:5], v[26:27], v[36:37]
	v_fma_f64 v[1:2], v[2:3], v[26:27], -v[28:29]
	v_add_f64_e32 v[6:7], v[14:15], v[6:7]
	v_add_f64_e32 v[8:9], v[16:17], v[8:9]
	v_fma_f64 v[12:13], v[12:13], v[30:31], v[18:19]
	v_fma_f64 v[10:11], v[10:11], v[30:31], -v[20:21]
	s_delay_alu instid0(VALU_DEP_4) | instskip(NEXT) | instid1(VALU_DEP_4)
	v_add_f64_e32 v[1:2], v[6:7], v[1:2]
	v_add_f64_e32 v[3:4], v[8:9], v[4:5]
	s_delay_alu instid0(VALU_DEP_2) | instskip(NEXT) | instid1(VALU_DEP_2)
	v_add_f64_e32 v[1:2], v[1:2], v[10:11]
	v_add_f64_e32 v[3:4], v[3:4], v[12:13]
	s_delay_alu instid0(VALU_DEP_2) | instskip(NEXT) | instid1(VALU_DEP_2)
	v_add_f64_e64 v[1:2], v[165:166], -v[1:2]
	v_add_f64_e64 v[3:4], v[167:168], -v[3:4]
	scratch_store_b128 off, v[1:4], off offset:336
	v_cmpx_lt_u32_e32 19, v0
	s_cbranch_execz .LBB58_329
; %bb.328:
	scratch_load_b128 v[1:4], off, s53
	v_mov_b32_e32 v5, 0
	s_delay_alu instid0(VALU_DEP_1)
	v_dual_mov_b32 v6, v5 :: v_dual_mov_b32 v7, v5
	v_mov_b32_e32 v8, v5
	scratch_store_b128 off, v[5:8], off offset:320
	s_wait_loadcnt 0x0
	ds_store_b128 v164, v[1:4]
.LBB58_329:
	s_wait_alu 0xfffe
	s_or_b32 exec_lo, exec_lo, s0
	s_wait_storecnt_dscnt 0x0
	s_barrier_signal -1
	s_barrier_wait -1
	global_inv scope:SCOPE_SE
	s_clause 0x7
	scratch_load_b128 v[2:5], off, off offset:336
	scratch_load_b128 v[6:9], off, off offset:352
	;; [unrolled: 1-line block ×8, first 2 shown]
	v_mov_b32_e32 v1, 0
	s_mov_b32 s0, exec_lo
	ds_load_b128 v[38:41], v1 offset:1264
	s_clause 0x1
	scratch_load_b128 v[34:37], off, off offset:464
	scratch_load_b128 v[42:45], off, off offset:320
	ds_load_b128 v[165:168], v1 offset:1280
	scratch_load_b128 v[169:172], off, off offset:480
	s_wait_loadcnt_dscnt 0xa01
	v_mul_f64_e32 v[173:174], v[40:41], v[4:5]
	v_mul_f64_e32 v[4:5], v[38:39], v[4:5]
	s_delay_alu instid0(VALU_DEP_2) | instskip(NEXT) | instid1(VALU_DEP_2)
	v_fma_f64 v[179:180], v[38:39], v[2:3], -v[173:174]
	v_fma_f64 v[181:182], v[40:41], v[2:3], v[4:5]
	ds_load_b128 v[2:5], v1 offset:1296
	s_wait_loadcnt_dscnt 0x901
	v_mul_f64_e32 v[177:178], v[165:166], v[8:9]
	v_mul_f64_e32 v[8:9], v[167:168], v[8:9]
	scratch_load_b128 v[38:41], off, off offset:496
	ds_load_b128 v[173:176], v1 offset:1312
	s_wait_loadcnt_dscnt 0x901
	v_mul_f64_e32 v[183:184], v[2:3], v[12:13]
	v_mul_f64_e32 v[12:13], v[4:5], v[12:13]
	v_fma_f64 v[167:168], v[167:168], v[6:7], v[177:178]
	v_fma_f64 v[165:166], v[165:166], v[6:7], -v[8:9]
	v_add_f64_e32 v[177:178], 0, v[179:180]
	v_add_f64_e32 v[179:180], 0, v[181:182]
	scratch_load_b128 v[6:9], off, off offset:512
	v_fma_f64 v[183:184], v[4:5], v[10:11], v[183:184]
	v_fma_f64 v[185:186], v[2:3], v[10:11], -v[12:13]
	ds_load_b128 v[2:5], v1 offset:1328
	s_wait_loadcnt_dscnt 0x901
	v_mul_f64_e32 v[181:182], v[173:174], v[16:17]
	v_mul_f64_e32 v[16:17], v[175:176], v[16:17]
	scratch_load_b128 v[10:13], off, off offset:528
	v_add_f64_e32 v[177:178], v[177:178], v[165:166]
	v_add_f64_e32 v[179:180], v[179:180], v[167:168]
	s_wait_loadcnt_dscnt 0x900
	v_mul_f64_e32 v[187:188], v[2:3], v[20:21]
	v_mul_f64_e32 v[20:21], v[4:5], v[20:21]
	ds_load_b128 v[165:168], v1 offset:1344
	v_fma_f64 v[175:176], v[175:176], v[14:15], v[181:182]
	v_fma_f64 v[173:174], v[173:174], v[14:15], -v[16:17]
	scratch_load_b128 v[14:17], off, off offset:544
	v_add_f64_e32 v[177:178], v[177:178], v[185:186]
	v_add_f64_e32 v[179:180], v[179:180], v[183:184]
	v_fma_f64 v[183:184], v[4:5], v[18:19], v[187:188]
	v_fma_f64 v[185:186], v[2:3], v[18:19], -v[20:21]
	ds_load_b128 v[2:5], v1 offset:1360
	s_wait_loadcnt_dscnt 0x901
	v_mul_f64_e32 v[181:182], v[165:166], v[24:25]
	v_mul_f64_e32 v[24:25], v[167:168], v[24:25]
	scratch_load_b128 v[18:21], off, off offset:560
	s_wait_loadcnt_dscnt 0x900
	v_mul_f64_e32 v[187:188], v[2:3], v[28:29]
	v_mul_f64_e32 v[28:29], v[4:5], v[28:29]
	v_add_f64_e32 v[177:178], v[177:178], v[173:174]
	v_add_f64_e32 v[179:180], v[179:180], v[175:176]
	ds_load_b128 v[173:176], v1 offset:1376
	v_fma_f64 v[167:168], v[167:168], v[22:23], v[181:182]
	v_fma_f64 v[165:166], v[165:166], v[22:23], -v[24:25]
	scratch_load_b128 v[22:25], off, off offset:576
	v_add_f64_e32 v[177:178], v[177:178], v[185:186]
	v_add_f64_e32 v[179:180], v[179:180], v[183:184]
	v_fma_f64 v[183:184], v[4:5], v[26:27], v[187:188]
	v_fma_f64 v[185:186], v[2:3], v[26:27], -v[28:29]
	ds_load_b128 v[2:5], v1 offset:1392
	s_wait_loadcnt_dscnt 0x901
	v_mul_f64_e32 v[181:182], v[173:174], v[32:33]
	v_mul_f64_e32 v[32:33], v[175:176], v[32:33]
	scratch_load_b128 v[26:29], off, off offset:592
	s_wait_loadcnt_dscnt 0x900
	v_mul_f64_e32 v[187:188], v[2:3], v[36:37]
	v_mul_f64_e32 v[36:37], v[4:5], v[36:37]
	v_add_f64_e32 v[177:178], v[177:178], v[165:166]
	v_add_f64_e32 v[179:180], v[179:180], v[167:168]
	ds_load_b128 v[165:168], v1 offset:1408
	v_fma_f64 v[175:176], v[175:176], v[30:31], v[181:182]
	v_fma_f64 v[173:174], v[173:174], v[30:31], -v[32:33]
	scratch_load_b128 v[30:33], off, off offset:608
	v_add_f64_e32 v[177:178], v[177:178], v[185:186]
	v_add_f64_e32 v[179:180], v[179:180], v[183:184]
	v_fma_f64 v[185:186], v[4:5], v[34:35], v[187:188]
	v_fma_f64 v[187:188], v[2:3], v[34:35], -v[36:37]
	ds_load_b128 v[2:5], v1 offset:1424
	s_wait_loadcnt_dscnt 0x801
	v_mul_f64_e32 v[181:182], v[165:166], v[171:172]
	v_mul_f64_e32 v[183:184], v[167:168], v[171:172]
	scratch_load_b128 v[34:37], off, off offset:624
	v_add_f64_e32 v[177:178], v[177:178], v[173:174]
	v_add_f64_e32 v[175:176], v[179:180], v[175:176]
	ds_load_b128 v[171:174], v1 offset:1440
	v_fma_f64 v[181:182], v[167:168], v[169:170], v[181:182]
	v_fma_f64 v[169:170], v[165:166], v[169:170], -v[183:184]
	scratch_load_b128 v[165:168], off, off offset:640
	s_wait_loadcnt_dscnt 0x901
	v_mul_f64_e32 v[179:180], v[2:3], v[40:41]
	v_mul_f64_e32 v[40:41], v[4:5], v[40:41]
	v_add_f64_e32 v[177:178], v[177:178], v[187:188]
	v_add_f64_e32 v[175:176], v[175:176], v[185:186]
	s_delay_alu instid0(VALU_DEP_4) | instskip(NEXT) | instid1(VALU_DEP_4)
	v_fma_f64 v[179:180], v[4:5], v[38:39], v[179:180]
	v_fma_f64 v[185:186], v[2:3], v[38:39], -v[40:41]
	ds_load_b128 v[2:5], v1 offset:1456
	s_wait_loadcnt_dscnt 0x801
	v_mul_f64_e32 v[183:184], v[171:172], v[8:9]
	v_mul_f64_e32 v[8:9], v[173:174], v[8:9]
	scratch_load_b128 v[38:41], off, off offset:656
	s_wait_loadcnt_dscnt 0x800
	v_mul_f64_e32 v[187:188], v[2:3], v[12:13]
	v_add_f64_e32 v[169:170], v[177:178], v[169:170]
	v_add_f64_e32 v[181:182], v[175:176], v[181:182]
	v_mul_f64_e32 v[12:13], v[4:5], v[12:13]
	ds_load_b128 v[175:178], v1 offset:1472
	v_fma_f64 v[173:174], v[173:174], v[6:7], v[183:184]
	v_fma_f64 v[171:172], v[171:172], v[6:7], -v[8:9]
	scratch_load_b128 v[6:9], off, off offset:672
	v_fma_f64 v[183:184], v[4:5], v[10:11], v[187:188]
	v_add_f64_e32 v[169:170], v[169:170], v[185:186]
	v_add_f64_e32 v[179:180], v[181:182], v[179:180]
	v_fma_f64 v[185:186], v[2:3], v[10:11], -v[12:13]
	ds_load_b128 v[2:5], v1 offset:1488
	s_wait_loadcnt_dscnt 0x801
	v_mul_f64_e32 v[181:182], v[175:176], v[16:17]
	v_mul_f64_e32 v[16:17], v[177:178], v[16:17]
	scratch_load_b128 v[10:13], off, off offset:688
	v_add_f64_e32 v[187:188], v[169:170], v[171:172]
	v_add_f64_e32 v[173:174], v[179:180], v[173:174]
	s_wait_loadcnt_dscnt 0x800
	v_mul_f64_e32 v[179:180], v[2:3], v[20:21]
	v_mul_f64_e32 v[20:21], v[4:5], v[20:21]
	v_fma_f64 v[177:178], v[177:178], v[14:15], v[181:182]
	v_fma_f64 v[175:176], v[175:176], v[14:15], -v[16:17]
	ds_load_b128 v[169:172], v1 offset:1504
	scratch_load_b128 v[14:17], off, off offset:704
	v_add_f64_e32 v[181:182], v[187:188], v[185:186]
	v_add_f64_e32 v[173:174], v[173:174], v[183:184]
	v_fma_f64 v[179:180], v[4:5], v[18:19], v[179:180]
	v_fma_f64 v[185:186], v[2:3], v[18:19], -v[20:21]
	ds_load_b128 v[2:5], v1 offset:1520
	s_wait_loadcnt_dscnt 0x801
	v_mul_f64_e32 v[183:184], v[169:170], v[24:25]
	v_mul_f64_e32 v[24:25], v[171:172], v[24:25]
	scratch_load_b128 v[18:21], off, off offset:720
	s_wait_loadcnt_dscnt 0x800
	v_mul_f64_e32 v[187:188], v[2:3], v[28:29]
	v_mul_f64_e32 v[28:29], v[4:5], v[28:29]
	v_add_f64_e32 v[181:182], v[181:182], v[175:176]
	v_add_f64_e32 v[177:178], v[173:174], v[177:178]
	ds_load_b128 v[173:176], v1 offset:1536
	v_fma_f64 v[171:172], v[171:172], v[22:23], v[183:184]
	v_fma_f64 v[169:170], v[169:170], v[22:23], -v[24:25]
	scratch_load_b128 v[22:25], off, off offset:736
	v_fma_f64 v[183:184], v[4:5], v[26:27], v[187:188]
	v_add_f64_e32 v[181:182], v[181:182], v[185:186]
	v_add_f64_e32 v[177:178], v[177:178], v[179:180]
	v_fma_f64 v[185:186], v[2:3], v[26:27], -v[28:29]
	ds_load_b128 v[2:5], v1 offset:1552
	s_wait_loadcnt_dscnt 0x801
	v_mul_f64_e32 v[179:180], v[173:174], v[32:33]
	v_mul_f64_e32 v[32:33], v[175:176], v[32:33]
	scratch_load_b128 v[26:29], off, off offset:752
	s_wait_loadcnt_dscnt 0x800
	v_mul_f64_e32 v[187:188], v[2:3], v[36:37]
	v_mul_f64_e32 v[36:37], v[4:5], v[36:37]
	v_add_f64_e32 v[181:182], v[181:182], v[169:170]
	v_add_f64_e32 v[177:178], v[177:178], v[171:172]
	ds_load_b128 v[169:172], v1 offset:1568
	v_fma_f64 v[175:176], v[175:176], v[30:31], v[179:180]
	v_fma_f64 v[173:174], v[173:174], v[30:31], -v[32:33]
	scratch_load_b128 v[30:33], off, off offset:768
	v_add_f64_e32 v[179:180], v[181:182], v[185:186]
	v_add_f64_e32 v[177:178], v[177:178], v[183:184]
	v_fma_f64 v[183:184], v[4:5], v[34:35], v[187:188]
	v_fma_f64 v[185:186], v[2:3], v[34:35], -v[36:37]
	ds_load_b128 v[2:5], v1 offset:1584
	s_wait_loadcnt_dscnt 0x801
	v_mul_f64_e32 v[181:182], v[169:170], v[167:168]
	v_mul_f64_e32 v[167:168], v[171:172], v[167:168]
	scratch_load_b128 v[34:37], off, off offset:784
	s_wait_loadcnt_dscnt 0x800
	v_mul_f64_e32 v[187:188], v[2:3], v[40:41]
	v_mul_f64_e32 v[40:41], v[4:5], v[40:41]
	v_add_f64_e32 v[179:180], v[179:180], v[173:174]
	v_add_f64_e32 v[177:178], v[177:178], v[175:176]
	ds_load_b128 v[173:176], v1 offset:1600
	v_fma_f64 v[171:172], v[171:172], v[165:166], v[181:182]
	v_fma_f64 v[169:170], v[169:170], v[165:166], -v[167:168]
	scratch_load_b128 v[165:168], off, off offset:800
	v_add_f64_e32 v[179:180], v[179:180], v[185:186]
	v_add_f64_e32 v[177:178], v[177:178], v[183:184]
	v_fma_f64 v[183:184], v[4:5], v[38:39], v[187:188]
	;; [unrolled: 18-line block ×6, first 2 shown]
	v_fma_f64 v[187:188], v[2:3], v[34:35], -v[36:37]
	ds_load_b128 v[2:5], v1 offset:1744
	s_wait_loadcnt_dscnt 0x801
	v_mul_f64_e32 v[181:182], v[173:174], v[167:168]
	v_mul_f64_e32 v[183:184], v[175:176], v[167:168]
	scratch_load_b128 v[34:37], off, off offset:944
	v_add_f64_e32 v[179:180], v[179:180], v[169:170]
	v_add_f64_e32 v[171:172], v[177:178], v[171:172]
	s_wait_loadcnt_dscnt 0x800
	v_mul_f64_e32 v[177:178], v[2:3], v[40:41]
	v_mul_f64_e32 v[40:41], v[4:5], v[40:41]
	ds_load_b128 v[167:170], v1 offset:1760
	v_fma_f64 v[175:176], v[175:176], v[165:166], v[181:182]
	v_fma_f64 v[165:166], v[173:174], v[165:166], -v[183:184]
	v_add_f64_e32 v[173:174], v[179:180], v[187:188]
	v_add_f64_e32 v[171:172], v[171:172], v[185:186]
	s_wait_loadcnt_dscnt 0x700
	v_mul_f64_e32 v[179:180], v[167:168], v[8:9]
	v_mul_f64_e32 v[8:9], v[169:170], v[8:9]
	v_fma_f64 v[177:178], v[4:5], v[38:39], v[177:178]
	v_fma_f64 v[181:182], v[2:3], v[38:39], -v[40:41]
	ds_load_b128 v[2:5], v1 offset:1776
	ds_load_b128 v[38:41], v1 offset:1792
	v_add_f64_e32 v[165:166], v[173:174], v[165:166]
	v_add_f64_e32 v[171:172], v[171:172], v[175:176]
	s_wait_loadcnt_dscnt 0x601
	v_mul_f64_e32 v[173:174], v[2:3], v[12:13]
	v_mul_f64_e32 v[12:13], v[4:5], v[12:13]
	v_fma_f64 v[169:170], v[169:170], v[6:7], v[179:180]
	v_fma_f64 v[6:7], v[167:168], v[6:7], -v[8:9]
	s_wait_loadcnt_dscnt 0x500
	v_mul_f64_e32 v[167:168], v[38:39], v[16:17]
	v_mul_f64_e32 v[16:17], v[40:41], v[16:17]
	v_add_f64_e32 v[8:9], v[165:166], v[181:182]
	v_add_f64_e32 v[165:166], v[171:172], v[177:178]
	v_fma_f64 v[171:172], v[4:5], v[10:11], v[173:174]
	v_fma_f64 v[10:11], v[2:3], v[10:11], -v[12:13]
	v_fma_f64 v[40:41], v[40:41], v[14:15], v[167:168]
	v_fma_f64 v[14:15], v[38:39], v[14:15], -v[16:17]
	v_add_f64_e32 v[12:13], v[8:9], v[6:7]
	v_add_f64_e32 v[165:166], v[165:166], v[169:170]
	ds_load_b128 v[2:5], v1 offset:1808
	ds_load_b128 v[6:9], v1 offset:1824
	s_wait_loadcnt_dscnt 0x401
	v_mul_f64_e32 v[169:170], v[2:3], v[20:21]
	v_mul_f64_e32 v[20:21], v[4:5], v[20:21]
	s_wait_loadcnt_dscnt 0x300
	v_mul_f64_e32 v[16:17], v[6:7], v[24:25]
	v_mul_f64_e32 v[24:25], v[8:9], v[24:25]
	v_add_f64_e32 v[10:11], v[12:13], v[10:11]
	v_add_f64_e32 v[12:13], v[165:166], v[171:172]
	v_fma_f64 v[38:39], v[4:5], v[18:19], v[169:170]
	v_fma_f64 v[18:19], v[2:3], v[18:19], -v[20:21]
	v_fma_f64 v[8:9], v[8:9], v[22:23], v[16:17]
	v_fma_f64 v[6:7], v[6:7], v[22:23], -v[24:25]
	v_add_f64_e32 v[14:15], v[10:11], v[14:15]
	v_add_f64_e32 v[20:21], v[12:13], v[40:41]
	ds_load_b128 v[2:5], v1 offset:1840
	ds_load_b128 v[10:13], v1 offset:1856
	s_wait_loadcnt_dscnt 0x201
	v_mul_f64_e32 v[40:41], v[2:3], v[28:29]
	v_mul_f64_e32 v[28:29], v[4:5], v[28:29]
	v_add_f64_e32 v[14:15], v[14:15], v[18:19]
	v_add_f64_e32 v[16:17], v[20:21], v[38:39]
	s_wait_loadcnt_dscnt 0x100
	v_mul_f64_e32 v[18:19], v[10:11], v[32:33]
	v_mul_f64_e32 v[20:21], v[12:13], v[32:33]
	v_fma_f64 v[22:23], v[4:5], v[26:27], v[40:41]
	v_fma_f64 v[24:25], v[2:3], v[26:27], -v[28:29]
	ds_load_b128 v[2:5], v1 offset:1872
	v_add_f64_e32 v[6:7], v[14:15], v[6:7]
	v_add_f64_e32 v[8:9], v[16:17], v[8:9]
	v_fma_f64 v[12:13], v[12:13], v[30:31], v[18:19]
	v_fma_f64 v[10:11], v[10:11], v[30:31], -v[20:21]
	s_wait_loadcnt_dscnt 0x0
	v_mul_f64_e32 v[14:15], v[2:3], v[36:37]
	v_mul_f64_e32 v[16:17], v[4:5], v[36:37]
	v_add_f64_e32 v[6:7], v[6:7], v[24:25]
	v_add_f64_e32 v[8:9], v[8:9], v[22:23]
	s_delay_alu instid0(VALU_DEP_4) | instskip(NEXT) | instid1(VALU_DEP_4)
	v_fma_f64 v[4:5], v[4:5], v[34:35], v[14:15]
	v_fma_f64 v[2:3], v[2:3], v[34:35], -v[16:17]
	s_delay_alu instid0(VALU_DEP_4) | instskip(NEXT) | instid1(VALU_DEP_4)
	v_add_f64_e32 v[6:7], v[6:7], v[10:11]
	v_add_f64_e32 v[8:9], v[8:9], v[12:13]
	s_delay_alu instid0(VALU_DEP_2) | instskip(NEXT) | instid1(VALU_DEP_2)
	v_add_f64_e32 v[2:3], v[6:7], v[2:3]
	v_add_f64_e32 v[4:5], v[8:9], v[4:5]
	s_delay_alu instid0(VALU_DEP_2) | instskip(NEXT) | instid1(VALU_DEP_2)
	v_add_f64_e64 v[2:3], v[42:43], -v[2:3]
	v_add_f64_e64 v[4:5], v[44:45], -v[4:5]
	scratch_store_b128 off, v[2:5], off offset:320
	v_cmpx_lt_u32_e32 18, v0
	s_cbranch_execz .LBB58_331
; %bb.330:
	scratch_load_b128 v[5:8], off, s54
	v_dual_mov_b32 v2, v1 :: v_dual_mov_b32 v3, v1
	v_mov_b32_e32 v4, v1
	scratch_store_b128 off, v[1:4], off offset:304
	s_wait_loadcnt 0x0
	ds_store_b128 v164, v[5:8]
.LBB58_331:
	s_wait_alu 0xfffe
	s_or_b32 exec_lo, exec_lo, s0
	s_wait_storecnt_dscnt 0x0
	s_barrier_signal -1
	s_barrier_wait -1
	global_inv scope:SCOPE_SE
	s_clause 0x8
	scratch_load_b128 v[2:5], off, off offset:320
	scratch_load_b128 v[6:9], off, off offset:336
	;; [unrolled: 1-line block ×9, first 2 shown]
	ds_load_b128 v[42:45], v1 offset:1248
	ds_load_b128 v[38:41], v1 offset:1264
	s_clause 0x1
	scratch_load_b128 v[165:168], off, off offset:304
	scratch_load_b128 v[169:172], off, off offset:464
	s_mov_b32 s0, exec_lo
	s_wait_loadcnt_dscnt 0xa01
	v_mul_f64_e32 v[173:174], v[44:45], v[4:5]
	v_mul_f64_e32 v[4:5], v[42:43], v[4:5]
	s_wait_loadcnt_dscnt 0x900
	v_mul_f64_e32 v[177:178], v[38:39], v[8:9]
	v_mul_f64_e32 v[8:9], v[40:41], v[8:9]
	s_delay_alu instid0(VALU_DEP_4) | instskip(NEXT) | instid1(VALU_DEP_4)
	v_fma_f64 v[179:180], v[42:43], v[2:3], -v[173:174]
	v_fma_f64 v[181:182], v[44:45], v[2:3], v[4:5]
	ds_load_b128 v[2:5], v1 offset:1280
	ds_load_b128 v[173:176], v1 offset:1296
	scratch_load_b128 v[42:45], off, off offset:480
	v_fma_f64 v[40:41], v[40:41], v[6:7], v[177:178]
	v_fma_f64 v[38:39], v[38:39], v[6:7], -v[8:9]
	scratch_load_b128 v[6:9], off, off offset:496
	s_wait_loadcnt_dscnt 0xa01
	v_mul_f64_e32 v[183:184], v[2:3], v[12:13]
	v_mul_f64_e32 v[12:13], v[4:5], v[12:13]
	v_add_f64_e32 v[177:178], 0, v[179:180]
	v_add_f64_e32 v[179:180], 0, v[181:182]
	s_wait_loadcnt_dscnt 0x900
	v_mul_f64_e32 v[181:182], v[173:174], v[16:17]
	v_mul_f64_e32 v[16:17], v[175:176], v[16:17]
	v_fma_f64 v[183:184], v[4:5], v[10:11], v[183:184]
	v_fma_f64 v[185:186], v[2:3], v[10:11], -v[12:13]
	ds_load_b128 v[2:5], v1 offset:1312
	scratch_load_b128 v[10:13], off, off offset:512
	v_add_f64_e32 v[177:178], v[177:178], v[38:39]
	v_add_f64_e32 v[179:180], v[179:180], v[40:41]
	ds_load_b128 v[38:41], v1 offset:1328
	v_fma_f64 v[175:176], v[175:176], v[14:15], v[181:182]
	v_fma_f64 v[173:174], v[173:174], v[14:15], -v[16:17]
	scratch_load_b128 v[14:17], off, off offset:528
	s_wait_loadcnt_dscnt 0xa01
	v_mul_f64_e32 v[187:188], v[2:3], v[20:21]
	v_mul_f64_e32 v[20:21], v[4:5], v[20:21]
	s_wait_loadcnt_dscnt 0x900
	v_mul_f64_e32 v[181:182], v[38:39], v[24:25]
	v_mul_f64_e32 v[24:25], v[40:41], v[24:25]
	v_add_f64_e32 v[177:178], v[177:178], v[185:186]
	v_add_f64_e32 v[179:180], v[179:180], v[183:184]
	v_fma_f64 v[183:184], v[4:5], v[18:19], v[187:188]
	v_fma_f64 v[185:186], v[2:3], v[18:19], -v[20:21]
	ds_load_b128 v[2:5], v1 offset:1344
	scratch_load_b128 v[18:21], off, off offset:544
	v_fma_f64 v[40:41], v[40:41], v[22:23], v[181:182]
	v_fma_f64 v[38:39], v[38:39], v[22:23], -v[24:25]
	scratch_load_b128 v[22:25], off, off offset:560
	v_add_f64_e32 v[177:178], v[177:178], v[173:174]
	v_add_f64_e32 v[179:180], v[179:180], v[175:176]
	ds_load_b128 v[173:176], v1 offset:1360
	s_wait_loadcnt_dscnt 0xa01
	v_mul_f64_e32 v[187:188], v[2:3], v[28:29]
	v_mul_f64_e32 v[28:29], v[4:5], v[28:29]
	s_wait_loadcnt_dscnt 0x900
	v_mul_f64_e32 v[181:182], v[173:174], v[32:33]
	v_mul_f64_e32 v[32:33], v[175:176], v[32:33]
	v_add_f64_e32 v[177:178], v[177:178], v[185:186]
	v_add_f64_e32 v[179:180], v[179:180], v[183:184]
	v_fma_f64 v[183:184], v[4:5], v[26:27], v[187:188]
	v_fma_f64 v[185:186], v[2:3], v[26:27], -v[28:29]
	ds_load_b128 v[2:5], v1 offset:1376
	scratch_load_b128 v[26:29], off, off offset:576
	v_fma_f64 v[175:176], v[175:176], v[30:31], v[181:182]
	v_fma_f64 v[173:174], v[173:174], v[30:31], -v[32:33]
	scratch_load_b128 v[30:33], off, off offset:592
	v_add_f64_e32 v[177:178], v[177:178], v[38:39]
	v_add_f64_e32 v[179:180], v[179:180], v[40:41]
	ds_load_b128 v[38:41], v1 offset:1392
	s_wait_loadcnt_dscnt 0xa01
	v_mul_f64_e32 v[187:188], v[2:3], v[36:37]
	v_mul_f64_e32 v[36:37], v[4:5], v[36:37]
	s_wait_loadcnt_dscnt 0x800
	v_mul_f64_e32 v[181:182], v[38:39], v[171:172]
	v_add_f64_e32 v[177:178], v[177:178], v[185:186]
	v_add_f64_e32 v[179:180], v[179:180], v[183:184]
	v_mul_f64_e32 v[183:184], v[40:41], v[171:172]
	v_fma_f64 v[185:186], v[4:5], v[34:35], v[187:188]
	v_fma_f64 v[187:188], v[2:3], v[34:35], -v[36:37]
	ds_load_b128 v[2:5], v1 offset:1408
	scratch_load_b128 v[34:37], off, off offset:608
	v_fma_f64 v[181:182], v[40:41], v[169:170], v[181:182]
	v_add_f64_e32 v[177:178], v[177:178], v[173:174]
	v_add_f64_e32 v[175:176], v[179:180], v[175:176]
	ds_load_b128 v[171:174], v1 offset:1424
	v_fma_f64 v[169:170], v[38:39], v[169:170], -v[183:184]
	scratch_load_b128 v[38:41], off, off offset:624
	s_wait_loadcnt_dscnt 0x901
	v_mul_f64_e32 v[179:180], v[2:3], v[44:45]
	v_mul_f64_e32 v[44:45], v[4:5], v[44:45]
	s_wait_loadcnt_dscnt 0x800
	v_mul_f64_e32 v[183:184], v[171:172], v[8:9]
	v_mul_f64_e32 v[8:9], v[173:174], v[8:9]
	v_add_f64_e32 v[177:178], v[177:178], v[187:188]
	v_add_f64_e32 v[175:176], v[175:176], v[185:186]
	v_fma_f64 v[179:180], v[4:5], v[42:43], v[179:180]
	v_fma_f64 v[185:186], v[2:3], v[42:43], -v[44:45]
	ds_load_b128 v[2:5], v1 offset:1440
	scratch_load_b128 v[42:45], off, off offset:640
	v_fma_f64 v[173:174], v[173:174], v[6:7], v[183:184]
	v_fma_f64 v[171:172], v[171:172], v[6:7], -v[8:9]
	scratch_load_b128 v[6:9], off, off offset:656
	v_add_f64_e32 v[169:170], v[177:178], v[169:170]
	v_add_f64_e32 v[181:182], v[175:176], v[181:182]
	ds_load_b128 v[175:178], v1 offset:1456
	s_wait_loadcnt_dscnt 0x901
	v_mul_f64_e32 v[187:188], v[2:3], v[12:13]
	v_mul_f64_e32 v[12:13], v[4:5], v[12:13]
	v_add_f64_e32 v[169:170], v[169:170], v[185:186]
	v_add_f64_e32 v[179:180], v[181:182], v[179:180]
	s_wait_loadcnt_dscnt 0x800
	v_mul_f64_e32 v[181:182], v[175:176], v[16:17]
	v_mul_f64_e32 v[16:17], v[177:178], v[16:17]
	v_fma_f64 v[183:184], v[4:5], v[10:11], v[187:188]
	v_fma_f64 v[185:186], v[2:3], v[10:11], -v[12:13]
	ds_load_b128 v[2:5], v1 offset:1472
	scratch_load_b128 v[10:13], off, off offset:672
	v_add_f64_e32 v[187:188], v[169:170], v[171:172]
	v_add_f64_e32 v[173:174], v[179:180], v[173:174]
	ds_load_b128 v[169:172], v1 offset:1488
	s_wait_loadcnt_dscnt 0x801
	v_mul_f64_e32 v[179:180], v[2:3], v[20:21]
	v_mul_f64_e32 v[20:21], v[4:5], v[20:21]
	v_fma_f64 v[177:178], v[177:178], v[14:15], v[181:182]
	v_fma_f64 v[175:176], v[175:176], v[14:15], -v[16:17]
	scratch_load_b128 v[14:17], off, off offset:688
	v_add_f64_e32 v[181:182], v[187:188], v[185:186]
	v_add_f64_e32 v[173:174], v[173:174], v[183:184]
	s_wait_loadcnt_dscnt 0x800
	v_mul_f64_e32 v[183:184], v[169:170], v[24:25]
	v_mul_f64_e32 v[24:25], v[171:172], v[24:25]
	v_fma_f64 v[179:180], v[4:5], v[18:19], v[179:180]
	v_fma_f64 v[185:186], v[2:3], v[18:19], -v[20:21]
	ds_load_b128 v[2:5], v1 offset:1504
	scratch_load_b128 v[18:21], off, off offset:704
	v_add_f64_e32 v[181:182], v[181:182], v[175:176]
	v_add_f64_e32 v[177:178], v[173:174], v[177:178]
	ds_load_b128 v[173:176], v1 offset:1520
	s_wait_loadcnt_dscnt 0x801
	v_mul_f64_e32 v[187:188], v[2:3], v[28:29]
	v_mul_f64_e32 v[28:29], v[4:5], v[28:29]
	v_fma_f64 v[171:172], v[171:172], v[22:23], v[183:184]
	v_fma_f64 v[169:170], v[169:170], v[22:23], -v[24:25]
	scratch_load_b128 v[22:25], off, off offset:720
	;; [unrolled: 18-line block ×4, first 2 shown]
	s_wait_loadcnt_dscnt 0x800
	v_mul_f64_e32 v[181:182], v[173:174], v[8:9]
	v_mul_f64_e32 v[8:9], v[175:176], v[8:9]
	v_add_f64_e32 v[179:180], v[179:180], v[185:186]
	v_add_f64_e32 v[177:178], v[177:178], v[183:184]
	v_fma_f64 v[183:184], v[4:5], v[42:43], v[187:188]
	v_fma_f64 v[185:186], v[2:3], v[42:43], -v[44:45]
	ds_load_b128 v[2:5], v1 offset:1600
	scratch_load_b128 v[42:45], off, off offset:800
	v_fma_f64 v[175:176], v[175:176], v[6:7], v[181:182]
	v_fma_f64 v[173:174], v[173:174], v[6:7], -v[8:9]
	scratch_load_b128 v[6:9], off, off offset:816
	v_add_f64_e32 v[179:180], v[179:180], v[169:170]
	v_add_f64_e32 v[177:178], v[177:178], v[171:172]
	ds_load_b128 v[169:172], v1 offset:1616
	s_wait_loadcnt_dscnt 0x901
	v_mul_f64_e32 v[187:188], v[2:3], v[12:13]
	v_mul_f64_e32 v[12:13], v[4:5], v[12:13]
	s_wait_loadcnt_dscnt 0x800
	v_mul_f64_e32 v[181:182], v[169:170], v[16:17]
	v_mul_f64_e32 v[16:17], v[171:172], v[16:17]
	v_add_f64_e32 v[179:180], v[179:180], v[185:186]
	v_add_f64_e32 v[177:178], v[177:178], v[183:184]
	v_fma_f64 v[183:184], v[4:5], v[10:11], v[187:188]
	v_fma_f64 v[185:186], v[2:3], v[10:11], -v[12:13]
	ds_load_b128 v[2:5], v1 offset:1632
	scratch_load_b128 v[10:13], off, off offset:832
	v_fma_f64 v[171:172], v[171:172], v[14:15], v[181:182]
	v_fma_f64 v[169:170], v[169:170], v[14:15], -v[16:17]
	scratch_load_b128 v[14:17], off, off offset:848
	v_add_f64_e32 v[179:180], v[179:180], v[173:174]
	v_add_f64_e32 v[177:178], v[177:178], v[175:176]
	ds_load_b128 v[173:176], v1 offset:1648
	s_wait_loadcnt_dscnt 0x901
	v_mul_f64_e32 v[187:188], v[2:3], v[20:21]
	v_mul_f64_e32 v[20:21], v[4:5], v[20:21]
	;; [unrolled: 18-line block ×5, first 2 shown]
	s_wait_loadcnt_dscnt 0x800
	v_mul_f64_e32 v[181:182], v[169:170], v[8:9]
	v_mul_f64_e32 v[8:9], v[171:172], v[8:9]
	v_add_f64_e32 v[179:180], v[179:180], v[185:186]
	v_add_f64_e32 v[177:178], v[177:178], v[183:184]
	v_fma_f64 v[183:184], v[4:5], v[42:43], v[187:188]
	v_fma_f64 v[185:186], v[2:3], v[42:43], -v[44:45]
	ds_load_b128 v[2:5], v1 offset:1760
	ds_load_b128 v[42:45], v1 offset:1776
	v_fma_f64 v[171:172], v[171:172], v[6:7], v[181:182]
	v_fma_f64 v[6:7], v[169:170], v[6:7], -v[8:9]
	v_add_f64_e32 v[173:174], v[179:180], v[173:174]
	v_add_f64_e32 v[175:176], v[177:178], v[175:176]
	s_wait_loadcnt_dscnt 0x701
	v_mul_f64_e32 v[177:178], v[2:3], v[12:13]
	v_mul_f64_e32 v[12:13], v[4:5], v[12:13]
	s_delay_alu instid0(VALU_DEP_4) | instskip(NEXT) | instid1(VALU_DEP_4)
	v_add_f64_e32 v[8:9], v[173:174], v[185:186]
	v_add_f64_e32 v[169:170], v[175:176], v[183:184]
	s_wait_loadcnt_dscnt 0x600
	v_mul_f64_e32 v[173:174], v[42:43], v[16:17]
	v_mul_f64_e32 v[16:17], v[44:45], v[16:17]
	v_fma_f64 v[175:176], v[4:5], v[10:11], v[177:178]
	v_fma_f64 v[10:11], v[2:3], v[10:11], -v[12:13]
	v_add_f64_e32 v[12:13], v[8:9], v[6:7]
	v_add_f64_e32 v[169:170], v[169:170], v[171:172]
	ds_load_b128 v[2:5], v1 offset:1792
	ds_load_b128 v[6:9], v1 offset:1808
	v_fma_f64 v[44:45], v[44:45], v[14:15], v[173:174]
	v_fma_f64 v[14:15], v[42:43], v[14:15], -v[16:17]
	s_wait_loadcnt_dscnt 0x501
	v_mul_f64_e32 v[171:172], v[2:3], v[20:21]
	v_mul_f64_e32 v[20:21], v[4:5], v[20:21]
	s_wait_loadcnt_dscnt 0x400
	v_mul_f64_e32 v[16:17], v[6:7], v[24:25]
	v_mul_f64_e32 v[24:25], v[8:9], v[24:25]
	v_add_f64_e32 v[10:11], v[12:13], v[10:11]
	v_add_f64_e32 v[12:13], v[169:170], v[175:176]
	v_fma_f64 v[42:43], v[4:5], v[18:19], v[171:172]
	v_fma_f64 v[18:19], v[2:3], v[18:19], -v[20:21]
	v_fma_f64 v[8:9], v[8:9], v[22:23], v[16:17]
	v_fma_f64 v[6:7], v[6:7], v[22:23], -v[24:25]
	v_add_f64_e32 v[14:15], v[10:11], v[14:15]
	v_add_f64_e32 v[20:21], v[12:13], v[44:45]
	ds_load_b128 v[2:5], v1 offset:1824
	ds_load_b128 v[10:13], v1 offset:1840
	s_wait_loadcnt_dscnt 0x301
	v_mul_f64_e32 v[44:45], v[2:3], v[28:29]
	v_mul_f64_e32 v[28:29], v[4:5], v[28:29]
	v_add_f64_e32 v[14:15], v[14:15], v[18:19]
	v_add_f64_e32 v[16:17], v[20:21], v[42:43]
	s_wait_loadcnt_dscnt 0x200
	v_mul_f64_e32 v[18:19], v[10:11], v[32:33]
	v_mul_f64_e32 v[20:21], v[12:13], v[32:33]
	v_fma_f64 v[22:23], v[4:5], v[26:27], v[44:45]
	v_fma_f64 v[24:25], v[2:3], v[26:27], -v[28:29]
	v_add_f64_e32 v[14:15], v[14:15], v[6:7]
	v_add_f64_e32 v[16:17], v[16:17], v[8:9]
	ds_load_b128 v[2:5], v1 offset:1856
	ds_load_b128 v[6:9], v1 offset:1872
	v_fma_f64 v[12:13], v[12:13], v[30:31], v[18:19]
	v_fma_f64 v[10:11], v[10:11], v[30:31], -v[20:21]
	s_wait_loadcnt_dscnt 0x101
	v_mul_f64_e32 v[26:27], v[2:3], v[36:37]
	v_mul_f64_e32 v[28:29], v[4:5], v[36:37]
	s_wait_loadcnt_dscnt 0x0
	v_mul_f64_e32 v[18:19], v[6:7], v[40:41]
	v_mul_f64_e32 v[20:21], v[8:9], v[40:41]
	v_add_f64_e32 v[14:15], v[14:15], v[24:25]
	v_add_f64_e32 v[16:17], v[16:17], v[22:23]
	v_fma_f64 v[4:5], v[4:5], v[34:35], v[26:27]
	v_fma_f64 v[1:2], v[2:3], v[34:35], -v[28:29]
	v_fma_f64 v[8:9], v[8:9], v[38:39], v[18:19]
	v_fma_f64 v[6:7], v[6:7], v[38:39], -v[20:21]
	v_add_f64_e32 v[10:11], v[14:15], v[10:11]
	v_add_f64_e32 v[12:13], v[16:17], v[12:13]
	s_delay_alu instid0(VALU_DEP_2) | instskip(NEXT) | instid1(VALU_DEP_2)
	v_add_f64_e32 v[1:2], v[10:11], v[1:2]
	v_add_f64_e32 v[3:4], v[12:13], v[4:5]
	s_delay_alu instid0(VALU_DEP_2) | instskip(NEXT) | instid1(VALU_DEP_2)
	v_add_f64_e32 v[1:2], v[1:2], v[6:7]
	v_add_f64_e32 v[3:4], v[3:4], v[8:9]
	s_delay_alu instid0(VALU_DEP_2) | instskip(NEXT) | instid1(VALU_DEP_2)
	v_add_f64_e64 v[1:2], v[165:166], -v[1:2]
	v_add_f64_e64 v[3:4], v[167:168], -v[3:4]
	scratch_store_b128 off, v[1:4], off offset:304
	v_cmpx_lt_u32_e32 17, v0
	s_cbranch_execz .LBB58_333
; %bb.332:
	scratch_load_b128 v[1:4], off, s55
	v_mov_b32_e32 v5, 0
	s_delay_alu instid0(VALU_DEP_1)
	v_dual_mov_b32 v6, v5 :: v_dual_mov_b32 v7, v5
	v_mov_b32_e32 v8, v5
	scratch_store_b128 off, v[5:8], off offset:288
	s_wait_loadcnt 0x0
	ds_store_b128 v164, v[1:4]
.LBB58_333:
	s_wait_alu 0xfffe
	s_or_b32 exec_lo, exec_lo, s0
	s_wait_storecnt_dscnt 0x0
	s_barrier_signal -1
	s_barrier_wait -1
	global_inv scope:SCOPE_SE
	s_clause 0x7
	scratch_load_b128 v[2:5], off, off offset:304
	scratch_load_b128 v[6:9], off, off offset:320
	;; [unrolled: 1-line block ×8, first 2 shown]
	v_mov_b32_e32 v1, 0
	s_mov_b32 s0, exec_lo
	ds_load_b128 v[38:41], v1 offset:1232
	s_clause 0x1
	scratch_load_b128 v[34:37], off, off offset:432
	scratch_load_b128 v[42:45], off, off offset:288
	ds_load_b128 v[165:168], v1 offset:1248
	scratch_load_b128 v[169:172], off, off offset:448
	s_wait_loadcnt_dscnt 0xa01
	v_mul_f64_e32 v[173:174], v[40:41], v[4:5]
	v_mul_f64_e32 v[4:5], v[38:39], v[4:5]
	s_delay_alu instid0(VALU_DEP_2) | instskip(NEXT) | instid1(VALU_DEP_2)
	v_fma_f64 v[179:180], v[38:39], v[2:3], -v[173:174]
	v_fma_f64 v[181:182], v[40:41], v[2:3], v[4:5]
	ds_load_b128 v[2:5], v1 offset:1264
	s_wait_loadcnt_dscnt 0x901
	v_mul_f64_e32 v[177:178], v[165:166], v[8:9]
	v_mul_f64_e32 v[8:9], v[167:168], v[8:9]
	scratch_load_b128 v[38:41], off, off offset:464
	ds_load_b128 v[173:176], v1 offset:1280
	s_wait_loadcnt_dscnt 0x901
	v_mul_f64_e32 v[183:184], v[2:3], v[12:13]
	v_mul_f64_e32 v[12:13], v[4:5], v[12:13]
	v_fma_f64 v[167:168], v[167:168], v[6:7], v[177:178]
	v_fma_f64 v[165:166], v[165:166], v[6:7], -v[8:9]
	v_add_f64_e32 v[177:178], 0, v[179:180]
	v_add_f64_e32 v[179:180], 0, v[181:182]
	scratch_load_b128 v[6:9], off, off offset:480
	v_fma_f64 v[183:184], v[4:5], v[10:11], v[183:184]
	v_fma_f64 v[185:186], v[2:3], v[10:11], -v[12:13]
	ds_load_b128 v[2:5], v1 offset:1296
	s_wait_loadcnt_dscnt 0x901
	v_mul_f64_e32 v[181:182], v[173:174], v[16:17]
	v_mul_f64_e32 v[16:17], v[175:176], v[16:17]
	scratch_load_b128 v[10:13], off, off offset:496
	v_add_f64_e32 v[177:178], v[177:178], v[165:166]
	v_add_f64_e32 v[179:180], v[179:180], v[167:168]
	s_wait_loadcnt_dscnt 0x900
	v_mul_f64_e32 v[187:188], v[2:3], v[20:21]
	v_mul_f64_e32 v[20:21], v[4:5], v[20:21]
	ds_load_b128 v[165:168], v1 offset:1312
	v_fma_f64 v[175:176], v[175:176], v[14:15], v[181:182]
	v_fma_f64 v[173:174], v[173:174], v[14:15], -v[16:17]
	scratch_load_b128 v[14:17], off, off offset:512
	v_add_f64_e32 v[177:178], v[177:178], v[185:186]
	v_add_f64_e32 v[179:180], v[179:180], v[183:184]
	v_fma_f64 v[183:184], v[4:5], v[18:19], v[187:188]
	v_fma_f64 v[185:186], v[2:3], v[18:19], -v[20:21]
	ds_load_b128 v[2:5], v1 offset:1328
	s_wait_loadcnt_dscnt 0x901
	v_mul_f64_e32 v[181:182], v[165:166], v[24:25]
	v_mul_f64_e32 v[24:25], v[167:168], v[24:25]
	scratch_load_b128 v[18:21], off, off offset:528
	s_wait_loadcnt_dscnt 0x900
	v_mul_f64_e32 v[187:188], v[2:3], v[28:29]
	v_mul_f64_e32 v[28:29], v[4:5], v[28:29]
	v_add_f64_e32 v[177:178], v[177:178], v[173:174]
	v_add_f64_e32 v[179:180], v[179:180], v[175:176]
	ds_load_b128 v[173:176], v1 offset:1344
	v_fma_f64 v[167:168], v[167:168], v[22:23], v[181:182]
	v_fma_f64 v[165:166], v[165:166], v[22:23], -v[24:25]
	scratch_load_b128 v[22:25], off, off offset:544
	v_add_f64_e32 v[177:178], v[177:178], v[185:186]
	v_add_f64_e32 v[179:180], v[179:180], v[183:184]
	v_fma_f64 v[183:184], v[4:5], v[26:27], v[187:188]
	v_fma_f64 v[185:186], v[2:3], v[26:27], -v[28:29]
	ds_load_b128 v[2:5], v1 offset:1360
	s_wait_loadcnt_dscnt 0x901
	v_mul_f64_e32 v[181:182], v[173:174], v[32:33]
	v_mul_f64_e32 v[32:33], v[175:176], v[32:33]
	scratch_load_b128 v[26:29], off, off offset:560
	s_wait_loadcnt_dscnt 0x900
	v_mul_f64_e32 v[187:188], v[2:3], v[36:37]
	v_mul_f64_e32 v[36:37], v[4:5], v[36:37]
	v_add_f64_e32 v[177:178], v[177:178], v[165:166]
	v_add_f64_e32 v[179:180], v[179:180], v[167:168]
	ds_load_b128 v[165:168], v1 offset:1376
	v_fma_f64 v[175:176], v[175:176], v[30:31], v[181:182]
	v_fma_f64 v[173:174], v[173:174], v[30:31], -v[32:33]
	scratch_load_b128 v[30:33], off, off offset:576
	v_add_f64_e32 v[177:178], v[177:178], v[185:186]
	v_add_f64_e32 v[179:180], v[179:180], v[183:184]
	v_fma_f64 v[185:186], v[4:5], v[34:35], v[187:188]
	v_fma_f64 v[187:188], v[2:3], v[34:35], -v[36:37]
	ds_load_b128 v[2:5], v1 offset:1392
	s_wait_loadcnt_dscnt 0x801
	v_mul_f64_e32 v[181:182], v[165:166], v[171:172]
	v_mul_f64_e32 v[183:184], v[167:168], v[171:172]
	scratch_load_b128 v[34:37], off, off offset:592
	v_add_f64_e32 v[177:178], v[177:178], v[173:174]
	v_add_f64_e32 v[175:176], v[179:180], v[175:176]
	ds_load_b128 v[171:174], v1 offset:1408
	v_fma_f64 v[181:182], v[167:168], v[169:170], v[181:182]
	v_fma_f64 v[169:170], v[165:166], v[169:170], -v[183:184]
	scratch_load_b128 v[165:168], off, off offset:608
	s_wait_loadcnt_dscnt 0x901
	v_mul_f64_e32 v[179:180], v[2:3], v[40:41]
	v_mul_f64_e32 v[40:41], v[4:5], v[40:41]
	v_add_f64_e32 v[177:178], v[177:178], v[187:188]
	v_add_f64_e32 v[175:176], v[175:176], v[185:186]
	s_delay_alu instid0(VALU_DEP_4) | instskip(NEXT) | instid1(VALU_DEP_4)
	v_fma_f64 v[179:180], v[4:5], v[38:39], v[179:180]
	v_fma_f64 v[185:186], v[2:3], v[38:39], -v[40:41]
	ds_load_b128 v[2:5], v1 offset:1424
	s_wait_loadcnt_dscnt 0x801
	v_mul_f64_e32 v[183:184], v[171:172], v[8:9]
	v_mul_f64_e32 v[8:9], v[173:174], v[8:9]
	scratch_load_b128 v[38:41], off, off offset:624
	s_wait_loadcnt_dscnt 0x800
	v_mul_f64_e32 v[187:188], v[2:3], v[12:13]
	v_add_f64_e32 v[169:170], v[177:178], v[169:170]
	v_add_f64_e32 v[181:182], v[175:176], v[181:182]
	v_mul_f64_e32 v[12:13], v[4:5], v[12:13]
	ds_load_b128 v[175:178], v1 offset:1440
	v_fma_f64 v[173:174], v[173:174], v[6:7], v[183:184]
	v_fma_f64 v[171:172], v[171:172], v[6:7], -v[8:9]
	scratch_load_b128 v[6:9], off, off offset:640
	v_fma_f64 v[183:184], v[4:5], v[10:11], v[187:188]
	v_add_f64_e32 v[169:170], v[169:170], v[185:186]
	v_add_f64_e32 v[179:180], v[181:182], v[179:180]
	v_fma_f64 v[185:186], v[2:3], v[10:11], -v[12:13]
	ds_load_b128 v[2:5], v1 offset:1456
	s_wait_loadcnt_dscnt 0x801
	v_mul_f64_e32 v[181:182], v[175:176], v[16:17]
	v_mul_f64_e32 v[16:17], v[177:178], v[16:17]
	scratch_load_b128 v[10:13], off, off offset:656
	v_add_f64_e32 v[187:188], v[169:170], v[171:172]
	v_add_f64_e32 v[173:174], v[179:180], v[173:174]
	s_wait_loadcnt_dscnt 0x800
	v_mul_f64_e32 v[179:180], v[2:3], v[20:21]
	v_mul_f64_e32 v[20:21], v[4:5], v[20:21]
	v_fma_f64 v[177:178], v[177:178], v[14:15], v[181:182]
	v_fma_f64 v[175:176], v[175:176], v[14:15], -v[16:17]
	ds_load_b128 v[169:172], v1 offset:1472
	scratch_load_b128 v[14:17], off, off offset:672
	v_add_f64_e32 v[181:182], v[187:188], v[185:186]
	v_add_f64_e32 v[173:174], v[173:174], v[183:184]
	v_fma_f64 v[179:180], v[4:5], v[18:19], v[179:180]
	v_fma_f64 v[185:186], v[2:3], v[18:19], -v[20:21]
	ds_load_b128 v[2:5], v1 offset:1488
	s_wait_loadcnt_dscnt 0x801
	v_mul_f64_e32 v[183:184], v[169:170], v[24:25]
	v_mul_f64_e32 v[24:25], v[171:172], v[24:25]
	scratch_load_b128 v[18:21], off, off offset:688
	s_wait_loadcnt_dscnt 0x800
	v_mul_f64_e32 v[187:188], v[2:3], v[28:29]
	v_mul_f64_e32 v[28:29], v[4:5], v[28:29]
	v_add_f64_e32 v[181:182], v[181:182], v[175:176]
	v_add_f64_e32 v[177:178], v[173:174], v[177:178]
	ds_load_b128 v[173:176], v1 offset:1504
	v_fma_f64 v[171:172], v[171:172], v[22:23], v[183:184]
	v_fma_f64 v[169:170], v[169:170], v[22:23], -v[24:25]
	scratch_load_b128 v[22:25], off, off offset:704
	v_fma_f64 v[183:184], v[4:5], v[26:27], v[187:188]
	v_add_f64_e32 v[181:182], v[181:182], v[185:186]
	v_add_f64_e32 v[177:178], v[177:178], v[179:180]
	v_fma_f64 v[185:186], v[2:3], v[26:27], -v[28:29]
	ds_load_b128 v[2:5], v1 offset:1520
	s_wait_loadcnt_dscnt 0x801
	v_mul_f64_e32 v[179:180], v[173:174], v[32:33]
	v_mul_f64_e32 v[32:33], v[175:176], v[32:33]
	scratch_load_b128 v[26:29], off, off offset:720
	s_wait_loadcnt_dscnt 0x800
	v_mul_f64_e32 v[187:188], v[2:3], v[36:37]
	v_mul_f64_e32 v[36:37], v[4:5], v[36:37]
	v_add_f64_e32 v[181:182], v[181:182], v[169:170]
	v_add_f64_e32 v[177:178], v[177:178], v[171:172]
	ds_load_b128 v[169:172], v1 offset:1536
	v_fma_f64 v[175:176], v[175:176], v[30:31], v[179:180]
	v_fma_f64 v[173:174], v[173:174], v[30:31], -v[32:33]
	scratch_load_b128 v[30:33], off, off offset:736
	v_add_f64_e32 v[179:180], v[181:182], v[185:186]
	v_add_f64_e32 v[177:178], v[177:178], v[183:184]
	v_fma_f64 v[183:184], v[4:5], v[34:35], v[187:188]
	v_fma_f64 v[185:186], v[2:3], v[34:35], -v[36:37]
	ds_load_b128 v[2:5], v1 offset:1552
	s_wait_loadcnt_dscnt 0x801
	v_mul_f64_e32 v[181:182], v[169:170], v[167:168]
	v_mul_f64_e32 v[167:168], v[171:172], v[167:168]
	scratch_load_b128 v[34:37], off, off offset:752
	s_wait_loadcnt_dscnt 0x800
	v_mul_f64_e32 v[187:188], v[2:3], v[40:41]
	v_mul_f64_e32 v[40:41], v[4:5], v[40:41]
	v_add_f64_e32 v[179:180], v[179:180], v[173:174]
	v_add_f64_e32 v[177:178], v[177:178], v[175:176]
	ds_load_b128 v[173:176], v1 offset:1568
	v_fma_f64 v[171:172], v[171:172], v[165:166], v[181:182]
	v_fma_f64 v[169:170], v[169:170], v[165:166], -v[167:168]
	scratch_load_b128 v[165:168], off, off offset:768
	v_add_f64_e32 v[179:180], v[179:180], v[185:186]
	v_add_f64_e32 v[177:178], v[177:178], v[183:184]
	v_fma_f64 v[183:184], v[4:5], v[38:39], v[187:188]
	;; [unrolled: 18-line block ×6, first 2 shown]
	v_fma_f64 v[187:188], v[2:3], v[34:35], -v[36:37]
	ds_load_b128 v[2:5], v1 offset:1712
	s_wait_loadcnt_dscnt 0x801
	v_mul_f64_e32 v[181:182], v[173:174], v[167:168]
	v_mul_f64_e32 v[183:184], v[175:176], v[167:168]
	scratch_load_b128 v[34:37], off, off offset:912
	v_add_f64_e32 v[179:180], v[179:180], v[169:170]
	v_add_f64_e32 v[171:172], v[177:178], v[171:172]
	s_wait_loadcnt_dscnt 0x800
	v_mul_f64_e32 v[177:178], v[2:3], v[40:41]
	v_mul_f64_e32 v[40:41], v[4:5], v[40:41]
	ds_load_b128 v[167:170], v1 offset:1728
	v_fma_f64 v[175:176], v[175:176], v[165:166], v[181:182]
	v_fma_f64 v[165:166], v[173:174], v[165:166], -v[183:184]
	v_add_f64_e32 v[179:180], v[179:180], v[187:188]
	v_add_f64_e32 v[181:182], v[171:172], v[185:186]
	scratch_load_b128 v[171:174], off, off offset:928
	v_fma_f64 v[185:186], v[4:5], v[38:39], v[177:178]
	v_fma_f64 v[187:188], v[2:3], v[38:39], -v[40:41]
	ds_load_b128 v[2:5], v1 offset:1744
	s_wait_loadcnt_dscnt 0x801
	v_mul_f64_e32 v[183:184], v[167:168], v[8:9]
	v_mul_f64_e32 v[8:9], v[169:170], v[8:9]
	scratch_load_b128 v[38:41], off, off offset:944
	v_add_f64_e32 v[165:166], v[179:180], v[165:166]
	v_add_f64_e32 v[179:180], v[181:182], v[175:176]
	s_wait_loadcnt_dscnt 0x800
	v_mul_f64_e32 v[181:182], v[2:3], v[12:13]
	v_mul_f64_e32 v[12:13], v[4:5], v[12:13]
	ds_load_b128 v[175:178], v1 offset:1760
	v_fma_f64 v[169:170], v[169:170], v[6:7], v[183:184]
	v_fma_f64 v[6:7], v[167:168], v[6:7], -v[8:9]
	s_wait_loadcnt_dscnt 0x700
	v_mul_f64_e32 v[167:168], v[175:176], v[16:17]
	v_mul_f64_e32 v[16:17], v[177:178], v[16:17]
	v_add_f64_e32 v[8:9], v[165:166], v[187:188]
	v_add_f64_e32 v[165:166], v[179:180], v[185:186]
	v_fma_f64 v[179:180], v[4:5], v[10:11], v[181:182]
	v_fma_f64 v[10:11], v[2:3], v[10:11], -v[12:13]
	v_fma_f64 v[167:168], v[177:178], v[14:15], v[167:168]
	v_fma_f64 v[14:15], v[175:176], v[14:15], -v[16:17]
	v_add_f64_e32 v[12:13], v[8:9], v[6:7]
	v_add_f64_e32 v[165:166], v[165:166], v[169:170]
	ds_load_b128 v[2:5], v1 offset:1776
	ds_load_b128 v[6:9], v1 offset:1792
	s_wait_loadcnt_dscnt 0x601
	v_mul_f64_e32 v[169:170], v[2:3], v[20:21]
	v_mul_f64_e32 v[20:21], v[4:5], v[20:21]
	s_wait_loadcnt_dscnt 0x500
	v_mul_f64_e32 v[16:17], v[6:7], v[24:25]
	v_mul_f64_e32 v[24:25], v[8:9], v[24:25]
	v_add_f64_e32 v[10:11], v[12:13], v[10:11]
	v_add_f64_e32 v[12:13], v[165:166], v[179:180]
	v_fma_f64 v[165:166], v[4:5], v[18:19], v[169:170]
	v_fma_f64 v[18:19], v[2:3], v[18:19], -v[20:21]
	v_fma_f64 v[8:9], v[8:9], v[22:23], v[16:17]
	v_fma_f64 v[6:7], v[6:7], v[22:23], -v[24:25]
	v_add_f64_e32 v[14:15], v[10:11], v[14:15]
	v_add_f64_e32 v[20:21], v[12:13], v[167:168]
	ds_load_b128 v[2:5], v1 offset:1808
	ds_load_b128 v[10:13], v1 offset:1824
	s_wait_loadcnt_dscnt 0x401
	v_mul_f64_e32 v[167:168], v[2:3], v[28:29]
	v_mul_f64_e32 v[28:29], v[4:5], v[28:29]
	v_add_f64_e32 v[14:15], v[14:15], v[18:19]
	v_add_f64_e32 v[16:17], v[20:21], v[165:166]
	s_wait_loadcnt_dscnt 0x300
	v_mul_f64_e32 v[18:19], v[10:11], v[32:33]
	v_mul_f64_e32 v[20:21], v[12:13], v[32:33]
	v_fma_f64 v[22:23], v[4:5], v[26:27], v[167:168]
	v_fma_f64 v[24:25], v[2:3], v[26:27], -v[28:29]
	v_add_f64_e32 v[14:15], v[14:15], v[6:7]
	v_add_f64_e32 v[16:17], v[16:17], v[8:9]
	ds_load_b128 v[2:5], v1 offset:1840
	ds_load_b128 v[6:9], v1 offset:1856
	v_fma_f64 v[12:13], v[12:13], v[30:31], v[18:19]
	v_fma_f64 v[10:11], v[10:11], v[30:31], -v[20:21]
	s_wait_loadcnt_dscnt 0x201
	v_mul_f64_e32 v[26:27], v[2:3], v[36:37]
	v_mul_f64_e32 v[28:29], v[4:5], v[36:37]
	v_add_f64_e32 v[14:15], v[14:15], v[24:25]
	v_add_f64_e32 v[16:17], v[16:17], v[22:23]
	s_wait_loadcnt_dscnt 0x100
	v_mul_f64_e32 v[18:19], v[6:7], v[173:174]
	v_mul_f64_e32 v[20:21], v[8:9], v[173:174]
	v_fma_f64 v[22:23], v[4:5], v[34:35], v[26:27]
	v_fma_f64 v[24:25], v[2:3], v[34:35], -v[28:29]
	ds_load_b128 v[2:5], v1 offset:1872
	v_add_f64_e32 v[10:11], v[14:15], v[10:11]
	v_add_f64_e32 v[12:13], v[16:17], v[12:13]
	s_wait_loadcnt_dscnt 0x0
	v_mul_f64_e32 v[14:15], v[2:3], v[40:41]
	v_mul_f64_e32 v[16:17], v[4:5], v[40:41]
	v_fma_f64 v[8:9], v[8:9], v[171:172], v[18:19]
	v_fma_f64 v[6:7], v[6:7], v[171:172], -v[20:21]
	v_add_f64_e32 v[10:11], v[10:11], v[24:25]
	v_add_f64_e32 v[12:13], v[12:13], v[22:23]
	v_fma_f64 v[4:5], v[4:5], v[38:39], v[14:15]
	v_fma_f64 v[2:3], v[2:3], v[38:39], -v[16:17]
	s_delay_alu instid0(VALU_DEP_4) | instskip(NEXT) | instid1(VALU_DEP_4)
	v_add_f64_e32 v[6:7], v[10:11], v[6:7]
	v_add_f64_e32 v[8:9], v[12:13], v[8:9]
	s_delay_alu instid0(VALU_DEP_2) | instskip(NEXT) | instid1(VALU_DEP_2)
	v_add_f64_e32 v[2:3], v[6:7], v[2:3]
	v_add_f64_e32 v[4:5], v[8:9], v[4:5]
	s_delay_alu instid0(VALU_DEP_2) | instskip(NEXT) | instid1(VALU_DEP_2)
	v_add_f64_e64 v[2:3], v[42:43], -v[2:3]
	v_add_f64_e64 v[4:5], v[44:45], -v[4:5]
	scratch_store_b128 off, v[2:5], off offset:288
	v_cmpx_lt_u32_e32 16, v0
	s_cbranch_execz .LBB58_335
; %bb.334:
	scratch_load_b128 v[5:8], off, s56
	v_dual_mov_b32 v2, v1 :: v_dual_mov_b32 v3, v1
	v_mov_b32_e32 v4, v1
	scratch_store_b128 off, v[1:4], off offset:272
	s_wait_loadcnt 0x0
	ds_store_b128 v164, v[5:8]
.LBB58_335:
	s_wait_alu 0xfffe
	s_or_b32 exec_lo, exec_lo, s0
	s_wait_storecnt_dscnt 0x0
	s_barrier_signal -1
	s_barrier_wait -1
	global_inv scope:SCOPE_SE
	s_clause 0x8
	scratch_load_b128 v[2:5], off, off offset:288
	scratch_load_b128 v[6:9], off, off offset:304
	;; [unrolled: 1-line block ×9, first 2 shown]
	ds_load_b128 v[42:45], v1 offset:1216
	ds_load_b128 v[38:41], v1 offset:1232
	s_clause 0x1
	scratch_load_b128 v[165:168], off, off offset:272
	scratch_load_b128 v[169:172], off, off offset:432
	s_mov_b32 s0, exec_lo
	s_wait_loadcnt_dscnt 0xa01
	v_mul_f64_e32 v[173:174], v[44:45], v[4:5]
	v_mul_f64_e32 v[4:5], v[42:43], v[4:5]
	s_wait_loadcnt_dscnt 0x900
	v_mul_f64_e32 v[177:178], v[38:39], v[8:9]
	v_mul_f64_e32 v[8:9], v[40:41], v[8:9]
	s_delay_alu instid0(VALU_DEP_4) | instskip(NEXT) | instid1(VALU_DEP_4)
	v_fma_f64 v[179:180], v[42:43], v[2:3], -v[173:174]
	v_fma_f64 v[181:182], v[44:45], v[2:3], v[4:5]
	ds_load_b128 v[2:5], v1 offset:1248
	ds_load_b128 v[173:176], v1 offset:1264
	scratch_load_b128 v[42:45], off, off offset:448
	v_fma_f64 v[40:41], v[40:41], v[6:7], v[177:178]
	v_fma_f64 v[38:39], v[38:39], v[6:7], -v[8:9]
	scratch_load_b128 v[6:9], off, off offset:464
	s_wait_loadcnt_dscnt 0xa01
	v_mul_f64_e32 v[183:184], v[2:3], v[12:13]
	v_mul_f64_e32 v[12:13], v[4:5], v[12:13]
	v_add_f64_e32 v[177:178], 0, v[179:180]
	v_add_f64_e32 v[179:180], 0, v[181:182]
	s_wait_loadcnt_dscnt 0x900
	v_mul_f64_e32 v[181:182], v[173:174], v[16:17]
	v_mul_f64_e32 v[16:17], v[175:176], v[16:17]
	v_fma_f64 v[183:184], v[4:5], v[10:11], v[183:184]
	v_fma_f64 v[185:186], v[2:3], v[10:11], -v[12:13]
	ds_load_b128 v[2:5], v1 offset:1280
	scratch_load_b128 v[10:13], off, off offset:480
	v_add_f64_e32 v[177:178], v[177:178], v[38:39]
	v_add_f64_e32 v[179:180], v[179:180], v[40:41]
	ds_load_b128 v[38:41], v1 offset:1296
	v_fma_f64 v[175:176], v[175:176], v[14:15], v[181:182]
	v_fma_f64 v[173:174], v[173:174], v[14:15], -v[16:17]
	scratch_load_b128 v[14:17], off, off offset:496
	s_wait_loadcnt_dscnt 0xa01
	v_mul_f64_e32 v[187:188], v[2:3], v[20:21]
	v_mul_f64_e32 v[20:21], v[4:5], v[20:21]
	s_wait_loadcnt_dscnt 0x900
	v_mul_f64_e32 v[181:182], v[38:39], v[24:25]
	v_mul_f64_e32 v[24:25], v[40:41], v[24:25]
	v_add_f64_e32 v[177:178], v[177:178], v[185:186]
	v_add_f64_e32 v[179:180], v[179:180], v[183:184]
	v_fma_f64 v[183:184], v[4:5], v[18:19], v[187:188]
	v_fma_f64 v[185:186], v[2:3], v[18:19], -v[20:21]
	ds_load_b128 v[2:5], v1 offset:1312
	scratch_load_b128 v[18:21], off, off offset:512
	v_fma_f64 v[40:41], v[40:41], v[22:23], v[181:182]
	v_fma_f64 v[38:39], v[38:39], v[22:23], -v[24:25]
	scratch_load_b128 v[22:25], off, off offset:528
	v_add_f64_e32 v[177:178], v[177:178], v[173:174]
	v_add_f64_e32 v[179:180], v[179:180], v[175:176]
	ds_load_b128 v[173:176], v1 offset:1328
	s_wait_loadcnt_dscnt 0xa01
	v_mul_f64_e32 v[187:188], v[2:3], v[28:29]
	v_mul_f64_e32 v[28:29], v[4:5], v[28:29]
	s_wait_loadcnt_dscnt 0x900
	v_mul_f64_e32 v[181:182], v[173:174], v[32:33]
	v_mul_f64_e32 v[32:33], v[175:176], v[32:33]
	v_add_f64_e32 v[177:178], v[177:178], v[185:186]
	v_add_f64_e32 v[179:180], v[179:180], v[183:184]
	v_fma_f64 v[183:184], v[4:5], v[26:27], v[187:188]
	v_fma_f64 v[185:186], v[2:3], v[26:27], -v[28:29]
	ds_load_b128 v[2:5], v1 offset:1344
	scratch_load_b128 v[26:29], off, off offset:544
	v_fma_f64 v[175:176], v[175:176], v[30:31], v[181:182]
	v_fma_f64 v[173:174], v[173:174], v[30:31], -v[32:33]
	scratch_load_b128 v[30:33], off, off offset:560
	v_add_f64_e32 v[177:178], v[177:178], v[38:39]
	v_add_f64_e32 v[179:180], v[179:180], v[40:41]
	ds_load_b128 v[38:41], v1 offset:1360
	s_wait_loadcnt_dscnt 0xa01
	v_mul_f64_e32 v[187:188], v[2:3], v[36:37]
	v_mul_f64_e32 v[36:37], v[4:5], v[36:37]
	s_wait_loadcnt_dscnt 0x800
	v_mul_f64_e32 v[181:182], v[38:39], v[171:172]
	v_add_f64_e32 v[177:178], v[177:178], v[185:186]
	v_add_f64_e32 v[179:180], v[179:180], v[183:184]
	v_mul_f64_e32 v[183:184], v[40:41], v[171:172]
	v_fma_f64 v[185:186], v[4:5], v[34:35], v[187:188]
	v_fma_f64 v[187:188], v[2:3], v[34:35], -v[36:37]
	ds_load_b128 v[2:5], v1 offset:1376
	scratch_load_b128 v[34:37], off, off offset:576
	v_fma_f64 v[181:182], v[40:41], v[169:170], v[181:182]
	v_add_f64_e32 v[177:178], v[177:178], v[173:174]
	v_add_f64_e32 v[175:176], v[179:180], v[175:176]
	ds_load_b128 v[171:174], v1 offset:1392
	v_fma_f64 v[169:170], v[38:39], v[169:170], -v[183:184]
	scratch_load_b128 v[38:41], off, off offset:592
	s_wait_loadcnt_dscnt 0x901
	v_mul_f64_e32 v[179:180], v[2:3], v[44:45]
	v_mul_f64_e32 v[44:45], v[4:5], v[44:45]
	s_wait_loadcnt_dscnt 0x800
	v_mul_f64_e32 v[183:184], v[171:172], v[8:9]
	v_mul_f64_e32 v[8:9], v[173:174], v[8:9]
	v_add_f64_e32 v[177:178], v[177:178], v[187:188]
	v_add_f64_e32 v[175:176], v[175:176], v[185:186]
	v_fma_f64 v[179:180], v[4:5], v[42:43], v[179:180]
	v_fma_f64 v[185:186], v[2:3], v[42:43], -v[44:45]
	ds_load_b128 v[2:5], v1 offset:1408
	scratch_load_b128 v[42:45], off, off offset:608
	v_fma_f64 v[173:174], v[173:174], v[6:7], v[183:184]
	v_fma_f64 v[171:172], v[171:172], v[6:7], -v[8:9]
	scratch_load_b128 v[6:9], off, off offset:624
	v_add_f64_e32 v[169:170], v[177:178], v[169:170]
	v_add_f64_e32 v[181:182], v[175:176], v[181:182]
	ds_load_b128 v[175:178], v1 offset:1424
	s_wait_loadcnt_dscnt 0x901
	v_mul_f64_e32 v[187:188], v[2:3], v[12:13]
	v_mul_f64_e32 v[12:13], v[4:5], v[12:13]
	v_add_f64_e32 v[169:170], v[169:170], v[185:186]
	v_add_f64_e32 v[179:180], v[181:182], v[179:180]
	s_wait_loadcnt_dscnt 0x800
	v_mul_f64_e32 v[181:182], v[175:176], v[16:17]
	v_mul_f64_e32 v[16:17], v[177:178], v[16:17]
	v_fma_f64 v[183:184], v[4:5], v[10:11], v[187:188]
	v_fma_f64 v[185:186], v[2:3], v[10:11], -v[12:13]
	ds_load_b128 v[2:5], v1 offset:1440
	scratch_load_b128 v[10:13], off, off offset:640
	v_add_f64_e32 v[187:188], v[169:170], v[171:172]
	v_add_f64_e32 v[173:174], v[179:180], v[173:174]
	ds_load_b128 v[169:172], v1 offset:1456
	s_wait_loadcnt_dscnt 0x801
	v_mul_f64_e32 v[179:180], v[2:3], v[20:21]
	v_mul_f64_e32 v[20:21], v[4:5], v[20:21]
	v_fma_f64 v[177:178], v[177:178], v[14:15], v[181:182]
	v_fma_f64 v[175:176], v[175:176], v[14:15], -v[16:17]
	scratch_load_b128 v[14:17], off, off offset:656
	v_add_f64_e32 v[181:182], v[187:188], v[185:186]
	v_add_f64_e32 v[173:174], v[173:174], v[183:184]
	s_wait_loadcnt_dscnt 0x800
	v_mul_f64_e32 v[183:184], v[169:170], v[24:25]
	v_mul_f64_e32 v[24:25], v[171:172], v[24:25]
	v_fma_f64 v[179:180], v[4:5], v[18:19], v[179:180]
	v_fma_f64 v[185:186], v[2:3], v[18:19], -v[20:21]
	ds_load_b128 v[2:5], v1 offset:1472
	scratch_load_b128 v[18:21], off, off offset:672
	v_add_f64_e32 v[181:182], v[181:182], v[175:176]
	v_add_f64_e32 v[177:178], v[173:174], v[177:178]
	ds_load_b128 v[173:176], v1 offset:1488
	s_wait_loadcnt_dscnt 0x801
	v_mul_f64_e32 v[187:188], v[2:3], v[28:29]
	v_mul_f64_e32 v[28:29], v[4:5], v[28:29]
	v_fma_f64 v[171:172], v[171:172], v[22:23], v[183:184]
	v_fma_f64 v[169:170], v[169:170], v[22:23], -v[24:25]
	scratch_load_b128 v[22:25], off, off offset:688
	;; [unrolled: 18-line block ×4, first 2 shown]
	s_wait_loadcnt_dscnt 0x800
	v_mul_f64_e32 v[181:182], v[173:174], v[8:9]
	v_mul_f64_e32 v[8:9], v[175:176], v[8:9]
	v_add_f64_e32 v[179:180], v[179:180], v[185:186]
	v_add_f64_e32 v[177:178], v[177:178], v[183:184]
	v_fma_f64 v[183:184], v[4:5], v[42:43], v[187:188]
	v_fma_f64 v[185:186], v[2:3], v[42:43], -v[44:45]
	ds_load_b128 v[2:5], v1 offset:1568
	scratch_load_b128 v[42:45], off, off offset:768
	v_fma_f64 v[175:176], v[175:176], v[6:7], v[181:182]
	v_fma_f64 v[173:174], v[173:174], v[6:7], -v[8:9]
	scratch_load_b128 v[6:9], off, off offset:784
	v_add_f64_e32 v[179:180], v[179:180], v[169:170]
	v_add_f64_e32 v[177:178], v[177:178], v[171:172]
	ds_load_b128 v[169:172], v1 offset:1584
	s_wait_loadcnt_dscnt 0x901
	v_mul_f64_e32 v[187:188], v[2:3], v[12:13]
	v_mul_f64_e32 v[12:13], v[4:5], v[12:13]
	s_wait_loadcnt_dscnt 0x800
	v_mul_f64_e32 v[181:182], v[169:170], v[16:17]
	v_mul_f64_e32 v[16:17], v[171:172], v[16:17]
	v_add_f64_e32 v[179:180], v[179:180], v[185:186]
	v_add_f64_e32 v[177:178], v[177:178], v[183:184]
	v_fma_f64 v[183:184], v[4:5], v[10:11], v[187:188]
	v_fma_f64 v[185:186], v[2:3], v[10:11], -v[12:13]
	ds_load_b128 v[2:5], v1 offset:1600
	scratch_load_b128 v[10:13], off, off offset:800
	v_fma_f64 v[171:172], v[171:172], v[14:15], v[181:182]
	v_fma_f64 v[169:170], v[169:170], v[14:15], -v[16:17]
	scratch_load_b128 v[14:17], off, off offset:816
	v_add_f64_e32 v[179:180], v[179:180], v[173:174]
	v_add_f64_e32 v[177:178], v[177:178], v[175:176]
	ds_load_b128 v[173:176], v1 offset:1616
	s_wait_loadcnt_dscnt 0x901
	v_mul_f64_e32 v[187:188], v[2:3], v[20:21]
	v_mul_f64_e32 v[20:21], v[4:5], v[20:21]
	;; [unrolled: 18-line block ×6, first 2 shown]
	s_wait_loadcnt_dscnt 0x800
	v_mul_f64_e32 v[181:182], v[173:174], v[16:17]
	v_mul_f64_e32 v[16:17], v[175:176], v[16:17]
	v_add_f64_e32 v[179:180], v[179:180], v[185:186]
	v_add_f64_e32 v[177:178], v[177:178], v[183:184]
	v_fma_f64 v[183:184], v[4:5], v[10:11], v[187:188]
	v_fma_f64 v[185:186], v[2:3], v[10:11], -v[12:13]
	ds_load_b128 v[2:5], v1 offset:1760
	ds_load_b128 v[10:13], v1 offset:1776
	v_fma_f64 v[175:176], v[175:176], v[14:15], v[181:182]
	v_fma_f64 v[14:15], v[173:174], v[14:15], -v[16:17]
	v_add_f64_e32 v[169:170], v[179:180], v[169:170]
	v_add_f64_e32 v[171:172], v[177:178], v[171:172]
	s_wait_loadcnt_dscnt 0x701
	v_mul_f64_e32 v[177:178], v[2:3], v[20:21]
	v_mul_f64_e32 v[20:21], v[4:5], v[20:21]
	s_delay_alu instid0(VALU_DEP_4) | instskip(NEXT) | instid1(VALU_DEP_4)
	v_add_f64_e32 v[16:17], v[169:170], v[185:186]
	v_add_f64_e32 v[169:170], v[171:172], v[183:184]
	s_wait_loadcnt_dscnt 0x600
	v_mul_f64_e32 v[171:172], v[10:11], v[24:25]
	v_mul_f64_e32 v[24:25], v[12:13], v[24:25]
	v_fma_f64 v[173:174], v[4:5], v[18:19], v[177:178]
	v_fma_f64 v[18:19], v[2:3], v[18:19], -v[20:21]
	v_add_f64_e32 v[20:21], v[16:17], v[14:15]
	v_add_f64_e32 v[169:170], v[169:170], v[175:176]
	ds_load_b128 v[2:5], v1 offset:1792
	ds_load_b128 v[14:17], v1 offset:1808
	v_fma_f64 v[12:13], v[12:13], v[22:23], v[171:172]
	v_fma_f64 v[10:11], v[10:11], v[22:23], -v[24:25]
	s_wait_loadcnt_dscnt 0x501
	v_mul_f64_e32 v[175:176], v[2:3], v[28:29]
	v_mul_f64_e32 v[28:29], v[4:5], v[28:29]
	s_wait_loadcnt_dscnt 0x400
	v_mul_f64_e32 v[22:23], v[14:15], v[32:33]
	v_mul_f64_e32 v[24:25], v[16:17], v[32:33]
	v_add_f64_e32 v[18:19], v[20:21], v[18:19]
	v_add_f64_e32 v[20:21], v[169:170], v[173:174]
	v_fma_f64 v[32:33], v[4:5], v[26:27], v[175:176]
	v_fma_f64 v[26:27], v[2:3], v[26:27], -v[28:29]
	v_fma_f64 v[16:17], v[16:17], v[30:31], v[22:23]
	v_fma_f64 v[14:15], v[14:15], v[30:31], -v[24:25]
	v_add_f64_e32 v[18:19], v[18:19], v[10:11]
	v_add_f64_e32 v[20:21], v[20:21], v[12:13]
	ds_load_b128 v[2:5], v1 offset:1824
	ds_load_b128 v[10:13], v1 offset:1840
	s_wait_loadcnt_dscnt 0x301
	v_mul_f64_e32 v[28:29], v[2:3], v[36:37]
	v_mul_f64_e32 v[36:37], v[4:5], v[36:37]
	s_wait_loadcnt_dscnt 0x200
	v_mul_f64_e32 v[22:23], v[10:11], v[40:41]
	v_mul_f64_e32 v[24:25], v[12:13], v[40:41]
	v_add_f64_e32 v[18:19], v[18:19], v[26:27]
	v_add_f64_e32 v[20:21], v[20:21], v[32:33]
	v_fma_f64 v[26:27], v[4:5], v[34:35], v[28:29]
	v_fma_f64 v[28:29], v[2:3], v[34:35], -v[36:37]
	v_fma_f64 v[12:13], v[12:13], v[38:39], v[22:23]
	v_fma_f64 v[10:11], v[10:11], v[38:39], -v[24:25]
	v_add_f64_e32 v[18:19], v[18:19], v[14:15]
	v_add_f64_e32 v[20:21], v[20:21], v[16:17]
	ds_load_b128 v[2:5], v1 offset:1856
	ds_load_b128 v[14:17], v1 offset:1872
	s_wait_loadcnt_dscnt 0x101
	v_mul_f64_e32 v[30:31], v[2:3], v[44:45]
	v_mul_f64_e32 v[32:33], v[4:5], v[44:45]
	s_wait_loadcnt_dscnt 0x0
	v_mul_f64_e32 v[22:23], v[14:15], v[8:9]
	v_mul_f64_e32 v[8:9], v[16:17], v[8:9]
	v_add_f64_e32 v[18:19], v[18:19], v[28:29]
	v_add_f64_e32 v[20:21], v[20:21], v[26:27]
	v_fma_f64 v[4:5], v[4:5], v[42:43], v[30:31]
	v_fma_f64 v[1:2], v[2:3], v[42:43], -v[32:33]
	v_fma_f64 v[16:17], v[16:17], v[6:7], v[22:23]
	v_fma_f64 v[6:7], v[14:15], v[6:7], -v[8:9]
	v_add_f64_e32 v[10:11], v[18:19], v[10:11]
	v_add_f64_e32 v[12:13], v[20:21], v[12:13]
	s_delay_alu instid0(VALU_DEP_2) | instskip(NEXT) | instid1(VALU_DEP_2)
	v_add_f64_e32 v[1:2], v[10:11], v[1:2]
	v_add_f64_e32 v[3:4], v[12:13], v[4:5]
	s_delay_alu instid0(VALU_DEP_2) | instskip(NEXT) | instid1(VALU_DEP_2)
	;; [unrolled: 3-line block ×3, first 2 shown]
	v_add_f64_e64 v[1:2], v[165:166], -v[1:2]
	v_add_f64_e64 v[3:4], v[167:168], -v[3:4]
	scratch_store_b128 off, v[1:4], off offset:272
	v_cmpx_lt_u32_e32 15, v0
	s_cbranch_execz .LBB58_337
; %bb.336:
	scratch_load_b128 v[1:4], off, s57
	v_mov_b32_e32 v5, 0
	s_delay_alu instid0(VALU_DEP_1)
	v_dual_mov_b32 v6, v5 :: v_dual_mov_b32 v7, v5
	v_mov_b32_e32 v8, v5
	scratch_store_b128 off, v[5:8], off offset:256
	s_wait_loadcnt 0x0
	ds_store_b128 v164, v[1:4]
.LBB58_337:
	s_wait_alu 0xfffe
	s_or_b32 exec_lo, exec_lo, s0
	s_wait_storecnt_dscnt 0x0
	s_barrier_signal -1
	s_barrier_wait -1
	global_inv scope:SCOPE_SE
	s_clause 0x7
	scratch_load_b128 v[2:5], off, off offset:272
	scratch_load_b128 v[6:9], off, off offset:288
	;; [unrolled: 1-line block ×8, first 2 shown]
	v_mov_b32_e32 v1, 0
	s_mov_b32 s0, exec_lo
	ds_load_b128 v[38:41], v1 offset:1200
	s_clause 0x1
	scratch_load_b128 v[34:37], off, off offset:400
	scratch_load_b128 v[42:45], off, off offset:256
	ds_load_b128 v[165:168], v1 offset:1216
	scratch_load_b128 v[169:172], off, off offset:416
	s_wait_loadcnt_dscnt 0xa01
	v_mul_f64_e32 v[173:174], v[40:41], v[4:5]
	v_mul_f64_e32 v[4:5], v[38:39], v[4:5]
	s_delay_alu instid0(VALU_DEP_2) | instskip(NEXT) | instid1(VALU_DEP_2)
	v_fma_f64 v[179:180], v[38:39], v[2:3], -v[173:174]
	v_fma_f64 v[181:182], v[40:41], v[2:3], v[4:5]
	ds_load_b128 v[2:5], v1 offset:1232
	s_wait_loadcnt_dscnt 0x901
	v_mul_f64_e32 v[177:178], v[165:166], v[8:9]
	v_mul_f64_e32 v[8:9], v[167:168], v[8:9]
	scratch_load_b128 v[38:41], off, off offset:432
	ds_load_b128 v[173:176], v1 offset:1248
	s_wait_loadcnt_dscnt 0x901
	v_mul_f64_e32 v[183:184], v[2:3], v[12:13]
	v_mul_f64_e32 v[12:13], v[4:5], v[12:13]
	v_fma_f64 v[167:168], v[167:168], v[6:7], v[177:178]
	v_fma_f64 v[165:166], v[165:166], v[6:7], -v[8:9]
	v_add_f64_e32 v[177:178], 0, v[179:180]
	v_add_f64_e32 v[179:180], 0, v[181:182]
	scratch_load_b128 v[6:9], off, off offset:448
	v_fma_f64 v[183:184], v[4:5], v[10:11], v[183:184]
	v_fma_f64 v[185:186], v[2:3], v[10:11], -v[12:13]
	ds_load_b128 v[2:5], v1 offset:1264
	s_wait_loadcnt_dscnt 0x901
	v_mul_f64_e32 v[181:182], v[173:174], v[16:17]
	v_mul_f64_e32 v[16:17], v[175:176], v[16:17]
	scratch_load_b128 v[10:13], off, off offset:464
	v_add_f64_e32 v[177:178], v[177:178], v[165:166]
	v_add_f64_e32 v[179:180], v[179:180], v[167:168]
	s_wait_loadcnt_dscnt 0x900
	v_mul_f64_e32 v[187:188], v[2:3], v[20:21]
	v_mul_f64_e32 v[20:21], v[4:5], v[20:21]
	ds_load_b128 v[165:168], v1 offset:1280
	v_fma_f64 v[175:176], v[175:176], v[14:15], v[181:182]
	v_fma_f64 v[173:174], v[173:174], v[14:15], -v[16:17]
	scratch_load_b128 v[14:17], off, off offset:480
	v_add_f64_e32 v[177:178], v[177:178], v[185:186]
	v_add_f64_e32 v[179:180], v[179:180], v[183:184]
	v_fma_f64 v[183:184], v[4:5], v[18:19], v[187:188]
	v_fma_f64 v[185:186], v[2:3], v[18:19], -v[20:21]
	ds_load_b128 v[2:5], v1 offset:1296
	s_wait_loadcnt_dscnt 0x901
	v_mul_f64_e32 v[181:182], v[165:166], v[24:25]
	v_mul_f64_e32 v[24:25], v[167:168], v[24:25]
	scratch_load_b128 v[18:21], off, off offset:496
	s_wait_loadcnt_dscnt 0x900
	v_mul_f64_e32 v[187:188], v[2:3], v[28:29]
	v_mul_f64_e32 v[28:29], v[4:5], v[28:29]
	v_add_f64_e32 v[177:178], v[177:178], v[173:174]
	v_add_f64_e32 v[179:180], v[179:180], v[175:176]
	ds_load_b128 v[173:176], v1 offset:1312
	v_fma_f64 v[167:168], v[167:168], v[22:23], v[181:182]
	v_fma_f64 v[165:166], v[165:166], v[22:23], -v[24:25]
	scratch_load_b128 v[22:25], off, off offset:512
	v_add_f64_e32 v[177:178], v[177:178], v[185:186]
	v_add_f64_e32 v[179:180], v[179:180], v[183:184]
	v_fma_f64 v[183:184], v[4:5], v[26:27], v[187:188]
	v_fma_f64 v[185:186], v[2:3], v[26:27], -v[28:29]
	ds_load_b128 v[2:5], v1 offset:1328
	s_wait_loadcnt_dscnt 0x901
	v_mul_f64_e32 v[181:182], v[173:174], v[32:33]
	v_mul_f64_e32 v[32:33], v[175:176], v[32:33]
	scratch_load_b128 v[26:29], off, off offset:528
	s_wait_loadcnt_dscnt 0x900
	v_mul_f64_e32 v[187:188], v[2:3], v[36:37]
	v_mul_f64_e32 v[36:37], v[4:5], v[36:37]
	v_add_f64_e32 v[177:178], v[177:178], v[165:166]
	v_add_f64_e32 v[179:180], v[179:180], v[167:168]
	ds_load_b128 v[165:168], v1 offset:1344
	v_fma_f64 v[175:176], v[175:176], v[30:31], v[181:182]
	v_fma_f64 v[173:174], v[173:174], v[30:31], -v[32:33]
	scratch_load_b128 v[30:33], off, off offset:544
	v_add_f64_e32 v[177:178], v[177:178], v[185:186]
	v_add_f64_e32 v[179:180], v[179:180], v[183:184]
	v_fma_f64 v[185:186], v[4:5], v[34:35], v[187:188]
	v_fma_f64 v[187:188], v[2:3], v[34:35], -v[36:37]
	ds_load_b128 v[2:5], v1 offset:1360
	s_wait_loadcnt_dscnt 0x801
	v_mul_f64_e32 v[181:182], v[165:166], v[171:172]
	v_mul_f64_e32 v[183:184], v[167:168], v[171:172]
	scratch_load_b128 v[34:37], off, off offset:560
	v_add_f64_e32 v[177:178], v[177:178], v[173:174]
	v_add_f64_e32 v[175:176], v[179:180], v[175:176]
	ds_load_b128 v[171:174], v1 offset:1376
	v_fma_f64 v[181:182], v[167:168], v[169:170], v[181:182]
	v_fma_f64 v[169:170], v[165:166], v[169:170], -v[183:184]
	scratch_load_b128 v[165:168], off, off offset:576
	s_wait_loadcnt_dscnt 0x901
	v_mul_f64_e32 v[179:180], v[2:3], v[40:41]
	v_mul_f64_e32 v[40:41], v[4:5], v[40:41]
	v_add_f64_e32 v[177:178], v[177:178], v[187:188]
	v_add_f64_e32 v[175:176], v[175:176], v[185:186]
	s_delay_alu instid0(VALU_DEP_4) | instskip(NEXT) | instid1(VALU_DEP_4)
	v_fma_f64 v[179:180], v[4:5], v[38:39], v[179:180]
	v_fma_f64 v[185:186], v[2:3], v[38:39], -v[40:41]
	ds_load_b128 v[2:5], v1 offset:1392
	s_wait_loadcnt_dscnt 0x801
	v_mul_f64_e32 v[183:184], v[171:172], v[8:9]
	v_mul_f64_e32 v[8:9], v[173:174], v[8:9]
	scratch_load_b128 v[38:41], off, off offset:592
	s_wait_loadcnt_dscnt 0x800
	v_mul_f64_e32 v[187:188], v[2:3], v[12:13]
	v_add_f64_e32 v[169:170], v[177:178], v[169:170]
	v_add_f64_e32 v[181:182], v[175:176], v[181:182]
	v_mul_f64_e32 v[12:13], v[4:5], v[12:13]
	ds_load_b128 v[175:178], v1 offset:1408
	v_fma_f64 v[173:174], v[173:174], v[6:7], v[183:184]
	v_fma_f64 v[171:172], v[171:172], v[6:7], -v[8:9]
	scratch_load_b128 v[6:9], off, off offset:608
	v_fma_f64 v[183:184], v[4:5], v[10:11], v[187:188]
	v_add_f64_e32 v[169:170], v[169:170], v[185:186]
	v_add_f64_e32 v[179:180], v[181:182], v[179:180]
	v_fma_f64 v[185:186], v[2:3], v[10:11], -v[12:13]
	ds_load_b128 v[2:5], v1 offset:1424
	s_wait_loadcnt_dscnt 0x801
	v_mul_f64_e32 v[181:182], v[175:176], v[16:17]
	v_mul_f64_e32 v[16:17], v[177:178], v[16:17]
	scratch_load_b128 v[10:13], off, off offset:624
	v_add_f64_e32 v[187:188], v[169:170], v[171:172]
	v_add_f64_e32 v[173:174], v[179:180], v[173:174]
	s_wait_loadcnt_dscnt 0x800
	v_mul_f64_e32 v[179:180], v[2:3], v[20:21]
	v_mul_f64_e32 v[20:21], v[4:5], v[20:21]
	v_fma_f64 v[177:178], v[177:178], v[14:15], v[181:182]
	v_fma_f64 v[175:176], v[175:176], v[14:15], -v[16:17]
	ds_load_b128 v[169:172], v1 offset:1440
	scratch_load_b128 v[14:17], off, off offset:640
	v_add_f64_e32 v[181:182], v[187:188], v[185:186]
	v_add_f64_e32 v[173:174], v[173:174], v[183:184]
	v_fma_f64 v[179:180], v[4:5], v[18:19], v[179:180]
	v_fma_f64 v[185:186], v[2:3], v[18:19], -v[20:21]
	ds_load_b128 v[2:5], v1 offset:1456
	s_wait_loadcnt_dscnt 0x801
	v_mul_f64_e32 v[183:184], v[169:170], v[24:25]
	v_mul_f64_e32 v[24:25], v[171:172], v[24:25]
	scratch_load_b128 v[18:21], off, off offset:656
	s_wait_loadcnt_dscnt 0x800
	v_mul_f64_e32 v[187:188], v[2:3], v[28:29]
	v_mul_f64_e32 v[28:29], v[4:5], v[28:29]
	v_add_f64_e32 v[181:182], v[181:182], v[175:176]
	v_add_f64_e32 v[177:178], v[173:174], v[177:178]
	ds_load_b128 v[173:176], v1 offset:1472
	v_fma_f64 v[171:172], v[171:172], v[22:23], v[183:184]
	v_fma_f64 v[169:170], v[169:170], v[22:23], -v[24:25]
	scratch_load_b128 v[22:25], off, off offset:672
	v_fma_f64 v[183:184], v[4:5], v[26:27], v[187:188]
	v_add_f64_e32 v[181:182], v[181:182], v[185:186]
	v_add_f64_e32 v[177:178], v[177:178], v[179:180]
	v_fma_f64 v[185:186], v[2:3], v[26:27], -v[28:29]
	ds_load_b128 v[2:5], v1 offset:1488
	s_wait_loadcnt_dscnt 0x801
	v_mul_f64_e32 v[179:180], v[173:174], v[32:33]
	v_mul_f64_e32 v[32:33], v[175:176], v[32:33]
	scratch_load_b128 v[26:29], off, off offset:688
	s_wait_loadcnt_dscnt 0x800
	v_mul_f64_e32 v[187:188], v[2:3], v[36:37]
	v_mul_f64_e32 v[36:37], v[4:5], v[36:37]
	v_add_f64_e32 v[181:182], v[181:182], v[169:170]
	v_add_f64_e32 v[177:178], v[177:178], v[171:172]
	ds_load_b128 v[169:172], v1 offset:1504
	v_fma_f64 v[175:176], v[175:176], v[30:31], v[179:180]
	v_fma_f64 v[173:174], v[173:174], v[30:31], -v[32:33]
	scratch_load_b128 v[30:33], off, off offset:704
	v_add_f64_e32 v[179:180], v[181:182], v[185:186]
	v_add_f64_e32 v[177:178], v[177:178], v[183:184]
	v_fma_f64 v[183:184], v[4:5], v[34:35], v[187:188]
	v_fma_f64 v[185:186], v[2:3], v[34:35], -v[36:37]
	ds_load_b128 v[2:5], v1 offset:1520
	s_wait_loadcnt_dscnt 0x801
	v_mul_f64_e32 v[181:182], v[169:170], v[167:168]
	v_mul_f64_e32 v[167:168], v[171:172], v[167:168]
	scratch_load_b128 v[34:37], off, off offset:720
	s_wait_loadcnt_dscnt 0x800
	v_mul_f64_e32 v[187:188], v[2:3], v[40:41]
	v_mul_f64_e32 v[40:41], v[4:5], v[40:41]
	v_add_f64_e32 v[179:180], v[179:180], v[173:174]
	v_add_f64_e32 v[177:178], v[177:178], v[175:176]
	ds_load_b128 v[173:176], v1 offset:1536
	v_fma_f64 v[171:172], v[171:172], v[165:166], v[181:182]
	v_fma_f64 v[169:170], v[169:170], v[165:166], -v[167:168]
	scratch_load_b128 v[165:168], off, off offset:736
	v_add_f64_e32 v[179:180], v[179:180], v[185:186]
	v_add_f64_e32 v[177:178], v[177:178], v[183:184]
	v_fma_f64 v[183:184], v[4:5], v[38:39], v[187:188]
	;; [unrolled: 18-line block ×6, first 2 shown]
	v_fma_f64 v[187:188], v[2:3], v[34:35], -v[36:37]
	ds_load_b128 v[2:5], v1 offset:1680
	s_wait_loadcnt_dscnt 0x801
	v_mul_f64_e32 v[181:182], v[173:174], v[167:168]
	v_mul_f64_e32 v[183:184], v[175:176], v[167:168]
	scratch_load_b128 v[34:37], off, off offset:880
	v_add_f64_e32 v[179:180], v[179:180], v[169:170]
	v_add_f64_e32 v[171:172], v[177:178], v[171:172]
	s_wait_loadcnt_dscnt 0x800
	v_mul_f64_e32 v[177:178], v[2:3], v[40:41]
	v_mul_f64_e32 v[40:41], v[4:5], v[40:41]
	ds_load_b128 v[167:170], v1 offset:1696
	v_fma_f64 v[175:176], v[175:176], v[165:166], v[181:182]
	v_fma_f64 v[165:166], v[173:174], v[165:166], -v[183:184]
	v_add_f64_e32 v[179:180], v[179:180], v[187:188]
	v_add_f64_e32 v[181:182], v[171:172], v[185:186]
	scratch_load_b128 v[171:174], off, off offset:896
	v_fma_f64 v[185:186], v[4:5], v[38:39], v[177:178]
	v_fma_f64 v[187:188], v[2:3], v[38:39], -v[40:41]
	ds_load_b128 v[2:5], v1 offset:1712
	s_wait_loadcnt_dscnt 0x801
	v_mul_f64_e32 v[183:184], v[167:168], v[8:9]
	v_mul_f64_e32 v[8:9], v[169:170], v[8:9]
	scratch_load_b128 v[38:41], off, off offset:912
	v_add_f64_e32 v[165:166], v[179:180], v[165:166]
	v_add_f64_e32 v[179:180], v[181:182], v[175:176]
	s_wait_loadcnt_dscnt 0x800
	v_mul_f64_e32 v[181:182], v[2:3], v[12:13]
	v_mul_f64_e32 v[12:13], v[4:5], v[12:13]
	ds_load_b128 v[175:178], v1 offset:1728
	v_fma_f64 v[169:170], v[169:170], v[6:7], v[183:184]
	v_fma_f64 v[167:168], v[167:168], v[6:7], -v[8:9]
	scratch_load_b128 v[6:9], off, off offset:928
	v_add_f64_e32 v[165:166], v[165:166], v[187:188]
	v_add_f64_e32 v[179:180], v[179:180], v[185:186]
	v_fma_f64 v[181:182], v[4:5], v[10:11], v[181:182]
	v_fma_f64 v[185:186], v[2:3], v[10:11], -v[12:13]
	ds_load_b128 v[2:5], v1 offset:1744
	s_wait_loadcnt_dscnt 0x801
	v_mul_f64_e32 v[183:184], v[175:176], v[16:17]
	v_mul_f64_e32 v[16:17], v[177:178], v[16:17]
	scratch_load_b128 v[10:13], off, off offset:944
	v_add_f64_e32 v[187:188], v[165:166], v[167:168]
	v_add_f64_e32 v[169:170], v[179:180], v[169:170]
	s_wait_loadcnt_dscnt 0x800
	v_mul_f64_e32 v[179:180], v[2:3], v[20:21]
	v_mul_f64_e32 v[20:21], v[4:5], v[20:21]
	ds_load_b128 v[165:168], v1 offset:1760
	v_fma_f64 v[177:178], v[177:178], v[14:15], v[183:184]
	v_fma_f64 v[14:15], v[175:176], v[14:15], -v[16:17]
	s_wait_loadcnt_dscnt 0x700
	v_mul_f64_e32 v[175:176], v[165:166], v[24:25]
	v_mul_f64_e32 v[24:25], v[167:168], v[24:25]
	v_add_f64_e32 v[16:17], v[187:188], v[185:186]
	v_add_f64_e32 v[169:170], v[169:170], v[181:182]
	v_fma_f64 v[179:180], v[4:5], v[18:19], v[179:180]
	v_fma_f64 v[18:19], v[2:3], v[18:19], -v[20:21]
	v_fma_f64 v[167:168], v[167:168], v[22:23], v[175:176]
	v_fma_f64 v[22:23], v[165:166], v[22:23], -v[24:25]
	v_add_f64_e32 v[20:21], v[16:17], v[14:15]
	v_add_f64_e32 v[169:170], v[169:170], v[177:178]
	ds_load_b128 v[2:5], v1 offset:1776
	ds_load_b128 v[14:17], v1 offset:1792
	s_wait_loadcnt_dscnt 0x601
	v_mul_f64_e32 v[177:178], v[2:3], v[28:29]
	v_mul_f64_e32 v[28:29], v[4:5], v[28:29]
	s_wait_loadcnt_dscnt 0x500
	v_mul_f64_e32 v[24:25], v[14:15], v[32:33]
	v_mul_f64_e32 v[32:33], v[16:17], v[32:33]
	v_add_f64_e32 v[18:19], v[20:21], v[18:19]
	v_add_f64_e32 v[20:21], v[169:170], v[179:180]
	v_fma_f64 v[165:166], v[4:5], v[26:27], v[177:178]
	v_fma_f64 v[26:27], v[2:3], v[26:27], -v[28:29]
	v_fma_f64 v[16:17], v[16:17], v[30:31], v[24:25]
	v_fma_f64 v[14:15], v[14:15], v[30:31], -v[32:33]
	v_add_f64_e32 v[22:23], v[18:19], v[22:23]
	v_add_f64_e32 v[28:29], v[20:21], v[167:168]
	ds_load_b128 v[2:5], v1 offset:1808
	ds_load_b128 v[18:21], v1 offset:1824
	s_wait_loadcnt_dscnt 0x401
	v_mul_f64_e32 v[167:168], v[2:3], v[36:37]
	v_mul_f64_e32 v[36:37], v[4:5], v[36:37]
	v_add_f64_e32 v[22:23], v[22:23], v[26:27]
	v_add_f64_e32 v[24:25], v[28:29], v[165:166]
	s_wait_loadcnt_dscnt 0x300
	v_mul_f64_e32 v[26:27], v[18:19], v[173:174]
	v_mul_f64_e32 v[28:29], v[20:21], v[173:174]
	v_fma_f64 v[30:31], v[4:5], v[34:35], v[167:168]
	v_fma_f64 v[32:33], v[2:3], v[34:35], -v[36:37]
	v_add_f64_e32 v[22:23], v[22:23], v[14:15]
	v_add_f64_e32 v[24:25], v[24:25], v[16:17]
	ds_load_b128 v[2:5], v1 offset:1840
	ds_load_b128 v[14:17], v1 offset:1856
	v_fma_f64 v[20:21], v[20:21], v[171:172], v[26:27]
	v_fma_f64 v[18:19], v[18:19], v[171:172], -v[28:29]
	s_wait_loadcnt_dscnt 0x201
	v_mul_f64_e32 v[34:35], v[2:3], v[40:41]
	v_mul_f64_e32 v[36:37], v[4:5], v[40:41]
	s_wait_loadcnt_dscnt 0x100
	v_mul_f64_e32 v[26:27], v[14:15], v[8:9]
	v_mul_f64_e32 v[8:9], v[16:17], v[8:9]
	v_add_f64_e32 v[22:23], v[22:23], v[32:33]
	v_add_f64_e32 v[24:25], v[24:25], v[30:31]
	v_fma_f64 v[28:29], v[4:5], v[38:39], v[34:35]
	v_fma_f64 v[30:31], v[2:3], v[38:39], -v[36:37]
	ds_load_b128 v[2:5], v1 offset:1872
	v_fma_f64 v[16:17], v[16:17], v[6:7], v[26:27]
	v_fma_f64 v[6:7], v[14:15], v[6:7], -v[8:9]
	v_add_f64_e32 v[18:19], v[22:23], v[18:19]
	v_add_f64_e32 v[20:21], v[24:25], v[20:21]
	s_wait_loadcnt_dscnt 0x0
	v_mul_f64_e32 v[22:23], v[2:3], v[12:13]
	v_mul_f64_e32 v[12:13], v[4:5], v[12:13]
	s_delay_alu instid0(VALU_DEP_4) | instskip(NEXT) | instid1(VALU_DEP_4)
	v_add_f64_e32 v[8:9], v[18:19], v[30:31]
	v_add_f64_e32 v[14:15], v[20:21], v[28:29]
	s_delay_alu instid0(VALU_DEP_4) | instskip(NEXT) | instid1(VALU_DEP_4)
	v_fma_f64 v[4:5], v[4:5], v[10:11], v[22:23]
	v_fma_f64 v[2:3], v[2:3], v[10:11], -v[12:13]
	s_delay_alu instid0(VALU_DEP_4) | instskip(NEXT) | instid1(VALU_DEP_4)
	v_add_f64_e32 v[6:7], v[8:9], v[6:7]
	v_add_f64_e32 v[8:9], v[14:15], v[16:17]
	s_delay_alu instid0(VALU_DEP_2) | instskip(NEXT) | instid1(VALU_DEP_2)
	v_add_f64_e32 v[2:3], v[6:7], v[2:3]
	v_add_f64_e32 v[4:5], v[8:9], v[4:5]
	s_delay_alu instid0(VALU_DEP_2) | instskip(NEXT) | instid1(VALU_DEP_2)
	v_add_f64_e64 v[2:3], v[42:43], -v[2:3]
	v_add_f64_e64 v[4:5], v[44:45], -v[4:5]
	scratch_store_b128 off, v[2:5], off offset:256
	v_cmpx_lt_u32_e32 14, v0
	s_cbranch_execz .LBB58_339
; %bb.338:
	scratch_load_b128 v[5:8], off, s58
	v_dual_mov_b32 v2, v1 :: v_dual_mov_b32 v3, v1
	v_mov_b32_e32 v4, v1
	scratch_store_b128 off, v[1:4], off offset:240
	s_wait_loadcnt 0x0
	ds_store_b128 v164, v[5:8]
.LBB58_339:
	s_wait_alu 0xfffe
	s_or_b32 exec_lo, exec_lo, s0
	s_wait_storecnt_dscnt 0x0
	s_barrier_signal -1
	s_barrier_wait -1
	global_inv scope:SCOPE_SE
	s_clause 0x8
	scratch_load_b128 v[2:5], off, off offset:256
	scratch_load_b128 v[6:9], off, off offset:272
	;; [unrolled: 1-line block ×9, first 2 shown]
	ds_load_b128 v[42:45], v1 offset:1184
	ds_load_b128 v[38:41], v1 offset:1200
	s_clause 0x1
	scratch_load_b128 v[165:168], off, off offset:240
	scratch_load_b128 v[169:172], off, off offset:400
	s_mov_b32 s0, exec_lo
	s_wait_loadcnt_dscnt 0xa01
	v_mul_f64_e32 v[173:174], v[44:45], v[4:5]
	v_mul_f64_e32 v[4:5], v[42:43], v[4:5]
	s_wait_loadcnt_dscnt 0x900
	v_mul_f64_e32 v[177:178], v[38:39], v[8:9]
	v_mul_f64_e32 v[8:9], v[40:41], v[8:9]
	s_delay_alu instid0(VALU_DEP_4) | instskip(NEXT) | instid1(VALU_DEP_4)
	v_fma_f64 v[179:180], v[42:43], v[2:3], -v[173:174]
	v_fma_f64 v[181:182], v[44:45], v[2:3], v[4:5]
	ds_load_b128 v[2:5], v1 offset:1216
	ds_load_b128 v[173:176], v1 offset:1232
	scratch_load_b128 v[42:45], off, off offset:416
	v_fma_f64 v[40:41], v[40:41], v[6:7], v[177:178]
	v_fma_f64 v[38:39], v[38:39], v[6:7], -v[8:9]
	scratch_load_b128 v[6:9], off, off offset:432
	s_wait_loadcnt_dscnt 0xa01
	v_mul_f64_e32 v[183:184], v[2:3], v[12:13]
	v_mul_f64_e32 v[12:13], v[4:5], v[12:13]
	v_add_f64_e32 v[177:178], 0, v[179:180]
	v_add_f64_e32 v[179:180], 0, v[181:182]
	s_wait_loadcnt_dscnt 0x900
	v_mul_f64_e32 v[181:182], v[173:174], v[16:17]
	v_mul_f64_e32 v[16:17], v[175:176], v[16:17]
	v_fma_f64 v[183:184], v[4:5], v[10:11], v[183:184]
	v_fma_f64 v[185:186], v[2:3], v[10:11], -v[12:13]
	ds_load_b128 v[2:5], v1 offset:1248
	scratch_load_b128 v[10:13], off, off offset:448
	v_add_f64_e32 v[177:178], v[177:178], v[38:39]
	v_add_f64_e32 v[179:180], v[179:180], v[40:41]
	ds_load_b128 v[38:41], v1 offset:1264
	v_fma_f64 v[175:176], v[175:176], v[14:15], v[181:182]
	v_fma_f64 v[173:174], v[173:174], v[14:15], -v[16:17]
	scratch_load_b128 v[14:17], off, off offset:464
	s_wait_loadcnt_dscnt 0xa01
	v_mul_f64_e32 v[187:188], v[2:3], v[20:21]
	v_mul_f64_e32 v[20:21], v[4:5], v[20:21]
	s_wait_loadcnt_dscnt 0x900
	v_mul_f64_e32 v[181:182], v[38:39], v[24:25]
	v_mul_f64_e32 v[24:25], v[40:41], v[24:25]
	v_add_f64_e32 v[177:178], v[177:178], v[185:186]
	v_add_f64_e32 v[179:180], v[179:180], v[183:184]
	v_fma_f64 v[183:184], v[4:5], v[18:19], v[187:188]
	v_fma_f64 v[185:186], v[2:3], v[18:19], -v[20:21]
	ds_load_b128 v[2:5], v1 offset:1280
	scratch_load_b128 v[18:21], off, off offset:480
	v_fma_f64 v[40:41], v[40:41], v[22:23], v[181:182]
	v_fma_f64 v[38:39], v[38:39], v[22:23], -v[24:25]
	scratch_load_b128 v[22:25], off, off offset:496
	v_add_f64_e32 v[177:178], v[177:178], v[173:174]
	v_add_f64_e32 v[179:180], v[179:180], v[175:176]
	ds_load_b128 v[173:176], v1 offset:1296
	s_wait_loadcnt_dscnt 0xa01
	v_mul_f64_e32 v[187:188], v[2:3], v[28:29]
	v_mul_f64_e32 v[28:29], v[4:5], v[28:29]
	s_wait_loadcnt_dscnt 0x900
	v_mul_f64_e32 v[181:182], v[173:174], v[32:33]
	v_mul_f64_e32 v[32:33], v[175:176], v[32:33]
	v_add_f64_e32 v[177:178], v[177:178], v[185:186]
	v_add_f64_e32 v[179:180], v[179:180], v[183:184]
	v_fma_f64 v[183:184], v[4:5], v[26:27], v[187:188]
	v_fma_f64 v[185:186], v[2:3], v[26:27], -v[28:29]
	ds_load_b128 v[2:5], v1 offset:1312
	scratch_load_b128 v[26:29], off, off offset:512
	v_fma_f64 v[175:176], v[175:176], v[30:31], v[181:182]
	v_fma_f64 v[173:174], v[173:174], v[30:31], -v[32:33]
	scratch_load_b128 v[30:33], off, off offset:528
	v_add_f64_e32 v[177:178], v[177:178], v[38:39]
	v_add_f64_e32 v[179:180], v[179:180], v[40:41]
	ds_load_b128 v[38:41], v1 offset:1328
	s_wait_loadcnt_dscnt 0xa01
	v_mul_f64_e32 v[187:188], v[2:3], v[36:37]
	v_mul_f64_e32 v[36:37], v[4:5], v[36:37]
	s_wait_loadcnt_dscnt 0x800
	v_mul_f64_e32 v[181:182], v[38:39], v[171:172]
	v_add_f64_e32 v[177:178], v[177:178], v[185:186]
	v_add_f64_e32 v[179:180], v[179:180], v[183:184]
	v_mul_f64_e32 v[183:184], v[40:41], v[171:172]
	v_fma_f64 v[185:186], v[4:5], v[34:35], v[187:188]
	v_fma_f64 v[187:188], v[2:3], v[34:35], -v[36:37]
	ds_load_b128 v[2:5], v1 offset:1344
	scratch_load_b128 v[34:37], off, off offset:544
	v_fma_f64 v[181:182], v[40:41], v[169:170], v[181:182]
	v_add_f64_e32 v[177:178], v[177:178], v[173:174]
	v_add_f64_e32 v[175:176], v[179:180], v[175:176]
	ds_load_b128 v[171:174], v1 offset:1360
	v_fma_f64 v[169:170], v[38:39], v[169:170], -v[183:184]
	scratch_load_b128 v[38:41], off, off offset:560
	s_wait_loadcnt_dscnt 0x901
	v_mul_f64_e32 v[179:180], v[2:3], v[44:45]
	v_mul_f64_e32 v[44:45], v[4:5], v[44:45]
	s_wait_loadcnt_dscnt 0x800
	v_mul_f64_e32 v[183:184], v[171:172], v[8:9]
	v_mul_f64_e32 v[8:9], v[173:174], v[8:9]
	v_add_f64_e32 v[177:178], v[177:178], v[187:188]
	v_add_f64_e32 v[175:176], v[175:176], v[185:186]
	v_fma_f64 v[179:180], v[4:5], v[42:43], v[179:180]
	v_fma_f64 v[185:186], v[2:3], v[42:43], -v[44:45]
	ds_load_b128 v[2:5], v1 offset:1376
	scratch_load_b128 v[42:45], off, off offset:576
	v_fma_f64 v[173:174], v[173:174], v[6:7], v[183:184]
	v_fma_f64 v[171:172], v[171:172], v[6:7], -v[8:9]
	scratch_load_b128 v[6:9], off, off offset:592
	v_add_f64_e32 v[169:170], v[177:178], v[169:170]
	v_add_f64_e32 v[181:182], v[175:176], v[181:182]
	ds_load_b128 v[175:178], v1 offset:1392
	s_wait_loadcnt_dscnt 0x901
	v_mul_f64_e32 v[187:188], v[2:3], v[12:13]
	v_mul_f64_e32 v[12:13], v[4:5], v[12:13]
	v_add_f64_e32 v[169:170], v[169:170], v[185:186]
	v_add_f64_e32 v[179:180], v[181:182], v[179:180]
	s_wait_loadcnt_dscnt 0x800
	v_mul_f64_e32 v[181:182], v[175:176], v[16:17]
	v_mul_f64_e32 v[16:17], v[177:178], v[16:17]
	v_fma_f64 v[183:184], v[4:5], v[10:11], v[187:188]
	v_fma_f64 v[185:186], v[2:3], v[10:11], -v[12:13]
	ds_load_b128 v[2:5], v1 offset:1408
	scratch_load_b128 v[10:13], off, off offset:608
	v_add_f64_e32 v[187:188], v[169:170], v[171:172]
	v_add_f64_e32 v[173:174], v[179:180], v[173:174]
	ds_load_b128 v[169:172], v1 offset:1424
	s_wait_loadcnt_dscnt 0x801
	v_mul_f64_e32 v[179:180], v[2:3], v[20:21]
	v_mul_f64_e32 v[20:21], v[4:5], v[20:21]
	v_fma_f64 v[177:178], v[177:178], v[14:15], v[181:182]
	v_fma_f64 v[175:176], v[175:176], v[14:15], -v[16:17]
	scratch_load_b128 v[14:17], off, off offset:624
	v_add_f64_e32 v[181:182], v[187:188], v[185:186]
	v_add_f64_e32 v[173:174], v[173:174], v[183:184]
	s_wait_loadcnt_dscnt 0x800
	v_mul_f64_e32 v[183:184], v[169:170], v[24:25]
	v_mul_f64_e32 v[24:25], v[171:172], v[24:25]
	v_fma_f64 v[179:180], v[4:5], v[18:19], v[179:180]
	v_fma_f64 v[185:186], v[2:3], v[18:19], -v[20:21]
	ds_load_b128 v[2:5], v1 offset:1440
	scratch_load_b128 v[18:21], off, off offset:640
	v_add_f64_e32 v[181:182], v[181:182], v[175:176]
	v_add_f64_e32 v[177:178], v[173:174], v[177:178]
	ds_load_b128 v[173:176], v1 offset:1456
	s_wait_loadcnt_dscnt 0x801
	v_mul_f64_e32 v[187:188], v[2:3], v[28:29]
	v_mul_f64_e32 v[28:29], v[4:5], v[28:29]
	v_fma_f64 v[171:172], v[171:172], v[22:23], v[183:184]
	v_fma_f64 v[169:170], v[169:170], v[22:23], -v[24:25]
	scratch_load_b128 v[22:25], off, off offset:656
	;; [unrolled: 18-line block ×4, first 2 shown]
	s_wait_loadcnt_dscnt 0x800
	v_mul_f64_e32 v[181:182], v[173:174], v[8:9]
	v_mul_f64_e32 v[8:9], v[175:176], v[8:9]
	v_add_f64_e32 v[179:180], v[179:180], v[185:186]
	v_add_f64_e32 v[177:178], v[177:178], v[183:184]
	v_fma_f64 v[183:184], v[4:5], v[42:43], v[187:188]
	v_fma_f64 v[185:186], v[2:3], v[42:43], -v[44:45]
	ds_load_b128 v[2:5], v1 offset:1536
	scratch_load_b128 v[42:45], off, off offset:736
	v_fma_f64 v[175:176], v[175:176], v[6:7], v[181:182]
	v_fma_f64 v[173:174], v[173:174], v[6:7], -v[8:9]
	scratch_load_b128 v[6:9], off, off offset:752
	v_add_f64_e32 v[179:180], v[179:180], v[169:170]
	v_add_f64_e32 v[177:178], v[177:178], v[171:172]
	ds_load_b128 v[169:172], v1 offset:1552
	s_wait_loadcnt_dscnt 0x901
	v_mul_f64_e32 v[187:188], v[2:3], v[12:13]
	v_mul_f64_e32 v[12:13], v[4:5], v[12:13]
	s_wait_loadcnt_dscnt 0x800
	v_mul_f64_e32 v[181:182], v[169:170], v[16:17]
	v_mul_f64_e32 v[16:17], v[171:172], v[16:17]
	v_add_f64_e32 v[179:180], v[179:180], v[185:186]
	v_add_f64_e32 v[177:178], v[177:178], v[183:184]
	v_fma_f64 v[183:184], v[4:5], v[10:11], v[187:188]
	v_fma_f64 v[185:186], v[2:3], v[10:11], -v[12:13]
	ds_load_b128 v[2:5], v1 offset:1568
	scratch_load_b128 v[10:13], off, off offset:768
	v_fma_f64 v[171:172], v[171:172], v[14:15], v[181:182]
	v_fma_f64 v[169:170], v[169:170], v[14:15], -v[16:17]
	scratch_load_b128 v[14:17], off, off offset:784
	v_add_f64_e32 v[179:180], v[179:180], v[173:174]
	v_add_f64_e32 v[177:178], v[177:178], v[175:176]
	ds_load_b128 v[173:176], v1 offset:1584
	s_wait_loadcnt_dscnt 0x901
	v_mul_f64_e32 v[187:188], v[2:3], v[20:21]
	v_mul_f64_e32 v[20:21], v[4:5], v[20:21]
	s_wait_loadcnt_dscnt 0x800
	v_mul_f64_e32 v[181:182], v[173:174], v[24:25]
	v_mul_f64_e32 v[24:25], v[175:176], v[24:25]
	v_add_f64_e32 v[179:180], v[179:180], v[185:186]
	v_add_f64_e32 v[177:178], v[177:178], v[183:184]
	v_fma_f64 v[183:184], v[4:5], v[18:19], v[187:188]
	v_fma_f64 v[185:186], v[2:3], v[18:19], -v[20:21]
	ds_load_b128 v[2:5], v1 offset:1600
	scratch_load_b128 v[18:21], off, off offset:800
	v_fma_f64 v[175:176], v[175:176], v[22:23], v[181:182]
	v_fma_f64 v[173:174], v[173:174], v[22:23], -v[24:25]
	scratch_load_b128 v[22:25], off, off offset:816
	v_add_f64_e32 v[179:180], v[179:180], v[169:170]
	v_add_f64_e32 v[177:178], v[177:178], v[171:172]
	ds_load_b128 v[169:172], v1 offset:1616
	s_wait_loadcnt_dscnt 0x901
	v_mul_f64_e32 v[187:188], v[2:3], v[28:29]
	v_mul_f64_e32 v[28:29], v[4:5], v[28:29]
	s_wait_loadcnt_dscnt 0x800
	v_mul_f64_e32 v[181:182], v[169:170], v[32:33]
	v_mul_f64_e32 v[32:33], v[171:172], v[32:33]
	v_add_f64_e32 v[179:180], v[179:180], v[185:186]
	v_add_f64_e32 v[177:178], v[177:178], v[183:184]
	v_fma_f64 v[183:184], v[4:5], v[26:27], v[187:188]
	v_fma_f64 v[185:186], v[2:3], v[26:27], -v[28:29]
	ds_load_b128 v[2:5], v1 offset:1632
	scratch_load_b128 v[26:29], off, off offset:832
	v_fma_f64 v[171:172], v[171:172], v[30:31], v[181:182]
	v_fma_f64 v[169:170], v[169:170], v[30:31], -v[32:33]
	scratch_load_b128 v[30:33], off, off offset:848
	v_add_f64_e32 v[179:180], v[179:180], v[173:174]
	v_add_f64_e32 v[177:178], v[177:178], v[175:176]
	ds_load_b128 v[173:176], v1 offset:1648
	s_wait_loadcnt_dscnt 0x901
	v_mul_f64_e32 v[187:188], v[2:3], v[36:37]
	v_mul_f64_e32 v[36:37], v[4:5], v[36:37]
	s_wait_loadcnt_dscnt 0x800
	v_mul_f64_e32 v[181:182], v[173:174], v[40:41]
	v_mul_f64_e32 v[40:41], v[175:176], v[40:41]
	v_add_f64_e32 v[179:180], v[179:180], v[185:186]
	v_add_f64_e32 v[177:178], v[177:178], v[183:184]
	v_fma_f64 v[183:184], v[4:5], v[34:35], v[187:188]
	v_fma_f64 v[185:186], v[2:3], v[34:35], -v[36:37]
	ds_load_b128 v[2:5], v1 offset:1664
	scratch_load_b128 v[34:37], off, off offset:864
	v_fma_f64 v[175:176], v[175:176], v[38:39], v[181:182]
	v_fma_f64 v[173:174], v[173:174], v[38:39], -v[40:41]
	scratch_load_b128 v[38:41], off, off offset:880
	v_add_f64_e32 v[179:180], v[179:180], v[169:170]
	v_add_f64_e32 v[177:178], v[177:178], v[171:172]
	ds_load_b128 v[169:172], v1 offset:1680
	s_wait_loadcnt_dscnt 0x901
	v_mul_f64_e32 v[187:188], v[2:3], v[44:45]
	v_mul_f64_e32 v[44:45], v[4:5], v[44:45]
	s_wait_loadcnt_dscnt 0x800
	v_mul_f64_e32 v[181:182], v[169:170], v[8:9]
	v_mul_f64_e32 v[8:9], v[171:172], v[8:9]
	v_add_f64_e32 v[179:180], v[179:180], v[185:186]
	v_add_f64_e32 v[177:178], v[177:178], v[183:184]
	v_fma_f64 v[183:184], v[4:5], v[42:43], v[187:188]
	v_fma_f64 v[185:186], v[2:3], v[42:43], -v[44:45]
	ds_load_b128 v[2:5], v1 offset:1696
	scratch_load_b128 v[42:45], off, off offset:896
	v_fma_f64 v[171:172], v[171:172], v[6:7], v[181:182]
	v_fma_f64 v[169:170], v[169:170], v[6:7], -v[8:9]
	scratch_load_b128 v[6:9], off, off offset:912
	v_add_f64_e32 v[179:180], v[179:180], v[173:174]
	v_add_f64_e32 v[177:178], v[177:178], v[175:176]
	ds_load_b128 v[173:176], v1 offset:1712
	s_wait_loadcnt_dscnt 0x901
	v_mul_f64_e32 v[187:188], v[2:3], v[12:13]
	v_mul_f64_e32 v[12:13], v[4:5], v[12:13]
	s_wait_loadcnt_dscnt 0x800
	v_mul_f64_e32 v[181:182], v[173:174], v[16:17]
	v_mul_f64_e32 v[16:17], v[175:176], v[16:17]
	v_add_f64_e32 v[179:180], v[179:180], v[185:186]
	v_add_f64_e32 v[177:178], v[177:178], v[183:184]
	v_fma_f64 v[183:184], v[4:5], v[10:11], v[187:188]
	v_fma_f64 v[185:186], v[2:3], v[10:11], -v[12:13]
	ds_load_b128 v[2:5], v1 offset:1728
	scratch_load_b128 v[10:13], off, off offset:928
	v_fma_f64 v[175:176], v[175:176], v[14:15], v[181:182]
	v_fma_f64 v[173:174], v[173:174], v[14:15], -v[16:17]
	scratch_load_b128 v[14:17], off, off offset:944
	v_add_f64_e32 v[179:180], v[179:180], v[169:170]
	v_add_f64_e32 v[177:178], v[177:178], v[171:172]
	ds_load_b128 v[169:172], v1 offset:1744
	s_wait_loadcnt_dscnt 0x901
	v_mul_f64_e32 v[187:188], v[2:3], v[20:21]
	v_mul_f64_e32 v[20:21], v[4:5], v[20:21]
	s_wait_loadcnt_dscnt 0x800
	v_mul_f64_e32 v[181:182], v[169:170], v[24:25]
	v_mul_f64_e32 v[24:25], v[171:172], v[24:25]
	v_add_f64_e32 v[179:180], v[179:180], v[185:186]
	v_add_f64_e32 v[177:178], v[177:178], v[183:184]
	v_fma_f64 v[183:184], v[4:5], v[18:19], v[187:188]
	v_fma_f64 v[185:186], v[2:3], v[18:19], -v[20:21]
	ds_load_b128 v[2:5], v1 offset:1760
	ds_load_b128 v[18:21], v1 offset:1776
	v_fma_f64 v[171:172], v[171:172], v[22:23], v[181:182]
	v_fma_f64 v[22:23], v[169:170], v[22:23], -v[24:25]
	v_add_f64_e32 v[173:174], v[179:180], v[173:174]
	v_add_f64_e32 v[175:176], v[177:178], v[175:176]
	s_wait_loadcnt_dscnt 0x701
	v_mul_f64_e32 v[177:178], v[2:3], v[28:29]
	v_mul_f64_e32 v[28:29], v[4:5], v[28:29]
	s_delay_alu instid0(VALU_DEP_4) | instskip(NEXT) | instid1(VALU_DEP_4)
	v_add_f64_e32 v[24:25], v[173:174], v[185:186]
	v_add_f64_e32 v[169:170], v[175:176], v[183:184]
	s_wait_loadcnt_dscnt 0x600
	v_mul_f64_e32 v[173:174], v[18:19], v[32:33]
	v_mul_f64_e32 v[32:33], v[20:21], v[32:33]
	v_fma_f64 v[175:176], v[4:5], v[26:27], v[177:178]
	v_fma_f64 v[26:27], v[2:3], v[26:27], -v[28:29]
	v_add_f64_e32 v[28:29], v[24:25], v[22:23]
	v_add_f64_e32 v[169:170], v[169:170], v[171:172]
	ds_load_b128 v[2:5], v1 offset:1792
	ds_load_b128 v[22:25], v1 offset:1808
	v_fma_f64 v[20:21], v[20:21], v[30:31], v[173:174]
	v_fma_f64 v[18:19], v[18:19], v[30:31], -v[32:33]
	s_wait_loadcnt_dscnt 0x501
	v_mul_f64_e32 v[171:172], v[2:3], v[36:37]
	v_mul_f64_e32 v[36:37], v[4:5], v[36:37]
	s_wait_loadcnt_dscnt 0x400
	v_mul_f64_e32 v[30:31], v[22:23], v[40:41]
	v_mul_f64_e32 v[32:33], v[24:25], v[40:41]
	v_add_f64_e32 v[26:27], v[28:29], v[26:27]
	v_add_f64_e32 v[28:29], v[169:170], v[175:176]
	v_fma_f64 v[40:41], v[4:5], v[34:35], v[171:172]
	v_fma_f64 v[34:35], v[2:3], v[34:35], -v[36:37]
	v_fma_f64 v[24:25], v[24:25], v[38:39], v[30:31]
	v_fma_f64 v[22:23], v[22:23], v[38:39], -v[32:33]
	v_add_f64_e32 v[26:27], v[26:27], v[18:19]
	v_add_f64_e32 v[28:29], v[28:29], v[20:21]
	ds_load_b128 v[2:5], v1 offset:1824
	ds_load_b128 v[18:21], v1 offset:1840
	s_wait_loadcnt_dscnt 0x301
	v_mul_f64_e32 v[36:37], v[2:3], v[44:45]
	v_mul_f64_e32 v[44:45], v[4:5], v[44:45]
	s_wait_loadcnt_dscnt 0x200
	v_mul_f64_e32 v[30:31], v[18:19], v[8:9]
	v_mul_f64_e32 v[8:9], v[20:21], v[8:9]
	v_add_f64_e32 v[26:27], v[26:27], v[34:35]
	v_add_f64_e32 v[28:29], v[28:29], v[40:41]
	v_fma_f64 v[32:33], v[4:5], v[42:43], v[36:37]
	v_fma_f64 v[34:35], v[2:3], v[42:43], -v[44:45]
	v_fma_f64 v[20:21], v[20:21], v[6:7], v[30:31]
	v_fma_f64 v[6:7], v[18:19], v[6:7], -v[8:9]
	v_add_f64_e32 v[26:27], v[26:27], v[22:23]
	v_add_f64_e32 v[28:29], v[28:29], v[24:25]
	ds_load_b128 v[2:5], v1 offset:1856
	ds_load_b128 v[22:25], v1 offset:1872
	s_wait_loadcnt_dscnt 0x101
	v_mul_f64_e32 v[36:37], v[2:3], v[12:13]
	v_mul_f64_e32 v[12:13], v[4:5], v[12:13]
	v_add_f64_e32 v[8:9], v[26:27], v[34:35]
	v_add_f64_e32 v[18:19], v[28:29], v[32:33]
	s_wait_loadcnt_dscnt 0x0
	v_mul_f64_e32 v[26:27], v[22:23], v[16:17]
	v_mul_f64_e32 v[16:17], v[24:25], v[16:17]
	v_fma_f64 v[4:5], v[4:5], v[10:11], v[36:37]
	v_fma_f64 v[1:2], v[2:3], v[10:11], -v[12:13]
	v_add_f64_e32 v[6:7], v[8:9], v[6:7]
	v_add_f64_e32 v[8:9], v[18:19], v[20:21]
	v_fma_f64 v[10:11], v[24:25], v[14:15], v[26:27]
	v_fma_f64 v[12:13], v[22:23], v[14:15], -v[16:17]
	s_delay_alu instid0(VALU_DEP_4) | instskip(NEXT) | instid1(VALU_DEP_4)
	v_add_f64_e32 v[1:2], v[6:7], v[1:2]
	v_add_f64_e32 v[3:4], v[8:9], v[4:5]
	s_delay_alu instid0(VALU_DEP_2) | instskip(NEXT) | instid1(VALU_DEP_2)
	v_add_f64_e32 v[1:2], v[1:2], v[12:13]
	v_add_f64_e32 v[3:4], v[3:4], v[10:11]
	s_delay_alu instid0(VALU_DEP_2) | instskip(NEXT) | instid1(VALU_DEP_2)
	v_add_f64_e64 v[1:2], v[165:166], -v[1:2]
	v_add_f64_e64 v[3:4], v[167:168], -v[3:4]
	scratch_store_b128 off, v[1:4], off offset:240
	v_cmpx_lt_u32_e32 13, v0
	s_cbranch_execz .LBB58_341
; %bb.340:
	scratch_load_b128 v[1:4], off, s59
	v_mov_b32_e32 v5, 0
	s_delay_alu instid0(VALU_DEP_1)
	v_dual_mov_b32 v6, v5 :: v_dual_mov_b32 v7, v5
	v_mov_b32_e32 v8, v5
	scratch_store_b128 off, v[5:8], off offset:224
	s_wait_loadcnt 0x0
	ds_store_b128 v164, v[1:4]
.LBB58_341:
	s_wait_alu 0xfffe
	s_or_b32 exec_lo, exec_lo, s0
	s_wait_storecnt_dscnt 0x0
	s_barrier_signal -1
	s_barrier_wait -1
	global_inv scope:SCOPE_SE
	s_clause 0x7
	scratch_load_b128 v[2:5], off, off offset:240
	scratch_load_b128 v[6:9], off, off offset:256
	;; [unrolled: 1-line block ×8, first 2 shown]
	v_mov_b32_e32 v1, 0
	s_mov_b32 s0, exec_lo
	ds_load_b128 v[38:41], v1 offset:1168
	s_clause 0x1
	scratch_load_b128 v[34:37], off, off offset:368
	scratch_load_b128 v[42:45], off, off offset:224
	ds_load_b128 v[165:168], v1 offset:1184
	scratch_load_b128 v[169:172], off, off offset:384
	s_wait_loadcnt_dscnt 0xa01
	v_mul_f64_e32 v[173:174], v[40:41], v[4:5]
	v_mul_f64_e32 v[4:5], v[38:39], v[4:5]
	s_delay_alu instid0(VALU_DEP_2) | instskip(NEXT) | instid1(VALU_DEP_2)
	v_fma_f64 v[179:180], v[38:39], v[2:3], -v[173:174]
	v_fma_f64 v[181:182], v[40:41], v[2:3], v[4:5]
	ds_load_b128 v[2:5], v1 offset:1200
	s_wait_loadcnt_dscnt 0x901
	v_mul_f64_e32 v[177:178], v[165:166], v[8:9]
	v_mul_f64_e32 v[8:9], v[167:168], v[8:9]
	scratch_load_b128 v[38:41], off, off offset:400
	ds_load_b128 v[173:176], v1 offset:1216
	s_wait_loadcnt_dscnt 0x901
	v_mul_f64_e32 v[183:184], v[2:3], v[12:13]
	v_mul_f64_e32 v[12:13], v[4:5], v[12:13]
	v_fma_f64 v[167:168], v[167:168], v[6:7], v[177:178]
	v_fma_f64 v[165:166], v[165:166], v[6:7], -v[8:9]
	v_add_f64_e32 v[177:178], 0, v[179:180]
	v_add_f64_e32 v[179:180], 0, v[181:182]
	scratch_load_b128 v[6:9], off, off offset:416
	v_fma_f64 v[183:184], v[4:5], v[10:11], v[183:184]
	v_fma_f64 v[185:186], v[2:3], v[10:11], -v[12:13]
	ds_load_b128 v[2:5], v1 offset:1232
	s_wait_loadcnt_dscnt 0x901
	v_mul_f64_e32 v[181:182], v[173:174], v[16:17]
	v_mul_f64_e32 v[16:17], v[175:176], v[16:17]
	scratch_load_b128 v[10:13], off, off offset:432
	v_add_f64_e32 v[177:178], v[177:178], v[165:166]
	v_add_f64_e32 v[179:180], v[179:180], v[167:168]
	s_wait_loadcnt_dscnt 0x900
	v_mul_f64_e32 v[187:188], v[2:3], v[20:21]
	v_mul_f64_e32 v[20:21], v[4:5], v[20:21]
	ds_load_b128 v[165:168], v1 offset:1248
	v_fma_f64 v[175:176], v[175:176], v[14:15], v[181:182]
	v_fma_f64 v[173:174], v[173:174], v[14:15], -v[16:17]
	scratch_load_b128 v[14:17], off, off offset:448
	v_add_f64_e32 v[177:178], v[177:178], v[185:186]
	v_add_f64_e32 v[179:180], v[179:180], v[183:184]
	v_fma_f64 v[183:184], v[4:5], v[18:19], v[187:188]
	v_fma_f64 v[185:186], v[2:3], v[18:19], -v[20:21]
	ds_load_b128 v[2:5], v1 offset:1264
	s_wait_loadcnt_dscnt 0x901
	v_mul_f64_e32 v[181:182], v[165:166], v[24:25]
	v_mul_f64_e32 v[24:25], v[167:168], v[24:25]
	scratch_load_b128 v[18:21], off, off offset:464
	s_wait_loadcnt_dscnt 0x900
	v_mul_f64_e32 v[187:188], v[2:3], v[28:29]
	v_mul_f64_e32 v[28:29], v[4:5], v[28:29]
	v_add_f64_e32 v[177:178], v[177:178], v[173:174]
	v_add_f64_e32 v[179:180], v[179:180], v[175:176]
	ds_load_b128 v[173:176], v1 offset:1280
	v_fma_f64 v[167:168], v[167:168], v[22:23], v[181:182]
	v_fma_f64 v[165:166], v[165:166], v[22:23], -v[24:25]
	scratch_load_b128 v[22:25], off, off offset:480
	v_add_f64_e32 v[177:178], v[177:178], v[185:186]
	v_add_f64_e32 v[179:180], v[179:180], v[183:184]
	v_fma_f64 v[183:184], v[4:5], v[26:27], v[187:188]
	v_fma_f64 v[185:186], v[2:3], v[26:27], -v[28:29]
	ds_load_b128 v[2:5], v1 offset:1296
	s_wait_loadcnt_dscnt 0x901
	v_mul_f64_e32 v[181:182], v[173:174], v[32:33]
	v_mul_f64_e32 v[32:33], v[175:176], v[32:33]
	scratch_load_b128 v[26:29], off, off offset:496
	s_wait_loadcnt_dscnt 0x900
	v_mul_f64_e32 v[187:188], v[2:3], v[36:37]
	v_mul_f64_e32 v[36:37], v[4:5], v[36:37]
	v_add_f64_e32 v[177:178], v[177:178], v[165:166]
	v_add_f64_e32 v[179:180], v[179:180], v[167:168]
	ds_load_b128 v[165:168], v1 offset:1312
	v_fma_f64 v[175:176], v[175:176], v[30:31], v[181:182]
	v_fma_f64 v[173:174], v[173:174], v[30:31], -v[32:33]
	scratch_load_b128 v[30:33], off, off offset:512
	v_add_f64_e32 v[177:178], v[177:178], v[185:186]
	v_add_f64_e32 v[179:180], v[179:180], v[183:184]
	v_fma_f64 v[185:186], v[4:5], v[34:35], v[187:188]
	v_fma_f64 v[187:188], v[2:3], v[34:35], -v[36:37]
	ds_load_b128 v[2:5], v1 offset:1328
	s_wait_loadcnt_dscnt 0x801
	v_mul_f64_e32 v[181:182], v[165:166], v[171:172]
	v_mul_f64_e32 v[183:184], v[167:168], v[171:172]
	scratch_load_b128 v[34:37], off, off offset:528
	v_add_f64_e32 v[177:178], v[177:178], v[173:174]
	v_add_f64_e32 v[175:176], v[179:180], v[175:176]
	ds_load_b128 v[171:174], v1 offset:1344
	v_fma_f64 v[181:182], v[167:168], v[169:170], v[181:182]
	v_fma_f64 v[169:170], v[165:166], v[169:170], -v[183:184]
	scratch_load_b128 v[165:168], off, off offset:544
	s_wait_loadcnt_dscnt 0x901
	v_mul_f64_e32 v[179:180], v[2:3], v[40:41]
	v_mul_f64_e32 v[40:41], v[4:5], v[40:41]
	v_add_f64_e32 v[177:178], v[177:178], v[187:188]
	v_add_f64_e32 v[175:176], v[175:176], v[185:186]
	s_delay_alu instid0(VALU_DEP_4) | instskip(NEXT) | instid1(VALU_DEP_4)
	v_fma_f64 v[179:180], v[4:5], v[38:39], v[179:180]
	v_fma_f64 v[185:186], v[2:3], v[38:39], -v[40:41]
	ds_load_b128 v[2:5], v1 offset:1360
	s_wait_loadcnt_dscnt 0x801
	v_mul_f64_e32 v[183:184], v[171:172], v[8:9]
	v_mul_f64_e32 v[8:9], v[173:174], v[8:9]
	scratch_load_b128 v[38:41], off, off offset:560
	s_wait_loadcnt_dscnt 0x800
	v_mul_f64_e32 v[187:188], v[2:3], v[12:13]
	v_add_f64_e32 v[169:170], v[177:178], v[169:170]
	v_add_f64_e32 v[181:182], v[175:176], v[181:182]
	v_mul_f64_e32 v[12:13], v[4:5], v[12:13]
	ds_load_b128 v[175:178], v1 offset:1376
	v_fma_f64 v[173:174], v[173:174], v[6:7], v[183:184]
	v_fma_f64 v[171:172], v[171:172], v[6:7], -v[8:9]
	scratch_load_b128 v[6:9], off, off offset:576
	v_fma_f64 v[183:184], v[4:5], v[10:11], v[187:188]
	v_add_f64_e32 v[169:170], v[169:170], v[185:186]
	v_add_f64_e32 v[179:180], v[181:182], v[179:180]
	v_fma_f64 v[185:186], v[2:3], v[10:11], -v[12:13]
	ds_load_b128 v[2:5], v1 offset:1392
	s_wait_loadcnt_dscnt 0x801
	v_mul_f64_e32 v[181:182], v[175:176], v[16:17]
	v_mul_f64_e32 v[16:17], v[177:178], v[16:17]
	scratch_load_b128 v[10:13], off, off offset:592
	v_add_f64_e32 v[187:188], v[169:170], v[171:172]
	v_add_f64_e32 v[173:174], v[179:180], v[173:174]
	s_wait_loadcnt_dscnt 0x800
	v_mul_f64_e32 v[179:180], v[2:3], v[20:21]
	v_mul_f64_e32 v[20:21], v[4:5], v[20:21]
	v_fma_f64 v[177:178], v[177:178], v[14:15], v[181:182]
	v_fma_f64 v[175:176], v[175:176], v[14:15], -v[16:17]
	ds_load_b128 v[169:172], v1 offset:1408
	scratch_load_b128 v[14:17], off, off offset:608
	v_add_f64_e32 v[181:182], v[187:188], v[185:186]
	v_add_f64_e32 v[173:174], v[173:174], v[183:184]
	v_fma_f64 v[179:180], v[4:5], v[18:19], v[179:180]
	v_fma_f64 v[185:186], v[2:3], v[18:19], -v[20:21]
	ds_load_b128 v[2:5], v1 offset:1424
	s_wait_loadcnt_dscnt 0x801
	v_mul_f64_e32 v[183:184], v[169:170], v[24:25]
	v_mul_f64_e32 v[24:25], v[171:172], v[24:25]
	scratch_load_b128 v[18:21], off, off offset:624
	s_wait_loadcnt_dscnt 0x800
	v_mul_f64_e32 v[187:188], v[2:3], v[28:29]
	v_mul_f64_e32 v[28:29], v[4:5], v[28:29]
	v_add_f64_e32 v[181:182], v[181:182], v[175:176]
	v_add_f64_e32 v[177:178], v[173:174], v[177:178]
	ds_load_b128 v[173:176], v1 offset:1440
	v_fma_f64 v[171:172], v[171:172], v[22:23], v[183:184]
	v_fma_f64 v[169:170], v[169:170], v[22:23], -v[24:25]
	scratch_load_b128 v[22:25], off, off offset:640
	v_fma_f64 v[183:184], v[4:5], v[26:27], v[187:188]
	v_add_f64_e32 v[181:182], v[181:182], v[185:186]
	v_add_f64_e32 v[177:178], v[177:178], v[179:180]
	v_fma_f64 v[185:186], v[2:3], v[26:27], -v[28:29]
	ds_load_b128 v[2:5], v1 offset:1456
	s_wait_loadcnt_dscnt 0x801
	v_mul_f64_e32 v[179:180], v[173:174], v[32:33]
	v_mul_f64_e32 v[32:33], v[175:176], v[32:33]
	scratch_load_b128 v[26:29], off, off offset:656
	s_wait_loadcnt_dscnt 0x800
	v_mul_f64_e32 v[187:188], v[2:3], v[36:37]
	v_mul_f64_e32 v[36:37], v[4:5], v[36:37]
	v_add_f64_e32 v[181:182], v[181:182], v[169:170]
	v_add_f64_e32 v[177:178], v[177:178], v[171:172]
	ds_load_b128 v[169:172], v1 offset:1472
	v_fma_f64 v[175:176], v[175:176], v[30:31], v[179:180]
	v_fma_f64 v[173:174], v[173:174], v[30:31], -v[32:33]
	scratch_load_b128 v[30:33], off, off offset:672
	v_add_f64_e32 v[179:180], v[181:182], v[185:186]
	v_add_f64_e32 v[177:178], v[177:178], v[183:184]
	v_fma_f64 v[183:184], v[4:5], v[34:35], v[187:188]
	v_fma_f64 v[185:186], v[2:3], v[34:35], -v[36:37]
	ds_load_b128 v[2:5], v1 offset:1488
	s_wait_loadcnt_dscnt 0x801
	v_mul_f64_e32 v[181:182], v[169:170], v[167:168]
	v_mul_f64_e32 v[167:168], v[171:172], v[167:168]
	scratch_load_b128 v[34:37], off, off offset:688
	s_wait_loadcnt_dscnt 0x800
	v_mul_f64_e32 v[187:188], v[2:3], v[40:41]
	v_mul_f64_e32 v[40:41], v[4:5], v[40:41]
	v_add_f64_e32 v[179:180], v[179:180], v[173:174]
	v_add_f64_e32 v[177:178], v[177:178], v[175:176]
	ds_load_b128 v[173:176], v1 offset:1504
	v_fma_f64 v[171:172], v[171:172], v[165:166], v[181:182]
	v_fma_f64 v[169:170], v[169:170], v[165:166], -v[167:168]
	scratch_load_b128 v[165:168], off, off offset:704
	v_add_f64_e32 v[179:180], v[179:180], v[185:186]
	v_add_f64_e32 v[177:178], v[177:178], v[183:184]
	v_fma_f64 v[183:184], v[4:5], v[38:39], v[187:188]
	;; [unrolled: 18-line block ×6, first 2 shown]
	v_fma_f64 v[187:188], v[2:3], v[34:35], -v[36:37]
	ds_load_b128 v[2:5], v1 offset:1648
	s_wait_loadcnt_dscnt 0x801
	v_mul_f64_e32 v[181:182], v[173:174], v[167:168]
	v_mul_f64_e32 v[183:184], v[175:176], v[167:168]
	scratch_load_b128 v[34:37], off, off offset:848
	v_add_f64_e32 v[179:180], v[179:180], v[169:170]
	v_add_f64_e32 v[171:172], v[177:178], v[171:172]
	s_wait_loadcnt_dscnt 0x800
	v_mul_f64_e32 v[177:178], v[2:3], v[40:41]
	v_mul_f64_e32 v[40:41], v[4:5], v[40:41]
	ds_load_b128 v[167:170], v1 offset:1664
	v_fma_f64 v[175:176], v[175:176], v[165:166], v[181:182]
	v_fma_f64 v[165:166], v[173:174], v[165:166], -v[183:184]
	v_add_f64_e32 v[179:180], v[179:180], v[187:188]
	v_add_f64_e32 v[181:182], v[171:172], v[185:186]
	scratch_load_b128 v[171:174], off, off offset:864
	v_fma_f64 v[185:186], v[4:5], v[38:39], v[177:178]
	v_fma_f64 v[187:188], v[2:3], v[38:39], -v[40:41]
	ds_load_b128 v[2:5], v1 offset:1680
	s_wait_loadcnt_dscnt 0x801
	v_mul_f64_e32 v[183:184], v[167:168], v[8:9]
	v_mul_f64_e32 v[8:9], v[169:170], v[8:9]
	scratch_load_b128 v[38:41], off, off offset:880
	v_add_f64_e32 v[165:166], v[179:180], v[165:166]
	v_add_f64_e32 v[179:180], v[181:182], v[175:176]
	s_wait_loadcnt_dscnt 0x800
	v_mul_f64_e32 v[181:182], v[2:3], v[12:13]
	v_mul_f64_e32 v[12:13], v[4:5], v[12:13]
	ds_load_b128 v[175:178], v1 offset:1696
	v_fma_f64 v[169:170], v[169:170], v[6:7], v[183:184]
	v_fma_f64 v[167:168], v[167:168], v[6:7], -v[8:9]
	scratch_load_b128 v[6:9], off, off offset:896
	v_add_f64_e32 v[165:166], v[165:166], v[187:188]
	v_add_f64_e32 v[179:180], v[179:180], v[185:186]
	v_fma_f64 v[181:182], v[4:5], v[10:11], v[181:182]
	v_fma_f64 v[185:186], v[2:3], v[10:11], -v[12:13]
	ds_load_b128 v[2:5], v1 offset:1712
	s_wait_loadcnt_dscnt 0x801
	v_mul_f64_e32 v[183:184], v[175:176], v[16:17]
	v_mul_f64_e32 v[16:17], v[177:178], v[16:17]
	scratch_load_b128 v[10:13], off, off offset:912
	v_add_f64_e32 v[187:188], v[165:166], v[167:168]
	v_add_f64_e32 v[169:170], v[179:180], v[169:170]
	s_wait_loadcnt_dscnt 0x800
	v_mul_f64_e32 v[179:180], v[2:3], v[20:21]
	v_mul_f64_e32 v[20:21], v[4:5], v[20:21]
	ds_load_b128 v[165:168], v1 offset:1728
	v_fma_f64 v[177:178], v[177:178], v[14:15], v[183:184]
	v_fma_f64 v[175:176], v[175:176], v[14:15], -v[16:17]
	scratch_load_b128 v[14:17], off, off offset:928
	v_add_f64_e32 v[183:184], v[187:188], v[185:186]
	v_add_f64_e32 v[169:170], v[169:170], v[181:182]
	v_fma_f64 v[179:180], v[4:5], v[18:19], v[179:180]
	v_fma_f64 v[185:186], v[2:3], v[18:19], -v[20:21]
	ds_load_b128 v[2:5], v1 offset:1744
	s_wait_loadcnt_dscnt 0x801
	v_mul_f64_e32 v[181:182], v[165:166], v[24:25]
	v_mul_f64_e32 v[24:25], v[167:168], v[24:25]
	scratch_load_b128 v[18:21], off, off offset:944
	s_wait_loadcnt_dscnt 0x800
	v_mul_f64_e32 v[187:188], v[2:3], v[28:29]
	v_mul_f64_e32 v[28:29], v[4:5], v[28:29]
	v_add_f64_e32 v[183:184], v[183:184], v[175:176]
	v_add_f64_e32 v[169:170], v[169:170], v[177:178]
	ds_load_b128 v[175:178], v1 offset:1760
	v_fma_f64 v[167:168], v[167:168], v[22:23], v[181:182]
	v_fma_f64 v[22:23], v[165:166], v[22:23], -v[24:25]
	v_add_f64_e32 v[24:25], v[183:184], v[185:186]
	v_add_f64_e32 v[165:166], v[169:170], v[179:180]
	s_wait_loadcnt_dscnt 0x700
	v_mul_f64_e32 v[169:170], v[175:176], v[32:33]
	v_mul_f64_e32 v[32:33], v[177:178], v[32:33]
	v_fma_f64 v[179:180], v[4:5], v[26:27], v[187:188]
	v_fma_f64 v[26:27], v[2:3], v[26:27], -v[28:29]
	v_add_f64_e32 v[28:29], v[24:25], v[22:23]
	v_add_f64_e32 v[165:166], v[165:166], v[167:168]
	ds_load_b128 v[2:5], v1 offset:1776
	ds_load_b128 v[22:25], v1 offset:1792
	v_fma_f64 v[169:170], v[177:178], v[30:31], v[169:170]
	v_fma_f64 v[30:31], v[175:176], v[30:31], -v[32:33]
	s_wait_loadcnt_dscnt 0x601
	v_mul_f64_e32 v[167:168], v[2:3], v[36:37]
	v_mul_f64_e32 v[36:37], v[4:5], v[36:37]
	v_add_f64_e32 v[26:27], v[28:29], v[26:27]
	v_add_f64_e32 v[28:29], v[165:166], v[179:180]
	s_wait_loadcnt_dscnt 0x500
	v_mul_f64_e32 v[32:33], v[22:23], v[173:174]
	v_mul_f64_e32 v[165:166], v[24:25], v[173:174]
	v_fma_f64 v[167:168], v[4:5], v[34:35], v[167:168]
	v_fma_f64 v[34:35], v[2:3], v[34:35], -v[36:37]
	v_add_f64_e32 v[30:31], v[26:27], v[30:31]
	v_add_f64_e32 v[36:37], v[28:29], v[169:170]
	ds_load_b128 v[2:5], v1 offset:1808
	ds_load_b128 v[26:29], v1 offset:1824
	v_fma_f64 v[24:25], v[24:25], v[171:172], v[32:33]
	v_fma_f64 v[22:23], v[22:23], v[171:172], -v[165:166]
	s_wait_loadcnt_dscnt 0x401
	v_mul_f64_e32 v[169:170], v[2:3], v[40:41]
	v_mul_f64_e32 v[40:41], v[4:5], v[40:41]
	;; [unrolled: 16-line block ×3, first 2 shown]
	v_add_f64_e32 v[8:9], v[30:31], v[38:39]
	v_add_f64_e32 v[26:27], v[32:33], v[36:37]
	s_wait_loadcnt_dscnt 0x100
	v_mul_f64_e32 v[30:31], v[22:23], v[16:17]
	v_mul_f64_e32 v[16:17], v[24:25], v[16:17]
	v_fma_f64 v[32:33], v[4:5], v[10:11], v[40:41]
	v_fma_f64 v[10:11], v[2:3], v[10:11], -v[12:13]
	ds_load_b128 v[2:5], v1 offset:1872
	v_add_f64_e32 v[6:7], v[8:9], v[6:7]
	v_add_f64_e32 v[8:9], v[26:27], v[28:29]
	v_fma_f64 v[24:25], v[24:25], v[14:15], v[30:31]
	v_fma_f64 v[14:15], v[22:23], v[14:15], -v[16:17]
	s_wait_loadcnt_dscnt 0x0
	v_mul_f64_e32 v[12:13], v[2:3], v[20:21]
	v_mul_f64_e32 v[20:21], v[4:5], v[20:21]
	v_add_f64_e32 v[6:7], v[6:7], v[10:11]
	v_add_f64_e32 v[8:9], v[8:9], v[32:33]
	s_delay_alu instid0(VALU_DEP_4) | instskip(NEXT) | instid1(VALU_DEP_4)
	v_fma_f64 v[4:5], v[4:5], v[18:19], v[12:13]
	v_fma_f64 v[2:3], v[2:3], v[18:19], -v[20:21]
	s_delay_alu instid0(VALU_DEP_4) | instskip(NEXT) | instid1(VALU_DEP_4)
	v_add_f64_e32 v[6:7], v[6:7], v[14:15]
	v_add_f64_e32 v[8:9], v[8:9], v[24:25]
	s_delay_alu instid0(VALU_DEP_2) | instskip(NEXT) | instid1(VALU_DEP_2)
	v_add_f64_e32 v[2:3], v[6:7], v[2:3]
	v_add_f64_e32 v[4:5], v[8:9], v[4:5]
	s_delay_alu instid0(VALU_DEP_2) | instskip(NEXT) | instid1(VALU_DEP_2)
	v_add_f64_e64 v[2:3], v[42:43], -v[2:3]
	v_add_f64_e64 v[4:5], v[44:45], -v[4:5]
	scratch_store_b128 off, v[2:5], off offset:224
	v_cmpx_lt_u32_e32 12, v0
	s_cbranch_execz .LBB58_343
; %bb.342:
	scratch_load_b128 v[5:8], off, s60
	v_dual_mov_b32 v2, v1 :: v_dual_mov_b32 v3, v1
	v_mov_b32_e32 v4, v1
	scratch_store_b128 off, v[1:4], off offset:208
	s_wait_loadcnt 0x0
	ds_store_b128 v164, v[5:8]
.LBB58_343:
	s_wait_alu 0xfffe
	s_or_b32 exec_lo, exec_lo, s0
	s_wait_storecnt_dscnt 0x0
	s_barrier_signal -1
	s_barrier_wait -1
	global_inv scope:SCOPE_SE
	s_clause 0x8
	scratch_load_b128 v[2:5], off, off offset:224
	scratch_load_b128 v[6:9], off, off offset:240
	;; [unrolled: 1-line block ×9, first 2 shown]
	ds_load_b128 v[42:45], v1 offset:1152
	ds_load_b128 v[38:41], v1 offset:1168
	s_clause 0x1
	scratch_load_b128 v[165:168], off, off offset:208
	scratch_load_b128 v[169:172], off, off offset:368
	s_mov_b32 s0, exec_lo
	s_wait_loadcnt_dscnt 0xa01
	v_mul_f64_e32 v[173:174], v[44:45], v[4:5]
	v_mul_f64_e32 v[4:5], v[42:43], v[4:5]
	s_wait_loadcnt_dscnt 0x900
	v_mul_f64_e32 v[177:178], v[38:39], v[8:9]
	v_mul_f64_e32 v[8:9], v[40:41], v[8:9]
	s_delay_alu instid0(VALU_DEP_4) | instskip(NEXT) | instid1(VALU_DEP_4)
	v_fma_f64 v[179:180], v[42:43], v[2:3], -v[173:174]
	v_fma_f64 v[181:182], v[44:45], v[2:3], v[4:5]
	ds_load_b128 v[2:5], v1 offset:1184
	ds_load_b128 v[173:176], v1 offset:1200
	scratch_load_b128 v[42:45], off, off offset:384
	v_fma_f64 v[40:41], v[40:41], v[6:7], v[177:178]
	v_fma_f64 v[38:39], v[38:39], v[6:7], -v[8:9]
	scratch_load_b128 v[6:9], off, off offset:400
	s_wait_loadcnt_dscnt 0xa01
	v_mul_f64_e32 v[183:184], v[2:3], v[12:13]
	v_mul_f64_e32 v[12:13], v[4:5], v[12:13]
	v_add_f64_e32 v[177:178], 0, v[179:180]
	v_add_f64_e32 v[179:180], 0, v[181:182]
	s_wait_loadcnt_dscnt 0x900
	v_mul_f64_e32 v[181:182], v[173:174], v[16:17]
	v_mul_f64_e32 v[16:17], v[175:176], v[16:17]
	v_fma_f64 v[183:184], v[4:5], v[10:11], v[183:184]
	v_fma_f64 v[185:186], v[2:3], v[10:11], -v[12:13]
	ds_load_b128 v[2:5], v1 offset:1216
	scratch_load_b128 v[10:13], off, off offset:416
	v_add_f64_e32 v[177:178], v[177:178], v[38:39]
	v_add_f64_e32 v[179:180], v[179:180], v[40:41]
	ds_load_b128 v[38:41], v1 offset:1232
	v_fma_f64 v[175:176], v[175:176], v[14:15], v[181:182]
	v_fma_f64 v[173:174], v[173:174], v[14:15], -v[16:17]
	scratch_load_b128 v[14:17], off, off offset:432
	s_wait_loadcnt_dscnt 0xa01
	v_mul_f64_e32 v[187:188], v[2:3], v[20:21]
	v_mul_f64_e32 v[20:21], v[4:5], v[20:21]
	s_wait_loadcnt_dscnt 0x900
	v_mul_f64_e32 v[181:182], v[38:39], v[24:25]
	v_mul_f64_e32 v[24:25], v[40:41], v[24:25]
	v_add_f64_e32 v[177:178], v[177:178], v[185:186]
	v_add_f64_e32 v[179:180], v[179:180], v[183:184]
	v_fma_f64 v[183:184], v[4:5], v[18:19], v[187:188]
	v_fma_f64 v[185:186], v[2:3], v[18:19], -v[20:21]
	ds_load_b128 v[2:5], v1 offset:1248
	scratch_load_b128 v[18:21], off, off offset:448
	v_fma_f64 v[40:41], v[40:41], v[22:23], v[181:182]
	v_fma_f64 v[38:39], v[38:39], v[22:23], -v[24:25]
	scratch_load_b128 v[22:25], off, off offset:464
	v_add_f64_e32 v[177:178], v[177:178], v[173:174]
	v_add_f64_e32 v[179:180], v[179:180], v[175:176]
	ds_load_b128 v[173:176], v1 offset:1264
	s_wait_loadcnt_dscnt 0xa01
	v_mul_f64_e32 v[187:188], v[2:3], v[28:29]
	v_mul_f64_e32 v[28:29], v[4:5], v[28:29]
	s_wait_loadcnt_dscnt 0x900
	v_mul_f64_e32 v[181:182], v[173:174], v[32:33]
	v_mul_f64_e32 v[32:33], v[175:176], v[32:33]
	v_add_f64_e32 v[177:178], v[177:178], v[185:186]
	v_add_f64_e32 v[179:180], v[179:180], v[183:184]
	v_fma_f64 v[183:184], v[4:5], v[26:27], v[187:188]
	v_fma_f64 v[185:186], v[2:3], v[26:27], -v[28:29]
	ds_load_b128 v[2:5], v1 offset:1280
	scratch_load_b128 v[26:29], off, off offset:480
	v_fma_f64 v[175:176], v[175:176], v[30:31], v[181:182]
	v_fma_f64 v[173:174], v[173:174], v[30:31], -v[32:33]
	scratch_load_b128 v[30:33], off, off offset:496
	v_add_f64_e32 v[177:178], v[177:178], v[38:39]
	v_add_f64_e32 v[179:180], v[179:180], v[40:41]
	ds_load_b128 v[38:41], v1 offset:1296
	s_wait_loadcnt_dscnt 0xa01
	v_mul_f64_e32 v[187:188], v[2:3], v[36:37]
	v_mul_f64_e32 v[36:37], v[4:5], v[36:37]
	s_wait_loadcnt_dscnt 0x800
	v_mul_f64_e32 v[181:182], v[38:39], v[171:172]
	v_add_f64_e32 v[177:178], v[177:178], v[185:186]
	v_add_f64_e32 v[179:180], v[179:180], v[183:184]
	v_mul_f64_e32 v[183:184], v[40:41], v[171:172]
	v_fma_f64 v[185:186], v[4:5], v[34:35], v[187:188]
	v_fma_f64 v[187:188], v[2:3], v[34:35], -v[36:37]
	ds_load_b128 v[2:5], v1 offset:1312
	scratch_load_b128 v[34:37], off, off offset:512
	v_fma_f64 v[181:182], v[40:41], v[169:170], v[181:182]
	v_add_f64_e32 v[177:178], v[177:178], v[173:174]
	v_add_f64_e32 v[175:176], v[179:180], v[175:176]
	ds_load_b128 v[171:174], v1 offset:1328
	v_fma_f64 v[169:170], v[38:39], v[169:170], -v[183:184]
	scratch_load_b128 v[38:41], off, off offset:528
	s_wait_loadcnt_dscnt 0x901
	v_mul_f64_e32 v[179:180], v[2:3], v[44:45]
	v_mul_f64_e32 v[44:45], v[4:5], v[44:45]
	s_wait_loadcnt_dscnt 0x800
	v_mul_f64_e32 v[183:184], v[171:172], v[8:9]
	v_mul_f64_e32 v[8:9], v[173:174], v[8:9]
	v_add_f64_e32 v[177:178], v[177:178], v[187:188]
	v_add_f64_e32 v[175:176], v[175:176], v[185:186]
	v_fma_f64 v[179:180], v[4:5], v[42:43], v[179:180]
	v_fma_f64 v[185:186], v[2:3], v[42:43], -v[44:45]
	ds_load_b128 v[2:5], v1 offset:1344
	scratch_load_b128 v[42:45], off, off offset:544
	v_fma_f64 v[173:174], v[173:174], v[6:7], v[183:184]
	v_fma_f64 v[171:172], v[171:172], v[6:7], -v[8:9]
	scratch_load_b128 v[6:9], off, off offset:560
	v_add_f64_e32 v[169:170], v[177:178], v[169:170]
	v_add_f64_e32 v[181:182], v[175:176], v[181:182]
	ds_load_b128 v[175:178], v1 offset:1360
	s_wait_loadcnt_dscnt 0x901
	v_mul_f64_e32 v[187:188], v[2:3], v[12:13]
	v_mul_f64_e32 v[12:13], v[4:5], v[12:13]
	v_add_f64_e32 v[169:170], v[169:170], v[185:186]
	v_add_f64_e32 v[179:180], v[181:182], v[179:180]
	s_wait_loadcnt_dscnt 0x800
	v_mul_f64_e32 v[181:182], v[175:176], v[16:17]
	v_mul_f64_e32 v[16:17], v[177:178], v[16:17]
	v_fma_f64 v[183:184], v[4:5], v[10:11], v[187:188]
	v_fma_f64 v[185:186], v[2:3], v[10:11], -v[12:13]
	ds_load_b128 v[2:5], v1 offset:1376
	scratch_load_b128 v[10:13], off, off offset:576
	v_add_f64_e32 v[187:188], v[169:170], v[171:172]
	v_add_f64_e32 v[173:174], v[179:180], v[173:174]
	ds_load_b128 v[169:172], v1 offset:1392
	s_wait_loadcnt_dscnt 0x801
	v_mul_f64_e32 v[179:180], v[2:3], v[20:21]
	v_mul_f64_e32 v[20:21], v[4:5], v[20:21]
	v_fma_f64 v[177:178], v[177:178], v[14:15], v[181:182]
	v_fma_f64 v[175:176], v[175:176], v[14:15], -v[16:17]
	scratch_load_b128 v[14:17], off, off offset:592
	v_add_f64_e32 v[181:182], v[187:188], v[185:186]
	v_add_f64_e32 v[173:174], v[173:174], v[183:184]
	s_wait_loadcnt_dscnt 0x800
	v_mul_f64_e32 v[183:184], v[169:170], v[24:25]
	v_mul_f64_e32 v[24:25], v[171:172], v[24:25]
	v_fma_f64 v[179:180], v[4:5], v[18:19], v[179:180]
	v_fma_f64 v[185:186], v[2:3], v[18:19], -v[20:21]
	ds_load_b128 v[2:5], v1 offset:1408
	scratch_load_b128 v[18:21], off, off offset:608
	v_add_f64_e32 v[181:182], v[181:182], v[175:176]
	v_add_f64_e32 v[177:178], v[173:174], v[177:178]
	ds_load_b128 v[173:176], v1 offset:1424
	s_wait_loadcnt_dscnt 0x801
	v_mul_f64_e32 v[187:188], v[2:3], v[28:29]
	v_mul_f64_e32 v[28:29], v[4:5], v[28:29]
	v_fma_f64 v[171:172], v[171:172], v[22:23], v[183:184]
	v_fma_f64 v[169:170], v[169:170], v[22:23], -v[24:25]
	scratch_load_b128 v[22:25], off, off offset:624
	;; [unrolled: 18-line block ×4, first 2 shown]
	s_wait_loadcnt_dscnt 0x800
	v_mul_f64_e32 v[181:182], v[173:174], v[8:9]
	v_mul_f64_e32 v[8:9], v[175:176], v[8:9]
	v_add_f64_e32 v[179:180], v[179:180], v[185:186]
	v_add_f64_e32 v[177:178], v[177:178], v[183:184]
	v_fma_f64 v[183:184], v[4:5], v[42:43], v[187:188]
	v_fma_f64 v[185:186], v[2:3], v[42:43], -v[44:45]
	ds_load_b128 v[2:5], v1 offset:1504
	scratch_load_b128 v[42:45], off, off offset:704
	v_fma_f64 v[175:176], v[175:176], v[6:7], v[181:182]
	v_fma_f64 v[173:174], v[173:174], v[6:7], -v[8:9]
	scratch_load_b128 v[6:9], off, off offset:720
	v_add_f64_e32 v[179:180], v[179:180], v[169:170]
	v_add_f64_e32 v[177:178], v[177:178], v[171:172]
	ds_load_b128 v[169:172], v1 offset:1520
	s_wait_loadcnt_dscnt 0x901
	v_mul_f64_e32 v[187:188], v[2:3], v[12:13]
	v_mul_f64_e32 v[12:13], v[4:5], v[12:13]
	s_wait_loadcnt_dscnt 0x800
	v_mul_f64_e32 v[181:182], v[169:170], v[16:17]
	v_mul_f64_e32 v[16:17], v[171:172], v[16:17]
	v_add_f64_e32 v[179:180], v[179:180], v[185:186]
	v_add_f64_e32 v[177:178], v[177:178], v[183:184]
	v_fma_f64 v[183:184], v[4:5], v[10:11], v[187:188]
	v_fma_f64 v[185:186], v[2:3], v[10:11], -v[12:13]
	ds_load_b128 v[2:5], v1 offset:1536
	scratch_load_b128 v[10:13], off, off offset:736
	v_fma_f64 v[171:172], v[171:172], v[14:15], v[181:182]
	v_fma_f64 v[169:170], v[169:170], v[14:15], -v[16:17]
	scratch_load_b128 v[14:17], off, off offset:752
	v_add_f64_e32 v[179:180], v[179:180], v[173:174]
	v_add_f64_e32 v[177:178], v[177:178], v[175:176]
	ds_load_b128 v[173:176], v1 offset:1552
	s_wait_loadcnt_dscnt 0x901
	v_mul_f64_e32 v[187:188], v[2:3], v[20:21]
	v_mul_f64_e32 v[20:21], v[4:5], v[20:21]
	;; [unrolled: 18-line block ×8, first 2 shown]
	s_wait_loadcnt_dscnt 0x800
	v_mul_f64_e32 v[181:182], v[173:174], v[32:33]
	v_mul_f64_e32 v[32:33], v[175:176], v[32:33]
	v_add_f64_e32 v[179:180], v[179:180], v[185:186]
	v_add_f64_e32 v[177:178], v[177:178], v[183:184]
	v_fma_f64 v[183:184], v[4:5], v[26:27], v[187:188]
	v_fma_f64 v[185:186], v[2:3], v[26:27], -v[28:29]
	ds_load_b128 v[2:5], v1 offset:1760
	ds_load_b128 v[26:29], v1 offset:1776
	v_fma_f64 v[175:176], v[175:176], v[30:31], v[181:182]
	v_fma_f64 v[30:31], v[173:174], v[30:31], -v[32:33]
	v_add_f64_e32 v[169:170], v[179:180], v[169:170]
	v_add_f64_e32 v[171:172], v[177:178], v[171:172]
	s_wait_loadcnt_dscnt 0x701
	v_mul_f64_e32 v[177:178], v[2:3], v[36:37]
	v_mul_f64_e32 v[36:37], v[4:5], v[36:37]
	s_delay_alu instid0(VALU_DEP_4) | instskip(NEXT) | instid1(VALU_DEP_4)
	v_add_f64_e32 v[32:33], v[169:170], v[185:186]
	v_add_f64_e32 v[169:170], v[171:172], v[183:184]
	s_wait_loadcnt_dscnt 0x600
	v_mul_f64_e32 v[171:172], v[26:27], v[40:41]
	v_mul_f64_e32 v[40:41], v[28:29], v[40:41]
	v_fma_f64 v[173:174], v[4:5], v[34:35], v[177:178]
	v_fma_f64 v[34:35], v[2:3], v[34:35], -v[36:37]
	v_add_f64_e32 v[36:37], v[32:33], v[30:31]
	v_add_f64_e32 v[169:170], v[169:170], v[175:176]
	ds_load_b128 v[2:5], v1 offset:1792
	ds_load_b128 v[30:33], v1 offset:1808
	v_fma_f64 v[28:29], v[28:29], v[38:39], v[171:172]
	v_fma_f64 v[26:27], v[26:27], v[38:39], -v[40:41]
	s_wait_loadcnt_dscnt 0x501
	v_mul_f64_e32 v[175:176], v[2:3], v[44:45]
	v_mul_f64_e32 v[44:45], v[4:5], v[44:45]
	s_wait_loadcnt_dscnt 0x400
	v_mul_f64_e32 v[38:39], v[30:31], v[8:9]
	v_mul_f64_e32 v[8:9], v[32:33], v[8:9]
	v_add_f64_e32 v[34:35], v[36:37], v[34:35]
	v_add_f64_e32 v[36:37], v[169:170], v[173:174]
	v_fma_f64 v[40:41], v[4:5], v[42:43], v[175:176]
	v_fma_f64 v[42:43], v[2:3], v[42:43], -v[44:45]
	v_fma_f64 v[32:33], v[32:33], v[6:7], v[38:39]
	v_fma_f64 v[6:7], v[30:31], v[6:7], -v[8:9]
	v_add_f64_e32 v[34:35], v[34:35], v[26:27]
	v_add_f64_e32 v[36:37], v[36:37], v[28:29]
	ds_load_b128 v[2:5], v1 offset:1824
	ds_load_b128 v[26:29], v1 offset:1840
	s_wait_loadcnt_dscnt 0x301
	v_mul_f64_e32 v[44:45], v[2:3], v[12:13]
	v_mul_f64_e32 v[12:13], v[4:5], v[12:13]
	v_add_f64_e32 v[8:9], v[34:35], v[42:43]
	v_add_f64_e32 v[30:31], v[36:37], v[40:41]
	s_wait_loadcnt_dscnt 0x200
	v_mul_f64_e32 v[34:35], v[26:27], v[16:17]
	v_mul_f64_e32 v[16:17], v[28:29], v[16:17]
	v_fma_f64 v[36:37], v[4:5], v[10:11], v[44:45]
	v_fma_f64 v[10:11], v[2:3], v[10:11], -v[12:13]
	v_add_f64_e32 v[12:13], v[8:9], v[6:7]
	v_add_f64_e32 v[30:31], v[30:31], v[32:33]
	ds_load_b128 v[2:5], v1 offset:1856
	ds_load_b128 v[6:9], v1 offset:1872
	v_fma_f64 v[28:29], v[28:29], v[14:15], v[34:35]
	v_fma_f64 v[14:15], v[26:27], v[14:15], -v[16:17]
	s_wait_loadcnt_dscnt 0x101
	v_mul_f64_e32 v[32:33], v[2:3], v[20:21]
	v_mul_f64_e32 v[20:21], v[4:5], v[20:21]
	s_wait_loadcnt_dscnt 0x0
	v_mul_f64_e32 v[16:17], v[6:7], v[24:25]
	v_mul_f64_e32 v[24:25], v[8:9], v[24:25]
	v_add_f64_e32 v[10:11], v[12:13], v[10:11]
	v_add_f64_e32 v[12:13], v[30:31], v[36:37]
	v_fma_f64 v[4:5], v[4:5], v[18:19], v[32:33]
	v_fma_f64 v[1:2], v[2:3], v[18:19], -v[20:21]
	v_fma_f64 v[8:9], v[8:9], v[22:23], v[16:17]
	v_fma_f64 v[6:7], v[6:7], v[22:23], -v[24:25]
	v_add_f64_e32 v[10:11], v[10:11], v[14:15]
	v_add_f64_e32 v[12:13], v[12:13], v[28:29]
	s_delay_alu instid0(VALU_DEP_2) | instskip(NEXT) | instid1(VALU_DEP_2)
	v_add_f64_e32 v[1:2], v[10:11], v[1:2]
	v_add_f64_e32 v[3:4], v[12:13], v[4:5]
	s_delay_alu instid0(VALU_DEP_2) | instskip(NEXT) | instid1(VALU_DEP_2)
	;; [unrolled: 3-line block ×3, first 2 shown]
	v_add_f64_e64 v[1:2], v[165:166], -v[1:2]
	v_add_f64_e64 v[3:4], v[167:168], -v[3:4]
	scratch_store_b128 off, v[1:4], off offset:208
	v_cmpx_lt_u32_e32 11, v0
	s_cbranch_execz .LBB58_345
; %bb.344:
	scratch_load_b128 v[1:4], off, s61
	v_mov_b32_e32 v5, 0
	s_delay_alu instid0(VALU_DEP_1)
	v_dual_mov_b32 v6, v5 :: v_dual_mov_b32 v7, v5
	v_mov_b32_e32 v8, v5
	scratch_store_b128 off, v[5:8], off offset:192
	s_wait_loadcnt 0x0
	ds_store_b128 v164, v[1:4]
.LBB58_345:
	s_wait_alu 0xfffe
	s_or_b32 exec_lo, exec_lo, s0
	s_wait_storecnt_dscnt 0x0
	s_barrier_signal -1
	s_barrier_wait -1
	global_inv scope:SCOPE_SE
	s_clause 0x7
	scratch_load_b128 v[2:5], off, off offset:208
	scratch_load_b128 v[6:9], off, off offset:224
	;; [unrolled: 1-line block ×8, first 2 shown]
	v_mov_b32_e32 v1, 0
	s_mov_b32 s0, exec_lo
	ds_load_b128 v[38:41], v1 offset:1136
	s_clause 0x1
	scratch_load_b128 v[34:37], off, off offset:336
	scratch_load_b128 v[42:45], off, off offset:192
	ds_load_b128 v[165:168], v1 offset:1152
	scratch_load_b128 v[169:172], off, off offset:352
	s_wait_loadcnt_dscnt 0xa01
	v_mul_f64_e32 v[173:174], v[40:41], v[4:5]
	v_mul_f64_e32 v[4:5], v[38:39], v[4:5]
	s_delay_alu instid0(VALU_DEP_2) | instskip(NEXT) | instid1(VALU_DEP_2)
	v_fma_f64 v[179:180], v[38:39], v[2:3], -v[173:174]
	v_fma_f64 v[181:182], v[40:41], v[2:3], v[4:5]
	ds_load_b128 v[2:5], v1 offset:1168
	s_wait_loadcnt_dscnt 0x901
	v_mul_f64_e32 v[177:178], v[165:166], v[8:9]
	v_mul_f64_e32 v[8:9], v[167:168], v[8:9]
	scratch_load_b128 v[38:41], off, off offset:368
	ds_load_b128 v[173:176], v1 offset:1184
	s_wait_loadcnt_dscnt 0x901
	v_mul_f64_e32 v[183:184], v[2:3], v[12:13]
	v_mul_f64_e32 v[12:13], v[4:5], v[12:13]
	v_fma_f64 v[167:168], v[167:168], v[6:7], v[177:178]
	v_fma_f64 v[165:166], v[165:166], v[6:7], -v[8:9]
	v_add_f64_e32 v[177:178], 0, v[179:180]
	v_add_f64_e32 v[179:180], 0, v[181:182]
	scratch_load_b128 v[6:9], off, off offset:384
	v_fma_f64 v[183:184], v[4:5], v[10:11], v[183:184]
	v_fma_f64 v[185:186], v[2:3], v[10:11], -v[12:13]
	ds_load_b128 v[2:5], v1 offset:1200
	s_wait_loadcnt_dscnt 0x901
	v_mul_f64_e32 v[181:182], v[173:174], v[16:17]
	v_mul_f64_e32 v[16:17], v[175:176], v[16:17]
	scratch_load_b128 v[10:13], off, off offset:400
	v_add_f64_e32 v[177:178], v[177:178], v[165:166]
	v_add_f64_e32 v[179:180], v[179:180], v[167:168]
	s_wait_loadcnt_dscnt 0x900
	v_mul_f64_e32 v[187:188], v[2:3], v[20:21]
	v_mul_f64_e32 v[20:21], v[4:5], v[20:21]
	ds_load_b128 v[165:168], v1 offset:1216
	v_fma_f64 v[175:176], v[175:176], v[14:15], v[181:182]
	v_fma_f64 v[173:174], v[173:174], v[14:15], -v[16:17]
	scratch_load_b128 v[14:17], off, off offset:416
	v_add_f64_e32 v[177:178], v[177:178], v[185:186]
	v_add_f64_e32 v[179:180], v[179:180], v[183:184]
	v_fma_f64 v[183:184], v[4:5], v[18:19], v[187:188]
	v_fma_f64 v[185:186], v[2:3], v[18:19], -v[20:21]
	ds_load_b128 v[2:5], v1 offset:1232
	s_wait_loadcnt_dscnt 0x901
	v_mul_f64_e32 v[181:182], v[165:166], v[24:25]
	v_mul_f64_e32 v[24:25], v[167:168], v[24:25]
	scratch_load_b128 v[18:21], off, off offset:432
	s_wait_loadcnt_dscnt 0x900
	v_mul_f64_e32 v[187:188], v[2:3], v[28:29]
	v_mul_f64_e32 v[28:29], v[4:5], v[28:29]
	v_add_f64_e32 v[177:178], v[177:178], v[173:174]
	v_add_f64_e32 v[179:180], v[179:180], v[175:176]
	ds_load_b128 v[173:176], v1 offset:1248
	v_fma_f64 v[167:168], v[167:168], v[22:23], v[181:182]
	v_fma_f64 v[165:166], v[165:166], v[22:23], -v[24:25]
	scratch_load_b128 v[22:25], off, off offset:448
	v_add_f64_e32 v[177:178], v[177:178], v[185:186]
	v_add_f64_e32 v[179:180], v[179:180], v[183:184]
	v_fma_f64 v[183:184], v[4:5], v[26:27], v[187:188]
	v_fma_f64 v[185:186], v[2:3], v[26:27], -v[28:29]
	ds_load_b128 v[2:5], v1 offset:1264
	s_wait_loadcnt_dscnt 0x901
	v_mul_f64_e32 v[181:182], v[173:174], v[32:33]
	v_mul_f64_e32 v[32:33], v[175:176], v[32:33]
	scratch_load_b128 v[26:29], off, off offset:464
	s_wait_loadcnt_dscnt 0x900
	v_mul_f64_e32 v[187:188], v[2:3], v[36:37]
	v_mul_f64_e32 v[36:37], v[4:5], v[36:37]
	v_add_f64_e32 v[177:178], v[177:178], v[165:166]
	v_add_f64_e32 v[179:180], v[179:180], v[167:168]
	ds_load_b128 v[165:168], v1 offset:1280
	v_fma_f64 v[175:176], v[175:176], v[30:31], v[181:182]
	v_fma_f64 v[173:174], v[173:174], v[30:31], -v[32:33]
	scratch_load_b128 v[30:33], off, off offset:480
	v_add_f64_e32 v[177:178], v[177:178], v[185:186]
	v_add_f64_e32 v[179:180], v[179:180], v[183:184]
	v_fma_f64 v[185:186], v[4:5], v[34:35], v[187:188]
	v_fma_f64 v[187:188], v[2:3], v[34:35], -v[36:37]
	ds_load_b128 v[2:5], v1 offset:1296
	s_wait_loadcnt_dscnt 0x801
	v_mul_f64_e32 v[181:182], v[165:166], v[171:172]
	v_mul_f64_e32 v[183:184], v[167:168], v[171:172]
	scratch_load_b128 v[34:37], off, off offset:496
	v_add_f64_e32 v[177:178], v[177:178], v[173:174]
	v_add_f64_e32 v[175:176], v[179:180], v[175:176]
	ds_load_b128 v[171:174], v1 offset:1312
	v_fma_f64 v[181:182], v[167:168], v[169:170], v[181:182]
	v_fma_f64 v[169:170], v[165:166], v[169:170], -v[183:184]
	scratch_load_b128 v[165:168], off, off offset:512
	s_wait_loadcnt_dscnt 0x901
	v_mul_f64_e32 v[179:180], v[2:3], v[40:41]
	v_mul_f64_e32 v[40:41], v[4:5], v[40:41]
	v_add_f64_e32 v[177:178], v[177:178], v[187:188]
	v_add_f64_e32 v[175:176], v[175:176], v[185:186]
	s_delay_alu instid0(VALU_DEP_4) | instskip(NEXT) | instid1(VALU_DEP_4)
	v_fma_f64 v[179:180], v[4:5], v[38:39], v[179:180]
	v_fma_f64 v[185:186], v[2:3], v[38:39], -v[40:41]
	ds_load_b128 v[2:5], v1 offset:1328
	s_wait_loadcnt_dscnt 0x801
	v_mul_f64_e32 v[183:184], v[171:172], v[8:9]
	v_mul_f64_e32 v[8:9], v[173:174], v[8:9]
	scratch_load_b128 v[38:41], off, off offset:528
	s_wait_loadcnt_dscnt 0x800
	v_mul_f64_e32 v[187:188], v[2:3], v[12:13]
	v_add_f64_e32 v[169:170], v[177:178], v[169:170]
	v_add_f64_e32 v[181:182], v[175:176], v[181:182]
	v_mul_f64_e32 v[12:13], v[4:5], v[12:13]
	ds_load_b128 v[175:178], v1 offset:1344
	v_fma_f64 v[173:174], v[173:174], v[6:7], v[183:184]
	v_fma_f64 v[171:172], v[171:172], v[6:7], -v[8:9]
	scratch_load_b128 v[6:9], off, off offset:544
	v_fma_f64 v[183:184], v[4:5], v[10:11], v[187:188]
	v_add_f64_e32 v[169:170], v[169:170], v[185:186]
	v_add_f64_e32 v[179:180], v[181:182], v[179:180]
	v_fma_f64 v[185:186], v[2:3], v[10:11], -v[12:13]
	ds_load_b128 v[2:5], v1 offset:1360
	s_wait_loadcnt_dscnt 0x801
	v_mul_f64_e32 v[181:182], v[175:176], v[16:17]
	v_mul_f64_e32 v[16:17], v[177:178], v[16:17]
	scratch_load_b128 v[10:13], off, off offset:560
	v_add_f64_e32 v[187:188], v[169:170], v[171:172]
	v_add_f64_e32 v[173:174], v[179:180], v[173:174]
	s_wait_loadcnt_dscnt 0x800
	v_mul_f64_e32 v[179:180], v[2:3], v[20:21]
	v_mul_f64_e32 v[20:21], v[4:5], v[20:21]
	v_fma_f64 v[177:178], v[177:178], v[14:15], v[181:182]
	v_fma_f64 v[175:176], v[175:176], v[14:15], -v[16:17]
	ds_load_b128 v[169:172], v1 offset:1376
	scratch_load_b128 v[14:17], off, off offset:576
	v_add_f64_e32 v[181:182], v[187:188], v[185:186]
	v_add_f64_e32 v[173:174], v[173:174], v[183:184]
	v_fma_f64 v[179:180], v[4:5], v[18:19], v[179:180]
	v_fma_f64 v[185:186], v[2:3], v[18:19], -v[20:21]
	ds_load_b128 v[2:5], v1 offset:1392
	s_wait_loadcnt_dscnt 0x801
	v_mul_f64_e32 v[183:184], v[169:170], v[24:25]
	v_mul_f64_e32 v[24:25], v[171:172], v[24:25]
	scratch_load_b128 v[18:21], off, off offset:592
	s_wait_loadcnt_dscnt 0x800
	v_mul_f64_e32 v[187:188], v[2:3], v[28:29]
	v_mul_f64_e32 v[28:29], v[4:5], v[28:29]
	v_add_f64_e32 v[181:182], v[181:182], v[175:176]
	v_add_f64_e32 v[177:178], v[173:174], v[177:178]
	ds_load_b128 v[173:176], v1 offset:1408
	v_fma_f64 v[171:172], v[171:172], v[22:23], v[183:184]
	v_fma_f64 v[169:170], v[169:170], v[22:23], -v[24:25]
	scratch_load_b128 v[22:25], off, off offset:608
	v_fma_f64 v[183:184], v[4:5], v[26:27], v[187:188]
	v_add_f64_e32 v[181:182], v[181:182], v[185:186]
	v_add_f64_e32 v[177:178], v[177:178], v[179:180]
	v_fma_f64 v[185:186], v[2:3], v[26:27], -v[28:29]
	ds_load_b128 v[2:5], v1 offset:1424
	s_wait_loadcnt_dscnt 0x801
	v_mul_f64_e32 v[179:180], v[173:174], v[32:33]
	v_mul_f64_e32 v[32:33], v[175:176], v[32:33]
	scratch_load_b128 v[26:29], off, off offset:624
	s_wait_loadcnt_dscnt 0x800
	v_mul_f64_e32 v[187:188], v[2:3], v[36:37]
	v_mul_f64_e32 v[36:37], v[4:5], v[36:37]
	v_add_f64_e32 v[181:182], v[181:182], v[169:170]
	v_add_f64_e32 v[177:178], v[177:178], v[171:172]
	ds_load_b128 v[169:172], v1 offset:1440
	v_fma_f64 v[175:176], v[175:176], v[30:31], v[179:180]
	v_fma_f64 v[173:174], v[173:174], v[30:31], -v[32:33]
	scratch_load_b128 v[30:33], off, off offset:640
	v_add_f64_e32 v[179:180], v[181:182], v[185:186]
	v_add_f64_e32 v[177:178], v[177:178], v[183:184]
	v_fma_f64 v[183:184], v[4:5], v[34:35], v[187:188]
	v_fma_f64 v[185:186], v[2:3], v[34:35], -v[36:37]
	ds_load_b128 v[2:5], v1 offset:1456
	s_wait_loadcnt_dscnt 0x801
	v_mul_f64_e32 v[181:182], v[169:170], v[167:168]
	v_mul_f64_e32 v[167:168], v[171:172], v[167:168]
	scratch_load_b128 v[34:37], off, off offset:656
	s_wait_loadcnt_dscnt 0x800
	v_mul_f64_e32 v[187:188], v[2:3], v[40:41]
	v_mul_f64_e32 v[40:41], v[4:5], v[40:41]
	v_add_f64_e32 v[179:180], v[179:180], v[173:174]
	v_add_f64_e32 v[177:178], v[177:178], v[175:176]
	ds_load_b128 v[173:176], v1 offset:1472
	v_fma_f64 v[171:172], v[171:172], v[165:166], v[181:182]
	v_fma_f64 v[169:170], v[169:170], v[165:166], -v[167:168]
	scratch_load_b128 v[165:168], off, off offset:672
	v_add_f64_e32 v[179:180], v[179:180], v[185:186]
	v_add_f64_e32 v[177:178], v[177:178], v[183:184]
	v_fma_f64 v[183:184], v[4:5], v[38:39], v[187:188]
	v_fma_f64 v[185:186], v[2:3], v[38:39], -v[40:41]
	ds_load_b128 v[2:5], v1 offset:1488
	s_wait_loadcnt_dscnt 0x801
	v_mul_f64_e32 v[181:182], v[173:174], v[8:9]
	v_mul_f64_e32 v[8:9], v[175:176], v[8:9]
	scratch_load_b128 v[38:41], off, off offset:688
	s_wait_loadcnt_dscnt 0x800
	v_mul_f64_e32 v[187:188], v[2:3], v[12:13]
	v_mul_f64_e32 v[12:13], v[4:5], v[12:13]
	v_add_f64_e32 v[179:180], v[179:180], v[169:170]
	v_add_f64_e32 v[177:178], v[177:178], v[171:172]
	ds_load_b128 v[169:172], v1 offset:1504
	v_fma_f64 v[175:176], v[175:176], v[6:7], v[181:182]
	v_fma_f64 v[173:174], v[173:174], v[6:7], -v[8:9]
	scratch_load_b128 v[6:9], off, off offset:704
	v_add_f64_e32 v[179:180], v[179:180], v[185:186]
	v_add_f64_e32 v[177:178], v[177:178], v[183:184]
	v_fma_f64 v[183:184], v[4:5], v[10:11], v[187:188]
	v_fma_f64 v[185:186], v[2:3], v[10:11], -v[12:13]
	ds_load_b128 v[2:5], v1 offset:1520
	s_wait_loadcnt_dscnt 0x801
	v_mul_f64_e32 v[181:182], v[169:170], v[16:17]
	v_mul_f64_e32 v[16:17], v[171:172], v[16:17]
	scratch_load_b128 v[10:13], off, off offset:720
	s_wait_loadcnt_dscnt 0x800
	v_mul_f64_e32 v[187:188], v[2:3], v[20:21]
	v_mul_f64_e32 v[20:21], v[4:5], v[20:21]
	v_add_f64_e32 v[179:180], v[179:180], v[173:174]
	v_add_f64_e32 v[177:178], v[177:178], v[175:176]
	ds_load_b128 v[173:176], v1 offset:1536
	v_fma_f64 v[171:172], v[171:172], v[14:15], v[181:182]
	v_fma_f64 v[169:170], v[169:170], v[14:15], -v[16:17]
	scratch_load_b128 v[14:17], off, off offset:736
	v_add_f64_e32 v[179:180], v[179:180], v[185:186]
	v_add_f64_e32 v[177:178], v[177:178], v[183:184]
	v_fma_f64 v[183:184], v[4:5], v[18:19], v[187:188]
	v_fma_f64 v[185:186], v[2:3], v[18:19], -v[20:21]
	ds_load_b128 v[2:5], v1 offset:1552
	s_wait_loadcnt_dscnt 0x801
	v_mul_f64_e32 v[181:182], v[173:174], v[24:25]
	v_mul_f64_e32 v[24:25], v[175:176], v[24:25]
	scratch_load_b128 v[18:21], off, off offset:752
	s_wait_loadcnt_dscnt 0x800
	v_mul_f64_e32 v[187:188], v[2:3], v[28:29]
	v_mul_f64_e32 v[28:29], v[4:5], v[28:29]
	v_add_f64_e32 v[179:180], v[179:180], v[169:170]
	v_add_f64_e32 v[177:178], v[177:178], v[171:172]
	ds_load_b128 v[169:172], v1 offset:1568
	v_fma_f64 v[175:176], v[175:176], v[22:23], v[181:182]
	v_fma_f64 v[173:174], v[173:174], v[22:23], -v[24:25]
	scratch_load_b128 v[22:25], off, off offset:768
	v_add_f64_e32 v[179:180], v[179:180], v[185:186]
	v_add_f64_e32 v[177:178], v[177:178], v[183:184]
	v_fma_f64 v[183:184], v[4:5], v[26:27], v[187:188]
	v_fma_f64 v[185:186], v[2:3], v[26:27], -v[28:29]
	ds_load_b128 v[2:5], v1 offset:1584
	s_wait_loadcnt_dscnt 0x801
	v_mul_f64_e32 v[181:182], v[169:170], v[32:33]
	v_mul_f64_e32 v[32:33], v[171:172], v[32:33]
	scratch_load_b128 v[26:29], off, off offset:784
	s_wait_loadcnt_dscnt 0x800
	v_mul_f64_e32 v[187:188], v[2:3], v[36:37]
	v_mul_f64_e32 v[36:37], v[4:5], v[36:37]
	v_add_f64_e32 v[179:180], v[179:180], v[173:174]
	v_add_f64_e32 v[177:178], v[177:178], v[175:176]
	ds_load_b128 v[173:176], v1 offset:1600
	v_fma_f64 v[171:172], v[171:172], v[30:31], v[181:182]
	v_fma_f64 v[169:170], v[169:170], v[30:31], -v[32:33]
	scratch_load_b128 v[30:33], off, off offset:800
	v_add_f64_e32 v[179:180], v[179:180], v[185:186]
	v_add_f64_e32 v[177:178], v[177:178], v[183:184]
	v_fma_f64 v[185:186], v[4:5], v[34:35], v[187:188]
	v_fma_f64 v[187:188], v[2:3], v[34:35], -v[36:37]
	ds_load_b128 v[2:5], v1 offset:1616
	s_wait_loadcnt_dscnt 0x801
	v_mul_f64_e32 v[181:182], v[173:174], v[167:168]
	v_mul_f64_e32 v[183:184], v[175:176], v[167:168]
	scratch_load_b128 v[34:37], off, off offset:816
	v_add_f64_e32 v[179:180], v[179:180], v[169:170]
	v_add_f64_e32 v[171:172], v[177:178], v[171:172]
	s_wait_loadcnt_dscnt 0x800
	v_mul_f64_e32 v[177:178], v[2:3], v[40:41]
	v_mul_f64_e32 v[40:41], v[4:5], v[40:41]
	ds_load_b128 v[167:170], v1 offset:1632
	v_fma_f64 v[175:176], v[175:176], v[165:166], v[181:182]
	v_fma_f64 v[165:166], v[173:174], v[165:166], -v[183:184]
	v_add_f64_e32 v[179:180], v[179:180], v[187:188]
	v_add_f64_e32 v[181:182], v[171:172], v[185:186]
	scratch_load_b128 v[171:174], off, off offset:832
	v_fma_f64 v[185:186], v[4:5], v[38:39], v[177:178]
	v_fma_f64 v[187:188], v[2:3], v[38:39], -v[40:41]
	ds_load_b128 v[2:5], v1 offset:1648
	s_wait_loadcnt_dscnt 0x801
	v_mul_f64_e32 v[183:184], v[167:168], v[8:9]
	v_mul_f64_e32 v[8:9], v[169:170], v[8:9]
	scratch_load_b128 v[38:41], off, off offset:848
	v_add_f64_e32 v[165:166], v[179:180], v[165:166]
	v_add_f64_e32 v[179:180], v[181:182], v[175:176]
	s_wait_loadcnt_dscnt 0x800
	v_mul_f64_e32 v[181:182], v[2:3], v[12:13]
	v_mul_f64_e32 v[12:13], v[4:5], v[12:13]
	ds_load_b128 v[175:178], v1 offset:1664
	v_fma_f64 v[169:170], v[169:170], v[6:7], v[183:184]
	v_fma_f64 v[167:168], v[167:168], v[6:7], -v[8:9]
	scratch_load_b128 v[6:9], off, off offset:864
	v_add_f64_e32 v[165:166], v[165:166], v[187:188]
	v_add_f64_e32 v[179:180], v[179:180], v[185:186]
	v_fma_f64 v[181:182], v[4:5], v[10:11], v[181:182]
	v_fma_f64 v[185:186], v[2:3], v[10:11], -v[12:13]
	ds_load_b128 v[2:5], v1 offset:1680
	s_wait_loadcnt_dscnt 0x801
	v_mul_f64_e32 v[183:184], v[175:176], v[16:17]
	v_mul_f64_e32 v[16:17], v[177:178], v[16:17]
	scratch_load_b128 v[10:13], off, off offset:880
	v_add_f64_e32 v[187:188], v[165:166], v[167:168]
	v_add_f64_e32 v[169:170], v[179:180], v[169:170]
	s_wait_loadcnt_dscnt 0x800
	v_mul_f64_e32 v[179:180], v[2:3], v[20:21]
	v_mul_f64_e32 v[20:21], v[4:5], v[20:21]
	ds_load_b128 v[165:168], v1 offset:1696
	v_fma_f64 v[177:178], v[177:178], v[14:15], v[183:184]
	v_fma_f64 v[175:176], v[175:176], v[14:15], -v[16:17]
	scratch_load_b128 v[14:17], off, off offset:896
	v_add_f64_e32 v[183:184], v[187:188], v[185:186]
	v_add_f64_e32 v[169:170], v[169:170], v[181:182]
	v_fma_f64 v[179:180], v[4:5], v[18:19], v[179:180]
	v_fma_f64 v[185:186], v[2:3], v[18:19], -v[20:21]
	ds_load_b128 v[2:5], v1 offset:1712
	s_wait_loadcnt_dscnt 0x801
	v_mul_f64_e32 v[181:182], v[165:166], v[24:25]
	v_mul_f64_e32 v[24:25], v[167:168], v[24:25]
	scratch_load_b128 v[18:21], off, off offset:912
	s_wait_loadcnt_dscnt 0x800
	v_mul_f64_e32 v[187:188], v[2:3], v[28:29]
	v_mul_f64_e32 v[28:29], v[4:5], v[28:29]
	v_add_f64_e32 v[183:184], v[183:184], v[175:176]
	v_add_f64_e32 v[169:170], v[169:170], v[177:178]
	ds_load_b128 v[175:178], v1 offset:1728
	v_fma_f64 v[167:168], v[167:168], v[22:23], v[181:182]
	v_fma_f64 v[165:166], v[165:166], v[22:23], -v[24:25]
	scratch_load_b128 v[22:25], off, off offset:928
	v_add_f64_e32 v[181:182], v[183:184], v[185:186]
	v_add_f64_e32 v[169:170], v[169:170], v[179:180]
	v_fma_f64 v[183:184], v[4:5], v[26:27], v[187:188]
	v_fma_f64 v[185:186], v[2:3], v[26:27], -v[28:29]
	ds_load_b128 v[2:5], v1 offset:1744
	s_wait_loadcnt_dscnt 0x801
	v_mul_f64_e32 v[179:180], v[175:176], v[32:33]
	v_mul_f64_e32 v[32:33], v[177:178], v[32:33]
	scratch_load_b128 v[26:29], off, off offset:944
	s_wait_loadcnt_dscnt 0x800
	v_mul_f64_e32 v[187:188], v[2:3], v[36:37]
	v_mul_f64_e32 v[36:37], v[4:5], v[36:37]
	v_add_f64_e32 v[181:182], v[181:182], v[165:166]
	v_add_f64_e32 v[169:170], v[169:170], v[167:168]
	ds_load_b128 v[165:168], v1 offset:1760
	v_fma_f64 v[177:178], v[177:178], v[30:31], v[179:180]
	v_fma_f64 v[30:31], v[175:176], v[30:31], -v[32:33]
	v_fma_f64 v[179:180], v[4:5], v[34:35], v[187:188]
	v_fma_f64 v[34:35], v[2:3], v[34:35], -v[36:37]
	v_add_f64_e32 v[32:33], v[181:182], v[185:186]
	v_add_f64_e32 v[169:170], v[169:170], v[183:184]
	s_wait_loadcnt_dscnt 0x700
	v_mul_f64_e32 v[175:176], v[165:166], v[173:174]
	v_mul_f64_e32 v[173:174], v[167:168], v[173:174]
	s_delay_alu instid0(VALU_DEP_4) | instskip(NEXT) | instid1(VALU_DEP_4)
	v_add_f64_e32 v[36:37], v[32:33], v[30:31]
	v_add_f64_e32 v[169:170], v[169:170], v[177:178]
	ds_load_b128 v[2:5], v1 offset:1776
	ds_load_b128 v[30:33], v1 offset:1792
	v_fma_f64 v[167:168], v[167:168], v[171:172], v[175:176]
	v_fma_f64 v[165:166], v[165:166], v[171:172], -v[173:174]
	s_wait_loadcnt_dscnt 0x601
	v_mul_f64_e32 v[177:178], v[2:3], v[40:41]
	v_mul_f64_e32 v[40:41], v[4:5], v[40:41]
	v_add_f64_e32 v[34:35], v[36:37], v[34:35]
	v_add_f64_e32 v[36:37], v[169:170], v[179:180]
	s_wait_loadcnt_dscnt 0x500
	v_mul_f64_e32 v[169:170], v[30:31], v[8:9]
	v_mul_f64_e32 v[8:9], v[32:33], v[8:9]
	v_fma_f64 v[171:172], v[4:5], v[38:39], v[177:178]
	v_fma_f64 v[38:39], v[2:3], v[38:39], -v[40:41]
	v_add_f64_e32 v[40:41], v[34:35], v[165:166]
	v_add_f64_e32 v[165:166], v[36:37], v[167:168]
	ds_load_b128 v[2:5], v1 offset:1808
	ds_load_b128 v[34:37], v1 offset:1824
	v_fma_f64 v[32:33], v[32:33], v[6:7], v[169:170]
	v_fma_f64 v[6:7], v[30:31], v[6:7], -v[8:9]
	s_wait_loadcnt_dscnt 0x401
	v_mul_f64_e32 v[167:168], v[2:3], v[12:13]
	v_mul_f64_e32 v[12:13], v[4:5], v[12:13]
	v_add_f64_e32 v[8:9], v[40:41], v[38:39]
	v_add_f64_e32 v[30:31], v[165:166], v[171:172]
	s_wait_loadcnt_dscnt 0x300
	v_mul_f64_e32 v[38:39], v[34:35], v[16:17]
	v_mul_f64_e32 v[16:17], v[36:37], v[16:17]
	v_fma_f64 v[40:41], v[4:5], v[10:11], v[167:168]
	v_fma_f64 v[10:11], v[2:3], v[10:11], -v[12:13]
	v_add_f64_e32 v[12:13], v[8:9], v[6:7]
	v_add_f64_e32 v[30:31], v[30:31], v[32:33]
	ds_load_b128 v[2:5], v1 offset:1840
	ds_load_b128 v[6:9], v1 offset:1856
	v_fma_f64 v[36:37], v[36:37], v[14:15], v[38:39]
	v_fma_f64 v[14:15], v[34:35], v[14:15], -v[16:17]
	s_wait_loadcnt_dscnt 0x201
	v_mul_f64_e32 v[32:33], v[2:3], v[20:21]
	v_mul_f64_e32 v[20:21], v[4:5], v[20:21]
	s_wait_loadcnt_dscnt 0x100
	v_mul_f64_e32 v[16:17], v[6:7], v[24:25]
	v_mul_f64_e32 v[24:25], v[8:9], v[24:25]
	v_add_f64_e32 v[10:11], v[12:13], v[10:11]
	v_add_f64_e32 v[12:13], v[30:31], v[40:41]
	v_fma_f64 v[30:31], v[4:5], v[18:19], v[32:33]
	v_fma_f64 v[18:19], v[2:3], v[18:19], -v[20:21]
	ds_load_b128 v[2:5], v1 offset:1872
	v_fma_f64 v[8:9], v[8:9], v[22:23], v[16:17]
	v_fma_f64 v[6:7], v[6:7], v[22:23], -v[24:25]
	v_add_f64_e32 v[10:11], v[10:11], v[14:15]
	v_add_f64_e32 v[12:13], v[12:13], v[36:37]
	s_wait_loadcnt_dscnt 0x0
	v_mul_f64_e32 v[14:15], v[2:3], v[28:29]
	v_mul_f64_e32 v[20:21], v[4:5], v[28:29]
	s_delay_alu instid0(VALU_DEP_4) | instskip(NEXT) | instid1(VALU_DEP_4)
	v_add_f64_e32 v[10:11], v[10:11], v[18:19]
	v_add_f64_e32 v[12:13], v[12:13], v[30:31]
	s_delay_alu instid0(VALU_DEP_4) | instskip(NEXT) | instid1(VALU_DEP_4)
	v_fma_f64 v[4:5], v[4:5], v[26:27], v[14:15]
	v_fma_f64 v[2:3], v[2:3], v[26:27], -v[20:21]
	s_delay_alu instid0(VALU_DEP_4) | instskip(NEXT) | instid1(VALU_DEP_4)
	v_add_f64_e32 v[6:7], v[10:11], v[6:7]
	v_add_f64_e32 v[8:9], v[12:13], v[8:9]
	s_delay_alu instid0(VALU_DEP_2) | instskip(NEXT) | instid1(VALU_DEP_2)
	v_add_f64_e32 v[2:3], v[6:7], v[2:3]
	v_add_f64_e32 v[4:5], v[8:9], v[4:5]
	s_delay_alu instid0(VALU_DEP_2) | instskip(NEXT) | instid1(VALU_DEP_2)
	v_add_f64_e64 v[2:3], v[42:43], -v[2:3]
	v_add_f64_e64 v[4:5], v[44:45], -v[4:5]
	scratch_store_b128 off, v[2:5], off offset:192
	v_cmpx_lt_u32_e32 10, v0
	s_cbranch_execz .LBB58_347
; %bb.346:
	scratch_load_b128 v[5:8], off, s62
	v_dual_mov_b32 v2, v1 :: v_dual_mov_b32 v3, v1
	v_mov_b32_e32 v4, v1
	scratch_store_b128 off, v[1:4], off offset:176
	s_wait_loadcnt 0x0
	ds_store_b128 v164, v[5:8]
.LBB58_347:
	s_wait_alu 0xfffe
	s_or_b32 exec_lo, exec_lo, s0
	s_wait_storecnt_dscnt 0x0
	s_barrier_signal -1
	s_barrier_wait -1
	global_inv scope:SCOPE_SE
	s_clause 0x8
	scratch_load_b128 v[2:5], off, off offset:192
	scratch_load_b128 v[6:9], off, off offset:208
	;; [unrolled: 1-line block ×9, first 2 shown]
	ds_load_b128 v[42:45], v1 offset:1120
	ds_load_b128 v[38:41], v1 offset:1136
	s_clause 0x1
	scratch_load_b128 v[165:168], off, off offset:176
	scratch_load_b128 v[169:172], off, off offset:336
	s_mov_b32 s0, exec_lo
	s_wait_loadcnt_dscnt 0xa01
	v_mul_f64_e32 v[173:174], v[44:45], v[4:5]
	v_mul_f64_e32 v[4:5], v[42:43], v[4:5]
	s_wait_loadcnt_dscnt 0x900
	v_mul_f64_e32 v[177:178], v[38:39], v[8:9]
	v_mul_f64_e32 v[8:9], v[40:41], v[8:9]
	s_delay_alu instid0(VALU_DEP_4) | instskip(NEXT) | instid1(VALU_DEP_4)
	v_fma_f64 v[179:180], v[42:43], v[2:3], -v[173:174]
	v_fma_f64 v[181:182], v[44:45], v[2:3], v[4:5]
	ds_load_b128 v[2:5], v1 offset:1152
	ds_load_b128 v[173:176], v1 offset:1168
	scratch_load_b128 v[42:45], off, off offset:352
	v_fma_f64 v[40:41], v[40:41], v[6:7], v[177:178]
	v_fma_f64 v[38:39], v[38:39], v[6:7], -v[8:9]
	scratch_load_b128 v[6:9], off, off offset:368
	s_wait_loadcnt_dscnt 0xa01
	v_mul_f64_e32 v[183:184], v[2:3], v[12:13]
	v_mul_f64_e32 v[12:13], v[4:5], v[12:13]
	v_add_f64_e32 v[177:178], 0, v[179:180]
	v_add_f64_e32 v[179:180], 0, v[181:182]
	s_wait_loadcnt_dscnt 0x900
	v_mul_f64_e32 v[181:182], v[173:174], v[16:17]
	v_mul_f64_e32 v[16:17], v[175:176], v[16:17]
	v_fma_f64 v[183:184], v[4:5], v[10:11], v[183:184]
	v_fma_f64 v[185:186], v[2:3], v[10:11], -v[12:13]
	ds_load_b128 v[2:5], v1 offset:1184
	scratch_load_b128 v[10:13], off, off offset:384
	v_add_f64_e32 v[177:178], v[177:178], v[38:39]
	v_add_f64_e32 v[179:180], v[179:180], v[40:41]
	ds_load_b128 v[38:41], v1 offset:1200
	v_fma_f64 v[175:176], v[175:176], v[14:15], v[181:182]
	v_fma_f64 v[173:174], v[173:174], v[14:15], -v[16:17]
	scratch_load_b128 v[14:17], off, off offset:400
	s_wait_loadcnt_dscnt 0xa01
	v_mul_f64_e32 v[187:188], v[2:3], v[20:21]
	v_mul_f64_e32 v[20:21], v[4:5], v[20:21]
	s_wait_loadcnt_dscnt 0x900
	v_mul_f64_e32 v[181:182], v[38:39], v[24:25]
	v_mul_f64_e32 v[24:25], v[40:41], v[24:25]
	v_add_f64_e32 v[177:178], v[177:178], v[185:186]
	v_add_f64_e32 v[179:180], v[179:180], v[183:184]
	v_fma_f64 v[183:184], v[4:5], v[18:19], v[187:188]
	v_fma_f64 v[185:186], v[2:3], v[18:19], -v[20:21]
	ds_load_b128 v[2:5], v1 offset:1216
	scratch_load_b128 v[18:21], off, off offset:416
	v_fma_f64 v[40:41], v[40:41], v[22:23], v[181:182]
	v_fma_f64 v[38:39], v[38:39], v[22:23], -v[24:25]
	scratch_load_b128 v[22:25], off, off offset:432
	v_add_f64_e32 v[177:178], v[177:178], v[173:174]
	v_add_f64_e32 v[179:180], v[179:180], v[175:176]
	ds_load_b128 v[173:176], v1 offset:1232
	s_wait_loadcnt_dscnt 0xa01
	v_mul_f64_e32 v[187:188], v[2:3], v[28:29]
	v_mul_f64_e32 v[28:29], v[4:5], v[28:29]
	s_wait_loadcnt_dscnt 0x900
	v_mul_f64_e32 v[181:182], v[173:174], v[32:33]
	v_mul_f64_e32 v[32:33], v[175:176], v[32:33]
	v_add_f64_e32 v[177:178], v[177:178], v[185:186]
	v_add_f64_e32 v[179:180], v[179:180], v[183:184]
	v_fma_f64 v[183:184], v[4:5], v[26:27], v[187:188]
	v_fma_f64 v[185:186], v[2:3], v[26:27], -v[28:29]
	ds_load_b128 v[2:5], v1 offset:1248
	scratch_load_b128 v[26:29], off, off offset:448
	v_fma_f64 v[175:176], v[175:176], v[30:31], v[181:182]
	v_fma_f64 v[173:174], v[173:174], v[30:31], -v[32:33]
	scratch_load_b128 v[30:33], off, off offset:464
	v_add_f64_e32 v[177:178], v[177:178], v[38:39]
	v_add_f64_e32 v[179:180], v[179:180], v[40:41]
	ds_load_b128 v[38:41], v1 offset:1264
	s_wait_loadcnt_dscnt 0xa01
	v_mul_f64_e32 v[187:188], v[2:3], v[36:37]
	v_mul_f64_e32 v[36:37], v[4:5], v[36:37]
	s_wait_loadcnt_dscnt 0x800
	v_mul_f64_e32 v[181:182], v[38:39], v[171:172]
	v_add_f64_e32 v[177:178], v[177:178], v[185:186]
	v_add_f64_e32 v[179:180], v[179:180], v[183:184]
	v_mul_f64_e32 v[183:184], v[40:41], v[171:172]
	v_fma_f64 v[185:186], v[4:5], v[34:35], v[187:188]
	v_fma_f64 v[187:188], v[2:3], v[34:35], -v[36:37]
	ds_load_b128 v[2:5], v1 offset:1280
	scratch_load_b128 v[34:37], off, off offset:480
	v_fma_f64 v[181:182], v[40:41], v[169:170], v[181:182]
	v_add_f64_e32 v[177:178], v[177:178], v[173:174]
	v_add_f64_e32 v[175:176], v[179:180], v[175:176]
	ds_load_b128 v[171:174], v1 offset:1296
	v_fma_f64 v[169:170], v[38:39], v[169:170], -v[183:184]
	scratch_load_b128 v[38:41], off, off offset:496
	s_wait_loadcnt_dscnt 0x901
	v_mul_f64_e32 v[179:180], v[2:3], v[44:45]
	v_mul_f64_e32 v[44:45], v[4:5], v[44:45]
	s_wait_loadcnt_dscnt 0x800
	v_mul_f64_e32 v[183:184], v[171:172], v[8:9]
	v_mul_f64_e32 v[8:9], v[173:174], v[8:9]
	v_add_f64_e32 v[177:178], v[177:178], v[187:188]
	v_add_f64_e32 v[175:176], v[175:176], v[185:186]
	v_fma_f64 v[179:180], v[4:5], v[42:43], v[179:180]
	v_fma_f64 v[185:186], v[2:3], v[42:43], -v[44:45]
	ds_load_b128 v[2:5], v1 offset:1312
	scratch_load_b128 v[42:45], off, off offset:512
	v_fma_f64 v[173:174], v[173:174], v[6:7], v[183:184]
	v_fma_f64 v[171:172], v[171:172], v[6:7], -v[8:9]
	scratch_load_b128 v[6:9], off, off offset:528
	v_add_f64_e32 v[169:170], v[177:178], v[169:170]
	v_add_f64_e32 v[181:182], v[175:176], v[181:182]
	ds_load_b128 v[175:178], v1 offset:1328
	s_wait_loadcnt_dscnt 0x901
	v_mul_f64_e32 v[187:188], v[2:3], v[12:13]
	v_mul_f64_e32 v[12:13], v[4:5], v[12:13]
	v_add_f64_e32 v[169:170], v[169:170], v[185:186]
	v_add_f64_e32 v[179:180], v[181:182], v[179:180]
	s_wait_loadcnt_dscnt 0x800
	v_mul_f64_e32 v[181:182], v[175:176], v[16:17]
	v_mul_f64_e32 v[16:17], v[177:178], v[16:17]
	v_fma_f64 v[183:184], v[4:5], v[10:11], v[187:188]
	v_fma_f64 v[185:186], v[2:3], v[10:11], -v[12:13]
	ds_load_b128 v[2:5], v1 offset:1344
	scratch_load_b128 v[10:13], off, off offset:544
	v_add_f64_e32 v[187:188], v[169:170], v[171:172]
	v_add_f64_e32 v[173:174], v[179:180], v[173:174]
	ds_load_b128 v[169:172], v1 offset:1360
	s_wait_loadcnt_dscnt 0x801
	v_mul_f64_e32 v[179:180], v[2:3], v[20:21]
	v_mul_f64_e32 v[20:21], v[4:5], v[20:21]
	v_fma_f64 v[177:178], v[177:178], v[14:15], v[181:182]
	v_fma_f64 v[175:176], v[175:176], v[14:15], -v[16:17]
	scratch_load_b128 v[14:17], off, off offset:560
	v_add_f64_e32 v[181:182], v[187:188], v[185:186]
	v_add_f64_e32 v[173:174], v[173:174], v[183:184]
	s_wait_loadcnt_dscnt 0x800
	v_mul_f64_e32 v[183:184], v[169:170], v[24:25]
	v_mul_f64_e32 v[24:25], v[171:172], v[24:25]
	v_fma_f64 v[179:180], v[4:5], v[18:19], v[179:180]
	v_fma_f64 v[185:186], v[2:3], v[18:19], -v[20:21]
	ds_load_b128 v[2:5], v1 offset:1376
	scratch_load_b128 v[18:21], off, off offset:576
	v_add_f64_e32 v[181:182], v[181:182], v[175:176]
	v_add_f64_e32 v[177:178], v[173:174], v[177:178]
	ds_load_b128 v[173:176], v1 offset:1392
	s_wait_loadcnt_dscnt 0x801
	v_mul_f64_e32 v[187:188], v[2:3], v[28:29]
	v_mul_f64_e32 v[28:29], v[4:5], v[28:29]
	v_fma_f64 v[171:172], v[171:172], v[22:23], v[183:184]
	v_fma_f64 v[169:170], v[169:170], v[22:23], -v[24:25]
	scratch_load_b128 v[22:25], off, off offset:592
	v_add_f64_e32 v[181:182], v[181:182], v[185:186]
	v_add_f64_e32 v[177:178], v[177:178], v[179:180]
	s_wait_loadcnt_dscnt 0x800
	v_mul_f64_e32 v[179:180], v[173:174], v[32:33]
	v_mul_f64_e32 v[32:33], v[175:176], v[32:33]
	v_fma_f64 v[183:184], v[4:5], v[26:27], v[187:188]
	v_fma_f64 v[185:186], v[2:3], v[26:27], -v[28:29]
	ds_load_b128 v[2:5], v1 offset:1408
	scratch_load_b128 v[26:29], off, off offset:608
	v_add_f64_e32 v[181:182], v[181:182], v[169:170]
	v_add_f64_e32 v[177:178], v[177:178], v[171:172]
	ds_load_b128 v[169:172], v1 offset:1424
	s_wait_loadcnt_dscnt 0x801
	v_mul_f64_e32 v[187:188], v[2:3], v[36:37]
	v_mul_f64_e32 v[36:37], v[4:5], v[36:37]
	v_fma_f64 v[175:176], v[175:176], v[30:31], v[179:180]
	v_fma_f64 v[173:174], v[173:174], v[30:31], -v[32:33]
	scratch_load_b128 v[30:33], off, off offset:624
	v_add_f64_e32 v[179:180], v[181:182], v[185:186]
	v_add_f64_e32 v[177:178], v[177:178], v[183:184]
	s_wait_loadcnt_dscnt 0x800
	v_mul_f64_e32 v[181:182], v[169:170], v[40:41]
	v_mul_f64_e32 v[40:41], v[171:172], v[40:41]
	v_fma_f64 v[183:184], v[4:5], v[34:35], v[187:188]
	v_fma_f64 v[185:186], v[2:3], v[34:35], -v[36:37]
	ds_load_b128 v[2:5], v1 offset:1440
	scratch_load_b128 v[34:37], off, off offset:640
	v_add_f64_e32 v[179:180], v[179:180], v[173:174]
	v_add_f64_e32 v[177:178], v[177:178], v[175:176]
	ds_load_b128 v[173:176], v1 offset:1456
	s_wait_loadcnt_dscnt 0x801
	v_mul_f64_e32 v[187:188], v[2:3], v[44:45]
	v_mul_f64_e32 v[44:45], v[4:5], v[44:45]
	v_fma_f64 v[171:172], v[171:172], v[38:39], v[181:182]
	v_fma_f64 v[169:170], v[169:170], v[38:39], -v[40:41]
	scratch_load_b128 v[38:41], off, off offset:656
	s_wait_loadcnt_dscnt 0x800
	v_mul_f64_e32 v[181:182], v[173:174], v[8:9]
	v_mul_f64_e32 v[8:9], v[175:176], v[8:9]
	v_add_f64_e32 v[179:180], v[179:180], v[185:186]
	v_add_f64_e32 v[177:178], v[177:178], v[183:184]
	v_fma_f64 v[183:184], v[4:5], v[42:43], v[187:188]
	v_fma_f64 v[185:186], v[2:3], v[42:43], -v[44:45]
	ds_load_b128 v[2:5], v1 offset:1472
	scratch_load_b128 v[42:45], off, off offset:672
	v_fma_f64 v[175:176], v[175:176], v[6:7], v[181:182]
	v_fma_f64 v[173:174], v[173:174], v[6:7], -v[8:9]
	scratch_load_b128 v[6:9], off, off offset:688
	v_add_f64_e32 v[179:180], v[179:180], v[169:170]
	v_add_f64_e32 v[177:178], v[177:178], v[171:172]
	ds_load_b128 v[169:172], v1 offset:1488
	s_wait_loadcnt_dscnt 0x901
	v_mul_f64_e32 v[187:188], v[2:3], v[12:13]
	v_mul_f64_e32 v[12:13], v[4:5], v[12:13]
	s_wait_loadcnt_dscnt 0x800
	v_mul_f64_e32 v[181:182], v[169:170], v[16:17]
	v_mul_f64_e32 v[16:17], v[171:172], v[16:17]
	v_add_f64_e32 v[179:180], v[179:180], v[185:186]
	v_add_f64_e32 v[177:178], v[177:178], v[183:184]
	v_fma_f64 v[183:184], v[4:5], v[10:11], v[187:188]
	v_fma_f64 v[185:186], v[2:3], v[10:11], -v[12:13]
	ds_load_b128 v[2:5], v1 offset:1504
	scratch_load_b128 v[10:13], off, off offset:704
	v_fma_f64 v[171:172], v[171:172], v[14:15], v[181:182]
	v_fma_f64 v[169:170], v[169:170], v[14:15], -v[16:17]
	scratch_load_b128 v[14:17], off, off offset:720
	v_add_f64_e32 v[179:180], v[179:180], v[173:174]
	v_add_f64_e32 v[177:178], v[177:178], v[175:176]
	ds_load_b128 v[173:176], v1 offset:1520
	s_wait_loadcnt_dscnt 0x901
	v_mul_f64_e32 v[187:188], v[2:3], v[20:21]
	v_mul_f64_e32 v[20:21], v[4:5], v[20:21]
	;; [unrolled: 18-line block ×9, first 2 shown]
	s_wait_loadcnt_dscnt 0x800
	v_mul_f64_e32 v[181:182], v[169:170], v[40:41]
	v_mul_f64_e32 v[40:41], v[171:172], v[40:41]
	v_add_f64_e32 v[179:180], v[179:180], v[185:186]
	v_add_f64_e32 v[177:178], v[177:178], v[183:184]
	v_fma_f64 v[183:184], v[4:5], v[34:35], v[187:188]
	v_fma_f64 v[185:186], v[2:3], v[34:35], -v[36:37]
	ds_load_b128 v[2:5], v1 offset:1760
	ds_load_b128 v[34:37], v1 offset:1776
	v_fma_f64 v[171:172], v[171:172], v[38:39], v[181:182]
	v_fma_f64 v[38:39], v[169:170], v[38:39], -v[40:41]
	v_add_f64_e32 v[173:174], v[179:180], v[173:174]
	v_add_f64_e32 v[175:176], v[177:178], v[175:176]
	s_wait_loadcnt_dscnt 0x701
	v_mul_f64_e32 v[177:178], v[2:3], v[44:45]
	v_mul_f64_e32 v[44:45], v[4:5], v[44:45]
	s_delay_alu instid0(VALU_DEP_4) | instskip(NEXT) | instid1(VALU_DEP_4)
	v_add_f64_e32 v[40:41], v[173:174], v[185:186]
	v_add_f64_e32 v[169:170], v[175:176], v[183:184]
	s_wait_loadcnt_dscnt 0x600
	v_mul_f64_e32 v[173:174], v[34:35], v[8:9]
	v_mul_f64_e32 v[8:9], v[36:37], v[8:9]
	v_fma_f64 v[175:176], v[4:5], v[42:43], v[177:178]
	v_fma_f64 v[42:43], v[2:3], v[42:43], -v[44:45]
	v_add_f64_e32 v[44:45], v[40:41], v[38:39]
	v_add_f64_e32 v[169:170], v[169:170], v[171:172]
	ds_load_b128 v[2:5], v1 offset:1792
	ds_load_b128 v[38:41], v1 offset:1808
	v_fma_f64 v[36:37], v[36:37], v[6:7], v[173:174]
	v_fma_f64 v[6:7], v[34:35], v[6:7], -v[8:9]
	s_wait_loadcnt_dscnt 0x501
	v_mul_f64_e32 v[171:172], v[2:3], v[12:13]
	v_mul_f64_e32 v[12:13], v[4:5], v[12:13]
	v_add_f64_e32 v[8:9], v[44:45], v[42:43]
	v_add_f64_e32 v[34:35], v[169:170], v[175:176]
	s_wait_loadcnt_dscnt 0x400
	v_mul_f64_e32 v[42:43], v[38:39], v[16:17]
	v_mul_f64_e32 v[16:17], v[40:41], v[16:17]
	v_fma_f64 v[44:45], v[4:5], v[10:11], v[171:172]
	v_fma_f64 v[10:11], v[2:3], v[10:11], -v[12:13]
	v_add_f64_e32 v[12:13], v[8:9], v[6:7]
	v_add_f64_e32 v[34:35], v[34:35], v[36:37]
	ds_load_b128 v[2:5], v1 offset:1824
	ds_load_b128 v[6:9], v1 offset:1840
	v_fma_f64 v[40:41], v[40:41], v[14:15], v[42:43]
	v_fma_f64 v[14:15], v[38:39], v[14:15], -v[16:17]
	s_wait_loadcnt_dscnt 0x301
	v_mul_f64_e32 v[36:37], v[2:3], v[20:21]
	v_mul_f64_e32 v[20:21], v[4:5], v[20:21]
	s_wait_loadcnt_dscnt 0x200
	v_mul_f64_e32 v[16:17], v[6:7], v[24:25]
	v_mul_f64_e32 v[24:25], v[8:9], v[24:25]
	v_add_f64_e32 v[10:11], v[12:13], v[10:11]
	v_add_f64_e32 v[12:13], v[34:35], v[44:45]
	v_fma_f64 v[34:35], v[4:5], v[18:19], v[36:37]
	v_fma_f64 v[18:19], v[2:3], v[18:19], -v[20:21]
	v_fma_f64 v[8:9], v[8:9], v[22:23], v[16:17]
	v_fma_f64 v[6:7], v[6:7], v[22:23], -v[24:25]
	v_add_f64_e32 v[14:15], v[10:11], v[14:15]
	v_add_f64_e32 v[20:21], v[12:13], v[40:41]
	ds_load_b128 v[2:5], v1 offset:1856
	ds_load_b128 v[10:13], v1 offset:1872
	s_wait_loadcnt_dscnt 0x101
	v_mul_f64_e32 v[36:37], v[2:3], v[28:29]
	v_mul_f64_e32 v[28:29], v[4:5], v[28:29]
	v_add_f64_e32 v[14:15], v[14:15], v[18:19]
	v_add_f64_e32 v[16:17], v[20:21], v[34:35]
	s_wait_loadcnt_dscnt 0x0
	v_mul_f64_e32 v[18:19], v[10:11], v[32:33]
	v_mul_f64_e32 v[20:21], v[12:13], v[32:33]
	v_fma_f64 v[4:5], v[4:5], v[26:27], v[36:37]
	v_fma_f64 v[1:2], v[2:3], v[26:27], -v[28:29]
	v_add_f64_e32 v[6:7], v[14:15], v[6:7]
	v_add_f64_e32 v[8:9], v[16:17], v[8:9]
	v_fma_f64 v[12:13], v[12:13], v[30:31], v[18:19]
	v_fma_f64 v[10:11], v[10:11], v[30:31], -v[20:21]
	s_delay_alu instid0(VALU_DEP_4) | instskip(NEXT) | instid1(VALU_DEP_4)
	v_add_f64_e32 v[1:2], v[6:7], v[1:2]
	v_add_f64_e32 v[3:4], v[8:9], v[4:5]
	s_delay_alu instid0(VALU_DEP_2) | instskip(NEXT) | instid1(VALU_DEP_2)
	v_add_f64_e32 v[1:2], v[1:2], v[10:11]
	v_add_f64_e32 v[3:4], v[3:4], v[12:13]
	s_delay_alu instid0(VALU_DEP_2) | instskip(NEXT) | instid1(VALU_DEP_2)
	v_add_f64_e64 v[1:2], v[165:166], -v[1:2]
	v_add_f64_e64 v[3:4], v[167:168], -v[3:4]
	scratch_store_b128 off, v[1:4], off offset:176
	v_cmpx_lt_u32_e32 9, v0
	s_cbranch_execz .LBB58_349
; %bb.348:
	scratch_load_b128 v[1:4], off, s63
	v_mov_b32_e32 v5, 0
	s_delay_alu instid0(VALU_DEP_1)
	v_dual_mov_b32 v6, v5 :: v_dual_mov_b32 v7, v5
	v_mov_b32_e32 v8, v5
	scratch_store_b128 off, v[5:8], off offset:160
	s_wait_loadcnt 0x0
	ds_store_b128 v164, v[1:4]
.LBB58_349:
	s_wait_alu 0xfffe
	s_or_b32 exec_lo, exec_lo, s0
	s_wait_storecnt_dscnt 0x0
	s_barrier_signal -1
	s_barrier_wait -1
	global_inv scope:SCOPE_SE
	s_clause 0x7
	scratch_load_b128 v[2:5], off, off offset:176
	scratch_load_b128 v[6:9], off, off offset:192
	scratch_load_b128 v[10:13], off, off offset:208
	scratch_load_b128 v[14:17], off, off offset:224
	scratch_load_b128 v[18:21], off, off offset:240
	scratch_load_b128 v[22:25], off, off offset:256
	scratch_load_b128 v[26:29], off, off offset:272
	scratch_load_b128 v[30:33], off, off offset:288
	v_mov_b32_e32 v1, 0
	s_mov_b32 s0, exec_lo
	ds_load_b128 v[38:41], v1 offset:1104
	s_clause 0x1
	scratch_load_b128 v[34:37], off, off offset:304
	scratch_load_b128 v[42:45], off, off offset:160
	ds_load_b128 v[165:168], v1 offset:1120
	scratch_load_b128 v[169:172], off, off offset:320
	s_wait_loadcnt_dscnt 0xa01
	v_mul_f64_e32 v[173:174], v[40:41], v[4:5]
	v_mul_f64_e32 v[4:5], v[38:39], v[4:5]
	s_delay_alu instid0(VALU_DEP_2) | instskip(NEXT) | instid1(VALU_DEP_2)
	v_fma_f64 v[179:180], v[38:39], v[2:3], -v[173:174]
	v_fma_f64 v[181:182], v[40:41], v[2:3], v[4:5]
	ds_load_b128 v[2:5], v1 offset:1136
	s_wait_loadcnt_dscnt 0x901
	v_mul_f64_e32 v[177:178], v[165:166], v[8:9]
	v_mul_f64_e32 v[8:9], v[167:168], v[8:9]
	scratch_load_b128 v[38:41], off, off offset:336
	ds_load_b128 v[173:176], v1 offset:1152
	s_wait_loadcnt_dscnt 0x901
	v_mul_f64_e32 v[183:184], v[2:3], v[12:13]
	v_mul_f64_e32 v[12:13], v[4:5], v[12:13]
	v_fma_f64 v[167:168], v[167:168], v[6:7], v[177:178]
	v_fma_f64 v[165:166], v[165:166], v[6:7], -v[8:9]
	v_add_f64_e32 v[177:178], 0, v[179:180]
	v_add_f64_e32 v[179:180], 0, v[181:182]
	scratch_load_b128 v[6:9], off, off offset:352
	v_fma_f64 v[183:184], v[4:5], v[10:11], v[183:184]
	v_fma_f64 v[185:186], v[2:3], v[10:11], -v[12:13]
	ds_load_b128 v[2:5], v1 offset:1168
	s_wait_loadcnt_dscnt 0x901
	v_mul_f64_e32 v[181:182], v[173:174], v[16:17]
	v_mul_f64_e32 v[16:17], v[175:176], v[16:17]
	scratch_load_b128 v[10:13], off, off offset:368
	v_add_f64_e32 v[177:178], v[177:178], v[165:166]
	v_add_f64_e32 v[179:180], v[179:180], v[167:168]
	s_wait_loadcnt_dscnt 0x900
	v_mul_f64_e32 v[187:188], v[2:3], v[20:21]
	v_mul_f64_e32 v[20:21], v[4:5], v[20:21]
	ds_load_b128 v[165:168], v1 offset:1184
	v_fma_f64 v[175:176], v[175:176], v[14:15], v[181:182]
	v_fma_f64 v[173:174], v[173:174], v[14:15], -v[16:17]
	scratch_load_b128 v[14:17], off, off offset:384
	v_add_f64_e32 v[177:178], v[177:178], v[185:186]
	v_add_f64_e32 v[179:180], v[179:180], v[183:184]
	v_fma_f64 v[183:184], v[4:5], v[18:19], v[187:188]
	v_fma_f64 v[185:186], v[2:3], v[18:19], -v[20:21]
	ds_load_b128 v[2:5], v1 offset:1200
	s_wait_loadcnt_dscnt 0x901
	v_mul_f64_e32 v[181:182], v[165:166], v[24:25]
	v_mul_f64_e32 v[24:25], v[167:168], v[24:25]
	scratch_load_b128 v[18:21], off, off offset:400
	s_wait_loadcnt_dscnt 0x900
	v_mul_f64_e32 v[187:188], v[2:3], v[28:29]
	v_mul_f64_e32 v[28:29], v[4:5], v[28:29]
	v_add_f64_e32 v[177:178], v[177:178], v[173:174]
	v_add_f64_e32 v[179:180], v[179:180], v[175:176]
	ds_load_b128 v[173:176], v1 offset:1216
	v_fma_f64 v[167:168], v[167:168], v[22:23], v[181:182]
	v_fma_f64 v[165:166], v[165:166], v[22:23], -v[24:25]
	scratch_load_b128 v[22:25], off, off offset:416
	v_add_f64_e32 v[177:178], v[177:178], v[185:186]
	v_add_f64_e32 v[179:180], v[179:180], v[183:184]
	v_fma_f64 v[183:184], v[4:5], v[26:27], v[187:188]
	v_fma_f64 v[185:186], v[2:3], v[26:27], -v[28:29]
	ds_load_b128 v[2:5], v1 offset:1232
	s_wait_loadcnt_dscnt 0x901
	v_mul_f64_e32 v[181:182], v[173:174], v[32:33]
	v_mul_f64_e32 v[32:33], v[175:176], v[32:33]
	scratch_load_b128 v[26:29], off, off offset:432
	s_wait_loadcnt_dscnt 0x900
	v_mul_f64_e32 v[187:188], v[2:3], v[36:37]
	v_mul_f64_e32 v[36:37], v[4:5], v[36:37]
	v_add_f64_e32 v[177:178], v[177:178], v[165:166]
	v_add_f64_e32 v[179:180], v[179:180], v[167:168]
	ds_load_b128 v[165:168], v1 offset:1248
	v_fma_f64 v[175:176], v[175:176], v[30:31], v[181:182]
	v_fma_f64 v[173:174], v[173:174], v[30:31], -v[32:33]
	scratch_load_b128 v[30:33], off, off offset:448
	v_add_f64_e32 v[177:178], v[177:178], v[185:186]
	v_add_f64_e32 v[179:180], v[179:180], v[183:184]
	v_fma_f64 v[185:186], v[4:5], v[34:35], v[187:188]
	v_fma_f64 v[187:188], v[2:3], v[34:35], -v[36:37]
	ds_load_b128 v[2:5], v1 offset:1264
	s_wait_loadcnt_dscnt 0x801
	v_mul_f64_e32 v[181:182], v[165:166], v[171:172]
	v_mul_f64_e32 v[183:184], v[167:168], v[171:172]
	scratch_load_b128 v[34:37], off, off offset:464
	v_add_f64_e32 v[177:178], v[177:178], v[173:174]
	v_add_f64_e32 v[175:176], v[179:180], v[175:176]
	ds_load_b128 v[171:174], v1 offset:1280
	v_fma_f64 v[181:182], v[167:168], v[169:170], v[181:182]
	v_fma_f64 v[169:170], v[165:166], v[169:170], -v[183:184]
	scratch_load_b128 v[165:168], off, off offset:480
	s_wait_loadcnt_dscnt 0x901
	v_mul_f64_e32 v[179:180], v[2:3], v[40:41]
	v_mul_f64_e32 v[40:41], v[4:5], v[40:41]
	v_add_f64_e32 v[177:178], v[177:178], v[187:188]
	v_add_f64_e32 v[175:176], v[175:176], v[185:186]
	s_delay_alu instid0(VALU_DEP_4) | instskip(NEXT) | instid1(VALU_DEP_4)
	v_fma_f64 v[179:180], v[4:5], v[38:39], v[179:180]
	v_fma_f64 v[185:186], v[2:3], v[38:39], -v[40:41]
	ds_load_b128 v[2:5], v1 offset:1296
	s_wait_loadcnt_dscnt 0x801
	v_mul_f64_e32 v[183:184], v[171:172], v[8:9]
	v_mul_f64_e32 v[8:9], v[173:174], v[8:9]
	scratch_load_b128 v[38:41], off, off offset:496
	s_wait_loadcnt_dscnt 0x800
	v_mul_f64_e32 v[187:188], v[2:3], v[12:13]
	v_add_f64_e32 v[169:170], v[177:178], v[169:170]
	v_add_f64_e32 v[181:182], v[175:176], v[181:182]
	v_mul_f64_e32 v[12:13], v[4:5], v[12:13]
	ds_load_b128 v[175:178], v1 offset:1312
	v_fma_f64 v[173:174], v[173:174], v[6:7], v[183:184]
	v_fma_f64 v[171:172], v[171:172], v[6:7], -v[8:9]
	scratch_load_b128 v[6:9], off, off offset:512
	v_fma_f64 v[183:184], v[4:5], v[10:11], v[187:188]
	v_add_f64_e32 v[169:170], v[169:170], v[185:186]
	v_add_f64_e32 v[179:180], v[181:182], v[179:180]
	v_fma_f64 v[185:186], v[2:3], v[10:11], -v[12:13]
	ds_load_b128 v[2:5], v1 offset:1328
	s_wait_loadcnt_dscnt 0x801
	v_mul_f64_e32 v[181:182], v[175:176], v[16:17]
	v_mul_f64_e32 v[16:17], v[177:178], v[16:17]
	scratch_load_b128 v[10:13], off, off offset:528
	v_add_f64_e32 v[187:188], v[169:170], v[171:172]
	v_add_f64_e32 v[173:174], v[179:180], v[173:174]
	s_wait_loadcnt_dscnt 0x800
	v_mul_f64_e32 v[179:180], v[2:3], v[20:21]
	v_mul_f64_e32 v[20:21], v[4:5], v[20:21]
	v_fma_f64 v[177:178], v[177:178], v[14:15], v[181:182]
	v_fma_f64 v[175:176], v[175:176], v[14:15], -v[16:17]
	ds_load_b128 v[169:172], v1 offset:1344
	scratch_load_b128 v[14:17], off, off offset:544
	v_add_f64_e32 v[181:182], v[187:188], v[185:186]
	v_add_f64_e32 v[173:174], v[173:174], v[183:184]
	v_fma_f64 v[179:180], v[4:5], v[18:19], v[179:180]
	v_fma_f64 v[185:186], v[2:3], v[18:19], -v[20:21]
	ds_load_b128 v[2:5], v1 offset:1360
	s_wait_loadcnt_dscnt 0x801
	v_mul_f64_e32 v[183:184], v[169:170], v[24:25]
	v_mul_f64_e32 v[24:25], v[171:172], v[24:25]
	scratch_load_b128 v[18:21], off, off offset:560
	s_wait_loadcnt_dscnt 0x800
	v_mul_f64_e32 v[187:188], v[2:3], v[28:29]
	v_mul_f64_e32 v[28:29], v[4:5], v[28:29]
	v_add_f64_e32 v[181:182], v[181:182], v[175:176]
	v_add_f64_e32 v[177:178], v[173:174], v[177:178]
	ds_load_b128 v[173:176], v1 offset:1376
	v_fma_f64 v[171:172], v[171:172], v[22:23], v[183:184]
	v_fma_f64 v[169:170], v[169:170], v[22:23], -v[24:25]
	scratch_load_b128 v[22:25], off, off offset:576
	v_fma_f64 v[183:184], v[4:5], v[26:27], v[187:188]
	v_add_f64_e32 v[181:182], v[181:182], v[185:186]
	v_add_f64_e32 v[177:178], v[177:178], v[179:180]
	v_fma_f64 v[185:186], v[2:3], v[26:27], -v[28:29]
	ds_load_b128 v[2:5], v1 offset:1392
	s_wait_loadcnt_dscnt 0x801
	v_mul_f64_e32 v[179:180], v[173:174], v[32:33]
	v_mul_f64_e32 v[32:33], v[175:176], v[32:33]
	scratch_load_b128 v[26:29], off, off offset:592
	s_wait_loadcnt_dscnt 0x800
	v_mul_f64_e32 v[187:188], v[2:3], v[36:37]
	v_mul_f64_e32 v[36:37], v[4:5], v[36:37]
	v_add_f64_e32 v[181:182], v[181:182], v[169:170]
	v_add_f64_e32 v[177:178], v[177:178], v[171:172]
	ds_load_b128 v[169:172], v1 offset:1408
	v_fma_f64 v[175:176], v[175:176], v[30:31], v[179:180]
	v_fma_f64 v[173:174], v[173:174], v[30:31], -v[32:33]
	scratch_load_b128 v[30:33], off, off offset:608
	v_add_f64_e32 v[179:180], v[181:182], v[185:186]
	v_add_f64_e32 v[177:178], v[177:178], v[183:184]
	v_fma_f64 v[183:184], v[4:5], v[34:35], v[187:188]
	v_fma_f64 v[185:186], v[2:3], v[34:35], -v[36:37]
	ds_load_b128 v[2:5], v1 offset:1424
	s_wait_loadcnt_dscnt 0x801
	v_mul_f64_e32 v[181:182], v[169:170], v[167:168]
	v_mul_f64_e32 v[167:168], v[171:172], v[167:168]
	scratch_load_b128 v[34:37], off, off offset:624
	s_wait_loadcnt_dscnt 0x800
	v_mul_f64_e32 v[187:188], v[2:3], v[40:41]
	v_mul_f64_e32 v[40:41], v[4:5], v[40:41]
	v_add_f64_e32 v[179:180], v[179:180], v[173:174]
	v_add_f64_e32 v[177:178], v[177:178], v[175:176]
	ds_load_b128 v[173:176], v1 offset:1440
	v_fma_f64 v[171:172], v[171:172], v[165:166], v[181:182]
	v_fma_f64 v[169:170], v[169:170], v[165:166], -v[167:168]
	scratch_load_b128 v[165:168], off, off offset:640
	v_add_f64_e32 v[179:180], v[179:180], v[185:186]
	v_add_f64_e32 v[177:178], v[177:178], v[183:184]
	v_fma_f64 v[183:184], v[4:5], v[38:39], v[187:188]
	;; [unrolled: 18-line block ×6, first 2 shown]
	v_fma_f64 v[187:188], v[2:3], v[34:35], -v[36:37]
	ds_load_b128 v[2:5], v1 offset:1584
	s_wait_loadcnt_dscnt 0x801
	v_mul_f64_e32 v[181:182], v[173:174], v[167:168]
	v_mul_f64_e32 v[183:184], v[175:176], v[167:168]
	scratch_load_b128 v[34:37], off, off offset:784
	v_add_f64_e32 v[179:180], v[179:180], v[169:170]
	v_add_f64_e32 v[171:172], v[177:178], v[171:172]
	s_wait_loadcnt_dscnt 0x800
	v_mul_f64_e32 v[177:178], v[2:3], v[40:41]
	v_mul_f64_e32 v[40:41], v[4:5], v[40:41]
	ds_load_b128 v[167:170], v1 offset:1600
	v_fma_f64 v[175:176], v[175:176], v[165:166], v[181:182]
	v_fma_f64 v[165:166], v[173:174], v[165:166], -v[183:184]
	v_add_f64_e32 v[179:180], v[179:180], v[187:188]
	v_add_f64_e32 v[181:182], v[171:172], v[185:186]
	scratch_load_b128 v[171:174], off, off offset:800
	v_fma_f64 v[185:186], v[4:5], v[38:39], v[177:178]
	v_fma_f64 v[187:188], v[2:3], v[38:39], -v[40:41]
	ds_load_b128 v[2:5], v1 offset:1616
	s_wait_loadcnt_dscnt 0x801
	v_mul_f64_e32 v[183:184], v[167:168], v[8:9]
	v_mul_f64_e32 v[8:9], v[169:170], v[8:9]
	scratch_load_b128 v[38:41], off, off offset:816
	v_add_f64_e32 v[165:166], v[179:180], v[165:166]
	v_add_f64_e32 v[179:180], v[181:182], v[175:176]
	s_wait_loadcnt_dscnt 0x800
	v_mul_f64_e32 v[181:182], v[2:3], v[12:13]
	v_mul_f64_e32 v[12:13], v[4:5], v[12:13]
	ds_load_b128 v[175:178], v1 offset:1632
	v_fma_f64 v[169:170], v[169:170], v[6:7], v[183:184]
	v_fma_f64 v[167:168], v[167:168], v[6:7], -v[8:9]
	scratch_load_b128 v[6:9], off, off offset:832
	v_add_f64_e32 v[165:166], v[165:166], v[187:188]
	v_add_f64_e32 v[179:180], v[179:180], v[185:186]
	v_fma_f64 v[181:182], v[4:5], v[10:11], v[181:182]
	v_fma_f64 v[185:186], v[2:3], v[10:11], -v[12:13]
	ds_load_b128 v[2:5], v1 offset:1648
	s_wait_loadcnt_dscnt 0x801
	v_mul_f64_e32 v[183:184], v[175:176], v[16:17]
	v_mul_f64_e32 v[16:17], v[177:178], v[16:17]
	scratch_load_b128 v[10:13], off, off offset:848
	v_add_f64_e32 v[187:188], v[165:166], v[167:168]
	v_add_f64_e32 v[169:170], v[179:180], v[169:170]
	s_wait_loadcnt_dscnt 0x800
	v_mul_f64_e32 v[179:180], v[2:3], v[20:21]
	v_mul_f64_e32 v[20:21], v[4:5], v[20:21]
	ds_load_b128 v[165:168], v1 offset:1664
	v_fma_f64 v[177:178], v[177:178], v[14:15], v[183:184]
	v_fma_f64 v[175:176], v[175:176], v[14:15], -v[16:17]
	scratch_load_b128 v[14:17], off, off offset:864
	v_add_f64_e32 v[183:184], v[187:188], v[185:186]
	v_add_f64_e32 v[169:170], v[169:170], v[181:182]
	v_fma_f64 v[179:180], v[4:5], v[18:19], v[179:180]
	v_fma_f64 v[185:186], v[2:3], v[18:19], -v[20:21]
	ds_load_b128 v[2:5], v1 offset:1680
	s_wait_loadcnt_dscnt 0x801
	v_mul_f64_e32 v[181:182], v[165:166], v[24:25]
	v_mul_f64_e32 v[24:25], v[167:168], v[24:25]
	scratch_load_b128 v[18:21], off, off offset:880
	s_wait_loadcnt_dscnt 0x800
	v_mul_f64_e32 v[187:188], v[2:3], v[28:29]
	v_mul_f64_e32 v[28:29], v[4:5], v[28:29]
	v_add_f64_e32 v[183:184], v[183:184], v[175:176]
	v_add_f64_e32 v[169:170], v[169:170], v[177:178]
	ds_load_b128 v[175:178], v1 offset:1696
	v_fma_f64 v[167:168], v[167:168], v[22:23], v[181:182]
	v_fma_f64 v[165:166], v[165:166], v[22:23], -v[24:25]
	scratch_load_b128 v[22:25], off, off offset:896
	v_add_f64_e32 v[181:182], v[183:184], v[185:186]
	v_add_f64_e32 v[169:170], v[169:170], v[179:180]
	v_fma_f64 v[183:184], v[4:5], v[26:27], v[187:188]
	v_fma_f64 v[185:186], v[2:3], v[26:27], -v[28:29]
	ds_load_b128 v[2:5], v1 offset:1712
	s_wait_loadcnt_dscnt 0x801
	v_mul_f64_e32 v[179:180], v[175:176], v[32:33]
	v_mul_f64_e32 v[32:33], v[177:178], v[32:33]
	scratch_load_b128 v[26:29], off, off offset:912
	s_wait_loadcnt_dscnt 0x800
	v_mul_f64_e32 v[187:188], v[2:3], v[36:37]
	v_mul_f64_e32 v[36:37], v[4:5], v[36:37]
	v_add_f64_e32 v[181:182], v[181:182], v[165:166]
	v_add_f64_e32 v[169:170], v[169:170], v[167:168]
	ds_load_b128 v[165:168], v1 offset:1728
	v_fma_f64 v[177:178], v[177:178], v[30:31], v[179:180]
	v_fma_f64 v[175:176], v[175:176], v[30:31], -v[32:33]
	scratch_load_b128 v[30:33], off, off offset:928
	v_add_f64_e32 v[179:180], v[181:182], v[185:186]
	v_add_f64_e32 v[169:170], v[169:170], v[183:184]
	v_fma_f64 v[185:186], v[4:5], v[34:35], v[187:188]
	v_fma_f64 v[187:188], v[2:3], v[34:35], -v[36:37]
	ds_load_b128 v[2:5], v1 offset:1744
	scratch_load_b128 v[34:37], off, off offset:944
	s_wait_loadcnt_dscnt 0x901
	v_mul_f64_e32 v[181:182], v[165:166], v[173:174]
	v_mul_f64_e32 v[183:184], v[167:168], v[173:174]
	v_add_f64_e32 v[179:180], v[179:180], v[175:176]
	v_add_f64_e32 v[169:170], v[169:170], v[177:178]
	s_wait_loadcnt_dscnt 0x800
	v_mul_f64_e32 v[177:178], v[2:3], v[40:41]
	v_mul_f64_e32 v[40:41], v[4:5], v[40:41]
	ds_load_b128 v[173:176], v1 offset:1760
	v_fma_f64 v[167:168], v[167:168], v[171:172], v[181:182]
	v_fma_f64 v[165:166], v[165:166], v[171:172], -v[183:184]
	v_add_f64_e32 v[171:172], v[179:180], v[187:188]
	v_add_f64_e32 v[169:170], v[169:170], v[185:186]
	s_wait_loadcnt_dscnt 0x700
	v_mul_f64_e32 v[179:180], v[173:174], v[8:9]
	v_mul_f64_e32 v[8:9], v[175:176], v[8:9]
	v_fma_f64 v[177:178], v[4:5], v[38:39], v[177:178]
	v_fma_f64 v[181:182], v[2:3], v[38:39], -v[40:41]
	ds_load_b128 v[2:5], v1 offset:1776
	ds_load_b128 v[38:41], v1 offset:1792
	v_add_f64_e32 v[165:166], v[171:172], v[165:166]
	v_add_f64_e32 v[167:168], v[169:170], v[167:168]
	s_wait_loadcnt_dscnt 0x601
	v_mul_f64_e32 v[169:170], v[2:3], v[12:13]
	v_mul_f64_e32 v[12:13], v[4:5], v[12:13]
	v_fma_f64 v[171:172], v[175:176], v[6:7], v[179:180]
	v_fma_f64 v[6:7], v[173:174], v[6:7], -v[8:9]
	v_add_f64_e32 v[8:9], v[165:166], v[181:182]
	v_add_f64_e32 v[165:166], v[167:168], v[177:178]
	s_wait_loadcnt_dscnt 0x500
	v_mul_f64_e32 v[167:168], v[38:39], v[16:17]
	v_mul_f64_e32 v[16:17], v[40:41], v[16:17]
	v_fma_f64 v[169:170], v[4:5], v[10:11], v[169:170]
	v_fma_f64 v[10:11], v[2:3], v[10:11], -v[12:13]
	v_add_f64_e32 v[12:13], v[8:9], v[6:7]
	v_add_f64_e32 v[165:166], v[165:166], v[171:172]
	ds_load_b128 v[2:5], v1 offset:1808
	ds_load_b128 v[6:9], v1 offset:1824
	v_fma_f64 v[40:41], v[40:41], v[14:15], v[167:168]
	v_fma_f64 v[14:15], v[38:39], v[14:15], -v[16:17]
	s_wait_loadcnt_dscnt 0x401
	v_mul_f64_e32 v[171:172], v[2:3], v[20:21]
	v_mul_f64_e32 v[20:21], v[4:5], v[20:21]
	s_wait_loadcnt_dscnt 0x300
	v_mul_f64_e32 v[16:17], v[6:7], v[24:25]
	v_mul_f64_e32 v[24:25], v[8:9], v[24:25]
	v_add_f64_e32 v[10:11], v[12:13], v[10:11]
	v_add_f64_e32 v[12:13], v[165:166], v[169:170]
	v_fma_f64 v[38:39], v[4:5], v[18:19], v[171:172]
	v_fma_f64 v[18:19], v[2:3], v[18:19], -v[20:21]
	v_fma_f64 v[8:9], v[8:9], v[22:23], v[16:17]
	v_fma_f64 v[6:7], v[6:7], v[22:23], -v[24:25]
	v_add_f64_e32 v[14:15], v[10:11], v[14:15]
	v_add_f64_e32 v[20:21], v[12:13], v[40:41]
	ds_load_b128 v[2:5], v1 offset:1840
	ds_load_b128 v[10:13], v1 offset:1856
	s_wait_loadcnt_dscnt 0x201
	v_mul_f64_e32 v[40:41], v[2:3], v[28:29]
	v_mul_f64_e32 v[28:29], v[4:5], v[28:29]
	v_add_f64_e32 v[14:15], v[14:15], v[18:19]
	v_add_f64_e32 v[16:17], v[20:21], v[38:39]
	s_wait_loadcnt_dscnt 0x100
	v_mul_f64_e32 v[18:19], v[10:11], v[32:33]
	v_mul_f64_e32 v[20:21], v[12:13], v[32:33]
	v_fma_f64 v[22:23], v[4:5], v[26:27], v[40:41]
	v_fma_f64 v[24:25], v[2:3], v[26:27], -v[28:29]
	ds_load_b128 v[2:5], v1 offset:1872
	v_add_f64_e32 v[6:7], v[14:15], v[6:7]
	v_add_f64_e32 v[8:9], v[16:17], v[8:9]
	v_fma_f64 v[12:13], v[12:13], v[30:31], v[18:19]
	v_fma_f64 v[10:11], v[10:11], v[30:31], -v[20:21]
	s_wait_loadcnt_dscnt 0x0
	v_mul_f64_e32 v[14:15], v[2:3], v[36:37]
	v_mul_f64_e32 v[16:17], v[4:5], v[36:37]
	v_add_f64_e32 v[6:7], v[6:7], v[24:25]
	v_add_f64_e32 v[8:9], v[8:9], v[22:23]
	s_delay_alu instid0(VALU_DEP_4) | instskip(NEXT) | instid1(VALU_DEP_4)
	v_fma_f64 v[4:5], v[4:5], v[34:35], v[14:15]
	v_fma_f64 v[2:3], v[2:3], v[34:35], -v[16:17]
	s_delay_alu instid0(VALU_DEP_4) | instskip(NEXT) | instid1(VALU_DEP_4)
	v_add_f64_e32 v[6:7], v[6:7], v[10:11]
	v_add_f64_e32 v[8:9], v[8:9], v[12:13]
	s_delay_alu instid0(VALU_DEP_2) | instskip(NEXT) | instid1(VALU_DEP_2)
	v_add_f64_e32 v[2:3], v[6:7], v[2:3]
	v_add_f64_e32 v[4:5], v[8:9], v[4:5]
	s_delay_alu instid0(VALU_DEP_2) | instskip(NEXT) | instid1(VALU_DEP_2)
	v_add_f64_e64 v[2:3], v[42:43], -v[2:3]
	v_add_f64_e64 v[4:5], v[44:45], -v[4:5]
	scratch_store_b128 off, v[2:5], off offset:160
	v_cmpx_lt_u32_e32 8, v0
	s_cbranch_execz .LBB58_351
; %bb.350:
	scratch_load_b128 v[5:8], off, s64
	v_dual_mov_b32 v2, v1 :: v_dual_mov_b32 v3, v1
	v_mov_b32_e32 v4, v1
	scratch_store_b128 off, v[1:4], off offset:144
	s_wait_loadcnt 0x0
	ds_store_b128 v164, v[5:8]
.LBB58_351:
	s_wait_alu 0xfffe
	s_or_b32 exec_lo, exec_lo, s0
	s_wait_storecnt_dscnt 0x0
	s_barrier_signal -1
	s_barrier_wait -1
	global_inv scope:SCOPE_SE
	s_clause 0x8
	scratch_load_b128 v[2:5], off, off offset:160
	scratch_load_b128 v[6:9], off, off offset:176
	;; [unrolled: 1-line block ×9, first 2 shown]
	ds_load_b128 v[42:45], v1 offset:1088
	ds_load_b128 v[38:41], v1 offset:1104
	s_clause 0x1
	scratch_load_b128 v[165:168], off, off offset:144
	scratch_load_b128 v[169:172], off, off offset:304
	s_mov_b32 s0, exec_lo
	s_wait_loadcnt_dscnt 0xa01
	v_mul_f64_e32 v[173:174], v[44:45], v[4:5]
	v_mul_f64_e32 v[4:5], v[42:43], v[4:5]
	s_wait_loadcnt_dscnt 0x900
	v_mul_f64_e32 v[177:178], v[38:39], v[8:9]
	v_mul_f64_e32 v[8:9], v[40:41], v[8:9]
	s_delay_alu instid0(VALU_DEP_4) | instskip(NEXT) | instid1(VALU_DEP_4)
	v_fma_f64 v[179:180], v[42:43], v[2:3], -v[173:174]
	v_fma_f64 v[181:182], v[44:45], v[2:3], v[4:5]
	ds_load_b128 v[2:5], v1 offset:1120
	ds_load_b128 v[173:176], v1 offset:1136
	scratch_load_b128 v[42:45], off, off offset:320
	v_fma_f64 v[40:41], v[40:41], v[6:7], v[177:178]
	v_fma_f64 v[38:39], v[38:39], v[6:7], -v[8:9]
	scratch_load_b128 v[6:9], off, off offset:336
	s_wait_loadcnt_dscnt 0xa01
	v_mul_f64_e32 v[183:184], v[2:3], v[12:13]
	v_mul_f64_e32 v[12:13], v[4:5], v[12:13]
	v_add_f64_e32 v[177:178], 0, v[179:180]
	v_add_f64_e32 v[179:180], 0, v[181:182]
	s_wait_loadcnt_dscnt 0x900
	v_mul_f64_e32 v[181:182], v[173:174], v[16:17]
	v_mul_f64_e32 v[16:17], v[175:176], v[16:17]
	v_fma_f64 v[183:184], v[4:5], v[10:11], v[183:184]
	v_fma_f64 v[185:186], v[2:3], v[10:11], -v[12:13]
	ds_load_b128 v[2:5], v1 offset:1152
	scratch_load_b128 v[10:13], off, off offset:352
	v_add_f64_e32 v[177:178], v[177:178], v[38:39]
	v_add_f64_e32 v[179:180], v[179:180], v[40:41]
	ds_load_b128 v[38:41], v1 offset:1168
	v_fma_f64 v[175:176], v[175:176], v[14:15], v[181:182]
	v_fma_f64 v[173:174], v[173:174], v[14:15], -v[16:17]
	scratch_load_b128 v[14:17], off, off offset:368
	s_wait_loadcnt_dscnt 0xa01
	v_mul_f64_e32 v[187:188], v[2:3], v[20:21]
	v_mul_f64_e32 v[20:21], v[4:5], v[20:21]
	s_wait_loadcnt_dscnt 0x900
	v_mul_f64_e32 v[181:182], v[38:39], v[24:25]
	v_mul_f64_e32 v[24:25], v[40:41], v[24:25]
	v_add_f64_e32 v[177:178], v[177:178], v[185:186]
	v_add_f64_e32 v[179:180], v[179:180], v[183:184]
	v_fma_f64 v[183:184], v[4:5], v[18:19], v[187:188]
	v_fma_f64 v[185:186], v[2:3], v[18:19], -v[20:21]
	ds_load_b128 v[2:5], v1 offset:1184
	scratch_load_b128 v[18:21], off, off offset:384
	v_fma_f64 v[40:41], v[40:41], v[22:23], v[181:182]
	v_fma_f64 v[38:39], v[38:39], v[22:23], -v[24:25]
	scratch_load_b128 v[22:25], off, off offset:400
	v_add_f64_e32 v[177:178], v[177:178], v[173:174]
	v_add_f64_e32 v[179:180], v[179:180], v[175:176]
	ds_load_b128 v[173:176], v1 offset:1200
	s_wait_loadcnt_dscnt 0xa01
	v_mul_f64_e32 v[187:188], v[2:3], v[28:29]
	v_mul_f64_e32 v[28:29], v[4:5], v[28:29]
	s_wait_loadcnt_dscnt 0x900
	v_mul_f64_e32 v[181:182], v[173:174], v[32:33]
	v_mul_f64_e32 v[32:33], v[175:176], v[32:33]
	v_add_f64_e32 v[177:178], v[177:178], v[185:186]
	v_add_f64_e32 v[179:180], v[179:180], v[183:184]
	v_fma_f64 v[183:184], v[4:5], v[26:27], v[187:188]
	v_fma_f64 v[185:186], v[2:3], v[26:27], -v[28:29]
	ds_load_b128 v[2:5], v1 offset:1216
	scratch_load_b128 v[26:29], off, off offset:416
	v_fma_f64 v[175:176], v[175:176], v[30:31], v[181:182]
	v_fma_f64 v[173:174], v[173:174], v[30:31], -v[32:33]
	scratch_load_b128 v[30:33], off, off offset:432
	v_add_f64_e32 v[177:178], v[177:178], v[38:39]
	v_add_f64_e32 v[179:180], v[179:180], v[40:41]
	ds_load_b128 v[38:41], v1 offset:1232
	s_wait_loadcnt_dscnt 0xa01
	v_mul_f64_e32 v[187:188], v[2:3], v[36:37]
	v_mul_f64_e32 v[36:37], v[4:5], v[36:37]
	s_wait_loadcnt_dscnt 0x800
	v_mul_f64_e32 v[181:182], v[38:39], v[171:172]
	v_add_f64_e32 v[177:178], v[177:178], v[185:186]
	v_add_f64_e32 v[179:180], v[179:180], v[183:184]
	v_mul_f64_e32 v[183:184], v[40:41], v[171:172]
	v_fma_f64 v[185:186], v[4:5], v[34:35], v[187:188]
	v_fma_f64 v[187:188], v[2:3], v[34:35], -v[36:37]
	ds_load_b128 v[2:5], v1 offset:1248
	scratch_load_b128 v[34:37], off, off offset:448
	v_fma_f64 v[181:182], v[40:41], v[169:170], v[181:182]
	v_add_f64_e32 v[177:178], v[177:178], v[173:174]
	v_add_f64_e32 v[175:176], v[179:180], v[175:176]
	ds_load_b128 v[171:174], v1 offset:1264
	v_fma_f64 v[169:170], v[38:39], v[169:170], -v[183:184]
	scratch_load_b128 v[38:41], off, off offset:464
	s_wait_loadcnt_dscnt 0x901
	v_mul_f64_e32 v[179:180], v[2:3], v[44:45]
	v_mul_f64_e32 v[44:45], v[4:5], v[44:45]
	s_wait_loadcnt_dscnt 0x800
	v_mul_f64_e32 v[183:184], v[171:172], v[8:9]
	v_mul_f64_e32 v[8:9], v[173:174], v[8:9]
	v_add_f64_e32 v[177:178], v[177:178], v[187:188]
	v_add_f64_e32 v[175:176], v[175:176], v[185:186]
	v_fma_f64 v[179:180], v[4:5], v[42:43], v[179:180]
	v_fma_f64 v[185:186], v[2:3], v[42:43], -v[44:45]
	ds_load_b128 v[2:5], v1 offset:1280
	scratch_load_b128 v[42:45], off, off offset:480
	v_fma_f64 v[173:174], v[173:174], v[6:7], v[183:184]
	v_fma_f64 v[171:172], v[171:172], v[6:7], -v[8:9]
	scratch_load_b128 v[6:9], off, off offset:496
	v_add_f64_e32 v[169:170], v[177:178], v[169:170]
	v_add_f64_e32 v[181:182], v[175:176], v[181:182]
	ds_load_b128 v[175:178], v1 offset:1296
	s_wait_loadcnt_dscnt 0x901
	v_mul_f64_e32 v[187:188], v[2:3], v[12:13]
	v_mul_f64_e32 v[12:13], v[4:5], v[12:13]
	v_add_f64_e32 v[169:170], v[169:170], v[185:186]
	v_add_f64_e32 v[179:180], v[181:182], v[179:180]
	s_wait_loadcnt_dscnt 0x800
	v_mul_f64_e32 v[181:182], v[175:176], v[16:17]
	v_mul_f64_e32 v[16:17], v[177:178], v[16:17]
	v_fma_f64 v[183:184], v[4:5], v[10:11], v[187:188]
	v_fma_f64 v[185:186], v[2:3], v[10:11], -v[12:13]
	ds_load_b128 v[2:5], v1 offset:1312
	scratch_load_b128 v[10:13], off, off offset:512
	v_add_f64_e32 v[187:188], v[169:170], v[171:172]
	v_add_f64_e32 v[173:174], v[179:180], v[173:174]
	ds_load_b128 v[169:172], v1 offset:1328
	s_wait_loadcnt_dscnt 0x801
	v_mul_f64_e32 v[179:180], v[2:3], v[20:21]
	v_mul_f64_e32 v[20:21], v[4:5], v[20:21]
	v_fma_f64 v[177:178], v[177:178], v[14:15], v[181:182]
	v_fma_f64 v[175:176], v[175:176], v[14:15], -v[16:17]
	scratch_load_b128 v[14:17], off, off offset:528
	v_add_f64_e32 v[181:182], v[187:188], v[185:186]
	v_add_f64_e32 v[173:174], v[173:174], v[183:184]
	s_wait_loadcnt_dscnt 0x800
	v_mul_f64_e32 v[183:184], v[169:170], v[24:25]
	v_mul_f64_e32 v[24:25], v[171:172], v[24:25]
	v_fma_f64 v[179:180], v[4:5], v[18:19], v[179:180]
	v_fma_f64 v[185:186], v[2:3], v[18:19], -v[20:21]
	ds_load_b128 v[2:5], v1 offset:1344
	scratch_load_b128 v[18:21], off, off offset:544
	v_add_f64_e32 v[181:182], v[181:182], v[175:176]
	v_add_f64_e32 v[177:178], v[173:174], v[177:178]
	ds_load_b128 v[173:176], v1 offset:1360
	s_wait_loadcnt_dscnt 0x801
	v_mul_f64_e32 v[187:188], v[2:3], v[28:29]
	v_mul_f64_e32 v[28:29], v[4:5], v[28:29]
	v_fma_f64 v[171:172], v[171:172], v[22:23], v[183:184]
	v_fma_f64 v[169:170], v[169:170], v[22:23], -v[24:25]
	scratch_load_b128 v[22:25], off, off offset:560
	;; [unrolled: 18-line block ×4, first 2 shown]
	s_wait_loadcnt_dscnt 0x800
	v_mul_f64_e32 v[181:182], v[173:174], v[8:9]
	v_mul_f64_e32 v[8:9], v[175:176], v[8:9]
	v_add_f64_e32 v[179:180], v[179:180], v[185:186]
	v_add_f64_e32 v[177:178], v[177:178], v[183:184]
	v_fma_f64 v[183:184], v[4:5], v[42:43], v[187:188]
	v_fma_f64 v[185:186], v[2:3], v[42:43], -v[44:45]
	ds_load_b128 v[2:5], v1 offset:1440
	scratch_load_b128 v[42:45], off, off offset:640
	v_fma_f64 v[175:176], v[175:176], v[6:7], v[181:182]
	v_fma_f64 v[173:174], v[173:174], v[6:7], -v[8:9]
	scratch_load_b128 v[6:9], off, off offset:656
	v_add_f64_e32 v[179:180], v[179:180], v[169:170]
	v_add_f64_e32 v[177:178], v[177:178], v[171:172]
	ds_load_b128 v[169:172], v1 offset:1456
	s_wait_loadcnt_dscnt 0x901
	v_mul_f64_e32 v[187:188], v[2:3], v[12:13]
	v_mul_f64_e32 v[12:13], v[4:5], v[12:13]
	s_wait_loadcnt_dscnt 0x800
	v_mul_f64_e32 v[181:182], v[169:170], v[16:17]
	v_mul_f64_e32 v[16:17], v[171:172], v[16:17]
	v_add_f64_e32 v[179:180], v[179:180], v[185:186]
	v_add_f64_e32 v[177:178], v[177:178], v[183:184]
	v_fma_f64 v[183:184], v[4:5], v[10:11], v[187:188]
	v_fma_f64 v[185:186], v[2:3], v[10:11], -v[12:13]
	ds_load_b128 v[2:5], v1 offset:1472
	scratch_load_b128 v[10:13], off, off offset:672
	v_fma_f64 v[171:172], v[171:172], v[14:15], v[181:182]
	v_fma_f64 v[169:170], v[169:170], v[14:15], -v[16:17]
	scratch_load_b128 v[14:17], off, off offset:688
	v_add_f64_e32 v[179:180], v[179:180], v[173:174]
	v_add_f64_e32 v[177:178], v[177:178], v[175:176]
	ds_load_b128 v[173:176], v1 offset:1488
	s_wait_loadcnt_dscnt 0x901
	v_mul_f64_e32 v[187:188], v[2:3], v[20:21]
	v_mul_f64_e32 v[20:21], v[4:5], v[20:21]
	;; [unrolled: 18-line block ×10, first 2 shown]
	s_wait_loadcnt_dscnt 0x800
	v_mul_f64_e32 v[181:182], v[173:174], v[8:9]
	v_mul_f64_e32 v[8:9], v[175:176], v[8:9]
	v_add_f64_e32 v[179:180], v[179:180], v[185:186]
	v_add_f64_e32 v[177:178], v[177:178], v[183:184]
	v_fma_f64 v[183:184], v[4:5], v[42:43], v[187:188]
	v_fma_f64 v[185:186], v[2:3], v[42:43], -v[44:45]
	ds_load_b128 v[2:5], v1 offset:1760
	ds_load_b128 v[42:45], v1 offset:1776
	v_fma_f64 v[175:176], v[175:176], v[6:7], v[181:182]
	v_fma_f64 v[6:7], v[173:174], v[6:7], -v[8:9]
	v_add_f64_e32 v[169:170], v[179:180], v[169:170]
	v_add_f64_e32 v[171:172], v[177:178], v[171:172]
	s_wait_loadcnt_dscnt 0x701
	v_mul_f64_e32 v[177:178], v[2:3], v[12:13]
	v_mul_f64_e32 v[12:13], v[4:5], v[12:13]
	s_delay_alu instid0(VALU_DEP_4) | instskip(NEXT) | instid1(VALU_DEP_4)
	v_add_f64_e32 v[8:9], v[169:170], v[185:186]
	v_add_f64_e32 v[169:170], v[171:172], v[183:184]
	s_wait_loadcnt_dscnt 0x600
	v_mul_f64_e32 v[171:172], v[42:43], v[16:17]
	v_mul_f64_e32 v[16:17], v[44:45], v[16:17]
	v_fma_f64 v[173:174], v[4:5], v[10:11], v[177:178]
	v_fma_f64 v[10:11], v[2:3], v[10:11], -v[12:13]
	v_add_f64_e32 v[12:13], v[8:9], v[6:7]
	v_add_f64_e32 v[169:170], v[169:170], v[175:176]
	ds_load_b128 v[2:5], v1 offset:1792
	ds_load_b128 v[6:9], v1 offset:1808
	v_fma_f64 v[44:45], v[44:45], v[14:15], v[171:172]
	v_fma_f64 v[14:15], v[42:43], v[14:15], -v[16:17]
	s_wait_loadcnt_dscnt 0x501
	v_mul_f64_e32 v[175:176], v[2:3], v[20:21]
	v_mul_f64_e32 v[20:21], v[4:5], v[20:21]
	s_wait_loadcnt_dscnt 0x400
	v_mul_f64_e32 v[16:17], v[6:7], v[24:25]
	v_mul_f64_e32 v[24:25], v[8:9], v[24:25]
	v_add_f64_e32 v[10:11], v[12:13], v[10:11]
	v_add_f64_e32 v[12:13], v[169:170], v[173:174]
	v_fma_f64 v[42:43], v[4:5], v[18:19], v[175:176]
	v_fma_f64 v[18:19], v[2:3], v[18:19], -v[20:21]
	v_fma_f64 v[8:9], v[8:9], v[22:23], v[16:17]
	v_fma_f64 v[6:7], v[6:7], v[22:23], -v[24:25]
	v_add_f64_e32 v[14:15], v[10:11], v[14:15]
	v_add_f64_e32 v[20:21], v[12:13], v[44:45]
	ds_load_b128 v[2:5], v1 offset:1824
	ds_load_b128 v[10:13], v1 offset:1840
	s_wait_loadcnt_dscnt 0x301
	v_mul_f64_e32 v[44:45], v[2:3], v[28:29]
	v_mul_f64_e32 v[28:29], v[4:5], v[28:29]
	v_add_f64_e32 v[14:15], v[14:15], v[18:19]
	v_add_f64_e32 v[16:17], v[20:21], v[42:43]
	s_wait_loadcnt_dscnt 0x200
	v_mul_f64_e32 v[18:19], v[10:11], v[32:33]
	v_mul_f64_e32 v[20:21], v[12:13], v[32:33]
	v_fma_f64 v[22:23], v[4:5], v[26:27], v[44:45]
	v_fma_f64 v[24:25], v[2:3], v[26:27], -v[28:29]
	v_add_f64_e32 v[14:15], v[14:15], v[6:7]
	v_add_f64_e32 v[16:17], v[16:17], v[8:9]
	ds_load_b128 v[2:5], v1 offset:1856
	ds_load_b128 v[6:9], v1 offset:1872
	v_fma_f64 v[12:13], v[12:13], v[30:31], v[18:19]
	v_fma_f64 v[10:11], v[10:11], v[30:31], -v[20:21]
	s_wait_loadcnt_dscnt 0x101
	v_mul_f64_e32 v[26:27], v[2:3], v[36:37]
	v_mul_f64_e32 v[28:29], v[4:5], v[36:37]
	s_wait_loadcnt_dscnt 0x0
	v_mul_f64_e32 v[18:19], v[6:7], v[40:41]
	v_mul_f64_e32 v[20:21], v[8:9], v[40:41]
	v_add_f64_e32 v[14:15], v[14:15], v[24:25]
	v_add_f64_e32 v[16:17], v[16:17], v[22:23]
	v_fma_f64 v[4:5], v[4:5], v[34:35], v[26:27]
	v_fma_f64 v[1:2], v[2:3], v[34:35], -v[28:29]
	v_fma_f64 v[8:9], v[8:9], v[38:39], v[18:19]
	v_fma_f64 v[6:7], v[6:7], v[38:39], -v[20:21]
	v_add_f64_e32 v[10:11], v[14:15], v[10:11]
	v_add_f64_e32 v[12:13], v[16:17], v[12:13]
	s_delay_alu instid0(VALU_DEP_2) | instskip(NEXT) | instid1(VALU_DEP_2)
	v_add_f64_e32 v[1:2], v[10:11], v[1:2]
	v_add_f64_e32 v[3:4], v[12:13], v[4:5]
	s_delay_alu instid0(VALU_DEP_2) | instskip(NEXT) | instid1(VALU_DEP_2)
	;; [unrolled: 3-line block ×3, first 2 shown]
	v_add_f64_e64 v[1:2], v[165:166], -v[1:2]
	v_add_f64_e64 v[3:4], v[167:168], -v[3:4]
	scratch_store_b128 off, v[1:4], off offset:144
	v_cmpx_lt_u32_e32 7, v0
	s_cbranch_execz .LBB58_353
; %bb.352:
	scratch_load_b128 v[1:4], off, s65
	v_mov_b32_e32 v5, 0
	s_delay_alu instid0(VALU_DEP_1)
	v_dual_mov_b32 v6, v5 :: v_dual_mov_b32 v7, v5
	v_mov_b32_e32 v8, v5
	scratch_store_b128 off, v[5:8], off offset:128
	s_wait_loadcnt 0x0
	ds_store_b128 v164, v[1:4]
.LBB58_353:
	s_wait_alu 0xfffe
	s_or_b32 exec_lo, exec_lo, s0
	s_wait_storecnt_dscnt 0x0
	s_barrier_signal -1
	s_barrier_wait -1
	global_inv scope:SCOPE_SE
	s_clause 0x7
	scratch_load_b128 v[2:5], off, off offset:144
	scratch_load_b128 v[6:9], off, off offset:160
	;; [unrolled: 1-line block ×8, first 2 shown]
	v_mov_b32_e32 v1, 0
	s_mov_b32 s0, exec_lo
	ds_load_b128 v[38:41], v1 offset:1072
	s_clause 0x1
	scratch_load_b128 v[34:37], off, off offset:272
	scratch_load_b128 v[42:45], off, off offset:128
	ds_load_b128 v[165:168], v1 offset:1088
	scratch_load_b128 v[169:172], off, off offset:288
	s_wait_loadcnt_dscnt 0xa01
	v_mul_f64_e32 v[173:174], v[40:41], v[4:5]
	v_mul_f64_e32 v[4:5], v[38:39], v[4:5]
	s_delay_alu instid0(VALU_DEP_2) | instskip(NEXT) | instid1(VALU_DEP_2)
	v_fma_f64 v[179:180], v[38:39], v[2:3], -v[173:174]
	v_fma_f64 v[181:182], v[40:41], v[2:3], v[4:5]
	ds_load_b128 v[2:5], v1 offset:1104
	s_wait_loadcnt_dscnt 0x901
	v_mul_f64_e32 v[177:178], v[165:166], v[8:9]
	v_mul_f64_e32 v[8:9], v[167:168], v[8:9]
	scratch_load_b128 v[38:41], off, off offset:304
	ds_load_b128 v[173:176], v1 offset:1120
	s_wait_loadcnt_dscnt 0x901
	v_mul_f64_e32 v[183:184], v[2:3], v[12:13]
	v_mul_f64_e32 v[12:13], v[4:5], v[12:13]
	v_fma_f64 v[167:168], v[167:168], v[6:7], v[177:178]
	v_fma_f64 v[165:166], v[165:166], v[6:7], -v[8:9]
	v_add_f64_e32 v[177:178], 0, v[179:180]
	v_add_f64_e32 v[179:180], 0, v[181:182]
	scratch_load_b128 v[6:9], off, off offset:320
	v_fma_f64 v[183:184], v[4:5], v[10:11], v[183:184]
	v_fma_f64 v[185:186], v[2:3], v[10:11], -v[12:13]
	ds_load_b128 v[2:5], v1 offset:1136
	s_wait_loadcnt_dscnt 0x901
	v_mul_f64_e32 v[181:182], v[173:174], v[16:17]
	v_mul_f64_e32 v[16:17], v[175:176], v[16:17]
	scratch_load_b128 v[10:13], off, off offset:336
	v_add_f64_e32 v[177:178], v[177:178], v[165:166]
	v_add_f64_e32 v[179:180], v[179:180], v[167:168]
	s_wait_loadcnt_dscnt 0x900
	v_mul_f64_e32 v[187:188], v[2:3], v[20:21]
	v_mul_f64_e32 v[20:21], v[4:5], v[20:21]
	ds_load_b128 v[165:168], v1 offset:1152
	v_fma_f64 v[175:176], v[175:176], v[14:15], v[181:182]
	v_fma_f64 v[173:174], v[173:174], v[14:15], -v[16:17]
	scratch_load_b128 v[14:17], off, off offset:352
	v_add_f64_e32 v[177:178], v[177:178], v[185:186]
	v_add_f64_e32 v[179:180], v[179:180], v[183:184]
	v_fma_f64 v[183:184], v[4:5], v[18:19], v[187:188]
	v_fma_f64 v[185:186], v[2:3], v[18:19], -v[20:21]
	ds_load_b128 v[2:5], v1 offset:1168
	s_wait_loadcnt_dscnt 0x901
	v_mul_f64_e32 v[181:182], v[165:166], v[24:25]
	v_mul_f64_e32 v[24:25], v[167:168], v[24:25]
	scratch_load_b128 v[18:21], off, off offset:368
	s_wait_loadcnt_dscnt 0x900
	v_mul_f64_e32 v[187:188], v[2:3], v[28:29]
	v_mul_f64_e32 v[28:29], v[4:5], v[28:29]
	v_add_f64_e32 v[177:178], v[177:178], v[173:174]
	v_add_f64_e32 v[179:180], v[179:180], v[175:176]
	ds_load_b128 v[173:176], v1 offset:1184
	v_fma_f64 v[167:168], v[167:168], v[22:23], v[181:182]
	v_fma_f64 v[165:166], v[165:166], v[22:23], -v[24:25]
	scratch_load_b128 v[22:25], off, off offset:384
	v_add_f64_e32 v[177:178], v[177:178], v[185:186]
	v_add_f64_e32 v[179:180], v[179:180], v[183:184]
	v_fma_f64 v[183:184], v[4:5], v[26:27], v[187:188]
	v_fma_f64 v[185:186], v[2:3], v[26:27], -v[28:29]
	ds_load_b128 v[2:5], v1 offset:1200
	s_wait_loadcnt_dscnt 0x901
	v_mul_f64_e32 v[181:182], v[173:174], v[32:33]
	v_mul_f64_e32 v[32:33], v[175:176], v[32:33]
	scratch_load_b128 v[26:29], off, off offset:400
	s_wait_loadcnt_dscnt 0x900
	v_mul_f64_e32 v[187:188], v[2:3], v[36:37]
	v_mul_f64_e32 v[36:37], v[4:5], v[36:37]
	v_add_f64_e32 v[177:178], v[177:178], v[165:166]
	v_add_f64_e32 v[179:180], v[179:180], v[167:168]
	ds_load_b128 v[165:168], v1 offset:1216
	v_fma_f64 v[175:176], v[175:176], v[30:31], v[181:182]
	v_fma_f64 v[173:174], v[173:174], v[30:31], -v[32:33]
	scratch_load_b128 v[30:33], off, off offset:416
	v_add_f64_e32 v[177:178], v[177:178], v[185:186]
	v_add_f64_e32 v[179:180], v[179:180], v[183:184]
	v_fma_f64 v[185:186], v[4:5], v[34:35], v[187:188]
	v_fma_f64 v[187:188], v[2:3], v[34:35], -v[36:37]
	ds_load_b128 v[2:5], v1 offset:1232
	s_wait_loadcnt_dscnt 0x801
	v_mul_f64_e32 v[181:182], v[165:166], v[171:172]
	v_mul_f64_e32 v[183:184], v[167:168], v[171:172]
	scratch_load_b128 v[34:37], off, off offset:432
	v_add_f64_e32 v[177:178], v[177:178], v[173:174]
	v_add_f64_e32 v[175:176], v[179:180], v[175:176]
	ds_load_b128 v[171:174], v1 offset:1248
	v_fma_f64 v[181:182], v[167:168], v[169:170], v[181:182]
	v_fma_f64 v[169:170], v[165:166], v[169:170], -v[183:184]
	scratch_load_b128 v[165:168], off, off offset:448
	s_wait_loadcnt_dscnt 0x901
	v_mul_f64_e32 v[179:180], v[2:3], v[40:41]
	v_mul_f64_e32 v[40:41], v[4:5], v[40:41]
	v_add_f64_e32 v[177:178], v[177:178], v[187:188]
	v_add_f64_e32 v[175:176], v[175:176], v[185:186]
	s_delay_alu instid0(VALU_DEP_4) | instskip(NEXT) | instid1(VALU_DEP_4)
	v_fma_f64 v[179:180], v[4:5], v[38:39], v[179:180]
	v_fma_f64 v[185:186], v[2:3], v[38:39], -v[40:41]
	ds_load_b128 v[2:5], v1 offset:1264
	s_wait_loadcnt_dscnt 0x801
	v_mul_f64_e32 v[183:184], v[171:172], v[8:9]
	v_mul_f64_e32 v[8:9], v[173:174], v[8:9]
	scratch_load_b128 v[38:41], off, off offset:464
	s_wait_loadcnt_dscnt 0x800
	v_mul_f64_e32 v[187:188], v[2:3], v[12:13]
	v_add_f64_e32 v[169:170], v[177:178], v[169:170]
	v_add_f64_e32 v[181:182], v[175:176], v[181:182]
	v_mul_f64_e32 v[12:13], v[4:5], v[12:13]
	ds_load_b128 v[175:178], v1 offset:1280
	v_fma_f64 v[173:174], v[173:174], v[6:7], v[183:184]
	v_fma_f64 v[171:172], v[171:172], v[6:7], -v[8:9]
	scratch_load_b128 v[6:9], off, off offset:480
	v_fma_f64 v[183:184], v[4:5], v[10:11], v[187:188]
	v_add_f64_e32 v[169:170], v[169:170], v[185:186]
	v_add_f64_e32 v[179:180], v[181:182], v[179:180]
	v_fma_f64 v[185:186], v[2:3], v[10:11], -v[12:13]
	ds_load_b128 v[2:5], v1 offset:1296
	s_wait_loadcnt_dscnt 0x801
	v_mul_f64_e32 v[181:182], v[175:176], v[16:17]
	v_mul_f64_e32 v[16:17], v[177:178], v[16:17]
	scratch_load_b128 v[10:13], off, off offset:496
	v_add_f64_e32 v[187:188], v[169:170], v[171:172]
	v_add_f64_e32 v[173:174], v[179:180], v[173:174]
	s_wait_loadcnt_dscnt 0x800
	v_mul_f64_e32 v[179:180], v[2:3], v[20:21]
	v_mul_f64_e32 v[20:21], v[4:5], v[20:21]
	v_fma_f64 v[177:178], v[177:178], v[14:15], v[181:182]
	v_fma_f64 v[175:176], v[175:176], v[14:15], -v[16:17]
	ds_load_b128 v[169:172], v1 offset:1312
	scratch_load_b128 v[14:17], off, off offset:512
	v_add_f64_e32 v[181:182], v[187:188], v[185:186]
	v_add_f64_e32 v[173:174], v[173:174], v[183:184]
	v_fma_f64 v[179:180], v[4:5], v[18:19], v[179:180]
	v_fma_f64 v[185:186], v[2:3], v[18:19], -v[20:21]
	ds_load_b128 v[2:5], v1 offset:1328
	s_wait_loadcnt_dscnt 0x801
	v_mul_f64_e32 v[183:184], v[169:170], v[24:25]
	v_mul_f64_e32 v[24:25], v[171:172], v[24:25]
	scratch_load_b128 v[18:21], off, off offset:528
	s_wait_loadcnt_dscnt 0x800
	v_mul_f64_e32 v[187:188], v[2:3], v[28:29]
	v_mul_f64_e32 v[28:29], v[4:5], v[28:29]
	v_add_f64_e32 v[181:182], v[181:182], v[175:176]
	v_add_f64_e32 v[177:178], v[173:174], v[177:178]
	ds_load_b128 v[173:176], v1 offset:1344
	v_fma_f64 v[171:172], v[171:172], v[22:23], v[183:184]
	v_fma_f64 v[169:170], v[169:170], v[22:23], -v[24:25]
	scratch_load_b128 v[22:25], off, off offset:544
	v_fma_f64 v[183:184], v[4:5], v[26:27], v[187:188]
	v_add_f64_e32 v[181:182], v[181:182], v[185:186]
	v_add_f64_e32 v[177:178], v[177:178], v[179:180]
	v_fma_f64 v[185:186], v[2:3], v[26:27], -v[28:29]
	ds_load_b128 v[2:5], v1 offset:1360
	s_wait_loadcnt_dscnt 0x801
	v_mul_f64_e32 v[179:180], v[173:174], v[32:33]
	v_mul_f64_e32 v[32:33], v[175:176], v[32:33]
	scratch_load_b128 v[26:29], off, off offset:560
	s_wait_loadcnt_dscnt 0x800
	v_mul_f64_e32 v[187:188], v[2:3], v[36:37]
	v_mul_f64_e32 v[36:37], v[4:5], v[36:37]
	v_add_f64_e32 v[181:182], v[181:182], v[169:170]
	v_add_f64_e32 v[177:178], v[177:178], v[171:172]
	ds_load_b128 v[169:172], v1 offset:1376
	v_fma_f64 v[175:176], v[175:176], v[30:31], v[179:180]
	v_fma_f64 v[173:174], v[173:174], v[30:31], -v[32:33]
	scratch_load_b128 v[30:33], off, off offset:576
	v_add_f64_e32 v[179:180], v[181:182], v[185:186]
	v_add_f64_e32 v[177:178], v[177:178], v[183:184]
	v_fma_f64 v[183:184], v[4:5], v[34:35], v[187:188]
	v_fma_f64 v[185:186], v[2:3], v[34:35], -v[36:37]
	ds_load_b128 v[2:5], v1 offset:1392
	s_wait_loadcnt_dscnt 0x801
	v_mul_f64_e32 v[181:182], v[169:170], v[167:168]
	v_mul_f64_e32 v[167:168], v[171:172], v[167:168]
	scratch_load_b128 v[34:37], off, off offset:592
	s_wait_loadcnt_dscnt 0x800
	v_mul_f64_e32 v[187:188], v[2:3], v[40:41]
	v_mul_f64_e32 v[40:41], v[4:5], v[40:41]
	v_add_f64_e32 v[179:180], v[179:180], v[173:174]
	v_add_f64_e32 v[177:178], v[177:178], v[175:176]
	ds_load_b128 v[173:176], v1 offset:1408
	v_fma_f64 v[171:172], v[171:172], v[165:166], v[181:182]
	v_fma_f64 v[169:170], v[169:170], v[165:166], -v[167:168]
	scratch_load_b128 v[165:168], off, off offset:608
	v_add_f64_e32 v[179:180], v[179:180], v[185:186]
	v_add_f64_e32 v[177:178], v[177:178], v[183:184]
	v_fma_f64 v[183:184], v[4:5], v[38:39], v[187:188]
	;; [unrolled: 18-line block ×6, first 2 shown]
	v_fma_f64 v[187:188], v[2:3], v[34:35], -v[36:37]
	ds_load_b128 v[2:5], v1 offset:1552
	s_wait_loadcnt_dscnt 0x801
	v_mul_f64_e32 v[181:182], v[173:174], v[167:168]
	v_mul_f64_e32 v[183:184], v[175:176], v[167:168]
	scratch_load_b128 v[34:37], off, off offset:752
	v_add_f64_e32 v[179:180], v[179:180], v[169:170]
	v_add_f64_e32 v[171:172], v[177:178], v[171:172]
	s_wait_loadcnt_dscnt 0x800
	v_mul_f64_e32 v[177:178], v[2:3], v[40:41]
	v_mul_f64_e32 v[40:41], v[4:5], v[40:41]
	ds_load_b128 v[167:170], v1 offset:1568
	v_fma_f64 v[175:176], v[175:176], v[165:166], v[181:182]
	v_fma_f64 v[165:166], v[173:174], v[165:166], -v[183:184]
	v_add_f64_e32 v[179:180], v[179:180], v[187:188]
	v_add_f64_e32 v[181:182], v[171:172], v[185:186]
	scratch_load_b128 v[171:174], off, off offset:768
	v_fma_f64 v[185:186], v[4:5], v[38:39], v[177:178]
	v_fma_f64 v[187:188], v[2:3], v[38:39], -v[40:41]
	ds_load_b128 v[2:5], v1 offset:1584
	s_wait_loadcnt_dscnt 0x801
	v_mul_f64_e32 v[183:184], v[167:168], v[8:9]
	v_mul_f64_e32 v[8:9], v[169:170], v[8:9]
	scratch_load_b128 v[38:41], off, off offset:784
	v_add_f64_e32 v[165:166], v[179:180], v[165:166]
	v_add_f64_e32 v[179:180], v[181:182], v[175:176]
	s_wait_loadcnt_dscnt 0x800
	v_mul_f64_e32 v[181:182], v[2:3], v[12:13]
	v_mul_f64_e32 v[12:13], v[4:5], v[12:13]
	ds_load_b128 v[175:178], v1 offset:1600
	v_fma_f64 v[169:170], v[169:170], v[6:7], v[183:184]
	v_fma_f64 v[167:168], v[167:168], v[6:7], -v[8:9]
	scratch_load_b128 v[6:9], off, off offset:800
	v_add_f64_e32 v[165:166], v[165:166], v[187:188]
	v_add_f64_e32 v[179:180], v[179:180], v[185:186]
	v_fma_f64 v[181:182], v[4:5], v[10:11], v[181:182]
	v_fma_f64 v[185:186], v[2:3], v[10:11], -v[12:13]
	ds_load_b128 v[2:5], v1 offset:1616
	s_wait_loadcnt_dscnt 0x801
	v_mul_f64_e32 v[183:184], v[175:176], v[16:17]
	v_mul_f64_e32 v[16:17], v[177:178], v[16:17]
	scratch_load_b128 v[10:13], off, off offset:816
	v_add_f64_e32 v[187:188], v[165:166], v[167:168]
	v_add_f64_e32 v[169:170], v[179:180], v[169:170]
	s_wait_loadcnt_dscnt 0x800
	v_mul_f64_e32 v[179:180], v[2:3], v[20:21]
	v_mul_f64_e32 v[20:21], v[4:5], v[20:21]
	ds_load_b128 v[165:168], v1 offset:1632
	v_fma_f64 v[177:178], v[177:178], v[14:15], v[183:184]
	v_fma_f64 v[175:176], v[175:176], v[14:15], -v[16:17]
	scratch_load_b128 v[14:17], off, off offset:832
	v_add_f64_e32 v[183:184], v[187:188], v[185:186]
	v_add_f64_e32 v[169:170], v[169:170], v[181:182]
	v_fma_f64 v[179:180], v[4:5], v[18:19], v[179:180]
	v_fma_f64 v[185:186], v[2:3], v[18:19], -v[20:21]
	ds_load_b128 v[2:5], v1 offset:1648
	s_wait_loadcnt_dscnt 0x801
	v_mul_f64_e32 v[181:182], v[165:166], v[24:25]
	v_mul_f64_e32 v[24:25], v[167:168], v[24:25]
	scratch_load_b128 v[18:21], off, off offset:848
	s_wait_loadcnt_dscnt 0x800
	v_mul_f64_e32 v[187:188], v[2:3], v[28:29]
	v_mul_f64_e32 v[28:29], v[4:5], v[28:29]
	v_add_f64_e32 v[183:184], v[183:184], v[175:176]
	v_add_f64_e32 v[169:170], v[169:170], v[177:178]
	ds_load_b128 v[175:178], v1 offset:1664
	v_fma_f64 v[167:168], v[167:168], v[22:23], v[181:182]
	v_fma_f64 v[165:166], v[165:166], v[22:23], -v[24:25]
	scratch_load_b128 v[22:25], off, off offset:864
	v_add_f64_e32 v[181:182], v[183:184], v[185:186]
	v_add_f64_e32 v[169:170], v[169:170], v[179:180]
	v_fma_f64 v[183:184], v[4:5], v[26:27], v[187:188]
	v_fma_f64 v[185:186], v[2:3], v[26:27], -v[28:29]
	ds_load_b128 v[2:5], v1 offset:1680
	s_wait_loadcnt_dscnt 0x801
	v_mul_f64_e32 v[179:180], v[175:176], v[32:33]
	v_mul_f64_e32 v[32:33], v[177:178], v[32:33]
	scratch_load_b128 v[26:29], off, off offset:880
	s_wait_loadcnt_dscnt 0x800
	v_mul_f64_e32 v[187:188], v[2:3], v[36:37]
	v_mul_f64_e32 v[36:37], v[4:5], v[36:37]
	v_add_f64_e32 v[181:182], v[181:182], v[165:166]
	v_add_f64_e32 v[169:170], v[169:170], v[167:168]
	ds_load_b128 v[165:168], v1 offset:1696
	v_fma_f64 v[177:178], v[177:178], v[30:31], v[179:180]
	v_fma_f64 v[175:176], v[175:176], v[30:31], -v[32:33]
	scratch_load_b128 v[30:33], off, off offset:896
	v_add_f64_e32 v[179:180], v[181:182], v[185:186]
	v_add_f64_e32 v[169:170], v[169:170], v[183:184]
	v_fma_f64 v[185:186], v[4:5], v[34:35], v[187:188]
	v_fma_f64 v[187:188], v[2:3], v[34:35], -v[36:37]
	ds_load_b128 v[2:5], v1 offset:1712
	scratch_load_b128 v[34:37], off, off offset:912
	s_wait_loadcnt_dscnt 0x901
	v_mul_f64_e32 v[181:182], v[165:166], v[173:174]
	v_mul_f64_e32 v[183:184], v[167:168], v[173:174]
	v_add_f64_e32 v[179:180], v[179:180], v[175:176]
	v_add_f64_e32 v[169:170], v[169:170], v[177:178]
	s_wait_loadcnt_dscnt 0x800
	v_mul_f64_e32 v[177:178], v[2:3], v[40:41]
	v_mul_f64_e32 v[40:41], v[4:5], v[40:41]
	ds_load_b128 v[173:176], v1 offset:1728
	v_fma_f64 v[181:182], v[167:168], v[171:172], v[181:182]
	v_fma_f64 v[171:172], v[165:166], v[171:172], -v[183:184]
	scratch_load_b128 v[165:168], off, off offset:928
	v_add_f64_e32 v[179:180], v[179:180], v[187:188]
	v_add_f64_e32 v[169:170], v[169:170], v[185:186]
	v_fma_f64 v[177:178], v[4:5], v[38:39], v[177:178]
	v_fma_f64 v[185:186], v[2:3], v[38:39], -v[40:41]
	ds_load_b128 v[2:5], v1 offset:1744
	s_wait_loadcnt_dscnt 0x801
	v_mul_f64_e32 v[183:184], v[173:174], v[8:9]
	v_mul_f64_e32 v[8:9], v[175:176], v[8:9]
	scratch_load_b128 v[38:41], off, off offset:944
	s_wait_loadcnt_dscnt 0x800
	v_mul_f64_e32 v[187:188], v[2:3], v[12:13]
	v_mul_f64_e32 v[12:13], v[4:5], v[12:13]
	v_add_f64_e32 v[179:180], v[179:180], v[171:172]
	v_add_f64_e32 v[181:182], v[169:170], v[181:182]
	ds_load_b128 v[169:172], v1 offset:1760
	v_fma_f64 v[175:176], v[175:176], v[6:7], v[183:184]
	v_fma_f64 v[6:7], v[173:174], v[6:7], -v[8:9]
	v_add_f64_e32 v[8:9], v[179:180], v[185:186]
	v_add_f64_e32 v[173:174], v[181:182], v[177:178]
	s_wait_loadcnt_dscnt 0x700
	v_mul_f64_e32 v[177:178], v[169:170], v[16:17]
	v_mul_f64_e32 v[16:17], v[171:172], v[16:17]
	v_fma_f64 v[179:180], v[4:5], v[10:11], v[187:188]
	v_fma_f64 v[10:11], v[2:3], v[10:11], -v[12:13]
	v_add_f64_e32 v[12:13], v[8:9], v[6:7]
	v_add_f64_e32 v[173:174], v[173:174], v[175:176]
	ds_load_b128 v[2:5], v1 offset:1776
	ds_load_b128 v[6:9], v1 offset:1792
	v_fma_f64 v[171:172], v[171:172], v[14:15], v[177:178]
	v_fma_f64 v[14:15], v[169:170], v[14:15], -v[16:17]
	s_wait_loadcnt_dscnt 0x601
	v_mul_f64_e32 v[175:176], v[2:3], v[20:21]
	v_mul_f64_e32 v[20:21], v[4:5], v[20:21]
	s_wait_loadcnt_dscnt 0x500
	v_mul_f64_e32 v[16:17], v[6:7], v[24:25]
	v_mul_f64_e32 v[24:25], v[8:9], v[24:25]
	v_add_f64_e32 v[10:11], v[12:13], v[10:11]
	v_add_f64_e32 v[12:13], v[173:174], v[179:180]
	v_fma_f64 v[169:170], v[4:5], v[18:19], v[175:176]
	v_fma_f64 v[18:19], v[2:3], v[18:19], -v[20:21]
	v_fma_f64 v[8:9], v[8:9], v[22:23], v[16:17]
	v_fma_f64 v[6:7], v[6:7], v[22:23], -v[24:25]
	v_add_f64_e32 v[14:15], v[10:11], v[14:15]
	v_add_f64_e32 v[20:21], v[12:13], v[171:172]
	ds_load_b128 v[2:5], v1 offset:1808
	ds_load_b128 v[10:13], v1 offset:1824
	s_wait_loadcnt_dscnt 0x401
	v_mul_f64_e32 v[171:172], v[2:3], v[28:29]
	v_mul_f64_e32 v[28:29], v[4:5], v[28:29]
	v_add_f64_e32 v[14:15], v[14:15], v[18:19]
	v_add_f64_e32 v[16:17], v[20:21], v[169:170]
	s_wait_loadcnt_dscnt 0x300
	v_mul_f64_e32 v[18:19], v[10:11], v[32:33]
	v_mul_f64_e32 v[20:21], v[12:13], v[32:33]
	v_fma_f64 v[22:23], v[4:5], v[26:27], v[171:172]
	v_fma_f64 v[24:25], v[2:3], v[26:27], -v[28:29]
	v_add_f64_e32 v[14:15], v[14:15], v[6:7]
	v_add_f64_e32 v[16:17], v[16:17], v[8:9]
	ds_load_b128 v[2:5], v1 offset:1840
	ds_load_b128 v[6:9], v1 offset:1856
	v_fma_f64 v[12:13], v[12:13], v[30:31], v[18:19]
	v_fma_f64 v[10:11], v[10:11], v[30:31], -v[20:21]
	s_wait_loadcnt_dscnt 0x201
	v_mul_f64_e32 v[26:27], v[2:3], v[36:37]
	v_mul_f64_e32 v[28:29], v[4:5], v[36:37]
	s_wait_loadcnt_dscnt 0x100
	v_mul_f64_e32 v[18:19], v[6:7], v[167:168]
	v_mul_f64_e32 v[20:21], v[8:9], v[167:168]
	v_add_f64_e32 v[14:15], v[14:15], v[24:25]
	v_add_f64_e32 v[16:17], v[16:17], v[22:23]
	v_fma_f64 v[22:23], v[4:5], v[34:35], v[26:27]
	v_fma_f64 v[24:25], v[2:3], v[34:35], -v[28:29]
	ds_load_b128 v[2:5], v1 offset:1872
	v_fma_f64 v[8:9], v[8:9], v[165:166], v[18:19]
	v_fma_f64 v[6:7], v[6:7], v[165:166], -v[20:21]
	v_add_f64_e32 v[10:11], v[14:15], v[10:11]
	v_add_f64_e32 v[12:13], v[16:17], v[12:13]
	s_wait_loadcnt_dscnt 0x0
	v_mul_f64_e32 v[14:15], v[2:3], v[40:41]
	v_mul_f64_e32 v[16:17], v[4:5], v[40:41]
	s_delay_alu instid0(VALU_DEP_4) | instskip(NEXT) | instid1(VALU_DEP_4)
	v_add_f64_e32 v[10:11], v[10:11], v[24:25]
	v_add_f64_e32 v[12:13], v[12:13], v[22:23]
	s_delay_alu instid0(VALU_DEP_4) | instskip(NEXT) | instid1(VALU_DEP_4)
	v_fma_f64 v[4:5], v[4:5], v[38:39], v[14:15]
	v_fma_f64 v[2:3], v[2:3], v[38:39], -v[16:17]
	s_delay_alu instid0(VALU_DEP_4) | instskip(NEXT) | instid1(VALU_DEP_4)
	v_add_f64_e32 v[6:7], v[10:11], v[6:7]
	v_add_f64_e32 v[8:9], v[12:13], v[8:9]
	s_delay_alu instid0(VALU_DEP_2) | instskip(NEXT) | instid1(VALU_DEP_2)
	v_add_f64_e32 v[2:3], v[6:7], v[2:3]
	v_add_f64_e32 v[4:5], v[8:9], v[4:5]
	s_delay_alu instid0(VALU_DEP_2) | instskip(NEXT) | instid1(VALU_DEP_2)
	v_add_f64_e64 v[2:3], v[42:43], -v[2:3]
	v_add_f64_e64 v[4:5], v[44:45], -v[4:5]
	scratch_store_b128 off, v[2:5], off offset:128
	v_cmpx_lt_u32_e32 6, v0
	s_cbranch_execz .LBB58_355
; %bb.354:
	scratch_load_b128 v[5:8], off, s66
	v_dual_mov_b32 v2, v1 :: v_dual_mov_b32 v3, v1
	v_mov_b32_e32 v4, v1
	scratch_store_b128 off, v[1:4], off offset:112
	s_wait_loadcnt 0x0
	ds_store_b128 v164, v[5:8]
.LBB58_355:
	s_wait_alu 0xfffe
	s_or_b32 exec_lo, exec_lo, s0
	s_wait_storecnt_dscnt 0x0
	s_barrier_signal -1
	s_barrier_wait -1
	global_inv scope:SCOPE_SE
	s_clause 0x8
	scratch_load_b128 v[2:5], off, off offset:128
	scratch_load_b128 v[6:9], off, off offset:144
	;; [unrolled: 1-line block ×9, first 2 shown]
	ds_load_b128 v[42:45], v1 offset:1056
	ds_load_b128 v[38:41], v1 offset:1072
	s_clause 0x1
	scratch_load_b128 v[165:168], off, off offset:112
	scratch_load_b128 v[169:172], off, off offset:272
	s_mov_b32 s0, exec_lo
	s_wait_loadcnt_dscnt 0xa01
	v_mul_f64_e32 v[173:174], v[44:45], v[4:5]
	v_mul_f64_e32 v[4:5], v[42:43], v[4:5]
	s_wait_loadcnt_dscnt 0x900
	v_mul_f64_e32 v[177:178], v[38:39], v[8:9]
	v_mul_f64_e32 v[8:9], v[40:41], v[8:9]
	s_delay_alu instid0(VALU_DEP_4) | instskip(NEXT) | instid1(VALU_DEP_4)
	v_fma_f64 v[179:180], v[42:43], v[2:3], -v[173:174]
	v_fma_f64 v[181:182], v[44:45], v[2:3], v[4:5]
	ds_load_b128 v[2:5], v1 offset:1088
	ds_load_b128 v[173:176], v1 offset:1104
	scratch_load_b128 v[42:45], off, off offset:288
	v_fma_f64 v[40:41], v[40:41], v[6:7], v[177:178]
	v_fma_f64 v[38:39], v[38:39], v[6:7], -v[8:9]
	scratch_load_b128 v[6:9], off, off offset:304
	s_wait_loadcnt_dscnt 0xa01
	v_mul_f64_e32 v[183:184], v[2:3], v[12:13]
	v_mul_f64_e32 v[12:13], v[4:5], v[12:13]
	v_add_f64_e32 v[177:178], 0, v[179:180]
	v_add_f64_e32 v[179:180], 0, v[181:182]
	s_wait_loadcnt_dscnt 0x900
	v_mul_f64_e32 v[181:182], v[173:174], v[16:17]
	v_mul_f64_e32 v[16:17], v[175:176], v[16:17]
	v_fma_f64 v[183:184], v[4:5], v[10:11], v[183:184]
	v_fma_f64 v[185:186], v[2:3], v[10:11], -v[12:13]
	ds_load_b128 v[2:5], v1 offset:1120
	scratch_load_b128 v[10:13], off, off offset:320
	v_add_f64_e32 v[177:178], v[177:178], v[38:39]
	v_add_f64_e32 v[179:180], v[179:180], v[40:41]
	ds_load_b128 v[38:41], v1 offset:1136
	v_fma_f64 v[175:176], v[175:176], v[14:15], v[181:182]
	v_fma_f64 v[173:174], v[173:174], v[14:15], -v[16:17]
	scratch_load_b128 v[14:17], off, off offset:336
	s_wait_loadcnt_dscnt 0xa01
	v_mul_f64_e32 v[187:188], v[2:3], v[20:21]
	v_mul_f64_e32 v[20:21], v[4:5], v[20:21]
	s_wait_loadcnt_dscnt 0x900
	v_mul_f64_e32 v[181:182], v[38:39], v[24:25]
	v_mul_f64_e32 v[24:25], v[40:41], v[24:25]
	v_add_f64_e32 v[177:178], v[177:178], v[185:186]
	v_add_f64_e32 v[179:180], v[179:180], v[183:184]
	v_fma_f64 v[183:184], v[4:5], v[18:19], v[187:188]
	v_fma_f64 v[185:186], v[2:3], v[18:19], -v[20:21]
	ds_load_b128 v[2:5], v1 offset:1152
	scratch_load_b128 v[18:21], off, off offset:352
	v_fma_f64 v[40:41], v[40:41], v[22:23], v[181:182]
	v_fma_f64 v[38:39], v[38:39], v[22:23], -v[24:25]
	scratch_load_b128 v[22:25], off, off offset:368
	v_add_f64_e32 v[177:178], v[177:178], v[173:174]
	v_add_f64_e32 v[179:180], v[179:180], v[175:176]
	ds_load_b128 v[173:176], v1 offset:1168
	s_wait_loadcnt_dscnt 0xa01
	v_mul_f64_e32 v[187:188], v[2:3], v[28:29]
	v_mul_f64_e32 v[28:29], v[4:5], v[28:29]
	s_wait_loadcnt_dscnt 0x900
	v_mul_f64_e32 v[181:182], v[173:174], v[32:33]
	v_mul_f64_e32 v[32:33], v[175:176], v[32:33]
	v_add_f64_e32 v[177:178], v[177:178], v[185:186]
	v_add_f64_e32 v[179:180], v[179:180], v[183:184]
	v_fma_f64 v[183:184], v[4:5], v[26:27], v[187:188]
	v_fma_f64 v[185:186], v[2:3], v[26:27], -v[28:29]
	ds_load_b128 v[2:5], v1 offset:1184
	scratch_load_b128 v[26:29], off, off offset:384
	v_fma_f64 v[175:176], v[175:176], v[30:31], v[181:182]
	v_fma_f64 v[173:174], v[173:174], v[30:31], -v[32:33]
	scratch_load_b128 v[30:33], off, off offset:400
	v_add_f64_e32 v[177:178], v[177:178], v[38:39]
	v_add_f64_e32 v[179:180], v[179:180], v[40:41]
	ds_load_b128 v[38:41], v1 offset:1200
	s_wait_loadcnt_dscnt 0xa01
	v_mul_f64_e32 v[187:188], v[2:3], v[36:37]
	v_mul_f64_e32 v[36:37], v[4:5], v[36:37]
	s_wait_loadcnt_dscnt 0x800
	v_mul_f64_e32 v[181:182], v[38:39], v[171:172]
	v_add_f64_e32 v[177:178], v[177:178], v[185:186]
	v_add_f64_e32 v[179:180], v[179:180], v[183:184]
	v_mul_f64_e32 v[183:184], v[40:41], v[171:172]
	v_fma_f64 v[185:186], v[4:5], v[34:35], v[187:188]
	v_fma_f64 v[187:188], v[2:3], v[34:35], -v[36:37]
	ds_load_b128 v[2:5], v1 offset:1216
	scratch_load_b128 v[34:37], off, off offset:416
	v_fma_f64 v[181:182], v[40:41], v[169:170], v[181:182]
	v_add_f64_e32 v[177:178], v[177:178], v[173:174]
	v_add_f64_e32 v[175:176], v[179:180], v[175:176]
	ds_load_b128 v[171:174], v1 offset:1232
	v_fma_f64 v[169:170], v[38:39], v[169:170], -v[183:184]
	scratch_load_b128 v[38:41], off, off offset:432
	s_wait_loadcnt_dscnt 0x901
	v_mul_f64_e32 v[179:180], v[2:3], v[44:45]
	v_mul_f64_e32 v[44:45], v[4:5], v[44:45]
	s_wait_loadcnt_dscnt 0x800
	v_mul_f64_e32 v[183:184], v[171:172], v[8:9]
	v_mul_f64_e32 v[8:9], v[173:174], v[8:9]
	v_add_f64_e32 v[177:178], v[177:178], v[187:188]
	v_add_f64_e32 v[175:176], v[175:176], v[185:186]
	v_fma_f64 v[179:180], v[4:5], v[42:43], v[179:180]
	v_fma_f64 v[185:186], v[2:3], v[42:43], -v[44:45]
	ds_load_b128 v[2:5], v1 offset:1248
	scratch_load_b128 v[42:45], off, off offset:448
	v_fma_f64 v[173:174], v[173:174], v[6:7], v[183:184]
	v_fma_f64 v[171:172], v[171:172], v[6:7], -v[8:9]
	scratch_load_b128 v[6:9], off, off offset:464
	v_add_f64_e32 v[169:170], v[177:178], v[169:170]
	v_add_f64_e32 v[181:182], v[175:176], v[181:182]
	ds_load_b128 v[175:178], v1 offset:1264
	s_wait_loadcnt_dscnt 0x901
	v_mul_f64_e32 v[187:188], v[2:3], v[12:13]
	v_mul_f64_e32 v[12:13], v[4:5], v[12:13]
	v_add_f64_e32 v[169:170], v[169:170], v[185:186]
	v_add_f64_e32 v[179:180], v[181:182], v[179:180]
	s_wait_loadcnt_dscnt 0x800
	v_mul_f64_e32 v[181:182], v[175:176], v[16:17]
	v_mul_f64_e32 v[16:17], v[177:178], v[16:17]
	v_fma_f64 v[183:184], v[4:5], v[10:11], v[187:188]
	v_fma_f64 v[185:186], v[2:3], v[10:11], -v[12:13]
	ds_load_b128 v[2:5], v1 offset:1280
	scratch_load_b128 v[10:13], off, off offset:480
	v_add_f64_e32 v[187:188], v[169:170], v[171:172]
	v_add_f64_e32 v[173:174], v[179:180], v[173:174]
	ds_load_b128 v[169:172], v1 offset:1296
	s_wait_loadcnt_dscnt 0x801
	v_mul_f64_e32 v[179:180], v[2:3], v[20:21]
	v_mul_f64_e32 v[20:21], v[4:5], v[20:21]
	v_fma_f64 v[177:178], v[177:178], v[14:15], v[181:182]
	v_fma_f64 v[175:176], v[175:176], v[14:15], -v[16:17]
	scratch_load_b128 v[14:17], off, off offset:496
	v_add_f64_e32 v[181:182], v[187:188], v[185:186]
	v_add_f64_e32 v[173:174], v[173:174], v[183:184]
	s_wait_loadcnt_dscnt 0x800
	v_mul_f64_e32 v[183:184], v[169:170], v[24:25]
	v_mul_f64_e32 v[24:25], v[171:172], v[24:25]
	v_fma_f64 v[179:180], v[4:5], v[18:19], v[179:180]
	v_fma_f64 v[185:186], v[2:3], v[18:19], -v[20:21]
	ds_load_b128 v[2:5], v1 offset:1312
	scratch_load_b128 v[18:21], off, off offset:512
	v_add_f64_e32 v[181:182], v[181:182], v[175:176]
	v_add_f64_e32 v[177:178], v[173:174], v[177:178]
	ds_load_b128 v[173:176], v1 offset:1328
	s_wait_loadcnt_dscnt 0x801
	v_mul_f64_e32 v[187:188], v[2:3], v[28:29]
	v_mul_f64_e32 v[28:29], v[4:5], v[28:29]
	v_fma_f64 v[171:172], v[171:172], v[22:23], v[183:184]
	v_fma_f64 v[169:170], v[169:170], v[22:23], -v[24:25]
	scratch_load_b128 v[22:25], off, off offset:528
	v_add_f64_e32 v[181:182], v[181:182], v[185:186]
	v_add_f64_e32 v[177:178], v[177:178], v[179:180]
	s_wait_loadcnt_dscnt 0x800
	v_mul_f64_e32 v[179:180], v[173:174], v[32:33]
	v_mul_f64_e32 v[32:33], v[175:176], v[32:33]
	v_fma_f64 v[183:184], v[4:5], v[26:27], v[187:188]
	v_fma_f64 v[185:186], v[2:3], v[26:27], -v[28:29]
	ds_load_b128 v[2:5], v1 offset:1344
	scratch_load_b128 v[26:29], off, off offset:544
	v_add_f64_e32 v[181:182], v[181:182], v[169:170]
	v_add_f64_e32 v[177:178], v[177:178], v[171:172]
	ds_load_b128 v[169:172], v1 offset:1360
	s_wait_loadcnt_dscnt 0x801
	v_mul_f64_e32 v[187:188], v[2:3], v[36:37]
	v_mul_f64_e32 v[36:37], v[4:5], v[36:37]
	v_fma_f64 v[175:176], v[175:176], v[30:31], v[179:180]
	v_fma_f64 v[173:174], v[173:174], v[30:31], -v[32:33]
	scratch_load_b128 v[30:33], off, off offset:560
	v_add_f64_e32 v[179:180], v[181:182], v[185:186]
	v_add_f64_e32 v[177:178], v[177:178], v[183:184]
	s_wait_loadcnt_dscnt 0x800
	v_mul_f64_e32 v[181:182], v[169:170], v[40:41]
	v_mul_f64_e32 v[40:41], v[171:172], v[40:41]
	v_fma_f64 v[183:184], v[4:5], v[34:35], v[187:188]
	v_fma_f64 v[185:186], v[2:3], v[34:35], -v[36:37]
	ds_load_b128 v[2:5], v1 offset:1376
	scratch_load_b128 v[34:37], off, off offset:576
	v_add_f64_e32 v[179:180], v[179:180], v[173:174]
	v_add_f64_e32 v[177:178], v[177:178], v[175:176]
	ds_load_b128 v[173:176], v1 offset:1392
	s_wait_loadcnt_dscnt 0x801
	v_mul_f64_e32 v[187:188], v[2:3], v[44:45]
	v_mul_f64_e32 v[44:45], v[4:5], v[44:45]
	v_fma_f64 v[171:172], v[171:172], v[38:39], v[181:182]
	v_fma_f64 v[169:170], v[169:170], v[38:39], -v[40:41]
	scratch_load_b128 v[38:41], off, off offset:592
	s_wait_loadcnt_dscnt 0x800
	v_mul_f64_e32 v[181:182], v[173:174], v[8:9]
	v_mul_f64_e32 v[8:9], v[175:176], v[8:9]
	v_add_f64_e32 v[179:180], v[179:180], v[185:186]
	v_add_f64_e32 v[177:178], v[177:178], v[183:184]
	v_fma_f64 v[183:184], v[4:5], v[42:43], v[187:188]
	v_fma_f64 v[185:186], v[2:3], v[42:43], -v[44:45]
	ds_load_b128 v[2:5], v1 offset:1408
	scratch_load_b128 v[42:45], off, off offset:608
	v_fma_f64 v[175:176], v[175:176], v[6:7], v[181:182]
	v_fma_f64 v[173:174], v[173:174], v[6:7], -v[8:9]
	scratch_load_b128 v[6:9], off, off offset:624
	v_add_f64_e32 v[179:180], v[179:180], v[169:170]
	v_add_f64_e32 v[177:178], v[177:178], v[171:172]
	ds_load_b128 v[169:172], v1 offset:1424
	s_wait_loadcnt_dscnt 0x901
	v_mul_f64_e32 v[187:188], v[2:3], v[12:13]
	v_mul_f64_e32 v[12:13], v[4:5], v[12:13]
	s_wait_loadcnt_dscnt 0x800
	v_mul_f64_e32 v[181:182], v[169:170], v[16:17]
	v_mul_f64_e32 v[16:17], v[171:172], v[16:17]
	v_add_f64_e32 v[179:180], v[179:180], v[185:186]
	v_add_f64_e32 v[177:178], v[177:178], v[183:184]
	v_fma_f64 v[183:184], v[4:5], v[10:11], v[187:188]
	v_fma_f64 v[185:186], v[2:3], v[10:11], -v[12:13]
	ds_load_b128 v[2:5], v1 offset:1440
	scratch_load_b128 v[10:13], off, off offset:640
	v_fma_f64 v[171:172], v[171:172], v[14:15], v[181:182]
	v_fma_f64 v[169:170], v[169:170], v[14:15], -v[16:17]
	scratch_load_b128 v[14:17], off, off offset:656
	v_add_f64_e32 v[179:180], v[179:180], v[173:174]
	v_add_f64_e32 v[177:178], v[177:178], v[175:176]
	ds_load_b128 v[173:176], v1 offset:1456
	s_wait_loadcnt_dscnt 0x901
	v_mul_f64_e32 v[187:188], v[2:3], v[20:21]
	v_mul_f64_e32 v[20:21], v[4:5], v[20:21]
	;; [unrolled: 18-line block ×11, first 2 shown]
	s_wait_loadcnt_dscnt 0x800
	v_mul_f64_e32 v[181:182], v[169:170], v[16:17]
	v_mul_f64_e32 v[16:17], v[171:172], v[16:17]
	v_add_f64_e32 v[179:180], v[179:180], v[185:186]
	v_add_f64_e32 v[177:178], v[177:178], v[183:184]
	v_fma_f64 v[183:184], v[4:5], v[10:11], v[187:188]
	v_fma_f64 v[185:186], v[2:3], v[10:11], -v[12:13]
	ds_load_b128 v[2:5], v1 offset:1760
	ds_load_b128 v[10:13], v1 offset:1776
	v_fma_f64 v[171:172], v[171:172], v[14:15], v[181:182]
	v_fma_f64 v[14:15], v[169:170], v[14:15], -v[16:17]
	v_add_f64_e32 v[173:174], v[179:180], v[173:174]
	v_add_f64_e32 v[175:176], v[177:178], v[175:176]
	s_wait_loadcnt_dscnt 0x701
	v_mul_f64_e32 v[177:178], v[2:3], v[20:21]
	v_mul_f64_e32 v[20:21], v[4:5], v[20:21]
	s_delay_alu instid0(VALU_DEP_4) | instskip(NEXT) | instid1(VALU_DEP_4)
	v_add_f64_e32 v[16:17], v[173:174], v[185:186]
	v_add_f64_e32 v[169:170], v[175:176], v[183:184]
	s_wait_loadcnt_dscnt 0x600
	v_mul_f64_e32 v[173:174], v[10:11], v[24:25]
	v_mul_f64_e32 v[24:25], v[12:13], v[24:25]
	v_fma_f64 v[175:176], v[4:5], v[18:19], v[177:178]
	v_fma_f64 v[18:19], v[2:3], v[18:19], -v[20:21]
	v_add_f64_e32 v[20:21], v[16:17], v[14:15]
	v_add_f64_e32 v[169:170], v[169:170], v[171:172]
	ds_load_b128 v[2:5], v1 offset:1792
	ds_load_b128 v[14:17], v1 offset:1808
	v_fma_f64 v[12:13], v[12:13], v[22:23], v[173:174]
	v_fma_f64 v[10:11], v[10:11], v[22:23], -v[24:25]
	s_wait_loadcnt_dscnt 0x501
	v_mul_f64_e32 v[171:172], v[2:3], v[28:29]
	v_mul_f64_e32 v[28:29], v[4:5], v[28:29]
	s_wait_loadcnt_dscnt 0x400
	v_mul_f64_e32 v[22:23], v[14:15], v[32:33]
	v_mul_f64_e32 v[24:25], v[16:17], v[32:33]
	v_add_f64_e32 v[18:19], v[20:21], v[18:19]
	v_add_f64_e32 v[20:21], v[169:170], v[175:176]
	v_fma_f64 v[32:33], v[4:5], v[26:27], v[171:172]
	v_fma_f64 v[26:27], v[2:3], v[26:27], -v[28:29]
	v_fma_f64 v[16:17], v[16:17], v[30:31], v[22:23]
	v_fma_f64 v[14:15], v[14:15], v[30:31], -v[24:25]
	v_add_f64_e32 v[18:19], v[18:19], v[10:11]
	v_add_f64_e32 v[20:21], v[20:21], v[12:13]
	ds_load_b128 v[2:5], v1 offset:1824
	ds_load_b128 v[10:13], v1 offset:1840
	s_wait_loadcnt_dscnt 0x301
	v_mul_f64_e32 v[28:29], v[2:3], v[36:37]
	v_mul_f64_e32 v[36:37], v[4:5], v[36:37]
	s_wait_loadcnt_dscnt 0x200
	v_mul_f64_e32 v[22:23], v[10:11], v[40:41]
	v_mul_f64_e32 v[24:25], v[12:13], v[40:41]
	v_add_f64_e32 v[18:19], v[18:19], v[26:27]
	v_add_f64_e32 v[20:21], v[20:21], v[32:33]
	v_fma_f64 v[26:27], v[4:5], v[34:35], v[28:29]
	v_fma_f64 v[28:29], v[2:3], v[34:35], -v[36:37]
	v_fma_f64 v[12:13], v[12:13], v[38:39], v[22:23]
	v_fma_f64 v[10:11], v[10:11], v[38:39], -v[24:25]
	v_add_f64_e32 v[18:19], v[18:19], v[14:15]
	v_add_f64_e32 v[20:21], v[20:21], v[16:17]
	ds_load_b128 v[2:5], v1 offset:1856
	ds_load_b128 v[14:17], v1 offset:1872
	s_wait_loadcnt_dscnt 0x101
	v_mul_f64_e32 v[30:31], v[2:3], v[44:45]
	v_mul_f64_e32 v[32:33], v[4:5], v[44:45]
	s_wait_loadcnt_dscnt 0x0
	v_mul_f64_e32 v[22:23], v[14:15], v[8:9]
	v_mul_f64_e32 v[8:9], v[16:17], v[8:9]
	v_add_f64_e32 v[18:19], v[18:19], v[28:29]
	v_add_f64_e32 v[20:21], v[20:21], v[26:27]
	v_fma_f64 v[4:5], v[4:5], v[42:43], v[30:31]
	v_fma_f64 v[1:2], v[2:3], v[42:43], -v[32:33]
	v_fma_f64 v[16:17], v[16:17], v[6:7], v[22:23]
	v_fma_f64 v[6:7], v[14:15], v[6:7], -v[8:9]
	v_add_f64_e32 v[10:11], v[18:19], v[10:11]
	v_add_f64_e32 v[12:13], v[20:21], v[12:13]
	s_delay_alu instid0(VALU_DEP_2) | instskip(NEXT) | instid1(VALU_DEP_2)
	v_add_f64_e32 v[1:2], v[10:11], v[1:2]
	v_add_f64_e32 v[3:4], v[12:13], v[4:5]
	s_delay_alu instid0(VALU_DEP_2) | instskip(NEXT) | instid1(VALU_DEP_2)
	;; [unrolled: 3-line block ×3, first 2 shown]
	v_add_f64_e64 v[1:2], v[165:166], -v[1:2]
	v_add_f64_e64 v[3:4], v[167:168], -v[3:4]
	scratch_store_b128 off, v[1:4], off offset:112
	v_cmpx_lt_u32_e32 5, v0
	s_cbranch_execz .LBB58_357
; %bb.356:
	scratch_load_b128 v[1:4], off, s67
	v_mov_b32_e32 v5, 0
	s_delay_alu instid0(VALU_DEP_1)
	v_dual_mov_b32 v6, v5 :: v_dual_mov_b32 v7, v5
	v_mov_b32_e32 v8, v5
	scratch_store_b128 off, v[5:8], off offset:96
	s_wait_loadcnt 0x0
	ds_store_b128 v164, v[1:4]
.LBB58_357:
	s_wait_alu 0xfffe
	s_or_b32 exec_lo, exec_lo, s0
	s_wait_storecnt_dscnt 0x0
	s_barrier_signal -1
	s_barrier_wait -1
	global_inv scope:SCOPE_SE
	s_clause 0x7
	scratch_load_b128 v[2:5], off, off offset:112
	scratch_load_b128 v[6:9], off, off offset:128
	;; [unrolled: 1-line block ×8, first 2 shown]
	v_mov_b32_e32 v1, 0
	s_mov_b32 s0, exec_lo
	ds_load_b128 v[38:41], v1 offset:1040
	s_clause 0x1
	scratch_load_b128 v[34:37], off, off offset:240
	scratch_load_b128 v[42:45], off, off offset:96
	ds_load_b128 v[165:168], v1 offset:1056
	scratch_load_b128 v[169:172], off, off offset:256
	s_wait_loadcnt_dscnt 0xa01
	v_mul_f64_e32 v[173:174], v[40:41], v[4:5]
	v_mul_f64_e32 v[4:5], v[38:39], v[4:5]
	s_delay_alu instid0(VALU_DEP_2) | instskip(NEXT) | instid1(VALU_DEP_2)
	v_fma_f64 v[179:180], v[38:39], v[2:3], -v[173:174]
	v_fma_f64 v[181:182], v[40:41], v[2:3], v[4:5]
	ds_load_b128 v[2:5], v1 offset:1072
	s_wait_loadcnt_dscnt 0x901
	v_mul_f64_e32 v[177:178], v[165:166], v[8:9]
	v_mul_f64_e32 v[8:9], v[167:168], v[8:9]
	scratch_load_b128 v[38:41], off, off offset:272
	ds_load_b128 v[173:176], v1 offset:1088
	s_wait_loadcnt_dscnt 0x901
	v_mul_f64_e32 v[183:184], v[2:3], v[12:13]
	v_mul_f64_e32 v[12:13], v[4:5], v[12:13]
	v_fma_f64 v[167:168], v[167:168], v[6:7], v[177:178]
	v_fma_f64 v[165:166], v[165:166], v[6:7], -v[8:9]
	v_add_f64_e32 v[177:178], 0, v[179:180]
	v_add_f64_e32 v[179:180], 0, v[181:182]
	scratch_load_b128 v[6:9], off, off offset:288
	v_fma_f64 v[183:184], v[4:5], v[10:11], v[183:184]
	v_fma_f64 v[185:186], v[2:3], v[10:11], -v[12:13]
	ds_load_b128 v[2:5], v1 offset:1104
	s_wait_loadcnt_dscnt 0x901
	v_mul_f64_e32 v[181:182], v[173:174], v[16:17]
	v_mul_f64_e32 v[16:17], v[175:176], v[16:17]
	scratch_load_b128 v[10:13], off, off offset:304
	v_add_f64_e32 v[177:178], v[177:178], v[165:166]
	v_add_f64_e32 v[179:180], v[179:180], v[167:168]
	s_wait_loadcnt_dscnt 0x900
	v_mul_f64_e32 v[187:188], v[2:3], v[20:21]
	v_mul_f64_e32 v[20:21], v[4:5], v[20:21]
	ds_load_b128 v[165:168], v1 offset:1120
	v_fma_f64 v[175:176], v[175:176], v[14:15], v[181:182]
	v_fma_f64 v[173:174], v[173:174], v[14:15], -v[16:17]
	scratch_load_b128 v[14:17], off, off offset:320
	v_add_f64_e32 v[177:178], v[177:178], v[185:186]
	v_add_f64_e32 v[179:180], v[179:180], v[183:184]
	v_fma_f64 v[183:184], v[4:5], v[18:19], v[187:188]
	v_fma_f64 v[185:186], v[2:3], v[18:19], -v[20:21]
	ds_load_b128 v[2:5], v1 offset:1136
	s_wait_loadcnt_dscnt 0x901
	v_mul_f64_e32 v[181:182], v[165:166], v[24:25]
	v_mul_f64_e32 v[24:25], v[167:168], v[24:25]
	scratch_load_b128 v[18:21], off, off offset:336
	s_wait_loadcnt_dscnt 0x900
	v_mul_f64_e32 v[187:188], v[2:3], v[28:29]
	v_mul_f64_e32 v[28:29], v[4:5], v[28:29]
	v_add_f64_e32 v[177:178], v[177:178], v[173:174]
	v_add_f64_e32 v[179:180], v[179:180], v[175:176]
	ds_load_b128 v[173:176], v1 offset:1152
	v_fma_f64 v[167:168], v[167:168], v[22:23], v[181:182]
	v_fma_f64 v[165:166], v[165:166], v[22:23], -v[24:25]
	scratch_load_b128 v[22:25], off, off offset:352
	v_add_f64_e32 v[177:178], v[177:178], v[185:186]
	v_add_f64_e32 v[179:180], v[179:180], v[183:184]
	v_fma_f64 v[183:184], v[4:5], v[26:27], v[187:188]
	v_fma_f64 v[185:186], v[2:3], v[26:27], -v[28:29]
	ds_load_b128 v[2:5], v1 offset:1168
	s_wait_loadcnt_dscnt 0x901
	v_mul_f64_e32 v[181:182], v[173:174], v[32:33]
	v_mul_f64_e32 v[32:33], v[175:176], v[32:33]
	scratch_load_b128 v[26:29], off, off offset:368
	s_wait_loadcnt_dscnt 0x900
	v_mul_f64_e32 v[187:188], v[2:3], v[36:37]
	v_mul_f64_e32 v[36:37], v[4:5], v[36:37]
	v_add_f64_e32 v[177:178], v[177:178], v[165:166]
	v_add_f64_e32 v[179:180], v[179:180], v[167:168]
	ds_load_b128 v[165:168], v1 offset:1184
	v_fma_f64 v[175:176], v[175:176], v[30:31], v[181:182]
	v_fma_f64 v[173:174], v[173:174], v[30:31], -v[32:33]
	scratch_load_b128 v[30:33], off, off offset:384
	v_add_f64_e32 v[177:178], v[177:178], v[185:186]
	v_add_f64_e32 v[179:180], v[179:180], v[183:184]
	v_fma_f64 v[185:186], v[4:5], v[34:35], v[187:188]
	v_fma_f64 v[187:188], v[2:3], v[34:35], -v[36:37]
	ds_load_b128 v[2:5], v1 offset:1200
	s_wait_loadcnt_dscnt 0x801
	v_mul_f64_e32 v[181:182], v[165:166], v[171:172]
	v_mul_f64_e32 v[183:184], v[167:168], v[171:172]
	scratch_load_b128 v[34:37], off, off offset:400
	v_add_f64_e32 v[177:178], v[177:178], v[173:174]
	v_add_f64_e32 v[175:176], v[179:180], v[175:176]
	ds_load_b128 v[171:174], v1 offset:1216
	v_fma_f64 v[181:182], v[167:168], v[169:170], v[181:182]
	v_fma_f64 v[169:170], v[165:166], v[169:170], -v[183:184]
	scratch_load_b128 v[165:168], off, off offset:416
	s_wait_loadcnt_dscnt 0x901
	v_mul_f64_e32 v[179:180], v[2:3], v[40:41]
	v_mul_f64_e32 v[40:41], v[4:5], v[40:41]
	v_add_f64_e32 v[177:178], v[177:178], v[187:188]
	v_add_f64_e32 v[175:176], v[175:176], v[185:186]
	s_delay_alu instid0(VALU_DEP_4) | instskip(NEXT) | instid1(VALU_DEP_4)
	v_fma_f64 v[179:180], v[4:5], v[38:39], v[179:180]
	v_fma_f64 v[185:186], v[2:3], v[38:39], -v[40:41]
	ds_load_b128 v[2:5], v1 offset:1232
	s_wait_loadcnt_dscnt 0x801
	v_mul_f64_e32 v[183:184], v[171:172], v[8:9]
	v_mul_f64_e32 v[8:9], v[173:174], v[8:9]
	scratch_load_b128 v[38:41], off, off offset:432
	s_wait_loadcnt_dscnt 0x800
	v_mul_f64_e32 v[187:188], v[2:3], v[12:13]
	v_add_f64_e32 v[169:170], v[177:178], v[169:170]
	v_add_f64_e32 v[181:182], v[175:176], v[181:182]
	v_mul_f64_e32 v[12:13], v[4:5], v[12:13]
	ds_load_b128 v[175:178], v1 offset:1248
	v_fma_f64 v[173:174], v[173:174], v[6:7], v[183:184]
	v_fma_f64 v[171:172], v[171:172], v[6:7], -v[8:9]
	scratch_load_b128 v[6:9], off, off offset:448
	v_fma_f64 v[183:184], v[4:5], v[10:11], v[187:188]
	v_add_f64_e32 v[169:170], v[169:170], v[185:186]
	v_add_f64_e32 v[179:180], v[181:182], v[179:180]
	v_fma_f64 v[185:186], v[2:3], v[10:11], -v[12:13]
	ds_load_b128 v[2:5], v1 offset:1264
	s_wait_loadcnt_dscnt 0x801
	v_mul_f64_e32 v[181:182], v[175:176], v[16:17]
	v_mul_f64_e32 v[16:17], v[177:178], v[16:17]
	scratch_load_b128 v[10:13], off, off offset:464
	v_add_f64_e32 v[187:188], v[169:170], v[171:172]
	v_add_f64_e32 v[173:174], v[179:180], v[173:174]
	s_wait_loadcnt_dscnt 0x800
	v_mul_f64_e32 v[179:180], v[2:3], v[20:21]
	v_mul_f64_e32 v[20:21], v[4:5], v[20:21]
	v_fma_f64 v[177:178], v[177:178], v[14:15], v[181:182]
	v_fma_f64 v[175:176], v[175:176], v[14:15], -v[16:17]
	ds_load_b128 v[169:172], v1 offset:1280
	scratch_load_b128 v[14:17], off, off offset:480
	v_add_f64_e32 v[181:182], v[187:188], v[185:186]
	v_add_f64_e32 v[173:174], v[173:174], v[183:184]
	v_fma_f64 v[179:180], v[4:5], v[18:19], v[179:180]
	v_fma_f64 v[185:186], v[2:3], v[18:19], -v[20:21]
	ds_load_b128 v[2:5], v1 offset:1296
	s_wait_loadcnt_dscnt 0x801
	v_mul_f64_e32 v[183:184], v[169:170], v[24:25]
	v_mul_f64_e32 v[24:25], v[171:172], v[24:25]
	scratch_load_b128 v[18:21], off, off offset:496
	s_wait_loadcnt_dscnt 0x800
	v_mul_f64_e32 v[187:188], v[2:3], v[28:29]
	v_mul_f64_e32 v[28:29], v[4:5], v[28:29]
	v_add_f64_e32 v[181:182], v[181:182], v[175:176]
	v_add_f64_e32 v[177:178], v[173:174], v[177:178]
	ds_load_b128 v[173:176], v1 offset:1312
	v_fma_f64 v[171:172], v[171:172], v[22:23], v[183:184]
	v_fma_f64 v[169:170], v[169:170], v[22:23], -v[24:25]
	scratch_load_b128 v[22:25], off, off offset:512
	v_fma_f64 v[183:184], v[4:5], v[26:27], v[187:188]
	v_add_f64_e32 v[181:182], v[181:182], v[185:186]
	v_add_f64_e32 v[177:178], v[177:178], v[179:180]
	v_fma_f64 v[185:186], v[2:3], v[26:27], -v[28:29]
	ds_load_b128 v[2:5], v1 offset:1328
	s_wait_loadcnt_dscnt 0x801
	v_mul_f64_e32 v[179:180], v[173:174], v[32:33]
	v_mul_f64_e32 v[32:33], v[175:176], v[32:33]
	scratch_load_b128 v[26:29], off, off offset:528
	s_wait_loadcnt_dscnt 0x800
	v_mul_f64_e32 v[187:188], v[2:3], v[36:37]
	v_mul_f64_e32 v[36:37], v[4:5], v[36:37]
	v_add_f64_e32 v[181:182], v[181:182], v[169:170]
	v_add_f64_e32 v[177:178], v[177:178], v[171:172]
	ds_load_b128 v[169:172], v1 offset:1344
	v_fma_f64 v[175:176], v[175:176], v[30:31], v[179:180]
	v_fma_f64 v[173:174], v[173:174], v[30:31], -v[32:33]
	scratch_load_b128 v[30:33], off, off offset:544
	v_add_f64_e32 v[179:180], v[181:182], v[185:186]
	v_add_f64_e32 v[177:178], v[177:178], v[183:184]
	v_fma_f64 v[183:184], v[4:5], v[34:35], v[187:188]
	v_fma_f64 v[185:186], v[2:3], v[34:35], -v[36:37]
	ds_load_b128 v[2:5], v1 offset:1360
	s_wait_loadcnt_dscnt 0x801
	v_mul_f64_e32 v[181:182], v[169:170], v[167:168]
	v_mul_f64_e32 v[167:168], v[171:172], v[167:168]
	scratch_load_b128 v[34:37], off, off offset:560
	s_wait_loadcnt_dscnt 0x800
	v_mul_f64_e32 v[187:188], v[2:3], v[40:41]
	v_mul_f64_e32 v[40:41], v[4:5], v[40:41]
	v_add_f64_e32 v[179:180], v[179:180], v[173:174]
	v_add_f64_e32 v[177:178], v[177:178], v[175:176]
	ds_load_b128 v[173:176], v1 offset:1376
	v_fma_f64 v[171:172], v[171:172], v[165:166], v[181:182]
	v_fma_f64 v[169:170], v[169:170], v[165:166], -v[167:168]
	scratch_load_b128 v[165:168], off, off offset:576
	v_add_f64_e32 v[179:180], v[179:180], v[185:186]
	v_add_f64_e32 v[177:178], v[177:178], v[183:184]
	v_fma_f64 v[183:184], v[4:5], v[38:39], v[187:188]
	;; [unrolled: 18-line block ×6, first 2 shown]
	v_fma_f64 v[187:188], v[2:3], v[34:35], -v[36:37]
	ds_load_b128 v[2:5], v1 offset:1520
	s_wait_loadcnt_dscnt 0x801
	v_mul_f64_e32 v[181:182], v[173:174], v[167:168]
	v_mul_f64_e32 v[183:184], v[175:176], v[167:168]
	scratch_load_b128 v[34:37], off, off offset:720
	v_add_f64_e32 v[179:180], v[179:180], v[169:170]
	v_add_f64_e32 v[171:172], v[177:178], v[171:172]
	s_wait_loadcnt_dscnt 0x800
	v_mul_f64_e32 v[177:178], v[2:3], v[40:41]
	v_mul_f64_e32 v[40:41], v[4:5], v[40:41]
	ds_load_b128 v[167:170], v1 offset:1536
	v_fma_f64 v[175:176], v[175:176], v[165:166], v[181:182]
	v_fma_f64 v[165:166], v[173:174], v[165:166], -v[183:184]
	v_add_f64_e32 v[179:180], v[179:180], v[187:188]
	v_add_f64_e32 v[181:182], v[171:172], v[185:186]
	scratch_load_b128 v[171:174], off, off offset:736
	v_fma_f64 v[185:186], v[4:5], v[38:39], v[177:178]
	v_fma_f64 v[187:188], v[2:3], v[38:39], -v[40:41]
	ds_load_b128 v[2:5], v1 offset:1552
	s_wait_loadcnt_dscnt 0x801
	v_mul_f64_e32 v[183:184], v[167:168], v[8:9]
	v_mul_f64_e32 v[8:9], v[169:170], v[8:9]
	scratch_load_b128 v[38:41], off, off offset:752
	v_add_f64_e32 v[165:166], v[179:180], v[165:166]
	v_add_f64_e32 v[179:180], v[181:182], v[175:176]
	s_wait_loadcnt_dscnt 0x800
	v_mul_f64_e32 v[181:182], v[2:3], v[12:13]
	v_mul_f64_e32 v[12:13], v[4:5], v[12:13]
	ds_load_b128 v[175:178], v1 offset:1568
	v_fma_f64 v[169:170], v[169:170], v[6:7], v[183:184]
	v_fma_f64 v[167:168], v[167:168], v[6:7], -v[8:9]
	scratch_load_b128 v[6:9], off, off offset:768
	v_add_f64_e32 v[165:166], v[165:166], v[187:188]
	v_add_f64_e32 v[179:180], v[179:180], v[185:186]
	v_fma_f64 v[181:182], v[4:5], v[10:11], v[181:182]
	v_fma_f64 v[185:186], v[2:3], v[10:11], -v[12:13]
	ds_load_b128 v[2:5], v1 offset:1584
	s_wait_loadcnt_dscnt 0x801
	v_mul_f64_e32 v[183:184], v[175:176], v[16:17]
	v_mul_f64_e32 v[16:17], v[177:178], v[16:17]
	scratch_load_b128 v[10:13], off, off offset:784
	v_add_f64_e32 v[187:188], v[165:166], v[167:168]
	v_add_f64_e32 v[169:170], v[179:180], v[169:170]
	s_wait_loadcnt_dscnt 0x800
	v_mul_f64_e32 v[179:180], v[2:3], v[20:21]
	v_mul_f64_e32 v[20:21], v[4:5], v[20:21]
	ds_load_b128 v[165:168], v1 offset:1600
	v_fma_f64 v[177:178], v[177:178], v[14:15], v[183:184]
	v_fma_f64 v[175:176], v[175:176], v[14:15], -v[16:17]
	scratch_load_b128 v[14:17], off, off offset:800
	v_add_f64_e32 v[183:184], v[187:188], v[185:186]
	v_add_f64_e32 v[169:170], v[169:170], v[181:182]
	v_fma_f64 v[179:180], v[4:5], v[18:19], v[179:180]
	v_fma_f64 v[185:186], v[2:3], v[18:19], -v[20:21]
	ds_load_b128 v[2:5], v1 offset:1616
	s_wait_loadcnt_dscnt 0x801
	v_mul_f64_e32 v[181:182], v[165:166], v[24:25]
	v_mul_f64_e32 v[24:25], v[167:168], v[24:25]
	scratch_load_b128 v[18:21], off, off offset:816
	s_wait_loadcnt_dscnt 0x800
	v_mul_f64_e32 v[187:188], v[2:3], v[28:29]
	v_mul_f64_e32 v[28:29], v[4:5], v[28:29]
	v_add_f64_e32 v[183:184], v[183:184], v[175:176]
	v_add_f64_e32 v[169:170], v[169:170], v[177:178]
	ds_load_b128 v[175:178], v1 offset:1632
	v_fma_f64 v[167:168], v[167:168], v[22:23], v[181:182]
	v_fma_f64 v[165:166], v[165:166], v[22:23], -v[24:25]
	scratch_load_b128 v[22:25], off, off offset:832
	v_add_f64_e32 v[181:182], v[183:184], v[185:186]
	v_add_f64_e32 v[169:170], v[169:170], v[179:180]
	v_fma_f64 v[183:184], v[4:5], v[26:27], v[187:188]
	v_fma_f64 v[185:186], v[2:3], v[26:27], -v[28:29]
	ds_load_b128 v[2:5], v1 offset:1648
	s_wait_loadcnt_dscnt 0x801
	v_mul_f64_e32 v[179:180], v[175:176], v[32:33]
	v_mul_f64_e32 v[32:33], v[177:178], v[32:33]
	scratch_load_b128 v[26:29], off, off offset:848
	s_wait_loadcnt_dscnt 0x800
	v_mul_f64_e32 v[187:188], v[2:3], v[36:37]
	v_mul_f64_e32 v[36:37], v[4:5], v[36:37]
	v_add_f64_e32 v[181:182], v[181:182], v[165:166]
	v_add_f64_e32 v[169:170], v[169:170], v[167:168]
	ds_load_b128 v[165:168], v1 offset:1664
	v_fma_f64 v[177:178], v[177:178], v[30:31], v[179:180]
	v_fma_f64 v[175:176], v[175:176], v[30:31], -v[32:33]
	scratch_load_b128 v[30:33], off, off offset:864
	v_add_f64_e32 v[179:180], v[181:182], v[185:186]
	v_add_f64_e32 v[169:170], v[169:170], v[183:184]
	v_fma_f64 v[185:186], v[4:5], v[34:35], v[187:188]
	v_fma_f64 v[187:188], v[2:3], v[34:35], -v[36:37]
	ds_load_b128 v[2:5], v1 offset:1680
	scratch_load_b128 v[34:37], off, off offset:880
	s_wait_loadcnt_dscnt 0x901
	v_mul_f64_e32 v[181:182], v[165:166], v[173:174]
	v_mul_f64_e32 v[183:184], v[167:168], v[173:174]
	v_add_f64_e32 v[179:180], v[179:180], v[175:176]
	v_add_f64_e32 v[169:170], v[169:170], v[177:178]
	s_wait_loadcnt_dscnt 0x800
	v_mul_f64_e32 v[177:178], v[2:3], v[40:41]
	v_mul_f64_e32 v[40:41], v[4:5], v[40:41]
	ds_load_b128 v[173:176], v1 offset:1696
	v_fma_f64 v[181:182], v[167:168], v[171:172], v[181:182]
	v_fma_f64 v[171:172], v[165:166], v[171:172], -v[183:184]
	scratch_load_b128 v[165:168], off, off offset:896
	v_add_f64_e32 v[179:180], v[179:180], v[187:188]
	v_add_f64_e32 v[169:170], v[169:170], v[185:186]
	v_fma_f64 v[177:178], v[4:5], v[38:39], v[177:178]
	v_fma_f64 v[185:186], v[2:3], v[38:39], -v[40:41]
	ds_load_b128 v[2:5], v1 offset:1712
	s_wait_loadcnt_dscnt 0x801
	v_mul_f64_e32 v[183:184], v[173:174], v[8:9]
	v_mul_f64_e32 v[8:9], v[175:176], v[8:9]
	scratch_load_b128 v[38:41], off, off offset:912
	s_wait_loadcnt_dscnt 0x800
	v_mul_f64_e32 v[187:188], v[2:3], v[12:13]
	v_mul_f64_e32 v[12:13], v[4:5], v[12:13]
	v_add_f64_e32 v[179:180], v[179:180], v[171:172]
	v_add_f64_e32 v[181:182], v[169:170], v[181:182]
	ds_load_b128 v[169:172], v1 offset:1728
	v_fma_f64 v[175:176], v[175:176], v[6:7], v[183:184]
	v_fma_f64 v[173:174], v[173:174], v[6:7], -v[8:9]
	scratch_load_b128 v[6:9], off, off offset:928
	v_fma_f64 v[183:184], v[4:5], v[10:11], v[187:188]
	v_add_f64_e32 v[179:180], v[179:180], v[185:186]
	v_add_f64_e32 v[177:178], v[181:182], v[177:178]
	v_fma_f64 v[185:186], v[2:3], v[10:11], -v[12:13]
	ds_load_b128 v[2:5], v1 offset:1744
	s_wait_loadcnt_dscnt 0x801
	v_mul_f64_e32 v[181:182], v[169:170], v[16:17]
	v_mul_f64_e32 v[16:17], v[171:172], v[16:17]
	scratch_load_b128 v[10:13], off, off offset:944
	s_wait_loadcnt_dscnt 0x800
	v_mul_f64_e32 v[187:188], v[2:3], v[20:21]
	v_mul_f64_e32 v[20:21], v[4:5], v[20:21]
	v_add_f64_e32 v[179:180], v[179:180], v[173:174]
	v_add_f64_e32 v[177:178], v[177:178], v[175:176]
	ds_load_b128 v[173:176], v1 offset:1760
	v_fma_f64 v[171:172], v[171:172], v[14:15], v[181:182]
	v_fma_f64 v[14:15], v[169:170], v[14:15], -v[16:17]
	v_add_f64_e32 v[16:17], v[179:180], v[185:186]
	v_add_f64_e32 v[169:170], v[177:178], v[183:184]
	s_wait_loadcnt_dscnt 0x700
	v_mul_f64_e32 v[177:178], v[173:174], v[24:25]
	v_mul_f64_e32 v[24:25], v[175:176], v[24:25]
	v_fma_f64 v[179:180], v[4:5], v[18:19], v[187:188]
	v_fma_f64 v[18:19], v[2:3], v[18:19], -v[20:21]
	v_add_f64_e32 v[20:21], v[16:17], v[14:15]
	v_add_f64_e32 v[169:170], v[169:170], v[171:172]
	ds_load_b128 v[2:5], v1 offset:1776
	ds_load_b128 v[14:17], v1 offset:1792
	v_fma_f64 v[175:176], v[175:176], v[22:23], v[177:178]
	v_fma_f64 v[22:23], v[173:174], v[22:23], -v[24:25]
	s_wait_loadcnt_dscnt 0x601
	v_mul_f64_e32 v[171:172], v[2:3], v[28:29]
	v_mul_f64_e32 v[28:29], v[4:5], v[28:29]
	s_wait_loadcnt_dscnt 0x500
	v_mul_f64_e32 v[24:25], v[14:15], v[32:33]
	v_mul_f64_e32 v[32:33], v[16:17], v[32:33]
	v_add_f64_e32 v[18:19], v[20:21], v[18:19]
	v_add_f64_e32 v[20:21], v[169:170], v[179:180]
	v_fma_f64 v[169:170], v[4:5], v[26:27], v[171:172]
	v_fma_f64 v[26:27], v[2:3], v[26:27], -v[28:29]
	v_fma_f64 v[16:17], v[16:17], v[30:31], v[24:25]
	v_fma_f64 v[14:15], v[14:15], v[30:31], -v[32:33]
	v_add_f64_e32 v[22:23], v[18:19], v[22:23]
	v_add_f64_e32 v[28:29], v[20:21], v[175:176]
	ds_load_b128 v[2:5], v1 offset:1808
	ds_load_b128 v[18:21], v1 offset:1824
	s_wait_loadcnt_dscnt 0x401
	v_mul_f64_e32 v[171:172], v[2:3], v[36:37]
	v_mul_f64_e32 v[36:37], v[4:5], v[36:37]
	v_add_f64_e32 v[22:23], v[22:23], v[26:27]
	v_add_f64_e32 v[24:25], v[28:29], v[169:170]
	s_wait_loadcnt_dscnt 0x300
	v_mul_f64_e32 v[26:27], v[18:19], v[167:168]
	v_mul_f64_e32 v[28:29], v[20:21], v[167:168]
	v_fma_f64 v[30:31], v[4:5], v[34:35], v[171:172]
	v_fma_f64 v[32:33], v[2:3], v[34:35], -v[36:37]
	v_add_f64_e32 v[22:23], v[22:23], v[14:15]
	v_add_f64_e32 v[24:25], v[24:25], v[16:17]
	ds_load_b128 v[2:5], v1 offset:1840
	ds_load_b128 v[14:17], v1 offset:1856
	v_fma_f64 v[20:21], v[20:21], v[165:166], v[26:27]
	v_fma_f64 v[18:19], v[18:19], v[165:166], -v[28:29]
	s_wait_loadcnt_dscnt 0x201
	v_mul_f64_e32 v[34:35], v[2:3], v[40:41]
	v_mul_f64_e32 v[36:37], v[4:5], v[40:41]
	s_wait_loadcnt_dscnt 0x100
	v_mul_f64_e32 v[26:27], v[14:15], v[8:9]
	v_mul_f64_e32 v[8:9], v[16:17], v[8:9]
	v_add_f64_e32 v[22:23], v[22:23], v[32:33]
	v_add_f64_e32 v[24:25], v[24:25], v[30:31]
	v_fma_f64 v[28:29], v[4:5], v[38:39], v[34:35]
	v_fma_f64 v[30:31], v[2:3], v[38:39], -v[36:37]
	ds_load_b128 v[2:5], v1 offset:1872
	v_fma_f64 v[16:17], v[16:17], v[6:7], v[26:27]
	v_fma_f64 v[6:7], v[14:15], v[6:7], -v[8:9]
	v_add_f64_e32 v[18:19], v[22:23], v[18:19]
	v_add_f64_e32 v[20:21], v[24:25], v[20:21]
	s_wait_loadcnt_dscnt 0x0
	v_mul_f64_e32 v[22:23], v[2:3], v[12:13]
	v_mul_f64_e32 v[12:13], v[4:5], v[12:13]
	s_delay_alu instid0(VALU_DEP_4) | instskip(NEXT) | instid1(VALU_DEP_4)
	v_add_f64_e32 v[8:9], v[18:19], v[30:31]
	v_add_f64_e32 v[14:15], v[20:21], v[28:29]
	s_delay_alu instid0(VALU_DEP_4) | instskip(NEXT) | instid1(VALU_DEP_4)
	v_fma_f64 v[4:5], v[4:5], v[10:11], v[22:23]
	v_fma_f64 v[2:3], v[2:3], v[10:11], -v[12:13]
	s_delay_alu instid0(VALU_DEP_4) | instskip(NEXT) | instid1(VALU_DEP_4)
	v_add_f64_e32 v[6:7], v[8:9], v[6:7]
	v_add_f64_e32 v[8:9], v[14:15], v[16:17]
	s_delay_alu instid0(VALU_DEP_2) | instskip(NEXT) | instid1(VALU_DEP_2)
	v_add_f64_e32 v[2:3], v[6:7], v[2:3]
	v_add_f64_e32 v[4:5], v[8:9], v[4:5]
	s_delay_alu instid0(VALU_DEP_2) | instskip(NEXT) | instid1(VALU_DEP_2)
	v_add_f64_e64 v[2:3], v[42:43], -v[2:3]
	v_add_f64_e64 v[4:5], v[44:45], -v[4:5]
	scratch_store_b128 off, v[2:5], off offset:96
	v_cmpx_lt_u32_e32 4, v0
	s_cbranch_execz .LBB58_359
; %bb.358:
	scratch_load_b128 v[5:8], off, s29
	v_dual_mov_b32 v2, v1 :: v_dual_mov_b32 v3, v1
	v_mov_b32_e32 v4, v1
	scratch_store_b128 off, v[1:4], off offset:80
	s_wait_loadcnt 0x0
	ds_store_b128 v164, v[5:8]
.LBB58_359:
	s_wait_alu 0xfffe
	s_or_b32 exec_lo, exec_lo, s0
	s_wait_storecnt_dscnt 0x0
	s_barrier_signal -1
	s_barrier_wait -1
	global_inv scope:SCOPE_SE
	s_clause 0x8
	scratch_load_b128 v[2:5], off, off offset:96
	scratch_load_b128 v[6:9], off, off offset:112
	;; [unrolled: 1-line block ×9, first 2 shown]
	ds_load_b128 v[42:45], v1 offset:1024
	ds_load_b128 v[38:41], v1 offset:1040
	s_clause 0x1
	scratch_load_b128 v[165:168], off, off offset:80
	scratch_load_b128 v[169:172], off, off offset:240
	s_mov_b32 s0, exec_lo
	s_wait_loadcnt_dscnt 0xa01
	v_mul_f64_e32 v[173:174], v[44:45], v[4:5]
	v_mul_f64_e32 v[4:5], v[42:43], v[4:5]
	s_wait_loadcnt_dscnt 0x900
	v_mul_f64_e32 v[177:178], v[38:39], v[8:9]
	v_mul_f64_e32 v[8:9], v[40:41], v[8:9]
	s_delay_alu instid0(VALU_DEP_4) | instskip(NEXT) | instid1(VALU_DEP_4)
	v_fma_f64 v[179:180], v[42:43], v[2:3], -v[173:174]
	v_fma_f64 v[181:182], v[44:45], v[2:3], v[4:5]
	ds_load_b128 v[2:5], v1 offset:1056
	ds_load_b128 v[173:176], v1 offset:1072
	scratch_load_b128 v[42:45], off, off offset:256
	v_fma_f64 v[40:41], v[40:41], v[6:7], v[177:178]
	v_fma_f64 v[38:39], v[38:39], v[6:7], -v[8:9]
	scratch_load_b128 v[6:9], off, off offset:272
	s_wait_loadcnt_dscnt 0xa01
	v_mul_f64_e32 v[183:184], v[2:3], v[12:13]
	v_mul_f64_e32 v[12:13], v[4:5], v[12:13]
	v_add_f64_e32 v[177:178], 0, v[179:180]
	v_add_f64_e32 v[179:180], 0, v[181:182]
	s_wait_loadcnt_dscnt 0x900
	v_mul_f64_e32 v[181:182], v[173:174], v[16:17]
	v_mul_f64_e32 v[16:17], v[175:176], v[16:17]
	v_fma_f64 v[183:184], v[4:5], v[10:11], v[183:184]
	v_fma_f64 v[185:186], v[2:3], v[10:11], -v[12:13]
	ds_load_b128 v[2:5], v1 offset:1088
	scratch_load_b128 v[10:13], off, off offset:288
	v_add_f64_e32 v[177:178], v[177:178], v[38:39]
	v_add_f64_e32 v[179:180], v[179:180], v[40:41]
	ds_load_b128 v[38:41], v1 offset:1104
	v_fma_f64 v[175:176], v[175:176], v[14:15], v[181:182]
	v_fma_f64 v[173:174], v[173:174], v[14:15], -v[16:17]
	scratch_load_b128 v[14:17], off, off offset:304
	s_wait_loadcnt_dscnt 0xa01
	v_mul_f64_e32 v[187:188], v[2:3], v[20:21]
	v_mul_f64_e32 v[20:21], v[4:5], v[20:21]
	s_wait_loadcnt_dscnt 0x900
	v_mul_f64_e32 v[181:182], v[38:39], v[24:25]
	v_mul_f64_e32 v[24:25], v[40:41], v[24:25]
	v_add_f64_e32 v[177:178], v[177:178], v[185:186]
	v_add_f64_e32 v[179:180], v[179:180], v[183:184]
	v_fma_f64 v[183:184], v[4:5], v[18:19], v[187:188]
	v_fma_f64 v[185:186], v[2:3], v[18:19], -v[20:21]
	ds_load_b128 v[2:5], v1 offset:1120
	scratch_load_b128 v[18:21], off, off offset:320
	v_fma_f64 v[40:41], v[40:41], v[22:23], v[181:182]
	v_fma_f64 v[38:39], v[38:39], v[22:23], -v[24:25]
	scratch_load_b128 v[22:25], off, off offset:336
	v_add_f64_e32 v[177:178], v[177:178], v[173:174]
	v_add_f64_e32 v[179:180], v[179:180], v[175:176]
	ds_load_b128 v[173:176], v1 offset:1136
	s_wait_loadcnt_dscnt 0xa01
	v_mul_f64_e32 v[187:188], v[2:3], v[28:29]
	v_mul_f64_e32 v[28:29], v[4:5], v[28:29]
	s_wait_loadcnt_dscnt 0x900
	v_mul_f64_e32 v[181:182], v[173:174], v[32:33]
	v_mul_f64_e32 v[32:33], v[175:176], v[32:33]
	v_add_f64_e32 v[177:178], v[177:178], v[185:186]
	v_add_f64_e32 v[179:180], v[179:180], v[183:184]
	v_fma_f64 v[183:184], v[4:5], v[26:27], v[187:188]
	v_fma_f64 v[185:186], v[2:3], v[26:27], -v[28:29]
	ds_load_b128 v[2:5], v1 offset:1152
	scratch_load_b128 v[26:29], off, off offset:352
	v_fma_f64 v[175:176], v[175:176], v[30:31], v[181:182]
	v_fma_f64 v[173:174], v[173:174], v[30:31], -v[32:33]
	scratch_load_b128 v[30:33], off, off offset:368
	v_add_f64_e32 v[177:178], v[177:178], v[38:39]
	v_add_f64_e32 v[179:180], v[179:180], v[40:41]
	ds_load_b128 v[38:41], v1 offset:1168
	s_wait_loadcnt_dscnt 0xa01
	v_mul_f64_e32 v[187:188], v[2:3], v[36:37]
	v_mul_f64_e32 v[36:37], v[4:5], v[36:37]
	s_wait_loadcnt_dscnt 0x800
	v_mul_f64_e32 v[181:182], v[38:39], v[171:172]
	v_add_f64_e32 v[177:178], v[177:178], v[185:186]
	v_add_f64_e32 v[179:180], v[179:180], v[183:184]
	v_mul_f64_e32 v[183:184], v[40:41], v[171:172]
	v_fma_f64 v[185:186], v[4:5], v[34:35], v[187:188]
	v_fma_f64 v[187:188], v[2:3], v[34:35], -v[36:37]
	ds_load_b128 v[2:5], v1 offset:1184
	scratch_load_b128 v[34:37], off, off offset:384
	v_fma_f64 v[181:182], v[40:41], v[169:170], v[181:182]
	v_add_f64_e32 v[177:178], v[177:178], v[173:174]
	v_add_f64_e32 v[175:176], v[179:180], v[175:176]
	ds_load_b128 v[171:174], v1 offset:1200
	v_fma_f64 v[169:170], v[38:39], v[169:170], -v[183:184]
	scratch_load_b128 v[38:41], off, off offset:400
	s_wait_loadcnt_dscnt 0x901
	v_mul_f64_e32 v[179:180], v[2:3], v[44:45]
	v_mul_f64_e32 v[44:45], v[4:5], v[44:45]
	s_wait_loadcnt_dscnt 0x800
	v_mul_f64_e32 v[183:184], v[171:172], v[8:9]
	v_mul_f64_e32 v[8:9], v[173:174], v[8:9]
	v_add_f64_e32 v[177:178], v[177:178], v[187:188]
	v_add_f64_e32 v[175:176], v[175:176], v[185:186]
	v_fma_f64 v[179:180], v[4:5], v[42:43], v[179:180]
	v_fma_f64 v[185:186], v[2:3], v[42:43], -v[44:45]
	ds_load_b128 v[2:5], v1 offset:1216
	scratch_load_b128 v[42:45], off, off offset:416
	v_fma_f64 v[173:174], v[173:174], v[6:7], v[183:184]
	v_fma_f64 v[171:172], v[171:172], v[6:7], -v[8:9]
	scratch_load_b128 v[6:9], off, off offset:432
	v_add_f64_e32 v[169:170], v[177:178], v[169:170]
	v_add_f64_e32 v[181:182], v[175:176], v[181:182]
	ds_load_b128 v[175:178], v1 offset:1232
	s_wait_loadcnt_dscnt 0x901
	v_mul_f64_e32 v[187:188], v[2:3], v[12:13]
	v_mul_f64_e32 v[12:13], v[4:5], v[12:13]
	v_add_f64_e32 v[169:170], v[169:170], v[185:186]
	v_add_f64_e32 v[179:180], v[181:182], v[179:180]
	s_wait_loadcnt_dscnt 0x800
	v_mul_f64_e32 v[181:182], v[175:176], v[16:17]
	v_mul_f64_e32 v[16:17], v[177:178], v[16:17]
	v_fma_f64 v[183:184], v[4:5], v[10:11], v[187:188]
	v_fma_f64 v[185:186], v[2:3], v[10:11], -v[12:13]
	ds_load_b128 v[2:5], v1 offset:1248
	scratch_load_b128 v[10:13], off, off offset:448
	v_add_f64_e32 v[187:188], v[169:170], v[171:172]
	v_add_f64_e32 v[173:174], v[179:180], v[173:174]
	ds_load_b128 v[169:172], v1 offset:1264
	s_wait_loadcnt_dscnt 0x801
	v_mul_f64_e32 v[179:180], v[2:3], v[20:21]
	v_mul_f64_e32 v[20:21], v[4:5], v[20:21]
	v_fma_f64 v[177:178], v[177:178], v[14:15], v[181:182]
	v_fma_f64 v[175:176], v[175:176], v[14:15], -v[16:17]
	scratch_load_b128 v[14:17], off, off offset:464
	v_add_f64_e32 v[181:182], v[187:188], v[185:186]
	v_add_f64_e32 v[173:174], v[173:174], v[183:184]
	s_wait_loadcnt_dscnt 0x800
	v_mul_f64_e32 v[183:184], v[169:170], v[24:25]
	v_mul_f64_e32 v[24:25], v[171:172], v[24:25]
	v_fma_f64 v[179:180], v[4:5], v[18:19], v[179:180]
	v_fma_f64 v[185:186], v[2:3], v[18:19], -v[20:21]
	ds_load_b128 v[2:5], v1 offset:1280
	scratch_load_b128 v[18:21], off, off offset:480
	v_add_f64_e32 v[181:182], v[181:182], v[175:176]
	v_add_f64_e32 v[177:178], v[173:174], v[177:178]
	ds_load_b128 v[173:176], v1 offset:1296
	s_wait_loadcnt_dscnt 0x801
	v_mul_f64_e32 v[187:188], v[2:3], v[28:29]
	v_mul_f64_e32 v[28:29], v[4:5], v[28:29]
	v_fma_f64 v[171:172], v[171:172], v[22:23], v[183:184]
	v_fma_f64 v[169:170], v[169:170], v[22:23], -v[24:25]
	scratch_load_b128 v[22:25], off, off offset:496
	;; [unrolled: 18-line block ×4, first 2 shown]
	s_wait_loadcnt_dscnt 0x800
	v_mul_f64_e32 v[181:182], v[173:174], v[8:9]
	v_mul_f64_e32 v[8:9], v[175:176], v[8:9]
	v_add_f64_e32 v[179:180], v[179:180], v[185:186]
	v_add_f64_e32 v[177:178], v[177:178], v[183:184]
	v_fma_f64 v[183:184], v[4:5], v[42:43], v[187:188]
	v_fma_f64 v[185:186], v[2:3], v[42:43], -v[44:45]
	ds_load_b128 v[2:5], v1 offset:1376
	scratch_load_b128 v[42:45], off, off offset:576
	v_fma_f64 v[175:176], v[175:176], v[6:7], v[181:182]
	v_fma_f64 v[173:174], v[173:174], v[6:7], -v[8:9]
	scratch_load_b128 v[6:9], off, off offset:592
	v_add_f64_e32 v[179:180], v[179:180], v[169:170]
	v_add_f64_e32 v[177:178], v[177:178], v[171:172]
	ds_load_b128 v[169:172], v1 offset:1392
	s_wait_loadcnt_dscnt 0x901
	v_mul_f64_e32 v[187:188], v[2:3], v[12:13]
	v_mul_f64_e32 v[12:13], v[4:5], v[12:13]
	s_wait_loadcnt_dscnt 0x800
	v_mul_f64_e32 v[181:182], v[169:170], v[16:17]
	v_mul_f64_e32 v[16:17], v[171:172], v[16:17]
	v_add_f64_e32 v[179:180], v[179:180], v[185:186]
	v_add_f64_e32 v[177:178], v[177:178], v[183:184]
	v_fma_f64 v[183:184], v[4:5], v[10:11], v[187:188]
	v_fma_f64 v[185:186], v[2:3], v[10:11], -v[12:13]
	ds_load_b128 v[2:5], v1 offset:1408
	scratch_load_b128 v[10:13], off, off offset:608
	v_fma_f64 v[171:172], v[171:172], v[14:15], v[181:182]
	v_fma_f64 v[169:170], v[169:170], v[14:15], -v[16:17]
	scratch_load_b128 v[14:17], off, off offset:624
	v_add_f64_e32 v[179:180], v[179:180], v[173:174]
	v_add_f64_e32 v[177:178], v[177:178], v[175:176]
	ds_load_b128 v[173:176], v1 offset:1424
	s_wait_loadcnt_dscnt 0x901
	v_mul_f64_e32 v[187:188], v[2:3], v[20:21]
	v_mul_f64_e32 v[20:21], v[4:5], v[20:21]
	s_wait_loadcnt_dscnt 0x800
	v_mul_f64_e32 v[181:182], v[173:174], v[24:25]
	v_mul_f64_e32 v[24:25], v[175:176], v[24:25]
	v_add_f64_e32 v[179:180], v[179:180], v[185:186]
	v_add_f64_e32 v[177:178], v[177:178], v[183:184]
	v_fma_f64 v[183:184], v[4:5], v[18:19], v[187:188]
	v_fma_f64 v[185:186], v[2:3], v[18:19], -v[20:21]
	ds_load_b128 v[2:5], v1 offset:1440
	scratch_load_b128 v[18:21], off, off offset:640
	v_fma_f64 v[175:176], v[175:176], v[22:23], v[181:182]
	v_fma_f64 v[173:174], v[173:174], v[22:23], -v[24:25]
	scratch_load_b128 v[22:25], off, off offset:656
	v_add_f64_e32 v[179:180], v[179:180], v[169:170]
	v_add_f64_e32 v[177:178], v[177:178], v[171:172]
	ds_load_b128 v[169:172], v1 offset:1456
	s_wait_loadcnt_dscnt 0x901
	v_mul_f64_e32 v[187:188], v[2:3], v[28:29]
	v_mul_f64_e32 v[28:29], v[4:5], v[28:29]
	s_wait_loadcnt_dscnt 0x800
	v_mul_f64_e32 v[181:182], v[169:170], v[32:33]
	v_mul_f64_e32 v[32:33], v[171:172], v[32:33]
	v_add_f64_e32 v[179:180], v[179:180], v[185:186]
	v_add_f64_e32 v[177:178], v[177:178], v[183:184]
	v_fma_f64 v[183:184], v[4:5], v[26:27], v[187:188]
	v_fma_f64 v[185:186], v[2:3], v[26:27], -v[28:29]
	ds_load_b128 v[2:5], v1 offset:1472
	scratch_load_b128 v[26:29], off, off offset:672
	v_fma_f64 v[171:172], v[171:172], v[30:31], v[181:182]
	v_fma_f64 v[169:170], v[169:170], v[30:31], -v[32:33]
	scratch_load_b128 v[30:33], off, off offset:688
	v_add_f64_e32 v[179:180], v[179:180], v[173:174]
	v_add_f64_e32 v[177:178], v[177:178], v[175:176]
	ds_load_b128 v[173:176], v1 offset:1488
	s_wait_loadcnt_dscnt 0x901
	v_mul_f64_e32 v[187:188], v[2:3], v[36:37]
	v_mul_f64_e32 v[36:37], v[4:5], v[36:37]
	s_wait_loadcnt_dscnt 0x800
	v_mul_f64_e32 v[181:182], v[173:174], v[40:41]
	v_mul_f64_e32 v[40:41], v[175:176], v[40:41]
	v_add_f64_e32 v[179:180], v[179:180], v[185:186]
	v_add_f64_e32 v[177:178], v[177:178], v[183:184]
	v_fma_f64 v[183:184], v[4:5], v[34:35], v[187:188]
	v_fma_f64 v[185:186], v[2:3], v[34:35], -v[36:37]
	ds_load_b128 v[2:5], v1 offset:1504
	scratch_load_b128 v[34:37], off, off offset:704
	v_fma_f64 v[175:176], v[175:176], v[38:39], v[181:182]
	v_fma_f64 v[173:174], v[173:174], v[38:39], -v[40:41]
	scratch_load_b128 v[38:41], off, off offset:720
	v_add_f64_e32 v[179:180], v[179:180], v[169:170]
	v_add_f64_e32 v[177:178], v[177:178], v[171:172]
	ds_load_b128 v[169:172], v1 offset:1520
	s_wait_loadcnt_dscnt 0x901
	v_mul_f64_e32 v[187:188], v[2:3], v[44:45]
	v_mul_f64_e32 v[44:45], v[4:5], v[44:45]
	s_wait_loadcnt_dscnt 0x800
	v_mul_f64_e32 v[181:182], v[169:170], v[8:9]
	v_mul_f64_e32 v[8:9], v[171:172], v[8:9]
	v_add_f64_e32 v[179:180], v[179:180], v[185:186]
	v_add_f64_e32 v[177:178], v[177:178], v[183:184]
	v_fma_f64 v[183:184], v[4:5], v[42:43], v[187:188]
	v_fma_f64 v[185:186], v[2:3], v[42:43], -v[44:45]
	ds_load_b128 v[2:5], v1 offset:1536
	scratch_load_b128 v[42:45], off, off offset:736
	v_fma_f64 v[171:172], v[171:172], v[6:7], v[181:182]
	v_fma_f64 v[169:170], v[169:170], v[6:7], -v[8:9]
	scratch_load_b128 v[6:9], off, off offset:752
	v_add_f64_e32 v[179:180], v[179:180], v[173:174]
	v_add_f64_e32 v[177:178], v[177:178], v[175:176]
	ds_load_b128 v[173:176], v1 offset:1552
	s_wait_loadcnt_dscnt 0x901
	v_mul_f64_e32 v[187:188], v[2:3], v[12:13]
	v_mul_f64_e32 v[12:13], v[4:5], v[12:13]
	s_wait_loadcnt_dscnt 0x800
	v_mul_f64_e32 v[181:182], v[173:174], v[16:17]
	v_mul_f64_e32 v[16:17], v[175:176], v[16:17]
	v_add_f64_e32 v[179:180], v[179:180], v[185:186]
	v_add_f64_e32 v[177:178], v[177:178], v[183:184]
	v_fma_f64 v[183:184], v[4:5], v[10:11], v[187:188]
	v_fma_f64 v[185:186], v[2:3], v[10:11], -v[12:13]
	ds_load_b128 v[2:5], v1 offset:1568
	scratch_load_b128 v[10:13], off, off offset:768
	v_fma_f64 v[175:176], v[175:176], v[14:15], v[181:182]
	v_fma_f64 v[173:174], v[173:174], v[14:15], -v[16:17]
	scratch_load_b128 v[14:17], off, off offset:784
	v_add_f64_e32 v[179:180], v[179:180], v[169:170]
	v_add_f64_e32 v[177:178], v[177:178], v[171:172]
	ds_load_b128 v[169:172], v1 offset:1584
	s_wait_loadcnt_dscnt 0x901
	v_mul_f64_e32 v[187:188], v[2:3], v[20:21]
	v_mul_f64_e32 v[20:21], v[4:5], v[20:21]
	s_wait_loadcnt_dscnt 0x800
	v_mul_f64_e32 v[181:182], v[169:170], v[24:25]
	v_mul_f64_e32 v[24:25], v[171:172], v[24:25]
	v_add_f64_e32 v[179:180], v[179:180], v[185:186]
	v_add_f64_e32 v[177:178], v[177:178], v[183:184]
	v_fma_f64 v[183:184], v[4:5], v[18:19], v[187:188]
	v_fma_f64 v[185:186], v[2:3], v[18:19], -v[20:21]
	ds_load_b128 v[2:5], v1 offset:1600
	scratch_load_b128 v[18:21], off, off offset:800
	v_fma_f64 v[171:172], v[171:172], v[22:23], v[181:182]
	v_fma_f64 v[169:170], v[169:170], v[22:23], -v[24:25]
	scratch_load_b128 v[22:25], off, off offset:816
	v_add_f64_e32 v[179:180], v[179:180], v[173:174]
	v_add_f64_e32 v[177:178], v[177:178], v[175:176]
	ds_load_b128 v[173:176], v1 offset:1616
	s_wait_loadcnt_dscnt 0x901
	v_mul_f64_e32 v[187:188], v[2:3], v[28:29]
	v_mul_f64_e32 v[28:29], v[4:5], v[28:29]
	s_wait_loadcnt_dscnt 0x800
	v_mul_f64_e32 v[181:182], v[173:174], v[32:33]
	v_mul_f64_e32 v[32:33], v[175:176], v[32:33]
	v_add_f64_e32 v[179:180], v[179:180], v[185:186]
	v_add_f64_e32 v[177:178], v[177:178], v[183:184]
	v_fma_f64 v[183:184], v[4:5], v[26:27], v[187:188]
	v_fma_f64 v[185:186], v[2:3], v[26:27], -v[28:29]
	ds_load_b128 v[2:5], v1 offset:1632
	scratch_load_b128 v[26:29], off, off offset:832
	v_fma_f64 v[175:176], v[175:176], v[30:31], v[181:182]
	v_fma_f64 v[173:174], v[173:174], v[30:31], -v[32:33]
	scratch_load_b128 v[30:33], off, off offset:848
	v_add_f64_e32 v[179:180], v[179:180], v[169:170]
	v_add_f64_e32 v[177:178], v[177:178], v[171:172]
	ds_load_b128 v[169:172], v1 offset:1648
	s_wait_loadcnt_dscnt 0x901
	v_mul_f64_e32 v[187:188], v[2:3], v[36:37]
	v_mul_f64_e32 v[36:37], v[4:5], v[36:37]
	s_wait_loadcnt_dscnt 0x800
	v_mul_f64_e32 v[181:182], v[169:170], v[40:41]
	v_mul_f64_e32 v[40:41], v[171:172], v[40:41]
	v_add_f64_e32 v[179:180], v[179:180], v[185:186]
	v_add_f64_e32 v[177:178], v[177:178], v[183:184]
	v_fma_f64 v[183:184], v[4:5], v[34:35], v[187:188]
	v_fma_f64 v[185:186], v[2:3], v[34:35], -v[36:37]
	ds_load_b128 v[2:5], v1 offset:1664
	scratch_load_b128 v[34:37], off, off offset:864
	v_fma_f64 v[171:172], v[171:172], v[38:39], v[181:182]
	v_fma_f64 v[169:170], v[169:170], v[38:39], -v[40:41]
	scratch_load_b128 v[38:41], off, off offset:880
	v_add_f64_e32 v[179:180], v[179:180], v[173:174]
	v_add_f64_e32 v[177:178], v[177:178], v[175:176]
	ds_load_b128 v[173:176], v1 offset:1680
	s_wait_loadcnt_dscnt 0x901
	v_mul_f64_e32 v[187:188], v[2:3], v[44:45]
	v_mul_f64_e32 v[44:45], v[4:5], v[44:45]
	s_wait_loadcnt_dscnt 0x800
	v_mul_f64_e32 v[181:182], v[173:174], v[8:9]
	v_mul_f64_e32 v[8:9], v[175:176], v[8:9]
	v_add_f64_e32 v[179:180], v[179:180], v[185:186]
	v_add_f64_e32 v[177:178], v[177:178], v[183:184]
	v_fma_f64 v[183:184], v[4:5], v[42:43], v[187:188]
	v_fma_f64 v[185:186], v[2:3], v[42:43], -v[44:45]
	ds_load_b128 v[2:5], v1 offset:1696
	scratch_load_b128 v[42:45], off, off offset:896
	v_fma_f64 v[175:176], v[175:176], v[6:7], v[181:182]
	v_fma_f64 v[173:174], v[173:174], v[6:7], -v[8:9]
	scratch_load_b128 v[6:9], off, off offset:912
	v_add_f64_e32 v[179:180], v[179:180], v[169:170]
	v_add_f64_e32 v[177:178], v[177:178], v[171:172]
	ds_load_b128 v[169:172], v1 offset:1712
	s_wait_loadcnt_dscnt 0x901
	v_mul_f64_e32 v[187:188], v[2:3], v[12:13]
	v_mul_f64_e32 v[12:13], v[4:5], v[12:13]
	s_wait_loadcnt_dscnt 0x800
	v_mul_f64_e32 v[181:182], v[169:170], v[16:17]
	v_mul_f64_e32 v[16:17], v[171:172], v[16:17]
	v_add_f64_e32 v[179:180], v[179:180], v[185:186]
	v_add_f64_e32 v[177:178], v[177:178], v[183:184]
	v_fma_f64 v[183:184], v[4:5], v[10:11], v[187:188]
	v_fma_f64 v[185:186], v[2:3], v[10:11], -v[12:13]
	ds_load_b128 v[2:5], v1 offset:1728
	scratch_load_b128 v[10:13], off, off offset:928
	v_fma_f64 v[171:172], v[171:172], v[14:15], v[181:182]
	v_fma_f64 v[169:170], v[169:170], v[14:15], -v[16:17]
	scratch_load_b128 v[14:17], off, off offset:944
	v_add_f64_e32 v[179:180], v[179:180], v[173:174]
	v_add_f64_e32 v[177:178], v[177:178], v[175:176]
	ds_load_b128 v[173:176], v1 offset:1744
	s_wait_loadcnt_dscnt 0x901
	v_mul_f64_e32 v[187:188], v[2:3], v[20:21]
	v_mul_f64_e32 v[20:21], v[4:5], v[20:21]
	s_wait_loadcnt_dscnt 0x800
	v_mul_f64_e32 v[181:182], v[173:174], v[24:25]
	v_mul_f64_e32 v[24:25], v[175:176], v[24:25]
	v_add_f64_e32 v[179:180], v[179:180], v[185:186]
	v_add_f64_e32 v[177:178], v[177:178], v[183:184]
	v_fma_f64 v[183:184], v[4:5], v[18:19], v[187:188]
	v_fma_f64 v[185:186], v[2:3], v[18:19], -v[20:21]
	ds_load_b128 v[2:5], v1 offset:1760
	ds_load_b128 v[18:21], v1 offset:1776
	v_fma_f64 v[175:176], v[175:176], v[22:23], v[181:182]
	v_fma_f64 v[22:23], v[173:174], v[22:23], -v[24:25]
	v_add_f64_e32 v[169:170], v[179:180], v[169:170]
	v_add_f64_e32 v[171:172], v[177:178], v[171:172]
	s_wait_loadcnt_dscnt 0x701
	v_mul_f64_e32 v[177:178], v[2:3], v[28:29]
	v_mul_f64_e32 v[28:29], v[4:5], v[28:29]
	s_delay_alu instid0(VALU_DEP_4) | instskip(NEXT) | instid1(VALU_DEP_4)
	v_add_f64_e32 v[24:25], v[169:170], v[185:186]
	v_add_f64_e32 v[169:170], v[171:172], v[183:184]
	s_wait_loadcnt_dscnt 0x600
	v_mul_f64_e32 v[171:172], v[18:19], v[32:33]
	v_mul_f64_e32 v[32:33], v[20:21], v[32:33]
	v_fma_f64 v[173:174], v[4:5], v[26:27], v[177:178]
	v_fma_f64 v[26:27], v[2:3], v[26:27], -v[28:29]
	v_add_f64_e32 v[28:29], v[24:25], v[22:23]
	v_add_f64_e32 v[169:170], v[169:170], v[175:176]
	ds_load_b128 v[2:5], v1 offset:1792
	ds_load_b128 v[22:25], v1 offset:1808
	v_fma_f64 v[20:21], v[20:21], v[30:31], v[171:172]
	v_fma_f64 v[18:19], v[18:19], v[30:31], -v[32:33]
	s_wait_loadcnt_dscnt 0x501
	v_mul_f64_e32 v[175:176], v[2:3], v[36:37]
	v_mul_f64_e32 v[36:37], v[4:5], v[36:37]
	s_wait_loadcnt_dscnt 0x400
	v_mul_f64_e32 v[30:31], v[22:23], v[40:41]
	v_mul_f64_e32 v[32:33], v[24:25], v[40:41]
	v_add_f64_e32 v[26:27], v[28:29], v[26:27]
	v_add_f64_e32 v[28:29], v[169:170], v[173:174]
	v_fma_f64 v[40:41], v[4:5], v[34:35], v[175:176]
	v_fma_f64 v[34:35], v[2:3], v[34:35], -v[36:37]
	v_fma_f64 v[24:25], v[24:25], v[38:39], v[30:31]
	v_fma_f64 v[22:23], v[22:23], v[38:39], -v[32:33]
	v_add_f64_e32 v[26:27], v[26:27], v[18:19]
	v_add_f64_e32 v[28:29], v[28:29], v[20:21]
	ds_load_b128 v[2:5], v1 offset:1824
	ds_load_b128 v[18:21], v1 offset:1840
	s_wait_loadcnt_dscnt 0x301
	v_mul_f64_e32 v[36:37], v[2:3], v[44:45]
	v_mul_f64_e32 v[44:45], v[4:5], v[44:45]
	s_wait_loadcnt_dscnt 0x200
	v_mul_f64_e32 v[30:31], v[18:19], v[8:9]
	v_mul_f64_e32 v[8:9], v[20:21], v[8:9]
	v_add_f64_e32 v[26:27], v[26:27], v[34:35]
	v_add_f64_e32 v[28:29], v[28:29], v[40:41]
	v_fma_f64 v[32:33], v[4:5], v[42:43], v[36:37]
	v_fma_f64 v[34:35], v[2:3], v[42:43], -v[44:45]
	v_fma_f64 v[20:21], v[20:21], v[6:7], v[30:31]
	v_fma_f64 v[6:7], v[18:19], v[6:7], -v[8:9]
	v_add_f64_e32 v[26:27], v[26:27], v[22:23]
	v_add_f64_e32 v[28:29], v[28:29], v[24:25]
	ds_load_b128 v[2:5], v1 offset:1856
	ds_load_b128 v[22:25], v1 offset:1872
	s_wait_loadcnt_dscnt 0x101
	v_mul_f64_e32 v[36:37], v[2:3], v[12:13]
	v_mul_f64_e32 v[12:13], v[4:5], v[12:13]
	v_add_f64_e32 v[8:9], v[26:27], v[34:35]
	v_add_f64_e32 v[18:19], v[28:29], v[32:33]
	s_wait_loadcnt_dscnt 0x0
	v_mul_f64_e32 v[26:27], v[22:23], v[16:17]
	v_mul_f64_e32 v[16:17], v[24:25], v[16:17]
	v_fma_f64 v[4:5], v[4:5], v[10:11], v[36:37]
	v_fma_f64 v[1:2], v[2:3], v[10:11], -v[12:13]
	v_add_f64_e32 v[6:7], v[8:9], v[6:7]
	v_add_f64_e32 v[8:9], v[18:19], v[20:21]
	v_fma_f64 v[10:11], v[24:25], v[14:15], v[26:27]
	v_fma_f64 v[12:13], v[22:23], v[14:15], -v[16:17]
	s_delay_alu instid0(VALU_DEP_4) | instskip(NEXT) | instid1(VALU_DEP_4)
	v_add_f64_e32 v[1:2], v[6:7], v[1:2]
	v_add_f64_e32 v[3:4], v[8:9], v[4:5]
	s_delay_alu instid0(VALU_DEP_2) | instskip(NEXT) | instid1(VALU_DEP_2)
	v_add_f64_e32 v[1:2], v[1:2], v[12:13]
	v_add_f64_e32 v[3:4], v[3:4], v[10:11]
	s_delay_alu instid0(VALU_DEP_2) | instskip(NEXT) | instid1(VALU_DEP_2)
	v_add_f64_e64 v[1:2], v[165:166], -v[1:2]
	v_add_f64_e64 v[3:4], v[167:168], -v[3:4]
	scratch_store_b128 off, v[1:4], off offset:80
	v_cmpx_lt_u32_e32 3, v0
	s_cbranch_execz .LBB58_361
; %bb.360:
	scratch_load_b128 v[1:4], off, s30
	v_mov_b32_e32 v5, 0
	s_delay_alu instid0(VALU_DEP_1)
	v_dual_mov_b32 v6, v5 :: v_dual_mov_b32 v7, v5
	v_mov_b32_e32 v8, v5
	scratch_store_b128 off, v[5:8], off offset:64
	s_wait_loadcnt 0x0
	ds_store_b128 v164, v[1:4]
.LBB58_361:
	s_wait_alu 0xfffe
	s_or_b32 exec_lo, exec_lo, s0
	s_wait_storecnt_dscnt 0x0
	s_barrier_signal -1
	s_barrier_wait -1
	global_inv scope:SCOPE_SE
	s_clause 0x7
	scratch_load_b128 v[2:5], off, off offset:80
	scratch_load_b128 v[6:9], off, off offset:96
	;; [unrolled: 1-line block ×8, first 2 shown]
	v_mov_b32_e32 v1, 0
	s_mov_b32 s0, exec_lo
	ds_load_b128 v[38:41], v1 offset:1008
	s_clause 0x1
	scratch_load_b128 v[34:37], off, off offset:208
	scratch_load_b128 v[42:45], off, off offset:64
	ds_load_b128 v[165:168], v1 offset:1024
	scratch_load_b128 v[169:172], off, off offset:224
	s_wait_loadcnt_dscnt 0xa01
	v_mul_f64_e32 v[173:174], v[40:41], v[4:5]
	v_mul_f64_e32 v[4:5], v[38:39], v[4:5]
	s_delay_alu instid0(VALU_DEP_2) | instskip(NEXT) | instid1(VALU_DEP_2)
	v_fma_f64 v[179:180], v[38:39], v[2:3], -v[173:174]
	v_fma_f64 v[181:182], v[40:41], v[2:3], v[4:5]
	ds_load_b128 v[2:5], v1 offset:1040
	s_wait_loadcnt_dscnt 0x901
	v_mul_f64_e32 v[177:178], v[165:166], v[8:9]
	v_mul_f64_e32 v[8:9], v[167:168], v[8:9]
	scratch_load_b128 v[38:41], off, off offset:240
	ds_load_b128 v[173:176], v1 offset:1056
	s_wait_loadcnt_dscnt 0x901
	v_mul_f64_e32 v[183:184], v[2:3], v[12:13]
	v_mul_f64_e32 v[12:13], v[4:5], v[12:13]
	v_fma_f64 v[167:168], v[167:168], v[6:7], v[177:178]
	v_fma_f64 v[165:166], v[165:166], v[6:7], -v[8:9]
	v_add_f64_e32 v[177:178], 0, v[179:180]
	v_add_f64_e32 v[179:180], 0, v[181:182]
	scratch_load_b128 v[6:9], off, off offset:256
	v_fma_f64 v[183:184], v[4:5], v[10:11], v[183:184]
	v_fma_f64 v[185:186], v[2:3], v[10:11], -v[12:13]
	ds_load_b128 v[2:5], v1 offset:1072
	s_wait_loadcnt_dscnt 0x901
	v_mul_f64_e32 v[181:182], v[173:174], v[16:17]
	v_mul_f64_e32 v[16:17], v[175:176], v[16:17]
	scratch_load_b128 v[10:13], off, off offset:272
	v_add_f64_e32 v[177:178], v[177:178], v[165:166]
	v_add_f64_e32 v[179:180], v[179:180], v[167:168]
	s_wait_loadcnt_dscnt 0x900
	v_mul_f64_e32 v[187:188], v[2:3], v[20:21]
	v_mul_f64_e32 v[20:21], v[4:5], v[20:21]
	ds_load_b128 v[165:168], v1 offset:1088
	v_fma_f64 v[175:176], v[175:176], v[14:15], v[181:182]
	v_fma_f64 v[173:174], v[173:174], v[14:15], -v[16:17]
	scratch_load_b128 v[14:17], off, off offset:288
	v_add_f64_e32 v[177:178], v[177:178], v[185:186]
	v_add_f64_e32 v[179:180], v[179:180], v[183:184]
	v_fma_f64 v[183:184], v[4:5], v[18:19], v[187:188]
	v_fma_f64 v[185:186], v[2:3], v[18:19], -v[20:21]
	ds_load_b128 v[2:5], v1 offset:1104
	s_wait_loadcnt_dscnt 0x901
	v_mul_f64_e32 v[181:182], v[165:166], v[24:25]
	v_mul_f64_e32 v[24:25], v[167:168], v[24:25]
	scratch_load_b128 v[18:21], off, off offset:304
	s_wait_loadcnt_dscnt 0x900
	v_mul_f64_e32 v[187:188], v[2:3], v[28:29]
	v_mul_f64_e32 v[28:29], v[4:5], v[28:29]
	v_add_f64_e32 v[177:178], v[177:178], v[173:174]
	v_add_f64_e32 v[179:180], v[179:180], v[175:176]
	ds_load_b128 v[173:176], v1 offset:1120
	v_fma_f64 v[167:168], v[167:168], v[22:23], v[181:182]
	v_fma_f64 v[165:166], v[165:166], v[22:23], -v[24:25]
	scratch_load_b128 v[22:25], off, off offset:320
	v_add_f64_e32 v[177:178], v[177:178], v[185:186]
	v_add_f64_e32 v[179:180], v[179:180], v[183:184]
	v_fma_f64 v[183:184], v[4:5], v[26:27], v[187:188]
	v_fma_f64 v[185:186], v[2:3], v[26:27], -v[28:29]
	ds_load_b128 v[2:5], v1 offset:1136
	s_wait_loadcnt_dscnt 0x901
	v_mul_f64_e32 v[181:182], v[173:174], v[32:33]
	v_mul_f64_e32 v[32:33], v[175:176], v[32:33]
	scratch_load_b128 v[26:29], off, off offset:336
	s_wait_loadcnt_dscnt 0x900
	v_mul_f64_e32 v[187:188], v[2:3], v[36:37]
	v_mul_f64_e32 v[36:37], v[4:5], v[36:37]
	v_add_f64_e32 v[177:178], v[177:178], v[165:166]
	v_add_f64_e32 v[179:180], v[179:180], v[167:168]
	ds_load_b128 v[165:168], v1 offset:1152
	v_fma_f64 v[175:176], v[175:176], v[30:31], v[181:182]
	v_fma_f64 v[173:174], v[173:174], v[30:31], -v[32:33]
	scratch_load_b128 v[30:33], off, off offset:352
	v_add_f64_e32 v[177:178], v[177:178], v[185:186]
	v_add_f64_e32 v[179:180], v[179:180], v[183:184]
	v_fma_f64 v[185:186], v[4:5], v[34:35], v[187:188]
	v_fma_f64 v[187:188], v[2:3], v[34:35], -v[36:37]
	ds_load_b128 v[2:5], v1 offset:1168
	s_wait_loadcnt_dscnt 0x801
	v_mul_f64_e32 v[181:182], v[165:166], v[171:172]
	v_mul_f64_e32 v[183:184], v[167:168], v[171:172]
	scratch_load_b128 v[34:37], off, off offset:368
	v_add_f64_e32 v[177:178], v[177:178], v[173:174]
	v_add_f64_e32 v[175:176], v[179:180], v[175:176]
	ds_load_b128 v[171:174], v1 offset:1184
	v_fma_f64 v[181:182], v[167:168], v[169:170], v[181:182]
	v_fma_f64 v[169:170], v[165:166], v[169:170], -v[183:184]
	scratch_load_b128 v[165:168], off, off offset:384
	s_wait_loadcnt_dscnt 0x901
	v_mul_f64_e32 v[179:180], v[2:3], v[40:41]
	v_mul_f64_e32 v[40:41], v[4:5], v[40:41]
	v_add_f64_e32 v[177:178], v[177:178], v[187:188]
	v_add_f64_e32 v[175:176], v[175:176], v[185:186]
	s_delay_alu instid0(VALU_DEP_4) | instskip(NEXT) | instid1(VALU_DEP_4)
	v_fma_f64 v[179:180], v[4:5], v[38:39], v[179:180]
	v_fma_f64 v[185:186], v[2:3], v[38:39], -v[40:41]
	ds_load_b128 v[2:5], v1 offset:1200
	s_wait_loadcnt_dscnt 0x801
	v_mul_f64_e32 v[183:184], v[171:172], v[8:9]
	v_mul_f64_e32 v[8:9], v[173:174], v[8:9]
	scratch_load_b128 v[38:41], off, off offset:400
	s_wait_loadcnt_dscnt 0x800
	v_mul_f64_e32 v[187:188], v[2:3], v[12:13]
	v_add_f64_e32 v[169:170], v[177:178], v[169:170]
	v_add_f64_e32 v[181:182], v[175:176], v[181:182]
	v_mul_f64_e32 v[12:13], v[4:5], v[12:13]
	ds_load_b128 v[175:178], v1 offset:1216
	v_fma_f64 v[173:174], v[173:174], v[6:7], v[183:184]
	v_fma_f64 v[171:172], v[171:172], v[6:7], -v[8:9]
	scratch_load_b128 v[6:9], off, off offset:416
	v_fma_f64 v[183:184], v[4:5], v[10:11], v[187:188]
	v_add_f64_e32 v[169:170], v[169:170], v[185:186]
	v_add_f64_e32 v[179:180], v[181:182], v[179:180]
	v_fma_f64 v[185:186], v[2:3], v[10:11], -v[12:13]
	ds_load_b128 v[2:5], v1 offset:1232
	s_wait_loadcnt_dscnt 0x801
	v_mul_f64_e32 v[181:182], v[175:176], v[16:17]
	v_mul_f64_e32 v[16:17], v[177:178], v[16:17]
	scratch_load_b128 v[10:13], off, off offset:432
	v_add_f64_e32 v[187:188], v[169:170], v[171:172]
	v_add_f64_e32 v[173:174], v[179:180], v[173:174]
	s_wait_loadcnt_dscnt 0x800
	v_mul_f64_e32 v[179:180], v[2:3], v[20:21]
	v_mul_f64_e32 v[20:21], v[4:5], v[20:21]
	v_fma_f64 v[177:178], v[177:178], v[14:15], v[181:182]
	v_fma_f64 v[175:176], v[175:176], v[14:15], -v[16:17]
	ds_load_b128 v[169:172], v1 offset:1248
	scratch_load_b128 v[14:17], off, off offset:448
	v_add_f64_e32 v[181:182], v[187:188], v[185:186]
	v_add_f64_e32 v[173:174], v[173:174], v[183:184]
	v_fma_f64 v[179:180], v[4:5], v[18:19], v[179:180]
	v_fma_f64 v[185:186], v[2:3], v[18:19], -v[20:21]
	ds_load_b128 v[2:5], v1 offset:1264
	s_wait_loadcnt_dscnt 0x801
	v_mul_f64_e32 v[183:184], v[169:170], v[24:25]
	v_mul_f64_e32 v[24:25], v[171:172], v[24:25]
	scratch_load_b128 v[18:21], off, off offset:464
	s_wait_loadcnt_dscnt 0x800
	v_mul_f64_e32 v[187:188], v[2:3], v[28:29]
	v_mul_f64_e32 v[28:29], v[4:5], v[28:29]
	v_add_f64_e32 v[181:182], v[181:182], v[175:176]
	v_add_f64_e32 v[177:178], v[173:174], v[177:178]
	ds_load_b128 v[173:176], v1 offset:1280
	v_fma_f64 v[171:172], v[171:172], v[22:23], v[183:184]
	v_fma_f64 v[169:170], v[169:170], v[22:23], -v[24:25]
	scratch_load_b128 v[22:25], off, off offset:480
	v_fma_f64 v[183:184], v[4:5], v[26:27], v[187:188]
	v_add_f64_e32 v[181:182], v[181:182], v[185:186]
	v_add_f64_e32 v[177:178], v[177:178], v[179:180]
	v_fma_f64 v[185:186], v[2:3], v[26:27], -v[28:29]
	ds_load_b128 v[2:5], v1 offset:1296
	s_wait_loadcnt_dscnt 0x801
	v_mul_f64_e32 v[179:180], v[173:174], v[32:33]
	v_mul_f64_e32 v[32:33], v[175:176], v[32:33]
	scratch_load_b128 v[26:29], off, off offset:496
	s_wait_loadcnt_dscnt 0x800
	v_mul_f64_e32 v[187:188], v[2:3], v[36:37]
	v_mul_f64_e32 v[36:37], v[4:5], v[36:37]
	v_add_f64_e32 v[181:182], v[181:182], v[169:170]
	v_add_f64_e32 v[177:178], v[177:178], v[171:172]
	ds_load_b128 v[169:172], v1 offset:1312
	v_fma_f64 v[175:176], v[175:176], v[30:31], v[179:180]
	v_fma_f64 v[173:174], v[173:174], v[30:31], -v[32:33]
	scratch_load_b128 v[30:33], off, off offset:512
	v_add_f64_e32 v[179:180], v[181:182], v[185:186]
	v_add_f64_e32 v[177:178], v[177:178], v[183:184]
	v_fma_f64 v[183:184], v[4:5], v[34:35], v[187:188]
	v_fma_f64 v[185:186], v[2:3], v[34:35], -v[36:37]
	ds_load_b128 v[2:5], v1 offset:1328
	s_wait_loadcnt_dscnt 0x801
	v_mul_f64_e32 v[181:182], v[169:170], v[167:168]
	v_mul_f64_e32 v[167:168], v[171:172], v[167:168]
	scratch_load_b128 v[34:37], off, off offset:528
	s_wait_loadcnt_dscnt 0x800
	v_mul_f64_e32 v[187:188], v[2:3], v[40:41]
	v_mul_f64_e32 v[40:41], v[4:5], v[40:41]
	v_add_f64_e32 v[179:180], v[179:180], v[173:174]
	v_add_f64_e32 v[177:178], v[177:178], v[175:176]
	ds_load_b128 v[173:176], v1 offset:1344
	v_fma_f64 v[171:172], v[171:172], v[165:166], v[181:182]
	v_fma_f64 v[169:170], v[169:170], v[165:166], -v[167:168]
	scratch_load_b128 v[165:168], off, off offset:544
	v_add_f64_e32 v[179:180], v[179:180], v[185:186]
	v_add_f64_e32 v[177:178], v[177:178], v[183:184]
	v_fma_f64 v[183:184], v[4:5], v[38:39], v[187:188]
	;; [unrolled: 18-line block ×6, first 2 shown]
	v_fma_f64 v[187:188], v[2:3], v[34:35], -v[36:37]
	ds_load_b128 v[2:5], v1 offset:1488
	s_wait_loadcnt_dscnt 0x801
	v_mul_f64_e32 v[181:182], v[173:174], v[167:168]
	v_mul_f64_e32 v[183:184], v[175:176], v[167:168]
	scratch_load_b128 v[34:37], off, off offset:688
	v_add_f64_e32 v[179:180], v[179:180], v[169:170]
	v_add_f64_e32 v[171:172], v[177:178], v[171:172]
	s_wait_loadcnt_dscnt 0x800
	v_mul_f64_e32 v[177:178], v[2:3], v[40:41]
	v_mul_f64_e32 v[40:41], v[4:5], v[40:41]
	ds_load_b128 v[167:170], v1 offset:1504
	v_fma_f64 v[175:176], v[175:176], v[165:166], v[181:182]
	v_fma_f64 v[165:166], v[173:174], v[165:166], -v[183:184]
	v_add_f64_e32 v[179:180], v[179:180], v[187:188]
	v_add_f64_e32 v[181:182], v[171:172], v[185:186]
	scratch_load_b128 v[171:174], off, off offset:704
	v_fma_f64 v[185:186], v[4:5], v[38:39], v[177:178]
	v_fma_f64 v[187:188], v[2:3], v[38:39], -v[40:41]
	ds_load_b128 v[2:5], v1 offset:1520
	s_wait_loadcnt_dscnt 0x801
	v_mul_f64_e32 v[183:184], v[167:168], v[8:9]
	v_mul_f64_e32 v[8:9], v[169:170], v[8:9]
	scratch_load_b128 v[38:41], off, off offset:720
	v_add_f64_e32 v[165:166], v[179:180], v[165:166]
	v_add_f64_e32 v[179:180], v[181:182], v[175:176]
	s_wait_loadcnt_dscnt 0x800
	v_mul_f64_e32 v[181:182], v[2:3], v[12:13]
	v_mul_f64_e32 v[12:13], v[4:5], v[12:13]
	ds_load_b128 v[175:178], v1 offset:1536
	v_fma_f64 v[169:170], v[169:170], v[6:7], v[183:184]
	v_fma_f64 v[167:168], v[167:168], v[6:7], -v[8:9]
	scratch_load_b128 v[6:9], off, off offset:736
	v_add_f64_e32 v[165:166], v[165:166], v[187:188]
	v_add_f64_e32 v[179:180], v[179:180], v[185:186]
	v_fma_f64 v[181:182], v[4:5], v[10:11], v[181:182]
	v_fma_f64 v[185:186], v[2:3], v[10:11], -v[12:13]
	ds_load_b128 v[2:5], v1 offset:1552
	s_wait_loadcnt_dscnt 0x801
	v_mul_f64_e32 v[183:184], v[175:176], v[16:17]
	v_mul_f64_e32 v[16:17], v[177:178], v[16:17]
	scratch_load_b128 v[10:13], off, off offset:752
	v_add_f64_e32 v[187:188], v[165:166], v[167:168]
	v_add_f64_e32 v[169:170], v[179:180], v[169:170]
	s_wait_loadcnt_dscnt 0x800
	v_mul_f64_e32 v[179:180], v[2:3], v[20:21]
	v_mul_f64_e32 v[20:21], v[4:5], v[20:21]
	ds_load_b128 v[165:168], v1 offset:1568
	v_fma_f64 v[177:178], v[177:178], v[14:15], v[183:184]
	v_fma_f64 v[175:176], v[175:176], v[14:15], -v[16:17]
	scratch_load_b128 v[14:17], off, off offset:768
	v_add_f64_e32 v[183:184], v[187:188], v[185:186]
	v_add_f64_e32 v[169:170], v[169:170], v[181:182]
	v_fma_f64 v[179:180], v[4:5], v[18:19], v[179:180]
	v_fma_f64 v[185:186], v[2:3], v[18:19], -v[20:21]
	ds_load_b128 v[2:5], v1 offset:1584
	s_wait_loadcnt_dscnt 0x801
	v_mul_f64_e32 v[181:182], v[165:166], v[24:25]
	v_mul_f64_e32 v[24:25], v[167:168], v[24:25]
	scratch_load_b128 v[18:21], off, off offset:784
	s_wait_loadcnt_dscnt 0x800
	v_mul_f64_e32 v[187:188], v[2:3], v[28:29]
	v_mul_f64_e32 v[28:29], v[4:5], v[28:29]
	v_add_f64_e32 v[183:184], v[183:184], v[175:176]
	v_add_f64_e32 v[169:170], v[169:170], v[177:178]
	ds_load_b128 v[175:178], v1 offset:1600
	v_fma_f64 v[167:168], v[167:168], v[22:23], v[181:182]
	v_fma_f64 v[165:166], v[165:166], v[22:23], -v[24:25]
	scratch_load_b128 v[22:25], off, off offset:800
	v_add_f64_e32 v[181:182], v[183:184], v[185:186]
	v_add_f64_e32 v[169:170], v[169:170], v[179:180]
	v_fma_f64 v[183:184], v[4:5], v[26:27], v[187:188]
	v_fma_f64 v[185:186], v[2:3], v[26:27], -v[28:29]
	ds_load_b128 v[2:5], v1 offset:1616
	s_wait_loadcnt_dscnt 0x801
	v_mul_f64_e32 v[179:180], v[175:176], v[32:33]
	v_mul_f64_e32 v[32:33], v[177:178], v[32:33]
	scratch_load_b128 v[26:29], off, off offset:816
	s_wait_loadcnt_dscnt 0x800
	v_mul_f64_e32 v[187:188], v[2:3], v[36:37]
	v_mul_f64_e32 v[36:37], v[4:5], v[36:37]
	v_add_f64_e32 v[181:182], v[181:182], v[165:166]
	v_add_f64_e32 v[169:170], v[169:170], v[167:168]
	ds_load_b128 v[165:168], v1 offset:1632
	v_fma_f64 v[177:178], v[177:178], v[30:31], v[179:180]
	v_fma_f64 v[175:176], v[175:176], v[30:31], -v[32:33]
	scratch_load_b128 v[30:33], off, off offset:832
	v_add_f64_e32 v[179:180], v[181:182], v[185:186]
	v_add_f64_e32 v[169:170], v[169:170], v[183:184]
	v_fma_f64 v[185:186], v[4:5], v[34:35], v[187:188]
	v_fma_f64 v[187:188], v[2:3], v[34:35], -v[36:37]
	ds_load_b128 v[2:5], v1 offset:1648
	scratch_load_b128 v[34:37], off, off offset:848
	s_wait_loadcnt_dscnt 0x901
	v_mul_f64_e32 v[181:182], v[165:166], v[173:174]
	v_mul_f64_e32 v[183:184], v[167:168], v[173:174]
	v_add_f64_e32 v[179:180], v[179:180], v[175:176]
	v_add_f64_e32 v[169:170], v[169:170], v[177:178]
	s_wait_loadcnt_dscnt 0x800
	v_mul_f64_e32 v[177:178], v[2:3], v[40:41]
	v_mul_f64_e32 v[40:41], v[4:5], v[40:41]
	ds_load_b128 v[173:176], v1 offset:1664
	v_fma_f64 v[181:182], v[167:168], v[171:172], v[181:182]
	v_fma_f64 v[171:172], v[165:166], v[171:172], -v[183:184]
	scratch_load_b128 v[165:168], off, off offset:864
	v_add_f64_e32 v[179:180], v[179:180], v[187:188]
	v_add_f64_e32 v[169:170], v[169:170], v[185:186]
	v_fma_f64 v[177:178], v[4:5], v[38:39], v[177:178]
	v_fma_f64 v[185:186], v[2:3], v[38:39], -v[40:41]
	ds_load_b128 v[2:5], v1 offset:1680
	s_wait_loadcnt_dscnt 0x801
	v_mul_f64_e32 v[183:184], v[173:174], v[8:9]
	v_mul_f64_e32 v[8:9], v[175:176], v[8:9]
	scratch_load_b128 v[38:41], off, off offset:880
	s_wait_loadcnt_dscnt 0x800
	v_mul_f64_e32 v[187:188], v[2:3], v[12:13]
	v_mul_f64_e32 v[12:13], v[4:5], v[12:13]
	v_add_f64_e32 v[179:180], v[179:180], v[171:172]
	v_add_f64_e32 v[181:182], v[169:170], v[181:182]
	ds_load_b128 v[169:172], v1 offset:1696
	v_fma_f64 v[175:176], v[175:176], v[6:7], v[183:184]
	v_fma_f64 v[173:174], v[173:174], v[6:7], -v[8:9]
	scratch_load_b128 v[6:9], off, off offset:896
	v_fma_f64 v[183:184], v[4:5], v[10:11], v[187:188]
	v_add_f64_e32 v[179:180], v[179:180], v[185:186]
	v_add_f64_e32 v[177:178], v[181:182], v[177:178]
	v_fma_f64 v[185:186], v[2:3], v[10:11], -v[12:13]
	ds_load_b128 v[2:5], v1 offset:1712
	s_wait_loadcnt_dscnt 0x801
	v_mul_f64_e32 v[181:182], v[169:170], v[16:17]
	v_mul_f64_e32 v[16:17], v[171:172], v[16:17]
	scratch_load_b128 v[10:13], off, off offset:912
	s_wait_loadcnt_dscnt 0x800
	v_mul_f64_e32 v[187:188], v[2:3], v[20:21]
	v_mul_f64_e32 v[20:21], v[4:5], v[20:21]
	v_add_f64_e32 v[179:180], v[179:180], v[173:174]
	v_add_f64_e32 v[177:178], v[177:178], v[175:176]
	ds_load_b128 v[173:176], v1 offset:1728
	v_fma_f64 v[171:172], v[171:172], v[14:15], v[181:182]
	v_fma_f64 v[169:170], v[169:170], v[14:15], -v[16:17]
	scratch_load_b128 v[14:17], off, off offset:928
	v_add_f64_e32 v[179:180], v[179:180], v[185:186]
	v_add_f64_e32 v[177:178], v[177:178], v[183:184]
	v_fma_f64 v[183:184], v[4:5], v[18:19], v[187:188]
	v_fma_f64 v[185:186], v[2:3], v[18:19], -v[20:21]
	ds_load_b128 v[2:5], v1 offset:1744
	s_wait_loadcnt_dscnt 0x801
	v_mul_f64_e32 v[181:182], v[173:174], v[24:25]
	v_mul_f64_e32 v[24:25], v[175:176], v[24:25]
	scratch_load_b128 v[18:21], off, off offset:944
	s_wait_loadcnt_dscnt 0x800
	v_mul_f64_e32 v[187:188], v[2:3], v[28:29]
	v_mul_f64_e32 v[28:29], v[4:5], v[28:29]
	v_add_f64_e32 v[179:180], v[179:180], v[169:170]
	v_add_f64_e32 v[177:178], v[177:178], v[171:172]
	ds_load_b128 v[169:172], v1 offset:1760
	v_fma_f64 v[175:176], v[175:176], v[22:23], v[181:182]
	v_fma_f64 v[22:23], v[173:174], v[22:23], -v[24:25]
	v_add_f64_e32 v[24:25], v[179:180], v[185:186]
	v_add_f64_e32 v[173:174], v[177:178], v[183:184]
	s_wait_loadcnt_dscnt 0x700
	v_mul_f64_e32 v[177:178], v[169:170], v[32:33]
	v_mul_f64_e32 v[32:33], v[171:172], v[32:33]
	v_fma_f64 v[179:180], v[4:5], v[26:27], v[187:188]
	v_fma_f64 v[26:27], v[2:3], v[26:27], -v[28:29]
	v_add_f64_e32 v[28:29], v[24:25], v[22:23]
	v_add_f64_e32 v[173:174], v[173:174], v[175:176]
	ds_load_b128 v[2:5], v1 offset:1776
	ds_load_b128 v[22:25], v1 offset:1792
	v_fma_f64 v[171:172], v[171:172], v[30:31], v[177:178]
	v_fma_f64 v[30:31], v[169:170], v[30:31], -v[32:33]
	s_wait_loadcnt_dscnt 0x601
	v_mul_f64_e32 v[175:176], v[2:3], v[36:37]
	v_mul_f64_e32 v[36:37], v[4:5], v[36:37]
	s_wait_loadcnt_dscnt 0x500
	v_mul_f64_e32 v[32:33], v[22:23], v[167:168]
	v_mul_f64_e32 v[167:168], v[24:25], v[167:168]
	v_add_f64_e32 v[26:27], v[28:29], v[26:27]
	v_add_f64_e32 v[28:29], v[173:174], v[179:180]
	v_fma_f64 v[169:170], v[4:5], v[34:35], v[175:176]
	v_fma_f64 v[34:35], v[2:3], v[34:35], -v[36:37]
	v_fma_f64 v[24:25], v[24:25], v[165:166], v[32:33]
	v_fma_f64 v[22:23], v[22:23], v[165:166], -v[167:168]
	v_add_f64_e32 v[30:31], v[26:27], v[30:31]
	v_add_f64_e32 v[36:37], v[28:29], v[171:172]
	ds_load_b128 v[2:5], v1 offset:1808
	ds_load_b128 v[26:29], v1 offset:1824
	s_wait_loadcnt_dscnt 0x401
	v_mul_f64_e32 v[171:172], v[2:3], v[40:41]
	v_mul_f64_e32 v[40:41], v[4:5], v[40:41]
	v_add_f64_e32 v[30:31], v[30:31], v[34:35]
	v_add_f64_e32 v[32:33], v[36:37], v[169:170]
	s_wait_loadcnt_dscnt 0x300
	v_mul_f64_e32 v[34:35], v[26:27], v[8:9]
	v_mul_f64_e32 v[8:9], v[28:29], v[8:9]
	v_fma_f64 v[36:37], v[4:5], v[38:39], v[171:172]
	v_fma_f64 v[38:39], v[2:3], v[38:39], -v[40:41]
	v_add_f64_e32 v[30:31], v[30:31], v[22:23]
	v_add_f64_e32 v[32:33], v[32:33], v[24:25]
	ds_load_b128 v[2:5], v1 offset:1840
	ds_load_b128 v[22:25], v1 offset:1856
	v_fma_f64 v[28:29], v[28:29], v[6:7], v[34:35]
	v_fma_f64 v[6:7], v[26:27], v[6:7], -v[8:9]
	s_wait_loadcnt_dscnt 0x201
	v_mul_f64_e32 v[40:41], v[2:3], v[12:13]
	v_mul_f64_e32 v[12:13], v[4:5], v[12:13]
	v_add_f64_e32 v[8:9], v[30:31], v[38:39]
	v_add_f64_e32 v[26:27], v[32:33], v[36:37]
	s_wait_loadcnt_dscnt 0x100
	v_mul_f64_e32 v[30:31], v[22:23], v[16:17]
	v_mul_f64_e32 v[16:17], v[24:25], v[16:17]
	v_fma_f64 v[32:33], v[4:5], v[10:11], v[40:41]
	v_fma_f64 v[10:11], v[2:3], v[10:11], -v[12:13]
	ds_load_b128 v[2:5], v1 offset:1872
	v_add_f64_e32 v[6:7], v[8:9], v[6:7]
	v_add_f64_e32 v[8:9], v[26:27], v[28:29]
	v_fma_f64 v[24:25], v[24:25], v[14:15], v[30:31]
	v_fma_f64 v[14:15], v[22:23], v[14:15], -v[16:17]
	s_wait_loadcnt_dscnt 0x0
	v_mul_f64_e32 v[12:13], v[2:3], v[20:21]
	v_mul_f64_e32 v[20:21], v[4:5], v[20:21]
	v_add_f64_e32 v[6:7], v[6:7], v[10:11]
	v_add_f64_e32 v[8:9], v[8:9], v[32:33]
	s_delay_alu instid0(VALU_DEP_4) | instskip(NEXT) | instid1(VALU_DEP_4)
	v_fma_f64 v[4:5], v[4:5], v[18:19], v[12:13]
	v_fma_f64 v[2:3], v[2:3], v[18:19], -v[20:21]
	s_delay_alu instid0(VALU_DEP_4) | instskip(NEXT) | instid1(VALU_DEP_4)
	v_add_f64_e32 v[6:7], v[6:7], v[14:15]
	v_add_f64_e32 v[8:9], v[8:9], v[24:25]
	s_delay_alu instid0(VALU_DEP_2) | instskip(NEXT) | instid1(VALU_DEP_2)
	v_add_f64_e32 v[2:3], v[6:7], v[2:3]
	v_add_f64_e32 v[4:5], v[8:9], v[4:5]
	s_delay_alu instid0(VALU_DEP_2) | instskip(NEXT) | instid1(VALU_DEP_2)
	v_add_f64_e64 v[2:3], v[42:43], -v[2:3]
	v_add_f64_e64 v[4:5], v[44:45], -v[4:5]
	scratch_store_b128 off, v[2:5], off offset:64
	v_cmpx_lt_u32_e32 2, v0
	s_cbranch_execz .LBB58_363
; %bb.362:
	scratch_load_b128 v[5:8], off, s33
	v_dual_mov_b32 v2, v1 :: v_dual_mov_b32 v3, v1
	v_mov_b32_e32 v4, v1
	scratch_store_b128 off, v[1:4], off offset:48
	s_wait_loadcnt 0x0
	ds_store_b128 v164, v[5:8]
.LBB58_363:
	s_wait_alu 0xfffe
	s_or_b32 exec_lo, exec_lo, s0
	s_wait_storecnt_dscnt 0x0
	s_barrier_signal -1
	s_barrier_wait -1
	global_inv scope:SCOPE_SE
	s_clause 0x8
	scratch_load_b128 v[2:5], off, off offset:64
	scratch_load_b128 v[6:9], off, off offset:80
	;; [unrolled: 1-line block ×9, first 2 shown]
	ds_load_b128 v[42:45], v1 offset:992
	ds_load_b128 v[38:41], v1 offset:1008
	s_clause 0x1
	scratch_load_b128 v[165:168], off, off offset:48
	scratch_load_b128 v[169:172], off, off offset:208
	s_mov_b32 s0, exec_lo
	s_wait_loadcnt_dscnt 0xa01
	v_mul_f64_e32 v[173:174], v[44:45], v[4:5]
	v_mul_f64_e32 v[4:5], v[42:43], v[4:5]
	s_wait_loadcnt_dscnt 0x900
	v_mul_f64_e32 v[177:178], v[38:39], v[8:9]
	v_mul_f64_e32 v[8:9], v[40:41], v[8:9]
	s_delay_alu instid0(VALU_DEP_4) | instskip(NEXT) | instid1(VALU_DEP_4)
	v_fma_f64 v[179:180], v[42:43], v[2:3], -v[173:174]
	v_fma_f64 v[181:182], v[44:45], v[2:3], v[4:5]
	ds_load_b128 v[2:5], v1 offset:1024
	ds_load_b128 v[173:176], v1 offset:1040
	scratch_load_b128 v[42:45], off, off offset:224
	v_fma_f64 v[40:41], v[40:41], v[6:7], v[177:178]
	v_fma_f64 v[38:39], v[38:39], v[6:7], -v[8:9]
	scratch_load_b128 v[6:9], off, off offset:240
	s_wait_loadcnt_dscnt 0xa01
	v_mul_f64_e32 v[183:184], v[2:3], v[12:13]
	v_mul_f64_e32 v[12:13], v[4:5], v[12:13]
	v_add_f64_e32 v[177:178], 0, v[179:180]
	v_add_f64_e32 v[179:180], 0, v[181:182]
	s_wait_loadcnt_dscnt 0x900
	v_mul_f64_e32 v[181:182], v[173:174], v[16:17]
	v_mul_f64_e32 v[16:17], v[175:176], v[16:17]
	v_fma_f64 v[183:184], v[4:5], v[10:11], v[183:184]
	v_fma_f64 v[185:186], v[2:3], v[10:11], -v[12:13]
	ds_load_b128 v[2:5], v1 offset:1056
	scratch_load_b128 v[10:13], off, off offset:256
	v_add_f64_e32 v[177:178], v[177:178], v[38:39]
	v_add_f64_e32 v[179:180], v[179:180], v[40:41]
	ds_load_b128 v[38:41], v1 offset:1072
	v_fma_f64 v[175:176], v[175:176], v[14:15], v[181:182]
	v_fma_f64 v[173:174], v[173:174], v[14:15], -v[16:17]
	scratch_load_b128 v[14:17], off, off offset:272
	s_wait_loadcnt_dscnt 0xa01
	v_mul_f64_e32 v[187:188], v[2:3], v[20:21]
	v_mul_f64_e32 v[20:21], v[4:5], v[20:21]
	s_wait_loadcnt_dscnt 0x900
	v_mul_f64_e32 v[181:182], v[38:39], v[24:25]
	v_mul_f64_e32 v[24:25], v[40:41], v[24:25]
	v_add_f64_e32 v[177:178], v[177:178], v[185:186]
	v_add_f64_e32 v[179:180], v[179:180], v[183:184]
	v_fma_f64 v[183:184], v[4:5], v[18:19], v[187:188]
	v_fma_f64 v[185:186], v[2:3], v[18:19], -v[20:21]
	ds_load_b128 v[2:5], v1 offset:1088
	scratch_load_b128 v[18:21], off, off offset:288
	v_fma_f64 v[40:41], v[40:41], v[22:23], v[181:182]
	v_fma_f64 v[38:39], v[38:39], v[22:23], -v[24:25]
	scratch_load_b128 v[22:25], off, off offset:304
	v_add_f64_e32 v[177:178], v[177:178], v[173:174]
	v_add_f64_e32 v[179:180], v[179:180], v[175:176]
	ds_load_b128 v[173:176], v1 offset:1104
	s_wait_loadcnt_dscnt 0xa01
	v_mul_f64_e32 v[187:188], v[2:3], v[28:29]
	v_mul_f64_e32 v[28:29], v[4:5], v[28:29]
	s_wait_loadcnt_dscnt 0x900
	v_mul_f64_e32 v[181:182], v[173:174], v[32:33]
	v_mul_f64_e32 v[32:33], v[175:176], v[32:33]
	v_add_f64_e32 v[177:178], v[177:178], v[185:186]
	v_add_f64_e32 v[179:180], v[179:180], v[183:184]
	v_fma_f64 v[183:184], v[4:5], v[26:27], v[187:188]
	v_fma_f64 v[185:186], v[2:3], v[26:27], -v[28:29]
	ds_load_b128 v[2:5], v1 offset:1120
	scratch_load_b128 v[26:29], off, off offset:320
	v_fma_f64 v[175:176], v[175:176], v[30:31], v[181:182]
	v_fma_f64 v[173:174], v[173:174], v[30:31], -v[32:33]
	scratch_load_b128 v[30:33], off, off offset:336
	v_add_f64_e32 v[177:178], v[177:178], v[38:39]
	v_add_f64_e32 v[179:180], v[179:180], v[40:41]
	ds_load_b128 v[38:41], v1 offset:1136
	s_wait_loadcnt_dscnt 0xa01
	v_mul_f64_e32 v[187:188], v[2:3], v[36:37]
	v_mul_f64_e32 v[36:37], v[4:5], v[36:37]
	s_wait_loadcnt_dscnt 0x800
	v_mul_f64_e32 v[181:182], v[38:39], v[171:172]
	v_add_f64_e32 v[177:178], v[177:178], v[185:186]
	v_add_f64_e32 v[179:180], v[179:180], v[183:184]
	v_mul_f64_e32 v[183:184], v[40:41], v[171:172]
	v_fma_f64 v[185:186], v[4:5], v[34:35], v[187:188]
	v_fma_f64 v[187:188], v[2:3], v[34:35], -v[36:37]
	ds_load_b128 v[2:5], v1 offset:1152
	scratch_load_b128 v[34:37], off, off offset:352
	v_fma_f64 v[181:182], v[40:41], v[169:170], v[181:182]
	v_add_f64_e32 v[177:178], v[177:178], v[173:174]
	v_add_f64_e32 v[175:176], v[179:180], v[175:176]
	ds_load_b128 v[171:174], v1 offset:1168
	v_fma_f64 v[169:170], v[38:39], v[169:170], -v[183:184]
	scratch_load_b128 v[38:41], off, off offset:368
	s_wait_loadcnt_dscnt 0x901
	v_mul_f64_e32 v[179:180], v[2:3], v[44:45]
	v_mul_f64_e32 v[44:45], v[4:5], v[44:45]
	s_wait_loadcnt_dscnt 0x800
	v_mul_f64_e32 v[183:184], v[171:172], v[8:9]
	v_mul_f64_e32 v[8:9], v[173:174], v[8:9]
	v_add_f64_e32 v[177:178], v[177:178], v[187:188]
	v_add_f64_e32 v[175:176], v[175:176], v[185:186]
	v_fma_f64 v[179:180], v[4:5], v[42:43], v[179:180]
	v_fma_f64 v[185:186], v[2:3], v[42:43], -v[44:45]
	ds_load_b128 v[2:5], v1 offset:1184
	scratch_load_b128 v[42:45], off, off offset:384
	v_fma_f64 v[173:174], v[173:174], v[6:7], v[183:184]
	v_fma_f64 v[171:172], v[171:172], v[6:7], -v[8:9]
	scratch_load_b128 v[6:9], off, off offset:400
	v_add_f64_e32 v[169:170], v[177:178], v[169:170]
	v_add_f64_e32 v[181:182], v[175:176], v[181:182]
	ds_load_b128 v[175:178], v1 offset:1200
	s_wait_loadcnt_dscnt 0x901
	v_mul_f64_e32 v[187:188], v[2:3], v[12:13]
	v_mul_f64_e32 v[12:13], v[4:5], v[12:13]
	v_add_f64_e32 v[169:170], v[169:170], v[185:186]
	v_add_f64_e32 v[179:180], v[181:182], v[179:180]
	s_wait_loadcnt_dscnt 0x800
	v_mul_f64_e32 v[181:182], v[175:176], v[16:17]
	v_mul_f64_e32 v[16:17], v[177:178], v[16:17]
	v_fma_f64 v[183:184], v[4:5], v[10:11], v[187:188]
	v_fma_f64 v[185:186], v[2:3], v[10:11], -v[12:13]
	ds_load_b128 v[2:5], v1 offset:1216
	scratch_load_b128 v[10:13], off, off offset:416
	v_add_f64_e32 v[187:188], v[169:170], v[171:172]
	v_add_f64_e32 v[173:174], v[179:180], v[173:174]
	ds_load_b128 v[169:172], v1 offset:1232
	s_wait_loadcnt_dscnt 0x801
	v_mul_f64_e32 v[179:180], v[2:3], v[20:21]
	v_mul_f64_e32 v[20:21], v[4:5], v[20:21]
	v_fma_f64 v[177:178], v[177:178], v[14:15], v[181:182]
	v_fma_f64 v[175:176], v[175:176], v[14:15], -v[16:17]
	scratch_load_b128 v[14:17], off, off offset:432
	v_add_f64_e32 v[181:182], v[187:188], v[185:186]
	v_add_f64_e32 v[173:174], v[173:174], v[183:184]
	s_wait_loadcnt_dscnt 0x800
	v_mul_f64_e32 v[183:184], v[169:170], v[24:25]
	v_mul_f64_e32 v[24:25], v[171:172], v[24:25]
	v_fma_f64 v[179:180], v[4:5], v[18:19], v[179:180]
	v_fma_f64 v[185:186], v[2:3], v[18:19], -v[20:21]
	ds_load_b128 v[2:5], v1 offset:1248
	scratch_load_b128 v[18:21], off, off offset:448
	v_add_f64_e32 v[181:182], v[181:182], v[175:176]
	v_add_f64_e32 v[177:178], v[173:174], v[177:178]
	ds_load_b128 v[173:176], v1 offset:1264
	s_wait_loadcnt_dscnt 0x801
	v_mul_f64_e32 v[187:188], v[2:3], v[28:29]
	v_mul_f64_e32 v[28:29], v[4:5], v[28:29]
	v_fma_f64 v[171:172], v[171:172], v[22:23], v[183:184]
	v_fma_f64 v[169:170], v[169:170], v[22:23], -v[24:25]
	scratch_load_b128 v[22:25], off, off offset:464
	;; [unrolled: 18-line block ×4, first 2 shown]
	s_wait_loadcnt_dscnt 0x800
	v_mul_f64_e32 v[181:182], v[173:174], v[8:9]
	v_mul_f64_e32 v[8:9], v[175:176], v[8:9]
	v_add_f64_e32 v[179:180], v[179:180], v[185:186]
	v_add_f64_e32 v[177:178], v[177:178], v[183:184]
	v_fma_f64 v[183:184], v[4:5], v[42:43], v[187:188]
	v_fma_f64 v[185:186], v[2:3], v[42:43], -v[44:45]
	ds_load_b128 v[2:5], v1 offset:1344
	scratch_load_b128 v[42:45], off, off offset:544
	v_fma_f64 v[175:176], v[175:176], v[6:7], v[181:182]
	v_fma_f64 v[173:174], v[173:174], v[6:7], -v[8:9]
	scratch_load_b128 v[6:9], off, off offset:560
	v_add_f64_e32 v[179:180], v[179:180], v[169:170]
	v_add_f64_e32 v[177:178], v[177:178], v[171:172]
	ds_load_b128 v[169:172], v1 offset:1360
	s_wait_loadcnt_dscnt 0x901
	v_mul_f64_e32 v[187:188], v[2:3], v[12:13]
	v_mul_f64_e32 v[12:13], v[4:5], v[12:13]
	s_wait_loadcnt_dscnt 0x800
	v_mul_f64_e32 v[181:182], v[169:170], v[16:17]
	v_mul_f64_e32 v[16:17], v[171:172], v[16:17]
	v_add_f64_e32 v[179:180], v[179:180], v[185:186]
	v_add_f64_e32 v[177:178], v[177:178], v[183:184]
	v_fma_f64 v[183:184], v[4:5], v[10:11], v[187:188]
	v_fma_f64 v[185:186], v[2:3], v[10:11], -v[12:13]
	ds_load_b128 v[2:5], v1 offset:1376
	scratch_load_b128 v[10:13], off, off offset:576
	v_fma_f64 v[171:172], v[171:172], v[14:15], v[181:182]
	v_fma_f64 v[169:170], v[169:170], v[14:15], -v[16:17]
	scratch_load_b128 v[14:17], off, off offset:592
	v_add_f64_e32 v[179:180], v[179:180], v[173:174]
	v_add_f64_e32 v[177:178], v[177:178], v[175:176]
	ds_load_b128 v[173:176], v1 offset:1392
	s_wait_loadcnt_dscnt 0x901
	v_mul_f64_e32 v[187:188], v[2:3], v[20:21]
	v_mul_f64_e32 v[20:21], v[4:5], v[20:21]
	;; [unrolled: 18-line block ×13, first 2 shown]
	s_wait_loadcnt_dscnt 0x800
	v_mul_f64_e32 v[181:182], v[169:170], v[32:33]
	v_mul_f64_e32 v[32:33], v[171:172], v[32:33]
	v_add_f64_e32 v[179:180], v[179:180], v[185:186]
	v_add_f64_e32 v[177:178], v[177:178], v[183:184]
	v_fma_f64 v[183:184], v[4:5], v[26:27], v[187:188]
	v_fma_f64 v[185:186], v[2:3], v[26:27], -v[28:29]
	ds_load_b128 v[2:5], v1 offset:1760
	ds_load_b128 v[26:29], v1 offset:1776
	v_fma_f64 v[171:172], v[171:172], v[30:31], v[181:182]
	v_fma_f64 v[30:31], v[169:170], v[30:31], -v[32:33]
	v_add_f64_e32 v[173:174], v[179:180], v[173:174]
	v_add_f64_e32 v[175:176], v[177:178], v[175:176]
	s_wait_loadcnt_dscnt 0x701
	v_mul_f64_e32 v[177:178], v[2:3], v[36:37]
	v_mul_f64_e32 v[36:37], v[4:5], v[36:37]
	s_delay_alu instid0(VALU_DEP_4) | instskip(NEXT) | instid1(VALU_DEP_4)
	v_add_f64_e32 v[32:33], v[173:174], v[185:186]
	v_add_f64_e32 v[169:170], v[175:176], v[183:184]
	s_wait_loadcnt_dscnt 0x600
	v_mul_f64_e32 v[173:174], v[26:27], v[40:41]
	v_mul_f64_e32 v[40:41], v[28:29], v[40:41]
	v_fma_f64 v[175:176], v[4:5], v[34:35], v[177:178]
	v_fma_f64 v[34:35], v[2:3], v[34:35], -v[36:37]
	v_add_f64_e32 v[36:37], v[32:33], v[30:31]
	v_add_f64_e32 v[169:170], v[169:170], v[171:172]
	ds_load_b128 v[2:5], v1 offset:1792
	ds_load_b128 v[30:33], v1 offset:1808
	v_fma_f64 v[28:29], v[28:29], v[38:39], v[173:174]
	v_fma_f64 v[26:27], v[26:27], v[38:39], -v[40:41]
	s_wait_loadcnt_dscnt 0x501
	v_mul_f64_e32 v[171:172], v[2:3], v[44:45]
	v_mul_f64_e32 v[44:45], v[4:5], v[44:45]
	s_wait_loadcnt_dscnt 0x400
	v_mul_f64_e32 v[38:39], v[30:31], v[8:9]
	v_mul_f64_e32 v[8:9], v[32:33], v[8:9]
	v_add_f64_e32 v[34:35], v[36:37], v[34:35]
	v_add_f64_e32 v[36:37], v[169:170], v[175:176]
	v_fma_f64 v[40:41], v[4:5], v[42:43], v[171:172]
	v_fma_f64 v[42:43], v[2:3], v[42:43], -v[44:45]
	v_fma_f64 v[32:33], v[32:33], v[6:7], v[38:39]
	v_fma_f64 v[6:7], v[30:31], v[6:7], -v[8:9]
	v_add_f64_e32 v[34:35], v[34:35], v[26:27]
	v_add_f64_e32 v[36:37], v[36:37], v[28:29]
	ds_load_b128 v[2:5], v1 offset:1824
	ds_load_b128 v[26:29], v1 offset:1840
	s_wait_loadcnt_dscnt 0x301
	v_mul_f64_e32 v[44:45], v[2:3], v[12:13]
	v_mul_f64_e32 v[12:13], v[4:5], v[12:13]
	v_add_f64_e32 v[8:9], v[34:35], v[42:43]
	v_add_f64_e32 v[30:31], v[36:37], v[40:41]
	s_wait_loadcnt_dscnt 0x200
	v_mul_f64_e32 v[34:35], v[26:27], v[16:17]
	v_mul_f64_e32 v[16:17], v[28:29], v[16:17]
	v_fma_f64 v[36:37], v[4:5], v[10:11], v[44:45]
	v_fma_f64 v[10:11], v[2:3], v[10:11], -v[12:13]
	v_add_f64_e32 v[12:13], v[8:9], v[6:7]
	v_add_f64_e32 v[30:31], v[30:31], v[32:33]
	ds_load_b128 v[2:5], v1 offset:1856
	ds_load_b128 v[6:9], v1 offset:1872
	v_fma_f64 v[28:29], v[28:29], v[14:15], v[34:35]
	v_fma_f64 v[14:15], v[26:27], v[14:15], -v[16:17]
	s_wait_loadcnt_dscnt 0x101
	v_mul_f64_e32 v[32:33], v[2:3], v[20:21]
	v_mul_f64_e32 v[20:21], v[4:5], v[20:21]
	s_wait_loadcnt_dscnt 0x0
	v_mul_f64_e32 v[16:17], v[6:7], v[24:25]
	v_mul_f64_e32 v[24:25], v[8:9], v[24:25]
	v_add_f64_e32 v[10:11], v[12:13], v[10:11]
	v_add_f64_e32 v[12:13], v[30:31], v[36:37]
	v_fma_f64 v[4:5], v[4:5], v[18:19], v[32:33]
	v_fma_f64 v[1:2], v[2:3], v[18:19], -v[20:21]
	v_fma_f64 v[8:9], v[8:9], v[22:23], v[16:17]
	v_fma_f64 v[6:7], v[6:7], v[22:23], -v[24:25]
	v_add_f64_e32 v[10:11], v[10:11], v[14:15]
	v_add_f64_e32 v[12:13], v[12:13], v[28:29]
	s_delay_alu instid0(VALU_DEP_2) | instskip(NEXT) | instid1(VALU_DEP_2)
	v_add_f64_e32 v[1:2], v[10:11], v[1:2]
	v_add_f64_e32 v[3:4], v[12:13], v[4:5]
	s_delay_alu instid0(VALU_DEP_2) | instskip(NEXT) | instid1(VALU_DEP_2)
	;; [unrolled: 3-line block ×3, first 2 shown]
	v_add_f64_e64 v[1:2], v[165:166], -v[1:2]
	v_add_f64_e64 v[3:4], v[167:168], -v[3:4]
	scratch_store_b128 off, v[1:4], off offset:48
	v_cmpx_lt_u32_e32 1, v0
	s_cbranch_execz .LBB58_365
; %bb.364:
	scratch_load_b128 v[1:4], off, s35
	v_mov_b32_e32 v5, 0
	s_delay_alu instid0(VALU_DEP_1)
	v_dual_mov_b32 v6, v5 :: v_dual_mov_b32 v7, v5
	v_mov_b32_e32 v8, v5
	scratch_store_b128 off, v[5:8], off offset:32
	s_wait_loadcnt 0x0
	ds_store_b128 v164, v[1:4]
.LBB58_365:
	s_wait_alu 0xfffe
	s_or_b32 exec_lo, exec_lo, s0
	s_wait_storecnt_dscnt 0x0
	s_barrier_signal -1
	s_barrier_wait -1
	global_inv scope:SCOPE_SE
	s_clause 0x7
	scratch_load_b128 v[2:5], off, off offset:48
	scratch_load_b128 v[6:9], off, off offset:64
	;; [unrolled: 1-line block ×8, first 2 shown]
	v_mov_b32_e32 v1, 0
	s_mov_b32 s0, exec_lo
	ds_load_b128 v[38:41], v1 offset:976
	s_clause 0x1
	scratch_load_b128 v[34:37], off, off offset:176
	scratch_load_b128 v[42:45], off, off offset:32
	ds_load_b128 v[165:168], v1 offset:992
	scratch_load_b128 v[169:172], off, off offset:192
	s_wait_loadcnt_dscnt 0xa01
	v_mul_f64_e32 v[173:174], v[40:41], v[4:5]
	v_mul_f64_e32 v[4:5], v[38:39], v[4:5]
	s_delay_alu instid0(VALU_DEP_2) | instskip(NEXT) | instid1(VALU_DEP_2)
	v_fma_f64 v[179:180], v[38:39], v[2:3], -v[173:174]
	v_fma_f64 v[181:182], v[40:41], v[2:3], v[4:5]
	ds_load_b128 v[2:5], v1 offset:1008
	s_wait_loadcnt_dscnt 0x901
	v_mul_f64_e32 v[177:178], v[165:166], v[8:9]
	v_mul_f64_e32 v[8:9], v[167:168], v[8:9]
	scratch_load_b128 v[38:41], off, off offset:208
	ds_load_b128 v[173:176], v1 offset:1024
	s_wait_loadcnt_dscnt 0x901
	v_mul_f64_e32 v[183:184], v[2:3], v[12:13]
	v_mul_f64_e32 v[12:13], v[4:5], v[12:13]
	v_fma_f64 v[167:168], v[167:168], v[6:7], v[177:178]
	v_fma_f64 v[165:166], v[165:166], v[6:7], -v[8:9]
	v_add_f64_e32 v[177:178], 0, v[179:180]
	v_add_f64_e32 v[179:180], 0, v[181:182]
	scratch_load_b128 v[6:9], off, off offset:224
	v_fma_f64 v[183:184], v[4:5], v[10:11], v[183:184]
	v_fma_f64 v[185:186], v[2:3], v[10:11], -v[12:13]
	ds_load_b128 v[2:5], v1 offset:1040
	s_wait_loadcnt_dscnt 0x901
	v_mul_f64_e32 v[181:182], v[173:174], v[16:17]
	v_mul_f64_e32 v[16:17], v[175:176], v[16:17]
	scratch_load_b128 v[10:13], off, off offset:240
	v_add_f64_e32 v[177:178], v[177:178], v[165:166]
	v_add_f64_e32 v[179:180], v[179:180], v[167:168]
	s_wait_loadcnt_dscnt 0x900
	v_mul_f64_e32 v[187:188], v[2:3], v[20:21]
	v_mul_f64_e32 v[20:21], v[4:5], v[20:21]
	ds_load_b128 v[165:168], v1 offset:1056
	v_fma_f64 v[175:176], v[175:176], v[14:15], v[181:182]
	v_fma_f64 v[173:174], v[173:174], v[14:15], -v[16:17]
	scratch_load_b128 v[14:17], off, off offset:256
	v_add_f64_e32 v[177:178], v[177:178], v[185:186]
	v_add_f64_e32 v[179:180], v[179:180], v[183:184]
	v_fma_f64 v[183:184], v[4:5], v[18:19], v[187:188]
	v_fma_f64 v[185:186], v[2:3], v[18:19], -v[20:21]
	ds_load_b128 v[2:5], v1 offset:1072
	s_wait_loadcnt_dscnt 0x901
	v_mul_f64_e32 v[181:182], v[165:166], v[24:25]
	v_mul_f64_e32 v[24:25], v[167:168], v[24:25]
	scratch_load_b128 v[18:21], off, off offset:272
	s_wait_loadcnt_dscnt 0x900
	v_mul_f64_e32 v[187:188], v[2:3], v[28:29]
	v_mul_f64_e32 v[28:29], v[4:5], v[28:29]
	v_add_f64_e32 v[177:178], v[177:178], v[173:174]
	v_add_f64_e32 v[179:180], v[179:180], v[175:176]
	ds_load_b128 v[173:176], v1 offset:1088
	v_fma_f64 v[167:168], v[167:168], v[22:23], v[181:182]
	v_fma_f64 v[165:166], v[165:166], v[22:23], -v[24:25]
	scratch_load_b128 v[22:25], off, off offset:288
	v_add_f64_e32 v[177:178], v[177:178], v[185:186]
	v_add_f64_e32 v[179:180], v[179:180], v[183:184]
	v_fma_f64 v[183:184], v[4:5], v[26:27], v[187:188]
	v_fma_f64 v[185:186], v[2:3], v[26:27], -v[28:29]
	ds_load_b128 v[2:5], v1 offset:1104
	s_wait_loadcnt_dscnt 0x901
	v_mul_f64_e32 v[181:182], v[173:174], v[32:33]
	v_mul_f64_e32 v[32:33], v[175:176], v[32:33]
	scratch_load_b128 v[26:29], off, off offset:304
	s_wait_loadcnt_dscnt 0x900
	v_mul_f64_e32 v[187:188], v[2:3], v[36:37]
	v_mul_f64_e32 v[36:37], v[4:5], v[36:37]
	v_add_f64_e32 v[177:178], v[177:178], v[165:166]
	v_add_f64_e32 v[179:180], v[179:180], v[167:168]
	ds_load_b128 v[165:168], v1 offset:1120
	v_fma_f64 v[175:176], v[175:176], v[30:31], v[181:182]
	v_fma_f64 v[173:174], v[173:174], v[30:31], -v[32:33]
	scratch_load_b128 v[30:33], off, off offset:320
	v_add_f64_e32 v[177:178], v[177:178], v[185:186]
	v_add_f64_e32 v[179:180], v[179:180], v[183:184]
	v_fma_f64 v[185:186], v[4:5], v[34:35], v[187:188]
	v_fma_f64 v[187:188], v[2:3], v[34:35], -v[36:37]
	ds_load_b128 v[2:5], v1 offset:1136
	s_wait_loadcnt_dscnt 0x801
	v_mul_f64_e32 v[181:182], v[165:166], v[171:172]
	v_mul_f64_e32 v[183:184], v[167:168], v[171:172]
	scratch_load_b128 v[34:37], off, off offset:336
	v_add_f64_e32 v[177:178], v[177:178], v[173:174]
	v_add_f64_e32 v[175:176], v[179:180], v[175:176]
	ds_load_b128 v[171:174], v1 offset:1152
	v_fma_f64 v[181:182], v[167:168], v[169:170], v[181:182]
	v_fma_f64 v[169:170], v[165:166], v[169:170], -v[183:184]
	scratch_load_b128 v[165:168], off, off offset:352
	s_wait_loadcnt_dscnt 0x901
	v_mul_f64_e32 v[179:180], v[2:3], v[40:41]
	v_mul_f64_e32 v[40:41], v[4:5], v[40:41]
	v_add_f64_e32 v[177:178], v[177:178], v[187:188]
	v_add_f64_e32 v[175:176], v[175:176], v[185:186]
	s_delay_alu instid0(VALU_DEP_4) | instskip(NEXT) | instid1(VALU_DEP_4)
	v_fma_f64 v[179:180], v[4:5], v[38:39], v[179:180]
	v_fma_f64 v[185:186], v[2:3], v[38:39], -v[40:41]
	ds_load_b128 v[2:5], v1 offset:1168
	s_wait_loadcnt_dscnt 0x801
	v_mul_f64_e32 v[183:184], v[171:172], v[8:9]
	v_mul_f64_e32 v[8:9], v[173:174], v[8:9]
	scratch_load_b128 v[38:41], off, off offset:368
	s_wait_loadcnt_dscnt 0x800
	v_mul_f64_e32 v[187:188], v[2:3], v[12:13]
	v_add_f64_e32 v[169:170], v[177:178], v[169:170]
	v_add_f64_e32 v[181:182], v[175:176], v[181:182]
	v_mul_f64_e32 v[12:13], v[4:5], v[12:13]
	ds_load_b128 v[175:178], v1 offset:1184
	v_fma_f64 v[173:174], v[173:174], v[6:7], v[183:184]
	v_fma_f64 v[171:172], v[171:172], v[6:7], -v[8:9]
	scratch_load_b128 v[6:9], off, off offset:384
	v_fma_f64 v[183:184], v[4:5], v[10:11], v[187:188]
	v_add_f64_e32 v[169:170], v[169:170], v[185:186]
	v_add_f64_e32 v[179:180], v[181:182], v[179:180]
	v_fma_f64 v[185:186], v[2:3], v[10:11], -v[12:13]
	ds_load_b128 v[2:5], v1 offset:1200
	s_wait_loadcnt_dscnt 0x801
	v_mul_f64_e32 v[181:182], v[175:176], v[16:17]
	v_mul_f64_e32 v[16:17], v[177:178], v[16:17]
	scratch_load_b128 v[10:13], off, off offset:400
	v_add_f64_e32 v[187:188], v[169:170], v[171:172]
	v_add_f64_e32 v[173:174], v[179:180], v[173:174]
	s_wait_loadcnt_dscnt 0x800
	v_mul_f64_e32 v[179:180], v[2:3], v[20:21]
	v_mul_f64_e32 v[20:21], v[4:5], v[20:21]
	v_fma_f64 v[177:178], v[177:178], v[14:15], v[181:182]
	v_fma_f64 v[175:176], v[175:176], v[14:15], -v[16:17]
	ds_load_b128 v[169:172], v1 offset:1216
	scratch_load_b128 v[14:17], off, off offset:416
	v_add_f64_e32 v[181:182], v[187:188], v[185:186]
	v_add_f64_e32 v[173:174], v[173:174], v[183:184]
	v_fma_f64 v[179:180], v[4:5], v[18:19], v[179:180]
	v_fma_f64 v[185:186], v[2:3], v[18:19], -v[20:21]
	ds_load_b128 v[2:5], v1 offset:1232
	s_wait_loadcnt_dscnt 0x801
	v_mul_f64_e32 v[183:184], v[169:170], v[24:25]
	v_mul_f64_e32 v[24:25], v[171:172], v[24:25]
	scratch_load_b128 v[18:21], off, off offset:432
	s_wait_loadcnt_dscnt 0x800
	v_mul_f64_e32 v[187:188], v[2:3], v[28:29]
	v_mul_f64_e32 v[28:29], v[4:5], v[28:29]
	v_add_f64_e32 v[181:182], v[181:182], v[175:176]
	v_add_f64_e32 v[177:178], v[173:174], v[177:178]
	ds_load_b128 v[173:176], v1 offset:1248
	v_fma_f64 v[171:172], v[171:172], v[22:23], v[183:184]
	v_fma_f64 v[169:170], v[169:170], v[22:23], -v[24:25]
	scratch_load_b128 v[22:25], off, off offset:448
	v_fma_f64 v[183:184], v[4:5], v[26:27], v[187:188]
	v_add_f64_e32 v[181:182], v[181:182], v[185:186]
	v_add_f64_e32 v[177:178], v[177:178], v[179:180]
	v_fma_f64 v[185:186], v[2:3], v[26:27], -v[28:29]
	ds_load_b128 v[2:5], v1 offset:1264
	s_wait_loadcnt_dscnt 0x801
	v_mul_f64_e32 v[179:180], v[173:174], v[32:33]
	v_mul_f64_e32 v[32:33], v[175:176], v[32:33]
	scratch_load_b128 v[26:29], off, off offset:464
	s_wait_loadcnt_dscnt 0x800
	v_mul_f64_e32 v[187:188], v[2:3], v[36:37]
	v_mul_f64_e32 v[36:37], v[4:5], v[36:37]
	v_add_f64_e32 v[181:182], v[181:182], v[169:170]
	v_add_f64_e32 v[177:178], v[177:178], v[171:172]
	ds_load_b128 v[169:172], v1 offset:1280
	v_fma_f64 v[175:176], v[175:176], v[30:31], v[179:180]
	v_fma_f64 v[173:174], v[173:174], v[30:31], -v[32:33]
	scratch_load_b128 v[30:33], off, off offset:480
	v_add_f64_e32 v[179:180], v[181:182], v[185:186]
	v_add_f64_e32 v[177:178], v[177:178], v[183:184]
	v_fma_f64 v[183:184], v[4:5], v[34:35], v[187:188]
	v_fma_f64 v[185:186], v[2:3], v[34:35], -v[36:37]
	ds_load_b128 v[2:5], v1 offset:1296
	s_wait_loadcnt_dscnt 0x801
	v_mul_f64_e32 v[181:182], v[169:170], v[167:168]
	v_mul_f64_e32 v[167:168], v[171:172], v[167:168]
	scratch_load_b128 v[34:37], off, off offset:496
	s_wait_loadcnt_dscnt 0x800
	v_mul_f64_e32 v[187:188], v[2:3], v[40:41]
	v_mul_f64_e32 v[40:41], v[4:5], v[40:41]
	v_add_f64_e32 v[179:180], v[179:180], v[173:174]
	v_add_f64_e32 v[177:178], v[177:178], v[175:176]
	ds_load_b128 v[173:176], v1 offset:1312
	v_fma_f64 v[171:172], v[171:172], v[165:166], v[181:182]
	v_fma_f64 v[169:170], v[169:170], v[165:166], -v[167:168]
	scratch_load_b128 v[165:168], off, off offset:512
	v_add_f64_e32 v[179:180], v[179:180], v[185:186]
	v_add_f64_e32 v[177:178], v[177:178], v[183:184]
	v_fma_f64 v[183:184], v[4:5], v[38:39], v[187:188]
	;; [unrolled: 18-line block ×6, first 2 shown]
	v_fma_f64 v[187:188], v[2:3], v[34:35], -v[36:37]
	ds_load_b128 v[2:5], v1 offset:1456
	s_wait_loadcnt_dscnt 0x801
	v_mul_f64_e32 v[181:182], v[173:174], v[167:168]
	v_mul_f64_e32 v[183:184], v[175:176], v[167:168]
	scratch_load_b128 v[34:37], off, off offset:656
	v_add_f64_e32 v[179:180], v[179:180], v[169:170]
	v_add_f64_e32 v[171:172], v[177:178], v[171:172]
	s_wait_loadcnt_dscnt 0x800
	v_mul_f64_e32 v[177:178], v[2:3], v[40:41]
	v_mul_f64_e32 v[40:41], v[4:5], v[40:41]
	ds_load_b128 v[167:170], v1 offset:1472
	v_fma_f64 v[175:176], v[175:176], v[165:166], v[181:182]
	v_fma_f64 v[165:166], v[173:174], v[165:166], -v[183:184]
	v_add_f64_e32 v[179:180], v[179:180], v[187:188]
	v_add_f64_e32 v[181:182], v[171:172], v[185:186]
	scratch_load_b128 v[171:174], off, off offset:672
	v_fma_f64 v[185:186], v[4:5], v[38:39], v[177:178]
	v_fma_f64 v[187:188], v[2:3], v[38:39], -v[40:41]
	ds_load_b128 v[2:5], v1 offset:1488
	s_wait_loadcnt_dscnt 0x801
	v_mul_f64_e32 v[183:184], v[167:168], v[8:9]
	v_mul_f64_e32 v[8:9], v[169:170], v[8:9]
	scratch_load_b128 v[38:41], off, off offset:688
	v_add_f64_e32 v[165:166], v[179:180], v[165:166]
	v_add_f64_e32 v[179:180], v[181:182], v[175:176]
	s_wait_loadcnt_dscnt 0x800
	v_mul_f64_e32 v[181:182], v[2:3], v[12:13]
	v_mul_f64_e32 v[12:13], v[4:5], v[12:13]
	ds_load_b128 v[175:178], v1 offset:1504
	v_fma_f64 v[169:170], v[169:170], v[6:7], v[183:184]
	v_fma_f64 v[167:168], v[167:168], v[6:7], -v[8:9]
	scratch_load_b128 v[6:9], off, off offset:704
	v_add_f64_e32 v[165:166], v[165:166], v[187:188]
	v_add_f64_e32 v[179:180], v[179:180], v[185:186]
	v_fma_f64 v[181:182], v[4:5], v[10:11], v[181:182]
	v_fma_f64 v[185:186], v[2:3], v[10:11], -v[12:13]
	ds_load_b128 v[2:5], v1 offset:1520
	s_wait_loadcnt_dscnt 0x801
	v_mul_f64_e32 v[183:184], v[175:176], v[16:17]
	v_mul_f64_e32 v[16:17], v[177:178], v[16:17]
	scratch_load_b128 v[10:13], off, off offset:720
	v_add_f64_e32 v[187:188], v[165:166], v[167:168]
	v_add_f64_e32 v[169:170], v[179:180], v[169:170]
	s_wait_loadcnt_dscnt 0x800
	v_mul_f64_e32 v[179:180], v[2:3], v[20:21]
	v_mul_f64_e32 v[20:21], v[4:5], v[20:21]
	ds_load_b128 v[165:168], v1 offset:1536
	v_fma_f64 v[177:178], v[177:178], v[14:15], v[183:184]
	v_fma_f64 v[175:176], v[175:176], v[14:15], -v[16:17]
	scratch_load_b128 v[14:17], off, off offset:736
	v_add_f64_e32 v[183:184], v[187:188], v[185:186]
	v_add_f64_e32 v[169:170], v[169:170], v[181:182]
	v_fma_f64 v[179:180], v[4:5], v[18:19], v[179:180]
	v_fma_f64 v[185:186], v[2:3], v[18:19], -v[20:21]
	ds_load_b128 v[2:5], v1 offset:1552
	s_wait_loadcnt_dscnt 0x801
	v_mul_f64_e32 v[181:182], v[165:166], v[24:25]
	v_mul_f64_e32 v[24:25], v[167:168], v[24:25]
	scratch_load_b128 v[18:21], off, off offset:752
	s_wait_loadcnt_dscnt 0x800
	v_mul_f64_e32 v[187:188], v[2:3], v[28:29]
	v_mul_f64_e32 v[28:29], v[4:5], v[28:29]
	v_add_f64_e32 v[183:184], v[183:184], v[175:176]
	v_add_f64_e32 v[169:170], v[169:170], v[177:178]
	ds_load_b128 v[175:178], v1 offset:1568
	v_fma_f64 v[167:168], v[167:168], v[22:23], v[181:182]
	v_fma_f64 v[165:166], v[165:166], v[22:23], -v[24:25]
	scratch_load_b128 v[22:25], off, off offset:768
	v_add_f64_e32 v[181:182], v[183:184], v[185:186]
	v_add_f64_e32 v[169:170], v[169:170], v[179:180]
	v_fma_f64 v[183:184], v[4:5], v[26:27], v[187:188]
	v_fma_f64 v[185:186], v[2:3], v[26:27], -v[28:29]
	ds_load_b128 v[2:5], v1 offset:1584
	s_wait_loadcnt_dscnt 0x801
	v_mul_f64_e32 v[179:180], v[175:176], v[32:33]
	v_mul_f64_e32 v[32:33], v[177:178], v[32:33]
	scratch_load_b128 v[26:29], off, off offset:784
	s_wait_loadcnt_dscnt 0x800
	v_mul_f64_e32 v[187:188], v[2:3], v[36:37]
	v_mul_f64_e32 v[36:37], v[4:5], v[36:37]
	v_add_f64_e32 v[181:182], v[181:182], v[165:166]
	v_add_f64_e32 v[169:170], v[169:170], v[167:168]
	ds_load_b128 v[165:168], v1 offset:1600
	v_fma_f64 v[177:178], v[177:178], v[30:31], v[179:180]
	v_fma_f64 v[175:176], v[175:176], v[30:31], -v[32:33]
	scratch_load_b128 v[30:33], off, off offset:800
	v_add_f64_e32 v[179:180], v[181:182], v[185:186]
	v_add_f64_e32 v[169:170], v[169:170], v[183:184]
	v_fma_f64 v[185:186], v[4:5], v[34:35], v[187:188]
	v_fma_f64 v[187:188], v[2:3], v[34:35], -v[36:37]
	ds_load_b128 v[2:5], v1 offset:1616
	scratch_load_b128 v[34:37], off, off offset:816
	s_wait_loadcnt_dscnt 0x901
	v_mul_f64_e32 v[181:182], v[165:166], v[173:174]
	v_mul_f64_e32 v[183:184], v[167:168], v[173:174]
	v_add_f64_e32 v[179:180], v[179:180], v[175:176]
	v_add_f64_e32 v[169:170], v[169:170], v[177:178]
	s_wait_loadcnt_dscnt 0x800
	v_mul_f64_e32 v[177:178], v[2:3], v[40:41]
	v_mul_f64_e32 v[40:41], v[4:5], v[40:41]
	ds_load_b128 v[173:176], v1 offset:1632
	v_fma_f64 v[181:182], v[167:168], v[171:172], v[181:182]
	v_fma_f64 v[171:172], v[165:166], v[171:172], -v[183:184]
	scratch_load_b128 v[165:168], off, off offset:832
	v_add_f64_e32 v[179:180], v[179:180], v[187:188]
	v_add_f64_e32 v[169:170], v[169:170], v[185:186]
	v_fma_f64 v[177:178], v[4:5], v[38:39], v[177:178]
	v_fma_f64 v[185:186], v[2:3], v[38:39], -v[40:41]
	ds_load_b128 v[2:5], v1 offset:1648
	s_wait_loadcnt_dscnt 0x801
	v_mul_f64_e32 v[183:184], v[173:174], v[8:9]
	v_mul_f64_e32 v[8:9], v[175:176], v[8:9]
	scratch_load_b128 v[38:41], off, off offset:848
	s_wait_loadcnt_dscnt 0x800
	v_mul_f64_e32 v[187:188], v[2:3], v[12:13]
	v_mul_f64_e32 v[12:13], v[4:5], v[12:13]
	v_add_f64_e32 v[179:180], v[179:180], v[171:172]
	v_add_f64_e32 v[181:182], v[169:170], v[181:182]
	ds_load_b128 v[169:172], v1 offset:1664
	v_fma_f64 v[175:176], v[175:176], v[6:7], v[183:184]
	v_fma_f64 v[173:174], v[173:174], v[6:7], -v[8:9]
	scratch_load_b128 v[6:9], off, off offset:864
	v_fma_f64 v[183:184], v[4:5], v[10:11], v[187:188]
	v_add_f64_e32 v[179:180], v[179:180], v[185:186]
	v_add_f64_e32 v[177:178], v[181:182], v[177:178]
	v_fma_f64 v[185:186], v[2:3], v[10:11], -v[12:13]
	ds_load_b128 v[2:5], v1 offset:1680
	s_wait_loadcnt_dscnt 0x801
	v_mul_f64_e32 v[181:182], v[169:170], v[16:17]
	v_mul_f64_e32 v[16:17], v[171:172], v[16:17]
	scratch_load_b128 v[10:13], off, off offset:880
	s_wait_loadcnt_dscnt 0x800
	v_mul_f64_e32 v[187:188], v[2:3], v[20:21]
	v_mul_f64_e32 v[20:21], v[4:5], v[20:21]
	v_add_f64_e32 v[179:180], v[179:180], v[173:174]
	v_add_f64_e32 v[177:178], v[177:178], v[175:176]
	ds_load_b128 v[173:176], v1 offset:1696
	v_fma_f64 v[171:172], v[171:172], v[14:15], v[181:182]
	v_fma_f64 v[169:170], v[169:170], v[14:15], -v[16:17]
	scratch_load_b128 v[14:17], off, off offset:896
	v_add_f64_e32 v[179:180], v[179:180], v[185:186]
	v_add_f64_e32 v[177:178], v[177:178], v[183:184]
	v_fma_f64 v[183:184], v[4:5], v[18:19], v[187:188]
	v_fma_f64 v[185:186], v[2:3], v[18:19], -v[20:21]
	ds_load_b128 v[2:5], v1 offset:1712
	s_wait_loadcnt_dscnt 0x801
	v_mul_f64_e32 v[181:182], v[173:174], v[24:25]
	v_mul_f64_e32 v[24:25], v[175:176], v[24:25]
	scratch_load_b128 v[18:21], off, off offset:912
	s_wait_loadcnt_dscnt 0x800
	v_mul_f64_e32 v[187:188], v[2:3], v[28:29]
	v_mul_f64_e32 v[28:29], v[4:5], v[28:29]
	v_add_f64_e32 v[179:180], v[179:180], v[169:170]
	v_add_f64_e32 v[177:178], v[177:178], v[171:172]
	ds_load_b128 v[169:172], v1 offset:1728
	v_fma_f64 v[175:176], v[175:176], v[22:23], v[181:182]
	v_fma_f64 v[173:174], v[173:174], v[22:23], -v[24:25]
	scratch_load_b128 v[22:25], off, off offset:928
	v_add_f64_e32 v[179:180], v[179:180], v[185:186]
	v_add_f64_e32 v[177:178], v[177:178], v[183:184]
	v_fma_f64 v[183:184], v[4:5], v[26:27], v[187:188]
	v_fma_f64 v[185:186], v[2:3], v[26:27], -v[28:29]
	ds_load_b128 v[2:5], v1 offset:1744
	s_wait_loadcnt_dscnt 0x801
	v_mul_f64_e32 v[181:182], v[169:170], v[32:33]
	v_mul_f64_e32 v[32:33], v[171:172], v[32:33]
	scratch_load_b128 v[26:29], off, off offset:944
	s_wait_loadcnt_dscnt 0x800
	v_mul_f64_e32 v[187:188], v[2:3], v[36:37]
	v_mul_f64_e32 v[36:37], v[4:5], v[36:37]
	v_add_f64_e32 v[179:180], v[179:180], v[173:174]
	v_add_f64_e32 v[177:178], v[177:178], v[175:176]
	ds_load_b128 v[173:176], v1 offset:1760
	v_fma_f64 v[171:172], v[171:172], v[30:31], v[181:182]
	v_fma_f64 v[30:31], v[169:170], v[30:31], -v[32:33]
	v_add_f64_e32 v[32:33], v[179:180], v[185:186]
	v_add_f64_e32 v[169:170], v[177:178], v[183:184]
	s_wait_loadcnt_dscnt 0x700
	v_mul_f64_e32 v[177:178], v[173:174], v[167:168]
	v_mul_f64_e32 v[167:168], v[175:176], v[167:168]
	v_fma_f64 v[179:180], v[4:5], v[34:35], v[187:188]
	v_fma_f64 v[34:35], v[2:3], v[34:35], -v[36:37]
	v_add_f64_e32 v[36:37], v[32:33], v[30:31]
	v_add_f64_e32 v[169:170], v[169:170], v[171:172]
	ds_load_b128 v[2:5], v1 offset:1776
	ds_load_b128 v[30:33], v1 offset:1792
	v_fma_f64 v[175:176], v[175:176], v[165:166], v[177:178]
	v_fma_f64 v[165:166], v[173:174], v[165:166], -v[167:168]
	s_wait_loadcnt_dscnt 0x601
	v_mul_f64_e32 v[171:172], v[2:3], v[40:41]
	v_mul_f64_e32 v[40:41], v[4:5], v[40:41]
	s_wait_loadcnt_dscnt 0x500
	v_mul_f64_e32 v[167:168], v[30:31], v[8:9]
	v_mul_f64_e32 v[8:9], v[32:33], v[8:9]
	v_add_f64_e32 v[34:35], v[36:37], v[34:35]
	v_add_f64_e32 v[36:37], v[169:170], v[179:180]
	v_fma_f64 v[169:170], v[4:5], v[38:39], v[171:172]
	v_fma_f64 v[38:39], v[2:3], v[38:39], -v[40:41]
	v_fma_f64 v[32:33], v[32:33], v[6:7], v[167:168]
	v_fma_f64 v[6:7], v[30:31], v[6:7], -v[8:9]
	v_add_f64_e32 v[40:41], v[34:35], v[165:166]
	v_add_f64_e32 v[165:166], v[36:37], v[175:176]
	ds_load_b128 v[2:5], v1 offset:1808
	ds_load_b128 v[34:37], v1 offset:1824
	s_wait_loadcnt_dscnt 0x401
	v_mul_f64_e32 v[171:172], v[2:3], v[12:13]
	v_mul_f64_e32 v[12:13], v[4:5], v[12:13]
	v_add_f64_e32 v[8:9], v[40:41], v[38:39]
	v_add_f64_e32 v[30:31], v[165:166], v[169:170]
	s_wait_loadcnt_dscnt 0x300
	v_mul_f64_e32 v[38:39], v[34:35], v[16:17]
	v_mul_f64_e32 v[16:17], v[36:37], v[16:17]
	v_fma_f64 v[40:41], v[4:5], v[10:11], v[171:172]
	v_fma_f64 v[10:11], v[2:3], v[10:11], -v[12:13]
	v_add_f64_e32 v[12:13], v[8:9], v[6:7]
	v_add_f64_e32 v[30:31], v[30:31], v[32:33]
	ds_load_b128 v[2:5], v1 offset:1840
	ds_load_b128 v[6:9], v1 offset:1856
	v_fma_f64 v[36:37], v[36:37], v[14:15], v[38:39]
	v_fma_f64 v[14:15], v[34:35], v[14:15], -v[16:17]
	s_wait_loadcnt_dscnt 0x201
	v_mul_f64_e32 v[32:33], v[2:3], v[20:21]
	v_mul_f64_e32 v[20:21], v[4:5], v[20:21]
	s_wait_loadcnt_dscnt 0x100
	v_mul_f64_e32 v[16:17], v[6:7], v[24:25]
	v_mul_f64_e32 v[24:25], v[8:9], v[24:25]
	v_add_f64_e32 v[10:11], v[12:13], v[10:11]
	v_add_f64_e32 v[12:13], v[30:31], v[40:41]
	v_fma_f64 v[30:31], v[4:5], v[18:19], v[32:33]
	v_fma_f64 v[18:19], v[2:3], v[18:19], -v[20:21]
	ds_load_b128 v[2:5], v1 offset:1872
	v_fma_f64 v[8:9], v[8:9], v[22:23], v[16:17]
	v_fma_f64 v[6:7], v[6:7], v[22:23], -v[24:25]
	v_add_f64_e32 v[10:11], v[10:11], v[14:15]
	v_add_f64_e32 v[12:13], v[12:13], v[36:37]
	s_wait_loadcnt_dscnt 0x0
	v_mul_f64_e32 v[14:15], v[2:3], v[28:29]
	v_mul_f64_e32 v[20:21], v[4:5], v[28:29]
	s_delay_alu instid0(VALU_DEP_4) | instskip(NEXT) | instid1(VALU_DEP_4)
	v_add_f64_e32 v[10:11], v[10:11], v[18:19]
	v_add_f64_e32 v[12:13], v[12:13], v[30:31]
	s_delay_alu instid0(VALU_DEP_4) | instskip(NEXT) | instid1(VALU_DEP_4)
	v_fma_f64 v[4:5], v[4:5], v[26:27], v[14:15]
	v_fma_f64 v[2:3], v[2:3], v[26:27], -v[20:21]
	s_delay_alu instid0(VALU_DEP_4) | instskip(NEXT) | instid1(VALU_DEP_4)
	v_add_f64_e32 v[6:7], v[10:11], v[6:7]
	v_add_f64_e32 v[8:9], v[12:13], v[8:9]
	s_delay_alu instid0(VALU_DEP_2) | instskip(NEXT) | instid1(VALU_DEP_2)
	v_add_f64_e32 v[2:3], v[6:7], v[2:3]
	v_add_f64_e32 v[4:5], v[8:9], v[4:5]
	s_delay_alu instid0(VALU_DEP_2) | instskip(NEXT) | instid1(VALU_DEP_2)
	v_add_f64_e64 v[2:3], v[42:43], -v[2:3]
	v_add_f64_e64 v[4:5], v[44:45], -v[4:5]
	scratch_store_b128 off, v[2:5], off offset:32
	v_cmpx_ne_u32_e32 0, v0
	s_cbranch_execz .LBB58_367
; %bb.366:
	scratch_load_b128 v[5:8], off, off offset:16
	v_dual_mov_b32 v2, v1 :: v_dual_mov_b32 v3, v1
	v_mov_b32_e32 v4, v1
	scratch_store_b128 off, v[1:4], off offset:16
	s_wait_loadcnt 0x0
	ds_store_b128 v164, v[5:8]
.LBB58_367:
	s_wait_alu 0xfffe
	s_or_b32 exec_lo, exec_lo, s0
	s_wait_storecnt_dscnt 0x0
	s_barrier_signal -1
	s_barrier_wait -1
	global_inv scope:SCOPE_SE
	s_clause 0x8
	scratch_load_b128 v[2:5], off, off offset:32
	scratch_load_b128 v[6:9], off, off offset:48
	;; [unrolled: 1-line block ×9, first 2 shown]
	ds_load_b128 v[42:45], v1 offset:960
	ds_load_b128 v[38:41], v1 offset:976
	s_clause 0x1
	scratch_load_b128 v[164:167], off, off offset:16
	scratch_load_b128 v[168:171], off, off offset:176
	s_and_b32 vcc_lo, exec_lo, s18
	s_wait_loadcnt_dscnt 0xa01
	v_mul_f64_e32 v[172:173], v[44:45], v[4:5]
	v_mul_f64_e32 v[4:5], v[42:43], v[4:5]
	s_wait_loadcnt_dscnt 0x900
	v_mul_f64_e32 v[176:177], v[38:39], v[8:9]
	v_mul_f64_e32 v[8:9], v[40:41], v[8:9]
	s_delay_alu instid0(VALU_DEP_4) | instskip(NEXT) | instid1(VALU_DEP_4)
	v_fma_f64 v[178:179], v[42:43], v[2:3], -v[172:173]
	v_fma_f64 v[180:181], v[44:45], v[2:3], v[4:5]
	ds_load_b128 v[2:5], v1 offset:992
	ds_load_b128 v[172:175], v1 offset:1008
	scratch_load_b128 v[42:45], off, off offset:192
	v_fma_f64 v[40:41], v[40:41], v[6:7], v[176:177]
	v_fma_f64 v[38:39], v[38:39], v[6:7], -v[8:9]
	scratch_load_b128 v[6:9], off, off offset:208
	s_wait_loadcnt_dscnt 0xa01
	v_mul_f64_e32 v[182:183], v[2:3], v[12:13]
	v_mul_f64_e32 v[12:13], v[4:5], v[12:13]
	v_add_f64_e32 v[176:177], 0, v[178:179]
	v_add_f64_e32 v[178:179], 0, v[180:181]
	s_wait_loadcnt_dscnt 0x900
	v_mul_f64_e32 v[180:181], v[172:173], v[16:17]
	v_mul_f64_e32 v[16:17], v[174:175], v[16:17]
	v_fma_f64 v[182:183], v[4:5], v[10:11], v[182:183]
	v_fma_f64 v[184:185], v[2:3], v[10:11], -v[12:13]
	ds_load_b128 v[2:5], v1 offset:1024
	scratch_load_b128 v[10:13], off, off offset:224
	v_add_f64_e32 v[176:177], v[176:177], v[38:39]
	v_add_f64_e32 v[178:179], v[178:179], v[40:41]
	ds_load_b128 v[38:41], v1 offset:1040
	v_fma_f64 v[174:175], v[174:175], v[14:15], v[180:181]
	v_fma_f64 v[172:173], v[172:173], v[14:15], -v[16:17]
	scratch_load_b128 v[14:17], off, off offset:240
	s_wait_loadcnt_dscnt 0xa01
	v_mul_f64_e32 v[186:187], v[2:3], v[20:21]
	v_mul_f64_e32 v[20:21], v[4:5], v[20:21]
	s_wait_loadcnt_dscnt 0x900
	v_mul_f64_e32 v[180:181], v[38:39], v[24:25]
	v_mul_f64_e32 v[24:25], v[40:41], v[24:25]
	v_add_f64_e32 v[176:177], v[176:177], v[184:185]
	v_add_f64_e32 v[178:179], v[178:179], v[182:183]
	v_fma_f64 v[182:183], v[4:5], v[18:19], v[186:187]
	v_fma_f64 v[184:185], v[2:3], v[18:19], -v[20:21]
	ds_load_b128 v[2:5], v1 offset:1056
	scratch_load_b128 v[18:21], off, off offset:256
	v_fma_f64 v[40:41], v[40:41], v[22:23], v[180:181]
	v_fma_f64 v[38:39], v[38:39], v[22:23], -v[24:25]
	scratch_load_b128 v[22:25], off, off offset:272
	v_add_f64_e32 v[176:177], v[176:177], v[172:173]
	v_add_f64_e32 v[178:179], v[178:179], v[174:175]
	ds_load_b128 v[172:175], v1 offset:1072
	s_wait_loadcnt_dscnt 0xa01
	v_mul_f64_e32 v[186:187], v[2:3], v[28:29]
	v_mul_f64_e32 v[28:29], v[4:5], v[28:29]
	s_wait_loadcnt_dscnt 0x900
	v_mul_f64_e32 v[180:181], v[172:173], v[32:33]
	v_mul_f64_e32 v[32:33], v[174:175], v[32:33]
	v_add_f64_e32 v[176:177], v[176:177], v[184:185]
	v_add_f64_e32 v[178:179], v[178:179], v[182:183]
	v_fma_f64 v[182:183], v[4:5], v[26:27], v[186:187]
	v_fma_f64 v[184:185], v[2:3], v[26:27], -v[28:29]
	ds_load_b128 v[2:5], v1 offset:1088
	scratch_load_b128 v[26:29], off, off offset:288
	v_fma_f64 v[174:175], v[174:175], v[30:31], v[180:181]
	v_fma_f64 v[172:173], v[172:173], v[30:31], -v[32:33]
	scratch_load_b128 v[30:33], off, off offset:304
	v_add_f64_e32 v[176:177], v[176:177], v[38:39]
	v_add_f64_e32 v[178:179], v[178:179], v[40:41]
	ds_load_b128 v[38:41], v1 offset:1104
	s_wait_loadcnt_dscnt 0xa01
	v_mul_f64_e32 v[186:187], v[2:3], v[36:37]
	v_mul_f64_e32 v[36:37], v[4:5], v[36:37]
	s_wait_loadcnt_dscnt 0x800
	v_mul_f64_e32 v[180:181], v[38:39], v[170:171]
	v_add_f64_e32 v[176:177], v[176:177], v[184:185]
	v_add_f64_e32 v[178:179], v[178:179], v[182:183]
	v_mul_f64_e32 v[182:183], v[40:41], v[170:171]
	v_fma_f64 v[184:185], v[4:5], v[34:35], v[186:187]
	v_fma_f64 v[186:187], v[2:3], v[34:35], -v[36:37]
	ds_load_b128 v[2:5], v1 offset:1120
	scratch_load_b128 v[34:37], off, off offset:320
	v_fma_f64 v[180:181], v[40:41], v[168:169], v[180:181]
	v_add_f64_e32 v[176:177], v[176:177], v[172:173]
	v_add_f64_e32 v[174:175], v[178:179], v[174:175]
	ds_load_b128 v[170:173], v1 offset:1136
	v_fma_f64 v[168:169], v[38:39], v[168:169], -v[182:183]
	scratch_load_b128 v[38:41], off, off offset:336
	s_wait_loadcnt_dscnt 0x901
	v_mul_f64_e32 v[178:179], v[2:3], v[44:45]
	v_mul_f64_e32 v[44:45], v[4:5], v[44:45]
	s_wait_loadcnt_dscnt 0x800
	v_mul_f64_e32 v[182:183], v[170:171], v[8:9]
	v_mul_f64_e32 v[8:9], v[172:173], v[8:9]
	v_add_f64_e32 v[176:177], v[176:177], v[186:187]
	v_add_f64_e32 v[174:175], v[174:175], v[184:185]
	v_fma_f64 v[178:179], v[4:5], v[42:43], v[178:179]
	v_fma_f64 v[184:185], v[2:3], v[42:43], -v[44:45]
	ds_load_b128 v[2:5], v1 offset:1152
	scratch_load_b128 v[42:45], off, off offset:352
	v_fma_f64 v[172:173], v[172:173], v[6:7], v[182:183]
	v_fma_f64 v[170:171], v[170:171], v[6:7], -v[8:9]
	scratch_load_b128 v[6:9], off, off offset:368
	v_add_f64_e32 v[168:169], v[176:177], v[168:169]
	v_add_f64_e32 v[180:181], v[174:175], v[180:181]
	ds_load_b128 v[174:177], v1 offset:1168
	s_wait_loadcnt_dscnt 0x901
	v_mul_f64_e32 v[186:187], v[2:3], v[12:13]
	v_mul_f64_e32 v[12:13], v[4:5], v[12:13]
	v_add_f64_e32 v[168:169], v[168:169], v[184:185]
	v_add_f64_e32 v[178:179], v[180:181], v[178:179]
	s_wait_loadcnt_dscnt 0x800
	v_mul_f64_e32 v[180:181], v[174:175], v[16:17]
	v_mul_f64_e32 v[16:17], v[176:177], v[16:17]
	v_fma_f64 v[182:183], v[4:5], v[10:11], v[186:187]
	v_fma_f64 v[184:185], v[2:3], v[10:11], -v[12:13]
	ds_load_b128 v[2:5], v1 offset:1184
	scratch_load_b128 v[10:13], off, off offset:384
	v_add_f64_e32 v[186:187], v[168:169], v[170:171]
	v_add_f64_e32 v[172:173], v[178:179], v[172:173]
	ds_load_b128 v[168:171], v1 offset:1200
	s_wait_loadcnt_dscnt 0x801
	v_mul_f64_e32 v[178:179], v[2:3], v[20:21]
	v_mul_f64_e32 v[20:21], v[4:5], v[20:21]
	v_fma_f64 v[176:177], v[176:177], v[14:15], v[180:181]
	v_fma_f64 v[174:175], v[174:175], v[14:15], -v[16:17]
	scratch_load_b128 v[14:17], off, off offset:400
	v_add_f64_e32 v[180:181], v[186:187], v[184:185]
	v_add_f64_e32 v[172:173], v[172:173], v[182:183]
	s_wait_loadcnt_dscnt 0x800
	v_mul_f64_e32 v[182:183], v[168:169], v[24:25]
	v_mul_f64_e32 v[24:25], v[170:171], v[24:25]
	v_fma_f64 v[178:179], v[4:5], v[18:19], v[178:179]
	v_fma_f64 v[184:185], v[2:3], v[18:19], -v[20:21]
	ds_load_b128 v[2:5], v1 offset:1216
	scratch_load_b128 v[18:21], off, off offset:416
	v_add_f64_e32 v[180:181], v[180:181], v[174:175]
	v_add_f64_e32 v[176:177], v[172:173], v[176:177]
	ds_load_b128 v[172:175], v1 offset:1232
	s_wait_loadcnt_dscnt 0x801
	v_mul_f64_e32 v[186:187], v[2:3], v[28:29]
	v_mul_f64_e32 v[28:29], v[4:5], v[28:29]
	v_fma_f64 v[170:171], v[170:171], v[22:23], v[182:183]
	v_fma_f64 v[168:169], v[168:169], v[22:23], -v[24:25]
	scratch_load_b128 v[22:25], off, off offset:432
	;; [unrolled: 18-line block ×4, first 2 shown]
	s_wait_loadcnt_dscnt 0x800
	v_mul_f64_e32 v[180:181], v[172:173], v[8:9]
	v_mul_f64_e32 v[8:9], v[174:175], v[8:9]
	v_add_f64_e32 v[178:179], v[178:179], v[184:185]
	v_add_f64_e32 v[176:177], v[176:177], v[182:183]
	v_fma_f64 v[182:183], v[4:5], v[42:43], v[186:187]
	v_fma_f64 v[184:185], v[2:3], v[42:43], -v[44:45]
	ds_load_b128 v[2:5], v1 offset:1312
	scratch_load_b128 v[42:45], off, off offset:512
	v_fma_f64 v[174:175], v[174:175], v[6:7], v[180:181]
	v_fma_f64 v[172:173], v[172:173], v[6:7], -v[8:9]
	scratch_load_b128 v[6:9], off, off offset:528
	v_add_f64_e32 v[178:179], v[178:179], v[168:169]
	v_add_f64_e32 v[176:177], v[176:177], v[170:171]
	ds_load_b128 v[168:171], v1 offset:1328
	s_wait_loadcnt_dscnt 0x901
	v_mul_f64_e32 v[186:187], v[2:3], v[12:13]
	v_mul_f64_e32 v[12:13], v[4:5], v[12:13]
	s_wait_loadcnt_dscnt 0x800
	v_mul_f64_e32 v[180:181], v[168:169], v[16:17]
	v_mul_f64_e32 v[16:17], v[170:171], v[16:17]
	v_add_f64_e32 v[178:179], v[178:179], v[184:185]
	v_add_f64_e32 v[176:177], v[176:177], v[182:183]
	v_fma_f64 v[182:183], v[4:5], v[10:11], v[186:187]
	v_fma_f64 v[184:185], v[2:3], v[10:11], -v[12:13]
	ds_load_b128 v[2:5], v1 offset:1344
	scratch_load_b128 v[10:13], off, off offset:544
	v_fma_f64 v[170:171], v[170:171], v[14:15], v[180:181]
	v_fma_f64 v[168:169], v[168:169], v[14:15], -v[16:17]
	scratch_load_b128 v[14:17], off, off offset:560
	v_add_f64_e32 v[178:179], v[178:179], v[172:173]
	v_add_f64_e32 v[176:177], v[176:177], v[174:175]
	ds_load_b128 v[172:175], v1 offset:1360
	s_wait_loadcnt_dscnt 0x901
	v_mul_f64_e32 v[186:187], v[2:3], v[20:21]
	v_mul_f64_e32 v[20:21], v[4:5], v[20:21]
	;; [unrolled: 18-line block ×14, first 2 shown]
	s_wait_loadcnt_dscnt 0x800
	v_mul_f64_e32 v[180:181], v[172:173], v[40:41]
	v_mul_f64_e32 v[40:41], v[174:175], v[40:41]
	v_add_f64_e32 v[178:179], v[178:179], v[184:185]
	v_add_f64_e32 v[176:177], v[176:177], v[182:183]
	v_fma_f64 v[182:183], v[4:5], v[34:35], v[186:187]
	v_fma_f64 v[184:185], v[2:3], v[34:35], -v[36:37]
	ds_load_b128 v[2:5], v1 offset:1760
	ds_load_b128 v[34:37], v1 offset:1776
	v_fma_f64 v[174:175], v[174:175], v[38:39], v[180:181]
	v_fma_f64 v[38:39], v[172:173], v[38:39], -v[40:41]
	v_add_f64_e32 v[168:169], v[178:179], v[168:169]
	v_add_f64_e32 v[170:171], v[176:177], v[170:171]
	s_wait_loadcnt_dscnt 0x701
	v_mul_f64_e32 v[176:177], v[2:3], v[44:45]
	v_mul_f64_e32 v[44:45], v[4:5], v[44:45]
	s_delay_alu instid0(VALU_DEP_4) | instskip(NEXT) | instid1(VALU_DEP_4)
	v_add_f64_e32 v[40:41], v[168:169], v[184:185]
	v_add_f64_e32 v[168:169], v[170:171], v[182:183]
	s_wait_loadcnt_dscnt 0x600
	v_mul_f64_e32 v[170:171], v[34:35], v[8:9]
	v_mul_f64_e32 v[8:9], v[36:37], v[8:9]
	v_fma_f64 v[172:173], v[4:5], v[42:43], v[176:177]
	v_fma_f64 v[42:43], v[2:3], v[42:43], -v[44:45]
	v_add_f64_e32 v[44:45], v[40:41], v[38:39]
	v_add_f64_e32 v[168:169], v[168:169], v[174:175]
	ds_load_b128 v[2:5], v1 offset:1792
	ds_load_b128 v[38:41], v1 offset:1808
	v_fma_f64 v[36:37], v[36:37], v[6:7], v[170:171]
	v_fma_f64 v[6:7], v[34:35], v[6:7], -v[8:9]
	s_wait_loadcnt_dscnt 0x501
	v_mul_f64_e32 v[174:175], v[2:3], v[12:13]
	v_mul_f64_e32 v[12:13], v[4:5], v[12:13]
	v_add_f64_e32 v[8:9], v[44:45], v[42:43]
	v_add_f64_e32 v[34:35], v[168:169], v[172:173]
	s_wait_loadcnt_dscnt 0x400
	v_mul_f64_e32 v[42:43], v[38:39], v[16:17]
	v_mul_f64_e32 v[16:17], v[40:41], v[16:17]
	v_fma_f64 v[44:45], v[4:5], v[10:11], v[174:175]
	v_fma_f64 v[10:11], v[2:3], v[10:11], -v[12:13]
	v_add_f64_e32 v[12:13], v[8:9], v[6:7]
	v_add_f64_e32 v[34:35], v[34:35], v[36:37]
	ds_load_b128 v[2:5], v1 offset:1824
	ds_load_b128 v[6:9], v1 offset:1840
	v_fma_f64 v[40:41], v[40:41], v[14:15], v[42:43]
	v_fma_f64 v[14:15], v[38:39], v[14:15], -v[16:17]
	s_wait_loadcnt_dscnt 0x301
	v_mul_f64_e32 v[36:37], v[2:3], v[20:21]
	v_mul_f64_e32 v[20:21], v[4:5], v[20:21]
	s_wait_loadcnt_dscnt 0x200
	v_mul_f64_e32 v[16:17], v[6:7], v[24:25]
	v_mul_f64_e32 v[24:25], v[8:9], v[24:25]
	v_add_f64_e32 v[10:11], v[12:13], v[10:11]
	v_add_f64_e32 v[12:13], v[34:35], v[44:45]
	v_fma_f64 v[34:35], v[4:5], v[18:19], v[36:37]
	v_fma_f64 v[18:19], v[2:3], v[18:19], -v[20:21]
	v_fma_f64 v[8:9], v[8:9], v[22:23], v[16:17]
	v_fma_f64 v[6:7], v[6:7], v[22:23], -v[24:25]
	v_add_f64_e32 v[14:15], v[10:11], v[14:15]
	v_add_f64_e32 v[20:21], v[12:13], v[40:41]
	ds_load_b128 v[2:5], v1 offset:1856
	ds_load_b128 v[10:13], v1 offset:1872
	s_wait_loadcnt_dscnt 0x101
	v_mul_f64_e32 v[0:1], v[2:3], v[28:29]
	v_mul_f64_e32 v[28:29], v[4:5], v[28:29]
	v_add_f64_e32 v[14:15], v[14:15], v[18:19]
	v_add_f64_e32 v[16:17], v[20:21], v[34:35]
	s_wait_loadcnt_dscnt 0x0
	v_mul_f64_e32 v[18:19], v[10:11], v[32:33]
	v_mul_f64_e32 v[20:21], v[12:13], v[32:33]
	v_fma_f64 v[0:1], v[4:5], v[26:27], v[0:1]
	v_fma_f64 v[2:3], v[2:3], v[26:27], -v[28:29]
	v_add_f64_e32 v[4:5], v[14:15], v[6:7]
	v_add_f64_e32 v[6:7], v[16:17], v[8:9]
	v_fma_f64 v[8:9], v[12:13], v[30:31], v[18:19]
	v_fma_f64 v[10:11], v[10:11], v[30:31], -v[20:21]
	s_delay_alu instid0(VALU_DEP_4) | instskip(NEXT) | instid1(VALU_DEP_4)
	v_add_f64_e32 v[2:3], v[4:5], v[2:3]
	v_add_f64_e32 v[0:1], v[6:7], v[0:1]
	s_delay_alu instid0(VALU_DEP_2) | instskip(NEXT) | instid1(VALU_DEP_2)
	v_add_f64_e32 v[2:3], v[2:3], v[10:11]
	v_add_f64_e32 v[4:5], v[0:1], v[8:9]
	s_delay_alu instid0(VALU_DEP_2) | instskip(NEXT) | instid1(VALU_DEP_2)
	v_add_f64_e64 v[0:1], v[164:165], -v[2:3]
	v_add_f64_e64 v[2:3], v[166:167], -v[4:5]
	scratch_store_b128 off, v[0:3], off offset:16
	s_wait_alu 0xfffe
	s_cbranch_vccz .LBB58_484
; %bb.368:
	v_mov_b32_e32 v0, 0
	global_load_b32 v1, v0, s[2:3] offset:228
	s_wait_loadcnt 0x0
	v_cmp_ne_u32_e32 vcc_lo, 58, v1
	s_cbranch_vccz .LBB58_370
; %bb.369:
	v_lshlrev_b32_e32 v1, 4, v1
	s_delay_alu instid0(VALU_DEP_1)
	v_add_nc_u32_e32 v9, 16, v1
	s_clause 0x1
	scratch_load_b128 v[1:4], v9, off offset:-16
	scratch_load_b128 v[5:8], off, s14
	s_wait_loadcnt 0x1
	scratch_store_b128 off, v[1:4], s14
	s_wait_loadcnt 0x0
	scratch_store_b128 v9, v[5:8], off offset:-16
.LBB58_370:
	global_load_b32 v0, v0, s[2:3] offset:224
	s_wait_loadcnt 0x0
	v_cmp_eq_u32_e32 vcc_lo, 57, v0
	s_cbranch_vccnz .LBB58_372
; %bb.371:
	v_lshlrev_b32_e32 v0, 4, v0
	s_delay_alu instid0(VALU_DEP_1)
	v_add_nc_u32_e32 v8, 16, v0
	s_clause 0x1
	scratch_load_b128 v[0:3], v8, off offset:-16
	scratch_load_b128 v[4:7], off, s13
	s_wait_loadcnt 0x1
	scratch_store_b128 off, v[0:3], s13
	s_wait_loadcnt 0x0
	scratch_store_b128 v8, v[4:7], off offset:-16
.LBB58_372:
	v_mov_b32_e32 v0, 0
	global_load_b32 v1, v0, s[2:3] offset:220
	s_wait_loadcnt 0x0
	v_cmp_eq_u32_e32 vcc_lo, 56, v1
	s_cbranch_vccnz .LBB58_374
; %bb.373:
	v_lshlrev_b32_e32 v1, 4, v1
	s_delay_alu instid0(VALU_DEP_1)
	v_add_nc_u32_e32 v9, 16, v1
	s_clause 0x1
	scratch_load_b128 v[1:4], v9, off offset:-16
	scratch_load_b128 v[5:8], off, s15
	s_wait_loadcnt 0x1
	scratch_store_b128 off, v[1:4], s15
	s_wait_loadcnt 0x0
	scratch_store_b128 v9, v[5:8], off offset:-16
.LBB58_374:
	global_load_b32 v0, v0, s[2:3] offset:216
	s_wait_loadcnt 0x0
	v_cmp_eq_u32_e32 vcc_lo, 55, v0
	s_cbranch_vccnz .LBB58_376
; %bb.375:
	v_lshlrev_b32_e32 v0, 4, v0
	s_delay_alu instid0(VALU_DEP_1)
	v_add_nc_u32_e32 v8, 16, v0
	s_clause 0x1
	scratch_load_b128 v[0:3], v8, off offset:-16
	scratch_load_b128 v[4:7], off, s20
	s_wait_loadcnt 0x1
	scratch_store_b128 off, v[0:3], s20
	s_wait_loadcnt 0x0
	scratch_store_b128 v8, v[4:7], off offset:-16
.LBB58_376:
	v_mov_b32_e32 v0, 0
	global_load_b32 v1, v0, s[2:3] offset:212
	s_wait_loadcnt 0x0
	v_cmp_eq_u32_e32 vcc_lo, 54, v1
	s_cbranch_vccnz .LBB58_378
; %bb.377:
	v_lshlrev_b32_e32 v1, 4, v1
	s_delay_alu instid0(VALU_DEP_1)
	v_add_nc_u32_e32 v9, 16, v1
	s_clause 0x1
	scratch_load_b128 v[1:4], v9, off offset:-16
	scratch_load_b128 v[5:8], off, s22
	s_wait_loadcnt 0x1
	scratch_store_b128 off, v[1:4], s22
	s_wait_loadcnt 0x0
	scratch_store_b128 v9, v[5:8], off offset:-16
.LBB58_378:
	;; [unrolled: 33-line block ×28, first 2 shown]
	global_load_b32 v0, v0, s[2:3]
	s_wait_loadcnt 0x0
	v_cmp_eq_u32_e32 vcc_lo, 1, v0
	s_cbranch_vccnz .LBB58_484
; %bb.483:
	v_lshlrev_b32_e32 v0, 4, v0
	s_delay_alu instid0(VALU_DEP_1)
	v_add_nc_u32_e32 v8, 16, v0
	scratch_load_b128 v[0:3], v8, off offset:-16
	scratch_load_b128 v[4:7], off, off offset:16
	s_wait_loadcnt 0x1
	scratch_store_b128 off, v[0:3], off offset:16
	s_wait_loadcnt 0x0
	scratch_store_b128 v8, v[4:7], off offset:-16
.LBB58_484:
	scratch_load_b128 v[0:3], off, off offset:16
	s_clause 0xf
	scratch_load_b128 v[4:7], off, s35
	scratch_load_b128 v[8:11], off, s33
	scratch_load_b128 v[12:15], off, s30
	scratch_load_b128 v[16:19], off, s29
	scratch_load_b128 v[20:23], off, s67
	scratch_load_b128 v[24:27], off, s66
	scratch_load_b128 v[28:31], off, s65
	scratch_load_b128 v[32:35], off, s64
	scratch_load_b128 v[36:39], off, s63
	scratch_load_b128 v[40:43], off, s62
	scratch_load_b128 v[164:167], off, s61
	scratch_load_b128 v[168:171], off, s60
	scratch_load_b128 v[172:175], off, s59
	scratch_load_b128 v[176:179], off, s58
	scratch_load_b128 v[180:183], off, s57
	scratch_load_b128 v[184:187], off, s56
	s_wait_loadcnt 0x10
	global_store_b128 v[46:47], v[0:3], off
	s_clause 0x1
	scratch_load_b128 v[0:3], off, s55
	scratch_load_b128 v[44:47], off, s54
	s_wait_loadcnt 0x11
	global_store_b128 v[48:49], v[4:7], off
	scratch_load_b128 v[4:7], off, s53
	s_wait_loadcnt 0x11
	global_store_b128 v[50:51], v[8:11], off
	;; [unrolled: 3-line block ×3, first 2 shown]
	s_clause 0x1
	scratch_load_b128 v[12:15], off, s51
	scratch_load_b128 v[48:51], off, s50
	s_wait_loadcnt 0x12
	global_store_b128 v[54:55], v[16:19], off
	s_clause 0x1
	scratch_load_b128 v[16:19], off, s49
	scratch_load_b128 v[52:55], off, s48
	s_wait_loadcnt 0x13
	global_store_b128 v[56:57], v[20:23], off
	s_wait_loadcnt 0x12
	global_store_b128 v[58:59], v[24:27], off
	s_clause 0x2
	scratch_load_b128 v[20:23], off, s47
	scratch_load_b128 v[24:27], off, s46
	scratch_load_b128 v[56:59], off, s45
	s_wait_loadcnt 0x14
	global_store_b128 v[60:61], v[28:31], off
	s_wait_loadcnt 0x13
	global_store_b128 v[62:63], v[32:35], off
	s_clause 0x2
	scratch_load_b128 v[28:31], off, s44
	;; [unrolled: 8-line block ×3, first 2 shown]
	scratch_load_b128 v[40:43], off, s40
	s_wait_loadcnt 0x15
	global_store_b128 v[68:69], v[164:167], off
	s_clause 0x1
	scratch_load_b128 v[64:67], off, s39
	scratch_load_b128 v[164:167], off, s38
	s_wait_loadcnt 0x16
	global_store_b128 v[70:71], v[168:171], off
	s_clause 0x1
	scratch_load_b128 v[68:71], off, s37
	scratch_load_b128 v[168:171], off, s36
	s_wait_loadcnt 0x17
	global_store_b128 v[72:73], v[172:175], off
	s_wait_loadcnt 0x16
	global_store_b128 v[74:75], v[176:179], off
	s_clause 0x1
	scratch_load_b128 v[72:75], off, s34
	scratch_load_b128 v[172:175], off, s31
	s_wait_loadcnt 0x17
	global_store_b128 v[76:77], v[180:183], off
	s_clause 0x1
	scratch_load_b128 v[176:179], off, s28
	scratch_load_b128 v[180:183], off, s27
	s_wait_loadcnt 0x18
	global_store_b128 v[78:79], v[184:187], off
	s_clause 0x1
	scratch_load_b128 v[76:79], off, s26
	scratch_load_b128 v[184:187], off, s24
	s_wait_loadcnt 0x19
	global_store_b128 v[80:81], v[0:3], off
	s_wait_loadcnt 0x18
	global_store_b128 v[82:83], v[44:47], off
	s_clause 0x1
	scratch_load_b128 v[0:3], off, s21
	;; [unrolled: 17-line block ×4, first 2 shown]
	scratch_load_b128 v[24:27], off, s13
	s_wait_loadcnt 0x1d
	global_store_b128 v[100:101], v[56:59], off
	s_clause 0x1
	scratch_load_b128 v[56:59], off, s14
	scratch_load_b128 v[92:95], off, s11
	s_wait_loadcnt 0x1e
	global_store_b128 v[102:103], v[28:31], off
	s_wait_loadcnt 0x1d
	global_store_b128 v[104:105], v[32:35], off
	;; [unrolled: 2-line block ×31, first 2 shown]
	s_nop 0
	s_sendmsg sendmsg(MSG_DEALLOC_VGPRS)
	s_endpgm
	.section	.rodata,"a",@progbits
	.p2align	6, 0x0
	.amdhsa_kernel _ZN9rocsolver6v33100L18getri_kernel_smallILi59E19rocblas_complex_numIdEPS3_EEvT1_iilPiilS6_bb
		.amdhsa_group_segment_fixed_size 1896
		.amdhsa_private_segment_fixed_size 976
		.amdhsa_kernarg_size 60
		.amdhsa_user_sgpr_count 2
		.amdhsa_user_sgpr_dispatch_ptr 0
		.amdhsa_user_sgpr_queue_ptr 0
		.amdhsa_user_sgpr_kernarg_segment_ptr 1
		.amdhsa_user_sgpr_dispatch_id 0
		.amdhsa_user_sgpr_private_segment_size 0
		.amdhsa_wavefront_size32 1
		.amdhsa_uses_dynamic_stack 0
		.amdhsa_enable_private_segment 1
		.amdhsa_system_sgpr_workgroup_id_x 1
		.amdhsa_system_sgpr_workgroup_id_y 0
		.amdhsa_system_sgpr_workgroup_id_z 0
		.amdhsa_system_sgpr_workgroup_info 0
		.amdhsa_system_vgpr_workitem_id 0
		.amdhsa_next_free_vgpr 202
		.amdhsa_next_free_sgpr 91
		.amdhsa_reserve_vcc 1
		.amdhsa_float_round_mode_32 0
		.amdhsa_float_round_mode_16_64 0
		.amdhsa_float_denorm_mode_32 3
		.amdhsa_float_denorm_mode_16_64 3
		.amdhsa_fp16_overflow 0
		.amdhsa_workgroup_processor_mode 1
		.amdhsa_memory_ordered 1
		.amdhsa_forward_progress 1
		.amdhsa_inst_pref_size 255
		.amdhsa_round_robin_scheduling 0
		.amdhsa_exception_fp_ieee_invalid_op 0
		.amdhsa_exception_fp_denorm_src 0
		.amdhsa_exception_fp_ieee_div_zero 0
		.amdhsa_exception_fp_ieee_overflow 0
		.amdhsa_exception_fp_ieee_underflow 0
		.amdhsa_exception_fp_ieee_inexact 0
		.amdhsa_exception_int_div_zero 0
	.end_amdhsa_kernel
	.section	.text._ZN9rocsolver6v33100L18getri_kernel_smallILi59E19rocblas_complex_numIdEPS3_EEvT1_iilPiilS6_bb,"axG",@progbits,_ZN9rocsolver6v33100L18getri_kernel_smallILi59E19rocblas_complex_numIdEPS3_EEvT1_iilPiilS6_bb,comdat
.Lfunc_end58:
	.size	_ZN9rocsolver6v33100L18getri_kernel_smallILi59E19rocblas_complex_numIdEPS3_EEvT1_iilPiilS6_bb, .Lfunc_end58-_ZN9rocsolver6v33100L18getri_kernel_smallILi59E19rocblas_complex_numIdEPS3_EEvT1_iilPiilS6_bb
                                        ; -- End function
	.set _ZN9rocsolver6v33100L18getri_kernel_smallILi59E19rocblas_complex_numIdEPS3_EEvT1_iilPiilS6_bb.num_vgpr, 202
	.set _ZN9rocsolver6v33100L18getri_kernel_smallILi59E19rocblas_complex_numIdEPS3_EEvT1_iilPiilS6_bb.num_agpr, 0
	.set _ZN9rocsolver6v33100L18getri_kernel_smallILi59E19rocblas_complex_numIdEPS3_EEvT1_iilPiilS6_bb.numbered_sgpr, 91
	.set _ZN9rocsolver6v33100L18getri_kernel_smallILi59E19rocblas_complex_numIdEPS3_EEvT1_iilPiilS6_bb.num_named_barrier, 0
	.set _ZN9rocsolver6v33100L18getri_kernel_smallILi59E19rocblas_complex_numIdEPS3_EEvT1_iilPiilS6_bb.private_seg_size, 976
	.set _ZN9rocsolver6v33100L18getri_kernel_smallILi59E19rocblas_complex_numIdEPS3_EEvT1_iilPiilS6_bb.uses_vcc, 1
	.set _ZN9rocsolver6v33100L18getri_kernel_smallILi59E19rocblas_complex_numIdEPS3_EEvT1_iilPiilS6_bb.uses_flat_scratch, 1
	.set _ZN9rocsolver6v33100L18getri_kernel_smallILi59E19rocblas_complex_numIdEPS3_EEvT1_iilPiilS6_bb.has_dyn_sized_stack, 0
	.set _ZN9rocsolver6v33100L18getri_kernel_smallILi59E19rocblas_complex_numIdEPS3_EEvT1_iilPiilS6_bb.has_recursion, 0
	.set _ZN9rocsolver6v33100L18getri_kernel_smallILi59E19rocblas_complex_numIdEPS3_EEvT1_iilPiilS6_bb.has_indirect_call, 0
	.section	.AMDGPU.csdata,"",@progbits
; Kernel info:
; codeLenInByte = 135360
; TotalNumSgprs: 93
; NumVgprs: 202
; ScratchSize: 976
; MemoryBound: 0
; FloatMode: 240
; IeeeMode: 1
; LDSByteSize: 1896 bytes/workgroup (compile time only)
; SGPRBlocks: 0
; VGPRBlocks: 25
; NumSGPRsForWavesPerEU: 93
; NumVGPRsForWavesPerEU: 202
; Occupancy: 7
; WaveLimiterHint : 1
; COMPUTE_PGM_RSRC2:SCRATCH_EN: 1
; COMPUTE_PGM_RSRC2:USER_SGPR: 2
; COMPUTE_PGM_RSRC2:TRAP_HANDLER: 0
; COMPUTE_PGM_RSRC2:TGID_X_EN: 1
; COMPUTE_PGM_RSRC2:TGID_Y_EN: 0
; COMPUTE_PGM_RSRC2:TGID_Z_EN: 0
; COMPUTE_PGM_RSRC2:TIDIG_COMP_CNT: 0
	.section	.text._ZN9rocsolver6v33100L18getri_kernel_smallILi60E19rocblas_complex_numIdEPS3_EEvT1_iilPiilS6_bb,"axG",@progbits,_ZN9rocsolver6v33100L18getri_kernel_smallILi60E19rocblas_complex_numIdEPS3_EEvT1_iilPiilS6_bb,comdat
	.globl	_ZN9rocsolver6v33100L18getri_kernel_smallILi60E19rocblas_complex_numIdEPS3_EEvT1_iilPiilS6_bb ; -- Begin function _ZN9rocsolver6v33100L18getri_kernel_smallILi60E19rocblas_complex_numIdEPS3_EEvT1_iilPiilS6_bb
	.p2align	8
	.type	_ZN9rocsolver6v33100L18getri_kernel_smallILi60E19rocblas_complex_numIdEPS3_EEvT1_iilPiilS6_bb,@function
_ZN9rocsolver6v33100L18getri_kernel_smallILi60E19rocblas_complex_numIdEPS3_EEvT1_iilPiilS6_bb: ; @_ZN9rocsolver6v33100L18getri_kernel_smallILi60E19rocblas_complex_numIdEPS3_EEvT1_iilPiilS6_bb
; %bb.0:
	s_mov_b32 s2, exec_lo
	v_cmpx_gt_u32_e32 60, v0
	s_cbranch_execz .LBB59_254
; %bb.1:
	s_clause 0x2
	s_load_b32 s2, s[0:1], 0x38
	s_load_b128 s[12:15], s[0:1], 0x10
	s_load_b128 s[4:7], s[0:1], 0x28
	s_mov_b32 s16, ttmp9
	s_wait_kmcnt 0x0
	s_bitcmp1_b32 s2, 8
	s_cselect_b32 s18, -1, 0
	s_bfe_u32 s2, s2, 0x10008
	s_ashr_i32 s17, ttmp9, 31
	s_cmp_eq_u32 s2, 0
                                        ; implicit-def: $sgpr2_sgpr3
	s_cbranch_scc1 .LBB59_3
; %bb.2:
	s_load_b32 s2, s[0:1], 0x20
	s_mul_u64 s[4:5], s[4:5], s[16:17]
	s_delay_alu instid0(SALU_CYCLE_1) | instskip(NEXT) | instid1(SALU_CYCLE_1)
	s_lshl_b64 s[4:5], s[4:5], 2
	s_add_nc_u64 s[4:5], s[14:15], s[4:5]
	s_wait_kmcnt 0x0
	s_ashr_i32 s3, s2, 31
	s_delay_alu instid0(SALU_CYCLE_1) | instskip(NEXT) | instid1(SALU_CYCLE_1)
	s_lshl_b64 s[2:3], s[2:3], 2
	s_add_nc_u64 s[2:3], s[4:5], s[2:3]
.LBB59_3:
	s_clause 0x1
	s_load_b128 s[8:11], s[0:1], 0x0
	s_load_b32 s69, s[0:1], 0x38
	s_mul_u64 s[0:1], s[12:13], s[16:17]
	v_lshlrev_b32_e32 v13, 4, v0
	s_lshl_b64 s[0:1], s[0:1], 4
	s_movk_i32 s23, 0x150
	s_movk_i32 s27, 0x190
	;; [unrolled: 1-line block ×6, first 2 shown]
	s_add_co_i32 s48, s23, 16
	s_add_co_i32 s40, s27, 16
	s_add_co_i32 s27, s31, 16
	s_movk_i32 s12, 0xd0
	s_movk_i32 s13, 0xe0
	;; [unrolled: 1-line block ×6, first 2 shown]
	s_wait_kmcnt 0x0
	v_add3_u32 v1, s11, s11, v0
	s_ashr_i32 s5, s10, 31
	s_mov_b32 s4, s10
	s_add_nc_u64 s[0:1], s[8:9], s[0:1]
	s_lshl_b64 s[4:5], s[4:5], 4
	v_add_nc_u32_e32 v3, s11, v1
	v_ashrrev_i32_e32 v2, 31, v1
	s_add_nc_u64 s[0:1], s[0:1], s[4:5]
	s_ashr_i32 s9, s11, 31
	v_add_co_u32 v42, s4, s0, v13
	v_add_nc_u32_e32 v9, s11, v3
	v_ashrrev_i32_e32 v4, 31, v3
	s_mov_b32 s8, s11
	v_lshlrev_b64_e32 v[11:12], 4, v[1:2]
	v_add_co_ci_u32_e64 v43, null, s1, 0, s4
	v_add_nc_u32_e32 v16, s11, v9
	s_lshl_b64 s[8:9], s[8:9], 4
	v_lshlrev_b64_e32 v[14:15], 4, v[3:4]
	v_ashrrev_i32_e32 v10, 31, v9
	v_add_co_u32 v44, vcc_lo, v42, s8
	s_delay_alu instid0(VALU_DEP_1)
	v_add_co_ci_u32_e64 v45, null, s9, v43, vcc_lo
	v_add_co_u32 v46, vcc_lo, s0, v11
	v_ashrrev_i32_e32 v17, 31, v16
	v_add_nc_u32_e32 v11, s11, v16
	v_lshlrev_b64_e32 v[9:10], 4, v[9:10]
	s_wait_alu 0xfffd
	v_add_co_ci_u32_e64 v47, null, s1, v12, vcc_lo
	v_add_co_u32 v48, vcc_lo, s0, v14
	s_wait_alu 0xfffd
	v_add_co_ci_u32_e64 v49, null, s1, v15, vcc_lo
	v_lshlrev_b64_e32 v[14:15], 4, v[16:17]
	v_ashrrev_i32_e32 v12, 31, v11
	v_add_nc_u32_e32 v16, s11, v11
	v_add_co_u32 v50, vcc_lo, s0, v9
	s_wait_alu 0xfffd
	v_add_co_ci_u32_e64 v51, null, s1, v10, vcc_lo
	v_lshlrev_b64_e32 v[9:10], 4, v[11:12]
	v_ashrrev_i32_e32 v17, 31, v16
	v_add_nc_u32_e32 v11, s11, v16
	v_add_co_u32 v52, vcc_lo, s0, v14
	s_wait_alu 0xfffd
	v_add_co_ci_u32_e64 v53, null, s1, v15, vcc_lo
	v_lshlrev_b64_e32 v[14:15], 4, v[16:17]
	v_add_nc_u32_e32 v16, s11, v11
	s_clause 0x1
	global_load_b128 v[5:8], v13, s[0:1]
	global_load_b128 v[1:4], v[44:45], off
	v_ashrrev_i32_e32 v12, 31, v11
	v_add_co_u32 v54, vcc_lo, s0, v9
	v_add_nc_u32_e32 v20, s11, v16
	v_ashrrev_i32_e32 v17, 31, v16
	s_delay_alu instid0(VALU_DEP_4)
	v_lshlrev_b64_e32 v[18:19], 4, v[11:12]
	s_wait_alu 0xfffd
	v_add_co_ci_u32_e64 v55, null, s1, v10, vcc_lo
	v_add_nc_u32_e32 v24, s11, v20
	v_ashrrev_i32_e32 v21, 31, v20
	v_lshlrev_b64_e32 v[22:23], 4, v[16:17]
	v_add_co_u32 v56, vcc_lo, s0, v14
	s_delay_alu instid0(VALU_DEP_4)
	v_add_nc_u32_e32 v30, s11, v24
	v_ashrrev_i32_e32 v25, 31, v24
	v_lshlrev_b64_e32 v[26:27], 4, v[20:21]
	s_wait_alu 0xfffd
	v_add_co_ci_u32_e64 v57, null, s1, v15, vcc_lo
	v_add_nc_u32_e32 v36, s11, v30
	v_ashrrev_i32_e32 v31, 31, v30
	v_add_co_u32 v58, vcc_lo, s0, v18
	s_clause 0x1
	global_load_b128 v[9:12], v[46:47], off
	global_load_b128 v[14:17], v[48:49], off
	v_add_nc_u32_e32 v40, s11, v36
	v_ashrrev_i32_e32 v37, 31, v36
	v_lshlrev_b64_e32 v[34:35], 4, v[24:25]
	s_wait_alu 0xfffd
	v_add_co_ci_u32_e64 v59, null, s1, v19, vcc_lo
	v_add_nc_u32_e32 v70, s11, v40
	global_load_b128 v[18:21], v[50:51], off
	v_ashrrev_i32_e32 v41, 31, v40
	v_add_co_u32 v60, vcc_lo, s0, v22
	v_add_nc_u32_e32 v74, s11, v70
	v_lshlrev_b64_e32 v[38:39], 4, v[30:31]
	v_ashrrev_i32_e32 v71, 31, v70
	s_wait_alu 0xfffd
	v_add_co_ci_u32_e64 v61, null, s1, v23, vcc_lo
	v_add_co_u32 v62, vcc_lo, s0, v26
	v_lshlrev_b64_e32 v[68:69], 4, v[36:37]
	s_wait_alu 0xfffd
	v_add_co_ci_u32_e64 v63, null, s1, v27, vcc_lo
	v_add_co_u32 v64, vcc_lo, s0, v34
	v_lshlrev_b64_e32 v[72:73], 4, v[40:41]
	v_add_nc_u32_e32 v78, s11, v74
	s_wait_alu 0xfffd
	v_add_co_ci_u32_e64 v65, null, s1, v35, vcc_lo
	v_add_co_u32 v66, vcc_lo, s0, v38
	v_lshlrev_b64_e32 v[76:77], 4, v[70:71]
	s_wait_alu 0xfffd
	v_add_co_ci_u32_e64 v67, null, s1, v39, vcc_lo
	v_add_co_u32 v68, vcc_lo, s0, v68
	s_clause 0x1
	global_load_b128 v[22:25], v[52:53], off
	global_load_b128 v[26:29], v[54:55], off
	v_ashrrev_i32_e32 v79, 31, v78
	v_add_nc_u32_e32 v80, s11, v78
	s_wait_alu 0xfffd
	v_add_co_ci_u32_e64 v69, null, s1, v69, vcc_lo
	v_add_co_u32 v70, vcc_lo, s0, v72
	s_wait_alu 0xfffd
	v_add_co_ci_u32_e64 v71, null, s1, v73, vcc_lo
	v_add_co_u32 v72, vcc_lo, s0, v76
	s_wait_alu 0xfffd
	v_add_co_ci_u32_e64 v73, null, s1, v77, vcc_lo
	v_lshlrev_b64_e32 v[76:77], 4, v[78:79]
	v_add_nc_u32_e32 v78, s11, v80
	v_ashrrev_i32_e32 v75, 31, v74
	s_clause 0x2
	global_load_b128 v[30:33], v[56:57], off
	global_load_b128 v[34:37], v[58:59], off
	;; [unrolled: 1-line block ×3, first 2 shown]
	v_ashrrev_i32_e32 v81, 31, v80
	v_add_nc_u32_e32 v82, s11, v78
	v_lshlrev_b64_e32 v[74:75], 4, v[74:75]
	v_ashrrev_i32_e32 v79, 31, v78
	global_load_b128 v[130:133], v[62:63], off
	v_lshlrev_b64_e32 v[80:81], 4, v[80:81]
	v_add_nc_u32_e32 v86, s11, v82
	v_ashrrev_i32_e32 v83, 31, v82
	v_add_co_u32 v74, vcc_lo, s0, v74
	s_wait_alu 0xfffd
	v_add_co_ci_u32_e64 v75, null, s1, v75, vcc_lo
	v_add_co_u32 v76, vcc_lo, s0, v76
	v_ashrrev_i32_e32 v87, 31, v86
	v_lshlrev_b64_e32 v[84:85], 4, v[78:79]
	s_wait_alu 0xfffd
	v_add_co_ci_u32_e64 v77, null, s1, v77, vcc_lo
	v_add_co_u32 v78, vcc_lo, s0, v80
	v_lshlrev_b64_e32 v[82:83], 4, v[82:83]
	s_clause 0x1
	global_load_b128 v[134:137], v[64:65], off
	global_load_b128 v[138:141], v[66:67], off
	s_wait_alu 0xfffd
	v_add_co_ci_u32_e64 v79, null, s1, v81, vcc_lo
	v_add_nc_u32_e32 v88, s11, v86
	v_lshlrev_b64_e32 v[86:87], 4, v[86:87]
	s_clause 0x2
	global_load_b128 v[142:145], v[68:69], off
	global_load_b128 v[146:149], v[70:71], off
	;; [unrolled: 1-line block ×3, first 2 shown]
	v_add_co_u32 v80, vcc_lo, s0, v84
	s_clause 0x2
	global_load_b128 v[154:157], v[74:75], off
	global_load_b128 v[158:161], v[76:77], off
	;; [unrolled: 1-line block ×3, first 2 shown]
	s_wait_alu 0xfffd
	v_add_co_ci_u32_e64 v81, null, s1, v85, vcc_lo
	v_add_co_u32 v84, vcc_lo, s0, v82
	s_wait_alu 0xfffd
	v_add_co_ci_u32_e64 v85, null, s1, v83, vcc_lo
	v_add_co_u32 v82, vcc_lo, s0, v86
	v_ashrrev_i32_e32 v89, 31, v88
	s_wait_alu 0xfffd
	v_add_co_ci_u32_e64 v83, null, s1, v87, vcc_lo
	s_clause 0x2
	global_load_b128 v[166:169], v[80:81], off
	global_load_b128 v[170:173], v[84:85], off
	;; [unrolled: 1-line block ×3, first 2 shown]
	v_lshlrev_b64_e32 v[86:87], 4, v[88:89]
	v_add_nc_u32_e32 v90, s11, v88
	s_movk_i32 s4, 0x70
	s_movk_i32 s5, 0x80
	;; [unrolled: 1-line block ×4, first 2 shown]
	v_add_co_u32 v86, vcc_lo, s0, v86
	s_wait_alu 0xfffd
	v_add_co_ci_u32_e64 v87, null, s1, v87, vcc_lo
	v_add_nc_u32_e32 v88, s11, v90
	v_ashrrev_i32_e32 v91, 31, v90
	s_movk_i32 s10, 0xb0
	global_load_b128 v[178:181], v[86:87], off
	s_movk_i32 s21, 0x130
	v_add_nc_u32_e32 v92, s11, v88
	v_ashrrev_i32_e32 v89, 31, v88
	v_lshlrev_b64_e32 v[90:91], 4, v[90:91]
	s_movk_i32 s22, 0x140
	s_movk_i32 s24, 0x160
	v_add_nc_u32_e32 v96, s11, v92
	v_ashrrev_i32_e32 v93, 31, v92
	v_lshlrev_b64_e32 v[88:89], 4, v[88:89]
	v_add_co_u32 v90, vcc_lo, s0, v90
	s_delay_alu instid0(VALU_DEP_4) | instskip(NEXT) | instid1(VALU_DEP_4)
	v_ashrrev_i32_e32 v97, 31, v96
	v_lshlrev_b64_e32 v[92:93], 4, v[92:93]
	s_wait_alu 0xfffd
	v_add_co_ci_u32_e64 v91, null, s1, v91, vcc_lo
	v_add_co_u32 v88, vcc_lo, s0, v88
	v_lshlrev_b64_e32 v[97:98], 4, v[96:97]
	v_add_nc_u32_e32 v96, s11, v96
	s_wait_alu 0xfffd
	v_add_co_ci_u32_e64 v89, null, s1, v89, vcc_lo
	v_add_co_u32 v94, vcc_lo, s0, v92
	s_wait_alu 0xfffd
	v_add_co_ci_u32_e64 v95, null, s1, v93, vcc_lo
	v_add_co_u32 v92, vcc_lo, s0, v97
	s_wait_alu 0xfffd
	v_add_co_ci_u32_e64 v93, null, s1, v98, vcc_lo
	v_add_nc_u32_e32 v98, s11, v96
	v_ashrrev_i32_e32 v97, 31, v96
	s_clause 0x3
	global_load_b128 v[182:185], v[90:91], off
	global_load_b128 v[186:189], v[88:89], off
	global_load_b128 v[190:193], v[94:95], off
	global_load_b128 v[194:197], v[92:93], off
	v_add_nc_u32_e32 v100, s11, v98
	v_ashrrev_i32_e32 v99, 31, v98
	v_lshlrev_b64_e32 v[96:97], 4, v[96:97]
	s_movk_i32 s25, 0x170
	s_movk_i32 s29, 0x1b0
	v_add_nc_u32_e32 v102, s11, v100
	v_ashrrev_i32_e32 v101, 31, v100
	v_lshlrev_b64_e32 v[98:99], 4, v[98:99]
	v_add_co_u32 v96, vcc_lo, s0, v96
	s_delay_alu instid0(VALU_DEP_4)
	v_add_nc_u32_e32 v104, s11, v102
	v_ashrrev_i32_e32 v103, 31, v102
	v_lshlrev_b64_e32 v[100:101], 4, v[100:101]
	s_wait_alu 0xfffd
	v_add_co_ci_u32_e64 v97, null, s1, v97, vcc_lo
	v_add_nc_u32_e32 v106, s11, v104
	v_ashrrev_i32_e32 v105, 31, v104
	v_lshlrev_b64_e32 v[102:103], 4, v[102:103]
	v_add_co_u32 v98, vcc_lo, s0, v98
	s_delay_alu instid0(VALU_DEP_4)
	v_add_nc_u32_e32 v108, s11, v106
	v_ashrrev_i32_e32 v107, 31, v106
	v_lshlrev_b64_e32 v[104:105], 4, v[104:105]
	s_wait_alu 0xfffd
	v_add_co_ci_u32_e64 v99, null, s1, v99, vcc_lo
	v_add_nc_u32_e32 v110, s11, v108
	v_ashrrev_i32_e32 v109, 31, v108
	v_add_co_u32 v100, vcc_lo, s0, v100
	v_lshlrev_b64_e32 v[106:107], 4, v[106:107]
	s_delay_alu instid0(VALU_DEP_4)
	v_add_nc_u32_e32 v112, s11, v110
	v_ashrrev_i32_e32 v111, 31, v110
	s_wait_alu 0xfffd
	v_add_co_ci_u32_e64 v101, null, s1, v101, vcc_lo
	v_add_co_u32 v102, vcc_lo, s0, v102
	v_add_nc_u32_e32 v114, s11, v112
	v_ashrrev_i32_e32 v113, 31, v112
	v_lshlrev_b64_e32 v[108:109], 4, v[108:109]
	s_wait_alu 0xfffd
	v_add_co_ci_u32_e64 v103, null, s1, v103, vcc_lo
	v_add_nc_u32_e32 v116, s11, v114
	v_ashrrev_i32_e32 v115, 31, v114
	v_add_co_u32 v104, vcc_lo, s0, v104
	v_lshlrev_b64_e32 v[110:111], 4, v[110:111]
	s_delay_alu instid0(VALU_DEP_4)
	v_add_nc_u32_e32 v118, s11, v116
	v_ashrrev_i32_e32 v117, 31, v116
	s_wait_alu 0xfffd
	v_add_co_ci_u32_e64 v105, null, s1, v105, vcc_lo
	v_add_co_u32 v106, vcc_lo, s0, v106
	v_lshlrev_b64_e32 v[112:113], 4, v[112:113]
	v_ashrrev_i32_e32 v119, 31, v118
	s_wait_alu 0xfffd
	v_add_co_ci_u32_e64 v107, null, s1, v107, vcc_lo
	v_add_co_u32 v108, vcc_lo, s0, v108
	v_lshlrev_b64_e32 v[114:115], 4, v[114:115]
	s_wait_alu 0xfffd
	v_add_co_ci_u32_e64 v109, null, s1, v109, vcc_lo
	v_add_co_u32 v110, vcc_lo, s0, v110
	v_lshlrev_b64_e32 v[116:117], 4, v[116:117]
	s_wait_alu 0xfffd
	v_add_co_ci_u32_e64 v111, null, s1, v111, vcc_lo
	v_add_co_u32 v112, vcc_lo, s0, v112
	s_wait_alu 0xfffd
	v_add_co_ci_u32_e64 v113, null, s1, v113, vcc_lo
	v_add_co_u32 v114, vcc_lo, s0, v114
	;; [unrolled: 3-line block ×3, first 2 shown]
	s_wait_alu 0xfffd
	v_add_co_ci_u32_e64 v117, null, s1, v117, vcc_lo
	s_movk_i32 s30, 0x1c0
	s_movk_i32 s35, 0x1f0
	;; [unrolled: 1-line block ×24, first 2 shown]
	s_add_co_i32 s44, s26, 16
	s_add_co_i32 s36, s28, 16
	;; [unrolled: 1-line block ×3, first 2 shown]
	s_wait_alu 0xfffe
	s_add_co_i32 s66, s4, 16
	s_add_co_i32 s65, s5, 16
	;; [unrolled: 1-line block ×39, first 2 shown]
	s_mov_b32 s58, 32
	s_mov_b32 s57, 48
	;; [unrolled: 1-line block ×3, first 2 shown]
	s_movk_i32 s55, 0x50
	s_wait_loadcnt 0x1a
	scratch_store_b128 off, v[5:8], off offset:16
	s_wait_loadcnt 0x19
	scratch_store_b128 off, v[1:4], off offset:32
	v_add_nc_u32_e32 v5, s11, v118
	v_lshlrev_b64_e32 v[7:8], 4, v[118:119]
	s_wait_loadcnt 0x18
	scratch_store_b128 off, v[9:12], off offset:48
	s_wait_loadcnt 0x17
	scratch_store_b128 off, v[14:17], off offset:64
	v_add_nc_u32_e32 v122, s11, v5
	v_ashrrev_i32_e32 v6, 31, v5
	v_add_co_u32 v118, vcc_lo, s0, v7
	s_wait_alu 0xfffd
	v_add_co_ci_u32_e64 v119, null, s1, v8, vcc_lo
	v_add_nc_u32_e32 v124, s11, v122
	v_lshlrev_b64_e32 v[5:6], 4, v[5:6]
	v_ashrrev_i32_e32 v123, 31, v122
	s_delay_alu instid0(VALU_DEP_3) | instskip(SKIP_1) | instid1(VALU_DEP_4)
	v_add_nc_u32_e32 v126, s11, v124
	v_ashrrev_i32_e32 v125, 31, v124
	v_add_co_u32 v120, vcc_lo, s0, v5
	s_wait_alu 0xfffd
	v_add_co_ci_u32_e64 v121, null, s1, v6, vcc_lo
	s_clause 0x1
	global_load_b128 v[1:4], v[96:97], off
	global_load_b128 v[5:8], v[98:99], off
	s_wait_loadcnt 0x18
	scratch_store_b128 off, v[18:21], off offset:80
	v_add_nc_u32_e32 v18, s11, v126
	v_lshlrev_b64_e32 v[9:10], 4, v[122:123]
	s_wait_loadcnt 0x17
	scratch_store_b128 off, v[22:25], off offset:96
	s_wait_loadcnt 0x16
	scratch_store_b128 off, v[26:29], off offset:112
	v_add_nc_u32_e32 v198, s11, v18
	v_lshlrev_b64_e32 v[11:12], 4, v[124:125]
	v_ashrrev_i32_e32 v127, 31, v126
	v_add_co_u32 v122, vcc_lo, s0, v9
	s_delay_alu instid0(VALU_DEP_4)
	v_add_nc_u32_e32 v26, s11, v198
	v_ashrrev_i32_e32 v19, 31, v18
	s_wait_alu 0xfffd
	v_add_co_ci_u32_e64 v123, null, s1, v10, vcc_lo
	v_add_co_u32 v124, vcc_lo, s0, v11
	v_add_nc_u32_e32 v200, s11, v26
	v_ashrrev_i32_e32 v199, 31, v198
	s_wait_alu 0xfffd
	v_add_co_ci_u32_e64 v125, null, s1, v12, vcc_lo
	s_clause 0x1
	global_load_b128 v[9:12], v[100:101], off
	global_load_b128 v[14:17], v[102:103], off
	v_lshlrev_b64_e32 v[20:21], 4, v[126:127]
	s_wait_loadcnt 0x17
	scratch_store_b128 off, v[30:33], off offset:128
	s_wait_loadcnt 0x16
	scratch_store_b128 off, v[34:37], off offset:144
	;; [unrolled: 2-line block ×3, first 2 shown]
	v_add_nc_u32_e32 v34, s11, v200
	v_ashrrev_i32_e32 v27, 31, v26
	v_lshlrev_b64_e32 v[18:19], 4, v[18:19]
	v_ashrrev_i32_e32 v201, 31, v200
	v_lshlrev_b64_e32 v[28:29], 4, v[198:199]
	v_ashrrev_i32_e32 v35, 31, v34
	v_add_co_u32 v126, vcc_lo, s0, v20
	v_lshlrev_b64_e32 v[26:27], 4, v[26:27]
	s_wait_alu 0xfffd
	v_add_co_ci_u32_e64 v127, null, s1, v21, vcc_lo
	v_add_co_u32 v128, vcc_lo, s0, v18
	v_lshlrev_b64_e32 v[36:37], 4, v[200:201]
	s_wait_alu 0xfffd
	v_add_co_ci_u32_e64 v129, null, s1, v19, vcc_lo
	s_clause 0x1
	global_load_b128 v[18:21], v[104:105], off
	global_load_b128 v[22:25], v[106:107], off
	s_wait_loadcnt 0x16
	scratch_store_b128 off, v[130:133], off offset:176
	v_add_co_u32 v130, vcc_lo, s0, v28
	v_add_nc_u32_e32 v198, s11, v34
	v_lshlrev_b64_e32 v[34:35], 4, v[34:35]
	s_wait_alu 0xfffd
	v_add_co_ci_u32_e64 v131, null, s1, v29, vcc_lo
	v_add_co_u32 v132, vcc_lo, s0, v26
	s_wait_alu 0xfffd
	v_add_co_ci_u32_e64 v133, null, s1, v27, vcc_lo
	s_wait_loadcnt 0x15
	scratch_store_b128 off, v[134:137], off offset:192
	s_wait_loadcnt 0x14
	scratch_store_b128 off, v[138:141], off offset:208
	v_add_co_u32 v134, vcc_lo, s0, v36
	s_wait_alu 0xfffd
	v_add_co_ci_u32_e64 v135, null, s1, v37, vcc_lo
	v_add_co_u32 v136, vcc_lo, s0, v34
	s_clause 0x1
	global_load_b128 v[26:29], v[108:109], off
	global_load_b128 v[30:33], v[110:111], off
	s_wait_loadcnt 0x15
	scratch_store_b128 off, v[142:145], off offset:224
	s_wait_loadcnt 0x14
	scratch_store_b128 off, v[146:149], off offset:240
	;; [unrolled: 2-line block ×3, first 2 shown]
	s_wait_alu 0xfffd
	v_add_co_ci_u32_e64 v137, null, s1, v35, vcc_lo
	s_clause 0x1
	global_load_b128 v[34:37], v[112:113], off
	global_load_b128 v[38:41], v[114:115], off
	s_wait_loadcnt 0x14
	scratch_store_b128 off, v[154:157], off offset:272
	s_wait_loadcnt 0x13
	scratch_store_b128 off, v[158:161], off offset:288
	;; [unrolled: 2-line block ×3, first 2 shown]
	s_clause 0x1
	global_load_b128 v[158:161], v[116:117], off
	global_load_b128 v[162:165], v[118:119], off
	s_wait_loadcnt 0x13
	scratch_store_b128 off, v[166:169], off offset:320
	s_wait_loadcnt 0x12
	scratch_store_b128 off, v[170:173], off offset:336
	;; [unrolled: 2-line block ×3, first 2 shown]
	s_clause 0x2
	global_load_b128 v[166:169], v[120:121], off
	global_load_b128 v[170:173], v[122:123], off
	;; [unrolled: 1-line block ×3, first 2 shown]
	v_add_nc_u32_e32 v138, s11, v198
	v_ashrrev_i32_e32 v199, 31, v198
	s_delay_alu instid0(VALU_DEP_2) | instskip(SKIP_1) | instid1(VALU_DEP_3)
	v_add_nc_u32_e32 v142, s11, v138
	v_ashrrev_i32_e32 v139, 31, v138
	v_lshlrev_b64_e32 v[140:141], 4, v[198:199]
	s_wait_loadcnt 0x13
	scratch_store_b128 off, v[178:181], off offset:368
	global_load_b128 v[178:181], v[126:127], off
	v_add_nc_u32_e32 v146, s11, v142
	v_lshlrev_b64_e32 v[144:145], 4, v[138:139]
	v_add_co_u32 v138, vcc_lo, s0, v140
	s_wait_alu 0xfffd
	v_add_co_ci_u32_e64 v139, null, s1, v141, vcc_lo
	v_ashrrev_i32_e32 v147, 31, v146
	v_add_nc_u32_e32 v148, s11, v146
	v_add_co_u32 v140, vcc_lo, s0, v144
	v_ashrrev_i32_e32 v143, 31, v142
	s_wait_alu 0xfffd
	v_add_co_ci_u32_e64 v141, null, s1, v145, vcc_lo
	v_lshlrev_b64_e32 v[144:145], 4, v[146:147]
	v_add_nc_u32_e32 v146, s11, v148
	v_ashrrev_i32_e32 v149, 31, v148
	v_lshlrev_b64_e32 v[142:143], 4, v[142:143]
	s_delay_alu instid0(VALU_DEP_3) | instskip(SKIP_1) | instid1(VALU_DEP_4)
	v_ashrrev_i32_e32 v147, 31, v146
	v_add_nc_u32_e32 v150, s11, v146
	v_lshlrev_b64_e32 v[148:149], 4, v[148:149]
	s_delay_alu instid0(VALU_DEP_4) | instskip(NEXT) | instid1(VALU_DEP_4)
	v_add_co_u32 v142, vcc_lo, s0, v142
	v_lshlrev_b64_e32 v[152:153], 4, v[146:147]
	s_delay_alu instid0(VALU_DEP_4)
	v_add_nc_u32_e32 v154, s11, v150
	s_wait_alu 0xfffd
	v_add_co_ci_u32_e64 v143, null, s1, v143, vcc_lo
	v_add_co_u32 v144, vcc_lo, s0, v144
	s_wait_alu 0xfffd
	v_add_co_ci_u32_e64 v145, null, s1, v145, vcc_lo
	v_add_co_u32 v146, vcc_lo, s0, v148
	;; [unrolled: 3-line block ×3, first 2 shown]
	v_add_nc_u32_e32 v152, s11, v154
	v_ashrrev_i32_e32 v151, 31, v150
	s_wait_loadcnt 0x12
	scratch_store_b128 off, v[186:189], off offset:400
	s_wait_loadcnt 0x11
	scratch_store_b128 off, v[190:193], off offset:416
	v_ashrrev_i32_e32 v155, 31, v154
	v_add_nc_u32_e32 v186, s11, v152
	s_wait_alu 0xfffd
	v_add_co_ci_u32_e64 v149, null, s1, v153, vcc_lo
	v_ashrrev_i32_e32 v153, 31, v152
	v_lshlrev_b64_e32 v[150:151], 4, v[150:151]
	v_add_nc_u32_e32 v190, s11, v186
	scratch_store_b128 off, v[182:185], off offset:384
	v_lshlrev_b64_e32 v[154:155], 4, v[154:155]
	s_wait_loadcnt 0x10
	scratch_store_b128 off, v[194:197], off offset:432
	global_load_b128 v[182:185], v[128:129], off
	v_lshlrev_b64_e32 v[156:157], 4, v[152:153]
	v_add_co_u32 v150, vcc_lo, s0, v150
	v_ashrrev_i32_e32 v187, 31, v186
	s_wait_alu 0xfffd
	v_add_co_ci_u32_e64 v151, null, s1, v151, vcc_lo
	v_add_co_u32 v152, vcc_lo, s0, v154
	v_ashrrev_i32_e32 v191, 31, v190
	s_wait_alu 0xfffd
	v_add_co_ci_u32_e64 v153, null, s1, v155, vcc_lo
	v_add_co_u32 v154, vcc_lo, s0, v156
	s_wait_alu 0xfffd
	v_add_co_ci_u32_e64 v155, null, s1, v157, vcc_lo
	v_lshlrev_b64_e32 v[156:157], 4, v[186:187]
	s_delay_alu instid0(VALU_DEP_1) | instskip(SKIP_1) | instid1(VALU_DEP_2)
	v_add_co_u32 v156, vcc_lo, s0, v156
	s_wait_alu 0xfffd
	v_add_co_ci_u32_e64 v157, null, s1, v157, vcc_lo
	s_wait_loadcnt 0x10
	scratch_store_b128 off, v[1:4], off offset:448
	global_load_b128 v[1:4], v[130:131], off
	s_wait_loadcnt 0x10
	scratch_store_b128 off, v[5:8], off offset:464
	s_wait_loadcnt 0xf
	scratch_store_b128 off, v[9:12], off offset:480
	s_clause 0x1
	global_load_b128 v[5:8], v[132:133], off
	global_load_b128 v[9:12], v[134:135], off
	s_wait_loadcnt 0x10
	scratch_store_b128 off, v[14:17], off offset:496
	s_wait_loadcnt 0xf
	scratch_store_b128 off, v[18:21], off offset:512
	s_clause 0x1
	global_load_b128 v[14:17], v[136:137], off
	global_load_b128 v[18:21], v[138:139], off
	s_wait_loadcnt 0x10
	scratch_store_b128 off, v[22:25], off offset:528
	s_wait_loadcnt 0xf
	scratch_store_b128 off, v[26:29], off offset:544
	s_clause 0x1
	global_load_b128 v[22:25], v[140:141], off
	global_load_b128 v[26:29], v[142:143], off
	s_wait_loadcnt 0x10
	scratch_store_b128 off, v[30:33], off offset:560
	s_wait_loadcnt 0xf
	scratch_store_b128 off, v[34:37], off offset:576
	s_clause 0x1
	global_load_b128 v[30:33], v[144:145], off
	global_load_b128 v[34:37], v[146:147], off
	s_wait_loadcnt 0x10
	scratch_store_b128 off, v[38:41], off offset:592
	s_wait_loadcnt 0xf
	scratch_store_b128 off, v[158:161], off offset:608
	v_add_nc_u32_e32 v158, s11, v190
	v_lshlrev_b64_e32 v[160:161], 4, v[190:191]
	s_clause 0x1
	global_load_b128 v[38:41], v[148:149], off
	global_load_b128 v[186:189], v[150:151], off
	s_wait_loadcnt 0x10
	scratch_store_b128 off, v[162:165], off offset:624
	s_wait_loadcnt 0xf
	scratch_store_b128 off, v[166:169], off offset:640
	s_clause 0x1
	global_load_b128 v[162:165], v[152:153], off
	global_load_b128 v[166:169], v[154:155], off
	v_ashrrev_i32_e32 v159, 31, v158
	s_wait_loadcnt 0x10
	scratch_store_b128 off, v[170:173], off offset:656
	s_wait_loadcnt 0xf
	scratch_store_b128 off, v[174:177], off offset:672
	global_load_b128 v[170:173], v[156:157], off
	s_movk_i32 s11, 0xc0
	v_lshlrev_b64_e32 v[174:175], 4, v[158:159]
	v_add_co_u32 v158, vcc_lo, s0, v160
	s_wait_alu 0xfffd
	v_add_co_ci_u32_e64 v159, null, s1, v161, vcc_lo
	s_wait_loadcnt 0xf
	scratch_store_b128 off, v[178:181], off offset:688
	v_add_co_u32 v160, vcc_lo, s0, v174
	s_wait_alu 0xfffd
	v_add_co_ci_u32_e64 v161, null, s1, v175, vcc_lo
	global_load_b128 v[174:177], v[158:159], off
	s_movk_i32 s0, 0x50
	s_movk_i32 s1, 0x60
	global_load_b128 v[178:181], v[160:161], off
	s_wait_alu 0xfffe
	s_add_co_i32 s68, s0, 16
	s_add_co_i32 s67, s1, 16
	s_movk_i32 s0, 0x360
	s_movk_i32 s1, 0x370
	s_wait_alu 0xfffe
	s_add_co_i32 s31, s0, 16
	s_add_co_i32 s23, s1, 16
	s_movk_i32 s0, 0x380
	s_movk_i32 s1, 0x390
	;; [unrolled: 5-line block ×3, first 2 shown]
	s_add_co_i32 s61, s11, 16
	s_add_co_i32 s11, s53, 16
	s_wait_alu 0xfffe
	s_add_co_i32 s35, s0, 16
	s_add_co_i32 s53, s1, 16
	s_bitcmp0_b32 s69, 0
	s_mov_b32 s1, -1
	s_wait_loadcnt 0x10
	scratch_store_b128 off, v[182:185], off offset:704
	s_wait_loadcnt 0xf
	scratch_store_b128 off, v[1:4], off offset:720
	;; [unrolled: 2-line block ×17, first 2 shown]
	s_cbranch_scc1 .LBB59_252
; %bb.4:
	v_cmp_eq_u32_e64 s0, 0, v0
	s_and_saveexec_b32 s1, s0
; %bb.5:
	v_mov_b32_e32 v1, 0
	ds_store_b32 v1, v1 offset:1920
; %bb.6:
	s_wait_alu 0xfffe
	s_or_b32 exec_lo, exec_lo, s1
	s_wait_storecnt_dscnt 0x0
	s_barrier_signal -1
	s_barrier_wait -1
	global_inv scope:SCOPE_SE
	scratch_load_b128 v[1:4], v13, off offset:16
	s_wait_loadcnt 0x0
	v_cmp_eq_f64_e32 vcc_lo, 0, v[1:2]
	v_cmp_eq_f64_e64 s1, 0, v[3:4]
	s_and_b32 s1, vcc_lo, s1
	s_wait_alu 0xfffe
	s_and_saveexec_b32 s69, s1
	s_cbranch_execz .LBB59_10
; %bb.7:
	v_mov_b32_e32 v1, 0
	s_mov_b32 s70, 0
	ds_load_b32 v2, v1 offset:1920
	s_wait_dscnt 0x0
	v_readfirstlane_b32 s1, v2
	v_add_nc_u32_e32 v2, 1, v0
	s_cmp_eq_u32 s1, 0
	s_delay_alu instid0(VALU_DEP_1) | instskip(SKIP_1) | instid1(SALU_CYCLE_1)
	v_cmp_gt_i32_e32 vcc_lo, s1, v2
	s_cselect_b32 s71, -1, 0
	s_or_b32 s71, s71, vcc_lo
	s_delay_alu instid0(SALU_CYCLE_1)
	s_and_b32 exec_lo, exec_lo, s71
	s_cbranch_execz .LBB59_10
; %bb.8:
	v_mov_b32_e32 v3, s1
.LBB59_9:                               ; =>This Inner Loop Header: Depth=1
	ds_cmpstore_rtn_b32 v3, v1, v2, v3 offset:1920
	s_wait_dscnt 0x0
	v_cmp_ne_u32_e32 vcc_lo, 0, v3
	v_cmp_le_i32_e64 s1, v3, v2
	s_and_b32 s1, vcc_lo, s1
	s_wait_alu 0xfffe
	s_and_b32 s1, exec_lo, s1
	s_wait_alu 0xfffe
	s_or_b32 s70, s1, s70
	s_delay_alu instid0(SALU_CYCLE_1)
	s_and_not1_b32 exec_lo, exec_lo, s70
	s_cbranch_execnz .LBB59_9
.LBB59_10:
	s_or_b32 exec_lo, exec_lo, s69
	v_mov_b32_e32 v1, 0
	s_barrier_signal -1
	s_barrier_wait -1
	global_inv scope:SCOPE_SE
	ds_load_b32 v2, v1 offset:1920
	s_and_saveexec_b32 s1, s0
	s_cbranch_execz .LBB59_12
; %bb.11:
	s_lshl_b64 s[70:71], s[16:17], 2
	s_delay_alu instid0(SALU_CYCLE_1)
	s_add_nc_u64 s[70:71], s[6:7], s[70:71]
	s_wait_dscnt 0x0
	global_store_b32 v1, v2, s[70:71]
.LBB59_12:
	s_wait_alu 0xfffe
	s_or_b32 exec_lo, exec_lo, s1
	s_wait_dscnt 0x0
	v_cmp_ne_u32_e32 vcc_lo, 0, v2
	s_mov_b32 s1, 0
	s_cbranch_vccnz .LBB59_252
; %bb.13:
	v_add_nc_u32_e32 v14, 16, v13
                                        ; implicit-def: $vgpr1_vgpr2
                                        ; implicit-def: $vgpr9_vgpr10
	scratch_load_b128 v[5:8], v14, off
	s_wait_loadcnt 0x0
	v_cmp_ngt_f64_e64 s1, |v[5:6]|, |v[7:8]|
	s_wait_alu 0xfffe
	s_and_saveexec_b32 s69, s1
	s_delay_alu instid0(SALU_CYCLE_1)
	s_xor_b32 s1, exec_lo, s69
	s_cbranch_execz .LBB59_15
; %bb.14:
	v_div_scale_f64 v[1:2], null, v[7:8], v[7:8], v[5:6]
	v_div_scale_f64 v[11:12], vcc_lo, v[5:6], v[7:8], v[5:6]
	s_delay_alu instid0(VALU_DEP_2) | instskip(NEXT) | instid1(TRANS32_DEP_1)
	v_rcp_f64_e32 v[3:4], v[1:2]
	v_fma_f64 v[9:10], -v[1:2], v[3:4], 1.0
	s_delay_alu instid0(VALU_DEP_1) | instskip(NEXT) | instid1(VALU_DEP_1)
	v_fma_f64 v[3:4], v[3:4], v[9:10], v[3:4]
	v_fma_f64 v[9:10], -v[1:2], v[3:4], 1.0
	s_delay_alu instid0(VALU_DEP_1) | instskip(NEXT) | instid1(VALU_DEP_1)
	v_fma_f64 v[3:4], v[3:4], v[9:10], v[3:4]
	v_mul_f64_e32 v[9:10], v[11:12], v[3:4]
	s_delay_alu instid0(VALU_DEP_1) | instskip(SKIP_1) | instid1(VALU_DEP_1)
	v_fma_f64 v[1:2], -v[1:2], v[9:10], v[11:12]
	s_wait_alu 0xfffd
	v_div_fmas_f64 v[1:2], v[1:2], v[3:4], v[9:10]
	s_delay_alu instid0(VALU_DEP_1) | instskip(NEXT) | instid1(VALU_DEP_1)
	v_div_fixup_f64 v[1:2], v[1:2], v[7:8], v[5:6]
	v_fma_f64 v[3:4], v[5:6], v[1:2], v[7:8]
	s_delay_alu instid0(VALU_DEP_1) | instskip(SKIP_1) | instid1(VALU_DEP_2)
	v_div_scale_f64 v[5:6], null, v[3:4], v[3:4], 1.0
	v_div_scale_f64 v[11:12], vcc_lo, 1.0, v[3:4], 1.0
	v_rcp_f64_e32 v[7:8], v[5:6]
	s_delay_alu instid0(TRANS32_DEP_1) | instskip(NEXT) | instid1(VALU_DEP_1)
	v_fma_f64 v[9:10], -v[5:6], v[7:8], 1.0
	v_fma_f64 v[7:8], v[7:8], v[9:10], v[7:8]
	s_delay_alu instid0(VALU_DEP_1) | instskip(NEXT) | instid1(VALU_DEP_1)
	v_fma_f64 v[9:10], -v[5:6], v[7:8], 1.0
	v_fma_f64 v[7:8], v[7:8], v[9:10], v[7:8]
	s_delay_alu instid0(VALU_DEP_1) | instskip(NEXT) | instid1(VALU_DEP_1)
	v_mul_f64_e32 v[9:10], v[11:12], v[7:8]
	v_fma_f64 v[5:6], -v[5:6], v[9:10], v[11:12]
	s_wait_alu 0xfffd
	s_delay_alu instid0(VALU_DEP_1) | instskip(NEXT) | instid1(VALU_DEP_1)
	v_div_fmas_f64 v[5:6], v[5:6], v[7:8], v[9:10]
	v_div_fixup_f64 v[3:4], v[5:6], v[3:4], 1.0
                                        ; implicit-def: $vgpr5_vgpr6
	s_delay_alu instid0(VALU_DEP_1) | instskip(SKIP_1) | instid1(VALU_DEP_2)
	v_mul_f64_e32 v[1:2], v[1:2], v[3:4]
	v_xor_b32_e32 v4, 0x80000000, v4
	v_xor_b32_e32 v10, 0x80000000, v2
	s_delay_alu instid0(VALU_DEP_3)
	v_mov_b32_e32 v9, v1
.LBB59_15:
	s_wait_alu 0xfffe
	s_and_not1_saveexec_b32 s1, s1
	s_cbranch_execz .LBB59_17
; %bb.16:
	v_div_scale_f64 v[1:2], null, v[5:6], v[5:6], v[7:8]
	v_div_scale_f64 v[11:12], vcc_lo, v[7:8], v[5:6], v[7:8]
	s_delay_alu instid0(VALU_DEP_2) | instskip(NEXT) | instid1(TRANS32_DEP_1)
	v_rcp_f64_e32 v[3:4], v[1:2]
	v_fma_f64 v[9:10], -v[1:2], v[3:4], 1.0
	s_delay_alu instid0(VALU_DEP_1) | instskip(NEXT) | instid1(VALU_DEP_1)
	v_fma_f64 v[3:4], v[3:4], v[9:10], v[3:4]
	v_fma_f64 v[9:10], -v[1:2], v[3:4], 1.0
	s_delay_alu instid0(VALU_DEP_1) | instskip(NEXT) | instid1(VALU_DEP_1)
	v_fma_f64 v[3:4], v[3:4], v[9:10], v[3:4]
	v_mul_f64_e32 v[9:10], v[11:12], v[3:4]
	s_delay_alu instid0(VALU_DEP_1) | instskip(SKIP_1) | instid1(VALU_DEP_1)
	v_fma_f64 v[1:2], -v[1:2], v[9:10], v[11:12]
	s_wait_alu 0xfffd
	v_div_fmas_f64 v[1:2], v[1:2], v[3:4], v[9:10]
	s_delay_alu instid0(VALU_DEP_1) | instskip(NEXT) | instid1(VALU_DEP_1)
	v_div_fixup_f64 v[3:4], v[1:2], v[5:6], v[7:8]
	v_fma_f64 v[1:2], v[7:8], v[3:4], v[5:6]
	s_delay_alu instid0(VALU_DEP_1) | instskip(NEXT) | instid1(VALU_DEP_1)
	v_div_scale_f64 v[5:6], null, v[1:2], v[1:2], 1.0
	v_rcp_f64_e32 v[7:8], v[5:6]
	s_delay_alu instid0(TRANS32_DEP_1) | instskip(NEXT) | instid1(VALU_DEP_1)
	v_fma_f64 v[9:10], -v[5:6], v[7:8], 1.0
	v_fma_f64 v[7:8], v[7:8], v[9:10], v[7:8]
	s_delay_alu instid0(VALU_DEP_1) | instskip(NEXT) | instid1(VALU_DEP_1)
	v_fma_f64 v[9:10], -v[5:6], v[7:8], 1.0
	v_fma_f64 v[7:8], v[7:8], v[9:10], v[7:8]
	v_div_scale_f64 v[9:10], vcc_lo, 1.0, v[1:2], 1.0
	s_delay_alu instid0(VALU_DEP_1) | instskip(NEXT) | instid1(VALU_DEP_1)
	v_mul_f64_e32 v[11:12], v[9:10], v[7:8]
	v_fma_f64 v[5:6], -v[5:6], v[11:12], v[9:10]
	s_wait_alu 0xfffd
	s_delay_alu instid0(VALU_DEP_1) | instskip(NEXT) | instid1(VALU_DEP_1)
	v_div_fmas_f64 v[5:6], v[5:6], v[7:8], v[11:12]
	v_div_fixup_f64 v[1:2], v[5:6], v[1:2], 1.0
	s_delay_alu instid0(VALU_DEP_1)
	v_mul_f64_e64 v[3:4], v[3:4], -v[1:2]
	v_xor_b32_e32 v10, 0x80000000, v2
	v_mov_b32_e32 v9, v1
.LBB59_17:
	s_wait_alu 0xfffe
	s_or_b32 exec_lo, exec_lo, s1
	scratch_store_b128 v14, v[1:4], off
	scratch_load_b128 v[15:18], off, s58
	v_xor_b32_e32 v12, 0x80000000, v4
	v_mov_b32_e32 v11, v3
	v_add_nc_u32_e32 v5, 0x3c0, v13
	ds_store_b128 v13, v[9:12]
	s_wait_loadcnt 0x0
	ds_store_b128 v13, v[15:18] offset:960
	s_wait_storecnt_dscnt 0x0
	s_barrier_signal -1
	s_barrier_wait -1
	global_inv scope:SCOPE_SE
	s_and_saveexec_b32 s1, s0
	s_cbranch_execz .LBB59_19
; %bb.18:
	scratch_load_b128 v[1:4], v14, off
	ds_load_b128 v[6:9], v5
	v_mov_b32_e32 v10, 0
	ds_load_b128 v[15:18], v10 offset:16
	s_wait_loadcnt_dscnt 0x1
	v_mul_f64_e32 v[10:11], v[6:7], v[3:4]
	v_mul_f64_e32 v[3:4], v[8:9], v[3:4]
	s_delay_alu instid0(VALU_DEP_2) | instskip(NEXT) | instid1(VALU_DEP_2)
	v_fma_f64 v[8:9], v[8:9], v[1:2], v[10:11]
	v_fma_f64 v[1:2], v[6:7], v[1:2], -v[3:4]
	s_delay_alu instid0(VALU_DEP_2) | instskip(NEXT) | instid1(VALU_DEP_2)
	v_add_f64_e32 v[3:4], 0, v[8:9]
	v_add_f64_e32 v[1:2], 0, v[1:2]
	s_wait_dscnt 0x0
	s_delay_alu instid0(VALU_DEP_2) | instskip(NEXT) | instid1(VALU_DEP_2)
	v_mul_f64_e32 v[6:7], v[3:4], v[17:18]
	v_mul_f64_e32 v[8:9], v[1:2], v[17:18]
	s_delay_alu instid0(VALU_DEP_2) | instskip(NEXT) | instid1(VALU_DEP_2)
	v_fma_f64 v[1:2], v[1:2], v[15:16], -v[6:7]
	v_fma_f64 v[3:4], v[3:4], v[15:16], v[8:9]
	scratch_store_b128 off, v[1:4], off offset:32
.LBB59_19:
	s_wait_alu 0xfffe
	s_or_b32 exec_lo, exec_lo, s1
	s_wait_loadcnt 0x0
	s_wait_storecnt 0x0
	s_barrier_signal -1
	s_barrier_wait -1
	global_inv scope:SCOPE_SE
	scratch_load_b128 v[1:4], off, s57
	s_mov_b32 s1, exec_lo
	s_wait_loadcnt 0x0
	ds_store_b128 v5, v[1:4]
	s_wait_dscnt 0x0
	s_barrier_signal -1
	s_barrier_wait -1
	global_inv scope:SCOPE_SE
	v_cmpx_gt_u32_e32 2, v0
	s_cbranch_execz .LBB59_23
; %bb.20:
	scratch_load_b128 v[1:4], v14, off
	ds_load_b128 v[6:9], v5
	s_wait_loadcnt_dscnt 0x0
	v_mul_f64_e32 v[10:11], v[8:9], v[3:4]
	v_mul_f64_e32 v[3:4], v[6:7], v[3:4]
	s_delay_alu instid0(VALU_DEP_2) | instskip(NEXT) | instid1(VALU_DEP_2)
	v_fma_f64 v[6:7], v[6:7], v[1:2], -v[10:11]
	v_fma_f64 v[3:4], v[8:9], v[1:2], v[3:4]
	s_delay_alu instid0(VALU_DEP_2) | instskip(NEXT) | instid1(VALU_DEP_2)
	v_add_f64_e32 v[1:2], 0, v[6:7]
	v_add_f64_e32 v[3:4], 0, v[3:4]
	s_and_saveexec_b32 s69, s0
	s_cbranch_execz .LBB59_22
; %bb.21:
	scratch_load_b128 v[6:9], off, off offset:32
	v_mov_b32_e32 v10, 0
	ds_load_b128 v[15:18], v10 offset:976
	s_wait_loadcnt_dscnt 0x0
	v_mul_f64_e32 v[10:11], v[15:16], v[8:9]
	v_mul_f64_e32 v[8:9], v[17:18], v[8:9]
	s_delay_alu instid0(VALU_DEP_2) | instskip(NEXT) | instid1(VALU_DEP_2)
	v_fma_f64 v[10:11], v[17:18], v[6:7], v[10:11]
	v_fma_f64 v[6:7], v[15:16], v[6:7], -v[8:9]
	s_delay_alu instid0(VALU_DEP_2) | instskip(NEXT) | instid1(VALU_DEP_2)
	v_add_f64_e32 v[3:4], v[3:4], v[10:11]
	v_add_f64_e32 v[1:2], v[1:2], v[6:7]
.LBB59_22:
	s_or_b32 exec_lo, exec_lo, s69
	v_mov_b32_e32 v6, 0
	ds_load_b128 v[6:9], v6 offset:32
	s_wait_dscnt 0x0
	v_mul_f64_e32 v[10:11], v[3:4], v[8:9]
	v_mul_f64_e32 v[8:9], v[1:2], v[8:9]
	s_delay_alu instid0(VALU_DEP_2) | instskip(NEXT) | instid1(VALU_DEP_2)
	v_fma_f64 v[1:2], v[1:2], v[6:7], -v[10:11]
	v_fma_f64 v[3:4], v[3:4], v[6:7], v[8:9]
	scratch_store_b128 off, v[1:4], off offset:48
.LBB59_23:
	s_wait_alu 0xfffe
	s_or_b32 exec_lo, exec_lo, s1
	s_wait_loadcnt 0x0
	s_wait_storecnt 0x0
	s_barrier_signal -1
	s_barrier_wait -1
	global_inv scope:SCOPE_SE
	scratch_load_b128 v[1:4], off, s56
	v_add_nc_u32_e32 v6, -1, v0
	s_mov_b32 s0, exec_lo
	s_wait_loadcnt 0x0
	ds_store_b128 v5, v[1:4]
	s_wait_dscnt 0x0
	s_barrier_signal -1
	s_barrier_wait -1
	global_inv scope:SCOPE_SE
	v_cmpx_gt_u32_e32 3, v0
	s_cbranch_execz .LBB59_27
; %bb.24:
	v_dual_mov_b32 v1, 0 :: v_dual_add_nc_u32 v8, 0x3c0, v13
	v_mov_b32_e32 v3, 0
	v_dual_mov_b32 v2, 0 :: v_dual_add_nc_u32 v7, -1, v0
	v_mov_b32_e32 v4, 0
	v_or_b32_e32 v9, 8, v14
	s_mov_b32 s1, 0
.LBB59_25:                              ; =>This Inner Loop Header: Depth=1
	scratch_load_b128 v[15:18], v9, off offset:-8
	ds_load_b128 v[19:22], v8
	v_add_nc_u32_e32 v7, 1, v7
	v_add_nc_u32_e32 v8, 16, v8
	v_add_nc_u32_e32 v9, 16, v9
	s_delay_alu instid0(VALU_DEP_3)
	v_cmp_lt_u32_e32 vcc_lo, 1, v7
	s_wait_alu 0xfffe
	s_or_b32 s1, vcc_lo, s1
	s_wait_loadcnt_dscnt 0x0
	v_mul_f64_e32 v[10:11], v[21:22], v[17:18]
	v_mul_f64_e32 v[17:18], v[19:20], v[17:18]
	s_delay_alu instid0(VALU_DEP_2) | instskip(NEXT) | instid1(VALU_DEP_2)
	v_fma_f64 v[10:11], v[19:20], v[15:16], -v[10:11]
	v_fma_f64 v[15:16], v[21:22], v[15:16], v[17:18]
	s_delay_alu instid0(VALU_DEP_2) | instskip(NEXT) | instid1(VALU_DEP_2)
	v_add_f64_e32 v[3:4], v[3:4], v[10:11]
	v_add_f64_e32 v[1:2], v[1:2], v[15:16]
	s_wait_alu 0xfffe
	s_and_not1_b32 exec_lo, exec_lo, s1
	s_cbranch_execnz .LBB59_25
; %bb.26:
	s_or_b32 exec_lo, exec_lo, s1
	v_mov_b32_e32 v7, 0
	ds_load_b128 v[7:10], v7 offset:48
	s_wait_dscnt 0x0
	v_mul_f64_e32 v[11:12], v[1:2], v[9:10]
	v_mul_f64_e32 v[15:16], v[3:4], v[9:10]
	s_delay_alu instid0(VALU_DEP_2) | instskip(NEXT) | instid1(VALU_DEP_2)
	v_fma_f64 v[9:10], v[3:4], v[7:8], -v[11:12]
	v_fma_f64 v[11:12], v[1:2], v[7:8], v[15:16]
	scratch_store_b128 off, v[9:12], off offset:64
.LBB59_27:
	s_wait_alu 0xfffe
	s_or_b32 exec_lo, exec_lo, s0
	s_wait_loadcnt 0x0
	s_wait_storecnt 0x0
	s_barrier_signal -1
	s_barrier_wait -1
	global_inv scope:SCOPE_SE
	scratch_load_b128 v[1:4], off, s55
	s_mov_b32 s0, exec_lo
	s_wait_loadcnt 0x0
	ds_store_b128 v5, v[1:4]
	s_wait_dscnt 0x0
	s_barrier_signal -1
	s_barrier_wait -1
	global_inv scope:SCOPE_SE
	v_cmpx_gt_u32_e32 4, v0
	s_cbranch_execz .LBB59_31
; %bb.28:
	v_dual_mov_b32 v1, 0 :: v_dual_add_nc_u32 v8, 0x3c0, v13
	v_mov_b32_e32 v3, 0
	v_dual_mov_b32 v2, 0 :: v_dual_add_nc_u32 v7, -1, v0
	v_mov_b32_e32 v4, 0
	v_or_b32_e32 v9, 8, v14
	s_mov_b32 s1, 0
.LBB59_29:                              ; =>This Inner Loop Header: Depth=1
	scratch_load_b128 v[15:18], v9, off offset:-8
	ds_load_b128 v[19:22], v8
	v_add_nc_u32_e32 v7, 1, v7
	v_add_nc_u32_e32 v8, 16, v8
	v_add_nc_u32_e32 v9, 16, v9
	s_delay_alu instid0(VALU_DEP_3)
	v_cmp_lt_u32_e32 vcc_lo, 2, v7
	s_wait_alu 0xfffe
	s_or_b32 s1, vcc_lo, s1
	s_wait_loadcnt_dscnt 0x0
	v_mul_f64_e32 v[10:11], v[21:22], v[17:18]
	v_mul_f64_e32 v[17:18], v[19:20], v[17:18]
	s_delay_alu instid0(VALU_DEP_2) | instskip(NEXT) | instid1(VALU_DEP_2)
	v_fma_f64 v[10:11], v[19:20], v[15:16], -v[10:11]
	v_fma_f64 v[15:16], v[21:22], v[15:16], v[17:18]
	s_delay_alu instid0(VALU_DEP_2) | instskip(NEXT) | instid1(VALU_DEP_2)
	v_add_f64_e32 v[3:4], v[3:4], v[10:11]
	v_add_f64_e32 v[1:2], v[1:2], v[15:16]
	s_wait_alu 0xfffe
	s_and_not1_b32 exec_lo, exec_lo, s1
	s_cbranch_execnz .LBB59_29
; %bb.30:
	s_or_b32 exec_lo, exec_lo, s1
	v_mov_b32_e32 v7, 0
	ds_load_b128 v[7:10], v7 offset:64
	s_wait_dscnt 0x0
	v_mul_f64_e32 v[11:12], v[1:2], v[9:10]
	v_mul_f64_e32 v[15:16], v[3:4], v[9:10]
	s_delay_alu instid0(VALU_DEP_2) | instskip(NEXT) | instid1(VALU_DEP_2)
	v_fma_f64 v[9:10], v[3:4], v[7:8], -v[11:12]
	v_fma_f64 v[11:12], v[1:2], v[7:8], v[15:16]
	scratch_store_b128 off, v[9:12], off offset:80
.LBB59_31:
	s_wait_alu 0xfffe
	s_or_b32 exec_lo, exec_lo, s0
	s_wait_loadcnt 0x0
	s_wait_storecnt 0x0
	s_barrier_signal -1
	s_barrier_wait -1
	global_inv scope:SCOPE_SE
	scratch_load_b128 v[1:4], off, s68
	;; [unrolled: 58-line block ×19, first 2 shown]
	s_mov_b32 s0, exec_lo
	s_wait_loadcnt 0x0
	ds_store_b128 v5, v[1:4]
	s_wait_dscnt 0x0
	s_barrier_signal -1
	s_barrier_wait -1
	global_inv scope:SCOPE_SE
	v_cmpx_gt_u32_e32 22, v0
	s_cbranch_execz .LBB59_103
; %bb.100:
	v_dual_mov_b32 v1, 0 :: v_dual_add_nc_u32 v8, 0x3c0, v13
	v_mov_b32_e32 v3, 0
	v_dual_mov_b32 v2, 0 :: v_dual_add_nc_u32 v7, -1, v0
	v_mov_b32_e32 v4, 0
	v_or_b32_e32 v9, 8, v14
	s_mov_b32 s1, 0
.LBB59_101:                             ; =>This Inner Loop Header: Depth=1
	scratch_load_b128 v[15:18], v9, off offset:-8
	ds_load_b128 v[19:22], v8
	v_add_nc_u32_e32 v7, 1, v7
	v_add_nc_u32_e32 v8, 16, v8
	v_add_nc_u32_e32 v9, 16, v9
	s_delay_alu instid0(VALU_DEP_3)
	v_cmp_lt_u32_e32 vcc_lo, 20, v7
	s_wait_alu 0xfffe
	s_or_b32 s1, vcc_lo, s1
	s_wait_loadcnt_dscnt 0x0
	v_mul_f64_e32 v[10:11], v[21:22], v[17:18]
	v_mul_f64_e32 v[17:18], v[19:20], v[17:18]
	s_delay_alu instid0(VALU_DEP_2) | instskip(NEXT) | instid1(VALU_DEP_2)
	v_fma_f64 v[10:11], v[19:20], v[15:16], -v[10:11]
	v_fma_f64 v[15:16], v[21:22], v[15:16], v[17:18]
	s_delay_alu instid0(VALU_DEP_2) | instskip(NEXT) | instid1(VALU_DEP_2)
	v_add_f64_e32 v[3:4], v[3:4], v[10:11]
	v_add_f64_e32 v[1:2], v[1:2], v[15:16]
	s_wait_alu 0xfffe
	s_and_not1_b32 exec_lo, exec_lo, s1
	s_cbranch_execnz .LBB59_101
; %bb.102:
	s_or_b32 exec_lo, exec_lo, s1
	v_mov_b32_e32 v7, 0
	ds_load_b128 v[7:10], v7 offset:352
	s_wait_dscnt 0x0
	v_mul_f64_e32 v[11:12], v[1:2], v[9:10]
	v_mul_f64_e32 v[15:16], v[3:4], v[9:10]
	s_delay_alu instid0(VALU_DEP_2) | instskip(NEXT) | instid1(VALU_DEP_2)
	v_fma_f64 v[9:10], v[3:4], v[7:8], -v[11:12]
	v_fma_f64 v[11:12], v[1:2], v[7:8], v[15:16]
	scratch_store_b128 off, v[9:12], off offset:368
.LBB59_103:
	s_wait_alu 0xfffe
	s_or_b32 exec_lo, exec_lo, s0
	s_wait_loadcnt 0x0
	s_wait_storecnt 0x0
	s_barrier_signal -1
	s_barrier_wait -1
	global_inv scope:SCOPE_SE
	scratch_load_b128 v[1:4], off, s43
	s_mov_b32 s0, exec_lo
	s_wait_loadcnt 0x0
	ds_store_b128 v5, v[1:4]
	s_wait_dscnt 0x0
	s_barrier_signal -1
	s_barrier_wait -1
	global_inv scope:SCOPE_SE
	v_cmpx_gt_u32_e32 23, v0
	s_cbranch_execz .LBB59_107
; %bb.104:
	v_dual_mov_b32 v1, 0 :: v_dual_add_nc_u32 v8, 0x3c0, v13
	v_mov_b32_e32 v3, 0
	v_dual_mov_b32 v2, 0 :: v_dual_add_nc_u32 v7, -1, v0
	v_mov_b32_e32 v4, 0
	v_or_b32_e32 v9, 8, v14
	s_mov_b32 s1, 0
.LBB59_105:                             ; =>This Inner Loop Header: Depth=1
	scratch_load_b128 v[15:18], v9, off offset:-8
	ds_load_b128 v[19:22], v8
	v_add_nc_u32_e32 v7, 1, v7
	v_add_nc_u32_e32 v8, 16, v8
	v_add_nc_u32_e32 v9, 16, v9
	s_delay_alu instid0(VALU_DEP_3)
	v_cmp_lt_u32_e32 vcc_lo, 21, v7
	s_wait_alu 0xfffe
	s_or_b32 s1, vcc_lo, s1
	s_wait_loadcnt_dscnt 0x0
	v_mul_f64_e32 v[10:11], v[21:22], v[17:18]
	v_mul_f64_e32 v[17:18], v[19:20], v[17:18]
	s_delay_alu instid0(VALU_DEP_2) | instskip(NEXT) | instid1(VALU_DEP_2)
	v_fma_f64 v[10:11], v[19:20], v[15:16], -v[10:11]
	v_fma_f64 v[15:16], v[21:22], v[15:16], v[17:18]
	s_delay_alu instid0(VALU_DEP_2) | instskip(NEXT) | instid1(VALU_DEP_2)
	v_add_f64_e32 v[3:4], v[3:4], v[10:11]
	v_add_f64_e32 v[1:2], v[1:2], v[15:16]
	s_wait_alu 0xfffe
	s_and_not1_b32 exec_lo, exec_lo, s1
	s_cbranch_execnz .LBB59_105
; %bb.106:
	s_or_b32 exec_lo, exec_lo, s1
	v_mov_b32_e32 v7, 0
	ds_load_b128 v[7:10], v7 offset:368
	s_wait_dscnt 0x0
	v_mul_f64_e32 v[11:12], v[1:2], v[9:10]
	v_mul_f64_e32 v[15:16], v[3:4], v[9:10]
	s_delay_alu instid0(VALU_DEP_2) | instskip(NEXT) | instid1(VALU_DEP_2)
	v_fma_f64 v[9:10], v[3:4], v[7:8], -v[11:12]
	v_fma_f64 v[11:12], v[1:2], v[7:8], v[15:16]
	scratch_store_b128 off, v[9:12], off offset:384
.LBB59_107:
	s_wait_alu 0xfffe
	s_or_b32 exec_lo, exec_lo, s0
	s_wait_loadcnt 0x0
	s_wait_storecnt 0x0
	s_barrier_signal -1
	s_barrier_wait -1
	global_inv scope:SCOPE_SE
	scratch_load_b128 v[1:4], off, s44
	;; [unrolled: 58-line block ×37, first 2 shown]
	s_mov_b32 s0, exec_lo
	s_wait_loadcnt 0x0
	ds_store_b128 v5, v[1:4]
	s_wait_dscnt 0x0
	s_barrier_signal -1
	s_barrier_wait -1
	global_inv scope:SCOPE_SE
	v_cmpx_ne_u32_e32 59, v0
	s_cbranch_execz .LBB59_251
; %bb.248:
	v_mov_b32_e32 v1, 0
	v_dual_mov_b32 v2, 0 :: v_dual_mov_b32 v3, 0
	v_mov_b32_e32 v4, 0
	v_or_b32_e32 v7, 8, v14
	s_mov_b32 s1, 0
.LBB59_249:                             ; =>This Inner Loop Header: Depth=1
	scratch_load_b128 v[8:11], v7, off offset:-8
	ds_load_b128 v[12:15], v5
	v_add_nc_u32_e32 v6, 1, v6
	v_add_nc_u32_e32 v5, 16, v5
	;; [unrolled: 1-line block ×3, first 2 shown]
	s_delay_alu instid0(VALU_DEP_3)
	v_cmp_lt_u32_e32 vcc_lo, 57, v6
	s_wait_alu 0xfffe
	s_or_b32 s1, vcc_lo, s1
	s_wait_loadcnt_dscnt 0x0
	v_mul_f64_e32 v[16:17], v[14:15], v[10:11]
	v_mul_f64_e32 v[10:11], v[12:13], v[10:11]
	s_delay_alu instid0(VALU_DEP_2) | instskip(NEXT) | instid1(VALU_DEP_2)
	v_fma_f64 v[12:13], v[12:13], v[8:9], -v[16:17]
	v_fma_f64 v[8:9], v[14:15], v[8:9], v[10:11]
	s_delay_alu instid0(VALU_DEP_2) | instskip(NEXT) | instid1(VALU_DEP_2)
	v_add_f64_e32 v[3:4], v[3:4], v[12:13]
	v_add_f64_e32 v[1:2], v[1:2], v[8:9]
	s_wait_alu 0xfffe
	s_and_not1_b32 exec_lo, exec_lo, s1
	s_cbranch_execnz .LBB59_249
; %bb.250:
	s_or_b32 exec_lo, exec_lo, s1
	v_mov_b32_e32 v5, 0
	ds_load_b128 v[5:8], v5 offset:944
	s_wait_dscnt 0x0
	v_mul_f64_e32 v[9:10], v[1:2], v[7:8]
	v_mul_f64_e32 v[7:8], v[3:4], v[7:8]
	s_delay_alu instid0(VALU_DEP_2) | instskip(NEXT) | instid1(VALU_DEP_2)
	v_fma_f64 v[3:4], v[3:4], v[5:6], -v[9:10]
	v_fma_f64 v[5:6], v[1:2], v[5:6], v[7:8]
	scratch_store_b128 off, v[3:6], off offset:960
.LBB59_251:
	s_wait_alu 0xfffe
	s_or_b32 exec_lo, exec_lo, s0
	s_mov_b32 s1, -1
	s_wait_loadcnt 0x0
	s_wait_storecnt 0x0
	s_barrier_signal -1
	s_barrier_wait -1
	global_inv scope:SCOPE_SE
.LBB59_252:
	s_wait_alu 0xfffe
	s_and_b32 vcc_lo, exec_lo, s1
	s_wait_alu 0xfffe
	s_cbranch_vccz .LBB59_254
; %bb.253:
	v_mov_b32_e32 v1, 0
	s_lshl_b64 s[0:1], s[16:17], 2
	s_wait_alu 0xfffe
	s_add_nc_u64 s[0:1], s[6:7], s[0:1]
	global_load_b32 v1, v1, s[0:1]
	s_wait_loadcnt 0x0
	v_cmp_ne_u32_e32 vcc_lo, 0, v1
	s_cbranch_vccz .LBB59_255
.LBB59_254:
	s_nop 0
	s_sendmsg sendmsg(MSG_DEALLOC_VGPRS)
	s_endpgm
.LBB59_255:
	v_lshl_add_u32 v162, v0, 4, 0x3c0
	s_mov_b32 s0, exec_lo
	v_cmpx_eq_u32_e32 59, v0
	s_cbranch_execz .LBB59_257
; %bb.256:
	scratch_load_b128 v[1:4], off, s35
	v_mov_b32_e32 v5, 0
	s_delay_alu instid0(VALU_DEP_1)
	v_dual_mov_b32 v6, v5 :: v_dual_mov_b32 v7, v5
	v_mov_b32_e32 v8, v5
	scratch_store_b128 off, v[5:8], off offset:944
	s_wait_loadcnt 0x0
	ds_store_b128 v162, v[1:4]
.LBB59_257:
	s_wait_alu 0xfffe
	s_or_b32 exec_lo, exec_lo, s0
	s_wait_storecnt_dscnt 0x0
	s_barrier_signal -1
	s_barrier_wait -1
	global_inv scope:SCOPE_SE
	s_clause 0x1
	scratch_load_b128 v[2:5], off, off offset:960
	scratch_load_b128 v[6:9], off, off offset:944
	v_mov_b32_e32 v1, 0
	s_mov_b32 s0, exec_lo
	ds_load_b128 v[10:13], v1 offset:1904
	s_wait_loadcnt_dscnt 0x100
	v_mul_f64_e32 v[14:15], v[12:13], v[4:5]
	v_mul_f64_e32 v[4:5], v[10:11], v[4:5]
	s_delay_alu instid0(VALU_DEP_2) | instskip(NEXT) | instid1(VALU_DEP_2)
	v_fma_f64 v[10:11], v[10:11], v[2:3], -v[14:15]
	v_fma_f64 v[2:3], v[12:13], v[2:3], v[4:5]
	s_delay_alu instid0(VALU_DEP_2) | instskip(NEXT) | instid1(VALU_DEP_2)
	v_add_f64_e32 v[4:5], 0, v[10:11]
	v_add_f64_e32 v[10:11], 0, v[2:3]
	s_wait_loadcnt 0x0
	s_delay_alu instid0(VALU_DEP_2) | instskip(NEXT) | instid1(VALU_DEP_2)
	v_add_f64_e64 v[2:3], v[6:7], -v[4:5]
	v_add_f64_e64 v[4:5], v[8:9], -v[10:11]
	scratch_store_b128 off, v[2:5], off offset:944
	v_cmpx_lt_u32_e32 57, v0
	s_cbranch_execz .LBB59_259
; %bb.258:
	scratch_load_b128 v[5:8], off, s26
	v_dual_mov_b32 v2, v1 :: v_dual_mov_b32 v3, v1
	v_mov_b32_e32 v4, v1
	scratch_store_b128 off, v[1:4], off offset:928
	s_wait_loadcnt 0x0
	ds_store_b128 v162, v[5:8]
.LBB59_259:
	s_wait_alu 0xfffe
	s_or_b32 exec_lo, exec_lo, s0
	s_wait_storecnt_dscnt 0x0
	s_barrier_signal -1
	s_barrier_wait -1
	global_inv scope:SCOPE_SE
	s_clause 0x2
	scratch_load_b128 v[2:5], off, off offset:944
	scratch_load_b128 v[6:9], off, off offset:960
	;; [unrolled: 1-line block ×3, first 2 shown]
	ds_load_b128 v[14:17], v1 offset:1888
	ds_load_b128 v[18:21], v1 offset:1904
	s_mov_b32 s0, exec_lo
	s_wait_loadcnt_dscnt 0x201
	v_mul_f64_e32 v[22:23], v[16:17], v[4:5]
	v_mul_f64_e32 v[4:5], v[14:15], v[4:5]
	s_wait_loadcnt_dscnt 0x100
	v_mul_f64_e32 v[24:25], v[18:19], v[8:9]
	v_mul_f64_e32 v[8:9], v[20:21], v[8:9]
	s_delay_alu instid0(VALU_DEP_4) | instskip(NEXT) | instid1(VALU_DEP_4)
	v_fma_f64 v[14:15], v[14:15], v[2:3], -v[22:23]
	v_fma_f64 v[1:2], v[16:17], v[2:3], v[4:5]
	s_delay_alu instid0(VALU_DEP_4) | instskip(NEXT) | instid1(VALU_DEP_4)
	v_fma_f64 v[3:4], v[20:21], v[6:7], v[24:25]
	v_fma_f64 v[5:6], v[18:19], v[6:7], -v[8:9]
	s_delay_alu instid0(VALU_DEP_4) | instskip(NEXT) | instid1(VALU_DEP_4)
	v_add_f64_e32 v[7:8], 0, v[14:15]
	v_add_f64_e32 v[1:2], 0, v[1:2]
	s_delay_alu instid0(VALU_DEP_2) | instskip(NEXT) | instid1(VALU_DEP_2)
	v_add_f64_e32 v[5:6], v[7:8], v[5:6]
	v_add_f64_e32 v[3:4], v[1:2], v[3:4]
	s_wait_loadcnt 0x0
	s_delay_alu instid0(VALU_DEP_2) | instskip(NEXT) | instid1(VALU_DEP_2)
	v_add_f64_e64 v[1:2], v[10:11], -v[5:6]
	v_add_f64_e64 v[3:4], v[12:13], -v[3:4]
	scratch_store_b128 off, v[1:4], off offset:928
	v_cmpx_lt_u32_e32 56, v0
	s_cbranch_execz .LBB59_261
; %bb.260:
	scratch_load_b128 v[1:4], off, s33
	v_mov_b32_e32 v5, 0
	s_delay_alu instid0(VALU_DEP_1)
	v_dual_mov_b32 v6, v5 :: v_dual_mov_b32 v7, v5
	v_mov_b32_e32 v8, v5
	scratch_store_b128 off, v[5:8], off offset:912
	s_wait_loadcnt 0x0
	ds_store_b128 v162, v[1:4]
.LBB59_261:
	s_wait_alu 0xfffe
	s_or_b32 exec_lo, exec_lo, s0
	s_wait_storecnt_dscnt 0x0
	s_barrier_signal -1
	s_barrier_wait -1
	global_inv scope:SCOPE_SE
	s_clause 0x3
	scratch_load_b128 v[2:5], off, off offset:928
	scratch_load_b128 v[6:9], off, off offset:944
	;; [unrolled: 1-line block ×4, first 2 shown]
	v_mov_b32_e32 v1, 0
	ds_load_b128 v[18:21], v1 offset:1872
	ds_load_b128 v[22:25], v1 offset:1888
	s_mov_b32 s0, exec_lo
	s_wait_loadcnt_dscnt 0x301
	v_mul_f64_e32 v[26:27], v[20:21], v[4:5]
	v_mul_f64_e32 v[4:5], v[18:19], v[4:5]
	s_wait_loadcnt_dscnt 0x200
	v_mul_f64_e32 v[28:29], v[22:23], v[8:9]
	v_mul_f64_e32 v[8:9], v[24:25], v[8:9]
	s_delay_alu instid0(VALU_DEP_4) | instskip(NEXT) | instid1(VALU_DEP_4)
	v_fma_f64 v[18:19], v[18:19], v[2:3], -v[26:27]
	v_fma_f64 v[20:21], v[20:21], v[2:3], v[4:5]
	ds_load_b128 v[2:5], v1 offset:1904
	v_fma_f64 v[24:25], v[24:25], v[6:7], v[28:29]
	v_fma_f64 v[6:7], v[22:23], v[6:7], -v[8:9]
	s_wait_loadcnt_dscnt 0x100
	v_mul_f64_e32 v[26:27], v[2:3], v[12:13]
	v_mul_f64_e32 v[12:13], v[4:5], v[12:13]
	v_add_f64_e32 v[8:9], 0, v[18:19]
	v_add_f64_e32 v[18:19], 0, v[20:21]
	s_delay_alu instid0(VALU_DEP_4) | instskip(NEXT) | instid1(VALU_DEP_4)
	v_fma_f64 v[4:5], v[4:5], v[10:11], v[26:27]
	v_fma_f64 v[2:3], v[2:3], v[10:11], -v[12:13]
	s_delay_alu instid0(VALU_DEP_4) | instskip(NEXT) | instid1(VALU_DEP_4)
	v_add_f64_e32 v[6:7], v[8:9], v[6:7]
	v_add_f64_e32 v[8:9], v[18:19], v[24:25]
	s_delay_alu instid0(VALU_DEP_2) | instskip(NEXT) | instid1(VALU_DEP_2)
	v_add_f64_e32 v[2:3], v[6:7], v[2:3]
	v_add_f64_e32 v[4:5], v[8:9], v[4:5]
	s_wait_loadcnt 0x0
	s_delay_alu instid0(VALU_DEP_2) | instskip(NEXT) | instid1(VALU_DEP_2)
	v_add_f64_e64 v[2:3], v[14:15], -v[2:3]
	v_add_f64_e64 v[4:5], v[16:17], -v[4:5]
	scratch_store_b128 off, v[2:5], off offset:912
	v_cmpx_lt_u32_e32 55, v0
	s_cbranch_execz .LBB59_263
; %bb.262:
	scratch_load_b128 v[5:8], off, s23
	v_dual_mov_b32 v2, v1 :: v_dual_mov_b32 v3, v1
	v_mov_b32_e32 v4, v1
	scratch_store_b128 off, v[1:4], off offset:896
	s_wait_loadcnt 0x0
	ds_store_b128 v162, v[5:8]
.LBB59_263:
	s_wait_alu 0xfffe
	s_or_b32 exec_lo, exec_lo, s0
	s_wait_storecnt_dscnt 0x0
	s_barrier_signal -1
	s_barrier_wait -1
	global_inv scope:SCOPE_SE
	s_clause 0x4
	scratch_load_b128 v[2:5], off, off offset:912
	scratch_load_b128 v[6:9], off, off offset:928
	;; [unrolled: 1-line block ×5, first 2 shown]
	ds_load_b128 v[22:25], v1 offset:1856
	ds_load_b128 v[26:29], v1 offset:1872
	s_mov_b32 s0, exec_lo
	s_wait_loadcnt_dscnt 0x401
	v_mul_f64_e32 v[30:31], v[24:25], v[4:5]
	v_mul_f64_e32 v[4:5], v[22:23], v[4:5]
	s_wait_loadcnt_dscnt 0x300
	v_mul_f64_e32 v[32:33], v[26:27], v[8:9]
	v_mul_f64_e32 v[8:9], v[28:29], v[8:9]
	s_delay_alu instid0(VALU_DEP_4) | instskip(NEXT) | instid1(VALU_DEP_4)
	v_fma_f64 v[30:31], v[22:23], v[2:3], -v[30:31]
	v_fma_f64 v[34:35], v[24:25], v[2:3], v[4:5]
	ds_load_b128 v[2:5], v1 offset:1888
	ds_load_b128 v[22:25], v1 offset:1904
	v_fma_f64 v[28:29], v[28:29], v[6:7], v[32:33]
	v_fma_f64 v[6:7], v[26:27], v[6:7], -v[8:9]
	s_wait_loadcnt_dscnt 0x201
	v_mul_f64_e32 v[36:37], v[2:3], v[12:13]
	v_mul_f64_e32 v[12:13], v[4:5], v[12:13]
	v_add_f64_e32 v[8:9], 0, v[30:31]
	v_add_f64_e32 v[26:27], 0, v[34:35]
	s_wait_loadcnt_dscnt 0x100
	v_mul_f64_e32 v[30:31], v[22:23], v[16:17]
	v_mul_f64_e32 v[16:17], v[24:25], v[16:17]
	v_fma_f64 v[4:5], v[4:5], v[10:11], v[36:37]
	v_fma_f64 v[1:2], v[2:3], v[10:11], -v[12:13]
	v_add_f64_e32 v[6:7], v[8:9], v[6:7]
	v_add_f64_e32 v[8:9], v[26:27], v[28:29]
	v_fma_f64 v[10:11], v[24:25], v[14:15], v[30:31]
	v_fma_f64 v[12:13], v[22:23], v[14:15], -v[16:17]
	s_delay_alu instid0(VALU_DEP_4) | instskip(NEXT) | instid1(VALU_DEP_4)
	v_add_f64_e32 v[1:2], v[6:7], v[1:2]
	v_add_f64_e32 v[3:4], v[8:9], v[4:5]
	s_delay_alu instid0(VALU_DEP_2) | instskip(NEXT) | instid1(VALU_DEP_2)
	v_add_f64_e32 v[1:2], v[1:2], v[12:13]
	v_add_f64_e32 v[3:4], v[3:4], v[10:11]
	s_wait_loadcnt 0x0
	s_delay_alu instid0(VALU_DEP_2) | instskip(NEXT) | instid1(VALU_DEP_2)
	v_add_f64_e64 v[1:2], v[18:19], -v[1:2]
	v_add_f64_e64 v[3:4], v[20:21], -v[3:4]
	scratch_store_b128 off, v[1:4], off offset:896
	v_cmpx_lt_u32_e32 54, v0
	s_cbranch_execz .LBB59_265
; %bb.264:
	scratch_load_b128 v[1:4], off, s31
	v_mov_b32_e32 v5, 0
	s_delay_alu instid0(VALU_DEP_1)
	v_dual_mov_b32 v6, v5 :: v_dual_mov_b32 v7, v5
	v_mov_b32_e32 v8, v5
	scratch_store_b128 off, v[5:8], off offset:880
	s_wait_loadcnt 0x0
	ds_store_b128 v162, v[1:4]
.LBB59_265:
	s_wait_alu 0xfffe
	s_or_b32 exec_lo, exec_lo, s0
	s_wait_storecnt_dscnt 0x0
	s_barrier_signal -1
	s_barrier_wait -1
	global_inv scope:SCOPE_SE
	s_clause 0x5
	scratch_load_b128 v[2:5], off, off offset:896
	scratch_load_b128 v[6:9], off, off offset:912
	scratch_load_b128 v[10:13], off, off offset:928
	scratch_load_b128 v[14:17], off, off offset:944
	scratch_load_b128 v[18:21], off, off offset:960
	scratch_load_b128 v[22:25], off, off offset:880
	v_mov_b32_e32 v1, 0
	ds_load_b128 v[26:29], v1 offset:1840
	ds_load_b128 v[30:33], v1 offset:1856
	s_mov_b32 s0, exec_lo
	s_wait_loadcnt_dscnt 0x501
	v_mul_f64_e32 v[34:35], v[28:29], v[4:5]
	v_mul_f64_e32 v[4:5], v[26:27], v[4:5]
	s_wait_loadcnt_dscnt 0x400
	v_mul_f64_e32 v[36:37], v[30:31], v[8:9]
	v_mul_f64_e32 v[8:9], v[32:33], v[8:9]
	s_delay_alu instid0(VALU_DEP_4) | instskip(NEXT) | instid1(VALU_DEP_4)
	v_fma_f64 v[34:35], v[26:27], v[2:3], -v[34:35]
	v_fma_f64 v[38:39], v[28:29], v[2:3], v[4:5]
	ds_load_b128 v[2:5], v1 offset:1872
	ds_load_b128 v[26:29], v1 offset:1888
	v_fma_f64 v[32:33], v[32:33], v[6:7], v[36:37]
	v_fma_f64 v[6:7], v[30:31], v[6:7], -v[8:9]
	s_wait_loadcnt_dscnt 0x301
	v_mul_f64_e32 v[40:41], v[2:3], v[12:13]
	v_mul_f64_e32 v[12:13], v[4:5], v[12:13]
	v_add_f64_e32 v[8:9], 0, v[34:35]
	v_add_f64_e32 v[30:31], 0, v[38:39]
	s_wait_loadcnt_dscnt 0x200
	v_mul_f64_e32 v[34:35], v[26:27], v[16:17]
	v_mul_f64_e32 v[16:17], v[28:29], v[16:17]
	v_fma_f64 v[36:37], v[4:5], v[10:11], v[40:41]
	v_fma_f64 v[10:11], v[2:3], v[10:11], -v[12:13]
	ds_load_b128 v[2:5], v1 offset:1904
	v_add_f64_e32 v[6:7], v[8:9], v[6:7]
	v_add_f64_e32 v[8:9], v[30:31], v[32:33]
	v_fma_f64 v[28:29], v[28:29], v[14:15], v[34:35]
	v_fma_f64 v[14:15], v[26:27], v[14:15], -v[16:17]
	s_wait_loadcnt_dscnt 0x100
	v_mul_f64_e32 v[12:13], v[2:3], v[20:21]
	v_mul_f64_e32 v[20:21], v[4:5], v[20:21]
	v_add_f64_e32 v[6:7], v[6:7], v[10:11]
	v_add_f64_e32 v[8:9], v[8:9], v[36:37]
	s_delay_alu instid0(VALU_DEP_4) | instskip(NEXT) | instid1(VALU_DEP_4)
	v_fma_f64 v[4:5], v[4:5], v[18:19], v[12:13]
	v_fma_f64 v[2:3], v[2:3], v[18:19], -v[20:21]
	s_delay_alu instid0(VALU_DEP_4) | instskip(NEXT) | instid1(VALU_DEP_4)
	v_add_f64_e32 v[6:7], v[6:7], v[14:15]
	v_add_f64_e32 v[8:9], v[8:9], v[28:29]
	s_delay_alu instid0(VALU_DEP_2) | instskip(NEXT) | instid1(VALU_DEP_2)
	v_add_f64_e32 v[2:3], v[6:7], v[2:3]
	v_add_f64_e32 v[4:5], v[8:9], v[4:5]
	s_wait_loadcnt 0x0
	s_delay_alu instid0(VALU_DEP_2) | instskip(NEXT) | instid1(VALU_DEP_2)
	v_add_f64_e64 v[2:3], v[22:23], -v[2:3]
	v_add_f64_e64 v[4:5], v[24:25], -v[4:5]
	scratch_store_b128 off, v[2:5], off offset:880
	v_cmpx_lt_u32_e32 53, v0
	s_cbranch_execz .LBB59_267
; %bb.266:
	scratch_load_b128 v[5:8], off, s22
	v_dual_mov_b32 v2, v1 :: v_dual_mov_b32 v3, v1
	v_mov_b32_e32 v4, v1
	scratch_store_b128 off, v[1:4], off offset:864
	s_wait_loadcnt 0x0
	ds_store_b128 v162, v[5:8]
.LBB59_267:
	s_wait_alu 0xfffe
	s_or_b32 exec_lo, exec_lo, s0
	s_wait_storecnt_dscnt 0x0
	s_barrier_signal -1
	s_barrier_wait -1
	global_inv scope:SCOPE_SE
	s_clause 0x5
	scratch_load_b128 v[2:5], off, off offset:880
	scratch_load_b128 v[6:9], off, off offset:896
	;; [unrolled: 1-line block ×6, first 2 shown]
	ds_load_b128 v[26:29], v1 offset:1824
	ds_load_b128 v[34:37], v1 offset:1840
	scratch_load_b128 v[30:33], off, off offset:864
	s_mov_b32 s0, exec_lo
	s_wait_loadcnt_dscnt 0x601
	v_mul_f64_e32 v[38:39], v[28:29], v[4:5]
	v_mul_f64_e32 v[4:5], v[26:27], v[4:5]
	s_wait_loadcnt_dscnt 0x500
	v_mul_f64_e32 v[40:41], v[34:35], v[8:9]
	v_mul_f64_e32 v[8:9], v[36:37], v[8:9]
	s_delay_alu instid0(VALU_DEP_4) | instskip(NEXT) | instid1(VALU_DEP_4)
	v_fma_f64 v[38:39], v[26:27], v[2:3], -v[38:39]
	v_fma_f64 v[163:164], v[28:29], v[2:3], v[4:5]
	ds_load_b128 v[2:5], v1 offset:1856
	ds_load_b128 v[26:29], v1 offset:1872
	v_fma_f64 v[36:37], v[36:37], v[6:7], v[40:41]
	v_fma_f64 v[6:7], v[34:35], v[6:7], -v[8:9]
	s_wait_loadcnt_dscnt 0x401
	v_mul_f64_e32 v[165:166], v[2:3], v[12:13]
	v_mul_f64_e32 v[12:13], v[4:5], v[12:13]
	v_add_f64_e32 v[8:9], 0, v[38:39]
	v_add_f64_e32 v[34:35], 0, v[163:164]
	s_wait_loadcnt_dscnt 0x300
	v_mul_f64_e32 v[38:39], v[26:27], v[16:17]
	v_mul_f64_e32 v[16:17], v[28:29], v[16:17]
	v_fma_f64 v[40:41], v[4:5], v[10:11], v[165:166]
	v_fma_f64 v[10:11], v[2:3], v[10:11], -v[12:13]
	v_add_f64_e32 v[12:13], v[8:9], v[6:7]
	v_add_f64_e32 v[34:35], v[34:35], v[36:37]
	ds_load_b128 v[2:5], v1 offset:1888
	ds_load_b128 v[6:9], v1 offset:1904
	v_fma_f64 v[28:29], v[28:29], v[14:15], v[38:39]
	v_fma_f64 v[14:15], v[26:27], v[14:15], -v[16:17]
	s_wait_loadcnt_dscnt 0x201
	v_mul_f64_e32 v[36:37], v[2:3], v[20:21]
	v_mul_f64_e32 v[20:21], v[4:5], v[20:21]
	s_wait_loadcnt_dscnt 0x100
	v_mul_f64_e32 v[16:17], v[6:7], v[24:25]
	v_mul_f64_e32 v[24:25], v[8:9], v[24:25]
	v_add_f64_e32 v[10:11], v[12:13], v[10:11]
	v_add_f64_e32 v[12:13], v[34:35], v[40:41]
	v_fma_f64 v[4:5], v[4:5], v[18:19], v[36:37]
	v_fma_f64 v[1:2], v[2:3], v[18:19], -v[20:21]
	v_fma_f64 v[8:9], v[8:9], v[22:23], v[16:17]
	v_fma_f64 v[6:7], v[6:7], v[22:23], -v[24:25]
	v_add_f64_e32 v[10:11], v[10:11], v[14:15]
	v_add_f64_e32 v[12:13], v[12:13], v[28:29]
	s_delay_alu instid0(VALU_DEP_2) | instskip(NEXT) | instid1(VALU_DEP_2)
	v_add_f64_e32 v[1:2], v[10:11], v[1:2]
	v_add_f64_e32 v[3:4], v[12:13], v[4:5]
	s_delay_alu instid0(VALU_DEP_2) | instskip(NEXT) | instid1(VALU_DEP_2)
	v_add_f64_e32 v[1:2], v[1:2], v[6:7]
	v_add_f64_e32 v[3:4], v[3:4], v[8:9]
	s_wait_loadcnt 0x0
	s_delay_alu instid0(VALU_DEP_2) | instskip(NEXT) | instid1(VALU_DEP_2)
	v_add_f64_e64 v[1:2], v[30:31], -v[1:2]
	v_add_f64_e64 v[3:4], v[32:33], -v[3:4]
	scratch_store_b128 off, v[1:4], off offset:864
	v_cmpx_lt_u32_e32 52, v0
	s_cbranch_execz .LBB59_269
; %bb.268:
	scratch_load_b128 v[1:4], off, s25
	v_mov_b32_e32 v5, 0
	s_delay_alu instid0(VALU_DEP_1)
	v_dual_mov_b32 v6, v5 :: v_dual_mov_b32 v7, v5
	v_mov_b32_e32 v8, v5
	scratch_store_b128 off, v[5:8], off offset:848
	s_wait_loadcnt 0x0
	ds_store_b128 v162, v[1:4]
.LBB59_269:
	s_wait_alu 0xfffe
	s_or_b32 exec_lo, exec_lo, s0
	s_wait_storecnt_dscnt 0x0
	s_barrier_signal -1
	s_barrier_wait -1
	global_inv scope:SCOPE_SE
	s_clause 0x6
	scratch_load_b128 v[2:5], off, off offset:864
	scratch_load_b128 v[6:9], off, off offset:880
	;; [unrolled: 1-line block ×7, first 2 shown]
	v_mov_b32_e32 v1, 0
	scratch_load_b128 v[34:37], off, off offset:848
	s_mov_b32 s0, exec_lo
	ds_load_b128 v[30:33], v1 offset:1808
	ds_load_b128 v[38:41], v1 offset:1824
	s_wait_loadcnt_dscnt 0x701
	v_mul_f64_e32 v[163:164], v[32:33], v[4:5]
	v_mul_f64_e32 v[4:5], v[30:31], v[4:5]
	s_wait_loadcnt_dscnt 0x600
	v_mul_f64_e32 v[165:166], v[38:39], v[8:9]
	v_mul_f64_e32 v[8:9], v[40:41], v[8:9]
	s_delay_alu instid0(VALU_DEP_4) | instskip(NEXT) | instid1(VALU_DEP_4)
	v_fma_f64 v[163:164], v[30:31], v[2:3], -v[163:164]
	v_fma_f64 v[167:168], v[32:33], v[2:3], v[4:5]
	ds_load_b128 v[2:5], v1 offset:1840
	ds_load_b128 v[30:33], v1 offset:1856
	v_fma_f64 v[40:41], v[40:41], v[6:7], v[165:166]
	v_fma_f64 v[6:7], v[38:39], v[6:7], -v[8:9]
	s_wait_loadcnt_dscnt 0x501
	v_mul_f64_e32 v[169:170], v[2:3], v[12:13]
	v_mul_f64_e32 v[12:13], v[4:5], v[12:13]
	v_add_f64_e32 v[8:9], 0, v[163:164]
	v_add_f64_e32 v[38:39], 0, v[167:168]
	s_wait_loadcnt_dscnt 0x400
	v_mul_f64_e32 v[163:164], v[30:31], v[16:17]
	v_mul_f64_e32 v[16:17], v[32:33], v[16:17]
	v_fma_f64 v[165:166], v[4:5], v[10:11], v[169:170]
	v_fma_f64 v[10:11], v[2:3], v[10:11], -v[12:13]
	v_add_f64_e32 v[12:13], v[8:9], v[6:7]
	v_add_f64_e32 v[38:39], v[38:39], v[40:41]
	ds_load_b128 v[2:5], v1 offset:1872
	ds_load_b128 v[6:9], v1 offset:1888
	v_fma_f64 v[32:33], v[32:33], v[14:15], v[163:164]
	v_fma_f64 v[14:15], v[30:31], v[14:15], -v[16:17]
	s_wait_loadcnt_dscnt 0x301
	v_mul_f64_e32 v[40:41], v[2:3], v[20:21]
	v_mul_f64_e32 v[20:21], v[4:5], v[20:21]
	s_wait_loadcnt_dscnt 0x200
	v_mul_f64_e32 v[16:17], v[6:7], v[24:25]
	v_mul_f64_e32 v[24:25], v[8:9], v[24:25]
	v_add_f64_e32 v[10:11], v[12:13], v[10:11]
	v_add_f64_e32 v[12:13], v[38:39], v[165:166]
	v_fma_f64 v[30:31], v[4:5], v[18:19], v[40:41]
	v_fma_f64 v[18:19], v[2:3], v[18:19], -v[20:21]
	ds_load_b128 v[2:5], v1 offset:1904
	v_fma_f64 v[8:9], v[8:9], v[22:23], v[16:17]
	v_fma_f64 v[6:7], v[6:7], v[22:23], -v[24:25]
	v_add_f64_e32 v[10:11], v[10:11], v[14:15]
	v_add_f64_e32 v[12:13], v[12:13], v[32:33]
	s_wait_loadcnt_dscnt 0x100
	v_mul_f64_e32 v[14:15], v[2:3], v[28:29]
	v_mul_f64_e32 v[20:21], v[4:5], v[28:29]
	s_delay_alu instid0(VALU_DEP_4) | instskip(NEXT) | instid1(VALU_DEP_4)
	v_add_f64_e32 v[10:11], v[10:11], v[18:19]
	v_add_f64_e32 v[12:13], v[12:13], v[30:31]
	s_delay_alu instid0(VALU_DEP_4) | instskip(NEXT) | instid1(VALU_DEP_4)
	v_fma_f64 v[4:5], v[4:5], v[26:27], v[14:15]
	v_fma_f64 v[2:3], v[2:3], v[26:27], -v[20:21]
	s_delay_alu instid0(VALU_DEP_4) | instskip(NEXT) | instid1(VALU_DEP_4)
	v_add_f64_e32 v[6:7], v[10:11], v[6:7]
	v_add_f64_e32 v[8:9], v[12:13], v[8:9]
	s_delay_alu instid0(VALU_DEP_2) | instskip(NEXT) | instid1(VALU_DEP_2)
	v_add_f64_e32 v[2:3], v[6:7], v[2:3]
	v_add_f64_e32 v[4:5], v[8:9], v[4:5]
	s_wait_loadcnt 0x0
	s_delay_alu instid0(VALU_DEP_2) | instskip(NEXT) | instid1(VALU_DEP_2)
	v_add_f64_e64 v[2:3], v[34:35], -v[2:3]
	v_add_f64_e64 v[4:5], v[36:37], -v[4:5]
	scratch_store_b128 off, v[2:5], off offset:848
	v_cmpx_lt_u32_e32 51, v0
	s_cbranch_execz .LBB59_271
; %bb.270:
	scratch_load_b128 v[5:8], off, s24
	v_dual_mov_b32 v2, v1 :: v_dual_mov_b32 v3, v1
	v_mov_b32_e32 v4, v1
	scratch_store_b128 off, v[1:4], off offset:832
	s_wait_loadcnt 0x0
	ds_store_b128 v162, v[5:8]
.LBB59_271:
	s_wait_alu 0xfffe
	s_or_b32 exec_lo, exec_lo, s0
	s_wait_storecnt_dscnt 0x0
	s_barrier_signal -1
	s_barrier_wait -1
	global_inv scope:SCOPE_SE
	s_clause 0x7
	scratch_load_b128 v[2:5], off, off offset:848
	scratch_load_b128 v[6:9], off, off offset:864
	;; [unrolled: 1-line block ×8, first 2 shown]
	ds_load_b128 v[34:37], v1 offset:1792
	ds_load_b128 v[38:41], v1 offset:1808
	scratch_load_b128 v[163:166], off, off offset:832
	s_mov_b32 s0, exec_lo
	s_wait_loadcnt_dscnt 0x801
	v_mul_f64_e32 v[167:168], v[36:37], v[4:5]
	v_mul_f64_e32 v[4:5], v[34:35], v[4:5]
	s_wait_loadcnt_dscnt 0x700
	v_mul_f64_e32 v[169:170], v[38:39], v[8:9]
	v_mul_f64_e32 v[8:9], v[40:41], v[8:9]
	s_delay_alu instid0(VALU_DEP_4) | instskip(NEXT) | instid1(VALU_DEP_4)
	v_fma_f64 v[167:168], v[34:35], v[2:3], -v[167:168]
	v_fma_f64 v[171:172], v[36:37], v[2:3], v[4:5]
	ds_load_b128 v[2:5], v1 offset:1824
	ds_load_b128 v[34:37], v1 offset:1840
	v_fma_f64 v[40:41], v[40:41], v[6:7], v[169:170]
	v_fma_f64 v[6:7], v[38:39], v[6:7], -v[8:9]
	s_wait_loadcnt_dscnt 0x601
	v_mul_f64_e32 v[173:174], v[2:3], v[12:13]
	v_mul_f64_e32 v[12:13], v[4:5], v[12:13]
	v_add_f64_e32 v[8:9], 0, v[167:168]
	v_add_f64_e32 v[38:39], 0, v[171:172]
	s_wait_loadcnt_dscnt 0x500
	v_mul_f64_e32 v[167:168], v[34:35], v[16:17]
	v_mul_f64_e32 v[16:17], v[36:37], v[16:17]
	v_fma_f64 v[169:170], v[4:5], v[10:11], v[173:174]
	v_fma_f64 v[10:11], v[2:3], v[10:11], -v[12:13]
	v_add_f64_e32 v[12:13], v[8:9], v[6:7]
	v_add_f64_e32 v[38:39], v[38:39], v[40:41]
	ds_load_b128 v[2:5], v1 offset:1856
	ds_load_b128 v[6:9], v1 offset:1872
	v_fma_f64 v[36:37], v[36:37], v[14:15], v[167:168]
	v_fma_f64 v[14:15], v[34:35], v[14:15], -v[16:17]
	s_wait_loadcnt_dscnt 0x401
	v_mul_f64_e32 v[40:41], v[2:3], v[20:21]
	v_mul_f64_e32 v[20:21], v[4:5], v[20:21]
	s_wait_loadcnt_dscnt 0x300
	v_mul_f64_e32 v[16:17], v[6:7], v[24:25]
	v_mul_f64_e32 v[24:25], v[8:9], v[24:25]
	v_add_f64_e32 v[10:11], v[12:13], v[10:11]
	v_add_f64_e32 v[12:13], v[38:39], v[169:170]
	v_fma_f64 v[34:35], v[4:5], v[18:19], v[40:41]
	v_fma_f64 v[18:19], v[2:3], v[18:19], -v[20:21]
	v_fma_f64 v[8:9], v[8:9], v[22:23], v[16:17]
	v_fma_f64 v[6:7], v[6:7], v[22:23], -v[24:25]
	v_add_f64_e32 v[14:15], v[10:11], v[14:15]
	v_add_f64_e32 v[20:21], v[12:13], v[36:37]
	ds_load_b128 v[2:5], v1 offset:1888
	ds_load_b128 v[10:13], v1 offset:1904
	s_wait_loadcnt_dscnt 0x201
	v_mul_f64_e32 v[36:37], v[2:3], v[28:29]
	v_mul_f64_e32 v[28:29], v[4:5], v[28:29]
	v_add_f64_e32 v[14:15], v[14:15], v[18:19]
	v_add_f64_e32 v[16:17], v[20:21], v[34:35]
	s_wait_loadcnt_dscnt 0x100
	v_mul_f64_e32 v[18:19], v[10:11], v[32:33]
	v_mul_f64_e32 v[20:21], v[12:13], v[32:33]
	v_fma_f64 v[4:5], v[4:5], v[26:27], v[36:37]
	v_fma_f64 v[1:2], v[2:3], v[26:27], -v[28:29]
	v_add_f64_e32 v[6:7], v[14:15], v[6:7]
	v_add_f64_e32 v[8:9], v[16:17], v[8:9]
	v_fma_f64 v[12:13], v[12:13], v[30:31], v[18:19]
	v_fma_f64 v[10:11], v[10:11], v[30:31], -v[20:21]
	s_delay_alu instid0(VALU_DEP_4) | instskip(NEXT) | instid1(VALU_DEP_4)
	v_add_f64_e32 v[1:2], v[6:7], v[1:2]
	v_add_f64_e32 v[3:4], v[8:9], v[4:5]
	s_delay_alu instid0(VALU_DEP_2) | instskip(NEXT) | instid1(VALU_DEP_2)
	v_add_f64_e32 v[1:2], v[1:2], v[10:11]
	v_add_f64_e32 v[3:4], v[3:4], v[12:13]
	s_wait_loadcnt 0x0
	s_delay_alu instid0(VALU_DEP_2) | instskip(NEXT) | instid1(VALU_DEP_2)
	v_add_f64_e64 v[1:2], v[163:164], -v[1:2]
	v_add_f64_e64 v[3:4], v[165:166], -v[3:4]
	scratch_store_b128 off, v[1:4], off offset:832
	v_cmpx_lt_u32_e32 50, v0
	s_cbranch_execz .LBB59_273
; %bb.272:
	scratch_load_b128 v[1:4], off, s30
	v_mov_b32_e32 v5, 0
	s_delay_alu instid0(VALU_DEP_1)
	v_dual_mov_b32 v6, v5 :: v_dual_mov_b32 v7, v5
	v_mov_b32_e32 v8, v5
	scratch_store_b128 off, v[5:8], off offset:816
	s_wait_loadcnt 0x0
	ds_store_b128 v162, v[1:4]
.LBB59_273:
	s_wait_alu 0xfffe
	s_or_b32 exec_lo, exec_lo, s0
	s_wait_storecnt_dscnt 0x0
	s_barrier_signal -1
	s_barrier_wait -1
	global_inv scope:SCOPE_SE
	s_clause 0x7
	scratch_load_b128 v[2:5], off, off offset:832
	scratch_load_b128 v[6:9], off, off offset:848
	;; [unrolled: 1-line block ×8, first 2 shown]
	v_mov_b32_e32 v1, 0
	s_mov_b32 s0, exec_lo
	ds_load_b128 v[34:37], v1 offset:1776
	s_clause 0x1
	scratch_load_b128 v[38:41], off, off offset:960
	scratch_load_b128 v[163:166], off, off offset:816
	ds_load_b128 v[167:170], v1 offset:1792
	s_wait_loadcnt_dscnt 0x901
	v_mul_f64_e32 v[171:172], v[36:37], v[4:5]
	v_mul_f64_e32 v[4:5], v[34:35], v[4:5]
	s_wait_loadcnt_dscnt 0x800
	v_mul_f64_e32 v[173:174], v[167:168], v[8:9]
	v_mul_f64_e32 v[8:9], v[169:170], v[8:9]
	s_delay_alu instid0(VALU_DEP_4) | instskip(NEXT) | instid1(VALU_DEP_4)
	v_fma_f64 v[171:172], v[34:35], v[2:3], -v[171:172]
	v_fma_f64 v[175:176], v[36:37], v[2:3], v[4:5]
	ds_load_b128 v[2:5], v1 offset:1808
	ds_load_b128 v[34:37], v1 offset:1824
	v_fma_f64 v[169:170], v[169:170], v[6:7], v[173:174]
	v_fma_f64 v[6:7], v[167:168], v[6:7], -v[8:9]
	s_wait_loadcnt_dscnt 0x701
	v_mul_f64_e32 v[177:178], v[2:3], v[12:13]
	v_mul_f64_e32 v[12:13], v[4:5], v[12:13]
	v_add_f64_e32 v[8:9], 0, v[171:172]
	v_add_f64_e32 v[167:168], 0, v[175:176]
	s_wait_loadcnt_dscnt 0x600
	v_mul_f64_e32 v[171:172], v[34:35], v[16:17]
	v_mul_f64_e32 v[16:17], v[36:37], v[16:17]
	v_fma_f64 v[173:174], v[4:5], v[10:11], v[177:178]
	v_fma_f64 v[10:11], v[2:3], v[10:11], -v[12:13]
	v_add_f64_e32 v[12:13], v[8:9], v[6:7]
	v_add_f64_e32 v[167:168], v[167:168], v[169:170]
	ds_load_b128 v[2:5], v1 offset:1840
	ds_load_b128 v[6:9], v1 offset:1856
	v_fma_f64 v[36:37], v[36:37], v[14:15], v[171:172]
	v_fma_f64 v[14:15], v[34:35], v[14:15], -v[16:17]
	s_wait_loadcnt_dscnt 0x501
	v_mul_f64_e32 v[169:170], v[2:3], v[20:21]
	v_mul_f64_e32 v[20:21], v[4:5], v[20:21]
	s_wait_loadcnt_dscnt 0x400
	v_mul_f64_e32 v[16:17], v[6:7], v[24:25]
	v_mul_f64_e32 v[24:25], v[8:9], v[24:25]
	v_add_f64_e32 v[10:11], v[12:13], v[10:11]
	v_add_f64_e32 v[12:13], v[167:168], v[173:174]
	v_fma_f64 v[34:35], v[4:5], v[18:19], v[169:170]
	v_fma_f64 v[18:19], v[2:3], v[18:19], -v[20:21]
	v_fma_f64 v[8:9], v[8:9], v[22:23], v[16:17]
	v_fma_f64 v[6:7], v[6:7], v[22:23], -v[24:25]
	v_add_f64_e32 v[14:15], v[10:11], v[14:15]
	v_add_f64_e32 v[20:21], v[12:13], v[36:37]
	ds_load_b128 v[2:5], v1 offset:1872
	ds_load_b128 v[10:13], v1 offset:1888
	s_wait_loadcnt_dscnt 0x301
	v_mul_f64_e32 v[36:37], v[2:3], v[28:29]
	v_mul_f64_e32 v[28:29], v[4:5], v[28:29]
	v_add_f64_e32 v[14:15], v[14:15], v[18:19]
	v_add_f64_e32 v[16:17], v[20:21], v[34:35]
	s_wait_loadcnt_dscnt 0x200
	v_mul_f64_e32 v[18:19], v[10:11], v[32:33]
	v_mul_f64_e32 v[20:21], v[12:13], v[32:33]
	v_fma_f64 v[22:23], v[4:5], v[26:27], v[36:37]
	v_fma_f64 v[24:25], v[2:3], v[26:27], -v[28:29]
	ds_load_b128 v[2:5], v1 offset:1904
	v_add_f64_e32 v[6:7], v[14:15], v[6:7]
	v_add_f64_e32 v[8:9], v[16:17], v[8:9]
	v_fma_f64 v[12:13], v[12:13], v[30:31], v[18:19]
	v_fma_f64 v[10:11], v[10:11], v[30:31], -v[20:21]
	s_wait_loadcnt_dscnt 0x100
	v_mul_f64_e32 v[14:15], v[2:3], v[40:41]
	v_mul_f64_e32 v[16:17], v[4:5], v[40:41]
	v_add_f64_e32 v[6:7], v[6:7], v[24:25]
	v_add_f64_e32 v[8:9], v[8:9], v[22:23]
	s_delay_alu instid0(VALU_DEP_4) | instskip(NEXT) | instid1(VALU_DEP_4)
	v_fma_f64 v[4:5], v[4:5], v[38:39], v[14:15]
	v_fma_f64 v[2:3], v[2:3], v[38:39], -v[16:17]
	s_delay_alu instid0(VALU_DEP_4) | instskip(NEXT) | instid1(VALU_DEP_4)
	v_add_f64_e32 v[6:7], v[6:7], v[10:11]
	v_add_f64_e32 v[8:9], v[8:9], v[12:13]
	s_delay_alu instid0(VALU_DEP_2) | instskip(NEXT) | instid1(VALU_DEP_2)
	v_add_f64_e32 v[2:3], v[6:7], v[2:3]
	v_add_f64_e32 v[4:5], v[8:9], v[4:5]
	s_wait_loadcnt 0x0
	s_delay_alu instid0(VALU_DEP_2) | instskip(NEXT) | instid1(VALU_DEP_2)
	v_add_f64_e64 v[2:3], v[163:164], -v[2:3]
	v_add_f64_e64 v[4:5], v[165:166], -v[4:5]
	scratch_store_b128 off, v[2:5], off offset:816
	v_cmpx_lt_u32_e32 49, v0
	s_cbranch_execz .LBB59_275
; %bb.274:
	scratch_load_b128 v[5:8], off, s29
	v_dual_mov_b32 v2, v1 :: v_dual_mov_b32 v3, v1
	v_mov_b32_e32 v4, v1
	scratch_store_b128 off, v[1:4], off offset:800
	s_wait_loadcnt 0x0
	ds_store_b128 v162, v[5:8]
.LBB59_275:
	s_wait_alu 0xfffe
	s_or_b32 exec_lo, exec_lo, s0
	s_wait_storecnt_dscnt 0x0
	s_barrier_signal -1
	s_barrier_wait -1
	global_inv scope:SCOPE_SE
	s_clause 0x8
	scratch_load_b128 v[2:5], off, off offset:816
	scratch_load_b128 v[6:9], off, off offset:832
	;; [unrolled: 1-line block ×9, first 2 shown]
	ds_load_b128 v[38:41], v1 offset:1760
	ds_load_b128 v[163:166], v1 offset:1776
	s_clause 0x1
	scratch_load_b128 v[167:170], off, off offset:800
	scratch_load_b128 v[171:174], off, off offset:960
	s_mov_b32 s0, exec_lo
	s_wait_loadcnt_dscnt 0xa01
	v_mul_f64_e32 v[175:176], v[40:41], v[4:5]
	v_mul_f64_e32 v[4:5], v[38:39], v[4:5]
	s_wait_loadcnt_dscnt 0x900
	v_mul_f64_e32 v[177:178], v[163:164], v[8:9]
	v_mul_f64_e32 v[8:9], v[165:166], v[8:9]
	s_delay_alu instid0(VALU_DEP_4) | instskip(NEXT) | instid1(VALU_DEP_4)
	v_fma_f64 v[175:176], v[38:39], v[2:3], -v[175:176]
	v_fma_f64 v[179:180], v[40:41], v[2:3], v[4:5]
	ds_load_b128 v[2:5], v1 offset:1792
	ds_load_b128 v[38:41], v1 offset:1808
	v_fma_f64 v[165:166], v[165:166], v[6:7], v[177:178]
	v_fma_f64 v[6:7], v[163:164], v[6:7], -v[8:9]
	s_wait_loadcnt_dscnt 0x801
	v_mul_f64_e32 v[181:182], v[2:3], v[12:13]
	v_mul_f64_e32 v[12:13], v[4:5], v[12:13]
	v_add_f64_e32 v[8:9], 0, v[175:176]
	v_add_f64_e32 v[163:164], 0, v[179:180]
	s_wait_loadcnt_dscnt 0x700
	v_mul_f64_e32 v[175:176], v[38:39], v[16:17]
	v_mul_f64_e32 v[16:17], v[40:41], v[16:17]
	v_fma_f64 v[177:178], v[4:5], v[10:11], v[181:182]
	v_fma_f64 v[10:11], v[2:3], v[10:11], -v[12:13]
	v_add_f64_e32 v[12:13], v[8:9], v[6:7]
	v_add_f64_e32 v[163:164], v[163:164], v[165:166]
	ds_load_b128 v[2:5], v1 offset:1824
	ds_load_b128 v[6:9], v1 offset:1840
	v_fma_f64 v[40:41], v[40:41], v[14:15], v[175:176]
	v_fma_f64 v[14:15], v[38:39], v[14:15], -v[16:17]
	s_wait_loadcnt_dscnt 0x601
	v_mul_f64_e32 v[165:166], v[2:3], v[20:21]
	v_mul_f64_e32 v[20:21], v[4:5], v[20:21]
	s_wait_loadcnt_dscnt 0x500
	v_mul_f64_e32 v[16:17], v[6:7], v[24:25]
	v_mul_f64_e32 v[24:25], v[8:9], v[24:25]
	v_add_f64_e32 v[10:11], v[12:13], v[10:11]
	v_add_f64_e32 v[12:13], v[163:164], v[177:178]
	v_fma_f64 v[38:39], v[4:5], v[18:19], v[165:166]
	v_fma_f64 v[18:19], v[2:3], v[18:19], -v[20:21]
	v_fma_f64 v[8:9], v[8:9], v[22:23], v[16:17]
	v_fma_f64 v[6:7], v[6:7], v[22:23], -v[24:25]
	v_add_f64_e32 v[14:15], v[10:11], v[14:15]
	v_add_f64_e32 v[20:21], v[12:13], v[40:41]
	ds_load_b128 v[2:5], v1 offset:1856
	ds_load_b128 v[10:13], v1 offset:1872
	s_wait_loadcnt_dscnt 0x401
	v_mul_f64_e32 v[40:41], v[2:3], v[28:29]
	v_mul_f64_e32 v[28:29], v[4:5], v[28:29]
	v_add_f64_e32 v[14:15], v[14:15], v[18:19]
	v_add_f64_e32 v[16:17], v[20:21], v[38:39]
	s_wait_loadcnt_dscnt 0x300
	v_mul_f64_e32 v[18:19], v[10:11], v[32:33]
	v_mul_f64_e32 v[20:21], v[12:13], v[32:33]
	v_fma_f64 v[22:23], v[4:5], v[26:27], v[40:41]
	v_fma_f64 v[24:25], v[2:3], v[26:27], -v[28:29]
	v_add_f64_e32 v[14:15], v[14:15], v[6:7]
	v_add_f64_e32 v[16:17], v[16:17], v[8:9]
	ds_load_b128 v[2:5], v1 offset:1888
	ds_load_b128 v[6:9], v1 offset:1904
	v_fma_f64 v[12:13], v[12:13], v[30:31], v[18:19]
	v_fma_f64 v[10:11], v[10:11], v[30:31], -v[20:21]
	s_wait_loadcnt_dscnt 0x201
	v_mul_f64_e32 v[26:27], v[2:3], v[36:37]
	v_mul_f64_e32 v[28:29], v[4:5], v[36:37]
	s_wait_loadcnt_dscnt 0x0
	v_mul_f64_e32 v[18:19], v[6:7], v[173:174]
	v_mul_f64_e32 v[20:21], v[8:9], v[173:174]
	v_add_f64_e32 v[14:15], v[14:15], v[24:25]
	v_add_f64_e32 v[16:17], v[16:17], v[22:23]
	v_fma_f64 v[4:5], v[4:5], v[34:35], v[26:27]
	v_fma_f64 v[1:2], v[2:3], v[34:35], -v[28:29]
	v_fma_f64 v[8:9], v[8:9], v[171:172], v[18:19]
	v_fma_f64 v[6:7], v[6:7], v[171:172], -v[20:21]
	v_add_f64_e32 v[10:11], v[14:15], v[10:11]
	v_add_f64_e32 v[12:13], v[16:17], v[12:13]
	s_delay_alu instid0(VALU_DEP_2) | instskip(NEXT) | instid1(VALU_DEP_2)
	v_add_f64_e32 v[1:2], v[10:11], v[1:2]
	v_add_f64_e32 v[3:4], v[12:13], v[4:5]
	s_delay_alu instid0(VALU_DEP_2) | instskip(NEXT) | instid1(VALU_DEP_2)
	;; [unrolled: 3-line block ×3, first 2 shown]
	v_add_f64_e64 v[1:2], v[167:168], -v[1:2]
	v_add_f64_e64 v[3:4], v[169:170], -v[3:4]
	scratch_store_b128 off, v[1:4], off offset:800
	v_cmpx_lt_u32_e32 48, v0
	s_cbranch_execz .LBB59_277
; %bb.276:
	scratch_load_b128 v[1:4], off, s39
	v_mov_b32_e32 v5, 0
	s_delay_alu instid0(VALU_DEP_1)
	v_dual_mov_b32 v6, v5 :: v_dual_mov_b32 v7, v5
	v_mov_b32_e32 v8, v5
	scratch_store_b128 off, v[5:8], off offset:784
	s_wait_loadcnt 0x0
	ds_store_b128 v162, v[1:4]
.LBB59_277:
	s_wait_alu 0xfffe
	s_or_b32 exec_lo, exec_lo, s0
	s_wait_storecnt_dscnt 0x0
	s_barrier_signal -1
	s_barrier_wait -1
	global_inv scope:SCOPE_SE
	s_clause 0x7
	scratch_load_b128 v[2:5], off, off offset:800
	scratch_load_b128 v[6:9], off, off offset:816
	;; [unrolled: 1-line block ×8, first 2 shown]
	v_mov_b32_e32 v1, 0
	s_mov_b32 s0, exec_lo
	ds_load_b128 v[34:37], v1 offset:1744
	s_clause 0x1
	scratch_load_b128 v[38:41], off, off offset:928
	scratch_load_b128 v[163:166], off, off offset:784
	ds_load_b128 v[167:170], v1 offset:1760
	scratch_load_b128 v[171:174], off, off offset:944
	s_wait_loadcnt_dscnt 0xa01
	v_mul_f64_e32 v[175:176], v[36:37], v[4:5]
	v_mul_f64_e32 v[4:5], v[34:35], v[4:5]
	s_delay_alu instid0(VALU_DEP_2) | instskip(NEXT) | instid1(VALU_DEP_2)
	v_fma_f64 v[181:182], v[34:35], v[2:3], -v[175:176]
	v_fma_f64 v[183:184], v[36:37], v[2:3], v[4:5]
	ds_load_b128 v[2:5], v1 offset:1776
	s_wait_loadcnt_dscnt 0x901
	v_mul_f64_e32 v[179:180], v[167:168], v[8:9]
	v_mul_f64_e32 v[8:9], v[169:170], v[8:9]
	scratch_load_b128 v[34:37], off, off offset:960
	ds_load_b128 v[175:178], v1 offset:1792
	s_wait_loadcnt_dscnt 0x901
	v_mul_f64_e32 v[185:186], v[2:3], v[12:13]
	v_mul_f64_e32 v[12:13], v[4:5], v[12:13]
	v_fma_f64 v[169:170], v[169:170], v[6:7], v[179:180]
	v_fma_f64 v[6:7], v[167:168], v[6:7], -v[8:9]
	v_add_f64_e32 v[8:9], 0, v[181:182]
	v_add_f64_e32 v[167:168], 0, v[183:184]
	s_wait_loadcnt_dscnt 0x800
	v_mul_f64_e32 v[179:180], v[175:176], v[16:17]
	v_mul_f64_e32 v[16:17], v[177:178], v[16:17]
	v_fma_f64 v[181:182], v[4:5], v[10:11], v[185:186]
	v_fma_f64 v[10:11], v[2:3], v[10:11], -v[12:13]
	v_add_f64_e32 v[12:13], v[8:9], v[6:7]
	v_add_f64_e32 v[167:168], v[167:168], v[169:170]
	ds_load_b128 v[2:5], v1 offset:1808
	ds_load_b128 v[6:9], v1 offset:1824
	v_fma_f64 v[177:178], v[177:178], v[14:15], v[179:180]
	v_fma_f64 v[14:15], v[175:176], v[14:15], -v[16:17]
	s_wait_loadcnt_dscnt 0x701
	v_mul_f64_e32 v[169:170], v[2:3], v[20:21]
	v_mul_f64_e32 v[20:21], v[4:5], v[20:21]
	s_wait_loadcnt_dscnt 0x600
	v_mul_f64_e32 v[16:17], v[6:7], v[24:25]
	v_mul_f64_e32 v[24:25], v[8:9], v[24:25]
	v_add_f64_e32 v[10:11], v[12:13], v[10:11]
	v_add_f64_e32 v[12:13], v[167:168], v[181:182]
	v_fma_f64 v[167:168], v[4:5], v[18:19], v[169:170]
	v_fma_f64 v[18:19], v[2:3], v[18:19], -v[20:21]
	v_fma_f64 v[8:9], v[8:9], v[22:23], v[16:17]
	v_fma_f64 v[6:7], v[6:7], v[22:23], -v[24:25]
	v_add_f64_e32 v[14:15], v[10:11], v[14:15]
	v_add_f64_e32 v[20:21], v[12:13], v[177:178]
	ds_load_b128 v[2:5], v1 offset:1840
	ds_load_b128 v[10:13], v1 offset:1856
	s_wait_loadcnt_dscnt 0x501
	v_mul_f64_e32 v[169:170], v[2:3], v[28:29]
	v_mul_f64_e32 v[28:29], v[4:5], v[28:29]
	v_add_f64_e32 v[14:15], v[14:15], v[18:19]
	v_add_f64_e32 v[16:17], v[20:21], v[167:168]
	s_wait_loadcnt_dscnt 0x400
	v_mul_f64_e32 v[18:19], v[10:11], v[32:33]
	v_mul_f64_e32 v[20:21], v[12:13], v[32:33]
	v_fma_f64 v[22:23], v[4:5], v[26:27], v[169:170]
	v_fma_f64 v[24:25], v[2:3], v[26:27], -v[28:29]
	v_add_f64_e32 v[14:15], v[14:15], v[6:7]
	v_add_f64_e32 v[16:17], v[16:17], v[8:9]
	ds_load_b128 v[2:5], v1 offset:1872
	ds_load_b128 v[6:9], v1 offset:1888
	v_fma_f64 v[12:13], v[12:13], v[30:31], v[18:19]
	v_fma_f64 v[10:11], v[10:11], v[30:31], -v[20:21]
	s_wait_loadcnt_dscnt 0x301
	v_mul_f64_e32 v[26:27], v[2:3], v[40:41]
	v_mul_f64_e32 v[28:29], v[4:5], v[40:41]
	s_wait_loadcnt_dscnt 0x100
	v_mul_f64_e32 v[18:19], v[6:7], v[173:174]
	v_mul_f64_e32 v[20:21], v[8:9], v[173:174]
	v_add_f64_e32 v[14:15], v[14:15], v[24:25]
	v_add_f64_e32 v[16:17], v[16:17], v[22:23]
	v_fma_f64 v[22:23], v[4:5], v[38:39], v[26:27]
	v_fma_f64 v[24:25], v[2:3], v[38:39], -v[28:29]
	ds_load_b128 v[2:5], v1 offset:1904
	v_fma_f64 v[8:9], v[8:9], v[171:172], v[18:19]
	v_fma_f64 v[6:7], v[6:7], v[171:172], -v[20:21]
	v_add_f64_e32 v[10:11], v[14:15], v[10:11]
	v_add_f64_e32 v[12:13], v[16:17], v[12:13]
	s_wait_loadcnt_dscnt 0x0
	v_mul_f64_e32 v[14:15], v[2:3], v[36:37]
	v_mul_f64_e32 v[16:17], v[4:5], v[36:37]
	s_delay_alu instid0(VALU_DEP_4) | instskip(NEXT) | instid1(VALU_DEP_4)
	v_add_f64_e32 v[10:11], v[10:11], v[24:25]
	v_add_f64_e32 v[12:13], v[12:13], v[22:23]
	s_delay_alu instid0(VALU_DEP_4) | instskip(NEXT) | instid1(VALU_DEP_4)
	v_fma_f64 v[4:5], v[4:5], v[34:35], v[14:15]
	v_fma_f64 v[2:3], v[2:3], v[34:35], -v[16:17]
	s_delay_alu instid0(VALU_DEP_4) | instskip(NEXT) | instid1(VALU_DEP_4)
	v_add_f64_e32 v[6:7], v[10:11], v[6:7]
	v_add_f64_e32 v[8:9], v[12:13], v[8:9]
	s_delay_alu instid0(VALU_DEP_2) | instskip(NEXT) | instid1(VALU_DEP_2)
	v_add_f64_e32 v[2:3], v[6:7], v[2:3]
	v_add_f64_e32 v[4:5], v[8:9], v[4:5]
	s_delay_alu instid0(VALU_DEP_2) | instskip(NEXT) | instid1(VALU_DEP_2)
	v_add_f64_e64 v[2:3], v[163:164], -v[2:3]
	v_add_f64_e64 v[4:5], v[165:166], -v[4:5]
	scratch_store_b128 off, v[2:5], off offset:784
	v_cmpx_lt_u32_e32 47, v0
	s_cbranch_execz .LBB59_279
; %bb.278:
	scratch_load_b128 v[5:8], off, s38
	v_dual_mov_b32 v2, v1 :: v_dual_mov_b32 v3, v1
	v_mov_b32_e32 v4, v1
	scratch_store_b128 off, v[1:4], off offset:768
	s_wait_loadcnt 0x0
	ds_store_b128 v162, v[5:8]
.LBB59_279:
	s_wait_alu 0xfffe
	s_or_b32 exec_lo, exec_lo, s0
	s_wait_storecnt_dscnt 0x0
	s_barrier_signal -1
	s_barrier_wait -1
	global_inv scope:SCOPE_SE
	s_clause 0x8
	scratch_load_b128 v[2:5], off, off offset:784
	scratch_load_b128 v[6:9], off, off offset:800
	scratch_load_b128 v[10:13], off, off offset:816
	scratch_load_b128 v[14:17], off, off offset:832
	scratch_load_b128 v[18:21], off, off offset:848
	scratch_load_b128 v[22:25], off, off offset:864
	scratch_load_b128 v[26:29], off, off offset:880
	scratch_load_b128 v[30:33], off, off offset:896
	scratch_load_b128 v[34:37], off, off offset:912
	ds_load_b128 v[38:41], v1 offset:1728
	ds_load_b128 v[163:166], v1 offset:1744
	s_clause 0x1
	scratch_load_b128 v[167:170], off, off offset:768
	scratch_load_b128 v[171:174], off, off offset:928
	s_mov_b32 s0, exec_lo
	s_wait_loadcnt_dscnt 0xa01
	v_mul_f64_e32 v[175:176], v[40:41], v[4:5]
	v_mul_f64_e32 v[4:5], v[38:39], v[4:5]
	s_wait_loadcnt_dscnt 0x900
	v_mul_f64_e32 v[179:180], v[163:164], v[8:9]
	v_mul_f64_e32 v[8:9], v[165:166], v[8:9]
	s_delay_alu instid0(VALU_DEP_4) | instskip(NEXT) | instid1(VALU_DEP_4)
	v_fma_f64 v[181:182], v[38:39], v[2:3], -v[175:176]
	v_fma_f64 v[183:184], v[40:41], v[2:3], v[4:5]
	ds_load_b128 v[2:5], v1 offset:1760
	ds_load_b128 v[175:178], v1 offset:1776
	scratch_load_b128 v[38:41], off, off offset:944
	v_fma_f64 v[165:166], v[165:166], v[6:7], v[179:180]
	v_fma_f64 v[163:164], v[163:164], v[6:7], -v[8:9]
	scratch_load_b128 v[6:9], off, off offset:960
	s_wait_loadcnt_dscnt 0xa01
	v_mul_f64_e32 v[185:186], v[2:3], v[12:13]
	v_mul_f64_e32 v[12:13], v[4:5], v[12:13]
	v_add_f64_e32 v[179:180], 0, v[181:182]
	v_add_f64_e32 v[181:182], 0, v[183:184]
	s_wait_loadcnt_dscnt 0x900
	v_mul_f64_e32 v[183:184], v[175:176], v[16:17]
	v_mul_f64_e32 v[16:17], v[177:178], v[16:17]
	v_fma_f64 v[185:186], v[4:5], v[10:11], v[185:186]
	v_fma_f64 v[187:188], v[2:3], v[10:11], -v[12:13]
	ds_load_b128 v[2:5], v1 offset:1792
	ds_load_b128 v[10:13], v1 offset:1808
	v_add_f64_e32 v[163:164], v[179:180], v[163:164]
	v_add_f64_e32 v[165:166], v[181:182], v[165:166]
	v_fma_f64 v[177:178], v[177:178], v[14:15], v[183:184]
	v_fma_f64 v[14:15], v[175:176], v[14:15], -v[16:17]
	s_wait_loadcnt_dscnt 0x801
	v_mul_f64_e32 v[179:180], v[2:3], v[20:21]
	v_mul_f64_e32 v[20:21], v[4:5], v[20:21]
	v_add_f64_e32 v[16:17], v[163:164], v[187:188]
	v_add_f64_e32 v[163:164], v[165:166], v[185:186]
	s_wait_loadcnt_dscnt 0x700
	v_mul_f64_e32 v[165:166], v[10:11], v[24:25]
	v_mul_f64_e32 v[24:25], v[12:13], v[24:25]
	v_fma_f64 v[175:176], v[4:5], v[18:19], v[179:180]
	v_fma_f64 v[18:19], v[2:3], v[18:19], -v[20:21]
	v_add_f64_e32 v[20:21], v[16:17], v[14:15]
	v_add_f64_e32 v[163:164], v[163:164], v[177:178]
	ds_load_b128 v[2:5], v1 offset:1824
	ds_load_b128 v[14:17], v1 offset:1840
	v_fma_f64 v[12:13], v[12:13], v[22:23], v[165:166]
	v_fma_f64 v[10:11], v[10:11], v[22:23], -v[24:25]
	s_wait_loadcnt_dscnt 0x601
	v_mul_f64_e32 v[177:178], v[2:3], v[28:29]
	v_mul_f64_e32 v[28:29], v[4:5], v[28:29]
	s_wait_loadcnt_dscnt 0x500
	v_mul_f64_e32 v[22:23], v[14:15], v[32:33]
	v_mul_f64_e32 v[24:25], v[16:17], v[32:33]
	v_add_f64_e32 v[18:19], v[20:21], v[18:19]
	v_add_f64_e32 v[20:21], v[163:164], v[175:176]
	v_fma_f64 v[32:33], v[4:5], v[26:27], v[177:178]
	v_fma_f64 v[26:27], v[2:3], v[26:27], -v[28:29]
	v_fma_f64 v[16:17], v[16:17], v[30:31], v[22:23]
	v_fma_f64 v[14:15], v[14:15], v[30:31], -v[24:25]
	v_add_f64_e32 v[18:19], v[18:19], v[10:11]
	v_add_f64_e32 v[20:21], v[20:21], v[12:13]
	ds_load_b128 v[2:5], v1 offset:1856
	ds_load_b128 v[10:13], v1 offset:1872
	s_wait_loadcnt_dscnt 0x401
	v_mul_f64_e32 v[28:29], v[2:3], v[36:37]
	v_mul_f64_e32 v[36:37], v[4:5], v[36:37]
	s_wait_loadcnt_dscnt 0x200
	v_mul_f64_e32 v[22:23], v[10:11], v[173:174]
	v_mul_f64_e32 v[24:25], v[12:13], v[173:174]
	v_add_f64_e32 v[18:19], v[18:19], v[26:27]
	v_add_f64_e32 v[20:21], v[20:21], v[32:33]
	v_fma_f64 v[26:27], v[4:5], v[34:35], v[28:29]
	v_fma_f64 v[28:29], v[2:3], v[34:35], -v[36:37]
	v_fma_f64 v[12:13], v[12:13], v[171:172], v[22:23]
	v_fma_f64 v[10:11], v[10:11], v[171:172], -v[24:25]
	v_add_f64_e32 v[18:19], v[18:19], v[14:15]
	v_add_f64_e32 v[20:21], v[20:21], v[16:17]
	ds_load_b128 v[2:5], v1 offset:1888
	ds_load_b128 v[14:17], v1 offset:1904
	s_wait_loadcnt_dscnt 0x101
	v_mul_f64_e32 v[30:31], v[2:3], v[40:41]
	v_mul_f64_e32 v[32:33], v[4:5], v[40:41]
	s_wait_loadcnt_dscnt 0x0
	v_mul_f64_e32 v[22:23], v[14:15], v[8:9]
	v_mul_f64_e32 v[8:9], v[16:17], v[8:9]
	v_add_f64_e32 v[18:19], v[18:19], v[28:29]
	v_add_f64_e32 v[20:21], v[20:21], v[26:27]
	v_fma_f64 v[4:5], v[4:5], v[38:39], v[30:31]
	v_fma_f64 v[1:2], v[2:3], v[38:39], -v[32:33]
	v_fma_f64 v[16:17], v[16:17], v[6:7], v[22:23]
	v_fma_f64 v[6:7], v[14:15], v[6:7], -v[8:9]
	v_add_f64_e32 v[10:11], v[18:19], v[10:11]
	v_add_f64_e32 v[12:13], v[20:21], v[12:13]
	s_delay_alu instid0(VALU_DEP_2) | instskip(NEXT) | instid1(VALU_DEP_2)
	v_add_f64_e32 v[1:2], v[10:11], v[1:2]
	v_add_f64_e32 v[3:4], v[12:13], v[4:5]
	s_delay_alu instid0(VALU_DEP_2) | instskip(NEXT) | instid1(VALU_DEP_2)
	;; [unrolled: 3-line block ×3, first 2 shown]
	v_add_f64_e64 v[1:2], v[167:168], -v[1:2]
	v_add_f64_e64 v[3:4], v[169:170], -v[3:4]
	scratch_store_b128 off, v[1:4], off offset:768
	v_cmpx_lt_u32_e32 46, v0
	s_cbranch_execz .LBB59_281
; %bb.280:
	scratch_load_b128 v[1:4], off, s42
	v_mov_b32_e32 v5, 0
	s_delay_alu instid0(VALU_DEP_1)
	v_dual_mov_b32 v6, v5 :: v_dual_mov_b32 v7, v5
	v_mov_b32_e32 v8, v5
	scratch_store_b128 off, v[5:8], off offset:752
	s_wait_loadcnt 0x0
	ds_store_b128 v162, v[1:4]
.LBB59_281:
	s_wait_alu 0xfffe
	s_or_b32 exec_lo, exec_lo, s0
	s_wait_storecnt_dscnt 0x0
	s_barrier_signal -1
	s_barrier_wait -1
	global_inv scope:SCOPE_SE
	s_clause 0x7
	scratch_load_b128 v[2:5], off, off offset:768
	scratch_load_b128 v[6:9], off, off offset:784
	;; [unrolled: 1-line block ×8, first 2 shown]
	v_mov_b32_e32 v1, 0
	s_clause 0x1
	scratch_load_b128 v[38:41], off, off offset:896
	scratch_load_b128 v[167:170], off, off offset:912
	s_mov_b32 s0, exec_lo
	ds_load_b128 v[34:37], v1 offset:1712
	ds_load_b128 v[163:166], v1 offset:1728
	s_wait_loadcnt_dscnt 0x901
	v_mul_f64_e32 v[171:172], v[36:37], v[4:5]
	v_mul_f64_e32 v[4:5], v[34:35], v[4:5]
	s_wait_loadcnt_dscnt 0x800
	v_mul_f64_e32 v[173:174], v[163:164], v[8:9]
	v_mul_f64_e32 v[8:9], v[165:166], v[8:9]
	s_delay_alu instid0(VALU_DEP_4) | instskip(NEXT) | instid1(VALU_DEP_4)
	v_fma_f64 v[171:172], v[34:35], v[2:3], -v[171:172]
	v_fma_f64 v[175:176], v[36:37], v[2:3], v[4:5]
	ds_load_b128 v[2:5], v1 offset:1744
	scratch_load_b128 v[34:37], off, off offset:928
	v_fma_f64 v[173:174], v[165:166], v[6:7], v[173:174]
	v_fma_f64 v[179:180], v[163:164], v[6:7], -v[8:9]
	ds_load_b128 v[6:9], v1 offset:1760
	scratch_load_b128 v[163:166], off, off offset:944
	s_wait_loadcnt_dscnt 0x901
	v_mul_f64_e32 v[177:178], v[2:3], v[12:13]
	v_mul_f64_e32 v[12:13], v[4:5], v[12:13]
	s_wait_loadcnt_dscnt 0x800
	v_mul_f64_e32 v[181:182], v[6:7], v[16:17]
	v_mul_f64_e32 v[16:17], v[8:9], v[16:17]
	v_add_f64_e32 v[171:172], 0, v[171:172]
	v_add_f64_e32 v[175:176], 0, v[175:176]
	v_fma_f64 v[177:178], v[4:5], v[10:11], v[177:178]
	v_fma_f64 v[183:184], v[2:3], v[10:11], -v[12:13]
	ds_load_b128 v[2:5], v1 offset:1776
	scratch_load_b128 v[10:13], off, off offset:960
	v_add_f64_e32 v[171:172], v[171:172], v[179:180]
	v_add_f64_e32 v[173:174], v[175:176], v[173:174]
	v_fma_f64 v[179:180], v[8:9], v[14:15], v[181:182]
	v_fma_f64 v[14:15], v[6:7], v[14:15], -v[16:17]
	ds_load_b128 v[6:9], v1 offset:1792
	s_wait_loadcnt_dscnt 0x801
	v_mul_f64_e32 v[175:176], v[2:3], v[20:21]
	v_mul_f64_e32 v[20:21], v[4:5], v[20:21]
	v_add_f64_e32 v[16:17], v[171:172], v[183:184]
	v_add_f64_e32 v[171:172], v[173:174], v[177:178]
	s_wait_loadcnt_dscnt 0x700
	v_mul_f64_e32 v[173:174], v[6:7], v[24:25]
	v_mul_f64_e32 v[24:25], v[8:9], v[24:25]
	v_fma_f64 v[175:176], v[4:5], v[18:19], v[175:176]
	v_fma_f64 v[18:19], v[2:3], v[18:19], -v[20:21]
	ds_load_b128 v[2:5], v1 offset:1808
	v_add_f64_e32 v[14:15], v[16:17], v[14:15]
	v_add_f64_e32 v[16:17], v[171:172], v[179:180]
	v_fma_f64 v[171:172], v[8:9], v[22:23], v[173:174]
	v_fma_f64 v[22:23], v[6:7], v[22:23], -v[24:25]
	ds_load_b128 v[6:9], v1 offset:1824
	s_wait_loadcnt_dscnt 0x601
	v_mul_f64_e32 v[20:21], v[2:3], v[28:29]
	v_mul_f64_e32 v[28:29], v[4:5], v[28:29]
	s_wait_loadcnt_dscnt 0x500
	v_mul_f64_e32 v[173:174], v[6:7], v[32:33]
	v_mul_f64_e32 v[32:33], v[8:9], v[32:33]
	v_add_f64_e32 v[18:19], v[14:15], v[18:19]
	v_add_f64_e32 v[24:25], v[16:17], v[175:176]
	scratch_load_b128 v[14:17], off, off offset:752
	v_fma_f64 v[20:21], v[4:5], v[26:27], v[20:21]
	v_fma_f64 v[26:27], v[2:3], v[26:27], -v[28:29]
	ds_load_b128 v[2:5], v1 offset:1840
	s_wait_loadcnt_dscnt 0x500
	v_mul_f64_e32 v[28:29], v[4:5], v[40:41]
	v_add_f64_e32 v[18:19], v[18:19], v[22:23]
	v_add_f64_e32 v[22:23], v[24:25], v[171:172]
	v_mul_f64_e32 v[24:25], v[2:3], v[40:41]
	v_fma_f64 v[40:41], v[8:9], v[30:31], v[173:174]
	v_fma_f64 v[30:31], v[6:7], v[30:31], -v[32:33]
	ds_load_b128 v[6:9], v1 offset:1856
	v_fma_f64 v[28:29], v[2:3], v[38:39], -v[28:29]
	v_add_f64_e32 v[18:19], v[18:19], v[26:27]
	v_add_f64_e32 v[20:21], v[22:23], v[20:21]
	v_fma_f64 v[24:25], v[4:5], v[38:39], v[24:25]
	ds_load_b128 v[2:5], v1 offset:1872
	s_wait_loadcnt_dscnt 0x401
	v_mul_f64_e32 v[22:23], v[6:7], v[169:170]
	v_mul_f64_e32 v[26:27], v[8:9], v[169:170]
	v_add_f64_e32 v[18:19], v[18:19], v[30:31]
	v_add_f64_e32 v[20:21], v[20:21], v[40:41]
	s_delay_alu instid0(VALU_DEP_4) | instskip(NEXT) | instid1(VALU_DEP_4)
	v_fma_f64 v[22:23], v[8:9], v[167:168], v[22:23]
	v_fma_f64 v[26:27], v[6:7], v[167:168], -v[26:27]
	ds_load_b128 v[6:9], v1 offset:1888
	s_wait_loadcnt_dscnt 0x301
	v_mul_f64_e32 v[30:31], v[2:3], v[36:37]
	v_mul_f64_e32 v[32:33], v[4:5], v[36:37]
	v_add_f64_e32 v[18:19], v[18:19], v[28:29]
	v_add_f64_e32 v[20:21], v[20:21], v[24:25]
	s_delay_alu instid0(VALU_DEP_4) | instskip(NEXT) | instid1(VALU_DEP_4)
	v_fma_f64 v[30:31], v[4:5], v[34:35], v[30:31]
	v_fma_f64 v[32:33], v[2:3], v[34:35], -v[32:33]
	ds_load_b128 v[2:5], v1 offset:1904
	s_wait_loadcnt_dscnt 0x201
	v_mul_f64_e32 v[24:25], v[6:7], v[165:166]
	v_mul_f64_e32 v[28:29], v[8:9], v[165:166]
	v_add_f64_e32 v[18:19], v[18:19], v[26:27]
	v_add_f64_e32 v[20:21], v[20:21], v[22:23]
	s_wait_loadcnt_dscnt 0x100
	v_mul_f64_e32 v[22:23], v[2:3], v[12:13]
	v_mul_f64_e32 v[12:13], v[4:5], v[12:13]
	v_fma_f64 v[8:9], v[8:9], v[163:164], v[24:25]
	v_fma_f64 v[6:7], v[6:7], v[163:164], -v[28:29]
	v_add_f64_e32 v[18:19], v[18:19], v[32:33]
	v_add_f64_e32 v[20:21], v[20:21], v[30:31]
	v_fma_f64 v[4:5], v[4:5], v[10:11], v[22:23]
	v_fma_f64 v[2:3], v[2:3], v[10:11], -v[12:13]
	s_delay_alu instid0(VALU_DEP_4) | instskip(NEXT) | instid1(VALU_DEP_4)
	v_add_f64_e32 v[6:7], v[18:19], v[6:7]
	v_add_f64_e32 v[8:9], v[20:21], v[8:9]
	s_delay_alu instid0(VALU_DEP_2) | instskip(NEXT) | instid1(VALU_DEP_2)
	v_add_f64_e32 v[2:3], v[6:7], v[2:3]
	v_add_f64_e32 v[4:5], v[8:9], v[4:5]
	s_wait_loadcnt 0x0
	s_delay_alu instid0(VALU_DEP_2) | instskip(NEXT) | instid1(VALU_DEP_2)
	v_add_f64_e64 v[2:3], v[14:15], -v[2:3]
	v_add_f64_e64 v[4:5], v[16:17], -v[4:5]
	scratch_store_b128 off, v[2:5], off offset:752
	v_cmpx_lt_u32_e32 45, v0
	s_cbranch_execz .LBB59_283
; %bb.282:
	scratch_load_b128 v[5:8], off, s41
	v_dual_mov_b32 v2, v1 :: v_dual_mov_b32 v3, v1
	v_mov_b32_e32 v4, v1
	scratch_store_b128 off, v[1:4], off offset:736
	s_wait_loadcnt 0x0
	ds_store_b128 v162, v[5:8]
.LBB59_283:
	s_wait_alu 0xfffe
	s_or_b32 exec_lo, exec_lo, s0
	s_wait_storecnt_dscnt 0x0
	s_barrier_signal -1
	s_barrier_wait -1
	global_inv scope:SCOPE_SE
	s_clause 0x7
	scratch_load_b128 v[2:5], off, off offset:752
	scratch_load_b128 v[6:9], off, off offset:768
	;; [unrolled: 1-line block ×8, first 2 shown]
	ds_load_b128 v[34:37], v1 offset:1696
	ds_load_b128 v[163:166], v1 offset:1712
	s_clause 0x1
	scratch_load_b128 v[38:41], off, off offset:880
	scratch_load_b128 v[167:170], off, off offset:896
	s_mov_b32 s0, exec_lo
	s_wait_loadcnt_dscnt 0x901
	v_mul_f64_e32 v[171:172], v[36:37], v[4:5]
	v_mul_f64_e32 v[4:5], v[34:35], v[4:5]
	s_wait_loadcnt_dscnt 0x800
	v_mul_f64_e32 v[173:174], v[163:164], v[8:9]
	v_mul_f64_e32 v[8:9], v[165:166], v[8:9]
	s_delay_alu instid0(VALU_DEP_4) | instskip(NEXT) | instid1(VALU_DEP_4)
	v_fma_f64 v[171:172], v[34:35], v[2:3], -v[171:172]
	v_fma_f64 v[175:176], v[36:37], v[2:3], v[4:5]
	ds_load_b128 v[2:5], v1 offset:1728
	scratch_load_b128 v[34:37], off, off offset:912
	v_fma_f64 v[173:174], v[165:166], v[6:7], v[173:174]
	v_fma_f64 v[179:180], v[163:164], v[6:7], -v[8:9]
	ds_load_b128 v[6:9], v1 offset:1744
	scratch_load_b128 v[163:166], off, off offset:928
	s_wait_loadcnt_dscnt 0x901
	v_mul_f64_e32 v[177:178], v[2:3], v[12:13]
	v_mul_f64_e32 v[12:13], v[4:5], v[12:13]
	s_wait_loadcnt_dscnt 0x800
	v_mul_f64_e32 v[181:182], v[6:7], v[16:17]
	v_mul_f64_e32 v[16:17], v[8:9], v[16:17]
	v_add_f64_e32 v[171:172], 0, v[171:172]
	v_add_f64_e32 v[175:176], 0, v[175:176]
	v_fma_f64 v[177:178], v[4:5], v[10:11], v[177:178]
	v_fma_f64 v[183:184], v[2:3], v[10:11], -v[12:13]
	ds_load_b128 v[2:5], v1 offset:1760
	scratch_load_b128 v[10:13], off, off offset:944
	v_add_f64_e32 v[171:172], v[171:172], v[179:180]
	v_add_f64_e32 v[173:174], v[175:176], v[173:174]
	v_fma_f64 v[179:180], v[8:9], v[14:15], v[181:182]
	v_fma_f64 v[181:182], v[6:7], v[14:15], -v[16:17]
	ds_load_b128 v[6:9], v1 offset:1776
	scratch_load_b128 v[14:17], off, off offset:960
	s_wait_loadcnt_dscnt 0x901
	v_mul_f64_e32 v[175:176], v[2:3], v[20:21]
	v_mul_f64_e32 v[20:21], v[4:5], v[20:21]
	v_add_f64_e32 v[171:172], v[171:172], v[183:184]
	v_add_f64_e32 v[173:174], v[173:174], v[177:178]
	s_wait_loadcnt_dscnt 0x800
	v_mul_f64_e32 v[177:178], v[6:7], v[24:25]
	v_mul_f64_e32 v[24:25], v[8:9], v[24:25]
	v_fma_f64 v[175:176], v[4:5], v[18:19], v[175:176]
	v_fma_f64 v[18:19], v[2:3], v[18:19], -v[20:21]
	ds_load_b128 v[2:5], v1 offset:1792
	v_add_f64_e32 v[20:21], v[171:172], v[181:182]
	v_add_f64_e32 v[171:172], v[173:174], v[179:180]
	v_fma_f64 v[177:178], v[8:9], v[22:23], v[177:178]
	v_fma_f64 v[22:23], v[6:7], v[22:23], -v[24:25]
	ds_load_b128 v[6:9], v1 offset:1808
	s_wait_loadcnt_dscnt 0x701
	v_mul_f64_e32 v[173:174], v[2:3], v[28:29]
	v_mul_f64_e32 v[28:29], v[4:5], v[28:29]
	s_wait_loadcnt_dscnt 0x600
	v_mul_f64_e32 v[24:25], v[6:7], v[32:33]
	v_mul_f64_e32 v[32:33], v[8:9], v[32:33]
	v_add_f64_e32 v[18:19], v[20:21], v[18:19]
	v_add_f64_e32 v[20:21], v[171:172], v[175:176]
	v_fma_f64 v[171:172], v[4:5], v[26:27], v[173:174]
	v_fma_f64 v[26:27], v[2:3], v[26:27], -v[28:29]
	ds_load_b128 v[2:5], v1 offset:1824
	v_fma_f64 v[24:25], v[8:9], v[30:31], v[24:25]
	v_fma_f64 v[30:31], v[6:7], v[30:31], -v[32:33]
	ds_load_b128 v[6:9], v1 offset:1840
	v_add_f64_e32 v[22:23], v[18:19], v[22:23]
	v_add_f64_e32 v[28:29], v[20:21], v[177:178]
	scratch_load_b128 v[18:21], off, off offset:736
	s_wait_loadcnt_dscnt 0x601
	v_mul_f64_e32 v[173:174], v[2:3], v[40:41]
	v_mul_f64_e32 v[40:41], v[4:5], v[40:41]
	s_wait_loadcnt_dscnt 0x500
	v_mul_f64_e32 v[32:33], v[8:9], v[169:170]
	v_add_f64_e32 v[22:23], v[22:23], v[26:27]
	v_add_f64_e32 v[26:27], v[28:29], v[171:172]
	v_mul_f64_e32 v[28:29], v[6:7], v[169:170]
	v_fma_f64 v[169:170], v[4:5], v[38:39], v[173:174]
	v_fma_f64 v[38:39], v[2:3], v[38:39], -v[40:41]
	ds_load_b128 v[2:5], v1 offset:1856
	v_fma_f64 v[32:33], v[6:7], v[167:168], -v[32:33]
	v_add_f64_e32 v[22:23], v[22:23], v[30:31]
	v_add_f64_e32 v[24:25], v[26:27], v[24:25]
	v_fma_f64 v[28:29], v[8:9], v[167:168], v[28:29]
	ds_load_b128 v[6:9], v1 offset:1872
	s_wait_loadcnt_dscnt 0x401
	v_mul_f64_e32 v[26:27], v[2:3], v[36:37]
	v_mul_f64_e32 v[30:31], v[4:5], v[36:37]
	s_wait_loadcnt_dscnt 0x300
	v_mul_f64_e32 v[36:37], v[6:7], v[165:166]
	v_add_f64_e32 v[22:23], v[22:23], v[38:39]
	v_add_f64_e32 v[24:25], v[24:25], v[169:170]
	v_mul_f64_e32 v[38:39], v[8:9], v[165:166]
	v_fma_f64 v[26:27], v[4:5], v[34:35], v[26:27]
	v_fma_f64 v[30:31], v[2:3], v[34:35], -v[30:31]
	ds_load_b128 v[2:5], v1 offset:1888
	v_add_f64_e32 v[22:23], v[22:23], v[32:33]
	v_add_f64_e32 v[24:25], v[24:25], v[28:29]
	v_fma_f64 v[32:33], v[8:9], v[163:164], v[36:37]
	v_fma_f64 v[34:35], v[6:7], v[163:164], -v[38:39]
	ds_load_b128 v[6:9], v1 offset:1904
	s_wait_loadcnt_dscnt 0x201
	v_mul_f64_e32 v[28:29], v[2:3], v[12:13]
	v_mul_f64_e32 v[12:13], v[4:5], v[12:13]
	v_add_f64_e32 v[22:23], v[22:23], v[30:31]
	v_add_f64_e32 v[24:25], v[24:25], v[26:27]
	s_wait_loadcnt_dscnt 0x100
	v_mul_f64_e32 v[26:27], v[6:7], v[16:17]
	v_mul_f64_e32 v[16:17], v[8:9], v[16:17]
	v_fma_f64 v[4:5], v[4:5], v[10:11], v[28:29]
	v_fma_f64 v[1:2], v[2:3], v[10:11], -v[12:13]
	v_add_f64_e32 v[10:11], v[22:23], v[34:35]
	v_add_f64_e32 v[12:13], v[24:25], v[32:33]
	v_fma_f64 v[8:9], v[8:9], v[14:15], v[26:27]
	v_fma_f64 v[6:7], v[6:7], v[14:15], -v[16:17]
	s_delay_alu instid0(VALU_DEP_4) | instskip(NEXT) | instid1(VALU_DEP_4)
	v_add_f64_e32 v[1:2], v[10:11], v[1:2]
	v_add_f64_e32 v[3:4], v[12:13], v[4:5]
	s_delay_alu instid0(VALU_DEP_2) | instskip(NEXT) | instid1(VALU_DEP_2)
	v_add_f64_e32 v[1:2], v[1:2], v[6:7]
	v_add_f64_e32 v[3:4], v[3:4], v[8:9]
	s_wait_loadcnt 0x0
	s_delay_alu instid0(VALU_DEP_2) | instskip(NEXT) | instid1(VALU_DEP_2)
	v_add_f64_e64 v[1:2], v[18:19], -v[1:2]
	v_add_f64_e64 v[3:4], v[20:21], -v[3:4]
	scratch_store_b128 off, v[1:4], off offset:736
	v_cmpx_lt_u32_e32 44, v0
	s_cbranch_execz .LBB59_285
; %bb.284:
	scratch_load_b128 v[1:4], off, s45
	v_mov_b32_e32 v5, 0
	s_delay_alu instid0(VALU_DEP_1)
	v_dual_mov_b32 v6, v5 :: v_dual_mov_b32 v7, v5
	v_mov_b32_e32 v8, v5
	scratch_store_b128 off, v[5:8], off offset:720
	s_wait_loadcnt 0x0
	ds_store_b128 v162, v[1:4]
.LBB59_285:
	s_wait_alu 0xfffe
	s_or_b32 exec_lo, exec_lo, s0
	s_wait_storecnt_dscnt 0x0
	s_barrier_signal -1
	s_barrier_wait -1
	global_inv scope:SCOPE_SE
	s_clause 0x7
	scratch_load_b128 v[2:5], off, off offset:736
	scratch_load_b128 v[6:9], off, off offset:752
	;; [unrolled: 1-line block ×8, first 2 shown]
	v_mov_b32_e32 v1, 0
	s_clause 0x1
	scratch_load_b128 v[38:41], off, off offset:864
	scratch_load_b128 v[167:170], off, off offset:880
	s_mov_b32 s0, exec_lo
	ds_load_b128 v[34:37], v1 offset:1680
	ds_load_b128 v[163:166], v1 offset:1696
	s_wait_loadcnt_dscnt 0x901
	v_mul_f64_e32 v[171:172], v[36:37], v[4:5]
	v_mul_f64_e32 v[4:5], v[34:35], v[4:5]
	s_wait_loadcnt_dscnt 0x800
	v_mul_f64_e32 v[173:174], v[163:164], v[8:9]
	v_mul_f64_e32 v[8:9], v[165:166], v[8:9]
	s_delay_alu instid0(VALU_DEP_4) | instskip(NEXT) | instid1(VALU_DEP_4)
	v_fma_f64 v[171:172], v[34:35], v[2:3], -v[171:172]
	v_fma_f64 v[175:176], v[36:37], v[2:3], v[4:5]
	ds_load_b128 v[2:5], v1 offset:1712
	scratch_load_b128 v[34:37], off, off offset:896
	v_fma_f64 v[173:174], v[165:166], v[6:7], v[173:174]
	v_fma_f64 v[179:180], v[163:164], v[6:7], -v[8:9]
	ds_load_b128 v[6:9], v1 offset:1728
	scratch_load_b128 v[163:166], off, off offset:912
	s_wait_loadcnt_dscnt 0x901
	v_mul_f64_e32 v[177:178], v[2:3], v[12:13]
	v_mul_f64_e32 v[12:13], v[4:5], v[12:13]
	s_wait_loadcnt_dscnt 0x800
	v_mul_f64_e32 v[181:182], v[6:7], v[16:17]
	v_mul_f64_e32 v[16:17], v[8:9], v[16:17]
	v_add_f64_e32 v[171:172], 0, v[171:172]
	v_add_f64_e32 v[175:176], 0, v[175:176]
	v_fma_f64 v[177:178], v[4:5], v[10:11], v[177:178]
	v_fma_f64 v[183:184], v[2:3], v[10:11], -v[12:13]
	ds_load_b128 v[2:5], v1 offset:1744
	scratch_load_b128 v[10:13], off, off offset:928
	v_add_f64_e32 v[171:172], v[171:172], v[179:180]
	v_add_f64_e32 v[173:174], v[175:176], v[173:174]
	v_fma_f64 v[179:180], v[8:9], v[14:15], v[181:182]
	v_fma_f64 v[181:182], v[6:7], v[14:15], -v[16:17]
	ds_load_b128 v[6:9], v1 offset:1760
	scratch_load_b128 v[14:17], off, off offset:944
	s_wait_loadcnt_dscnt 0x901
	v_mul_f64_e32 v[175:176], v[2:3], v[20:21]
	v_mul_f64_e32 v[20:21], v[4:5], v[20:21]
	v_add_f64_e32 v[171:172], v[171:172], v[183:184]
	v_add_f64_e32 v[173:174], v[173:174], v[177:178]
	s_wait_loadcnt_dscnt 0x800
	v_mul_f64_e32 v[177:178], v[6:7], v[24:25]
	v_mul_f64_e32 v[24:25], v[8:9], v[24:25]
	v_fma_f64 v[175:176], v[4:5], v[18:19], v[175:176]
	v_fma_f64 v[183:184], v[2:3], v[18:19], -v[20:21]
	ds_load_b128 v[2:5], v1 offset:1776
	scratch_load_b128 v[18:21], off, off offset:960
	v_add_f64_e32 v[171:172], v[171:172], v[181:182]
	v_add_f64_e32 v[173:174], v[173:174], v[179:180]
	v_fma_f64 v[177:178], v[8:9], v[22:23], v[177:178]
	v_fma_f64 v[22:23], v[6:7], v[22:23], -v[24:25]
	ds_load_b128 v[6:9], v1 offset:1792
	s_wait_loadcnt_dscnt 0x801
	v_mul_f64_e32 v[179:180], v[2:3], v[28:29]
	v_mul_f64_e32 v[28:29], v[4:5], v[28:29]
	v_add_f64_e32 v[24:25], v[171:172], v[183:184]
	v_add_f64_e32 v[171:172], v[173:174], v[175:176]
	s_wait_loadcnt_dscnt 0x700
	v_mul_f64_e32 v[173:174], v[6:7], v[32:33]
	v_mul_f64_e32 v[32:33], v[8:9], v[32:33]
	v_fma_f64 v[175:176], v[4:5], v[26:27], v[179:180]
	v_fma_f64 v[26:27], v[2:3], v[26:27], -v[28:29]
	ds_load_b128 v[2:5], v1 offset:1808
	v_add_f64_e32 v[22:23], v[24:25], v[22:23]
	v_add_f64_e32 v[24:25], v[171:172], v[177:178]
	v_fma_f64 v[171:172], v[8:9], v[30:31], v[173:174]
	v_fma_f64 v[30:31], v[6:7], v[30:31], -v[32:33]
	ds_load_b128 v[6:9], v1 offset:1824
	s_wait_loadcnt_dscnt 0x500
	v_mul_f64_e32 v[173:174], v[6:7], v[169:170]
	v_mul_f64_e32 v[169:170], v[8:9], v[169:170]
	v_add_f64_e32 v[26:27], v[22:23], v[26:27]
	v_add_f64_e32 v[32:33], v[24:25], v[175:176]
	scratch_load_b128 v[22:25], off, off offset:720
	v_mul_f64_e32 v[28:29], v[2:3], v[40:41]
	v_mul_f64_e32 v[40:41], v[4:5], v[40:41]
	v_add_f64_e32 v[26:27], v[26:27], v[30:31]
	v_add_f64_e32 v[30:31], v[32:33], v[171:172]
	s_delay_alu instid0(VALU_DEP_4) | instskip(NEXT) | instid1(VALU_DEP_4)
	v_fma_f64 v[28:29], v[4:5], v[38:39], v[28:29]
	v_fma_f64 v[38:39], v[2:3], v[38:39], -v[40:41]
	ds_load_b128 v[2:5], v1 offset:1840
	v_fma_f64 v[40:41], v[8:9], v[167:168], v[173:174]
	v_fma_f64 v[167:168], v[6:7], v[167:168], -v[169:170]
	ds_load_b128 v[6:9], v1 offset:1856
	s_wait_loadcnt_dscnt 0x501
	v_mul_f64_e32 v[32:33], v[2:3], v[36:37]
	v_mul_f64_e32 v[36:37], v[4:5], v[36:37]
	v_add_f64_e32 v[28:29], v[30:31], v[28:29]
	v_add_f64_e32 v[26:27], v[26:27], v[38:39]
	s_wait_loadcnt_dscnt 0x400
	v_mul_f64_e32 v[30:31], v[6:7], v[165:166]
	v_mul_f64_e32 v[38:39], v[8:9], v[165:166]
	v_fma_f64 v[32:33], v[4:5], v[34:35], v[32:33]
	v_fma_f64 v[34:35], v[2:3], v[34:35], -v[36:37]
	ds_load_b128 v[2:5], v1 offset:1872
	v_add_f64_e32 v[28:29], v[28:29], v[40:41]
	v_add_f64_e32 v[26:27], v[26:27], v[167:168]
	v_fma_f64 v[30:31], v[8:9], v[163:164], v[30:31]
	v_fma_f64 v[38:39], v[6:7], v[163:164], -v[38:39]
	ds_load_b128 v[6:9], v1 offset:1888
	s_wait_loadcnt_dscnt 0x301
	v_mul_f64_e32 v[36:37], v[2:3], v[12:13]
	v_mul_f64_e32 v[12:13], v[4:5], v[12:13]
	v_add_f64_e32 v[28:29], v[28:29], v[32:33]
	v_add_f64_e32 v[26:27], v[26:27], v[34:35]
	s_wait_loadcnt_dscnt 0x200
	v_mul_f64_e32 v[32:33], v[6:7], v[16:17]
	v_mul_f64_e32 v[16:17], v[8:9], v[16:17]
	v_fma_f64 v[34:35], v[4:5], v[10:11], v[36:37]
	v_fma_f64 v[10:11], v[2:3], v[10:11], -v[12:13]
	ds_load_b128 v[2:5], v1 offset:1904
	v_add_f64_e32 v[12:13], v[26:27], v[38:39]
	v_add_f64_e32 v[26:27], v[28:29], v[30:31]
	s_wait_loadcnt_dscnt 0x100
	v_mul_f64_e32 v[28:29], v[2:3], v[20:21]
	v_mul_f64_e32 v[20:21], v[4:5], v[20:21]
	v_fma_f64 v[8:9], v[8:9], v[14:15], v[32:33]
	v_fma_f64 v[6:7], v[6:7], v[14:15], -v[16:17]
	v_add_f64_e32 v[10:11], v[12:13], v[10:11]
	v_add_f64_e32 v[12:13], v[26:27], v[34:35]
	v_fma_f64 v[4:5], v[4:5], v[18:19], v[28:29]
	v_fma_f64 v[2:3], v[2:3], v[18:19], -v[20:21]
	s_delay_alu instid0(VALU_DEP_4) | instskip(NEXT) | instid1(VALU_DEP_4)
	v_add_f64_e32 v[6:7], v[10:11], v[6:7]
	v_add_f64_e32 v[8:9], v[12:13], v[8:9]
	s_delay_alu instid0(VALU_DEP_2) | instskip(NEXT) | instid1(VALU_DEP_2)
	v_add_f64_e32 v[2:3], v[6:7], v[2:3]
	v_add_f64_e32 v[4:5], v[8:9], v[4:5]
	s_wait_loadcnt 0x0
	s_delay_alu instid0(VALU_DEP_2) | instskip(NEXT) | instid1(VALU_DEP_2)
	v_add_f64_e64 v[2:3], v[22:23], -v[2:3]
	v_add_f64_e64 v[4:5], v[24:25], -v[4:5]
	scratch_store_b128 off, v[2:5], off offset:720
	v_cmpx_lt_u32_e32 43, v0
	s_cbranch_execz .LBB59_287
; %bb.286:
	scratch_load_b128 v[5:8], off, s4
	v_dual_mov_b32 v2, v1 :: v_dual_mov_b32 v3, v1
	v_mov_b32_e32 v4, v1
	scratch_store_b128 off, v[1:4], off offset:704
	s_wait_loadcnt 0x0
	ds_store_b128 v162, v[5:8]
.LBB59_287:
	s_wait_alu 0xfffe
	s_or_b32 exec_lo, exec_lo, s0
	s_wait_storecnt_dscnt 0x0
	s_barrier_signal -1
	s_barrier_wait -1
	global_inv scope:SCOPE_SE
	s_clause 0x7
	scratch_load_b128 v[2:5], off, off offset:720
	scratch_load_b128 v[6:9], off, off offset:736
	;; [unrolled: 1-line block ×8, first 2 shown]
	ds_load_b128 v[34:37], v1 offset:1664
	ds_load_b128 v[163:166], v1 offset:1680
	s_clause 0x1
	scratch_load_b128 v[38:41], off, off offset:848
	scratch_load_b128 v[167:170], off, off offset:864
	s_mov_b32 s0, exec_lo
	s_wait_loadcnt_dscnt 0x901
	v_mul_f64_e32 v[171:172], v[36:37], v[4:5]
	v_mul_f64_e32 v[4:5], v[34:35], v[4:5]
	s_wait_loadcnt_dscnt 0x800
	v_mul_f64_e32 v[173:174], v[163:164], v[8:9]
	v_mul_f64_e32 v[8:9], v[165:166], v[8:9]
	s_delay_alu instid0(VALU_DEP_4) | instskip(NEXT) | instid1(VALU_DEP_4)
	v_fma_f64 v[171:172], v[34:35], v[2:3], -v[171:172]
	v_fma_f64 v[175:176], v[36:37], v[2:3], v[4:5]
	ds_load_b128 v[2:5], v1 offset:1696
	scratch_load_b128 v[34:37], off, off offset:880
	v_fma_f64 v[173:174], v[165:166], v[6:7], v[173:174]
	v_fma_f64 v[179:180], v[163:164], v[6:7], -v[8:9]
	ds_load_b128 v[6:9], v1 offset:1712
	scratch_load_b128 v[163:166], off, off offset:896
	s_wait_loadcnt_dscnt 0x901
	v_mul_f64_e32 v[177:178], v[2:3], v[12:13]
	v_mul_f64_e32 v[12:13], v[4:5], v[12:13]
	s_wait_loadcnt_dscnt 0x800
	v_mul_f64_e32 v[181:182], v[6:7], v[16:17]
	v_mul_f64_e32 v[16:17], v[8:9], v[16:17]
	v_add_f64_e32 v[171:172], 0, v[171:172]
	v_add_f64_e32 v[175:176], 0, v[175:176]
	v_fma_f64 v[177:178], v[4:5], v[10:11], v[177:178]
	v_fma_f64 v[183:184], v[2:3], v[10:11], -v[12:13]
	ds_load_b128 v[2:5], v1 offset:1728
	scratch_load_b128 v[10:13], off, off offset:912
	v_add_f64_e32 v[171:172], v[171:172], v[179:180]
	v_add_f64_e32 v[173:174], v[175:176], v[173:174]
	v_fma_f64 v[179:180], v[8:9], v[14:15], v[181:182]
	v_fma_f64 v[181:182], v[6:7], v[14:15], -v[16:17]
	ds_load_b128 v[6:9], v1 offset:1744
	scratch_load_b128 v[14:17], off, off offset:928
	s_wait_loadcnt_dscnt 0x901
	v_mul_f64_e32 v[175:176], v[2:3], v[20:21]
	v_mul_f64_e32 v[20:21], v[4:5], v[20:21]
	v_add_f64_e32 v[171:172], v[171:172], v[183:184]
	v_add_f64_e32 v[173:174], v[173:174], v[177:178]
	s_wait_loadcnt_dscnt 0x800
	v_mul_f64_e32 v[177:178], v[6:7], v[24:25]
	v_mul_f64_e32 v[24:25], v[8:9], v[24:25]
	v_fma_f64 v[175:176], v[4:5], v[18:19], v[175:176]
	v_fma_f64 v[183:184], v[2:3], v[18:19], -v[20:21]
	ds_load_b128 v[2:5], v1 offset:1760
	scratch_load_b128 v[18:21], off, off offset:944
	v_add_f64_e32 v[171:172], v[171:172], v[181:182]
	v_add_f64_e32 v[173:174], v[173:174], v[179:180]
	v_fma_f64 v[177:178], v[8:9], v[22:23], v[177:178]
	v_fma_f64 v[181:182], v[6:7], v[22:23], -v[24:25]
	ds_load_b128 v[6:9], v1 offset:1776
	s_wait_loadcnt_dscnt 0x801
	v_mul_f64_e32 v[179:180], v[2:3], v[28:29]
	v_mul_f64_e32 v[28:29], v[4:5], v[28:29]
	scratch_load_b128 v[22:25], off, off offset:960
	v_add_f64_e32 v[171:172], v[171:172], v[183:184]
	v_add_f64_e32 v[173:174], v[173:174], v[175:176]
	s_wait_loadcnt_dscnt 0x800
	v_mul_f64_e32 v[175:176], v[6:7], v[32:33]
	v_mul_f64_e32 v[32:33], v[8:9], v[32:33]
	v_fma_f64 v[179:180], v[4:5], v[26:27], v[179:180]
	v_fma_f64 v[26:27], v[2:3], v[26:27], -v[28:29]
	ds_load_b128 v[2:5], v1 offset:1792
	v_add_f64_e32 v[28:29], v[171:172], v[181:182]
	v_add_f64_e32 v[171:172], v[173:174], v[177:178]
	v_fma_f64 v[175:176], v[8:9], v[30:31], v[175:176]
	v_fma_f64 v[30:31], v[6:7], v[30:31], -v[32:33]
	ds_load_b128 v[6:9], v1 offset:1808
	s_wait_loadcnt_dscnt 0x701
	v_mul_f64_e32 v[173:174], v[2:3], v[40:41]
	v_mul_f64_e32 v[40:41], v[4:5], v[40:41]
	v_add_f64_e32 v[26:27], v[28:29], v[26:27]
	v_add_f64_e32 v[28:29], v[171:172], v[179:180]
	s_delay_alu instid0(VALU_DEP_4) | instskip(NEXT) | instid1(VALU_DEP_4)
	v_fma_f64 v[171:172], v[4:5], v[38:39], v[173:174]
	v_fma_f64 v[38:39], v[2:3], v[38:39], -v[40:41]
	ds_load_b128 v[2:5], v1 offset:1824
	v_add_f64_e32 v[30:31], v[26:27], v[30:31]
	v_add_f64_e32 v[40:41], v[28:29], v[175:176]
	scratch_load_b128 v[26:29], off, off offset:704
	s_wait_loadcnt_dscnt 0x701
	v_mul_f64_e32 v[32:33], v[6:7], v[169:170]
	v_mul_f64_e32 v[169:170], v[8:9], v[169:170]
	v_add_f64_e32 v[30:31], v[30:31], v[38:39]
	v_add_f64_e32 v[38:39], v[40:41], v[171:172]
	s_delay_alu instid0(VALU_DEP_4) | instskip(NEXT) | instid1(VALU_DEP_4)
	v_fma_f64 v[32:33], v[8:9], v[167:168], v[32:33]
	v_fma_f64 v[167:168], v[6:7], v[167:168], -v[169:170]
	ds_load_b128 v[6:9], v1 offset:1840
	s_wait_loadcnt_dscnt 0x601
	v_mul_f64_e32 v[173:174], v[2:3], v[36:37]
	v_mul_f64_e32 v[36:37], v[4:5], v[36:37]
	s_wait_loadcnt_dscnt 0x500
	v_mul_f64_e32 v[40:41], v[6:7], v[165:166]
	v_mul_f64_e32 v[165:166], v[8:9], v[165:166]
	v_add_f64_e32 v[32:33], v[38:39], v[32:33]
	v_add_f64_e32 v[30:31], v[30:31], v[167:168]
	v_fma_f64 v[169:170], v[4:5], v[34:35], v[173:174]
	v_fma_f64 v[34:35], v[2:3], v[34:35], -v[36:37]
	ds_load_b128 v[2:5], v1 offset:1856
	v_fma_f64 v[38:39], v[8:9], v[163:164], v[40:41]
	v_fma_f64 v[40:41], v[6:7], v[163:164], -v[165:166]
	ds_load_b128 v[6:9], v1 offset:1872
	s_wait_loadcnt_dscnt 0x401
	v_mul_f64_e32 v[36:37], v[2:3], v[12:13]
	v_mul_f64_e32 v[12:13], v[4:5], v[12:13]
	v_add_f64_e32 v[32:33], v[32:33], v[169:170]
	v_add_f64_e32 v[30:31], v[30:31], v[34:35]
	s_wait_loadcnt_dscnt 0x300
	v_mul_f64_e32 v[34:35], v[6:7], v[16:17]
	v_mul_f64_e32 v[16:17], v[8:9], v[16:17]
	v_fma_f64 v[36:37], v[4:5], v[10:11], v[36:37]
	v_fma_f64 v[10:11], v[2:3], v[10:11], -v[12:13]
	ds_load_b128 v[2:5], v1 offset:1888
	v_add_f64_e32 v[12:13], v[30:31], v[40:41]
	v_add_f64_e32 v[30:31], v[32:33], v[38:39]
	v_fma_f64 v[34:35], v[8:9], v[14:15], v[34:35]
	v_fma_f64 v[14:15], v[6:7], v[14:15], -v[16:17]
	ds_load_b128 v[6:9], v1 offset:1904
	s_wait_loadcnt_dscnt 0x201
	v_mul_f64_e32 v[32:33], v[2:3], v[20:21]
	v_mul_f64_e32 v[20:21], v[4:5], v[20:21]
	s_wait_loadcnt_dscnt 0x100
	v_mul_f64_e32 v[16:17], v[6:7], v[24:25]
	v_mul_f64_e32 v[24:25], v[8:9], v[24:25]
	v_add_f64_e32 v[10:11], v[12:13], v[10:11]
	v_add_f64_e32 v[12:13], v[30:31], v[36:37]
	v_fma_f64 v[4:5], v[4:5], v[18:19], v[32:33]
	v_fma_f64 v[1:2], v[2:3], v[18:19], -v[20:21]
	v_fma_f64 v[8:9], v[8:9], v[22:23], v[16:17]
	v_fma_f64 v[6:7], v[6:7], v[22:23], -v[24:25]
	v_add_f64_e32 v[10:11], v[10:11], v[14:15]
	v_add_f64_e32 v[12:13], v[12:13], v[34:35]
	s_delay_alu instid0(VALU_DEP_2) | instskip(NEXT) | instid1(VALU_DEP_2)
	v_add_f64_e32 v[1:2], v[10:11], v[1:2]
	v_add_f64_e32 v[3:4], v[12:13], v[4:5]
	s_delay_alu instid0(VALU_DEP_2) | instskip(NEXT) | instid1(VALU_DEP_2)
	v_add_f64_e32 v[1:2], v[1:2], v[6:7]
	v_add_f64_e32 v[3:4], v[3:4], v[8:9]
	s_wait_loadcnt 0x0
	s_delay_alu instid0(VALU_DEP_2) | instskip(NEXT) | instid1(VALU_DEP_2)
	v_add_f64_e64 v[1:2], v[26:27], -v[1:2]
	v_add_f64_e64 v[3:4], v[28:29], -v[3:4]
	scratch_store_b128 off, v[1:4], off offset:704
	v_cmpx_lt_u32_e32 42, v0
	s_cbranch_execz .LBB59_289
; %bb.288:
	scratch_load_b128 v[1:4], off, s8
	v_mov_b32_e32 v5, 0
	s_delay_alu instid0(VALU_DEP_1)
	v_dual_mov_b32 v6, v5 :: v_dual_mov_b32 v7, v5
	v_mov_b32_e32 v8, v5
	scratch_store_b128 off, v[5:8], off offset:688
	s_wait_loadcnt 0x0
	ds_store_b128 v162, v[1:4]
.LBB59_289:
	s_wait_alu 0xfffe
	s_or_b32 exec_lo, exec_lo, s0
	s_wait_storecnt_dscnt 0x0
	s_barrier_signal -1
	s_barrier_wait -1
	global_inv scope:SCOPE_SE
	s_clause 0x7
	scratch_load_b128 v[2:5], off, off offset:704
	scratch_load_b128 v[6:9], off, off offset:720
	;; [unrolled: 1-line block ×8, first 2 shown]
	v_mov_b32_e32 v1, 0
	s_clause 0x1
	scratch_load_b128 v[38:41], off, off offset:832
	scratch_load_b128 v[167:170], off, off offset:848
	s_mov_b32 s0, exec_lo
	ds_load_b128 v[34:37], v1 offset:1648
	ds_load_b128 v[163:166], v1 offset:1664
	s_wait_loadcnt_dscnt 0x901
	v_mul_f64_e32 v[171:172], v[36:37], v[4:5]
	v_mul_f64_e32 v[4:5], v[34:35], v[4:5]
	s_wait_loadcnt_dscnt 0x800
	v_mul_f64_e32 v[173:174], v[163:164], v[8:9]
	v_mul_f64_e32 v[8:9], v[165:166], v[8:9]
	s_delay_alu instid0(VALU_DEP_4) | instskip(NEXT) | instid1(VALU_DEP_4)
	v_fma_f64 v[171:172], v[34:35], v[2:3], -v[171:172]
	v_fma_f64 v[175:176], v[36:37], v[2:3], v[4:5]
	ds_load_b128 v[2:5], v1 offset:1680
	scratch_load_b128 v[34:37], off, off offset:864
	v_fma_f64 v[173:174], v[165:166], v[6:7], v[173:174]
	v_fma_f64 v[179:180], v[163:164], v[6:7], -v[8:9]
	ds_load_b128 v[6:9], v1 offset:1696
	scratch_load_b128 v[163:166], off, off offset:880
	s_wait_loadcnt_dscnt 0x901
	v_mul_f64_e32 v[177:178], v[2:3], v[12:13]
	v_mul_f64_e32 v[12:13], v[4:5], v[12:13]
	s_wait_loadcnt_dscnt 0x800
	v_mul_f64_e32 v[181:182], v[6:7], v[16:17]
	v_mul_f64_e32 v[16:17], v[8:9], v[16:17]
	v_add_f64_e32 v[171:172], 0, v[171:172]
	v_add_f64_e32 v[175:176], 0, v[175:176]
	v_fma_f64 v[177:178], v[4:5], v[10:11], v[177:178]
	v_fma_f64 v[183:184], v[2:3], v[10:11], -v[12:13]
	ds_load_b128 v[2:5], v1 offset:1712
	scratch_load_b128 v[10:13], off, off offset:896
	v_add_f64_e32 v[171:172], v[171:172], v[179:180]
	v_add_f64_e32 v[173:174], v[175:176], v[173:174]
	v_fma_f64 v[179:180], v[8:9], v[14:15], v[181:182]
	v_fma_f64 v[181:182], v[6:7], v[14:15], -v[16:17]
	ds_load_b128 v[6:9], v1 offset:1728
	scratch_load_b128 v[14:17], off, off offset:912
	s_wait_loadcnt_dscnt 0x901
	v_mul_f64_e32 v[175:176], v[2:3], v[20:21]
	v_mul_f64_e32 v[20:21], v[4:5], v[20:21]
	v_add_f64_e32 v[171:172], v[171:172], v[183:184]
	v_add_f64_e32 v[173:174], v[173:174], v[177:178]
	s_wait_loadcnt_dscnt 0x800
	v_mul_f64_e32 v[177:178], v[6:7], v[24:25]
	v_mul_f64_e32 v[24:25], v[8:9], v[24:25]
	v_fma_f64 v[175:176], v[4:5], v[18:19], v[175:176]
	v_fma_f64 v[183:184], v[2:3], v[18:19], -v[20:21]
	ds_load_b128 v[2:5], v1 offset:1744
	scratch_load_b128 v[18:21], off, off offset:928
	v_add_f64_e32 v[171:172], v[171:172], v[181:182]
	v_add_f64_e32 v[173:174], v[173:174], v[179:180]
	v_fma_f64 v[177:178], v[8:9], v[22:23], v[177:178]
	v_fma_f64 v[181:182], v[6:7], v[22:23], -v[24:25]
	ds_load_b128 v[6:9], v1 offset:1760
	s_wait_loadcnt_dscnt 0x801
	v_mul_f64_e32 v[179:180], v[2:3], v[28:29]
	v_mul_f64_e32 v[28:29], v[4:5], v[28:29]
	scratch_load_b128 v[22:25], off, off offset:944
	v_add_f64_e32 v[171:172], v[171:172], v[183:184]
	v_add_f64_e32 v[173:174], v[173:174], v[175:176]
	s_wait_loadcnt_dscnt 0x800
	v_mul_f64_e32 v[175:176], v[6:7], v[32:33]
	v_mul_f64_e32 v[32:33], v[8:9], v[32:33]
	v_fma_f64 v[179:180], v[4:5], v[26:27], v[179:180]
	v_fma_f64 v[183:184], v[2:3], v[26:27], -v[28:29]
	ds_load_b128 v[2:5], v1 offset:1776
	scratch_load_b128 v[26:29], off, off offset:960
	v_add_f64_e32 v[171:172], v[171:172], v[181:182]
	v_add_f64_e32 v[173:174], v[173:174], v[177:178]
	v_fma_f64 v[175:176], v[8:9], v[30:31], v[175:176]
	v_fma_f64 v[30:31], v[6:7], v[30:31], -v[32:33]
	ds_load_b128 v[6:9], v1 offset:1792
	s_wait_loadcnt_dscnt 0x801
	v_mul_f64_e32 v[177:178], v[2:3], v[40:41]
	v_mul_f64_e32 v[40:41], v[4:5], v[40:41]
	v_add_f64_e32 v[32:33], v[171:172], v[183:184]
	v_add_f64_e32 v[171:172], v[173:174], v[179:180]
	s_wait_loadcnt_dscnt 0x700
	v_mul_f64_e32 v[173:174], v[6:7], v[169:170]
	v_mul_f64_e32 v[169:170], v[8:9], v[169:170]
	v_fma_f64 v[177:178], v[4:5], v[38:39], v[177:178]
	v_fma_f64 v[38:39], v[2:3], v[38:39], -v[40:41]
	ds_load_b128 v[2:5], v1 offset:1808
	v_add_f64_e32 v[30:31], v[32:33], v[30:31]
	v_add_f64_e32 v[32:33], v[171:172], v[175:176]
	v_fma_f64 v[171:172], v[8:9], v[167:168], v[173:174]
	v_fma_f64 v[167:168], v[6:7], v[167:168], -v[169:170]
	ds_load_b128 v[6:9], v1 offset:1824
	s_wait_loadcnt_dscnt 0x500
	v_mul_f64_e32 v[173:174], v[6:7], v[165:166]
	v_mul_f64_e32 v[165:166], v[8:9], v[165:166]
	v_add_f64_e32 v[38:39], v[30:31], v[38:39]
	v_add_f64_e32 v[169:170], v[32:33], v[177:178]
	scratch_load_b128 v[30:33], off, off offset:688
	v_mul_f64_e32 v[40:41], v[2:3], v[36:37]
	v_mul_f64_e32 v[36:37], v[4:5], v[36:37]
	s_delay_alu instid0(VALU_DEP_2) | instskip(NEXT) | instid1(VALU_DEP_2)
	v_fma_f64 v[40:41], v[4:5], v[34:35], v[40:41]
	v_fma_f64 v[34:35], v[2:3], v[34:35], -v[36:37]
	v_add_f64_e32 v[36:37], v[38:39], v[167:168]
	v_add_f64_e32 v[38:39], v[169:170], v[171:172]
	ds_load_b128 v[2:5], v1 offset:1840
	v_fma_f64 v[169:170], v[8:9], v[163:164], v[173:174]
	v_fma_f64 v[163:164], v[6:7], v[163:164], -v[165:166]
	ds_load_b128 v[6:9], v1 offset:1856
	s_wait_loadcnt_dscnt 0x501
	v_mul_f64_e32 v[167:168], v[2:3], v[12:13]
	v_mul_f64_e32 v[12:13], v[4:5], v[12:13]
	v_add_f64_e32 v[34:35], v[36:37], v[34:35]
	v_add_f64_e32 v[36:37], v[38:39], v[40:41]
	s_wait_loadcnt_dscnt 0x400
	v_mul_f64_e32 v[38:39], v[6:7], v[16:17]
	v_mul_f64_e32 v[16:17], v[8:9], v[16:17]
	v_fma_f64 v[40:41], v[4:5], v[10:11], v[167:168]
	v_fma_f64 v[10:11], v[2:3], v[10:11], -v[12:13]
	ds_load_b128 v[2:5], v1 offset:1872
	v_add_f64_e32 v[12:13], v[34:35], v[163:164]
	v_add_f64_e32 v[34:35], v[36:37], v[169:170]
	v_fma_f64 v[38:39], v[8:9], v[14:15], v[38:39]
	v_fma_f64 v[14:15], v[6:7], v[14:15], -v[16:17]
	ds_load_b128 v[6:9], v1 offset:1888
	s_wait_loadcnt_dscnt 0x301
	v_mul_f64_e32 v[36:37], v[2:3], v[20:21]
	v_mul_f64_e32 v[20:21], v[4:5], v[20:21]
	s_wait_loadcnt_dscnt 0x200
	v_mul_f64_e32 v[16:17], v[6:7], v[24:25]
	v_mul_f64_e32 v[24:25], v[8:9], v[24:25]
	v_add_f64_e32 v[10:11], v[12:13], v[10:11]
	v_add_f64_e32 v[12:13], v[34:35], v[40:41]
	v_fma_f64 v[34:35], v[4:5], v[18:19], v[36:37]
	v_fma_f64 v[18:19], v[2:3], v[18:19], -v[20:21]
	ds_load_b128 v[2:5], v1 offset:1904
	v_fma_f64 v[8:9], v[8:9], v[22:23], v[16:17]
	v_fma_f64 v[6:7], v[6:7], v[22:23], -v[24:25]
	s_wait_loadcnt_dscnt 0x100
	v_mul_f64_e32 v[20:21], v[4:5], v[28:29]
	v_add_f64_e32 v[10:11], v[10:11], v[14:15]
	v_add_f64_e32 v[12:13], v[12:13], v[38:39]
	v_mul_f64_e32 v[14:15], v[2:3], v[28:29]
	s_delay_alu instid0(VALU_DEP_4) | instskip(NEXT) | instid1(VALU_DEP_4)
	v_fma_f64 v[2:3], v[2:3], v[26:27], -v[20:21]
	v_add_f64_e32 v[10:11], v[10:11], v[18:19]
	s_delay_alu instid0(VALU_DEP_4) | instskip(NEXT) | instid1(VALU_DEP_4)
	v_add_f64_e32 v[12:13], v[12:13], v[34:35]
	v_fma_f64 v[4:5], v[4:5], v[26:27], v[14:15]
	s_delay_alu instid0(VALU_DEP_3) | instskip(NEXT) | instid1(VALU_DEP_3)
	v_add_f64_e32 v[6:7], v[10:11], v[6:7]
	v_add_f64_e32 v[8:9], v[12:13], v[8:9]
	s_delay_alu instid0(VALU_DEP_2) | instskip(NEXT) | instid1(VALU_DEP_2)
	v_add_f64_e32 v[2:3], v[6:7], v[2:3]
	v_add_f64_e32 v[4:5], v[8:9], v[4:5]
	s_wait_loadcnt 0x0
	s_delay_alu instid0(VALU_DEP_2) | instskip(NEXT) | instid1(VALU_DEP_2)
	v_add_f64_e64 v[2:3], v[30:31], -v[2:3]
	v_add_f64_e64 v[4:5], v[32:33], -v[4:5]
	scratch_store_b128 off, v[2:5], off offset:688
	v_cmpx_lt_u32_e32 41, v0
	s_cbranch_execz .LBB59_291
; %bb.290:
	scratch_load_b128 v[5:8], off, s5
	v_dual_mov_b32 v2, v1 :: v_dual_mov_b32 v3, v1
	v_mov_b32_e32 v4, v1
	scratch_store_b128 off, v[1:4], off offset:672
	s_wait_loadcnt 0x0
	ds_store_b128 v162, v[5:8]
.LBB59_291:
	s_wait_alu 0xfffe
	s_or_b32 exec_lo, exec_lo, s0
	s_wait_storecnt_dscnt 0x0
	s_barrier_signal -1
	s_barrier_wait -1
	global_inv scope:SCOPE_SE
	s_clause 0x7
	scratch_load_b128 v[2:5], off, off offset:688
	scratch_load_b128 v[6:9], off, off offset:704
	;; [unrolled: 1-line block ×8, first 2 shown]
	ds_load_b128 v[34:37], v1 offset:1632
	ds_load_b128 v[163:166], v1 offset:1648
	s_clause 0x1
	scratch_load_b128 v[38:41], off, off offset:816
	scratch_load_b128 v[167:170], off, off offset:832
	s_mov_b32 s0, exec_lo
	s_wait_loadcnt_dscnt 0x901
	v_mul_f64_e32 v[171:172], v[36:37], v[4:5]
	v_mul_f64_e32 v[4:5], v[34:35], v[4:5]
	s_wait_loadcnt_dscnt 0x800
	v_mul_f64_e32 v[173:174], v[163:164], v[8:9]
	v_mul_f64_e32 v[8:9], v[165:166], v[8:9]
	s_delay_alu instid0(VALU_DEP_4) | instskip(NEXT) | instid1(VALU_DEP_4)
	v_fma_f64 v[171:172], v[34:35], v[2:3], -v[171:172]
	v_fma_f64 v[175:176], v[36:37], v[2:3], v[4:5]
	scratch_load_b128 v[34:37], off, off offset:848
	ds_load_b128 v[2:5], v1 offset:1664
	v_fma_f64 v[173:174], v[165:166], v[6:7], v[173:174]
	v_fma_f64 v[179:180], v[163:164], v[6:7], -v[8:9]
	ds_load_b128 v[6:9], v1 offset:1680
	scratch_load_b128 v[163:166], off, off offset:864
	s_wait_loadcnt_dscnt 0x901
	v_mul_f64_e32 v[177:178], v[2:3], v[12:13]
	v_mul_f64_e32 v[12:13], v[4:5], v[12:13]
	s_wait_loadcnt_dscnt 0x800
	v_mul_f64_e32 v[181:182], v[6:7], v[16:17]
	v_mul_f64_e32 v[16:17], v[8:9], v[16:17]
	v_add_f64_e32 v[171:172], 0, v[171:172]
	v_add_f64_e32 v[175:176], 0, v[175:176]
	v_fma_f64 v[177:178], v[4:5], v[10:11], v[177:178]
	v_fma_f64 v[183:184], v[2:3], v[10:11], -v[12:13]
	ds_load_b128 v[2:5], v1 offset:1696
	scratch_load_b128 v[10:13], off, off offset:880
	v_add_f64_e32 v[171:172], v[171:172], v[179:180]
	v_add_f64_e32 v[173:174], v[175:176], v[173:174]
	v_fma_f64 v[179:180], v[8:9], v[14:15], v[181:182]
	v_fma_f64 v[181:182], v[6:7], v[14:15], -v[16:17]
	ds_load_b128 v[6:9], v1 offset:1712
	scratch_load_b128 v[14:17], off, off offset:896
	s_wait_loadcnt_dscnt 0x901
	v_mul_f64_e32 v[175:176], v[2:3], v[20:21]
	v_mul_f64_e32 v[20:21], v[4:5], v[20:21]
	v_add_f64_e32 v[171:172], v[171:172], v[183:184]
	v_add_f64_e32 v[173:174], v[173:174], v[177:178]
	s_wait_loadcnt_dscnt 0x800
	v_mul_f64_e32 v[177:178], v[6:7], v[24:25]
	v_mul_f64_e32 v[24:25], v[8:9], v[24:25]
	v_fma_f64 v[175:176], v[4:5], v[18:19], v[175:176]
	v_fma_f64 v[183:184], v[2:3], v[18:19], -v[20:21]
	ds_load_b128 v[2:5], v1 offset:1728
	scratch_load_b128 v[18:21], off, off offset:912
	v_add_f64_e32 v[171:172], v[171:172], v[181:182]
	v_add_f64_e32 v[173:174], v[173:174], v[179:180]
	v_fma_f64 v[177:178], v[8:9], v[22:23], v[177:178]
	v_fma_f64 v[181:182], v[6:7], v[22:23], -v[24:25]
	ds_load_b128 v[6:9], v1 offset:1744
	s_wait_loadcnt_dscnt 0x801
	v_mul_f64_e32 v[179:180], v[2:3], v[28:29]
	v_mul_f64_e32 v[28:29], v[4:5], v[28:29]
	scratch_load_b128 v[22:25], off, off offset:928
	v_add_f64_e32 v[171:172], v[171:172], v[183:184]
	v_add_f64_e32 v[173:174], v[173:174], v[175:176]
	s_wait_loadcnt_dscnt 0x800
	v_mul_f64_e32 v[175:176], v[6:7], v[32:33]
	v_mul_f64_e32 v[32:33], v[8:9], v[32:33]
	v_fma_f64 v[179:180], v[4:5], v[26:27], v[179:180]
	v_fma_f64 v[183:184], v[2:3], v[26:27], -v[28:29]
	ds_load_b128 v[2:5], v1 offset:1760
	scratch_load_b128 v[26:29], off, off offset:944
	v_add_f64_e32 v[171:172], v[171:172], v[181:182]
	v_add_f64_e32 v[173:174], v[173:174], v[177:178]
	v_fma_f64 v[175:176], v[8:9], v[30:31], v[175:176]
	v_fma_f64 v[181:182], v[6:7], v[30:31], -v[32:33]
	ds_load_b128 v[6:9], v1 offset:1776
	s_wait_loadcnt_dscnt 0x801
	v_mul_f64_e32 v[177:178], v[2:3], v[40:41]
	v_mul_f64_e32 v[40:41], v[4:5], v[40:41]
	scratch_load_b128 v[30:33], off, off offset:960
	v_add_f64_e32 v[171:172], v[171:172], v[183:184]
	v_add_f64_e32 v[173:174], v[173:174], v[179:180]
	v_fma_f64 v[177:178], v[4:5], v[38:39], v[177:178]
	v_fma_f64 v[38:39], v[2:3], v[38:39], -v[40:41]
	ds_load_b128 v[2:5], v1 offset:1792
	v_add_f64_e32 v[40:41], v[171:172], v[181:182]
	v_add_f64_e32 v[171:172], v[173:174], v[175:176]
	s_wait_loadcnt_dscnt 0x700
	v_mul_f64_e32 v[173:174], v[2:3], v[36:37]
	v_mul_f64_e32 v[36:37], v[4:5], v[36:37]
	s_delay_alu instid0(VALU_DEP_4) | instskip(NEXT) | instid1(VALU_DEP_4)
	v_add_f64_e32 v[38:39], v[40:41], v[38:39]
	v_add_f64_e32 v[40:41], v[171:172], v[177:178]
	s_delay_alu instid0(VALU_DEP_4) | instskip(NEXT) | instid1(VALU_DEP_4)
	v_fma_f64 v[171:172], v[4:5], v[34:35], v[173:174]
	v_fma_f64 v[173:174], v[2:3], v[34:35], -v[36:37]
	scratch_load_b128 v[34:37], off, off offset:672
	v_mul_f64_e32 v[179:180], v[6:7], v[169:170]
	v_mul_f64_e32 v[169:170], v[8:9], v[169:170]
	ds_load_b128 v[2:5], v1 offset:1824
	v_fma_f64 v[175:176], v[8:9], v[167:168], v[179:180]
	v_fma_f64 v[167:168], v[6:7], v[167:168], -v[169:170]
	ds_load_b128 v[6:9], v1 offset:1808
	s_wait_loadcnt_dscnt 0x700
	v_mul_f64_e32 v[169:170], v[6:7], v[165:166]
	v_mul_f64_e32 v[165:166], v[8:9], v[165:166]
	v_add_f64_e32 v[40:41], v[40:41], v[175:176]
	v_add_f64_e32 v[38:39], v[38:39], v[167:168]
	s_wait_loadcnt 0x6
	v_mul_f64_e32 v[167:168], v[2:3], v[12:13]
	v_mul_f64_e32 v[12:13], v[4:5], v[12:13]
	v_fma_f64 v[169:170], v[8:9], v[163:164], v[169:170]
	v_fma_f64 v[163:164], v[6:7], v[163:164], -v[165:166]
	ds_load_b128 v[6:9], v1 offset:1840
	v_add_f64_e32 v[40:41], v[40:41], v[171:172]
	v_add_f64_e32 v[38:39], v[38:39], v[173:174]
	v_fma_f64 v[167:168], v[4:5], v[10:11], v[167:168]
	v_fma_f64 v[10:11], v[2:3], v[10:11], -v[12:13]
	ds_load_b128 v[2:5], v1 offset:1856
	s_wait_loadcnt_dscnt 0x501
	v_mul_f64_e32 v[165:166], v[6:7], v[16:17]
	v_mul_f64_e32 v[16:17], v[8:9], v[16:17]
	v_add_f64_e32 v[12:13], v[38:39], v[163:164]
	v_add_f64_e32 v[38:39], v[40:41], v[169:170]
	s_wait_loadcnt_dscnt 0x400
	v_mul_f64_e32 v[40:41], v[2:3], v[20:21]
	v_mul_f64_e32 v[20:21], v[4:5], v[20:21]
	v_fma_f64 v[163:164], v[8:9], v[14:15], v[165:166]
	v_fma_f64 v[14:15], v[6:7], v[14:15], -v[16:17]
	ds_load_b128 v[6:9], v1 offset:1872
	v_add_f64_e32 v[10:11], v[12:13], v[10:11]
	v_add_f64_e32 v[12:13], v[38:39], v[167:168]
	v_fma_f64 v[38:39], v[4:5], v[18:19], v[40:41]
	v_fma_f64 v[18:19], v[2:3], v[18:19], -v[20:21]
	ds_load_b128 v[2:5], v1 offset:1888
	s_wait_loadcnt_dscnt 0x301
	v_mul_f64_e32 v[16:17], v[6:7], v[24:25]
	v_mul_f64_e32 v[24:25], v[8:9], v[24:25]
	s_wait_loadcnt_dscnt 0x200
	v_mul_f64_e32 v[20:21], v[4:5], v[28:29]
	v_add_f64_e32 v[10:11], v[10:11], v[14:15]
	v_add_f64_e32 v[12:13], v[12:13], v[163:164]
	v_mul_f64_e32 v[14:15], v[2:3], v[28:29]
	v_fma_f64 v[16:17], v[8:9], v[22:23], v[16:17]
	v_fma_f64 v[22:23], v[6:7], v[22:23], -v[24:25]
	ds_load_b128 v[6:9], v1 offset:1904
	v_fma_f64 v[1:2], v[2:3], v[26:27], -v[20:21]
	s_wait_loadcnt_dscnt 0x100
	v_mul_f64_e32 v[24:25], v[8:9], v[32:33]
	v_add_f64_e32 v[10:11], v[10:11], v[18:19]
	v_add_f64_e32 v[12:13], v[12:13], v[38:39]
	v_mul_f64_e32 v[18:19], v[6:7], v[32:33]
	v_fma_f64 v[4:5], v[4:5], v[26:27], v[14:15]
	v_fma_f64 v[6:7], v[6:7], v[30:31], -v[24:25]
	v_add_f64_e32 v[10:11], v[10:11], v[22:23]
	v_add_f64_e32 v[12:13], v[12:13], v[16:17]
	v_fma_f64 v[8:9], v[8:9], v[30:31], v[18:19]
	s_delay_alu instid0(VALU_DEP_3) | instskip(NEXT) | instid1(VALU_DEP_3)
	v_add_f64_e32 v[1:2], v[10:11], v[1:2]
	v_add_f64_e32 v[3:4], v[12:13], v[4:5]
	s_delay_alu instid0(VALU_DEP_2) | instskip(NEXT) | instid1(VALU_DEP_2)
	v_add_f64_e32 v[1:2], v[1:2], v[6:7]
	v_add_f64_e32 v[3:4], v[3:4], v[8:9]
	s_wait_loadcnt 0x0
	s_delay_alu instid0(VALU_DEP_2) | instskip(NEXT) | instid1(VALU_DEP_2)
	v_add_f64_e64 v[1:2], v[34:35], -v[1:2]
	v_add_f64_e64 v[3:4], v[36:37], -v[3:4]
	scratch_store_b128 off, v[1:4], off offset:672
	v_cmpx_lt_u32_e32 40, v0
	s_cbranch_execz .LBB59_293
; %bb.292:
	scratch_load_b128 v[1:4], off, s10
	v_mov_b32_e32 v5, 0
	s_delay_alu instid0(VALU_DEP_1)
	v_dual_mov_b32 v6, v5 :: v_dual_mov_b32 v7, v5
	v_mov_b32_e32 v8, v5
	scratch_store_b128 off, v[5:8], off offset:656
	s_wait_loadcnt 0x0
	ds_store_b128 v162, v[1:4]
.LBB59_293:
	s_wait_alu 0xfffe
	s_or_b32 exec_lo, exec_lo, s0
	s_wait_storecnt_dscnt 0x0
	s_barrier_signal -1
	s_barrier_wait -1
	global_inv scope:SCOPE_SE
	s_clause 0x7
	scratch_load_b128 v[2:5], off, off offset:672
	scratch_load_b128 v[6:9], off, off offset:688
	scratch_load_b128 v[10:13], off, off offset:704
	scratch_load_b128 v[14:17], off, off offset:720
	scratch_load_b128 v[18:21], off, off offset:736
	scratch_load_b128 v[22:25], off, off offset:752
	scratch_load_b128 v[26:29], off, off offset:768
	scratch_load_b128 v[30:33], off, off offset:784
	v_mov_b32_e32 v1, 0
	s_clause 0x1
	scratch_load_b128 v[38:41], off, off offset:800
	scratch_load_b128 v[167:170], off, off offset:816
	s_mov_b32 s0, exec_lo
	ds_load_b128 v[34:37], v1 offset:1616
	ds_load_b128 v[163:166], v1 offset:1632
	s_wait_loadcnt_dscnt 0x901
	v_mul_f64_e32 v[171:172], v[36:37], v[4:5]
	v_mul_f64_e32 v[4:5], v[34:35], v[4:5]
	s_wait_loadcnt_dscnt 0x800
	v_mul_f64_e32 v[173:174], v[163:164], v[8:9]
	v_mul_f64_e32 v[8:9], v[165:166], v[8:9]
	s_delay_alu instid0(VALU_DEP_4) | instskip(NEXT) | instid1(VALU_DEP_4)
	v_fma_f64 v[171:172], v[34:35], v[2:3], -v[171:172]
	v_fma_f64 v[175:176], v[36:37], v[2:3], v[4:5]
	ds_load_b128 v[2:5], v1 offset:1648
	scratch_load_b128 v[34:37], off, off offset:832
	v_fma_f64 v[173:174], v[165:166], v[6:7], v[173:174]
	v_fma_f64 v[179:180], v[163:164], v[6:7], -v[8:9]
	ds_load_b128 v[6:9], v1 offset:1664
	scratch_load_b128 v[163:166], off, off offset:848
	s_wait_loadcnt_dscnt 0x901
	v_mul_f64_e32 v[177:178], v[2:3], v[12:13]
	v_mul_f64_e32 v[12:13], v[4:5], v[12:13]
	s_wait_loadcnt_dscnt 0x800
	v_mul_f64_e32 v[181:182], v[6:7], v[16:17]
	v_mul_f64_e32 v[16:17], v[8:9], v[16:17]
	v_add_f64_e32 v[171:172], 0, v[171:172]
	v_add_f64_e32 v[175:176], 0, v[175:176]
	v_fma_f64 v[177:178], v[4:5], v[10:11], v[177:178]
	v_fma_f64 v[183:184], v[2:3], v[10:11], -v[12:13]
	ds_load_b128 v[2:5], v1 offset:1680
	scratch_load_b128 v[10:13], off, off offset:864
	v_add_f64_e32 v[171:172], v[171:172], v[179:180]
	v_add_f64_e32 v[173:174], v[175:176], v[173:174]
	v_fma_f64 v[179:180], v[8:9], v[14:15], v[181:182]
	v_fma_f64 v[181:182], v[6:7], v[14:15], -v[16:17]
	ds_load_b128 v[6:9], v1 offset:1696
	scratch_load_b128 v[14:17], off, off offset:880
	s_wait_loadcnt_dscnt 0x901
	v_mul_f64_e32 v[175:176], v[2:3], v[20:21]
	v_mul_f64_e32 v[20:21], v[4:5], v[20:21]
	v_add_f64_e32 v[171:172], v[171:172], v[183:184]
	v_add_f64_e32 v[173:174], v[173:174], v[177:178]
	s_wait_loadcnt_dscnt 0x800
	v_mul_f64_e32 v[177:178], v[6:7], v[24:25]
	v_mul_f64_e32 v[24:25], v[8:9], v[24:25]
	v_fma_f64 v[175:176], v[4:5], v[18:19], v[175:176]
	v_fma_f64 v[183:184], v[2:3], v[18:19], -v[20:21]
	ds_load_b128 v[2:5], v1 offset:1712
	scratch_load_b128 v[18:21], off, off offset:896
	v_add_f64_e32 v[171:172], v[171:172], v[181:182]
	v_add_f64_e32 v[173:174], v[173:174], v[179:180]
	v_fma_f64 v[177:178], v[8:9], v[22:23], v[177:178]
	v_fma_f64 v[181:182], v[6:7], v[22:23], -v[24:25]
	ds_load_b128 v[6:9], v1 offset:1728
	s_wait_loadcnt_dscnt 0x801
	v_mul_f64_e32 v[179:180], v[2:3], v[28:29]
	v_mul_f64_e32 v[28:29], v[4:5], v[28:29]
	scratch_load_b128 v[22:25], off, off offset:912
	v_add_f64_e32 v[171:172], v[171:172], v[183:184]
	v_add_f64_e32 v[173:174], v[173:174], v[175:176]
	s_wait_loadcnt_dscnt 0x800
	v_mul_f64_e32 v[175:176], v[6:7], v[32:33]
	v_mul_f64_e32 v[32:33], v[8:9], v[32:33]
	v_fma_f64 v[179:180], v[4:5], v[26:27], v[179:180]
	v_fma_f64 v[183:184], v[2:3], v[26:27], -v[28:29]
	ds_load_b128 v[2:5], v1 offset:1744
	scratch_load_b128 v[26:29], off, off offset:928
	v_add_f64_e32 v[171:172], v[171:172], v[181:182]
	v_add_f64_e32 v[173:174], v[173:174], v[177:178]
	v_fma_f64 v[175:176], v[8:9], v[30:31], v[175:176]
	v_fma_f64 v[181:182], v[6:7], v[30:31], -v[32:33]
	ds_load_b128 v[6:9], v1 offset:1760
	s_wait_loadcnt_dscnt 0x801
	v_mul_f64_e32 v[177:178], v[2:3], v[40:41]
	v_mul_f64_e32 v[40:41], v[4:5], v[40:41]
	scratch_load_b128 v[30:33], off, off offset:944
	v_add_f64_e32 v[171:172], v[171:172], v[183:184]
	v_add_f64_e32 v[173:174], v[173:174], v[179:180]
	s_wait_loadcnt_dscnt 0x800
	v_mul_f64_e32 v[179:180], v[6:7], v[169:170]
	v_mul_f64_e32 v[169:170], v[8:9], v[169:170]
	v_fma_f64 v[177:178], v[4:5], v[38:39], v[177:178]
	v_fma_f64 v[183:184], v[2:3], v[38:39], -v[40:41]
	ds_load_b128 v[2:5], v1 offset:1776
	scratch_load_b128 v[38:41], off, off offset:960
	v_add_f64_e32 v[171:172], v[171:172], v[181:182]
	v_add_f64_e32 v[173:174], v[173:174], v[175:176]
	v_fma_f64 v[179:180], v[8:9], v[167:168], v[179:180]
	v_fma_f64 v[167:168], v[6:7], v[167:168], -v[169:170]
	ds_load_b128 v[6:9], v1 offset:1792
	s_wait_loadcnt_dscnt 0x801
	v_mul_f64_e32 v[175:176], v[2:3], v[36:37]
	v_mul_f64_e32 v[36:37], v[4:5], v[36:37]
	v_add_f64_e32 v[169:170], v[171:172], v[183:184]
	v_add_f64_e32 v[171:172], v[173:174], v[177:178]
	s_wait_loadcnt_dscnt 0x700
	v_mul_f64_e32 v[173:174], v[6:7], v[165:166]
	v_mul_f64_e32 v[165:166], v[8:9], v[165:166]
	v_fma_f64 v[175:176], v[4:5], v[34:35], v[175:176]
	v_fma_f64 v[34:35], v[2:3], v[34:35], -v[36:37]
	ds_load_b128 v[2:5], v1 offset:1808
	v_add_f64_e32 v[36:37], v[169:170], v[167:168]
	v_add_f64_e32 v[167:168], v[171:172], v[179:180]
	v_fma_f64 v[171:172], v[8:9], v[163:164], v[173:174]
	v_fma_f64 v[163:164], v[6:7], v[163:164], -v[165:166]
	ds_load_b128 v[6:9], v1 offset:1824
	s_wait_loadcnt_dscnt 0x500
	v_mul_f64_e32 v[173:174], v[6:7], v[16:17]
	v_mul_f64_e32 v[16:17], v[8:9], v[16:17]
	v_add_f64_e32 v[165:166], v[36:37], v[34:35]
	v_add_f64_e32 v[167:168], v[167:168], v[175:176]
	scratch_load_b128 v[34:37], off, off offset:656
	v_mul_f64_e32 v[169:170], v[2:3], v[12:13]
	v_mul_f64_e32 v[12:13], v[4:5], v[12:13]
	s_delay_alu instid0(VALU_DEP_2) | instskip(NEXT) | instid1(VALU_DEP_2)
	v_fma_f64 v[169:170], v[4:5], v[10:11], v[169:170]
	v_fma_f64 v[10:11], v[2:3], v[10:11], -v[12:13]
	v_add_f64_e32 v[12:13], v[165:166], v[163:164]
	v_add_f64_e32 v[163:164], v[167:168], v[171:172]
	ds_load_b128 v[2:5], v1 offset:1840
	v_fma_f64 v[167:168], v[8:9], v[14:15], v[173:174]
	v_fma_f64 v[14:15], v[6:7], v[14:15], -v[16:17]
	ds_load_b128 v[6:9], v1 offset:1856
	s_wait_loadcnt_dscnt 0x501
	v_mul_f64_e32 v[165:166], v[2:3], v[20:21]
	v_mul_f64_e32 v[20:21], v[4:5], v[20:21]
	s_wait_loadcnt_dscnt 0x400
	v_mul_f64_e32 v[16:17], v[6:7], v[24:25]
	v_mul_f64_e32 v[24:25], v[8:9], v[24:25]
	v_add_f64_e32 v[10:11], v[12:13], v[10:11]
	v_add_f64_e32 v[12:13], v[163:164], v[169:170]
	v_fma_f64 v[163:164], v[4:5], v[18:19], v[165:166]
	v_fma_f64 v[18:19], v[2:3], v[18:19], -v[20:21]
	ds_load_b128 v[2:5], v1 offset:1872
	v_fma_f64 v[16:17], v[8:9], v[22:23], v[16:17]
	v_fma_f64 v[22:23], v[6:7], v[22:23], -v[24:25]
	ds_load_b128 v[6:9], v1 offset:1888
	v_add_f64_e32 v[10:11], v[10:11], v[14:15]
	v_add_f64_e32 v[12:13], v[12:13], v[167:168]
	s_wait_loadcnt_dscnt 0x301
	v_mul_f64_e32 v[14:15], v[2:3], v[28:29]
	v_mul_f64_e32 v[20:21], v[4:5], v[28:29]
	s_wait_loadcnt_dscnt 0x200
	v_mul_f64_e32 v[24:25], v[8:9], v[32:33]
	v_add_f64_e32 v[10:11], v[10:11], v[18:19]
	v_add_f64_e32 v[12:13], v[12:13], v[163:164]
	v_mul_f64_e32 v[18:19], v[6:7], v[32:33]
	v_fma_f64 v[14:15], v[4:5], v[26:27], v[14:15]
	v_fma_f64 v[20:21], v[2:3], v[26:27], -v[20:21]
	ds_load_b128 v[2:5], v1 offset:1904
	v_fma_f64 v[6:7], v[6:7], v[30:31], -v[24:25]
	v_add_f64_e32 v[10:11], v[10:11], v[22:23]
	v_add_f64_e32 v[12:13], v[12:13], v[16:17]
	s_wait_loadcnt_dscnt 0x100
	v_mul_f64_e32 v[16:17], v[2:3], v[40:41]
	v_mul_f64_e32 v[22:23], v[4:5], v[40:41]
	v_fma_f64 v[8:9], v[8:9], v[30:31], v[18:19]
	v_add_f64_e32 v[10:11], v[10:11], v[20:21]
	v_add_f64_e32 v[12:13], v[12:13], v[14:15]
	v_fma_f64 v[4:5], v[4:5], v[38:39], v[16:17]
	v_fma_f64 v[2:3], v[2:3], v[38:39], -v[22:23]
	s_delay_alu instid0(VALU_DEP_4) | instskip(NEXT) | instid1(VALU_DEP_4)
	v_add_f64_e32 v[6:7], v[10:11], v[6:7]
	v_add_f64_e32 v[8:9], v[12:13], v[8:9]
	s_delay_alu instid0(VALU_DEP_2) | instskip(NEXT) | instid1(VALU_DEP_2)
	v_add_f64_e32 v[2:3], v[6:7], v[2:3]
	v_add_f64_e32 v[4:5], v[8:9], v[4:5]
	s_wait_loadcnt 0x0
	s_delay_alu instid0(VALU_DEP_2) | instskip(NEXT) | instid1(VALU_DEP_2)
	v_add_f64_e64 v[2:3], v[34:35], -v[2:3]
	v_add_f64_e64 v[4:5], v[36:37], -v[4:5]
	scratch_store_b128 off, v[2:5], off offset:656
	v_cmpx_lt_u32_e32 39, v0
	s_cbranch_execz .LBB59_295
; %bb.294:
	scratch_load_b128 v[5:8], off, s9
	v_dual_mov_b32 v2, v1 :: v_dual_mov_b32 v3, v1
	v_mov_b32_e32 v4, v1
	scratch_store_b128 off, v[1:4], off offset:640
	s_wait_loadcnt 0x0
	ds_store_b128 v162, v[5:8]
.LBB59_295:
	s_wait_alu 0xfffe
	s_or_b32 exec_lo, exec_lo, s0
	s_wait_storecnt_dscnt 0x0
	s_barrier_signal -1
	s_barrier_wait -1
	global_inv scope:SCOPE_SE
	s_clause 0x7
	scratch_load_b128 v[2:5], off, off offset:656
	scratch_load_b128 v[6:9], off, off offset:672
	;; [unrolled: 1-line block ×8, first 2 shown]
	ds_load_b128 v[34:37], v1 offset:1600
	ds_load_b128 v[163:166], v1 offset:1616
	s_clause 0x1
	scratch_load_b128 v[38:41], off, off offset:784
	scratch_load_b128 v[167:170], off, off offset:800
	s_mov_b32 s0, exec_lo
	s_wait_loadcnt_dscnt 0x901
	v_mul_f64_e32 v[171:172], v[36:37], v[4:5]
	v_mul_f64_e32 v[4:5], v[34:35], v[4:5]
	s_wait_loadcnt_dscnt 0x800
	v_mul_f64_e32 v[173:174], v[163:164], v[8:9]
	v_mul_f64_e32 v[8:9], v[165:166], v[8:9]
	s_delay_alu instid0(VALU_DEP_4) | instskip(NEXT) | instid1(VALU_DEP_4)
	v_fma_f64 v[171:172], v[34:35], v[2:3], -v[171:172]
	v_fma_f64 v[175:176], v[36:37], v[2:3], v[4:5]
	ds_load_b128 v[2:5], v1 offset:1632
	scratch_load_b128 v[34:37], off, off offset:816
	v_fma_f64 v[173:174], v[165:166], v[6:7], v[173:174]
	v_fma_f64 v[179:180], v[163:164], v[6:7], -v[8:9]
	ds_load_b128 v[6:9], v1 offset:1648
	scratch_load_b128 v[163:166], off, off offset:832
	s_wait_loadcnt_dscnt 0x901
	v_mul_f64_e32 v[177:178], v[2:3], v[12:13]
	v_mul_f64_e32 v[12:13], v[4:5], v[12:13]
	s_wait_loadcnt_dscnt 0x800
	v_mul_f64_e32 v[181:182], v[6:7], v[16:17]
	v_mul_f64_e32 v[16:17], v[8:9], v[16:17]
	v_add_f64_e32 v[171:172], 0, v[171:172]
	v_add_f64_e32 v[175:176], 0, v[175:176]
	v_fma_f64 v[177:178], v[4:5], v[10:11], v[177:178]
	v_fma_f64 v[183:184], v[2:3], v[10:11], -v[12:13]
	scratch_load_b128 v[10:13], off, off offset:848
	ds_load_b128 v[2:5], v1 offset:1664
	v_add_f64_e32 v[171:172], v[171:172], v[179:180]
	v_add_f64_e32 v[173:174], v[175:176], v[173:174]
	v_fma_f64 v[179:180], v[8:9], v[14:15], v[181:182]
	v_fma_f64 v[181:182], v[6:7], v[14:15], -v[16:17]
	ds_load_b128 v[6:9], v1 offset:1680
	scratch_load_b128 v[14:17], off, off offset:864
	s_wait_loadcnt_dscnt 0x901
	v_mul_f64_e32 v[175:176], v[2:3], v[20:21]
	v_mul_f64_e32 v[20:21], v[4:5], v[20:21]
	v_add_f64_e32 v[171:172], v[171:172], v[183:184]
	v_add_f64_e32 v[173:174], v[173:174], v[177:178]
	s_wait_loadcnt_dscnt 0x800
	v_mul_f64_e32 v[177:178], v[6:7], v[24:25]
	v_mul_f64_e32 v[24:25], v[8:9], v[24:25]
	v_fma_f64 v[175:176], v[4:5], v[18:19], v[175:176]
	v_fma_f64 v[183:184], v[2:3], v[18:19], -v[20:21]
	ds_load_b128 v[2:5], v1 offset:1696
	scratch_load_b128 v[18:21], off, off offset:880
	v_add_f64_e32 v[171:172], v[171:172], v[181:182]
	v_add_f64_e32 v[173:174], v[173:174], v[179:180]
	v_fma_f64 v[177:178], v[8:9], v[22:23], v[177:178]
	v_fma_f64 v[181:182], v[6:7], v[22:23], -v[24:25]
	ds_load_b128 v[6:9], v1 offset:1712
	s_wait_loadcnt_dscnt 0x801
	v_mul_f64_e32 v[179:180], v[2:3], v[28:29]
	v_mul_f64_e32 v[28:29], v[4:5], v[28:29]
	scratch_load_b128 v[22:25], off, off offset:896
	v_add_f64_e32 v[171:172], v[171:172], v[183:184]
	v_add_f64_e32 v[173:174], v[173:174], v[175:176]
	s_wait_loadcnt_dscnt 0x800
	v_mul_f64_e32 v[175:176], v[6:7], v[32:33]
	v_mul_f64_e32 v[32:33], v[8:9], v[32:33]
	v_fma_f64 v[179:180], v[4:5], v[26:27], v[179:180]
	v_fma_f64 v[183:184], v[2:3], v[26:27], -v[28:29]
	ds_load_b128 v[2:5], v1 offset:1728
	scratch_load_b128 v[26:29], off, off offset:912
	v_add_f64_e32 v[171:172], v[171:172], v[181:182]
	v_add_f64_e32 v[173:174], v[173:174], v[177:178]
	v_fma_f64 v[175:176], v[8:9], v[30:31], v[175:176]
	v_fma_f64 v[181:182], v[6:7], v[30:31], -v[32:33]
	ds_load_b128 v[6:9], v1 offset:1744
	s_wait_loadcnt_dscnt 0x801
	v_mul_f64_e32 v[177:178], v[2:3], v[40:41]
	v_mul_f64_e32 v[40:41], v[4:5], v[40:41]
	scratch_load_b128 v[30:33], off, off offset:928
	v_add_f64_e32 v[171:172], v[171:172], v[183:184]
	v_add_f64_e32 v[173:174], v[173:174], v[179:180]
	s_wait_loadcnt_dscnt 0x800
	v_mul_f64_e32 v[179:180], v[6:7], v[169:170]
	v_mul_f64_e32 v[169:170], v[8:9], v[169:170]
	v_fma_f64 v[177:178], v[4:5], v[38:39], v[177:178]
	v_fma_f64 v[183:184], v[2:3], v[38:39], -v[40:41]
	ds_load_b128 v[2:5], v1 offset:1760
	scratch_load_b128 v[38:41], off, off offset:944
	v_add_f64_e32 v[171:172], v[171:172], v[181:182]
	v_add_f64_e32 v[173:174], v[173:174], v[175:176]
	v_fma_f64 v[179:180], v[8:9], v[167:168], v[179:180]
	v_fma_f64 v[181:182], v[6:7], v[167:168], -v[169:170]
	ds_load_b128 v[6:9], v1 offset:1776
	scratch_load_b128 v[167:170], off, off offset:960
	s_wait_loadcnt_dscnt 0x901
	v_mul_f64_e32 v[175:176], v[2:3], v[36:37]
	v_mul_f64_e32 v[36:37], v[4:5], v[36:37]
	v_add_f64_e32 v[171:172], v[171:172], v[183:184]
	v_add_f64_e32 v[173:174], v[173:174], v[177:178]
	s_delay_alu instid0(VALU_DEP_4) | instskip(NEXT) | instid1(VALU_DEP_4)
	v_fma_f64 v[175:176], v[4:5], v[34:35], v[175:176]
	v_fma_f64 v[34:35], v[2:3], v[34:35], -v[36:37]
	ds_load_b128 v[2:5], v1 offset:1792
	v_add_f64_e32 v[36:37], v[171:172], v[181:182]
	v_add_f64_e32 v[171:172], v[173:174], v[179:180]
	s_wait_loadcnt_dscnt 0x700
	v_mul_f64_e32 v[173:174], v[2:3], v[12:13]
	v_mul_f64_e32 v[12:13], v[4:5], v[12:13]
	s_delay_alu instid0(VALU_DEP_4) | instskip(NEXT) | instid1(VALU_DEP_4)
	v_add_f64_e32 v[34:35], v[36:37], v[34:35]
	v_add_f64_e32 v[36:37], v[171:172], v[175:176]
	s_delay_alu instid0(VALU_DEP_4) | instskip(NEXT) | instid1(VALU_DEP_4)
	v_fma_f64 v[171:172], v[4:5], v[10:11], v[173:174]
	v_fma_f64 v[173:174], v[2:3], v[10:11], -v[12:13]
	scratch_load_b128 v[10:13], off, off offset:640
	v_mul_f64_e32 v[177:178], v[6:7], v[165:166]
	v_mul_f64_e32 v[165:166], v[8:9], v[165:166]
	ds_load_b128 v[2:5], v1 offset:1824
	v_fma_f64 v[177:178], v[8:9], v[163:164], v[177:178]
	v_fma_f64 v[163:164], v[6:7], v[163:164], -v[165:166]
	ds_load_b128 v[6:9], v1 offset:1808
	s_wait_loadcnt_dscnt 0x700
	v_mul_f64_e32 v[165:166], v[6:7], v[16:17]
	v_mul_f64_e32 v[16:17], v[8:9], v[16:17]
	v_add_f64_e32 v[36:37], v[36:37], v[177:178]
	v_add_f64_e32 v[34:35], v[34:35], v[163:164]
	s_wait_loadcnt 0x6
	v_mul_f64_e32 v[163:164], v[2:3], v[20:21]
	v_mul_f64_e32 v[20:21], v[4:5], v[20:21]
	v_fma_f64 v[165:166], v[8:9], v[14:15], v[165:166]
	v_fma_f64 v[14:15], v[6:7], v[14:15], -v[16:17]
	ds_load_b128 v[6:9], v1 offset:1840
	v_add_f64_e32 v[16:17], v[34:35], v[173:174]
	v_add_f64_e32 v[34:35], v[36:37], v[171:172]
	v_fma_f64 v[163:164], v[4:5], v[18:19], v[163:164]
	v_fma_f64 v[18:19], v[2:3], v[18:19], -v[20:21]
	ds_load_b128 v[2:5], v1 offset:1856
	s_wait_loadcnt_dscnt 0x501
	v_mul_f64_e32 v[36:37], v[6:7], v[24:25]
	v_mul_f64_e32 v[24:25], v[8:9], v[24:25]
	s_wait_loadcnt_dscnt 0x400
	v_mul_f64_e32 v[20:21], v[2:3], v[28:29]
	v_mul_f64_e32 v[28:29], v[4:5], v[28:29]
	v_add_f64_e32 v[14:15], v[16:17], v[14:15]
	v_add_f64_e32 v[16:17], v[34:35], v[165:166]
	v_fma_f64 v[34:35], v[8:9], v[22:23], v[36:37]
	v_fma_f64 v[22:23], v[6:7], v[22:23], -v[24:25]
	ds_load_b128 v[6:9], v1 offset:1872
	v_fma_f64 v[20:21], v[4:5], v[26:27], v[20:21]
	v_fma_f64 v[26:27], v[2:3], v[26:27], -v[28:29]
	ds_load_b128 v[2:5], v1 offset:1888
	s_wait_loadcnt_dscnt 0x301
	v_mul_f64_e32 v[24:25], v[8:9], v[32:33]
	v_add_f64_e32 v[14:15], v[14:15], v[18:19]
	v_add_f64_e32 v[16:17], v[16:17], v[163:164]
	v_mul_f64_e32 v[18:19], v[6:7], v[32:33]
	s_wait_loadcnt_dscnt 0x200
	v_mul_f64_e32 v[28:29], v[4:5], v[40:41]
	v_fma_f64 v[24:25], v[6:7], v[30:31], -v[24:25]
	v_add_f64_e32 v[14:15], v[14:15], v[22:23]
	v_add_f64_e32 v[16:17], v[16:17], v[34:35]
	v_mul_f64_e32 v[22:23], v[2:3], v[40:41]
	v_fma_f64 v[18:19], v[8:9], v[30:31], v[18:19]
	ds_load_b128 v[6:9], v1 offset:1904
	v_fma_f64 v[1:2], v[2:3], v[38:39], -v[28:29]
	v_add_f64_e32 v[14:15], v[14:15], v[26:27]
	v_add_f64_e32 v[16:17], v[16:17], v[20:21]
	s_wait_loadcnt_dscnt 0x100
	v_mul_f64_e32 v[20:21], v[6:7], v[169:170]
	v_mul_f64_e32 v[26:27], v[8:9], v[169:170]
	v_fma_f64 v[4:5], v[4:5], v[38:39], v[22:23]
	v_add_f64_e32 v[14:15], v[14:15], v[24:25]
	v_add_f64_e32 v[16:17], v[16:17], v[18:19]
	v_fma_f64 v[8:9], v[8:9], v[167:168], v[20:21]
	v_fma_f64 v[6:7], v[6:7], v[167:168], -v[26:27]
	s_delay_alu instid0(VALU_DEP_4) | instskip(NEXT) | instid1(VALU_DEP_4)
	v_add_f64_e32 v[1:2], v[14:15], v[1:2]
	v_add_f64_e32 v[3:4], v[16:17], v[4:5]
	s_delay_alu instid0(VALU_DEP_2) | instskip(NEXT) | instid1(VALU_DEP_2)
	v_add_f64_e32 v[1:2], v[1:2], v[6:7]
	v_add_f64_e32 v[3:4], v[3:4], v[8:9]
	s_wait_loadcnt 0x0
	s_delay_alu instid0(VALU_DEP_2) | instskip(NEXT) | instid1(VALU_DEP_2)
	v_add_f64_e64 v[1:2], v[10:11], -v[1:2]
	v_add_f64_e64 v[3:4], v[12:13], -v[3:4]
	scratch_store_b128 off, v[1:4], off offset:640
	v_cmpx_lt_u32_e32 38, v0
	s_cbranch_execz .LBB59_297
; %bb.296:
	scratch_load_b128 v[1:4], off, s12
	v_mov_b32_e32 v5, 0
	s_delay_alu instid0(VALU_DEP_1)
	v_dual_mov_b32 v6, v5 :: v_dual_mov_b32 v7, v5
	v_mov_b32_e32 v8, v5
	scratch_store_b128 off, v[5:8], off offset:624
	s_wait_loadcnt 0x0
	ds_store_b128 v162, v[1:4]
.LBB59_297:
	s_wait_alu 0xfffe
	s_or_b32 exec_lo, exec_lo, s0
	s_wait_storecnt_dscnt 0x0
	s_barrier_signal -1
	s_barrier_wait -1
	global_inv scope:SCOPE_SE
	s_clause 0x7
	scratch_load_b128 v[2:5], off, off offset:640
	scratch_load_b128 v[6:9], off, off offset:656
	;; [unrolled: 1-line block ×8, first 2 shown]
	v_mov_b32_e32 v1, 0
	s_clause 0x1
	scratch_load_b128 v[38:41], off, off offset:768
	scratch_load_b128 v[167:170], off, off offset:784
	s_mov_b32 s0, exec_lo
	ds_load_b128 v[34:37], v1 offset:1584
	ds_load_b128 v[163:166], v1 offset:1600
	s_wait_loadcnt_dscnt 0x901
	v_mul_f64_e32 v[171:172], v[36:37], v[4:5]
	v_mul_f64_e32 v[4:5], v[34:35], v[4:5]
	s_wait_loadcnt_dscnt 0x800
	v_mul_f64_e32 v[173:174], v[163:164], v[8:9]
	v_mul_f64_e32 v[8:9], v[165:166], v[8:9]
	s_delay_alu instid0(VALU_DEP_4) | instskip(NEXT) | instid1(VALU_DEP_4)
	v_fma_f64 v[171:172], v[34:35], v[2:3], -v[171:172]
	v_fma_f64 v[175:176], v[36:37], v[2:3], v[4:5]
	ds_load_b128 v[2:5], v1 offset:1616
	scratch_load_b128 v[34:37], off, off offset:800
	v_fma_f64 v[173:174], v[165:166], v[6:7], v[173:174]
	v_fma_f64 v[179:180], v[163:164], v[6:7], -v[8:9]
	ds_load_b128 v[6:9], v1 offset:1632
	scratch_load_b128 v[163:166], off, off offset:816
	s_wait_loadcnt_dscnt 0x901
	v_mul_f64_e32 v[177:178], v[2:3], v[12:13]
	v_mul_f64_e32 v[12:13], v[4:5], v[12:13]
	s_wait_loadcnt_dscnt 0x800
	v_mul_f64_e32 v[181:182], v[6:7], v[16:17]
	v_mul_f64_e32 v[16:17], v[8:9], v[16:17]
	v_add_f64_e32 v[171:172], 0, v[171:172]
	v_add_f64_e32 v[175:176], 0, v[175:176]
	v_fma_f64 v[177:178], v[4:5], v[10:11], v[177:178]
	v_fma_f64 v[183:184], v[2:3], v[10:11], -v[12:13]
	ds_load_b128 v[2:5], v1 offset:1648
	scratch_load_b128 v[10:13], off, off offset:832
	v_add_f64_e32 v[171:172], v[171:172], v[179:180]
	v_add_f64_e32 v[173:174], v[175:176], v[173:174]
	v_fma_f64 v[179:180], v[8:9], v[14:15], v[181:182]
	v_fma_f64 v[181:182], v[6:7], v[14:15], -v[16:17]
	ds_load_b128 v[6:9], v1 offset:1664
	scratch_load_b128 v[14:17], off, off offset:848
	s_wait_loadcnt_dscnt 0x901
	v_mul_f64_e32 v[175:176], v[2:3], v[20:21]
	v_mul_f64_e32 v[20:21], v[4:5], v[20:21]
	v_add_f64_e32 v[171:172], v[171:172], v[183:184]
	v_add_f64_e32 v[173:174], v[173:174], v[177:178]
	s_wait_loadcnt_dscnt 0x800
	v_mul_f64_e32 v[177:178], v[6:7], v[24:25]
	v_mul_f64_e32 v[24:25], v[8:9], v[24:25]
	v_fma_f64 v[175:176], v[4:5], v[18:19], v[175:176]
	v_fma_f64 v[183:184], v[2:3], v[18:19], -v[20:21]
	ds_load_b128 v[2:5], v1 offset:1680
	scratch_load_b128 v[18:21], off, off offset:864
	v_add_f64_e32 v[171:172], v[171:172], v[181:182]
	v_add_f64_e32 v[173:174], v[173:174], v[179:180]
	v_fma_f64 v[177:178], v[8:9], v[22:23], v[177:178]
	v_fma_f64 v[181:182], v[6:7], v[22:23], -v[24:25]
	ds_load_b128 v[6:9], v1 offset:1696
	s_wait_loadcnt_dscnt 0x801
	v_mul_f64_e32 v[179:180], v[2:3], v[28:29]
	v_mul_f64_e32 v[28:29], v[4:5], v[28:29]
	scratch_load_b128 v[22:25], off, off offset:880
	v_add_f64_e32 v[171:172], v[171:172], v[183:184]
	v_add_f64_e32 v[173:174], v[173:174], v[175:176]
	s_wait_loadcnt_dscnt 0x800
	v_mul_f64_e32 v[175:176], v[6:7], v[32:33]
	v_mul_f64_e32 v[32:33], v[8:9], v[32:33]
	v_fma_f64 v[179:180], v[4:5], v[26:27], v[179:180]
	v_fma_f64 v[183:184], v[2:3], v[26:27], -v[28:29]
	ds_load_b128 v[2:5], v1 offset:1712
	scratch_load_b128 v[26:29], off, off offset:896
	v_add_f64_e32 v[171:172], v[171:172], v[181:182]
	v_add_f64_e32 v[173:174], v[173:174], v[177:178]
	v_fma_f64 v[175:176], v[8:9], v[30:31], v[175:176]
	v_fma_f64 v[181:182], v[6:7], v[30:31], -v[32:33]
	ds_load_b128 v[6:9], v1 offset:1728
	s_wait_loadcnt_dscnt 0x801
	v_mul_f64_e32 v[177:178], v[2:3], v[40:41]
	v_mul_f64_e32 v[40:41], v[4:5], v[40:41]
	scratch_load_b128 v[30:33], off, off offset:912
	v_add_f64_e32 v[171:172], v[171:172], v[183:184]
	v_add_f64_e32 v[173:174], v[173:174], v[179:180]
	s_wait_loadcnt_dscnt 0x800
	v_mul_f64_e32 v[179:180], v[6:7], v[169:170]
	v_mul_f64_e32 v[169:170], v[8:9], v[169:170]
	v_fma_f64 v[177:178], v[4:5], v[38:39], v[177:178]
	v_fma_f64 v[183:184], v[2:3], v[38:39], -v[40:41]
	ds_load_b128 v[2:5], v1 offset:1744
	scratch_load_b128 v[38:41], off, off offset:928
	v_add_f64_e32 v[171:172], v[171:172], v[181:182]
	v_add_f64_e32 v[173:174], v[173:174], v[175:176]
	v_fma_f64 v[179:180], v[8:9], v[167:168], v[179:180]
	v_fma_f64 v[181:182], v[6:7], v[167:168], -v[169:170]
	ds_load_b128 v[6:9], v1 offset:1760
	scratch_load_b128 v[167:170], off, off offset:944
	s_wait_loadcnt_dscnt 0x901
	v_mul_f64_e32 v[175:176], v[2:3], v[36:37]
	v_mul_f64_e32 v[36:37], v[4:5], v[36:37]
	v_add_f64_e32 v[171:172], v[171:172], v[183:184]
	v_add_f64_e32 v[173:174], v[173:174], v[177:178]
	s_wait_loadcnt_dscnt 0x800
	v_mul_f64_e32 v[177:178], v[6:7], v[165:166]
	v_mul_f64_e32 v[165:166], v[8:9], v[165:166]
	v_fma_f64 v[175:176], v[4:5], v[34:35], v[175:176]
	v_fma_f64 v[183:184], v[2:3], v[34:35], -v[36:37]
	ds_load_b128 v[2:5], v1 offset:1776
	scratch_load_b128 v[34:37], off, off offset:960
	v_add_f64_e32 v[171:172], v[171:172], v[181:182]
	v_add_f64_e32 v[173:174], v[173:174], v[179:180]
	v_fma_f64 v[177:178], v[8:9], v[163:164], v[177:178]
	v_fma_f64 v[163:164], v[6:7], v[163:164], -v[165:166]
	ds_load_b128 v[6:9], v1 offset:1792
	s_wait_loadcnt_dscnt 0x801
	v_mul_f64_e32 v[179:180], v[2:3], v[12:13]
	v_mul_f64_e32 v[12:13], v[4:5], v[12:13]
	v_add_f64_e32 v[165:166], v[171:172], v[183:184]
	v_add_f64_e32 v[171:172], v[173:174], v[175:176]
	s_wait_loadcnt_dscnt 0x700
	v_mul_f64_e32 v[173:174], v[6:7], v[16:17]
	v_mul_f64_e32 v[16:17], v[8:9], v[16:17]
	v_fma_f64 v[175:176], v[4:5], v[10:11], v[179:180]
	v_fma_f64 v[10:11], v[2:3], v[10:11], -v[12:13]
	ds_load_b128 v[2:5], v1 offset:1808
	v_add_f64_e32 v[12:13], v[165:166], v[163:164]
	v_add_f64_e32 v[163:164], v[171:172], v[177:178]
	v_fma_f64 v[171:172], v[8:9], v[14:15], v[173:174]
	v_fma_f64 v[14:15], v[6:7], v[14:15], -v[16:17]
	ds_load_b128 v[6:9], v1 offset:1824
	s_wait_loadcnt_dscnt 0x500
	v_mul_f64_e32 v[173:174], v[6:7], v[24:25]
	v_mul_f64_e32 v[24:25], v[8:9], v[24:25]
	v_add_f64_e32 v[16:17], v[12:13], v[10:11]
	v_add_f64_e32 v[163:164], v[163:164], v[175:176]
	scratch_load_b128 v[10:13], off, off offset:624
	v_mul_f64_e32 v[165:166], v[2:3], v[20:21]
	v_mul_f64_e32 v[20:21], v[4:5], v[20:21]
	v_add_f64_e32 v[14:15], v[16:17], v[14:15]
	v_add_f64_e32 v[16:17], v[163:164], v[171:172]
	v_fma_f64 v[163:164], v[8:9], v[22:23], v[173:174]
	v_fma_f64 v[165:166], v[4:5], v[18:19], v[165:166]
	v_fma_f64 v[18:19], v[2:3], v[18:19], -v[20:21]
	ds_load_b128 v[2:5], v1 offset:1840
	v_fma_f64 v[22:23], v[6:7], v[22:23], -v[24:25]
	ds_load_b128 v[6:9], v1 offset:1856
	s_wait_loadcnt_dscnt 0x501
	v_mul_f64_e32 v[20:21], v[2:3], v[28:29]
	v_mul_f64_e32 v[28:29], v[4:5], v[28:29]
	s_wait_loadcnt_dscnt 0x400
	v_mul_f64_e32 v[24:25], v[8:9], v[32:33]
	v_add_f64_e32 v[16:17], v[16:17], v[165:166]
	v_add_f64_e32 v[14:15], v[14:15], v[18:19]
	v_mul_f64_e32 v[18:19], v[6:7], v[32:33]
	v_fma_f64 v[20:21], v[4:5], v[26:27], v[20:21]
	v_fma_f64 v[26:27], v[2:3], v[26:27], -v[28:29]
	ds_load_b128 v[2:5], v1 offset:1872
	v_fma_f64 v[24:25], v[6:7], v[30:31], -v[24:25]
	v_add_f64_e32 v[16:17], v[16:17], v[163:164]
	v_add_f64_e32 v[14:15], v[14:15], v[22:23]
	v_fma_f64 v[18:19], v[8:9], v[30:31], v[18:19]
	ds_load_b128 v[6:9], v1 offset:1888
	s_wait_loadcnt_dscnt 0x301
	v_mul_f64_e32 v[22:23], v[2:3], v[40:41]
	v_mul_f64_e32 v[28:29], v[4:5], v[40:41]
	v_add_f64_e32 v[16:17], v[16:17], v[20:21]
	v_add_f64_e32 v[14:15], v[14:15], v[26:27]
	s_wait_loadcnt_dscnt 0x200
	v_mul_f64_e32 v[20:21], v[6:7], v[169:170]
	v_mul_f64_e32 v[26:27], v[8:9], v[169:170]
	v_fma_f64 v[22:23], v[4:5], v[38:39], v[22:23]
	v_fma_f64 v[28:29], v[2:3], v[38:39], -v[28:29]
	ds_load_b128 v[2:5], v1 offset:1904
	v_add_f64_e32 v[16:17], v[16:17], v[18:19]
	v_add_f64_e32 v[14:15], v[14:15], v[24:25]
	s_wait_loadcnt_dscnt 0x100
	v_mul_f64_e32 v[18:19], v[2:3], v[36:37]
	v_mul_f64_e32 v[24:25], v[4:5], v[36:37]
	v_fma_f64 v[8:9], v[8:9], v[167:168], v[20:21]
	v_fma_f64 v[6:7], v[6:7], v[167:168], -v[26:27]
	v_add_f64_e32 v[16:17], v[16:17], v[22:23]
	v_add_f64_e32 v[14:15], v[14:15], v[28:29]
	v_fma_f64 v[4:5], v[4:5], v[34:35], v[18:19]
	v_fma_f64 v[2:3], v[2:3], v[34:35], -v[24:25]
	s_delay_alu instid0(VALU_DEP_4) | instskip(NEXT) | instid1(VALU_DEP_4)
	v_add_f64_e32 v[8:9], v[16:17], v[8:9]
	v_add_f64_e32 v[6:7], v[14:15], v[6:7]
	s_delay_alu instid0(VALU_DEP_2) | instskip(NEXT) | instid1(VALU_DEP_2)
	v_add_f64_e32 v[4:5], v[8:9], v[4:5]
	v_add_f64_e32 v[2:3], v[6:7], v[2:3]
	s_wait_loadcnt 0x0
	s_delay_alu instid0(VALU_DEP_2) | instskip(NEXT) | instid1(VALU_DEP_2)
	v_add_f64_e64 v[4:5], v[12:13], -v[4:5]
	v_add_f64_e64 v[2:3], v[10:11], -v[2:3]
	scratch_store_b128 off, v[2:5], off offset:624
	v_cmpx_lt_u32_e32 37, v0
	s_cbranch_execz .LBB59_299
; %bb.298:
	scratch_load_b128 v[5:8], off, s11
	v_dual_mov_b32 v2, v1 :: v_dual_mov_b32 v3, v1
	v_mov_b32_e32 v4, v1
	scratch_store_b128 off, v[1:4], off offset:608
	s_wait_loadcnt 0x0
	ds_store_b128 v162, v[5:8]
.LBB59_299:
	s_wait_alu 0xfffe
	s_or_b32 exec_lo, exec_lo, s0
	s_wait_storecnt_dscnt 0x0
	s_barrier_signal -1
	s_barrier_wait -1
	global_inv scope:SCOPE_SE
	s_clause 0x7
	scratch_load_b128 v[2:5], off, off offset:624
	scratch_load_b128 v[6:9], off, off offset:640
	;; [unrolled: 1-line block ×8, first 2 shown]
	ds_load_b128 v[34:37], v1 offset:1568
	ds_load_b128 v[163:166], v1 offset:1584
	s_clause 0x1
	scratch_load_b128 v[38:41], off, off offset:752
	scratch_load_b128 v[167:170], off, off offset:768
	s_mov_b32 s0, exec_lo
	s_wait_loadcnt_dscnt 0x901
	v_mul_f64_e32 v[171:172], v[36:37], v[4:5]
	v_mul_f64_e32 v[4:5], v[34:35], v[4:5]
	s_wait_loadcnt_dscnt 0x800
	v_mul_f64_e32 v[173:174], v[163:164], v[8:9]
	v_mul_f64_e32 v[8:9], v[165:166], v[8:9]
	s_delay_alu instid0(VALU_DEP_4) | instskip(NEXT) | instid1(VALU_DEP_4)
	v_fma_f64 v[171:172], v[34:35], v[2:3], -v[171:172]
	v_fma_f64 v[175:176], v[36:37], v[2:3], v[4:5]
	ds_load_b128 v[2:5], v1 offset:1600
	scratch_load_b128 v[34:37], off, off offset:784
	v_fma_f64 v[173:174], v[165:166], v[6:7], v[173:174]
	v_fma_f64 v[179:180], v[163:164], v[6:7], -v[8:9]
	ds_load_b128 v[6:9], v1 offset:1616
	scratch_load_b128 v[163:166], off, off offset:800
	s_wait_loadcnt_dscnt 0x901
	v_mul_f64_e32 v[177:178], v[2:3], v[12:13]
	v_mul_f64_e32 v[12:13], v[4:5], v[12:13]
	s_wait_loadcnt_dscnt 0x800
	v_mul_f64_e32 v[181:182], v[6:7], v[16:17]
	v_mul_f64_e32 v[16:17], v[8:9], v[16:17]
	v_add_f64_e32 v[171:172], 0, v[171:172]
	v_add_f64_e32 v[175:176], 0, v[175:176]
	v_fma_f64 v[177:178], v[4:5], v[10:11], v[177:178]
	v_fma_f64 v[183:184], v[2:3], v[10:11], -v[12:13]
	ds_load_b128 v[2:5], v1 offset:1632
	scratch_load_b128 v[10:13], off, off offset:816
	v_add_f64_e32 v[171:172], v[171:172], v[179:180]
	v_add_f64_e32 v[173:174], v[175:176], v[173:174]
	v_fma_f64 v[179:180], v[8:9], v[14:15], v[181:182]
	v_fma_f64 v[181:182], v[6:7], v[14:15], -v[16:17]
	ds_load_b128 v[6:9], v1 offset:1648
	scratch_load_b128 v[14:17], off, off offset:832
	s_wait_loadcnt_dscnt 0x901
	v_mul_f64_e32 v[175:176], v[2:3], v[20:21]
	v_mul_f64_e32 v[20:21], v[4:5], v[20:21]
	v_add_f64_e32 v[171:172], v[171:172], v[183:184]
	v_add_f64_e32 v[173:174], v[173:174], v[177:178]
	s_wait_loadcnt_dscnt 0x800
	v_mul_f64_e32 v[177:178], v[6:7], v[24:25]
	v_mul_f64_e32 v[24:25], v[8:9], v[24:25]
	v_fma_f64 v[175:176], v[4:5], v[18:19], v[175:176]
	v_fma_f64 v[183:184], v[2:3], v[18:19], -v[20:21]
	ds_load_b128 v[2:5], v1 offset:1664
	scratch_load_b128 v[18:21], off, off offset:848
	v_add_f64_e32 v[171:172], v[171:172], v[181:182]
	v_add_f64_e32 v[173:174], v[173:174], v[179:180]
	v_fma_f64 v[177:178], v[8:9], v[22:23], v[177:178]
	v_fma_f64 v[181:182], v[6:7], v[22:23], -v[24:25]
	ds_load_b128 v[6:9], v1 offset:1680
	s_wait_loadcnt_dscnt 0x801
	v_mul_f64_e32 v[179:180], v[2:3], v[28:29]
	v_mul_f64_e32 v[28:29], v[4:5], v[28:29]
	scratch_load_b128 v[22:25], off, off offset:864
	v_add_f64_e32 v[171:172], v[171:172], v[183:184]
	v_add_f64_e32 v[173:174], v[173:174], v[175:176]
	s_wait_loadcnt_dscnt 0x800
	v_mul_f64_e32 v[175:176], v[6:7], v[32:33]
	v_mul_f64_e32 v[32:33], v[8:9], v[32:33]
	v_fma_f64 v[179:180], v[4:5], v[26:27], v[179:180]
	v_fma_f64 v[183:184], v[2:3], v[26:27], -v[28:29]
	ds_load_b128 v[2:5], v1 offset:1696
	scratch_load_b128 v[26:29], off, off offset:880
	v_add_f64_e32 v[171:172], v[171:172], v[181:182]
	v_add_f64_e32 v[173:174], v[173:174], v[177:178]
	v_fma_f64 v[175:176], v[8:9], v[30:31], v[175:176]
	v_fma_f64 v[181:182], v[6:7], v[30:31], -v[32:33]
	ds_load_b128 v[6:9], v1 offset:1712
	s_wait_loadcnt_dscnt 0x801
	v_mul_f64_e32 v[177:178], v[2:3], v[40:41]
	v_mul_f64_e32 v[40:41], v[4:5], v[40:41]
	scratch_load_b128 v[30:33], off, off offset:896
	v_add_f64_e32 v[171:172], v[171:172], v[183:184]
	v_add_f64_e32 v[173:174], v[173:174], v[179:180]
	s_wait_loadcnt_dscnt 0x800
	v_mul_f64_e32 v[179:180], v[6:7], v[169:170]
	v_mul_f64_e32 v[169:170], v[8:9], v[169:170]
	v_fma_f64 v[177:178], v[4:5], v[38:39], v[177:178]
	v_fma_f64 v[183:184], v[2:3], v[38:39], -v[40:41]
	ds_load_b128 v[2:5], v1 offset:1728
	scratch_load_b128 v[38:41], off, off offset:912
	v_add_f64_e32 v[171:172], v[171:172], v[181:182]
	v_add_f64_e32 v[173:174], v[173:174], v[175:176]
	v_fma_f64 v[179:180], v[8:9], v[167:168], v[179:180]
	v_fma_f64 v[181:182], v[6:7], v[167:168], -v[169:170]
	ds_load_b128 v[6:9], v1 offset:1744
	scratch_load_b128 v[167:170], off, off offset:928
	s_wait_loadcnt_dscnt 0x901
	v_mul_f64_e32 v[175:176], v[2:3], v[36:37]
	v_mul_f64_e32 v[36:37], v[4:5], v[36:37]
	v_add_f64_e32 v[171:172], v[171:172], v[183:184]
	v_add_f64_e32 v[173:174], v[173:174], v[177:178]
	s_wait_loadcnt_dscnt 0x800
	v_mul_f64_e32 v[177:178], v[6:7], v[165:166]
	v_mul_f64_e32 v[165:166], v[8:9], v[165:166]
	v_fma_f64 v[175:176], v[4:5], v[34:35], v[175:176]
	v_fma_f64 v[183:184], v[2:3], v[34:35], -v[36:37]
	ds_load_b128 v[2:5], v1 offset:1760
	scratch_load_b128 v[34:37], off, off offset:944
	v_add_f64_e32 v[171:172], v[171:172], v[181:182]
	v_add_f64_e32 v[173:174], v[173:174], v[179:180]
	v_fma_f64 v[177:178], v[8:9], v[163:164], v[177:178]
	v_fma_f64 v[181:182], v[6:7], v[163:164], -v[165:166]
	ds_load_b128 v[6:9], v1 offset:1776
	s_wait_loadcnt_dscnt 0x801
	v_mul_f64_e32 v[179:180], v[2:3], v[12:13]
	v_mul_f64_e32 v[12:13], v[4:5], v[12:13]
	scratch_load_b128 v[163:166], off, off offset:960
	v_add_f64_e32 v[171:172], v[171:172], v[183:184]
	v_add_f64_e32 v[173:174], v[173:174], v[175:176]
	s_wait_loadcnt_dscnt 0x800
	v_mul_f64_e32 v[175:176], v[6:7], v[16:17]
	v_mul_f64_e32 v[16:17], v[8:9], v[16:17]
	v_fma_f64 v[179:180], v[4:5], v[10:11], v[179:180]
	v_fma_f64 v[10:11], v[2:3], v[10:11], -v[12:13]
	ds_load_b128 v[2:5], v1 offset:1792
	v_add_f64_e32 v[12:13], v[171:172], v[181:182]
	v_add_f64_e32 v[171:172], v[173:174], v[177:178]
	v_fma_f64 v[175:176], v[8:9], v[14:15], v[175:176]
	v_fma_f64 v[14:15], v[6:7], v[14:15], -v[16:17]
	ds_load_b128 v[6:9], v1 offset:1808
	s_wait_loadcnt_dscnt 0x701
	v_mul_f64_e32 v[173:174], v[2:3], v[20:21]
	v_mul_f64_e32 v[20:21], v[4:5], v[20:21]
	v_add_f64_e32 v[10:11], v[12:13], v[10:11]
	v_add_f64_e32 v[12:13], v[171:172], v[179:180]
	s_delay_alu instid0(VALU_DEP_4) | instskip(NEXT) | instid1(VALU_DEP_4)
	v_fma_f64 v[171:172], v[4:5], v[18:19], v[173:174]
	v_fma_f64 v[18:19], v[2:3], v[18:19], -v[20:21]
	ds_load_b128 v[2:5], v1 offset:1824
	v_add_f64_e32 v[14:15], v[10:11], v[14:15]
	v_add_f64_e32 v[20:21], v[12:13], v[175:176]
	scratch_load_b128 v[10:13], off, off offset:608
	s_wait_loadcnt_dscnt 0x701
	v_mul_f64_e32 v[16:17], v[6:7], v[24:25]
	v_mul_f64_e32 v[24:25], v[8:9], v[24:25]
	v_add_f64_e32 v[14:15], v[14:15], v[18:19]
	v_add_f64_e32 v[18:19], v[20:21], v[171:172]
	s_delay_alu instid0(VALU_DEP_4) | instskip(NEXT) | instid1(VALU_DEP_4)
	v_fma_f64 v[16:17], v[8:9], v[22:23], v[16:17]
	v_fma_f64 v[22:23], v[6:7], v[22:23], -v[24:25]
	ds_load_b128 v[6:9], v1 offset:1840
	s_wait_loadcnt_dscnt 0x601
	v_mul_f64_e32 v[173:174], v[2:3], v[28:29]
	v_mul_f64_e32 v[28:29], v[4:5], v[28:29]
	s_wait_loadcnt_dscnt 0x500
	v_mul_f64_e32 v[20:21], v[6:7], v[32:33]
	v_mul_f64_e32 v[24:25], v[8:9], v[32:33]
	v_add_f64_e32 v[16:17], v[18:19], v[16:17]
	v_add_f64_e32 v[14:15], v[14:15], v[22:23]
	v_fma_f64 v[32:33], v[4:5], v[26:27], v[173:174]
	v_fma_f64 v[26:27], v[2:3], v[26:27], -v[28:29]
	ds_load_b128 v[2:5], v1 offset:1856
	v_fma_f64 v[20:21], v[8:9], v[30:31], v[20:21]
	v_fma_f64 v[24:25], v[6:7], v[30:31], -v[24:25]
	ds_load_b128 v[6:9], v1 offset:1872
	s_wait_loadcnt_dscnt 0x401
	v_mul_f64_e32 v[18:19], v[2:3], v[40:41]
	v_mul_f64_e32 v[22:23], v[4:5], v[40:41]
	v_add_f64_e32 v[16:17], v[16:17], v[32:33]
	v_add_f64_e32 v[14:15], v[14:15], v[26:27]
	s_wait_loadcnt_dscnt 0x300
	v_mul_f64_e32 v[26:27], v[6:7], v[169:170]
	v_mul_f64_e32 v[28:29], v[8:9], v[169:170]
	v_fma_f64 v[18:19], v[4:5], v[38:39], v[18:19]
	v_fma_f64 v[22:23], v[2:3], v[38:39], -v[22:23]
	ds_load_b128 v[2:5], v1 offset:1888
	v_add_f64_e32 v[16:17], v[16:17], v[20:21]
	v_add_f64_e32 v[14:15], v[14:15], v[24:25]
	v_fma_f64 v[26:27], v[8:9], v[167:168], v[26:27]
	v_fma_f64 v[28:29], v[6:7], v[167:168], -v[28:29]
	ds_load_b128 v[6:9], v1 offset:1904
	s_wait_loadcnt_dscnt 0x201
	v_mul_f64_e32 v[20:21], v[2:3], v[36:37]
	v_mul_f64_e32 v[24:25], v[4:5], v[36:37]
	v_add_f64_e32 v[16:17], v[16:17], v[18:19]
	v_add_f64_e32 v[14:15], v[14:15], v[22:23]
	s_wait_loadcnt_dscnt 0x100
	v_mul_f64_e32 v[18:19], v[6:7], v[165:166]
	v_mul_f64_e32 v[22:23], v[8:9], v[165:166]
	v_fma_f64 v[4:5], v[4:5], v[34:35], v[20:21]
	v_fma_f64 v[1:2], v[2:3], v[34:35], -v[24:25]
	v_add_f64_e32 v[16:17], v[16:17], v[26:27]
	v_add_f64_e32 v[14:15], v[14:15], v[28:29]
	v_fma_f64 v[8:9], v[8:9], v[163:164], v[18:19]
	v_fma_f64 v[6:7], v[6:7], v[163:164], -v[22:23]
	s_delay_alu instid0(VALU_DEP_4) | instskip(NEXT) | instid1(VALU_DEP_4)
	v_add_f64_e32 v[3:4], v[16:17], v[4:5]
	v_add_f64_e32 v[1:2], v[14:15], v[1:2]
	s_delay_alu instid0(VALU_DEP_2) | instskip(NEXT) | instid1(VALU_DEP_2)
	v_add_f64_e32 v[3:4], v[3:4], v[8:9]
	v_add_f64_e32 v[1:2], v[1:2], v[6:7]
	s_wait_loadcnt 0x0
	s_delay_alu instid0(VALU_DEP_2) | instskip(NEXT) | instid1(VALU_DEP_2)
	v_add_f64_e64 v[3:4], v[12:13], -v[3:4]
	v_add_f64_e64 v[1:2], v[10:11], -v[1:2]
	scratch_store_b128 off, v[1:4], off offset:608
	v_cmpx_lt_u32_e32 36, v0
	s_cbranch_execz .LBB59_301
; %bb.300:
	scratch_load_b128 v[1:4], off, s14
	v_mov_b32_e32 v5, 0
	s_delay_alu instid0(VALU_DEP_1)
	v_dual_mov_b32 v6, v5 :: v_dual_mov_b32 v7, v5
	v_mov_b32_e32 v8, v5
	scratch_store_b128 off, v[5:8], off offset:592
	s_wait_loadcnt 0x0
	ds_store_b128 v162, v[1:4]
.LBB59_301:
	s_wait_alu 0xfffe
	s_or_b32 exec_lo, exec_lo, s0
	s_wait_storecnt_dscnt 0x0
	s_barrier_signal -1
	s_barrier_wait -1
	global_inv scope:SCOPE_SE
	s_clause 0x7
	scratch_load_b128 v[2:5], off, off offset:608
	scratch_load_b128 v[6:9], off, off offset:624
	scratch_load_b128 v[10:13], off, off offset:640
	scratch_load_b128 v[14:17], off, off offset:656
	scratch_load_b128 v[18:21], off, off offset:672
	scratch_load_b128 v[22:25], off, off offset:688
	scratch_load_b128 v[26:29], off, off offset:704
	scratch_load_b128 v[30:33], off, off offset:720
	v_mov_b32_e32 v1, 0
	s_clause 0x1
	scratch_load_b128 v[38:41], off, off offset:736
	scratch_load_b128 v[167:170], off, off offset:752
	s_mov_b32 s0, exec_lo
	ds_load_b128 v[34:37], v1 offset:1552
	ds_load_b128 v[163:166], v1 offset:1568
	s_wait_loadcnt_dscnt 0x901
	v_mul_f64_e32 v[171:172], v[36:37], v[4:5]
	v_mul_f64_e32 v[4:5], v[34:35], v[4:5]
	s_wait_loadcnt_dscnt 0x800
	v_mul_f64_e32 v[173:174], v[163:164], v[8:9]
	v_mul_f64_e32 v[8:9], v[165:166], v[8:9]
	s_delay_alu instid0(VALU_DEP_4) | instskip(NEXT) | instid1(VALU_DEP_4)
	v_fma_f64 v[171:172], v[34:35], v[2:3], -v[171:172]
	v_fma_f64 v[175:176], v[36:37], v[2:3], v[4:5]
	ds_load_b128 v[2:5], v1 offset:1584
	scratch_load_b128 v[34:37], off, off offset:768
	v_fma_f64 v[173:174], v[165:166], v[6:7], v[173:174]
	v_fma_f64 v[179:180], v[163:164], v[6:7], -v[8:9]
	ds_load_b128 v[6:9], v1 offset:1600
	scratch_load_b128 v[163:166], off, off offset:784
	s_wait_loadcnt_dscnt 0x901
	v_mul_f64_e32 v[177:178], v[2:3], v[12:13]
	v_mul_f64_e32 v[12:13], v[4:5], v[12:13]
	s_wait_loadcnt_dscnt 0x800
	v_mul_f64_e32 v[181:182], v[6:7], v[16:17]
	v_mul_f64_e32 v[16:17], v[8:9], v[16:17]
	v_add_f64_e32 v[171:172], 0, v[171:172]
	v_add_f64_e32 v[175:176], 0, v[175:176]
	v_fma_f64 v[177:178], v[4:5], v[10:11], v[177:178]
	v_fma_f64 v[183:184], v[2:3], v[10:11], -v[12:13]
	ds_load_b128 v[2:5], v1 offset:1616
	scratch_load_b128 v[10:13], off, off offset:800
	v_add_f64_e32 v[171:172], v[171:172], v[179:180]
	v_add_f64_e32 v[173:174], v[175:176], v[173:174]
	v_fma_f64 v[179:180], v[8:9], v[14:15], v[181:182]
	v_fma_f64 v[181:182], v[6:7], v[14:15], -v[16:17]
	ds_load_b128 v[6:9], v1 offset:1632
	scratch_load_b128 v[14:17], off, off offset:816
	s_wait_loadcnt_dscnt 0x901
	v_mul_f64_e32 v[175:176], v[2:3], v[20:21]
	v_mul_f64_e32 v[20:21], v[4:5], v[20:21]
	v_add_f64_e32 v[171:172], v[171:172], v[183:184]
	v_add_f64_e32 v[173:174], v[173:174], v[177:178]
	s_wait_loadcnt_dscnt 0x800
	v_mul_f64_e32 v[177:178], v[6:7], v[24:25]
	v_mul_f64_e32 v[24:25], v[8:9], v[24:25]
	v_fma_f64 v[175:176], v[4:5], v[18:19], v[175:176]
	v_fma_f64 v[183:184], v[2:3], v[18:19], -v[20:21]
	ds_load_b128 v[2:5], v1 offset:1648
	scratch_load_b128 v[18:21], off, off offset:832
	v_add_f64_e32 v[171:172], v[171:172], v[181:182]
	v_add_f64_e32 v[173:174], v[173:174], v[179:180]
	v_fma_f64 v[177:178], v[8:9], v[22:23], v[177:178]
	v_fma_f64 v[181:182], v[6:7], v[22:23], -v[24:25]
	ds_load_b128 v[6:9], v1 offset:1664
	s_wait_loadcnt_dscnt 0x801
	v_mul_f64_e32 v[179:180], v[2:3], v[28:29]
	v_mul_f64_e32 v[28:29], v[4:5], v[28:29]
	scratch_load_b128 v[22:25], off, off offset:848
	v_add_f64_e32 v[171:172], v[171:172], v[183:184]
	v_add_f64_e32 v[173:174], v[173:174], v[175:176]
	s_wait_loadcnt_dscnt 0x800
	v_mul_f64_e32 v[175:176], v[6:7], v[32:33]
	v_mul_f64_e32 v[32:33], v[8:9], v[32:33]
	v_fma_f64 v[179:180], v[4:5], v[26:27], v[179:180]
	v_fma_f64 v[183:184], v[2:3], v[26:27], -v[28:29]
	ds_load_b128 v[2:5], v1 offset:1680
	scratch_load_b128 v[26:29], off, off offset:864
	v_add_f64_e32 v[171:172], v[171:172], v[181:182]
	v_add_f64_e32 v[173:174], v[173:174], v[177:178]
	v_fma_f64 v[175:176], v[8:9], v[30:31], v[175:176]
	v_fma_f64 v[181:182], v[6:7], v[30:31], -v[32:33]
	ds_load_b128 v[6:9], v1 offset:1696
	s_wait_loadcnt_dscnt 0x801
	v_mul_f64_e32 v[177:178], v[2:3], v[40:41]
	v_mul_f64_e32 v[40:41], v[4:5], v[40:41]
	scratch_load_b128 v[30:33], off, off offset:880
	v_add_f64_e32 v[171:172], v[171:172], v[183:184]
	v_add_f64_e32 v[173:174], v[173:174], v[179:180]
	s_wait_loadcnt_dscnt 0x800
	v_mul_f64_e32 v[179:180], v[6:7], v[169:170]
	v_mul_f64_e32 v[169:170], v[8:9], v[169:170]
	v_fma_f64 v[177:178], v[4:5], v[38:39], v[177:178]
	v_fma_f64 v[183:184], v[2:3], v[38:39], -v[40:41]
	ds_load_b128 v[2:5], v1 offset:1712
	scratch_load_b128 v[38:41], off, off offset:896
	v_add_f64_e32 v[171:172], v[171:172], v[181:182]
	v_add_f64_e32 v[173:174], v[173:174], v[175:176]
	v_fma_f64 v[179:180], v[8:9], v[167:168], v[179:180]
	v_fma_f64 v[181:182], v[6:7], v[167:168], -v[169:170]
	ds_load_b128 v[6:9], v1 offset:1728
	scratch_load_b128 v[167:170], off, off offset:912
	s_wait_loadcnt_dscnt 0x901
	v_mul_f64_e32 v[175:176], v[2:3], v[36:37]
	v_mul_f64_e32 v[36:37], v[4:5], v[36:37]
	v_add_f64_e32 v[171:172], v[171:172], v[183:184]
	v_add_f64_e32 v[173:174], v[173:174], v[177:178]
	s_wait_loadcnt_dscnt 0x800
	v_mul_f64_e32 v[177:178], v[6:7], v[165:166]
	v_mul_f64_e32 v[165:166], v[8:9], v[165:166]
	v_fma_f64 v[175:176], v[4:5], v[34:35], v[175:176]
	v_fma_f64 v[183:184], v[2:3], v[34:35], -v[36:37]
	ds_load_b128 v[2:5], v1 offset:1744
	scratch_load_b128 v[34:37], off, off offset:928
	v_add_f64_e32 v[171:172], v[171:172], v[181:182]
	v_add_f64_e32 v[173:174], v[173:174], v[179:180]
	v_fma_f64 v[177:178], v[8:9], v[163:164], v[177:178]
	v_fma_f64 v[181:182], v[6:7], v[163:164], -v[165:166]
	ds_load_b128 v[6:9], v1 offset:1760
	s_wait_loadcnt_dscnt 0x801
	v_mul_f64_e32 v[179:180], v[2:3], v[12:13]
	v_mul_f64_e32 v[12:13], v[4:5], v[12:13]
	scratch_load_b128 v[163:166], off, off offset:944
	v_add_f64_e32 v[171:172], v[171:172], v[183:184]
	v_add_f64_e32 v[173:174], v[173:174], v[175:176]
	s_wait_loadcnt_dscnt 0x800
	v_mul_f64_e32 v[175:176], v[6:7], v[16:17]
	v_mul_f64_e32 v[16:17], v[8:9], v[16:17]
	v_fma_f64 v[179:180], v[4:5], v[10:11], v[179:180]
	v_fma_f64 v[183:184], v[2:3], v[10:11], -v[12:13]
	ds_load_b128 v[2:5], v1 offset:1776
	scratch_load_b128 v[10:13], off, off offset:960
	v_add_f64_e32 v[171:172], v[171:172], v[181:182]
	v_add_f64_e32 v[173:174], v[173:174], v[177:178]
	v_fma_f64 v[175:176], v[8:9], v[14:15], v[175:176]
	v_fma_f64 v[14:15], v[6:7], v[14:15], -v[16:17]
	ds_load_b128 v[6:9], v1 offset:1792
	s_wait_loadcnt_dscnt 0x801
	v_mul_f64_e32 v[177:178], v[2:3], v[20:21]
	v_mul_f64_e32 v[20:21], v[4:5], v[20:21]
	v_add_f64_e32 v[16:17], v[171:172], v[183:184]
	v_add_f64_e32 v[171:172], v[173:174], v[179:180]
	s_wait_loadcnt_dscnt 0x700
	v_mul_f64_e32 v[173:174], v[6:7], v[24:25]
	v_mul_f64_e32 v[24:25], v[8:9], v[24:25]
	v_fma_f64 v[177:178], v[4:5], v[18:19], v[177:178]
	v_fma_f64 v[18:19], v[2:3], v[18:19], -v[20:21]
	ds_load_b128 v[2:5], v1 offset:1808
	v_add_f64_e32 v[14:15], v[16:17], v[14:15]
	v_add_f64_e32 v[16:17], v[171:172], v[175:176]
	v_fma_f64 v[171:172], v[8:9], v[22:23], v[173:174]
	v_fma_f64 v[22:23], v[6:7], v[22:23], -v[24:25]
	ds_load_b128 v[6:9], v1 offset:1824
	s_wait_loadcnt_dscnt 0x500
	v_mul_f64_e32 v[173:174], v[6:7], v[32:33]
	v_mul_f64_e32 v[32:33], v[8:9], v[32:33]
	v_add_f64_e32 v[18:19], v[14:15], v[18:19]
	v_add_f64_e32 v[24:25], v[16:17], v[177:178]
	scratch_load_b128 v[14:17], off, off offset:592
	v_mul_f64_e32 v[20:21], v[2:3], v[28:29]
	v_mul_f64_e32 v[28:29], v[4:5], v[28:29]
	v_add_f64_e32 v[18:19], v[18:19], v[22:23]
	v_add_f64_e32 v[22:23], v[24:25], v[171:172]
	s_delay_alu instid0(VALU_DEP_4) | instskip(NEXT) | instid1(VALU_DEP_4)
	v_fma_f64 v[20:21], v[4:5], v[26:27], v[20:21]
	v_fma_f64 v[26:27], v[2:3], v[26:27], -v[28:29]
	ds_load_b128 v[2:5], v1 offset:1840
	s_wait_loadcnt_dscnt 0x500
	v_mul_f64_e32 v[24:25], v[2:3], v[40:41]
	v_mul_f64_e32 v[28:29], v[4:5], v[40:41]
	v_fma_f64 v[40:41], v[8:9], v[30:31], v[173:174]
	v_fma_f64 v[30:31], v[6:7], v[30:31], -v[32:33]
	ds_load_b128 v[6:9], v1 offset:1856
	v_add_f64_e32 v[20:21], v[22:23], v[20:21]
	v_add_f64_e32 v[18:19], v[18:19], v[26:27]
	v_fma_f64 v[24:25], v[4:5], v[38:39], v[24:25]
	v_fma_f64 v[28:29], v[2:3], v[38:39], -v[28:29]
	ds_load_b128 v[2:5], v1 offset:1872
	s_wait_loadcnt_dscnt 0x401
	v_mul_f64_e32 v[22:23], v[6:7], v[169:170]
	v_mul_f64_e32 v[26:27], v[8:9], v[169:170]
	v_add_f64_e32 v[20:21], v[20:21], v[40:41]
	v_add_f64_e32 v[18:19], v[18:19], v[30:31]
	s_wait_loadcnt_dscnt 0x300
	v_mul_f64_e32 v[30:31], v[2:3], v[36:37]
	v_mul_f64_e32 v[32:33], v[4:5], v[36:37]
	v_fma_f64 v[22:23], v[8:9], v[167:168], v[22:23]
	v_fma_f64 v[26:27], v[6:7], v[167:168], -v[26:27]
	ds_load_b128 v[6:9], v1 offset:1888
	v_add_f64_e32 v[20:21], v[20:21], v[24:25]
	v_add_f64_e32 v[18:19], v[18:19], v[28:29]
	v_fma_f64 v[30:31], v[4:5], v[34:35], v[30:31]
	v_fma_f64 v[32:33], v[2:3], v[34:35], -v[32:33]
	ds_load_b128 v[2:5], v1 offset:1904
	s_wait_loadcnt_dscnt 0x201
	v_mul_f64_e32 v[24:25], v[6:7], v[165:166]
	v_mul_f64_e32 v[28:29], v[8:9], v[165:166]
	v_add_f64_e32 v[20:21], v[20:21], v[22:23]
	v_add_f64_e32 v[18:19], v[18:19], v[26:27]
	s_wait_loadcnt_dscnt 0x100
	v_mul_f64_e32 v[22:23], v[2:3], v[12:13]
	v_mul_f64_e32 v[12:13], v[4:5], v[12:13]
	v_fma_f64 v[8:9], v[8:9], v[163:164], v[24:25]
	v_fma_f64 v[6:7], v[6:7], v[163:164], -v[28:29]
	v_add_f64_e32 v[20:21], v[20:21], v[30:31]
	v_add_f64_e32 v[18:19], v[18:19], v[32:33]
	v_fma_f64 v[4:5], v[4:5], v[10:11], v[22:23]
	v_fma_f64 v[2:3], v[2:3], v[10:11], -v[12:13]
	s_delay_alu instid0(VALU_DEP_4) | instskip(NEXT) | instid1(VALU_DEP_4)
	v_add_f64_e32 v[8:9], v[20:21], v[8:9]
	v_add_f64_e32 v[6:7], v[18:19], v[6:7]
	s_delay_alu instid0(VALU_DEP_2) | instskip(NEXT) | instid1(VALU_DEP_2)
	v_add_f64_e32 v[4:5], v[8:9], v[4:5]
	v_add_f64_e32 v[2:3], v[6:7], v[2:3]
	s_wait_loadcnt 0x0
	s_delay_alu instid0(VALU_DEP_2) | instskip(NEXT) | instid1(VALU_DEP_2)
	v_add_f64_e64 v[4:5], v[16:17], -v[4:5]
	v_add_f64_e64 v[2:3], v[14:15], -v[2:3]
	scratch_store_b128 off, v[2:5], off offset:592
	v_cmpx_lt_u32_e32 35, v0
	s_cbranch_execz .LBB59_303
; %bb.302:
	scratch_load_b128 v[5:8], off, s13
	v_dual_mov_b32 v2, v1 :: v_dual_mov_b32 v3, v1
	v_mov_b32_e32 v4, v1
	scratch_store_b128 off, v[1:4], off offset:576
	s_wait_loadcnt 0x0
	ds_store_b128 v162, v[5:8]
.LBB59_303:
	s_wait_alu 0xfffe
	s_or_b32 exec_lo, exec_lo, s0
	s_wait_storecnt_dscnt 0x0
	s_barrier_signal -1
	s_barrier_wait -1
	global_inv scope:SCOPE_SE
	s_clause 0x7
	scratch_load_b128 v[2:5], off, off offset:592
	scratch_load_b128 v[6:9], off, off offset:608
	;; [unrolled: 1-line block ×8, first 2 shown]
	ds_load_b128 v[34:37], v1 offset:1536
	ds_load_b128 v[163:166], v1 offset:1552
	s_clause 0x1
	scratch_load_b128 v[38:41], off, off offset:720
	scratch_load_b128 v[167:170], off, off offset:736
	s_mov_b32 s0, exec_lo
	s_wait_loadcnt_dscnt 0x901
	v_mul_f64_e32 v[171:172], v[36:37], v[4:5]
	v_mul_f64_e32 v[4:5], v[34:35], v[4:5]
	s_wait_loadcnt_dscnt 0x800
	v_mul_f64_e32 v[173:174], v[163:164], v[8:9]
	v_mul_f64_e32 v[8:9], v[165:166], v[8:9]
	s_delay_alu instid0(VALU_DEP_4) | instskip(NEXT) | instid1(VALU_DEP_4)
	v_fma_f64 v[171:172], v[34:35], v[2:3], -v[171:172]
	v_fma_f64 v[175:176], v[36:37], v[2:3], v[4:5]
	ds_load_b128 v[2:5], v1 offset:1568
	scratch_load_b128 v[34:37], off, off offset:752
	v_fma_f64 v[173:174], v[165:166], v[6:7], v[173:174]
	v_fma_f64 v[179:180], v[163:164], v[6:7], -v[8:9]
	ds_load_b128 v[6:9], v1 offset:1584
	scratch_load_b128 v[163:166], off, off offset:768
	s_wait_loadcnt_dscnt 0x901
	v_mul_f64_e32 v[177:178], v[2:3], v[12:13]
	v_mul_f64_e32 v[12:13], v[4:5], v[12:13]
	s_wait_loadcnt_dscnt 0x800
	v_mul_f64_e32 v[181:182], v[6:7], v[16:17]
	v_mul_f64_e32 v[16:17], v[8:9], v[16:17]
	v_add_f64_e32 v[171:172], 0, v[171:172]
	v_add_f64_e32 v[175:176], 0, v[175:176]
	v_fma_f64 v[177:178], v[4:5], v[10:11], v[177:178]
	v_fma_f64 v[183:184], v[2:3], v[10:11], -v[12:13]
	ds_load_b128 v[2:5], v1 offset:1600
	scratch_load_b128 v[10:13], off, off offset:784
	v_add_f64_e32 v[171:172], v[171:172], v[179:180]
	v_add_f64_e32 v[173:174], v[175:176], v[173:174]
	v_fma_f64 v[179:180], v[8:9], v[14:15], v[181:182]
	v_fma_f64 v[181:182], v[6:7], v[14:15], -v[16:17]
	ds_load_b128 v[6:9], v1 offset:1616
	scratch_load_b128 v[14:17], off, off offset:800
	s_wait_loadcnt_dscnt 0x901
	v_mul_f64_e32 v[175:176], v[2:3], v[20:21]
	v_mul_f64_e32 v[20:21], v[4:5], v[20:21]
	v_add_f64_e32 v[171:172], v[171:172], v[183:184]
	v_add_f64_e32 v[173:174], v[173:174], v[177:178]
	s_wait_loadcnt_dscnt 0x800
	v_mul_f64_e32 v[177:178], v[6:7], v[24:25]
	v_mul_f64_e32 v[24:25], v[8:9], v[24:25]
	v_fma_f64 v[175:176], v[4:5], v[18:19], v[175:176]
	v_fma_f64 v[183:184], v[2:3], v[18:19], -v[20:21]
	ds_load_b128 v[2:5], v1 offset:1632
	scratch_load_b128 v[18:21], off, off offset:816
	v_add_f64_e32 v[171:172], v[171:172], v[181:182]
	v_add_f64_e32 v[173:174], v[173:174], v[179:180]
	v_fma_f64 v[177:178], v[8:9], v[22:23], v[177:178]
	v_fma_f64 v[181:182], v[6:7], v[22:23], -v[24:25]
	ds_load_b128 v[6:9], v1 offset:1648
	s_wait_loadcnt_dscnt 0x801
	v_mul_f64_e32 v[179:180], v[2:3], v[28:29]
	v_mul_f64_e32 v[28:29], v[4:5], v[28:29]
	scratch_load_b128 v[22:25], off, off offset:832
	v_add_f64_e32 v[171:172], v[171:172], v[183:184]
	v_add_f64_e32 v[173:174], v[173:174], v[175:176]
	s_wait_loadcnt_dscnt 0x800
	v_mul_f64_e32 v[175:176], v[6:7], v[32:33]
	v_mul_f64_e32 v[32:33], v[8:9], v[32:33]
	v_fma_f64 v[179:180], v[4:5], v[26:27], v[179:180]
	v_fma_f64 v[183:184], v[2:3], v[26:27], -v[28:29]
	ds_load_b128 v[2:5], v1 offset:1664
	scratch_load_b128 v[26:29], off, off offset:848
	v_add_f64_e32 v[171:172], v[171:172], v[181:182]
	v_add_f64_e32 v[173:174], v[173:174], v[177:178]
	v_fma_f64 v[175:176], v[8:9], v[30:31], v[175:176]
	v_fma_f64 v[181:182], v[6:7], v[30:31], -v[32:33]
	ds_load_b128 v[6:9], v1 offset:1680
	s_wait_loadcnt_dscnt 0x801
	v_mul_f64_e32 v[177:178], v[2:3], v[40:41]
	v_mul_f64_e32 v[40:41], v[4:5], v[40:41]
	scratch_load_b128 v[30:33], off, off offset:864
	v_add_f64_e32 v[171:172], v[171:172], v[183:184]
	v_add_f64_e32 v[173:174], v[173:174], v[179:180]
	s_wait_loadcnt_dscnt 0x800
	v_mul_f64_e32 v[179:180], v[6:7], v[169:170]
	v_mul_f64_e32 v[169:170], v[8:9], v[169:170]
	v_fma_f64 v[177:178], v[4:5], v[38:39], v[177:178]
	v_fma_f64 v[183:184], v[2:3], v[38:39], -v[40:41]
	ds_load_b128 v[2:5], v1 offset:1696
	scratch_load_b128 v[38:41], off, off offset:880
	v_add_f64_e32 v[171:172], v[171:172], v[181:182]
	v_add_f64_e32 v[173:174], v[173:174], v[175:176]
	v_fma_f64 v[179:180], v[8:9], v[167:168], v[179:180]
	v_fma_f64 v[181:182], v[6:7], v[167:168], -v[169:170]
	ds_load_b128 v[6:9], v1 offset:1712
	scratch_load_b128 v[167:170], off, off offset:896
	s_wait_loadcnt_dscnt 0x901
	v_mul_f64_e32 v[175:176], v[2:3], v[36:37]
	v_mul_f64_e32 v[36:37], v[4:5], v[36:37]
	v_add_f64_e32 v[171:172], v[171:172], v[183:184]
	v_add_f64_e32 v[173:174], v[173:174], v[177:178]
	s_wait_loadcnt_dscnt 0x800
	v_mul_f64_e32 v[177:178], v[6:7], v[165:166]
	v_mul_f64_e32 v[165:166], v[8:9], v[165:166]
	v_fma_f64 v[175:176], v[4:5], v[34:35], v[175:176]
	v_fma_f64 v[183:184], v[2:3], v[34:35], -v[36:37]
	ds_load_b128 v[2:5], v1 offset:1728
	scratch_load_b128 v[34:37], off, off offset:912
	v_add_f64_e32 v[171:172], v[171:172], v[181:182]
	v_add_f64_e32 v[173:174], v[173:174], v[179:180]
	v_fma_f64 v[177:178], v[8:9], v[163:164], v[177:178]
	v_fma_f64 v[181:182], v[6:7], v[163:164], -v[165:166]
	ds_load_b128 v[6:9], v1 offset:1744
	s_wait_loadcnt_dscnt 0x801
	v_mul_f64_e32 v[179:180], v[2:3], v[12:13]
	v_mul_f64_e32 v[12:13], v[4:5], v[12:13]
	scratch_load_b128 v[163:166], off, off offset:928
	v_add_f64_e32 v[171:172], v[171:172], v[183:184]
	v_add_f64_e32 v[173:174], v[173:174], v[175:176]
	s_wait_loadcnt_dscnt 0x800
	v_mul_f64_e32 v[175:176], v[6:7], v[16:17]
	v_mul_f64_e32 v[16:17], v[8:9], v[16:17]
	v_fma_f64 v[179:180], v[4:5], v[10:11], v[179:180]
	v_fma_f64 v[183:184], v[2:3], v[10:11], -v[12:13]
	ds_load_b128 v[2:5], v1 offset:1760
	scratch_load_b128 v[10:13], off, off offset:944
	v_add_f64_e32 v[171:172], v[171:172], v[181:182]
	v_add_f64_e32 v[173:174], v[173:174], v[177:178]
	v_fma_f64 v[175:176], v[8:9], v[14:15], v[175:176]
	v_fma_f64 v[181:182], v[6:7], v[14:15], -v[16:17]
	ds_load_b128 v[6:9], v1 offset:1776
	s_wait_loadcnt_dscnt 0x801
	v_mul_f64_e32 v[177:178], v[2:3], v[20:21]
	v_mul_f64_e32 v[20:21], v[4:5], v[20:21]
	scratch_load_b128 v[14:17], off, off offset:960
	v_add_f64_e32 v[171:172], v[171:172], v[183:184]
	v_add_f64_e32 v[173:174], v[173:174], v[179:180]
	s_wait_loadcnt_dscnt 0x800
	v_mul_f64_e32 v[179:180], v[6:7], v[24:25]
	v_mul_f64_e32 v[24:25], v[8:9], v[24:25]
	v_fma_f64 v[177:178], v[4:5], v[18:19], v[177:178]
	v_fma_f64 v[18:19], v[2:3], v[18:19], -v[20:21]
	ds_load_b128 v[2:5], v1 offset:1792
	v_add_f64_e32 v[20:21], v[171:172], v[181:182]
	v_add_f64_e32 v[171:172], v[173:174], v[175:176]
	v_fma_f64 v[175:176], v[8:9], v[22:23], v[179:180]
	v_fma_f64 v[22:23], v[6:7], v[22:23], -v[24:25]
	ds_load_b128 v[6:9], v1 offset:1808
	s_wait_loadcnt_dscnt 0x701
	v_mul_f64_e32 v[173:174], v[2:3], v[28:29]
	v_mul_f64_e32 v[28:29], v[4:5], v[28:29]
	v_add_f64_e32 v[18:19], v[20:21], v[18:19]
	v_add_f64_e32 v[20:21], v[171:172], v[177:178]
	s_delay_alu instid0(VALU_DEP_4) | instskip(NEXT) | instid1(VALU_DEP_4)
	v_fma_f64 v[171:172], v[4:5], v[26:27], v[173:174]
	v_fma_f64 v[26:27], v[2:3], v[26:27], -v[28:29]
	ds_load_b128 v[2:5], v1 offset:1824
	v_add_f64_e32 v[22:23], v[18:19], v[22:23]
	v_add_f64_e32 v[28:29], v[20:21], v[175:176]
	scratch_load_b128 v[18:21], off, off offset:576
	s_wait_loadcnt_dscnt 0x701
	v_mul_f64_e32 v[24:25], v[6:7], v[32:33]
	v_mul_f64_e32 v[32:33], v[8:9], v[32:33]
	v_add_f64_e32 v[22:23], v[22:23], v[26:27]
	v_add_f64_e32 v[26:27], v[28:29], v[171:172]
	s_delay_alu instid0(VALU_DEP_4) | instskip(NEXT) | instid1(VALU_DEP_4)
	v_fma_f64 v[24:25], v[8:9], v[30:31], v[24:25]
	v_fma_f64 v[30:31], v[6:7], v[30:31], -v[32:33]
	ds_load_b128 v[6:9], v1 offset:1840
	s_wait_loadcnt_dscnt 0x601
	v_mul_f64_e32 v[173:174], v[2:3], v[40:41]
	v_mul_f64_e32 v[40:41], v[4:5], v[40:41]
	s_wait_loadcnt_dscnt 0x500
	v_mul_f64_e32 v[28:29], v[6:7], v[169:170]
	v_mul_f64_e32 v[32:33], v[8:9], v[169:170]
	v_add_f64_e32 v[24:25], v[26:27], v[24:25]
	v_add_f64_e32 v[22:23], v[22:23], v[30:31]
	v_fma_f64 v[169:170], v[4:5], v[38:39], v[173:174]
	v_fma_f64 v[38:39], v[2:3], v[38:39], -v[40:41]
	ds_load_b128 v[2:5], v1 offset:1856
	v_fma_f64 v[28:29], v[8:9], v[167:168], v[28:29]
	v_fma_f64 v[32:33], v[6:7], v[167:168], -v[32:33]
	ds_load_b128 v[6:9], v1 offset:1872
	s_wait_loadcnt_dscnt 0x401
	v_mul_f64_e32 v[26:27], v[2:3], v[36:37]
	v_mul_f64_e32 v[30:31], v[4:5], v[36:37]
	v_add_f64_e32 v[24:25], v[24:25], v[169:170]
	v_add_f64_e32 v[22:23], v[22:23], v[38:39]
	s_wait_loadcnt_dscnt 0x300
	v_mul_f64_e32 v[36:37], v[6:7], v[165:166]
	v_mul_f64_e32 v[38:39], v[8:9], v[165:166]
	v_fma_f64 v[26:27], v[4:5], v[34:35], v[26:27]
	v_fma_f64 v[30:31], v[2:3], v[34:35], -v[30:31]
	ds_load_b128 v[2:5], v1 offset:1888
	v_add_f64_e32 v[24:25], v[24:25], v[28:29]
	v_add_f64_e32 v[22:23], v[22:23], v[32:33]
	v_fma_f64 v[32:33], v[8:9], v[163:164], v[36:37]
	v_fma_f64 v[34:35], v[6:7], v[163:164], -v[38:39]
	ds_load_b128 v[6:9], v1 offset:1904
	s_wait_loadcnt_dscnt 0x201
	v_mul_f64_e32 v[28:29], v[2:3], v[12:13]
	v_mul_f64_e32 v[12:13], v[4:5], v[12:13]
	v_add_f64_e32 v[24:25], v[24:25], v[26:27]
	v_add_f64_e32 v[22:23], v[22:23], v[30:31]
	s_wait_loadcnt_dscnt 0x100
	v_mul_f64_e32 v[26:27], v[6:7], v[16:17]
	v_mul_f64_e32 v[16:17], v[8:9], v[16:17]
	v_fma_f64 v[4:5], v[4:5], v[10:11], v[28:29]
	v_fma_f64 v[1:2], v[2:3], v[10:11], -v[12:13]
	v_add_f64_e32 v[12:13], v[24:25], v[32:33]
	v_add_f64_e32 v[10:11], v[22:23], v[34:35]
	v_fma_f64 v[8:9], v[8:9], v[14:15], v[26:27]
	v_fma_f64 v[6:7], v[6:7], v[14:15], -v[16:17]
	s_delay_alu instid0(VALU_DEP_4) | instskip(NEXT) | instid1(VALU_DEP_4)
	v_add_f64_e32 v[3:4], v[12:13], v[4:5]
	v_add_f64_e32 v[1:2], v[10:11], v[1:2]
	s_delay_alu instid0(VALU_DEP_2) | instskip(NEXT) | instid1(VALU_DEP_2)
	v_add_f64_e32 v[3:4], v[3:4], v[8:9]
	v_add_f64_e32 v[1:2], v[1:2], v[6:7]
	s_wait_loadcnt 0x0
	s_delay_alu instid0(VALU_DEP_2) | instskip(NEXT) | instid1(VALU_DEP_2)
	v_add_f64_e64 v[3:4], v[20:21], -v[3:4]
	v_add_f64_e64 v[1:2], v[18:19], -v[1:2]
	scratch_store_b128 off, v[1:4], off offset:576
	v_cmpx_lt_u32_e32 34, v0
	s_cbranch_execz .LBB59_305
; %bb.304:
	scratch_load_b128 v[1:4], off, s19
	v_mov_b32_e32 v5, 0
	s_delay_alu instid0(VALU_DEP_1)
	v_dual_mov_b32 v6, v5 :: v_dual_mov_b32 v7, v5
	v_mov_b32_e32 v8, v5
	scratch_store_b128 off, v[5:8], off offset:560
	s_wait_loadcnt 0x0
	ds_store_b128 v162, v[1:4]
.LBB59_305:
	s_wait_alu 0xfffe
	s_or_b32 exec_lo, exec_lo, s0
	s_wait_storecnt_dscnt 0x0
	s_barrier_signal -1
	s_barrier_wait -1
	global_inv scope:SCOPE_SE
	s_clause 0x7
	scratch_load_b128 v[2:5], off, off offset:576
	scratch_load_b128 v[6:9], off, off offset:592
	;; [unrolled: 1-line block ×8, first 2 shown]
	v_mov_b32_e32 v1, 0
	s_clause 0x1
	scratch_load_b128 v[38:41], off, off offset:704
	scratch_load_b128 v[167:170], off, off offset:720
	s_mov_b32 s0, exec_lo
	ds_load_b128 v[34:37], v1 offset:1520
	ds_load_b128 v[163:166], v1 offset:1536
	s_wait_loadcnt_dscnt 0x901
	v_mul_f64_e32 v[171:172], v[36:37], v[4:5]
	v_mul_f64_e32 v[4:5], v[34:35], v[4:5]
	s_wait_loadcnt_dscnt 0x800
	v_mul_f64_e32 v[173:174], v[163:164], v[8:9]
	v_mul_f64_e32 v[8:9], v[165:166], v[8:9]
	s_delay_alu instid0(VALU_DEP_4) | instskip(NEXT) | instid1(VALU_DEP_4)
	v_fma_f64 v[171:172], v[34:35], v[2:3], -v[171:172]
	v_fma_f64 v[175:176], v[36:37], v[2:3], v[4:5]
	ds_load_b128 v[2:5], v1 offset:1552
	scratch_load_b128 v[34:37], off, off offset:736
	v_fma_f64 v[173:174], v[165:166], v[6:7], v[173:174]
	v_fma_f64 v[179:180], v[163:164], v[6:7], -v[8:9]
	ds_load_b128 v[6:9], v1 offset:1568
	scratch_load_b128 v[163:166], off, off offset:752
	s_wait_loadcnt_dscnt 0x901
	v_mul_f64_e32 v[177:178], v[2:3], v[12:13]
	v_mul_f64_e32 v[12:13], v[4:5], v[12:13]
	s_wait_loadcnt_dscnt 0x800
	v_mul_f64_e32 v[181:182], v[6:7], v[16:17]
	v_mul_f64_e32 v[16:17], v[8:9], v[16:17]
	v_add_f64_e32 v[171:172], 0, v[171:172]
	v_add_f64_e32 v[175:176], 0, v[175:176]
	v_fma_f64 v[177:178], v[4:5], v[10:11], v[177:178]
	v_fma_f64 v[183:184], v[2:3], v[10:11], -v[12:13]
	ds_load_b128 v[2:5], v1 offset:1584
	scratch_load_b128 v[10:13], off, off offset:768
	v_add_f64_e32 v[171:172], v[171:172], v[179:180]
	v_add_f64_e32 v[173:174], v[175:176], v[173:174]
	v_fma_f64 v[179:180], v[8:9], v[14:15], v[181:182]
	v_fma_f64 v[181:182], v[6:7], v[14:15], -v[16:17]
	ds_load_b128 v[6:9], v1 offset:1600
	scratch_load_b128 v[14:17], off, off offset:784
	s_wait_loadcnt_dscnt 0x901
	v_mul_f64_e32 v[175:176], v[2:3], v[20:21]
	v_mul_f64_e32 v[20:21], v[4:5], v[20:21]
	v_add_f64_e32 v[171:172], v[171:172], v[183:184]
	v_add_f64_e32 v[173:174], v[173:174], v[177:178]
	s_wait_loadcnt_dscnt 0x800
	v_mul_f64_e32 v[177:178], v[6:7], v[24:25]
	v_mul_f64_e32 v[24:25], v[8:9], v[24:25]
	v_fma_f64 v[175:176], v[4:5], v[18:19], v[175:176]
	v_fma_f64 v[183:184], v[2:3], v[18:19], -v[20:21]
	ds_load_b128 v[2:5], v1 offset:1616
	scratch_load_b128 v[18:21], off, off offset:800
	v_add_f64_e32 v[171:172], v[171:172], v[181:182]
	v_add_f64_e32 v[173:174], v[173:174], v[179:180]
	v_fma_f64 v[177:178], v[8:9], v[22:23], v[177:178]
	v_fma_f64 v[181:182], v[6:7], v[22:23], -v[24:25]
	ds_load_b128 v[6:9], v1 offset:1632
	s_wait_loadcnt_dscnt 0x801
	v_mul_f64_e32 v[179:180], v[2:3], v[28:29]
	v_mul_f64_e32 v[28:29], v[4:5], v[28:29]
	scratch_load_b128 v[22:25], off, off offset:816
	v_add_f64_e32 v[171:172], v[171:172], v[183:184]
	v_add_f64_e32 v[173:174], v[173:174], v[175:176]
	s_wait_loadcnt_dscnt 0x800
	v_mul_f64_e32 v[175:176], v[6:7], v[32:33]
	v_mul_f64_e32 v[32:33], v[8:9], v[32:33]
	v_fma_f64 v[179:180], v[4:5], v[26:27], v[179:180]
	v_fma_f64 v[183:184], v[2:3], v[26:27], -v[28:29]
	ds_load_b128 v[2:5], v1 offset:1648
	scratch_load_b128 v[26:29], off, off offset:832
	v_add_f64_e32 v[171:172], v[171:172], v[181:182]
	v_add_f64_e32 v[173:174], v[173:174], v[177:178]
	v_fma_f64 v[175:176], v[8:9], v[30:31], v[175:176]
	v_fma_f64 v[181:182], v[6:7], v[30:31], -v[32:33]
	ds_load_b128 v[6:9], v1 offset:1664
	s_wait_loadcnt_dscnt 0x801
	v_mul_f64_e32 v[177:178], v[2:3], v[40:41]
	v_mul_f64_e32 v[40:41], v[4:5], v[40:41]
	scratch_load_b128 v[30:33], off, off offset:848
	v_add_f64_e32 v[171:172], v[171:172], v[183:184]
	v_add_f64_e32 v[173:174], v[173:174], v[179:180]
	s_wait_loadcnt_dscnt 0x800
	v_mul_f64_e32 v[179:180], v[6:7], v[169:170]
	v_mul_f64_e32 v[169:170], v[8:9], v[169:170]
	v_fma_f64 v[177:178], v[4:5], v[38:39], v[177:178]
	v_fma_f64 v[183:184], v[2:3], v[38:39], -v[40:41]
	ds_load_b128 v[2:5], v1 offset:1680
	scratch_load_b128 v[38:41], off, off offset:864
	v_add_f64_e32 v[171:172], v[171:172], v[181:182]
	v_add_f64_e32 v[173:174], v[173:174], v[175:176]
	v_fma_f64 v[179:180], v[8:9], v[167:168], v[179:180]
	v_fma_f64 v[181:182], v[6:7], v[167:168], -v[169:170]
	ds_load_b128 v[6:9], v1 offset:1696
	scratch_load_b128 v[167:170], off, off offset:880
	s_wait_loadcnt_dscnt 0x901
	v_mul_f64_e32 v[175:176], v[2:3], v[36:37]
	v_mul_f64_e32 v[36:37], v[4:5], v[36:37]
	v_add_f64_e32 v[171:172], v[171:172], v[183:184]
	v_add_f64_e32 v[173:174], v[173:174], v[177:178]
	s_wait_loadcnt_dscnt 0x800
	v_mul_f64_e32 v[177:178], v[6:7], v[165:166]
	v_mul_f64_e32 v[165:166], v[8:9], v[165:166]
	v_fma_f64 v[175:176], v[4:5], v[34:35], v[175:176]
	v_fma_f64 v[183:184], v[2:3], v[34:35], -v[36:37]
	ds_load_b128 v[2:5], v1 offset:1712
	scratch_load_b128 v[34:37], off, off offset:896
	v_add_f64_e32 v[171:172], v[171:172], v[181:182]
	v_add_f64_e32 v[173:174], v[173:174], v[179:180]
	v_fma_f64 v[177:178], v[8:9], v[163:164], v[177:178]
	v_fma_f64 v[181:182], v[6:7], v[163:164], -v[165:166]
	ds_load_b128 v[6:9], v1 offset:1728
	s_wait_loadcnt_dscnt 0x801
	v_mul_f64_e32 v[179:180], v[2:3], v[12:13]
	v_mul_f64_e32 v[12:13], v[4:5], v[12:13]
	scratch_load_b128 v[163:166], off, off offset:912
	v_add_f64_e32 v[171:172], v[171:172], v[183:184]
	v_add_f64_e32 v[173:174], v[173:174], v[175:176]
	s_wait_loadcnt_dscnt 0x800
	v_mul_f64_e32 v[175:176], v[6:7], v[16:17]
	v_mul_f64_e32 v[16:17], v[8:9], v[16:17]
	v_fma_f64 v[179:180], v[4:5], v[10:11], v[179:180]
	v_fma_f64 v[183:184], v[2:3], v[10:11], -v[12:13]
	ds_load_b128 v[2:5], v1 offset:1744
	scratch_load_b128 v[10:13], off, off offset:928
	v_add_f64_e32 v[171:172], v[171:172], v[181:182]
	v_add_f64_e32 v[173:174], v[173:174], v[177:178]
	v_fma_f64 v[175:176], v[8:9], v[14:15], v[175:176]
	v_fma_f64 v[181:182], v[6:7], v[14:15], -v[16:17]
	ds_load_b128 v[6:9], v1 offset:1760
	s_wait_loadcnt_dscnt 0x801
	v_mul_f64_e32 v[177:178], v[2:3], v[20:21]
	v_mul_f64_e32 v[20:21], v[4:5], v[20:21]
	scratch_load_b128 v[14:17], off, off offset:944
	v_add_f64_e32 v[171:172], v[171:172], v[183:184]
	v_add_f64_e32 v[173:174], v[173:174], v[179:180]
	s_wait_loadcnt_dscnt 0x800
	v_mul_f64_e32 v[179:180], v[6:7], v[24:25]
	v_mul_f64_e32 v[24:25], v[8:9], v[24:25]
	v_fma_f64 v[177:178], v[4:5], v[18:19], v[177:178]
	v_fma_f64 v[183:184], v[2:3], v[18:19], -v[20:21]
	ds_load_b128 v[2:5], v1 offset:1776
	scratch_load_b128 v[18:21], off, off offset:960
	v_add_f64_e32 v[171:172], v[171:172], v[181:182]
	v_add_f64_e32 v[173:174], v[173:174], v[175:176]
	v_fma_f64 v[179:180], v[8:9], v[22:23], v[179:180]
	v_fma_f64 v[22:23], v[6:7], v[22:23], -v[24:25]
	ds_load_b128 v[6:9], v1 offset:1792
	s_wait_loadcnt_dscnt 0x801
	v_mul_f64_e32 v[175:176], v[2:3], v[28:29]
	v_mul_f64_e32 v[28:29], v[4:5], v[28:29]
	v_add_f64_e32 v[24:25], v[171:172], v[183:184]
	v_add_f64_e32 v[171:172], v[173:174], v[177:178]
	s_wait_loadcnt_dscnt 0x700
	v_mul_f64_e32 v[173:174], v[6:7], v[32:33]
	v_mul_f64_e32 v[32:33], v[8:9], v[32:33]
	v_fma_f64 v[175:176], v[4:5], v[26:27], v[175:176]
	v_fma_f64 v[26:27], v[2:3], v[26:27], -v[28:29]
	ds_load_b128 v[2:5], v1 offset:1808
	v_add_f64_e32 v[22:23], v[24:25], v[22:23]
	v_add_f64_e32 v[24:25], v[171:172], v[179:180]
	v_fma_f64 v[171:172], v[8:9], v[30:31], v[173:174]
	v_fma_f64 v[30:31], v[6:7], v[30:31], -v[32:33]
	ds_load_b128 v[6:9], v1 offset:1824
	s_wait_loadcnt_dscnt 0x500
	v_mul_f64_e32 v[173:174], v[6:7], v[169:170]
	v_mul_f64_e32 v[169:170], v[8:9], v[169:170]
	v_add_f64_e32 v[26:27], v[22:23], v[26:27]
	v_add_f64_e32 v[32:33], v[24:25], v[175:176]
	scratch_load_b128 v[22:25], off, off offset:560
	v_mul_f64_e32 v[28:29], v[2:3], v[40:41]
	v_mul_f64_e32 v[40:41], v[4:5], v[40:41]
	v_add_f64_e32 v[26:27], v[26:27], v[30:31]
	v_add_f64_e32 v[30:31], v[32:33], v[171:172]
	s_delay_alu instid0(VALU_DEP_4) | instskip(NEXT) | instid1(VALU_DEP_4)
	v_fma_f64 v[28:29], v[4:5], v[38:39], v[28:29]
	v_fma_f64 v[38:39], v[2:3], v[38:39], -v[40:41]
	ds_load_b128 v[2:5], v1 offset:1840
	v_fma_f64 v[40:41], v[8:9], v[167:168], v[173:174]
	v_fma_f64 v[167:168], v[6:7], v[167:168], -v[169:170]
	ds_load_b128 v[6:9], v1 offset:1856
	s_wait_loadcnt_dscnt 0x501
	v_mul_f64_e32 v[32:33], v[2:3], v[36:37]
	v_mul_f64_e32 v[36:37], v[4:5], v[36:37]
	v_add_f64_e32 v[28:29], v[30:31], v[28:29]
	v_add_f64_e32 v[26:27], v[26:27], v[38:39]
	s_wait_loadcnt_dscnt 0x400
	v_mul_f64_e32 v[30:31], v[6:7], v[165:166]
	v_mul_f64_e32 v[38:39], v[8:9], v[165:166]
	v_fma_f64 v[32:33], v[4:5], v[34:35], v[32:33]
	v_fma_f64 v[34:35], v[2:3], v[34:35], -v[36:37]
	ds_load_b128 v[2:5], v1 offset:1872
	v_add_f64_e32 v[28:29], v[28:29], v[40:41]
	v_add_f64_e32 v[26:27], v[26:27], v[167:168]
	v_fma_f64 v[30:31], v[8:9], v[163:164], v[30:31]
	v_fma_f64 v[38:39], v[6:7], v[163:164], -v[38:39]
	ds_load_b128 v[6:9], v1 offset:1888
	s_wait_loadcnt_dscnt 0x301
	v_mul_f64_e32 v[36:37], v[2:3], v[12:13]
	v_mul_f64_e32 v[12:13], v[4:5], v[12:13]
	v_add_f64_e32 v[28:29], v[28:29], v[32:33]
	v_add_f64_e32 v[26:27], v[26:27], v[34:35]
	s_wait_loadcnt_dscnt 0x200
	v_mul_f64_e32 v[32:33], v[6:7], v[16:17]
	v_mul_f64_e32 v[16:17], v[8:9], v[16:17]
	v_fma_f64 v[34:35], v[4:5], v[10:11], v[36:37]
	v_fma_f64 v[10:11], v[2:3], v[10:11], -v[12:13]
	ds_load_b128 v[2:5], v1 offset:1904
	v_add_f64_e32 v[12:13], v[26:27], v[38:39]
	v_add_f64_e32 v[26:27], v[28:29], v[30:31]
	s_wait_loadcnt_dscnt 0x100
	v_mul_f64_e32 v[28:29], v[2:3], v[20:21]
	v_mul_f64_e32 v[20:21], v[4:5], v[20:21]
	v_fma_f64 v[8:9], v[8:9], v[14:15], v[32:33]
	v_fma_f64 v[6:7], v[6:7], v[14:15], -v[16:17]
	v_add_f64_e32 v[10:11], v[12:13], v[10:11]
	v_add_f64_e32 v[12:13], v[26:27], v[34:35]
	v_fma_f64 v[4:5], v[4:5], v[18:19], v[28:29]
	v_fma_f64 v[2:3], v[2:3], v[18:19], -v[20:21]
	s_delay_alu instid0(VALU_DEP_4) | instskip(NEXT) | instid1(VALU_DEP_4)
	v_add_f64_e32 v[6:7], v[10:11], v[6:7]
	v_add_f64_e32 v[8:9], v[12:13], v[8:9]
	s_delay_alu instid0(VALU_DEP_2) | instskip(NEXT) | instid1(VALU_DEP_2)
	v_add_f64_e32 v[2:3], v[6:7], v[2:3]
	v_add_f64_e32 v[4:5], v[8:9], v[4:5]
	s_wait_loadcnt 0x0
	s_delay_alu instid0(VALU_DEP_2) | instskip(NEXT) | instid1(VALU_DEP_2)
	v_add_f64_e64 v[2:3], v[22:23], -v[2:3]
	v_add_f64_e64 v[4:5], v[24:25], -v[4:5]
	scratch_store_b128 off, v[2:5], off offset:560
	v_cmpx_lt_u32_e32 33, v0
	s_cbranch_execz .LBB59_307
; %bb.306:
	scratch_load_b128 v[5:8], off, s15
	v_dual_mov_b32 v2, v1 :: v_dual_mov_b32 v3, v1
	v_mov_b32_e32 v4, v1
	scratch_store_b128 off, v[1:4], off offset:544
	s_wait_loadcnt 0x0
	ds_store_b128 v162, v[5:8]
.LBB59_307:
	s_wait_alu 0xfffe
	s_or_b32 exec_lo, exec_lo, s0
	s_wait_storecnt_dscnt 0x0
	s_barrier_signal -1
	s_barrier_wait -1
	global_inv scope:SCOPE_SE
	s_clause 0x7
	scratch_load_b128 v[2:5], off, off offset:560
	scratch_load_b128 v[6:9], off, off offset:576
	;; [unrolled: 1-line block ×8, first 2 shown]
	ds_load_b128 v[34:37], v1 offset:1504
	ds_load_b128 v[163:166], v1 offset:1520
	s_clause 0x1
	scratch_load_b128 v[38:41], off, off offset:688
	scratch_load_b128 v[167:170], off, off offset:704
	s_mov_b32 s0, exec_lo
	s_wait_loadcnt_dscnt 0x901
	v_mul_f64_e32 v[171:172], v[36:37], v[4:5]
	v_mul_f64_e32 v[4:5], v[34:35], v[4:5]
	s_wait_loadcnt_dscnt 0x800
	v_mul_f64_e32 v[173:174], v[163:164], v[8:9]
	v_mul_f64_e32 v[8:9], v[165:166], v[8:9]
	s_delay_alu instid0(VALU_DEP_4) | instskip(NEXT) | instid1(VALU_DEP_4)
	v_fma_f64 v[171:172], v[34:35], v[2:3], -v[171:172]
	v_fma_f64 v[175:176], v[36:37], v[2:3], v[4:5]
	ds_load_b128 v[2:5], v1 offset:1536
	scratch_load_b128 v[34:37], off, off offset:720
	v_fma_f64 v[173:174], v[165:166], v[6:7], v[173:174]
	v_fma_f64 v[179:180], v[163:164], v[6:7], -v[8:9]
	ds_load_b128 v[6:9], v1 offset:1552
	scratch_load_b128 v[163:166], off, off offset:736
	s_wait_loadcnt_dscnt 0x901
	v_mul_f64_e32 v[177:178], v[2:3], v[12:13]
	v_mul_f64_e32 v[12:13], v[4:5], v[12:13]
	s_wait_loadcnt_dscnt 0x800
	v_mul_f64_e32 v[181:182], v[6:7], v[16:17]
	v_mul_f64_e32 v[16:17], v[8:9], v[16:17]
	v_add_f64_e32 v[171:172], 0, v[171:172]
	v_add_f64_e32 v[175:176], 0, v[175:176]
	v_fma_f64 v[177:178], v[4:5], v[10:11], v[177:178]
	v_fma_f64 v[183:184], v[2:3], v[10:11], -v[12:13]
	ds_load_b128 v[2:5], v1 offset:1568
	scratch_load_b128 v[10:13], off, off offset:752
	v_add_f64_e32 v[171:172], v[171:172], v[179:180]
	v_add_f64_e32 v[173:174], v[175:176], v[173:174]
	v_fma_f64 v[179:180], v[8:9], v[14:15], v[181:182]
	v_fma_f64 v[181:182], v[6:7], v[14:15], -v[16:17]
	ds_load_b128 v[6:9], v1 offset:1584
	scratch_load_b128 v[14:17], off, off offset:768
	s_wait_loadcnt_dscnt 0x901
	v_mul_f64_e32 v[175:176], v[2:3], v[20:21]
	v_mul_f64_e32 v[20:21], v[4:5], v[20:21]
	v_add_f64_e32 v[171:172], v[171:172], v[183:184]
	v_add_f64_e32 v[173:174], v[173:174], v[177:178]
	s_wait_loadcnt_dscnt 0x800
	v_mul_f64_e32 v[177:178], v[6:7], v[24:25]
	v_mul_f64_e32 v[24:25], v[8:9], v[24:25]
	v_fma_f64 v[175:176], v[4:5], v[18:19], v[175:176]
	v_fma_f64 v[183:184], v[2:3], v[18:19], -v[20:21]
	ds_load_b128 v[2:5], v1 offset:1600
	scratch_load_b128 v[18:21], off, off offset:784
	v_add_f64_e32 v[171:172], v[171:172], v[181:182]
	v_add_f64_e32 v[173:174], v[173:174], v[179:180]
	v_fma_f64 v[177:178], v[8:9], v[22:23], v[177:178]
	v_fma_f64 v[181:182], v[6:7], v[22:23], -v[24:25]
	ds_load_b128 v[6:9], v1 offset:1616
	s_wait_loadcnt_dscnt 0x801
	v_mul_f64_e32 v[179:180], v[2:3], v[28:29]
	v_mul_f64_e32 v[28:29], v[4:5], v[28:29]
	scratch_load_b128 v[22:25], off, off offset:800
	v_add_f64_e32 v[171:172], v[171:172], v[183:184]
	v_add_f64_e32 v[173:174], v[173:174], v[175:176]
	s_wait_loadcnt_dscnt 0x800
	v_mul_f64_e32 v[175:176], v[6:7], v[32:33]
	v_mul_f64_e32 v[32:33], v[8:9], v[32:33]
	v_fma_f64 v[179:180], v[4:5], v[26:27], v[179:180]
	v_fma_f64 v[183:184], v[2:3], v[26:27], -v[28:29]
	ds_load_b128 v[2:5], v1 offset:1632
	scratch_load_b128 v[26:29], off, off offset:816
	v_add_f64_e32 v[171:172], v[171:172], v[181:182]
	v_add_f64_e32 v[173:174], v[173:174], v[177:178]
	v_fma_f64 v[175:176], v[8:9], v[30:31], v[175:176]
	v_fma_f64 v[181:182], v[6:7], v[30:31], -v[32:33]
	ds_load_b128 v[6:9], v1 offset:1648
	s_wait_loadcnt_dscnt 0x801
	v_mul_f64_e32 v[177:178], v[2:3], v[40:41]
	v_mul_f64_e32 v[40:41], v[4:5], v[40:41]
	scratch_load_b128 v[30:33], off, off offset:832
	v_add_f64_e32 v[171:172], v[171:172], v[183:184]
	v_add_f64_e32 v[173:174], v[173:174], v[179:180]
	s_wait_loadcnt_dscnt 0x800
	v_mul_f64_e32 v[179:180], v[6:7], v[169:170]
	v_mul_f64_e32 v[169:170], v[8:9], v[169:170]
	v_fma_f64 v[177:178], v[4:5], v[38:39], v[177:178]
	v_fma_f64 v[183:184], v[2:3], v[38:39], -v[40:41]
	ds_load_b128 v[2:5], v1 offset:1664
	scratch_load_b128 v[38:41], off, off offset:848
	v_add_f64_e32 v[171:172], v[171:172], v[181:182]
	v_add_f64_e32 v[173:174], v[173:174], v[175:176]
	v_fma_f64 v[179:180], v[8:9], v[167:168], v[179:180]
	v_fma_f64 v[181:182], v[6:7], v[167:168], -v[169:170]
	ds_load_b128 v[6:9], v1 offset:1680
	scratch_load_b128 v[167:170], off, off offset:864
	s_wait_loadcnt_dscnt 0x901
	v_mul_f64_e32 v[175:176], v[2:3], v[36:37]
	v_mul_f64_e32 v[36:37], v[4:5], v[36:37]
	v_add_f64_e32 v[171:172], v[171:172], v[183:184]
	v_add_f64_e32 v[173:174], v[173:174], v[177:178]
	s_wait_loadcnt_dscnt 0x800
	v_mul_f64_e32 v[177:178], v[6:7], v[165:166]
	v_mul_f64_e32 v[165:166], v[8:9], v[165:166]
	v_fma_f64 v[175:176], v[4:5], v[34:35], v[175:176]
	v_fma_f64 v[183:184], v[2:3], v[34:35], -v[36:37]
	ds_load_b128 v[2:5], v1 offset:1696
	scratch_load_b128 v[34:37], off, off offset:880
	v_add_f64_e32 v[171:172], v[171:172], v[181:182]
	v_add_f64_e32 v[173:174], v[173:174], v[179:180]
	v_fma_f64 v[177:178], v[8:9], v[163:164], v[177:178]
	v_fma_f64 v[181:182], v[6:7], v[163:164], -v[165:166]
	ds_load_b128 v[6:9], v1 offset:1712
	s_wait_loadcnt_dscnt 0x801
	v_mul_f64_e32 v[179:180], v[2:3], v[12:13]
	v_mul_f64_e32 v[12:13], v[4:5], v[12:13]
	scratch_load_b128 v[163:166], off, off offset:896
	v_add_f64_e32 v[171:172], v[171:172], v[183:184]
	v_add_f64_e32 v[173:174], v[173:174], v[175:176]
	s_wait_loadcnt_dscnt 0x800
	v_mul_f64_e32 v[175:176], v[6:7], v[16:17]
	v_mul_f64_e32 v[16:17], v[8:9], v[16:17]
	v_fma_f64 v[179:180], v[4:5], v[10:11], v[179:180]
	v_fma_f64 v[183:184], v[2:3], v[10:11], -v[12:13]
	ds_load_b128 v[2:5], v1 offset:1728
	scratch_load_b128 v[10:13], off, off offset:912
	v_add_f64_e32 v[171:172], v[171:172], v[181:182]
	v_add_f64_e32 v[173:174], v[173:174], v[177:178]
	v_fma_f64 v[175:176], v[8:9], v[14:15], v[175:176]
	v_fma_f64 v[181:182], v[6:7], v[14:15], -v[16:17]
	ds_load_b128 v[6:9], v1 offset:1744
	s_wait_loadcnt_dscnt 0x801
	v_mul_f64_e32 v[177:178], v[2:3], v[20:21]
	v_mul_f64_e32 v[20:21], v[4:5], v[20:21]
	scratch_load_b128 v[14:17], off, off offset:928
	;; [unrolled: 18-line block ×3, first 2 shown]
	v_add_f64_e32 v[171:172], v[171:172], v[183:184]
	v_add_f64_e32 v[173:174], v[173:174], v[177:178]
	s_wait_loadcnt_dscnt 0x800
	v_mul_f64_e32 v[177:178], v[6:7], v[32:33]
	v_mul_f64_e32 v[32:33], v[8:9], v[32:33]
	v_fma_f64 v[175:176], v[4:5], v[26:27], v[175:176]
	v_fma_f64 v[26:27], v[2:3], v[26:27], -v[28:29]
	ds_load_b128 v[2:5], v1 offset:1792
	v_add_f64_e32 v[28:29], v[171:172], v[181:182]
	v_add_f64_e32 v[171:172], v[173:174], v[179:180]
	v_fma_f64 v[177:178], v[8:9], v[30:31], v[177:178]
	v_fma_f64 v[30:31], v[6:7], v[30:31], -v[32:33]
	ds_load_b128 v[6:9], v1 offset:1808
	s_wait_loadcnt_dscnt 0x701
	v_mul_f64_e32 v[173:174], v[2:3], v[40:41]
	v_mul_f64_e32 v[40:41], v[4:5], v[40:41]
	v_add_f64_e32 v[26:27], v[28:29], v[26:27]
	v_add_f64_e32 v[28:29], v[171:172], v[175:176]
	s_delay_alu instid0(VALU_DEP_4) | instskip(NEXT) | instid1(VALU_DEP_4)
	v_fma_f64 v[171:172], v[4:5], v[38:39], v[173:174]
	v_fma_f64 v[38:39], v[2:3], v[38:39], -v[40:41]
	ds_load_b128 v[2:5], v1 offset:1824
	v_add_f64_e32 v[30:31], v[26:27], v[30:31]
	v_add_f64_e32 v[40:41], v[28:29], v[177:178]
	scratch_load_b128 v[26:29], off, off offset:544
	s_wait_loadcnt_dscnt 0x701
	v_mul_f64_e32 v[32:33], v[6:7], v[169:170]
	v_mul_f64_e32 v[169:170], v[8:9], v[169:170]
	v_add_f64_e32 v[30:31], v[30:31], v[38:39]
	v_add_f64_e32 v[38:39], v[40:41], v[171:172]
	s_delay_alu instid0(VALU_DEP_4) | instskip(NEXT) | instid1(VALU_DEP_4)
	v_fma_f64 v[32:33], v[8:9], v[167:168], v[32:33]
	v_fma_f64 v[167:168], v[6:7], v[167:168], -v[169:170]
	ds_load_b128 v[6:9], v1 offset:1840
	s_wait_loadcnt_dscnt 0x601
	v_mul_f64_e32 v[173:174], v[2:3], v[36:37]
	v_mul_f64_e32 v[36:37], v[4:5], v[36:37]
	s_wait_loadcnt_dscnt 0x500
	v_mul_f64_e32 v[40:41], v[6:7], v[165:166]
	v_mul_f64_e32 v[165:166], v[8:9], v[165:166]
	v_add_f64_e32 v[32:33], v[38:39], v[32:33]
	v_add_f64_e32 v[30:31], v[30:31], v[167:168]
	v_fma_f64 v[169:170], v[4:5], v[34:35], v[173:174]
	v_fma_f64 v[34:35], v[2:3], v[34:35], -v[36:37]
	ds_load_b128 v[2:5], v1 offset:1856
	v_fma_f64 v[38:39], v[8:9], v[163:164], v[40:41]
	v_fma_f64 v[40:41], v[6:7], v[163:164], -v[165:166]
	ds_load_b128 v[6:9], v1 offset:1872
	s_wait_loadcnt_dscnt 0x401
	v_mul_f64_e32 v[36:37], v[2:3], v[12:13]
	v_mul_f64_e32 v[12:13], v[4:5], v[12:13]
	v_add_f64_e32 v[32:33], v[32:33], v[169:170]
	v_add_f64_e32 v[30:31], v[30:31], v[34:35]
	s_wait_loadcnt_dscnt 0x300
	v_mul_f64_e32 v[34:35], v[6:7], v[16:17]
	v_mul_f64_e32 v[16:17], v[8:9], v[16:17]
	v_fma_f64 v[36:37], v[4:5], v[10:11], v[36:37]
	v_fma_f64 v[10:11], v[2:3], v[10:11], -v[12:13]
	ds_load_b128 v[2:5], v1 offset:1888
	v_add_f64_e32 v[12:13], v[30:31], v[40:41]
	v_add_f64_e32 v[30:31], v[32:33], v[38:39]
	v_fma_f64 v[34:35], v[8:9], v[14:15], v[34:35]
	v_fma_f64 v[14:15], v[6:7], v[14:15], -v[16:17]
	ds_load_b128 v[6:9], v1 offset:1904
	s_wait_loadcnt_dscnt 0x201
	v_mul_f64_e32 v[32:33], v[2:3], v[20:21]
	v_mul_f64_e32 v[20:21], v[4:5], v[20:21]
	s_wait_loadcnt_dscnt 0x100
	v_mul_f64_e32 v[16:17], v[6:7], v[24:25]
	v_mul_f64_e32 v[24:25], v[8:9], v[24:25]
	v_add_f64_e32 v[10:11], v[12:13], v[10:11]
	v_add_f64_e32 v[12:13], v[30:31], v[36:37]
	v_fma_f64 v[4:5], v[4:5], v[18:19], v[32:33]
	v_fma_f64 v[1:2], v[2:3], v[18:19], -v[20:21]
	v_fma_f64 v[8:9], v[8:9], v[22:23], v[16:17]
	v_fma_f64 v[6:7], v[6:7], v[22:23], -v[24:25]
	v_add_f64_e32 v[10:11], v[10:11], v[14:15]
	v_add_f64_e32 v[12:13], v[12:13], v[34:35]
	s_delay_alu instid0(VALU_DEP_2) | instskip(NEXT) | instid1(VALU_DEP_2)
	v_add_f64_e32 v[1:2], v[10:11], v[1:2]
	v_add_f64_e32 v[3:4], v[12:13], v[4:5]
	s_delay_alu instid0(VALU_DEP_2) | instskip(NEXT) | instid1(VALU_DEP_2)
	v_add_f64_e32 v[1:2], v[1:2], v[6:7]
	v_add_f64_e32 v[3:4], v[3:4], v[8:9]
	s_wait_loadcnt 0x0
	s_delay_alu instid0(VALU_DEP_2) | instskip(NEXT) | instid1(VALU_DEP_2)
	v_add_f64_e64 v[1:2], v[26:27], -v[1:2]
	v_add_f64_e64 v[3:4], v[28:29], -v[3:4]
	scratch_store_b128 off, v[1:4], off offset:544
	v_cmpx_lt_u32_e32 32, v0
	s_cbranch_execz .LBB59_309
; %bb.308:
	scratch_load_b128 v[1:4], off, s21
	v_mov_b32_e32 v5, 0
	s_delay_alu instid0(VALU_DEP_1)
	v_dual_mov_b32 v6, v5 :: v_dual_mov_b32 v7, v5
	v_mov_b32_e32 v8, v5
	scratch_store_b128 off, v[5:8], off offset:528
	s_wait_loadcnt 0x0
	ds_store_b128 v162, v[1:4]
.LBB59_309:
	s_wait_alu 0xfffe
	s_or_b32 exec_lo, exec_lo, s0
	s_wait_storecnt_dscnt 0x0
	s_barrier_signal -1
	s_barrier_wait -1
	global_inv scope:SCOPE_SE
	s_clause 0x7
	scratch_load_b128 v[2:5], off, off offset:544
	scratch_load_b128 v[6:9], off, off offset:560
	;; [unrolled: 1-line block ×8, first 2 shown]
	v_mov_b32_e32 v1, 0
	s_clause 0x1
	scratch_load_b128 v[38:41], off, off offset:672
	scratch_load_b128 v[167:170], off, off offset:688
	s_mov_b32 s0, exec_lo
	ds_load_b128 v[34:37], v1 offset:1488
	ds_load_b128 v[163:166], v1 offset:1504
	s_wait_loadcnt_dscnt 0x901
	v_mul_f64_e32 v[171:172], v[36:37], v[4:5]
	v_mul_f64_e32 v[4:5], v[34:35], v[4:5]
	s_wait_loadcnt_dscnt 0x800
	v_mul_f64_e32 v[173:174], v[163:164], v[8:9]
	v_mul_f64_e32 v[8:9], v[165:166], v[8:9]
	s_delay_alu instid0(VALU_DEP_4) | instskip(NEXT) | instid1(VALU_DEP_4)
	v_fma_f64 v[171:172], v[34:35], v[2:3], -v[171:172]
	v_fma_f64 v[175:176], v[36:37], v[2:3], v[4:5]
	ds_load_b128 v[2:5], v1 offset:1520
	scratch_load_b128 v[34:37], off, off offset:704
	v_fma_f64 v[173:174], v[165:166], v[6:7], v[173:174]
	v_fma_f64 v[179:180], v[163:164], v[6:7], -v[8:9]
	ds_load_b128 v[6:9], v1 offset:1536
	scratch_load_b128 v[163:166], off, off offset:720
	s_wait_loadcnt_dscnt 0x901
	v_mul_f64_e32 v[177:178], v[2:3], v[12:13]
	v_mul_f64_e32 v[12:13], v[4:5], v[12:13]
	s_wait_loadcnt_dscnt 0x800
	v_mul_f64_e32 v[181:182], v[6:7], v[16:17]
	v_mul_f64_e32 v[16:17], v[8:9], v[16:17]
	v_add_f64_e32 v[171:172], 0, v[171:172]
	v_add_f64_e32 v[175:176], 0, v[175:176]
	v_fma_f64 v[177:178], v[4:5], v[10:11], v[177:178]
	v_fma_f64 v[183:184], v[2:3], v[10:11], -v[12:13]
	ds_load_b128 v[2:5], v1 offset:1552
	scratch_load_b128 v[10:13], off, off offset:736
	v_add_f64_e32 v[171:172], v[171:172], v[179:180]
	v_add_f64_e32 v[173:174], v[175:176], v[173:174]
	v_fma_f64 v[179:180], v[8:9], v[14:15], v[181:182]
	v_fma_f64 v[181:182], v[6:7], v[14:15], -v[16:17]
	ds_load_b128 v[6:9], v1 offset:1568
	scratch_load_b128 v[14:17], off, off offset:752
	s_wait_loadcnt_dscnt 0x901
	v_mul_f64_e32 v[175:176], v[2:3], v[20:21]
	v_mul_f64_e32 v[20:21], v[4:5], v[20:21]
	v_add_f64_e32 v[171:172], v[171:172], v[183:184]
	v_add_f64_e32 v[173:174], v[173:174], v[177:178]
	s_wait_loadcnt_dscnt 0x800
	v_mul_f64_e32 v[177:178], v[6:7], v[24:25]
	v_mul_f64_e32 v[24:25], v[8:9], v[24:25]
	v_fma_f64 v[175:176], v[4:5], v[18:19], v[175:176]
	v_fma_f64 v[183:184], v[2:3], v[18:19], -v[20:21]
	ds_load_b128 v[2:5], v1 offset:1584
	scratch_load_b128 v[18:21], off, off offset:768
	v_add_f64_e32 v[171:172], v[171:172], v[181:182]
	v_add_f64_e32 v[173:174], v[173:174], v[179:180]
	v_fma_f64 v[177:178], v[8:9], v[22:23], v[177:178]
	v_fma_f64 v[181:182], v[6:7], v[22:23], -v[24:25]
	ds_load_b128 v[6:9], v1 offset:1600
	s_wait_loadcnt_dscnt 0x801
	v_mul_f64_e32 v[179:180], v[2:3], v[28:29]
	v_mul_f64_e32 v[28:29], v[4:5], v[28:29]
	scratch_load_b128 v[22:25], off, off offset:784
	v_add_f64_e32 v[171:172], v[171:172], v[183:184]
	v_add_f64_e32 v[173:174], v[173:174], v[175:176]
	s_wait_loadcnt_dscnt 0x800
	v_mul_f64_e32 v[175:176], v[6:7], v[32:33]
	v_mul_f64_e32 v[32:33], v[8:9], v[32:33]
	v_fma_f64 v[179:180], v[4:5], v[26:27], v[179:180]
	v_fma_f64 v[183:184], v[2:3], v[26:27], -v[28:29]
	ds_load_b128 v[2:5], v1 offset:1616
	scratch_load_b128 v[26:29], off, off offset:800
	v_add_f64_e32 v[171:172], v[171:172], v[181:182]
	v_add_f64_e32 v[173:174], v[173:174], v[177:178]
	v_fma_f64 v[175:176], v[8:9], v[30:31], v[175:176]
	v_fma_f64 v[181:182], v[6:7], v[30:31], -v[32:33]
	ds_load_b128 v[6:9], v1 offset:1632
	s_wait_loadcnt_dscnt 0x801
	v_mul_f64_e32 v[177:178], v[2:3], v[40:41]
	v_mul_f64_e32 v[40:41], v[4:5], v[40:41]
	scratch_load_b128 v[30:33], off, off offset:816
	v_add_f64_e32 v[171:172], v[171:172], v[183:184]
	v_add_f64_e32 v[173:174], v[173:174], v[179:180]
	s_wait_loadcnt_dscnt 0x800
	v_mul_f64_e32 v[179:180], v[6:7], v[169:170]
	v_mul_f64_e32 v[169:170], v[8:9], v[169:170]
	v_fma_f64 v[177:178], v[4:5], v[38:39], v[177:178]
	v_fma_f64 v[183:184], v[2:3], v[38:39], -v[40:41]
	ds_load_b128 v[2:5], v1 offset:1648
	scratch_load_b128 v[38:41], off, off offset:832
	v_add_f64_e32 v[171:172], v[171:172], v[181:182]
	v_add_f64_e32 v[173:174], v[173:174], v[175:176]
	v_fma_f64 v[179:180], v[8:9], v[167:168], v[179:180]
	v_fma_f64 v[181:182], v[6:7], v[167:168], -v[169:170]
	ds_load_b128 v[6:9], v1 offset:1664
	scratch_load_b128 v[167:170], off, off offset:848
	s_wait_loadcnt_dscnt 0x901
	v_mul_f64_e32 v[175:176], v[2:3], v[36:37]
	v_mul_f64_e32 v[36:37], v[4:5], v[36:37]
	v_add_f64_e32 v[171:172], v[171:172], v[183:184]
	v_add_f64_e32 v[173:174], v[173:174], v[177:178]
	s_wait_loadcnt_dscnt 0x800
	v_mul_f64_e32 v[177:178], v[6:7], v[165:166]
	v_mul_f64_e32 v[165:166], v[8:9], v[165:166]
	v_fma_f64 v[175:176], v[4:5], v[34:35], v[175:176]
	v_fma_f64 v[183:184], v[2:3], v[34:35], -v[36:37]
	ds_load_b128 v[2:5], v1 offset:1680
	scratch_load_b128 v[34:37], off, off offset:864
	v_add_f64_e32 v[171:172], v[171:172], v[181:182]
	v_add_f64_e32 v[173:174], v[173:174], v[179:180]
	v_fma_f64 v[177:178], v[8:9], v[163:164], v[177:178]
	v_fma_f64 v[181:182], v[6:7], v[163:164], -v[165:166]
	ds_load_b128 v[6:9], v1 offset:1696
	s_wait_loadcnt_dscnt 0x801
	v_mul_f64_e32 v[179:180], v[2:3], v[12:13]
	v_mul_f64_e32 v[12:13], v[4:5], v[12:13]
	scratch_load_b128 v[163:166], off, off offset:880
	v_add_f64_e32 v[171:172], v[171:172], v[183:184]
	v_add_f64_e32 v[173:174], v[173:174], v[175:176]
	s_wait_loadcnt_dscnt 0x800
	v_mul_f64_e32 v[175:176], v[6:7], v[16:17]
	v_mul_f64_e32 v[16:17], v[8:9], v[16:17]
	v_fma_f64 v[179:180], v[4:5], v[10:11], v[179:180]
	v_fma_f64 v[183:184], v[2:3], v[10:11], -v[12:13]
	ds_load_b128 v[2:5], v1 offset:1712
	scratch_load_b128 v[10:13], off, off offset:896
	v_add_f64_e32 v[171:172], v[171:172], v[181:182]
	v_add_f64_e32 v[173:174], v[173:174], v[177:178]
	v_fma_f64 v[175:176], v[8:9], v[14:15], v[175:176]
	v_fma_f64 v[181:182], v[6:7], v[14:15], -v[16:17]
	ds_load_b128 v[6:9], v1 offset:1728
	s_wait_loadcnt_dscnt 0x801
	v_mul_f64_e32 v[177:178], v[2:3], v[20:21]
	v_mul_f64_e32 v[20:21], v[4:5], v[20:21]
	scratch_load_b128 v[14:17], off, off offset:912
	;; [unrolled: 18-line block ×3, first 2 shown]
	v_add_f64_e32 v[171:172], v[171:172], v[183:184]
	v_add_f64_e32 v[173:174], v[173:174], v[177:178]
	s_wait_loadcnt_dscnt 0x800
	v_mul_f64_e32 v[177:178], v[6:7], v[32:33]
	v_mul_f64_e32 v[32:33], v[8:9], v[32:33]
	v_fma_f64 v[175:176], v[4:5], v[26:27], v[175:176]
	v_fma_f64 v[183:184], v[2:3], v[26:27], -v[28:29]
	ds_load_b128 v[2:5], v1 offset:1776
	scratch_load_b128 v[26:29], off, off offset:960
	v_add_f64_e32 v[171:172], v[171:172], v[181:182]
	v_add_f64_e32 v[173:174], v[173:174], v[179:180]
	v_fma_f64 v[177:178], v[8:9], v[30:31], v[177:178]
	v_fma_f64 v[30:31], v[6:7], v[30:31], -v[32:33]
	ds_load_b128 v[6:9], v1 offset:1792
	s_wait_loadcnt_dscnt 0x801
	v_mul_f64_e32 v[179:180], v[2:3], v[40:41]
	v_mul_f64_e32 v[40:41], v[4:5], v[40:41]
	v_add_f64_e32 v[32:33], v[171:172], v[183:184]
	v_add_f64_e32 v[171:172], v[173:174], v[175:176]
	s_wait_loadcnt_dscnt 0x700
	v_mul_f64_e32 v[173:174], v[6:7], v[169:170]
	v_mul_f64_e32 v[169:170], v[8:9], v[169:170]
	v_fma_f64 v[175:176], v[4:5], v[38:39], v[179:180]
	v_fma_f64 v[38:39], v[2:3], v[38:39], -v[40:41]
	ds_load_b128 v[2:5], v1 offset:1808
	v_add_f64_e32 v[30:31], v[32:33], v[30:31]
	v_add_f64_e32 v[32:33], v[171:172], v[177:178]
	v_fma_f64 v[171:172], v[8:9], v[167:168], v[173:174]
	v_fma_f64 v[167:168], v[6:7], v[167:168], -v[169:170]
	ds_load_b128 v[6:9], v1 offset:1824
	s_wait_loadcnt_dscnt 0x500
	v_mul_f64_e32 v[173:174], v[6:7], v[165:166]
	v_mul_f64_e32 v[165:166], v[8:9], v[165:166]
	v_add_f64_e32 v[38:39], v[30:31], v[38:39]
	v_add_f64_e32 v[169:170], v[32:33], v[175:176]
	scratch_load_b128 v[30:33], off, off offset:528
	v_mul_f64_e32 v[40:41], v[2:3], v[36:37]
	v_mul_f64_e32 v[36:37], v[4:5], v[36:37]
	s_delay_alu instid0(VALU_DEP_2) | instskip(NEXT) | instid1(VALU_DEP_2)
	v_fma_f64 v[40:41], v[4:5], v[34:35], v[40:41]
	v_fma_f64 v[34:35], v[2:3], v[34:35], -v[36:37]
	v_add_f64_e32 v[36:37], v[38:39], v[167:168]
	v_add_f64_e32 v[38:39], v[169:170], v[171:172]
	ds_load_b128 v[2:5], v1 offset:1840
	v_fma_f64 v[169:170], v[8:9], v[163:164], v[173:174]
	v_fma_f64 v[163:164], v[6:7], v[163:164], -v[165:166]
	ds_load_b128 v[6:9], v1 offset:1856
	s_wait_loadcnt_dscnt 0x501
	v_mul_f64_e32 v[167:168], v[2:3], v[12:13]
	v_mul_f64_e32 v[12:13], v[4:5], v[12:13]
	v_add_f64_e32 v[34:35], v[36:37], v[34:35]
	v_add_f64_e32 v[36:37], v[38:39], v[40:41]
	s_wait_loadcnt_dscnt 0x400
	v_mul_f64_e32 v[38:39], v[6:7], v[16:17]
	v_mul_f64_e32 v[16:17], v[8:9], v[16:17]
	v_fma_f64 v[40:41], v[4:5], v[10:11], v[167:168]
	v_fma_f64 v[10:11], v[2:3], v[10:11], -v[12:13]
	ds_load_b128 v[2:5], v1 offset:1872
	v_add_f64_e32 v[12:13], v[34:35], v[163:164]
	v_add_f64_e32 v[34:35], v[36:37], v[169:170]
	v_fma_f64 v[38:39], v[8:9], v[14:15], v[38:39]
	v_fma_f64 v[14:15], v[6:7], v[14:15], -v[16:17]
	ds_load_b128 v[6:9], v1 offset:1888
	s_wait_loadcnt_dscnt 0x301
	v_mul_f64_e32 v[36:37], v[2:3], v[20:21]
	v_mul_f64_e32 v[20:21], v[4:5], v[20:21]
	s_wait_loadcnt_dscnt 0x200
	v_mul_f64_e32 v[16:17], v[6:7], v[24:25]
	v_mul_f64_e32 v[24:25], v[8:9], v[24:25]
	v_add_f64_e32 v[10:11], v[12:13], v[10:11]
	v_add_f64_e32 v[12:13], v[34:35], v[40:41]
	v_fma_f64 v[34:35], v[4:5], v[18:19], v[36:37]
	v_fma_f64 v[18:19], v[2:3], v[18:19], -v[20:21]
	ds_load_b128 v[2:5], v1 offset:1904
	v_fma_f64 v[8:9], v[8:9], v[22:23], v[16:17]
	v_fma_f64 v[6:7], v[6:7], v[22:23], -v[24:25]
	s_wait_loadcnt_dscnt 0x100
	v_mul_f64_e32 v[20:21], v[4:5], v[28:29]
	v_add_f64_e32 v[10:11], v[10:11], v[14:15]
	v_add_f64_e32 v[12:13], v[12:13], v[38:39]
	v_mul_f64_e32 v[14:15], v[2:3], v[28:29]
	s_delay_alu instid0(VALU_DEP_4) | instskip(NEXT) | instid1(VALU_DEP_4)
	v_fma_f64 v[2:3], v[2:3], v[26:27], -v[20:21]
	v_add_f64_e32 v[10:11], v[10:11], v[18:19]
	s_delay_alu instid0(VALU_DEP_4) | instskip(NEXT) | instid1(VALU_DEP_4)
	v_add_f64_e32 v[12:13], v[12:13], v[34:35]
	v_fma_f64 v[4:5], v[4:5], v[26:27], v[14:15]
	s_delay_alu instid0(VALU_DEP_3) | instskip(NEXT) | instid1(VALU_DEP_3)
	v_add_f64_e32 v[6:7], v[10:11], v[6:7]
	v_add_f64_e32 v[8:9], v[12:13], v[8:9]
	s_delay_alu instid0(VALU_DEP_2) | instskip(NEXT) | instid1(VALU_DEP_2)
	v_add_f64_e32 v[2:3], v[6:7], v[2:3]
	v_add_f64_e32 v[4:5], v[8:9], v[4:5]
	s_wait_loadcnt 0x0
	s_delay_alu instid0(VALU_DEP_2) | instskip(NEXT) | instid1(VALU_DEP_2)
	v_add_f64_e64 v[2:3], v[30:31], -v[2:3]
	v_add_f64_e64 v[4:5], v[32:33], -v[4:5]
	scratch_store_b128 off, v[2:5], off offset:528
	v_cmpx_lt_u32_e32 31, v0
	s_cbranch_execz .LBB59_311
; %bb.310:
	scratch_load_b128 v[5:8], off, s20
	v_dual_mov_b32 v2, v1 :: v_dual_mov_b32 v3, v1
	v_mov_b32_e32 v4, v1
	scratch_store_b128 off, v[1:4], off offset:512
	s_wait_loadcnt 0x0
	ds_store_b128 v162, v[5:8]
.LBB59_311:
	s_wait_alu 0xfffe
	s_or_b32 exec_lo, exec_lo, s0
	s_wait_storecnt_dscnt 0x0
	s_barrier_signal -1
	s_barrier_wait -1
	global_inv scope:SCOPE_SE
	s_clause 0x7
	scratch_load_b128 v[2:5], off, off offset:528
	scratch_load_b128 v[6:9], off, off offset:544
	;; [unrolled: 1-line block ×8, first 2 shown]
	ds_load_b128 v[34:37], v1 offset:1472
	ds_load_b128 v[163:166], v1 offset:1488
	s_clause 0x1
	scratch_load_b128 v[38:41], off, off offset:656
	scratch_load_b128 v[167:170], off, off offset:672
	s_mov_b32 s0, exec_lo
	s_wait_loadcnt_dscnt 0x901
	v_mul_f64_e32 v[171:172], v[36:37], v[4:5]
	v_mul_f64_e32 v[4:5], v[34:35], v[4:5]
	s_wait_loadcnt_dscnt 0x800
	v_mul_f64_e32 v[173:174], v[163:164], v[8:9]
	v_mul_f64_e32 v[8:9], v[165:166], v[8:9]
	s_delay_alu instid0(VALU_DEP_4) | instskip(NEXT) | instid1(VALU_DEP_4)
	v_fma_f64 v[171:172], v[34:35], v[2:3], -v[171:172]
	v_fma_f64 v[175:176], v[36:37], v[2:3], v[4:5]
	scratch_load_b128 v[34:37], off, off offset:688
	ds_load_b128 v[2:5], v1 offset:1504
	v_fma_f64 v[173:174], v[165:166], v[6:7], v[173:174]
	v_fma_f64 v[179:180], v[163:164], v[6:7], -v[8:9]
	ds_load_b128 v[6:9], v1 offset:1520
	scratch_load_b128 v[163:166], off, off offset:704
	s_wait_loadcnt_dscnt 0x901
	v_mul_f64_e32 v[177:178], v[2:3], v[12:13]
	v_mul_f64_e32 v[12:13], v[4:5], v[12:13]
	s_wait_loadcnt_dscnt 0x800
	v_mul_f64_e32 v[181:182], v[6:7], v[16:17]
	v_mul_f64_e32 v[16:17], v[8:9], v[16:17]
	v_add_f64_e32 v[171:172], 0, v[171:172]
	v_add_f64_e32 v[175:176], 0, v[175:176]
	v_fma_f64 v[177:178], v[4:5], v[10:11], v[177:178]
	v_fma_f64 v[183:184], v[2:3], v[10:11], -v[12:13]
	ds_load_b128 v[2:5], v1 offset:1536
	scratch_load_b128 v[10:13], off, off offset:720
	v_add_f64_e32 v[171:172], v[171:172], v[179:180]
	v_add_f64_e32 v[173:174], v[175:176], v[173:174]
	v_fma_f64 v[179:180], v[8:9], v[14:15], v[181:182]
	v_fma_f64 v[181:182], v[6:7], v[14:15], -v[16:17]
	ds_load_b128 v[6:9], v1 offset:1552
	scratch_load_b128 v[14:17], off, off offset:736
	s_wait_loadcnt_dscnt 0x901
	v_mul_f64_e32 v[175:176], v[2:3], v[20:21]
	v_mul_f64_e32 v[20:21], v[4:5], v[20:21]
	v_add_f64_e32 v[171:172], v[171:172], v[183:184]
	v_add_f64_e32 v[173:174], v[173:174], v[177:178]
	s_wait_loadcnt_dscnt 0x800
	v_mul_f64_e32 v[177:178], v[6:7], v[24:25]
	v_mul_f64_e32 v[24:25], v[8:9], v[24:25]
	v_fma_f64 v[175:176], v[4:5], v[18:19], v[175:176]
	v_fma_f64 v[183:184], v[2:3], v[18:19], -v[20:21]
	ds_load_b128 v[2:5], v1 offset:1568
	scratch_load_b128 v[18:21], off, off offset:752
	v_add_f64_e32 v[171:172], v[171:172], v[181:182]
	v_add_f64_e32 v[173:174], v[173:174], v[179:180]
	v_fma_f64 v[177:178], v[8:9], v[22:23], v[177:178]
	v_fma_f64 v[181:182], v[6:7], v[22:23], -v[24:25]
	ds_load_b128 v[6:9], v1 offset:1584
	s_wait_loadcnt_dscnt 0x801
	v_mul_f64_e32 v[179:180], v[2:3], v[28:29]
	v_mul_f64_e32 v[28:29], v[4:5], v[28:29]
	scratch_load_b128 v[22:25], off, off offset:768
	v_add_f64_e32 v[171:172], v[171:172], v[183:184]
	v_add_f64_e32 v[173:174], v[173:174], v[175:176]
	s_wait_loadcnt_dscnt 0x800
	v_mul_f64_e32 v[175:176], v[6:7], v[32:33]
	v_mul_f64_e32 v[32:33], v[8:9], v[32:33]
	v_fma_f64 v[179:180], v[4:5], v[26:27], v[179:180]
	v_fma_f64 v[183:184], v[2:3], v[26:27], -v[28:29]
	ds_load_b128 v[2:5], v1 offset:1600
	scratch_load_b128 v[26:29], off, off offset:784
	v_add_f64_e32 v[171:172], v[171:172], v[181:182]
	v_add_f64_e32 v[173:174], v[173:174], v[177:178]
	v_fma_f64 v[175:176], v[8:9], v[30:31], v[175:176]
	v_fma_f64 v[181:182], v[6:7], v[30:31], -v[32:33]
	ds_load_b128 v[6:9], v1 offset:1616
	s_wait_loadcnt_dscnt 0x801
	v_mul_f64_e32 v[177:178], v[2:3], v[40:41]
	v_mul_f64_e32 v[40:41], v[4:5], v[40:41]
	scratch_load_b128 v[30:33], off, off offset:800
	v_add_f64_e32 v[171:172], v[171:172], v[183:184]
	v_add_f64_e32 v[173:174], v[173:174], v[179:180]
	s_wait_loadcnt_dscnt 0x800
	v_mul_f64_e32 v[179:180], v[6:7], v[169:170]
	v_mul_f64_e32 v[169:170], v[8:9], v[169:170]
	v_fma_f64 v[177:178], v[4:5], v[38:39], v[177:178]
	v_fma_f64 v[183:184], v[2:3], v[38:39], -v[40:41]
	ds_load_b128 v[2:5], v1 offset:1632
	scratch_load_b128 v[38:41], off, off offset:816
	v_add_f64_e32 v[171:172], v[171:172], v[181:182]
	v_add_f64_e32 v[173:174], v[173:174], v[175:176]
	v_fma_f64 v[179:180], v[8:9], v[167:168], v[179:180]
	v_fma_f64 v[181:182], v[6:7], v[167:168], -v[169:170]
	ds_load_b128 v[6:9], v1 offset:1648
	scratch_load_b128 v[167:170], off, off offset:832
	s_wait_loadcnt_dscnt 0x901
	v_mul_f64_e32 v[175:176], v[2:3], v[36:37]
	v_mul_f64_e32 v[36:37], v[4:5], v[36:37]
	v_add_f64_e32 v[171:172], v[171:172], v[183:184]
	v_add_f64_e32 v[173:174], v[173:174], v[177:178]
	s_wait_loadcnt_dscnt 0x800
	v_mul_f64_e32 v[177:178], v[6:7], v[165:166]
	v_mul_f64_e32 v[165:166], v[8:9], v[165:166]
	v_fma_f64 v[175:176], v[4:5], v[34:35], v[175:176]
	v_fma_f64 v[183:184], v[2:3], v[34:35], -v[36:37]
	scratch_load_b128 v[34:37], off, off offset:848
	ds_load_b128 v[2:5], v1 offset:1664
	v_add_f64_e32 v[171:172], v[171:172], v[181:182]
	v_add_f64_e32 v[173:174], v[173:174], v[179:180]
	v_fma_f64 v[177:178], v[8:9], v[163:164], v[177:178]
	v_fma_f64 v[181:182], v[6:7], v[163:164], -v[165:166]
	ds_load_b128 v[6:9], v1 offset:1680
	s_wait_loadcnt_dscnt 0x801
	v_mul_f64_e32 v[179:180], v[2:3], v[12:13]
	v_mul_f64_e32 v[12:13], v[4:5], v[12:13]
	scratch_load_b128 v[163:166], off, off offset:864
	v_add_f64_e32 v[171:172], v[171:172], v[183:184]
	v_add_f64_e32 v[173:174], v[173:174], v[175:176]
	s_wait_loadcnt_dscnt 0x800
	v_mul_f64_e32 v[175:176], v[6:7], v[16:17]
	v_mul_f64_e32 v[16:17], v[8:9], v[16:17]
	v_fma_f64 v[179:180], v[4:5], v[10:11], v[179:180]
	v_fma_f64 v[183:184], v[2:3], v[10:11], -v[12:13]
	ds_load_b128 v[2:5], v1 offset:1696
	scratch_load_b128 v[10:13], off, off offset:880
	v_add_f64_e32 v[171:172], v[171:172], v[181:182]
	v_add_f64_e32 v[173:174], v[173:174], v[177:178]
	v_fma_f64 v[175:176], v[8:9], v[14:15], v[175:176]
	v_fma_f64 v[181:182], v[6:7], v[14:15], -v[16:17]
	ds_load_b128 v[6:9], v1 offset:1712
	s_wait_loadcnt_dscnt 0x801
	v_mul_f64_e32 v[177:178], v[2:3], v[20:21]
	v_mul_f64_e32 v[20:21], v[4:5], v[20:21]
	scratch_load_b128 v[14:17], off, off offset:896
	v_add_f64_e32 v[171:172], v[171:172], v[183:184]
	v_add_f64_e32 v[173:174], v[173:174], v[179:180]
	s_wait_loadcnt_dscnt 0x800
	v_mul_f64_e32 v[179:180], v[6:7], v[24:25]
	v_mul_f64_e32 v[24:25], v[8:9], v[24:25]
	v_fma_f64 v[177:178], v[4:5], v[18:19], v[177:178]
	v_fma_f64 v[183:184], v[2:3], v[18:19], -v[20:21]
	ds_load_b128 v[2:5], v1 offset:1728
	scratch_load_b128 v[18:21], off, off offset:912
	v_add_f64_e32 v[171:172], v[171:172], v[181:182]
	v_add_f64_e32 v[173:174], v[173:174], v[175:176]
	v_fma_f64 v[179:180], v[8:9], v[22:23], v[179:180]
	v_fma_f64 v[181:182], v[6:7], v[22:23], -v[24:25]
	ds_load_b128 v[6:9], v1 offset:1744
	s_wait_loadcnt_dscnt 0x801
	v_mul_f64_e32 v[175:176], v[2:3], v[28:29]
	v_mul_f64_e32 v[28:29], v[4:5], v[28:29]
	scratch_load_b128 v[22:25], off, off offset:928
	v_add_f64_e32 v[171:172], v[171:172], v[183:184]
	v_add_f64_e32 v[173:174], v[173:174], v[177:178]
	s_wait_loadcnt_dscnt 0x800
	v_mul_f64_e32 v[177:178], v[6:7], v[32:33]
	v_mul_f64_e32 v[32:33], v[8:9], v[32:33]
	v_fma_f64 v[175:176], v[4:5], v[26:27], v[175:176]
	v_fma_f64 v[183:184], v[2:3], v[26:27], -v[28:29]
	ds_load_b128 v[2:5], v1 offset:1760
	scratch_load_b128 v[26:29], off, off offset:944
	v_add_f64_e32 v[171:172], v[171:172], v[181:182]
	v_add_f64_e32 v[173:174], v[173:174], v[179:180]
	v_fma_f64 v[177:178], v[8:9], v[30:31], v[177:178]
	v_fma_f64 v[181:182], v[6:7], v[30:31], -v[32:33]
	ds_load_b128 v[6:9], v1 offset:1776
	s_wait_loadcnt_dscnt 0x801
	v_mul_f64_e32 v[179:180], v[2:3], v[40:41]
	v_mul_f64_e32 v[40:41], v[4:5], v[40:41]
	scratch_load_b128 v[30:33], off, off offset:960
	v_add_f64_e32 v[171:172], v[171:172], v[183:184]
	v_add_f64_e32 v[173:174], v[173:174], v[175:176]
	v_fma_f64 v[179:180], v[4:5], v[38:39], v[179:180]
	v_fma_f64 v[38:39], v[2:3], v[38:39], -v[40:41]
	ds_load_b128 v[2:5], v1 offset:1792
	v_add_f64_e32 v[40:41], v[171:172], v[181:182]
	v_add_f64_e32 v[171:172], v[173:174], v[177:178]
	s_wait_loadcnt_dscnt 0x700
	v_mul_f64_e32 v[173:174], v[2:3], v[36:37]
	v_mul_f64_e32 v[36:37], v[4:5], v[36:37]
	s_delay_alu instid0(VALU_DEP_4) | instskip(NEXT) | instid1(VALU_DEP_4)
	v_add_f64_e32 v[38:39], v[40:41], v[38:39]
	v_add_f64_e32 v[40:41], v[171:172], v[179:180]
	s_delay_alu instid0(VALU_DEP_4) | instskip(NEXT) | instid1(VALU_DEP_4)
	v_fma_f64 v[171:172], v[4:5], v[34:35], v[173:174]
	v_fma_f64 v[173:174], v[2:3], v[34:35], -v[36:37]
	scratch_load_b128 v[34:37], off, off offset:512
	v_mul_f64_e32 v[175:176], v[6:7], v[169:170]
	v_mul_f64_e32 v[169:170], v[8:9], v[169:170]
	ds_load_b128 v[2:5], v1 offset:1824
	v_fma_f64 v[175:176], v[8:9], v[167:168], v[175:176]
	v_fma_f64 v[167:168], v[6:7], v[167:168], -v[169:170]
	ds_load_b128 v[6:9], v1 offset:1808
	s_wait_loadcnt_dscnt 0x700
	v_mul_f64_e32 v[169:170], v[6:7], v[165:166]
	v_mul_f64_e32 v[165:166], v[8:9], v[165:166]
	v_add_f64_e32 v[40:41], v[40:41], v[175:176]
	v_add_f64_e32 v[38:39], v[38:39], v[167:168]
	s_wait_loadcnt 0x6
	v_mul_f64_e32 v[167:168], v[2:3], v[12:13]
	v_mul_f64_e32 v[12:13], v[4:5], v[12:13]
	v_fma_f64 v[169:170], v[8:9], v[163:164], v[169:170]
	v_fma_f64 v[163:164], v[6:7], v[163:164], -v[165:166]
	ds_load_b128 v[6:9], v1 offset:1840
	v_add_f64_e32 v[40:41], v[40:41], v[171:172]
	v_add_f64_e32 v[38:39], v[38:39], v[173:174]
	v_fma_f64 v[167:168], v[4:5], v[10:11], v[167:168]
	v_fma_f64 v[10:11], v[2:3], v[10:11], -v[12:13]
	ds_load_b128 v[2:5], v1 offset:1856
	s_wait_loadcnt_dscnt 0x501
	v_mul_f64_e32 v[165:166], v[6:7], v[16:17]
	v_mul_f64_e32 v[16:17], v[8:9], v[16:17]
	v_add_f64_e32 v[12:13], v[38:39], v[163:164]
	v_add_f64_e32 v[38:39], v[40:41], v[169:170]
	s_wait_loadcnt_dscnt 0x400
	v_mul_f64_e32 v[40:41], v[2:3], v[20:21]
	v_mul_f64_e32 v[20:21], v[4:5], v[20:21]
	v_fma_f64 v[163:164], v[8:9], v[14:15], v[165:166]
	v_fma_f64 v[14:15], v[6:7], v[14:15], -v[16:17]
	ds_load_b128 v[6:9], v1 offset:1872
	v_add_f64_e32 v[10:11], v[12:13], v[10:11]
	v_add_f64_e32 v[12:13], v[38:39], v[167:168]
	v_fma_f64 v[38:39], v[4:5], v[18:19], v[40:41]
	v_fma_f64 v[18:19], v[2:3], v[18:19], -v[20:21]
	ds_load_b128 v[2:5], v1 offset:1888
	s_wait_loadcnt_dscnt 0x301
	v_mul_f64_e32 v[16:17], v[6:7], v[24:25]
	v_mul_f64_e32 v[24:25], v[8:9], v[24:25]
	s_wait_loadcnt_dscnt 0x200
	v_mul_f64_e32 v[20:21], v[4:5], v[28:29]
	v_add_f64_e32 v[10:11], v[10:11], v[14:15]
	v_add_f64_e32 v[12:13], v[12:13], v[163:164]
	v_mul_f64_e32 v[14:15], v[2:3], v[28:29]
	v_fma_f64 v[16:17], v[8:9], v[22:23], v[16:17]
	v_fma_f64 v[22:23], v[6:7], v[22:23], -v[24:25]
	ds_load_b128 v[6:9], v1 offset:1904
	v_fma_f64 v[1:2], v[2:3], v[26:27], -v[20:21]
	s_wait_loadcnt_dscnt 0x100
	v_mul_f64_e32 v[24:25], v[8:9], v[32:33]
	v_add_f64_e32 v[10:11], v[10:11], v[18:19]
	v_add_f64_e32 v[12:13], v[12:13], v[38:39]
	v_mul_f64_e32 v[18:19], v[6:7], v[32:33]
	v_fma_f64 v[4:5], v[4:5], v[26:27], v[14:15]
	v_fma_f64 v[6:7], v[6:7], v[30:31], -v[24:25]
	v_add_f64_e32 v[10:11], v[10:11], v[22:23]
	v_add_f64_e32 v[12:13], v[12:13], v[16:17]
	v_fma_f64 v[8:9], v[8:9], v[30:31], v[18:19]
	s_delay_alu instid0(VALU_DEP_3) | instskip(NEXT) | instid1(VALU_DEP_3)
	v_add_f64_e32 v[1:2], v[10:11], v[1:2]
	v_add_f64_e32 v[3:4], v[12:13], v[4:5]
	s_delay_alu instid0(VALU_DEP_2) | instskip(NEXT) | instid1(VALU_DEP_2)
	v_add_f64_e32 v[1:2], v[1:2], v[6:7]
	v_add_f64_e32 v[3:4], v[3:4], v[8:9]
	s_wait_loadcnt 0x0
	s_delay_alu instid0(VALU_DEP_2) | instskip(NEXT) | instid1(VALU_DEP_2)
	v_add_f64_e64 v[1:2], v[34:35], -v[1:2]
	v_add_f64_e64 v[3:4], v[36:37], -v[3:4]
	scratch_store_b128 off, v[1:4], off offset:512
	v_cmpx_lt_u32_e32 30, v0
	s_cbranch_execz .LBB59_313
; %bb.312:
	scratch_load_b128 v[1:4], off, s28
	v_mov_b32_e32 v5, 0
	s_delay_alu instid0(VALU_DEP_1)
	v_dual_mov_b32 v6, v5 :: v_dual_mov_b32 v7, v5
	v_mov_b32_e32 v8, v5
	scratch_store_b128 off, v[5:8], off offset:496
	s_wait_loadcnt 0x0
	ds_store_b128 v162, v[1:4]
.LBB59_313:
	s_wait_alu 0xfffe
	s_or_b32 exec_lo, exec_lo, s0
	s_wait_storecnt_dscnt 0x0
	s_barrier_signal -1
	s_barrier_wait -1
	global_inv scope:SCOPE_SE
	s_clause 0x7
	scratch_load_b128 v[2:5], off, off offset:512
	scratch_load_b128 v[6:9], off, off offset:528
	;; [unrolled: 1-line block ×8, first 2 shown]
	v_mov_b32_e32 v1, 0
	s_clause 0x1
	scratch_load_b128 v[38:41], off, off offset:640
	scratch_load_b128 v[167:170], off, off offset:656
	s_mov_b32 s0, exec_lo
	ds_load_b128 v[34:37], v1 offset:1456
	ds_load_b128 v[163:166], v1 offset:1472
	s_wait_loadcnt_dscnt 0x901
	v_mul_f64_e32 v[171:172], v[36:37], v[4:5]
	v_mul_f64_e32 v[4:5], v[34:35], v[4:5]
	s_wait_loadcnt_dscnt 0x800
	v_mul_f64_e32 v[173:174], v[163:164], v[8:9]
	v_mul_f64_e32 v[8:9], v[165:166], v[8:9]
	s_delay_alu instid0(VALU_DEP_4) | instskip(NEXT) | instid1(VALU_DEP_4)
	v_fma_f64 v[171:172], v[34:35], v[2:3], -v[171:172]
	v_fma_f64 v[175:176], v[36:37], v[2:3], v[4:5]
	ds_load_b128 v[2:5], v1 offset:1488
	scratch_load_b128 v[34:37], off, off offset:672
	v_fma_f64 v[173:174], v[165:166], v[6:7], v[173:174]
	v_fma_f64 v[179:180], v[163:164], v[6:7], -v[8:9]
	ds_load_b128 v[6:9], v1 offset:1504
	scratch_load_b128 v[163:166], off, off offset:688
	s_wait_loadcnt_dscnt 0x901
	v_mul_f64_e32 v[177:178], v[2:3], v[12:13]
	v_mul_f64_e32 v[12:13], v[4:5], v[12:13]
	s_wait_loadcnt_dscnt 0x800
	v_mul_f64_e32 v[181:182], v[6:7], v[16:17]
	v_mul_f64_e32 v[16:17], v[8:9], v[16:17]
	v_add_f64_e32 v[171:172], 0, v[171:172]
	v_add_f64_e32 v[175:176], 0, v[175:176]
	v_fma_f64 v[177:178], v[4:5], v[10:11], v[177:178]
	v_fma_f64 v[183:184], v[2:3], v[10:11], -v[12:13]
	ds_load_b128 v[2:5], v1 offset:1520
	scratch_load_b128 v[10:13], off, off offset:704
	v_add_f64_e32 v[171:172], v[171:172], v[179:180]
	v_add_f64_e32 v[173:174], v[175:176], v[173:174]
	v_fma_f64 v[179:180], v[8:9], v[14:15], v[181:182]
	v_fma_f64 v[181:182], v[6:7], v[14:15], -v[16:17]
	ds_load_b128 v[6:9], v1 offset:1536
	scratch_load_b128 v[14:17], off, off offset:720
	s_wait_loadcnt_dscnt 0x901
	v_mul_f64_e32 v[175:176], v[2:3], v[20:21]
	v_mul_f64_e32 v[20:21], v[4:5], v[20:21]
	v_add_f64_e32 v[171:172], v[171:172], v[183:184]
	v_add_f64_e32 v[173:174], v[173:174], v[177:178]
	s_wait_loadcnt_dscnt 0x800
	v_mul_f64_e32 v[177:178], v[6:7], v[24:25]
	v_mul_f64_e32 v[24:25], v[8:9], v[24:25]
	v_fma_f64 v[175:176], v[4:5], v[18:19], v[175:176]
	v_fma_f64 v[183:184], v[2:3], v[18:19], -v[20:21]
	ds_load_b128 v[2:5], v1 offset:1552
	scratch_load_b128 v[18:21], off, off offset:736
	v_add_f64_e32 v[171:172], v[171:172], v[181:182]
	v_add_f64_e32 v[173:174], v[173:174], v[179:180]
	v_fma_f64 v[177:178], v[8:9], v[22:23], v[177:178]
	v_fma_f64 v[181:182], v[6:7], v[22:23], -v[24:25]
	ds_load_b128 v[6:9], v1 offset:1568
	s_wait_loadcnt_dscnt 0x801
	v_mul_f64_e32 v[179:180], v[2:3], v[28:29]
	v_mul_f64_e32 v[28:29], v[4:5], v[28:29]
	scratch_load_b128 v[22:25], off, off offset:752
	v_add_f64_e32 v[171:172], v[171:172], v[183:184]
	v_add_f64_e32 v[173:174], v[173:174], v[175:176]
	s_wait_loadcnt_dscnt 0x800
	v_mul_f64_e32 v[175:176], v[6:7], v[32:33]
	v_mul_f64_e32 v[32:33], v[8:9], v[32:33]
	v_fma_f64 v[179:180], v[4:5], v[26:27], v[179:180]
	v_fma_f64 v[183:184], v[2:3], v[26:27], -v[28:29]
	ds_load_b128 v[2:5], v1 offset:1584
	scratch_load_b128 v[26:29], off, off offset:768
	v_add_f64_e32 v[171:172], v[171:172], v[181:182]
	v_add_f64_e32 v[173:174], v[173:174], v[177:178]
	v_fma_f64 v[175:176], v[8:9], v[30:31], v[175:176]
	v_fma_f64 v[181:182], v[6:7], v[30:31], -v[32:33]
	ds_load_b128 v[6:9], v1 offset:1600
	s_wait_loadcnt_dscnt 0x801
	v_mul_f64_e32 v[177:178], v[2:3], v[40:41]
	v_mul_f64_e32 v[40:41], v[4:5], v[40:41]
	scratch_load_b128 v[30:33], off, off offset:784
	v_add_f64_e32 v[171:172], v[171:172], v[183:184]
	v_add_f64_e32 v[173:174], v[173:174], v[179:180]
	s_wait_loadcnt_dscnt 0x800
	v_mul_f64_e32 v[179:180], v[6:7], v[169:170]
	v_mul_f64_e32 v[169:170], v[8:9], v[169:170]
	v_fma_f64 v[177:178], v[4:5], v[38:39], v[177:178]
	v_fma_f64 v[183:184], v[2:3], v[38:39], -v[40:41]
	ds_load_b128 v[2:5], v1 offset:1616
	scratch_load_b128 v[38:41], off, off offset:800
	v_add_f64_e32 v[171:172], v[171:172], v[181:182]
	v_add_f64_e32 v[173:174], v[173:174], v[175:176]
	v_fma_f64 v[179:180], v[8:9], v[167:168], v[179:180]
	v_fma_f64 v[181:182], v[6:7], v[167:168], -v[169:170]
	ds_load_b128 v[6:9], v1 offset:1632
	scratch_load_b128 v[167:170], off, off offset:816
	s_wait_loadcnt_dscnt 0x901
	v_mul_f64_e32 v[175:176], v[2:3], v[36:37]
	v_mul_f64_e32 v[36:37], v[4:5], v[36:37]
	v_add_f64_e32 v[171:172], v[171:172], v[183:184]
	v_add_f64_e32 v[173:174], v[173:174], v[177:178]
	s_wait_loadcnt_dscnt 0x800
	v_mul_f64_e32 v[177:178], v[6:7], v[165:166]
	v_mul_f64_e32 v[165:166], v[8:9], v[165:166]
	v_fma_f64 v[175:176], v[4:5], v[34:35], v[175:176]
	v_fma_f64 v[183:184], v[2:3], v[34:35], -v[36:37]
	ds_load_b128 v[2:5], v1 offset:1648
	scratch_load_b128 v[34:37], off, off offset:832
	v_add_f64_e32 v[171:172], v[171:172], v[181:182]
	v_add_f64_e32 v[173:174], v[173:174], v[179:180]
	v_fma_f64 v[177:178], v[8:9], v[163:164], v[177:178]
	v_fma_f64 v[181:182], v[6:7], v[163:164], -v[165:166]
	ds_load_b128 v[6:9], v1 offset:1664
	s_wait_loadcnt_dscnt 0x801
	v_mul_f64_e32 v[179:180], v[2:3], v[12:13]
	v_mul_f64_e32 v[12:13], v[4:5], v[12:13]
	scratch_load_b128 v[163:166], off, off offset:848
	v_add_f64_e32 v[171:172], v[171:172], v[183:184]
	v_add_f64_e32 v[173:174], v[173:174], v[175:176]
	s_wait_loadcnt_dscnt 0x800
	v_mul_f64_e32 v[175:176], v[6:7], v[16:17]
	v_mul_f64_e32 v[16:17], v[8:9], v[16:17]
	v_fma_f64 v[179:180], v[4:5], v[10:11], v[179:180]
	v_fma_f64 v[183:184], v[2:3], v[10:11], -v[12:13]
	ds_load_b128 v[2:5], v1 offset:1680
	scratch_load_b128 v[10:13], off, off offset:864
	v_add_f64_e32 v[171:172], v[171:172], v[181:182]
	v_add_f64_e32 v[173:174], v[173:174], v[177:178]
	v_fma_f64 v[175:176], v[8:9], v[14:15], v[175:176]
	v_fma_f64 v[181:182], v[6:7], v[14:15], -v[16:17]
	ds_load_b128 v[6:9], v1 offset:1696
	s_wait_loadcnt_dscnt 0x801
	v_mul_f64_e32 v[177:178], v[2:3], v[20:21]
	v_mul_f64_e32 v[20:21], v[4:5], v[20:21]
	scratch_load_b128 v[14:17], off, off offset:880
	;; [unrolled: 18-line block ×4, first 2 shown]
	v_add_f64_e32 v[171:172], v[171:172], v[183:184]
	v_add_f64_e32 v[173:174], v[173:174], v[175:176]
	s_wait_loadcnt_dscnt 0x800
	v_mul_f64_e32 v[175:176], v[6:7], v[169:170]
	v_mul_f64_e32 v[169:170], v[8:9], v[169:170]
	v_fma_f64 v[179:180], v[4:5], v[38:39], v[179:180]
	v_fma_f64 v[183:184], v[2:3], v[38:39], -v[40:41]
	ds_load_b128 v[2:5], v1 offset:1776
	scratch_load_b128 v[38:41], off, off offset:960
	v_add_f64_e32 v[171:172], v[171:172], v[181:182]
	v_add_f64_e32 v[173:174], v[173:174], v[177:178]
	v_fma_f64 v[175:176], v[8:9], v[167:168], v[175:176]
	v_fma_f64 v[167:168], v[6:7], v[167:168], -v[169:170]
	ds_load_b128 v[6:9], v1 offset:1792
	s_wait_loadcnt_dscnt 0x801
	v_mul_f64_e32 v[177:178], v[2:3], v[36:37]
	v_mul_f64_e32 v[36:37], v[4:5], v[36:37]
	v_add_f64_e32 v[169:170], v[171:172], v[183:184]
	v_add_f64_e32 v[171:172], v[173:174], v[179:180]
	s_wait_loadcnt_dscnt 0x700
	v_mul_f64_e32 v[173:174], v[6:7], v[165:166]
	v_mul_f64_e32 v[165:166], v[8:9], v[165:166]
	v_fma_f64 v[177:178], v[4:5], v[34:35], v[177:178]
	v_fma_f64 v[34:35], v[2:3], v[34:35], -v[36:37]
	ds_load_b128 v[2:5], v1 offset:1808
	v_add_f64_e32 v[36:37], v[169:170], v[167:168]
	v_add_f64_e32 v[167:168], v[171:172], v[175:176]
	v_fma_f64 v[171:172], v[8:9], v[163:164], v[173:174]
	v_fma_f64 v[163:164], v[6:7], v[163:164], -v[165:166]
	ds_load_b128 v[6:9], v1 offset:1824
	s_wait_loadcnt_dscnt 0x500
	v_mul_f64_e32 v[173:174], v[6:7], v[16:17]
	v_mul_f64_e32 v[16:17], v[8:9], v[16:17]
	v_add_f64_e32 v[165:166], v[36:37], v[34:35]
	v_add_f64_e32 v[167:168], v[167:168], v[177:178]
	scratch_load_b128 v[34:37], off, off offset:496
	v_mul_f64_e32 v[169:170], v[2:3], v[12:13]
	v_mul_f64_e32 v[12:13], v[4:5], v[12:13]
	s_delay_alu instid0(VALU_DEP_2) | instskip(NEXT) | instid1(VALU_DEP_2)
	v_fma_f64 v[169:170], v[4:5], v[10:11], v[169:170]
	v_fma_f64 v[10:11], v[2:3], v[10:11], -v[12:13]
	v_add_f64_e32 v[12:13], v[165:166], v[163:164]
	v_add_f64_e32 v[163:164], v[167:168], v[171:172]
	ds_load_b128 v[2:5], v1 offset:1840
	v_fma_f64 v[167:168], v[8:9], v[14:15], v[173:174]
	v_fma_f64 v[14:15], v[6:7], v[14:15], -v[16:17]
	ds_load_b128 v[6:9], v1 offset:1856
	s_wait_loadcnt_dscnt 0x501
	v_mul_f64_e32 v[165:166], v[2:3], v[20:21]
	v_mul_f64_e32 v[20:21], v[4:5], v[20:21]
	s_wait_loadcnt_dscnt 0x400
	v_mul_f64_e32 v[16:17], v[6:7], v[24:25]
	v_mul_f64_e32 v[24:25], v[8:9], v[24:25]
	v_add_f64_e32 v[10:11], v[12:13], v[10:11]
	v_add_f64_e32 v[12:13], v[163:164], v[169:170]
	v_fma_f64 v[163:164], v[4:5], v[18:19], v[165:166]
	v_fma_f64 v[18:19], v[2:3], v[18:19], -v[20:21]
	ds_load_b128 v[2:5], v1 offset:1872
	v_fma_f64 v[16:17], v[8:9], v[22:23], v[16:17]
	v_fma_f64 v[22:23], v[6:7], v[22:23], -v[24:25]
	ds_load_b128 v[6:9], v1 offset:1888
	v_add_f64_e32 v[10:11], v[10:11], v[14:15]
	v_add_f64_e32 v[12:13], v[12:13], v[167:168]
	s_wait_loadcnt_dscnt 0x301
	v_mul_f64_e32 v[14:15], v[2:3], v[28:29]
	v_mul_f64_e32 v[20:21], v[4:5], v[28:29]
	s_wait_loadcnt_dscnt 0x200
	v_mul_f64_e32 v[24:25], v[8:9], v[32:33]
	v_add_f64_e32 v[10:11], v[10:11], v[18:19]
	v_add_f64_e32 v[12:13], v[12:13], v[163:164]
	v_mul_f64_e32 v[18:19], v[6:7], v[32:33]
	v_fma_f64 v[14:15], v[4:5], v[26:27], v[14:15]
	v_fma_f64 v[20:21], v[2:3], v[26:27], -v[20:21]
	ds_load_b128 v[2:5], v1 offset:1904
	v_fma_f64 v[6:7], v[6:7], v[30:31], -v[24:25]
	v_add_f64_e32 v[10:11], v[10:11], v[22:23]
	v_add_f64_e32 v[12:13], v[12:13], v[16:17]
	s_wait_loadcnt_dscnt 0x100
	v_mul_f64_e32 v[16:17], v[2:3], v[40:41]
	v_mul_f64_e32 v[22:23], v[4:5], v[40:41]
	v_fma_f64 v[8:9], v[8:9], v[30:31], v[18:19]
	v_add_f64_e32 v[10:11], v[10:11], v[20:21]
	v_add_f64_e32 v[12:13], v[12:13], v[14:15]
	v_fma_f64 v[4:5], v[4:5], v[38:39], v[16:17]
	v_fma_f64 v[2:3], v[2:3], v[38:39], -v[22:23]
	s_delay_alu instid0(VALU_DEP_4) | instskip(NEXT) | instid1(VALU_DEP_4)
	v_add_f64_e32 v[6:7], v[10:11], v[6:7]
	v_add_f64_e32 v[8:9], v[12:13], v[8:9]
	s_delay_alu instid0(VALU_DEP_2) | instskip(NEXT) | instid1(VALU_DEP_2)
	v_add_f64_e32 v[2:3], v[6:7], v[2:3]
	v_add_f64_e32 v[4:5], v[8:9], v[4:5]
	s_wait_loadcnt 0x0
	s_delay_alu instid0(VALU_DEP_2) | instskip(NEXT) | instid1(VALU_DEP_2)
	v_add_f64_e64 v[2:3], v[34:35], -v[2:3]
	v_add_f64_e64 v[4:5], v[36:37], -v[4:5]
	scratch_store_b128 off, v[2:5], off offset:496
	v_cmpx_lt_u32_e32 29, v0
	s_cbranch_execz .LBB59_315
; %bb.314:
	scratch_load_b128 v[5:8], off, s27
	v_dual_mov_b32 v2, v1 :: v_dual_mov_b32 v3, v1
	v_mov_b32_e32 v4, v1
	scratch_store_b128 off, v[1:4], off offset:480
	s_wait_loadcnt 0x0
	ds_store_b128 v162, v[5:8]
.LBB59_315:
	s_wait_alu 0xfffe
	s_or_b32 exec_lo, exec_lo, s0
	s_wait_storecnt_dscnt 0x0
	s_barrier_signal -1
	s_barrier_wait -1
	global_inv scope:SCOPE_SE
	s_clause 0x7
	scratch_load_b128 v[2:5], off, off offset:496
	scratch_load_b128 v[6:9], off, off offset:512
	;; [unrolled: 1-line block ×8, first 2 shown]
	ds_load_b128 v[34:37], v1 offset:1440
	ds_load_b128 v[163:166], v1 offset:1456
	s_clause 0x1
	scratch_load_b128 v[38:41], off, off offset:624
	scratch_load_b128 v[167:170], off, off offset:640
	s_mov_b32 s0, exec_lo
	s_wait_loadcnt_dscnt 0x901
	v_mul_f64_e32 v[171:172], v[36:37], v[4:5]
	v_mul_f64_e32 v[4:5], v[34:35], v[4:5]
	s_wait_loadcnt_dscnt 0x800
	v_mul_f64_e32 v[173:174], v[163:164], v[8:9]
	v_mul_f64_e32 v[8:9], v[165:166], v[8:9]
	s_delay_alu instid0(VALU_DEP_4) | instskip(NEXT) | instid1(VALU_DEP_4)
	v_fma_f64 v[171:172], v[34:35], v[2:3], -v[171:172]
	v_fma_f64 v[175:176], v[36:37], v[2:3], v[4:5]
	ds_load_b128 v[2:5], v1 offset:1472
	scratch_load_b128 v[34:37], off, off offset:656
	v_fma_f64 v[173:174], v[165:166], v[6:7], v[173:174]
	v_fma_f64 v[179:180], v[163:164], v[6:7], -v[8:9]
	ds_load_b128 v[6:9], v1 offset:1488
	scratch_load_b128 v[163:166], off, off offset:672
	s_wait_loadcnt_dscnt 0x901
	v_mul_f64_e32 v[177:178], v[2:3], v[12:13]
	v_mul_f64_e32 v[12:13], v[4:5], v[12:13]
	s_wait_loadcnt_dscnt 0x800
	v_mul_f64_e32 v[181:182], v[6:7], v[16:17]
	v_mul_f64_e32 v[16:17], v[8:9], v[16:17]
	v_add_f64_e32 v[171:172], 0, v[171:172]
	v_add_f64_e32 v[175:176], 0, v[175:176]
	v_fma_f64 v[177:178], v[4:5], v[10:11], v[177:178]
	v_fma_f64 v[183:184], v[2:3], v[10:11], -v[12:13]
	scratch_load_b128 v[10:13], off, off offset:688
	ds_load_b128 v[2:5], v1 offset:1504
	v_add_f64_e32 v[171:172], v[171:172], v[179:180]
	v_add_f64_e32 v[173:174], v[175:176], v[173:174]
	v_fma_f64 v[179:180], v[8:9], v[14:15], v[181:182]
	v_fma_f64 v[181:182], v[6:7], v[14:15], -v[16:17]
	ds_load_b128 v[6:9], v1 offset:1520
	scratch_load_b128 v[14:17], off, off offset:704
	s_wait_loadcnt_dscnt 0x901
	v_mul_f64_e32 v[175:176], v[2:3], v[20:21]
	v_mul_f64_e32 v[20:21], v[4:5], v[20:21]
	v_add_f64_e32 v[171:172], v[171:172], v[183:184]
	v_add_f64_e32 v[173:174], v[173:174], v[177:178]
	s_wait_loadcnt_dscnt 0x800
	v_mul_f64_e32 v[177:178], v[6:7], v[24:25]
	v_mul_f64_e32 v[24:25], v[8:9], v[24:25]
	v_fma_f64 v[175:176], v[4:5], v[18:19], v[175:176]
	v_fma_f64 v[183:184], v[2:3], v[18:19], -v[20:21]
	ds_load_b128 v[2:5], v1 offset:1536
	scratch_load_b128 v[18:21], off, off offset:720
	v_add_f64_e32 v[171:172], v[171:172], v[181:182]
	v_add_f64_e32 v[173:174], v[173:174], v[179:180]
	v_fma_f64 v[177:178], v[8:9], v[22:23], v[177:178]
	v_fma_f64 v[181:182], v[6:7], v[22:23], -v[24:25]
	ds_load_b128 v[6:9], v1 offset:1552
	s_wait_loadcnt_dscnt 0x801
	v_mul_f64_e32 v[179:180], v[2:3], v[28:29]
	v_mul_f64_e32 v[28:29], v[4:5], v[28:29]
	scratch_load_b128 v[22:25], off, off offset:736
	v_add_f64_e32 v[171:172], v[171:172], v[183:184]
	v_add_f64_e32 v[173:174], v[173:174], v[175:176]
	s_wait_loadcnt_dscnt 0x800
	v_mul_f64_e32 v[175:176], v[6:7], v[32:33]
	v_mul_f64_e32 v[32:33], v[8:9], v[32:33]
	v_fma_f64 v[179:180], v[4:5], v[26:27], v[179:180]
	v_fma_f64 v[183:184], v[2:3], v[26:27], -v[28:29]
	ds_load_b128 v[2:5], v1 offset:1568
	scratch_load_b128 v[26:29], off, off offset:752
	v_add_f64_e32 v[171:172], v[171:172], v[181:182]
	v_add_f64_e32 v[173:174], v[173:174], v[177:178]
	v_fma_f64 v[175:176], v[8:9], v[30:31], v[175:176]
	v_fma_f64 v[181:182], v[6:7], v[30:31], -v[32:33]
	ds_load_b128 v[6:9], v1 offset:1584
	s_wait_loadcnt_dscnt 0x801
	v_mul_f64_e32 v[177:178], v[2:3], v[40:41]
	v_mul_f64_e32 v[40:41], v[4:5], v[40:41]
	scratch_load_b128 v[30:33], off, off offset:768
	v_add_f64_e32 v[171:172], v[171:172], v[183:184]
	v_add_f64_e32 v[173:174], v[173:174], v[179:180]
	s_wait_loadcnt_dscnt 0x800
	v_mul_f64_e32 v[179:180], v[6:7], v[169:170]
	v_mul_f64_e32 v[169:170], v[8:9], v[169:170]
	v_fma_f64 v[177:178], v[4:5], v[38:39], v[177:178]
	v_fma_f64 v[183:184], v[2:3], v[38:39], -v[40:41]
	ds_load_b128 v[2:5], v1 offset:1600
	scratch_load_b128 v[38:41], off, off offset:784
	v_add_f64_e32 v[171:172], v[171:172], v[181:182]
	v_add_f64_e32 v[173:174], v[173:174], v[175:176]
	v_fma_f64 v[179:180], v[8:9], v[167:168], v[179:180]
	v_fma_f64 v[181:182], v[6:7], v[167:168], -v[169:170]
	ds_load_b128 v[6:9], v1 offset:1616
	scratch_load_b128 v[167:170], off, off offset:800
	s_wait_loadcnt_dscnt 0x901
	v_mul_f64_e32 v[175:176], v[2:3], v[36:37]
	v_mul_f64_e32 v[36:37], v[4:5], v[36:37]
	v_add_f64_e32 v[171:172], v[171:172], v[183:184]
	v_add_f64_e32 v[173:174], v[173:174], v[177:178]
	s_wait_loadcnt_dscnt 0x800
	v_mul_f64_e32 v[177:178], v[6:7], v[165:166]
	v_mul_f64_e32 v[165:166], v[8:9], v[165:166]
	v_fma_f64 v[175:176], v[4:5], v[34:35], v[175:176]
	v_fma_f64 v[183:184], v[2:3], v[34:35], -v[36:37]
	ds_load_b128 v[2:5], v1 offset:1632
	scratch_load_b128 v[34:37], off, off offset:816
	v_add_f64_e32 v[171:172], v[171:172], v[181:182]
	v_add_f64_e32 v[173:174], v[173:174], v[179:180]
	v_fma_f64 v[177:178], v[8:9], v[163:164], v[177:178]
	v_fma_f64 v[181:182], v[6:7], v[163:164], -v[165:166]
	ds_load_b128 v[6:9], v1 offset:1648
	s_wait_loadcnt_dscnt 0x801
	v_mul_f64_e32 v[179:180], v[2:3], v[12:13]
	v_mul_f64_e32 v[12:13], v[4:5], v[12:13]
	scratch_load_b128 v[163:166], off, off offset:832
	v_add_f64_e32 v[171:172], v[171:172], v[183:184]
	v_add_f64_e32 v[173:174], v[173:174], v[175:176]
	s_wait_loadcnt_dscnt 0x800
	v_mul_f64_e32 v[175:176], v[6:7], v[16:17]
	v_mul_f64_e32 v[16:17], v[8:9], v[16:17]
	v_fma_f64 v[179:180], v[4:5], v[10:11], v[179:180]
	v_fma_f64 v[183:184], v[2:3], v[10:11], -v[12:13]
	scratch_load_b128 v[10:13], off, off offset:848
	ds_load_b128 v[2:5], v1 offset:1664
	v_add_f64_e32 v[171:172], v[171:172], v[181:182]
	v_add_f64_e32 v[173:174], v[173:174], v[177:178]
	v_fma_f64 v[175:176], v[8:9], v[14:15], v[175:176]
	v_fma_f64 v[181:182], v[6:7], v[14:15], -v[16:17]
	ds_load_b128 v[6:9], v1 offset:1680
	s_wait_loadcnt_dscnt 0x801
	v_mul_f64_e32 v[177:178], v[2:3], v[20:21]
	v_mul_f64_e32 v[20:21], v[4:5], v[20:21]
	scratch_load_b128 v[14:17], off, off offset:864
	v_add_f64_e32 v[171:172], v[171:172], v[183:184]
	v_add_f64_e32 v[173:174], v[173:174], v[179:180]
	s_wait_loadcnt_dscnt 0x800
	v_mul_f64_e32 v[179:180], v[6:7], v[24:25]
	v_mul_f64_e32 v[24:25], v[8:9], v[24:25]
	v_fma_f64 v[177:178], v[4:5], v[18:19], v[177:178]
	v_fma_f64 v[183:184], v[2:3], v[18:19], -v[20:21]
	ds_load_b128 v[2:5], v1 offset:1696
	scratch_load_b128 v[18:21], off, off offset:880
	v_add_f64_e32 v[171:172], v[171:172], v[181:182]
	v_add_f64_e32 v[173:174], v[173:174], v[175:176]
	v_fma_f64 v[179:180], v[8:9], v[22:23], v[179:180]
	v_fma_f64 v[181:182], v[6:7], v[22:23], -v[24:25]
	ds_load_b128 v[6:9], v1 offset:1712
	s_wait_loadcnt_dscnt 0x801
	v_mul_f64_e32 v[175:176], v[2:3], v[28:29]
	v_mul_f64_e32 v[28:29], v[4:5], v[28:29]
	scratch_load_b128 v[22:25], off, off offset:896
	v_add_f64_e32 v[171:172], v[171:172], v[183:184]
	v_add_f64_e32 v[173:174], v[173:174], v[177:178]
	s_wait_loadcnt_dscnt 0x800
	v_mul_f64_e32 v[177:178], v[6:7], v[32:33]
	v_mul_f64_e32 v[32:33], v[8:9], v[32:33]
	v_fma_f64 v[175:176], v[4:5], v[26:27], v[175:176]
	v_fma_f64 v[183:184], v[2:3], v[26:27], -v[28:29]
	ds_load_b128 v[2:5], v1 offset:1728
	scratch_load_b128 v[26:29], off, off offset:912
	;; [unrolled: 18-line block ×3, first 2 shown]
	v_add_f64_e32 v[171:172], v[171:172], v[181:182]
	v_add_f64_e32 v[173:174], v[173:174], v[177:178]
	v_fma_f64 v[175:176], v[8:9], v[167:168], v[175:176]
	v_fma_f64 v[181:182], v[6:7], v[167:168], -v[169:170]
	ds_load_b128 v[6:9], v1 offset:1776
	s_wait_loadcnt_dscnt 0x801
	v_mul_f64_e32 v[177:178], v[2:3], v[36:37]
	v_mul_f64_e32 v[36:37], v[4:5], v[36:37]
	scratch_load_b128 v[167:170], off, off offset:960
	v_add_f64_e32 v[171:172], v[171:172], v[183:184]
	v_add_f64_e32 v[173:174], v[173:174], v[179:180]
	v_fma_f64 v[177:178], v[4:5], v[34:35], v[177:178]
	v_fma_f64 v[34:35], v[2:3], v[34:35], -v[36:37]
	ds_load_b128 v[2:5], v1 offset:1792
	v_add_f64_e32 v[36:37], v[171:172], v[181:182]
	v_add_f64_e32 v[171:172], v[173:174], v[175:176]
	s_wait_loadcnt_dscnt 0x700
	v_mul_f64_e32 v[173:174], v[2:3], v[12:13]
	v_mul_f64_e32 v[12:13], v[4:5], v[12:13]
	s_delay_alu instid0(VALU_DEP_4) | instskip(NEXT) | instid1(VALU_DEP_4)
	v_add_f64_e32 v[34:35], v[36:37], v[34:35]
	v_add_f64_e32 v[36:37], v[171:172], v[177:178]
	s_delay_alu instid0(VALU_DEP_4) | instskip(NEXT) | instid1(VALU_DEP_4)
	v_fma_f64 v[171:172], v[4:5], v[10:11], v[173:174]
	v_fma_f64 v[173:174], v[2:3], v[10:11], -v[12:13]
	scratch_load_b128 v[10:13], off, off offset:480
	v_mul_f64_e32 v[179:180], v[6:7], v[165:166]
	v_mul_f64_e32 v[165:166], v[8:9], v[165:166]
	ds_load_b128 v[2:5], v1 offset:1824
	v_fma_f64 v[175:176], v[8:9], v[163:164], v[179:180]
	v_fma_f64 v[163:164], v[6:7], v[163:164], -v[165:166]
	ds_load_b128 v[6:9], v1 offset:1808
	s_wait_loadcnt_dscnt 0x700
	v_mul_f64_e32 v[165:166], v[6:7], v[16:17]
	v_mul_f64_e32 v[16:17], v[8:9], v[16:17]
	v_add_f64_e32 v[36:37], v[36:37], v[175:176]
	v_add_f64_e32 v[34:35], v[34:35], v[163:164]
	s_wait_loadcnt 0x6
	v_mul_f64_e32 v[163:164], v[2:3], v[20:21]
	v_mul_f64_e32 v[20:21], v[4:5], v[20:21]
	v_fma_f64 v[165:166], v[8:9], v[14:15], v[165:166]
	v_fma_f64 v[14:15], v[6:7], v[14:15], -v[16:17]
	ds_load_b128 v[6:9], v1 offset:1840
	v_add_f64_e32 v[16:17], v[34:35], v[173:174]
	v_add_f64_e32 v[34:35], v[36:37], v[171:172]
	v_fma_f64 v[163:164], v[4:5], v[18:19], v[163:164]
	v_fma_f64 v[18:19], v[2:3], v[18:19], -v[20:21]
	ds_load_b128 v[2:5], v1 offset:1856
	s_wait_loadcnt_dscnt 0x501
	v_mul_f64_e32 v[36:37], v[6:7], v[24:25]
	v_mul_f64_e32 v[24:25], v[8:9], v[24:25]
	s_wait_loadcnt_dscnt 0x400
	v_mul_f64_e32 v[20:21], v[2:3], v[28:29]
	v_mul_f64_e32 v[28:29], v[4:5], v[28:29]
	v_add_f64_e32 v[14:15], v[16:17], v[14:15]
	v_add_f64_e32 v[16:17], v[34:35], v[165:166]
	v_fma_f64 v[34:35], v[8:9], v[22:23], v[36:37]
	v_fma_f64 v[22:23], v[6:7], v[22:23], -v[24:25]
	ds_load_b128 v[6:9], v1 offset:1872
	v_fma_f64 v[20:21], v[4:5], v[26:27], v[20:21]
	v_fma_f64 v[26:27], v[2:3], v[26:27], -v[28:29]
	ds_load_b128 v[2:5], v1 offset:1888
	s_wait_loadcnt_dscnt 0x301
	v_mul_f64_e32 v[24:25], v[8:9], v[32:33]
	v_add_f64_e32 v[14:15], v[14:15], v[18:19]
	v_add_f64_e32 v[16:17], v[16:17], v[163:164]
	v_mul_f64_e32 v[18:19], v[6:7], v[32:33]
	s_wait_loadcnt_dscnt 0x200
	v_mul_f64_e32 v[28:29], v[4:5], v[40:41]
	v_fma_f64 v[24:25], v[6:7], v[30:31], -v[24:25]
	v_add_f64_e32 v[14:15], v[14:15], v[22:23]
	v_add_f64_e32 v[16:17], v[16:17], v[34:35]
	v_mul_f64_e32 v[22:23], v[2:3], v[40:41]
	v_fma_f64 v[18:19], v[8:9], v[30:31], v[18:19]
	ds_load_b128 v[6:9], v1 offset:1904
	v_fma_f64 v[1:2], v[2:3], v[38:39], -v[28:29]
	v_add_f64_e32 v[14:15], v[14:15], v[26:27]
	v_add_f64_e32 v[16:17], v[16:17], v[20:21]
	s_wait_loadcnt_dscnt 0x100
	v_mul_f64_e32 v[20:21], v[6:7], v[169:170]
	v_mul_f64_e32 v[26:27], v[8:9], v[169:170]
	v_fma_f64 v[4:5], v[4:5], v[38:39], v[22:23]
	v_add_f64_e32 v[14:15], v[14:15], v[24:25]
	v_add_f64_e32 v[16:17], v[16:17], v[18:19]
	v_fma_f64 v[8:9], v[8:9], v[167:168], v[20:21]
	v_fma_f64 v[6:7], v[6:7], v[167:168], -v[26:27]
	s_delay_alu instid0(VALU_DEP_4) | instskip(NEXT) | instid1(VALU_DEP_4)
	v_add_f64_e32 v[1:2], v[14:15], v[1:2]
	v_add_f64_e32 v[3:4], v[16:17], v[4:5]
	s_delay_alu instid0(VALU_DEP_2) | instskip(NEXT) | instid1(VALU_DEP_2)
	v_add_f64_e32 v[1:2], v[1:2], v[6:7]
	v_add_f64_e32 v[3:4], v[3:4], v[8:9]
	s_wait_loadcnt 0x0
	s_delay_alu instid0(VALU_DEP_2) | instskip(NEXT) | instid1(VALU_DEP_2)
	v_add_f64_e64 v[1:2], v[10:11], -v[1:2]
	v_add_f64_e64 v[3:4], v[12:13], -v[3:4]
	scratch_store_b128 off, v[1:4], off offset:480
	v_cmpx_lt_u32_e32 28, v0
	s_cbranch_execz .LBB59_317
; %bb.316:
	scratch_load_b128 v[1:4], off, s34
	v_mov_b32_e32 v5, 0
	s_delay_alu instid0(VALU_DEP_1)
	v_dual_mov_b32 v6, v5 :: v_dual_mov_b32 v7, v5
	v_mov_b32_e32 v8, v5
	scratch_store_b128 off, v[5:8], off offset:464
	s_wait_loadcnt 0x0
	ds_store_b128 v162, v[1:4]
.LBB59_317:
	s_wait_alu 0xfffe
	s_or_b32 exec_lo, exec_lo, s0
	s_wait_storecnt_dscnt 0x0
	s_barrier_signal -1
	s_barrier_wait -1
	global_inv scope:SCOPE_SE
	s_clause 0x7
	scratch_load_b128 v[2:5], off, off offset:480
	scratch_load_b128 v[6:9], off, off offset:496
	;; [unrolled: 1-line block ×8, first 2 shown]
	v_mov_b32_e32 v1, 0
	s_clause 0x1
	scratch_load_b128 v[38:41], off, off offset:608
	scratch_load_b128 v[167:170], off, off offset:624
	s_mov_b32 s0, exec_lo
	ds_load_b128 v[34:37], v1 offset:1424
	ds_load_b128 v[163:166], v1 offset:1440
	s_wait_loadcnt_dscnt 0x901
	v_mul_f64_e32 v[171:172], v[36:37], v[4:5]
	v_mul_f64_e32 v[4:5], v[34:35], v[4:5]
	s_wait_loadcnt_dscnt 0x800
	v_mul_f64_e32 v[173:174], v[163:164], v[8:9]
	v_mul_f64_e32 v[8:9], v[165:166], v[8:9]
	s_delay_alu instid0(VALU_DEP_4) | instskip(NEXT) | instid1(VALU_DEP_4)
	v_fma_f64 v[171:172], v[34:35], v[2:3], -v[171:172]
	v_fma_f64 v[175:176], v[36:37], v[2:3], v[4:5]
	ds_load_b128 v[2:5], v1 offset:1456
	scratch_load_b128 v[34:37], off, off offset:640
	v_fma_f64 v[173:174], v[165:166], v[6:7], v[173:174]
	v_fma_f64 v[179:180], v[163:164], v[6:7], -v[8:9]
	ds_load_b128 v[6:9], v1 offset:1472
	scratch_load_b128 v[163:166], off, off offset:656
	s_wait_loadcnt_dscnt 0x901
	v_mul_f64_e32 v[177:178], v[2:3], v[12:13]
	v_mul_f64_e32 v[12:13], v[4:5], v[12:13]
	s_wait_loadcnt_dscnt 0x800
	v_mul_f64_e32 v[181:182], v[6:7], v[16:17]
	v_mul_f64_e32 v[16:17], v[8:9], v[16:17]
	v_add_f64_e32 v[171:172], 0, v[171:172]
	v_add_f64_e32 v[175:176], 0, v[175:176]
	v_fma_f64 v[177:178], v[4:5], v[10:11], v[177:178]
	v_fma_f64 v[183:184], v[2:3], v[10:11], -v[12:13]
	ds_load_b128 v[2:5], v1 offset:1488
	scratch_load_b128 v[10:13], off, off offset:672
	v_add_f64_e32 v[171:172], v[171:172], v[179:180]
	v_add_f64_e32 v[173:174], v[175:176], v[173:174]
	v_fma_f64 v[179:180], v[8:9], v[14:15], v[181:182]
	v_fma_f64 v[181:182], v[6:7], v[14:15], -v[16:17]
	ds_load_b128 v[6:9], v1 offset:1504
	scratch_load_b128 v[14:17], off, off offset:688
	s_wait_loadcnt_dscnt 0x901
	v_mul_f64_e32 v[175:176], v[2:3], v[20:21]
	v_mul_f64_e32 v[20:21], v[4:5], v[20:21]
	v_add_f64_e32 v[171:172], v[171:172], v[183:184]
	v_add_f64_e32 v[173:174], v[173:174], v[177:178]
	s_wait_loadcnt_dscnt 0x800
	v_mul_f64_e32 v[177:178], v[6:7], v[24:25]
	v_mul_f64_e32 v[24:25], v[8:9], v[24:25]
	v_fma_f64 v[175:176], v[4:5], v[18:19], v[175:176]
	v_fma_f64 v[183:184], v[2:3], v[18:19], -v[20:21]
	ds_load_b128 v[2:5], v1 offset:1520
	scratch_load_b128 v[18:21], off, off offset:704
	v_add_f64_e32 v[171:172], v[171:172], v[181:182]
	v_add_f64_e32 v[173:174], v[173:174], v[179:180]
	v_fma_f64 v[177:178], v[8:9], v[22:23], v[177:178]
	v_fma_f64 v[181:182], v[6:7], v[22:23], -v[24:25]
	ds_load_b128 v[6:9], v1 offset:1536
	s_wait_loadcnt_dscnt 0x801
	v_mul_f64_e32 v[179:180], v[2:3], v[28:29]
	v_mul_f64_e32 v[28:29], v[4:5], v[28:29]
	scratch_load_b128 v[22:25], off, off offset:720
	v_add_f64_e32 v[171:172], v[171:172], v[183:184]
	v_add_f64_e32 v[173:174], v[173:174], v[175:176]
	s_wait_loadcnt_dscnt 0x800
	v_mul_f64_e32 v[175:176], v[6:7], v[32:33]
	v_mul_f64_e32 v[32:33], v[8:9], v[32:33]
	v_fma_f64 v[179:180], v[4:5], v[26:27], v[179:180]
	v_fma_f64 v[183:184], v[2:3], v[26:27], -v[28:29]
	ds_load_b128 v[2:5], v1 offset:1552
	scratch_load_b128 v[26:29], off, off offset:736
	v_add_f64_e32 v[171:172], v[171:172], v[181:182]
	v_add_f64_e32 v[173:174], v[173:174], v[177:178]
	v_fma_f64 v[175:176], v[8:9], v[30:31], v[175:176]
	v_fma_f64 v[181:182], v[6:7], v[30:31], -v[32:33]
	ds_load_b128 v[6:9], v1 offset:1568
	s_wait_loadcnt_dscnt 0x801
	v_mul_f64_e32 v[177:178], v[2:3], v[40:41]
	v_mul_f64_e32 v[40:41], v[4:5], v[40:41]
	scratch_load_b128 v[30:33], off, off offset:752
	v_add_f64_e32 v[171:172], v[171:172], v[183:184]
	v_add_f64_e32 v[173:174], v[173:174], v[179:180]
	s_wait_loadcnt_dscnt 0x800
	v_mul_f64_e32 v[179:180], v[6:7], v[169:170]
	v_mul_f64_e32 v[169:170], v[8:9], v[169:170]
	v_fma_f64 v[177:178], v[4:5], v[38:39], v[177:178]
	v_fma_f64 v[183:184], v[2:3], v[38:39], -v[40:41]
	ds_load_b128 v[2:5], v1 offset:1584
	scratch_load_b128 v[38:41], off, off offset:768
	v_add_f64_e32 v[171:172], v[171:172], v[181:182]
	v_add_f64_e32 v[173:174], v[173:174], v[175:176]
	v_fma_f64 v[179:180], v[8:9], v[167:168], v[179:180]
	v_fma_f64 v[181:182], v[6:7], v[167:168], -v[169:170]
	ds_load_b128 v[6:9], v1 offset:1600
	scratch_load_b128 v[167:170], off, off offset:784
	s_wait_loadcnt_dscnt 0x901
	v_mul_f64_e32 v[175:176], v[2:3], v[36:37]
	v_mul_f64_e32 v[36:37], v[4:5], v[36:37]
	v_add_f64_e32 v[171:172], v[171:172], v[183:184]
	v_add_f64_e32 v[173:174], v[173:174], v[177:178]
	s_wait_loadcnt_dscnt 0x800
	v_mul_f64_e32 v[177:178], v[6:7], v[165:166]
	v_mul_f64_e32 v[165:166], v[8:9], v[165:166]
	v_fma_f64 v[175:176], v[4:5], v[34:35], v[175:176]
	v_fma_f64 v[183:184], v[2:3], v[34:35], -v[36:37]
	ds_load_b128 v[2:5], v1 offset:1616
	scratch_load_b128 v[34:37], off, off offset:800
	v_add_f64_e32 v[171:172], v[171:172], v[181:182]
	v_add_f64_e32 v[173:174], v[173:174], v[179:180]
	v_fma_f64 v[177:178], v[8:9], v[163:164], v[177:178]
	v_fma_f64 v[181:182], v[6:7], v[163:164], -v[165:166]
	ds_load_b128 v[6:9], v1 offset:1632
	s_wait_loadcnt_dscnt 0x801
	v_mul_f64_e32 v[179:180], v[2:3], v[12:13]
	v_mul_f64_e32 v[12:13], v[4:5], v[12:13]
	scratch_load_b128 v[163:166], off, off offset:816
	v_add_f64_e32 v[171:172], v[171:172], v[183:184]
	v_add_f64_e32 v[173:174], v[173:174], v[175:176]
	s_wait_loadcnt_dscnt 0x800
	v_mul_f64_e32 v[175:176], v[6:7], v[16:17]
	v_mul_f64_e32 v[16:17], v[8:9], v[16:17]
	v_fma_f64 v[179:180], v[4:5], v[10:11], v[179:180]
	v_fma_f64 v[183:184], v[2:3], v[10:11], -v[12:13]
	ds_load_b128 v[2:5], v1 offset:1648
	scratch_load_b128 v[10:13], off, off offset:832
	v_add_f64_e32 v[171:172], v[171:172], v[181:182]
	v_add_f64_e32 v[173:174], v[173:174], v[177:178]
	v_fma_f64 v[175:176], v[8:9], v[14:15], v[175:176]
	v_fma_f64 v[181:182], v[6:7], v[14:15], -v[16:17]
	ds_load_b128 v[6:9], v1 offset:1664
	s_wait_loadcnt_dscnt 0x801
	v_mul_f64_e32 v[177:178], v[2:3], v[20:21]
	v_mul_f64_e32 v[20:21], v[4:5], v[20:21]
	scratch_load_b128 v[14:17], off, off offset:848
	;; [unrolled: 18-line block ×5, first 2 shown]
	v_add_f64_e32 v[171:172], v[171:172], v[183:184]
	v_add_f64_e32 v[173:174], v[173:174], v[179:180]
	s_wait_loadcnt_dscnt 0x800
	v_mul_f64_e32 v[179:180], v[6:7], v[165:166]
	v_mul_f64_e32 v[165:166], v[8:9], v[165:166]
	v_fma_f64 v[177:178], v[4:5], v[34:35], v[177:178]
	v_fma_f64 v[183:184], v[2:3], v[34:35], -v[36:37]
	ds_load_b128 v[2:5], v1 offset:1776
	scratch_load_b128 v[34:37], off, off offset:960
	v_add_f64_e32 v[171:172], v[171:172], v[181:182]
	v_add_f64_e32 v[173:174], v[173:174], v[175:176]
	v_fma_f64 v[179:180], v[8:9], v[163:164], v[179:180]
	v_fma_f64 v[163:164], v[6:7], v[163:164], -v[165:166]
	ds_load_b128 v[6:9], v1 offset:1792
	s_wait_loadcnt_dscnt 0x801
	v_mul_f64_e32 v[175:176], v[2:3], v[12:13]
	v_mul_f64_e32 v[12:13], v[4:5], v[12:13]
	v_add_f64_e32 v[165:166], v[171:172], v[183:184]
	v_add_f64_e32 v[171:172], v[173:174], v[177:178]
	s_wait_loadcnt_dscnt 0x700
	v_mul_f64_e32 v[173:174], v[6:7], v[16:17]
	v_mul_f64_e32 v[16:17], v[8:9], v[16:17]
	v_fma_f64 v[175:176], v[4:5], v[10:11], v[175:176]
	v_fma_f64 v[10:11], v[2:3], v[10:11], -v[12:13]
	ds_load_b128 v[2:5], v1 offset:1808
	v_add_f64_e32 v[12:13], v[165:166], v[163:164]
	v_add_f64_e32 v[163:164], v[171:172], v[179:180]
	v_fma_f64 v[171:172], v[8:9], v[14:15], v[173:174]
	v_fma_f64 v[14:15], v[6:7], v[14:15], -v[16:17]
	ds_load_b128 v[6:9], v1 offset:1824
	s_wait_loadcnt_dscnt 0x500
	v_mul_f64_e32 v[173:174], v[6:7], v[24:25]
	v_mul_f64_e32 v[24:25], v[8:9], v[24:25]
	v_add_f64_e32 v[16:17], v[12:13], v[10:11]
	v_add_f64_e32 v[163:164], v[163:164], v[175:176]
	scratch_load_b128 v[10:13], off, off offset:464
	v_mul_f64_e32 v[165:166], v[2:3], v[20:21]
	v_mul_f64_e32 v[20:21], v[4:5], v[20:21]
	v_add_f64_e32 v[14:15], v[16:17], v[14:15]
	v_add_f64_e32 v[16:17], v[163:164], v[171:172]
	v_fma_f64 v[163:164], v[8:9], v[22:23], v[173:174]
	v_fma_f64 v[165:166], v[4:5], v[18:19], v[165:166]
	v_fma_f64 v[18:19], v[2:3], v[18:19], -v[20:21]
	ds_load_b128 v[2:5], v1 offset:1840
	v_fma_f64 v[22:23], v[6:7], v[22:23], -v[24:25]
	ds_load_b128 v[6:9], v1 offset:1856
	s_wait_loadcnt_dscnt 0x501
	v_mul_f64_e32 v[20:21], v[2:3], v[28:29]
	v_mul_f64_e32 v[28:29], v[4:5], v[28:29]
	s_wait_loadcnt_dscnt 0x400
	v_mul_f64_e32 v[24:25], v[8:9], v[32:33]
	v_add_f64_e32 v[16:17], v[16:17], v[165:166]
	v_add_f64_e32 v[14:15], v[14:15], v[18:19]
	v_mul_f64_e32 v[18:19], v[6:7], v[32:33]
	v_fma_f64 v[20:21], v[4:5], v[26:27], v[20:21]
	v_fma_f64 v[26:27], v[2:3], v[26:27], -v[28:29]
	ds_load_b128 v[2:5], v1 offset:1872
	v_fma_f64 v[24:25], v[6:7], v[30:31], -v[24:25]
	v_add_f64_e32 v[16:17], v[16:17], v[163:164]
	v_add_f64_e32 v[14:15], v[14:15], v[22:23]
	v_fma_f64 v[18:19], v[8:9], v[30:31], v[18:19]
	ds_load_b128 v[6:9], v1 offset:1888
	s_wait_loadcnt_dscnt 0x301
	v_mul_f64_e32 v[22:23], v[2:3], v[40:41]
	v_mul_f64_e32 v[28:29], v[4:5], v[40:41]
	v_add_f64_e32 v[16:17], v[16:17], v[20:21]
	v_add_f64_e32 v[14:15], v[14:15], v[26:27]
	s_wait_loadcnt_dscnt 0x200
	v_mul_f64_e32 v[20:21], v[6:7], v[169:170]
	v_mul_f64_e32 v[26:27], v[8:9], v[169:170]
	v_fma_f64 v[22:23], v[4:5], v[38:39], v[22:23]
	v_fma_f64 v[28:29], v[2:3], v[38:39], -v[28:29]
	ds_load_b128 v[2:5], v1 offset:1904
	v_add_f64_e32 v[16:17], v[16:17], v[18:19]
	v_add_f64_e32 v[14:15], v[14:15], v[24:25]
	s_wait_loadcnt_dscnt 0x100
	v_mul_f64_e32 v[18:19], v[2:3], v[36:37]
	v_mul_f64_e32 v[24:25], v[4:5], v[36:37]
	v_fma_f64 v[8:9], v[8:9], v[167:168], v[20:21]
	v_fma_f64 v[6:7], v[6:7], v[167:168], -v[26:27]
	v_add_f64_e32 v[16:17], v[16:17], v[22:23]
	v_add_f64_e32 v[14:15], v[14:15], v[28:29]
	v_fma_f64 v[4:5], v[4:5], v[34:35], v[18:19]
	v_fma_f64 v[2:3], v[2:3], v[34:35], -v[24:25]
	s_delay_alu instid0(VALU_DEP_4) | instskip(NEXT) | instid1(VALU_DEP_4)
	v_add_f64_e32 v[8:9], v[16:17], v[8:9]
	v_add_f64_e32 v[6:7], v[14:15], v[6:7]
	s_delay_alu instid0(VALU_DEP_2) | instskip(NEXT) | instid1(VALU_DEP_2)
	v_add_f64_e32 v[4:5], v[8:9], v[4:5]
	v_add_f64_e32 v[2:3], v[6:7], v[2:3]
	s_wait_loadcnt 0x0
	s_delay_alu instid0(VALU_DEP_2) | instskip(NEXT) | instid1(VALU_DEP_2)
	v_add_f64_e64 v[4:5], v[12:13], -v[4:5]
	v_add_f64_e64 v[2:3], v[10:11], -v[2:3]
	scratch_store_b128 off, v[2:5], off offset:464
	v_cmpx_lt_u32_e32 27, v0
	s_cbranch_execz .LBB59_319
; %bb.318:
	scratch_load_b128 v[5:8], off, s37
	v_dual_mov_b32 v2, v1 :: v_dual_mov_b32 v3, v1
	v_mov_b32_e32 v4, v1
	scratch_store_b128 off, v[1:4], off offset:448
	s_wait_loadcnt 0x0
	ds_store_b128 v162, v[5:8]
.LBB59_319:
	s_wait_alu 0xfffe
	s_or_b32 exec_lo, exec_lo, s0
	s_wait_storecnt_dscnt 0x0
	s_barrier_signal -1
	s_barrier_wait -1
	global_inv scope:SCOPE_SE
	s_clause 0x7
	scratch_load_b128 v[2:5], off, off offset:464
	scratch_load_b128 v[6:9], off, off offset:480
	;; [unrolled: 1-line block ×8, first 2 shown]
	ds_load_b128 v[34:37], v1 offset:1408
	ds_load_b128 v[163:166], v1 offset:1424
	s_clause 0x1
	scratch_load_b128 v[38:41], off, off offset:592
	scratch_load_b128 v[167:170], off, off offset:608
	s_mov_b32 s0, exec_lo
	s_wait_loadcnt_dscnt 0x901
	v_mul_f64_e32 v[171:172], v[36:37], v[4:5]
	v_mul_f64_e32 v[4:5], v[34:35], v[4:5]
	s_wait_loadcnt_dscnt 0x800
	v_mul_f64_e32 v[173:174], v[163:164], v[8:9]
	v_mul_f64_e32 v[8:9], v[165:166], v[8:9]
	s_delay_alu instid0(VALU_DEP_4) | instskip(NEXT) | instid1(VALU_DEP_4)
	v_fma_f64 v[171:172], v[34:35], v[2:3], -v[171:172]
	v_fma_f64 v[175:176], v[36:37], v[2:3], v[4:5]
	ds_load_b128 v[2:5], v1 offset:1440
	scratch_load_b128 v[34:37], off, off offset:624
	v_fma_f64 v[173:174], v[165:166], v[6:7], v[173:174]
	v_fma_f64 v[179:180], v[163:164], v[6:7], -v[8:9]
	ds_load_b128 v[6:9], v1 offset:1456
	scratch_load_b128 v[163:166], off, off offset:640
	s_wait_loadcnt_dscnt 0x901
	v_mul_f64_e32 v[177:178], v[2:3], v[12:13]
	v_mul_f64_e32 v[12:13], v[4:5], v[12:13]
	s_wait_loadcnt_dscnt 0x800
	v_mul_f64_e32 v[181:182], v[6:7], v[16:17]
	v_mul_f64_e32 v[16:17], v[8:9], v[16:17]
	v_add_f64_e32 v[171:172], 0, v[171:172]
	v_add_f64_e32 v[175:176], 0, v[175:176]
	v_fma_f64 v[177:178], v[4:5], v[10:11], v[177:178]
	v_fma_f64 v[183:184], v[2:3], v[10:11], -v[12:13]
	ds_load_b128 v[2:5], v1 offset:1472
	scratch_load_b128 v[10:13], off, off offset:656
	v_add_f64_e32 v[171:172], v[171:172], v[179:180]
	v_add_f64_e32 v[173:174], v[175:176], v[173:174]
	v_fma_f64 v[179:180], v[8:9], v[14:15], v[181:182]
	v_fma_f64 v[181:182], v[6:7], v[14:15], -v[16:17]
	ds_load_b128 v[6:9], v1 offset:1488
	scratch_load_b128 v[14:17], off, off offset:672
	s_wait_loadcnt_dscnt 0x901
	v_mul_f64_e32 v[175:176], v[2:3], v[20:21]
	v_mul_f64_e32 v[20:21], v[4:5], v[20:21]
	v_add_f64_e32 v[171:172], v[171:172], v[183:184]
	v_add_f64_e32 v[173:174], v[173:174], v[177:178]
	s_wait_loadcnt_dscnt 0x800
	v_mul_f64_e32 v[177:178], v[6:7], v[24:25]
	v_mul_f64_e32 v[24:25], v[8:9], v[24:25]
	v_fma_f64 v[175:176], v[4:5], v[18:19], v[175:176]
	v_fma_f64 v[183:184], v[2:3], v[18:19], -v[20:21]
	ds_load_b128 v[2:5], v1 offset:1504
	scratch_load_b128 v[18:21], off, off offset:688
	v_add_f64_e32 v[171:172], v[171:172], v[181:182]
	v_add_f64_e32 v[173:174], v[173:174], v[179:180]
	v_fma_f64 v[177:178], v[8:9], v[22:23], v[177:178]
	v_fma_f64 v[181:182], v[6:7], v[22:23], -v[24:25]
	ds_load_b128 v[6:9], v1 offset:1520
	s_wait_loadcnt_dscnt 0x801
	v_mul_f64_e32 v[179:180], v[2:3], v[28:29]
	v_mul_f64_e32 v[28:29], v[4:5], v[28:29]
	scratch_load_b128 v[22:25], off, off offset:704
	v_add_f64_e32 v[171:172], v[171:172], v[183:184]
	v_add_f64_e32 v[173:174], v[173:174], v[175:176]
	s_wait_loadcnt_dscnt 0x800
	v_mul_f64_e32 v[175:176], v[6:7], v[32:33]
	v_mul_f64_e32 v[32:33], v[8:9], v[32:33]
	v_fma_f64 v[179:180], v[4:5], v[26:27], v[179:180]
	v_fma_f64 v[183:184], v[2:3], v[26:27], -v[28:29]
	ds_load_b128 v[2:5], v1 offset:1536
	scratch_load_b128 v[26:29], off, off offset:720
	v_add_f64_e32 v[171:172], v[171:172], v[181:182]
	v_add_f64_e32 v[173:174], v[173:174], v[177:178]
	v_fma_f64 v[175:176], v[8:9], v[30:31], v[175:176]
	v_fma_f64 v[181:182], v[6:7], v[30:31], -v[32:33]
	ds_load_b128 v[6:9], v1 offset:1552
	s_wait_loadcnt_dscnt 0x801
	v_mul_f64_e32 v[177:178], v[2:3], v[40:41]
	v_mul_f64_e32 v[40:41], v[4:5], v[40:41]
	scratch_load_b128 v[30:33], off, off offset:736
	v_add_f64_e32 v[171:172], v[171:172], v[183:184]
	v_add_f64_e32 v[173:174], v[173:174], v[179:180]
	s_wait_loadcnt_dscnt 0x800
	v_mul_f64_e32 v[179:180], v[6:7], v[169:170]
	v_mul_f64_e32 v[169:170], v[8:9], v[169:170]
	v_fma_f64 v[177:178], v[4:5], v[38:39], v[177:178]
	v_fma_f64 v[183:184], v[2:3], v[38:39], -v[40:41]
	ds_load_b128 v[2:5], v1 offset:1568
	scratch_load_b128 v[38:41], off, off offset:752
	v_add_f64_e32 v[171:172], v[171:172], v[181:182]
	v_add_f64_e32 v[173:174], v[173:174], v[175:176]
	v_fma_f64 v[179:180], v[8:9], v[167:168], v[179:180]
	v_fma_f64 v[181:182], v[6:7], v[167:168], -v[169:170]
	ds_load_b128 v[6:9], v1 offset:1584
	scratch_load_b128 v[167:170], off, off offset:768
	s_wait_loadcnt_dscnt 0x901
	v_mul_f64_e32 v[175:176], v[2:3], v[36:37]
	v_mul_f64_e32 v[36:37], v[4:5], v[36:37]
	v_add_f64_e32 v[171:172], v[171:172], v[183:184]
	v_add_f64_e32 v[173:174], v[173:174], v[177:178]
	s_wait_loadcnt_dscnt 0x800
	v_mul_f64_e32 v[177:178], v[6:7], v[165:166]
	v_mul_f64_e32 v[165:166], v[8:9], v[165:166]
	v_fma_f64 v[175:176], v[4:5], v[34:35], v[175:176]
	v_fma_f64 v[183:184], v[2:3], v[34:35], -v[36:37]
	ds_load_b128 v[2:5], v1 offset:1600
	scratch_load_b128 v[34:37], off, off offset:784
	v_add_f64_e32 v[171:172], v[171:172], v[181:182]
	v_add_f64_e32 v[173:174], v[173:174], v[179:180]
	v_fma_f64 v[177:178], v[8:9], v[163:164], v[177:178]
	v_fma_f64 v[181:182], v[6:7], v[163:164], -v[165:166]
	ds_load_b128 v[6:9], v1 offset:1616
	s_wait_loadcnt_dscnt 0x801
	v_mul_f64_e32 v[179:180], v[2:3], v[12:13]
	v_mul_f64_e32 v[12:13], v[4:5], v[12:13]
	scratch_load_b128 v[163:166], off, off offset:800
	v_add_f64_e32 v[171:172], v[171:172], v[183:184]
	v_add_f64_e32 v[173:174], v[173:174], v[175:176]
	s_wait_loadcnt_dscnt 0x800
	v_mul_f64_e32 v[175:176], v[6:7], v[16:17]
	v_mul_f64_e32 v[16:17], v[8:9], v[16:17]
	v_fma_f64 v[179:180], v[4:5], v[10:11], v[179:180]
	v_fma_f64 v[183:184], v[2:3], v[10:11], -v[12:13]
	ds_load_b128 v[2:5], v1 offset:1632
	scratch_load_b128 v[10:13], off, off offset:816
	v_add_f64_e32 v[171:172], v[171:172], v[181:182]
	v_add_f64_e32 v[173:174], v[173:174], v[177:178]
	v_fma_f64 v[175:176], v[8:9], v[14:15], v[175:176]
	v_fma_f64 v[181:182], v[6:7], v[14:15], -v[16:17]
	ds_load_b128 v[6:9], v1 offset:1648
	s_wait_loadcnt_dscnt 0x801
	v_mul_f64_e32 v[177:178], v[2:3], v[20:21]
	v_mul_f64_e32 v[20:21], v[4:5], v[20:21]
	scratch_load_b128 v[14:17], off, off offset:832
	;; [unrolled: 18-line block ×6, first 2 shown]
	v_add_f64_e32 v[171:172], v[171:172], v[183:184]
	v_add_f64_e32 v[173:174], v[173:174], v[177:178]
	s_wait_loadcnt_dscnt 0x800
	v_mul_f64_e32 v[177:178], v[6:7], v[16:17]
	v_mul_f64_e32 v[16:17], v[8:9], v[16:17]
	v_fma_f64 v[175:176], v[4:5], v[10:11], v[175:176]
	v_fma_f64 v[10:11], v[2:3], v[10:11], -v[12:13]
	ds_load_b128 v[2:5], v1 offset:1792
	v_add_f64_e32 v[12:13], v[171:172], v[181:182]
	v_add_f64_e32 v[171:172], v[173:174], v[179:180]
	v_fma_f64 v[177:178], v[8:9], v[14:15], v[177:178]
	v_fma_f64 v[14:15], v[6:7], v[14:15], -v[16:17]
	ds_load_b128 v[6:9], v1 offset:1808
	s_wait_loadcnt_dscnt 0x701
	v_mul_f64_e32 v[173:174], v[2:3], v[20:21]
	v_mul_f64_e32 v[20:21], v[4:5], v[20:21]
	v_add_f64_e32 v[10:11], v[12:13], v[10:11]
	v_add_f64_e32 v[12:13], v[171:172], v[175:176]
	s_delay_alu instid0(VALU_DEP_4) | instskip(NEXT) | instid1(VALU_DEP_4)
	v_fma_f64 v[171:172], v[4:5], v[18:19], v[173:174]
	v_fma_f64 v[18:19], v[2:3], v[18:19], -v[20:21]
	ds_load_b128 v[2:5], v1 offset:1824
	v_add_f64_e32 v[14:15], v[10:11], v[14:15]
	v_add_f64_e32 v[20:21], v[12:13], v[177:178]
	scratch_load_b128 v[10:13], off, off offset:448
	s_wait_loadcnt_dscnt 0x701
	v_mul_f64_e32 v[16:17], v[6:7], v[24:25]
	v_mul_f64_e32 v[24:25], v[8:9], v[24:25]
	v_add_f64_e32 v[14:15], v[14:15], v[18:19]
	v_add_f64_e32 v[18:19], v[20:21], v[171:172]
	s_delay_alu instid0(VALU_DEP_4) | instskip(NEXT) | instid1(VALU_DEP_4)
	v_fma_f64 v[16:17], v[8:9], v[22:23], v[16:17]
	v_fma_f64 v[22:23], v[6:7], v[22:23], -v[24:25]
	ds_load_b128 v[6:9], v1 offset:1840
	s_wait_loadcnt_dscnt 0x601
	v_mul_f64_e32 v[173:174], v[2:3], v[28:29]
	v_mul_f64_e32 v[28:29], v[4:5], v[28:29]
	s_wait_loadcnt_dscnt 0x500
	v_mul_f64_e32 v[20:21], v[6:7], v[32:33]
	v_mul_f64_e32 v[24:25], v[8:9], v[32:33]
	v_add_f64_e32 v[16:17], v[18:19], v[16:17]
	v_add_f64_e32 v[14:15], v[14:15], v[22:23]
	v_fma_f64 v[32:33], v[4:5], v[26:27], v[173:174]
	v_fma_f64 v[26:27], v[2:3], v[26:27], -v[28:29]
	ds_load_b128 v[2:5], v1 offset:1856
	v_fma_f64 v[20:21], v[8:9], v[30:31], v[20:21]
	v_fma_f64 v[24:25], v[6:7], v[30:31], -v[24:25]
	ds_load_b128 v[6:9], v1 offset:1872
	s_wait_loadcnt_dscnt 0x401
	v_mul_f64_e32 v[18:19], v[2:3], v[40:41]
	v_mul_f64_e32 v[22:23], v[4:5], v[40:41]
	v_add_f64_e32 v[16:17], v[16:17], v[32:33]
	v_add_f64_e32 v[14:15], v[14:15], v[26:27]
	s_wait_loadcnt_dscnt 0x300
	v_mul_f64_e32 v[26:27], v[6:7], v[169:170]
	v_mul_f64_e32 v[28:29], v[8:9], v[169:170]
	v_fma_f64 v[18:19], v[4:5], v[38:39], v[18:19]
	v_fma_f64 v[22:23], v[2:3], v[38:39], -v[22:23]
	ds_load_b128 v[2:5], v1 offset:1888
	v_add_f64_e32 v[16:17], v[16:17], v[20:21]
	v_add_f64_e32 v[14:15], v[14:15], v[24:25]
	v_fma_f64 v[26:27], v[8:9], v[167:168], v[26:27]
	v_fma_f64 v[28:29], v[6:7], v[167:168], -v[28:29]
	ds_load_b128 v[6:9], v1 offset:1904
	s_wait_loadcnt_dscnt 0x201
	v_mul_f64_e32 v[20:21], v[2:3], v[36:37]
	v_mul_f64_e32 v[24:25], v[4:5], v[36:37]
	v_add_f64_e32 v[16:17], v[16:17], v[18:19]
	v_add_f64_e32 v[14:15], v[14:15], v[22:23]
	s_wait_loadcnt_dscnt 0x100
	v_mul_f64_e32 v[18:19], v[6:7], v[165:166]
	v_mul_f64_e32 v[22:23], v[8:9], v[165:166]
	v_fma_f64 v[4:5], v[4:5], v[34:35], v[20:21]
	v_fma_f64 v[1:2], v[2:3], v[34:35], -v[24:25]
	v_add_f64_e32 v[16:17], v[16:17], v[26:27]
	v_add_f64_e32 v[14:15], v[14:15], v[28:29]
	v_fma_f64 v[8:9], v[8:9], v[163:164], v[18:19]
	v_fma_f64 v[6:7], v[6:7], v[163:164], -v[22:23]
	s_delay_alu instid0(VALU_DEP_4) | instskip(NEXT) | instid1(VALU_DEP_4)
	v_add_f64_e32 v[3:4], v[16:17], v[4:5]
	v_add_f64_e32 v[1:2], v[14:15], v[1:2]
	s_delay_alu instid0(VALU_DEP_2) | instskip(NEXT) | instid1(VALU_DEP_2)
	v_add_f64_e32 v[3:4], v[3:4], v[8:9]
	v_add_f64_e32 v[1:2], v[1:2], v[6:7]
	s_wait_loadcnt 0x0
	s_delay_alu instid0(VALU_DEP_2) | instskip(NEXT) | instid1(VALU_DEP_2)
	v_add_f64_e64 v[3:4], v[12:13], -v[3:4]
	v_add_f64_e64 v[1:2], v[10:11], -v[1:2]
	scratch_store_b128 off, v[1:4], off offset:448
	v_cmpx_lt_u32_e32 26, v0
	s_cbranch_execz .LBB59_321
; %bb.320:
	scratch_load_b128 v[1:4], off, s36
	v_mov_b32_e32 v5, 0
	s_delay_alu instid0(VALU_DEP_1)
	v_dual_mov_b32 v6, v5 :: v_dual_mov_b32 v7, v5
	v_mov_b32_e32 v8, v5
	scratch_store_b128 off, v[5:8], off offset:432
	s_wait_loadcnt 0x0
	ds_store_b128 v162, v[1:4]
.LBB59_321:
	s_wait_alu 0xfffe
	s_or_b32 exec_lo, exec_lo, s0
	s_wait_storecnt_dscnt 0x0
	s_barrier_signal -1
	s_barrier_wait -1
	global_inv scope:SCOPE_SE
	s_clause 0x7
	scratch_load_b128 v[2:5], off, off offset:448
	scratch_load_b128 v[6:9], off, off offset:464
	;; [unrolled: 1-line block ×8, first 2 shown]
	v_mov_b32_e32 v1, 0
	s_clause 0x1
	scratch_load_b128 v[38:41], off, off offset:576
	scratch_load_b128 v[167:170], off, off offset:592
	s_mov_b32 s0, exec_lo
	ds_load_b128 v[34:37], v1 offset:1392
	ds_load_b128 v[163:166], v1 offset:1408
	s_wait_loadcnt_dscnt 0x901
	v_mul_f64_e32 v[171:172], v[36:37], v[4:5]
	v_mul_f64_e32 v[4:5], v[34:35], v[4:5]
	s_wait_loadcnt_dscnt 0x800
	v_mul_f64_e32 v[173:174], v[163:164], v[8:9]
	v_mul_f64_e32 v[8:9], v[165:166], v[8:9]
	s_delay_alu instid0(VALU_DEP_4) | instskip(NEXT) | instid1(VALU_DEP_4)
	v_fma_f64 v[171:172], v[34:35], v[2:3], -v[171:172]
	v_fma_f64 v[175:176], v[36:37], v[2:3], v[4:5]
	ds_load_b128 v[2:5], v1 offset:1424
	scratch_load_b128 v[34:37], off, off offset:608
	v_fma_f64 v[173:174], v[165:166], v[6:7], v[173:174]
	v_fma_f64 v[179:180], v[163:164], v[6:7], -v[8:9]
	ds_load_b128 v[6:9], v1 offset:1440
	scratch_load_b128 v[163:166], off, off offset:624
	s_wait_loadcnt_dscnt 0x901
	v_mul_f64_e32 v[177:178], v[2:3], v[12:13]
	v_mul_f64_e32 v[12:13], v[4:5], v[12:13]
	s_wait_loadcnt_dscnt 0x800
	v_mul_f64_e32 v[181:182], v[6:7], v[16:17]
	v_mul_f64_e32 v[16:17], v[8:9], v[16:17]
	v_add_f64_e32 v[171:172], 0, v[171:172]
	v_add_f64_e32 v[175:176], 0, v[175:176]
	v_fma_f64 v[177:178], v[4:5], v[10:11], v[177:178]
	v_fma_f64 v[183:184], v[2:3], v[10:11], -v[12:13]
	ds_load_b128 v[2:5], v1 offset:1456
	scratch_load_b128 v[10:13], off, off offset:640
	v_add_f64_e32 v[171:172], v[171:172], v[179:180]
	v_add_f64_e32 v[173:174], v[175:176], v[173:174]
	v_fma_f64 v[179:180], v[8:9], v[14:15], v[181:182]
	v_fma_f64 v[181:182], v[6:7], v[14:15], -v[16:17]
	ds_load_b128 v[6:9], v1 offset:1472
	scratch_load_b128 v[14:17], off, off offset:656
	s_wait_loadcnt_dscnt 0x901
	v_mul_f64_e32 v[175:176], v[2:3], v[20:21]
	v_mul_f64_e32 v[20:21], v[4:5], v[20:21]
	v_add_f64_e32 v[171:172], v[171:172], v[183:184]
	v_add_f64_e32 v[173:174], v[173:174], v[177:178]
	s_wait_loadcnt_dscnt 0x800
	v_mul_f64_e32 v[177:178], v[6:7], v[24:25]
	v_mul_f64_e32 v[24:25], v[8:9], v[24:25]
	v_fma_f64 v[175:176], v[4:5], v[18:19], v[175:176]
	v_fma_f64 v[183:184], v[2:3], v[18:19], -v[20:21]
	ds_load_b128 v[2:5], v1 offset:1488
	scratch_load_b128 v[18:21], off, off offset:672
	v_add_f64_e32 v[171:172], v[171:172], v[181:182]
	v_add_f64_e32 v[173:174], v[173:174], v[179:180]
	v_fma_f64 v[177:178], v[8:9], v[22:23], v[177:178]
	v_fma_f64 v[181:182], v[6:7], v[22:23], -v[24:25]
	ds_load_b128 v[6:9], v1 offset:1504
	s_wait_loadcnt_dscnt 0x801
	v_mul_f64_e32 v[179:180], v[2:3], v[28:29]
	v_mul_f64_e32 v[28:29], v[4:5], v[28:29]
	scratch_load_b128 v[22:25], off, off offset:688
	v_add_f64_e32 v[171:172], v[171:172], v[183:184]
	v_add_f64_e32 v[173:174], v[173:174], v[175:176]
	s_wait_loadcnt_dscnt 0x800
	v_mul_f64_e32 v[175:176], v[6:7], v[32:33]
	v_mul_f64_e32 v[32:33], v[8:9], v[32:33]
	v_fma_f64 v[179:180], v[4:5], v[26:27], v[179:180]
	v_fma_f64 v[183:184], v[2:3], v[26:27], -v[28:29]
	ds_load_b128 v[2:5], v1 offset:1520
	scratch_load_b128 v[26:29], off, off offset:704
	v_add_f64_e32 v[171:172], v[171:172], v[181:182]
	v_add_f64_e32 v[173:174], v[173:174], v[177:178]
	v_fma_f64 v[175:176], v[8:9], v[30:31], v[175:176]
	v_fma_f64 v[181:182], v[6:7], v[30:31], -v[32:33]
	ds_load_b128 v[6:9], v1 offset:1536
	s_wait_loadcnt_dscnt 0x801
	v_mul_f64_e32 v[177:178], v[2:3], v[40:41]
	v_mul_f64_e32 v[40:41], v[4:5], v[40:41]
	scratch_load_b128 v[30:33], off, off offset:720
	v_add_f64_e32 v[171:172], v[171:172], v[183:184]
	v_add_f64_e32 v[173:174], v[173:174], v[179:180]
	s_wait_loadcnt_dscnt 0x800
	v_mul_f64_e32 v[179:180], v[6:7], v[169:170]
	v_mul_f64_e32 v[169:170], v[8:9], v[169:170]
	v_fma_f64 v[177:178], v[4:5], v[38:39], v[177:178]
	v_fma_f64 v[183:184], v[2:3], v[38:39], -v[40:41]
	ds_load_b128 v[2:5], v1 offset:1552
	scratch_load_b128 v[38:41], off, off offset:736
	v_add_f64_e32 v[171:172], v[171:172], v[181:182]
	v_add_f64_e32 v[173:174], v[173:174], v[175:176]
	v_fma_f64 v[179:180], v[8:9], v[167:168], v[179:180]
	v_fma_f64 v[181:182], v[6:7], v[167:168], -v[169:170]
	ds_load_b128 v[6:9], v1 offset:1568
	scratch_load_b128 v[167:170], off, off offset:752
	s_wait_loadcnt_dscnt 0x901
	v_mul_f64_e32 v[175:176], v[2:3], v[36:37]
	v_mul_f64_e32 v[36:37], v[4:5], v[36:37]
	v_add_f64_e32 v[171:172], v[171:172], v[183:184]
	v_add_f64_e32 v[173:174], v[173:174], v[177:178]
	s_wait_loadcnt_dscnt 0x800
	v_mul_f64_e32 v[177:178], v[6:7], v[165:166]
	v_mul_f64_e32 v[165:166], v[8:9], v[165:166]
	v_fma_f64 v[175:176], v[4:5], v[34:35], v[175:176]
	v_fma_f64 v[183:184], v[2:3], v[34:35], -v[36:37]
	ds_load_b128 v[2:5], v1 offset:1584
	scratch_load_b128 v[34:37], off, off offset:768
	v_add_f64_e32 v[171:172], v[171:172], v[181:182]
	v_add_f64_e32 v[173:174], v[173:174], v[179:180]
	v_fma_f64 v[177:178], v[8:9], v[163:164], v[177:178]
	v_fma_f64 v[181:182], v[6:7], v[163:164], -v[165:166]
	ds_load_b128 v[6:9], v1 offset:1600
	s_wait_loadcnt_dscnt 0x801
	v_mul_f64_e32 v[179:180], v[2:3], v[12:13]
	v_mul_f64_e32 v[12:13], v[4:5], v[12:13]
	scratch_load_b128 v[163:166], off, off offset:784
	v_add_f64_e32 v[171:172], v[171:172], v[183:184]
	v_add_f64_e32 v[173:174], v[173:174], v[175:176]
	s_wait_loadcnt_dscnt 0x800
	v_mul_f64_e32 v[175:176], v[6:7], v[16:17]
	v_mul_f64_e32 v[16:17], v[8:9], v[16:17]
	v_fma_f64 v[179:180], v[4:5], v[10:11], v[179:180]
	v_fma_f64 v[183:184], v[2:3], v[10:11], -v[12:13]
	ds_load_b128 v[2:5], v1 offset:1616
	scratch_load_b128 v[10:13], off, off offset:800
	v_add_f64_e32 v[171:172], v[171:172], v[181:182]
	v_add_f64_e32 v[173:174], v[173:174], v[177:178]
	v_fma_f64 v[175:176], v[8:9], v[14:15], v[175:176]
	v_fma_f64 v[181:182], v[6:7], v[14:15], -v[16:17]
	ds_load_b128 v[6:9], v1 offset:1632
	s_wait_loadcnt_dscnt 0x801
	v_mul_f64_e32 v[177:178], v[2:3], v[20:21]
	v_mul_f64_e32 v[20:21], v[4:5], v[20:21]
	scratch_load_b128 v[14:17], off, off offset:816
	;; [unrolled: 18-line block ×6, first 2 shown]
	v_add_f64_e32 v[171:172], v[171:172], v[183:184]
	v_add_f64_e32 v[173:174], v[173:174], v[177:178]
	s_wait_loadcnt_dscnt 0x800
	v_mul_f64_e32 v[177:178], v[6:7], v[16:17]
	v_mul_f64_e32 v[16:17], v[8:9], v[16:17]
	v_fma_f64 v[175:176], v[4:5], v[10:11], v[175:176]
	v_fma_f64 v[183:184], v[2:3], v[10:11], -v[12:13]
	ds_load_b128 v[2:5], v1 offset:1776
	scratch_load_b128 v[10:13], off, off offset:960
	v_add_f64_e32 v[171:172], v[171:172], v[181:182]
	v_add_f64_e32 v[173:174], v[173:174], v[179:180]
	v_fma_f64 v[177:178], v[8:9], v[14:15], v[177:178]
	v_fma_f64 v[14:15], v[6:7], v[14:15], -v[16:17]
	ds_load_b128 v[6:9], v1 offset:1792
	s_wait_loadcnt_dscnt 0x801
	v_mul_f64_e32 v[179:180], v[2:3], v[20:21]
	v_mul_f64_e32 v[20:21], v[4:5], v[20:21]
	v_add_f64_e32 v[16:17], v[171:172], v[183:184]
	v_add_f64_e32 v[171:172], v[173:174], v[175:176]
	s_wait_loadcnt_dscnt 0x700
	v_mul_f64_e32 v[173:174], v[6:7], v[24:25]
	v_mul_f64_e32 v[24:25], v[8:9], v[24:25]
	v_fma_f64 v[175:176], v[4:5], v[18:19], v[179:180]
	v_fma_f64 v[18:19], v[2:3], v[18:19], -v[20:21]
	ds_load_b128 v[2:5], v1 offset:1808
	v_add_f64_e32 v[14:15], v[16:17], v[14:15]
	v_add_f64_e32 v[16:17], v[171:172], v[177:178]
	v_fma_f64 v[171:172], v[8:9], v[22:23], v[173:174]
	v_fma_f64 v[22:23], v[6:7], v[22:23], -v[24:25]
	ds_load_b128 v[6:9], v1 offset:1824
	s_wait_loadcnt_dscnt 0x500
	v_mul_f64_e32 v[173:174], v[6:7], v[32:33]
	v_mul_f64_e32 v[32:33], v[8:9], v[32:33]
	v_add_f64_e32 v[18:19], v[14:15], v[18:19]
	v_add_f64_e32 v[24:25], v[16:17], v[175:176]
	scratch_load_b128 v[14:17], off, off offset:432
	v_mul_f64_e32 v[20:21], v[2:3], v[28:29]
	v_mul_f64_e32 v[28:29], v[4:5], v[28:29]
	v_add_f64_e32 v[18:19], v[18:19], v[22:23]
	v_add_f64_e32 v[22:23], v[24:25], v[171:172]
	s_delay_alu instid0(VALU_DEP_4) | instskip(NEXT) | instid1(VALU_DEP_4)
	v_fma_f64 v[20:21], v[4:5], v[26:27], v[20:21]
	v_fma_f64 v[26:27], v[2:3], v[26:27], -v[28:29]
	ds_load_b128 v[2:5], v1 offset:1840
	s_wait_loadcnt_dscnt 0x500
	v_mul_f64_e32 v[24:25], v[2:3], v[40:41]
	v_mul_f64_e32 v[28:29], v[4:5], v[40:41]
	v_fma_f64 v[40:41], v[8:9], v[30:31], v[173:174]
	v_fma_f64 v[30:31], v[6:7], v[30:31], -v[32:33]
	ds_load_b128 v[6:9], v1 offset:1856
	v_add_f64_e32 v[20:21], v[22:23], v[20:21]
	v_add_f64_e32 v[18:19], v[18:19], v[26:27]
	v_fma_f64 v[24:25], v[4:5], v[38:39], v[24:25]
	v_fma_f64 v[28:29], v[2:3], v[38:39], -v[28:29]
	ds_load_b128 v[2:5], v1 offset:1872
	s_wait_loadcnt_dscnt 0x401
	v_mul_f64_e32 v[22:23], v[6:7], v[169:170]
	v_mul_f64_e32 v[26:27], v[8:9], v[169:170]
	v_add_f64_e32 v[20:21], v[20:21], v[40:41]
	v_add_f64_e32 v[18:19], v[18:19], v[30:31]
	s_wait_loadcnt_dscnt 0x300
	v_mul_f64_e32 v[30:31], v[2:3], v[36:37]
	v_mul_f64_e32 v[32:33], v[4:5], v[36:37]
	v_fma_f64 v[22:23], v[8:9], v[167:168], v[22:23]
	v_fma_f64 v[26:27], v[6:7], v[167:168], -v[26:27]
	ds_load_b128 v[6:9], v1 offset:1888
	v_add_f64_e32 v[20:21], v[20:21], v[24:25]
	v_add_f64_e32 v[18:19], v[18:19], v[28:29]
	v_fma_f64 v[30:31], v[4:5], v[34:35], v[30:31]
	v_fma_f64 v[32:33], v[2:3], v[34:35], -v[32:33]
	ds_load_b128 v[2:5], v1 offset:1904
	s_wait_loadcnt_dscnt 0x201
	v_mul_f64_e32 v[24:25], v[6:7], v[165:166]
	v_mul_f64_e32 v[28:29], v[8:9], v[165:166]
	v_add_f64_e32 v[20:21], v[20:21], v[22:23]
	v_add_f64_e32 v[18:19], v[18:19], v[26:27]
	s_wait_loadcnt_dscnt 0x100
	v_mul_f64_e32 v[22:23], v[2:3], v[12:13]
	v_mul_f64_e32 v[12:13], v[4:5], v[12:13]
	v_fma_f64 v[8:9], v[8:9], v[163:164], v[24:25]
	v_fma_f64 v[6:7], v[6:7], v[163:164], -v[28:29]
	v_add_f64_e32 v[20:21], v[20:21], v[30:31]
	v_add_f64_e32 v[18:19], v[18:19], v[32:33]
	v_fma_f64 v[4:5], v[4:5], v[10:11], v[22:23]
	v_fma_f64 v[2:3], v[2:3], v[10:11], -v[12:13]
	s_delay_alu instid0(VALU_DEP_4) | instskip(NEXT) | instid1(VALU_DEP_4)
	v_add_f64_e32 v[8:9], v[20:21], v[8:9]
	v_add_f64_e32 v[6:7], v[18:19], v[6:7]
	s_delay_alu instid0(VALU_DEP_2) | instskip(NEXT) | instid1(VALU_DEP_2)
	v_add_f64_e32 v[4:5], v[8:9], v[4:5]
	v_add_f64_e32 v[2:3], v[6:7], v[2:3]
	s_wait_loadcnt 0x0
	s_delay_alu instid0(VALU_DEP_2) | instskip(NEXT) | instid1(VALU_DEP_2)
	v_add_f64_e64 v[4:5], v[16:17], -v[4:5]
	v_add_f64_e64 v[2:3], v[14:15], -v[2:3]
	scratch_store_b128 off, v[2:5], off offset:432
	v_cmpx_lt_u32_e32 25, v0
	s_cbranch_execz .LBB59_323
; %bb.322:
	scratch_load_b128 v[5:8], off, s40
	v_dual_mov_b32 v2, v1 :: v_dual_mov_b32 v3, v1
	v_mov_b32_e32 v4, v1
	scratch_store_b128 off, v[1:4], off offset:416
	s_wait_loadcnt 0x0
	ds_store_b128 v162, v[5:8]
.LBB59_323:
	s_wait_alu 0xfffe
	s_or_b32 exec_lo, exec_lo, s0
	s_wait_storecnt_dscnt 0x0
	s_barrier_signal -1
	s_barrier_wait -1
	global_inv scope:SCOPE_SE
	s_clause 0x7
	scratch_load_b128 v[2:5], off, off offset:432
	scratch_load_b128 v[6:9], off, off offset:448
	;; [unrolled: 1-line block ×8, first 2 shown]
	ds_load_b128 v[38:41], v1 offset:1376
	ds_load_b128 v[163:166], v1 offset:1392
	s_clause 0x1
	scratch_load_b128 v[34:37], off, off offset:560
	scratch_load_b128 v[167:170], off, off offset:576
	s_mov_b32 s0, exec_lo
	s_wait_loadcnt_dscnt 0x901
	v_mul_f64_e32 v[171:172], v[40:41], v[4:5]
	v_mul_f64_e32 v[4:5], v[38:39], v[4:5]
	s_wait_loadcnt_dscnt 0x800
	v_mul_f64_e32 v[173:174], v[163:164], v[8:9]
	v_mul_f64_e32 v[8:9], v[165:166], v[8:9]
	s_delay_alu instid0(VALU_DEP_4) | instskip(NEXT) | instid1(VALU_DEP_4)
	v_fma_f64 v[171:172], v[38:39], v[2:3], -v[171:172]
	v_fma_f64 v[175:176], v[40:41], v[2:3], v[4:5]
	ds_load_b128 v[2:5], v1 offset:1408
	scratch_load_b128 v[38:41], off, off offset:592
	v_fma_f64 v[173:174], v[165:166], v[6:7], v[173:174]
	v_fma_f64 v[179:180], v[163:164], v[6:7], -v[8:9]
	ds_load_b128 v[6:9], v1 offset:1424
	scratch_load_b128 v[163:166], off, off offset:608
	s_wait_loadcnt_dscnt 0x901
	v_mul_f64_e32 v[177:178], v[2:3], v[12:13]
	v_mul_f64_e32 v[12:13], v[4:5], v[12:13]
	s_wait_loadcnt_dscnt 0x800
	v_mul_f64_e32 v[181:182], v[6:7], v[16:17]
	v_mul_f64_e32 v[16:17], v[8:9], v[16:17]
	v_add_f64_e32 v[171:172], 0, v[171:172]
	v_add_f64_e32 v[175:176], 0, v[175:176]
	v_fma_f64 v[177:178], v[4:5], v[10:11], v[177:178]
	v_fma_f64 v[183:184], v[2:3], v[10:11], -v[12:13]
	ds_load_b128 v[2:5], v1 offset:1440
	scratch_load_b128 v[10:13], off, off offset:624
	v_add_f64_e32 v[171:172], v[171:172], v[179:180]
	v_add_f64_e32 v[173:174], v[175:176], v[173:174]
	v_fma_f64 v[179:180], v[8:9], v[14:15], v[181:182]
	v_fma_f64 v[181:182], v[6:7], v[14:15], -v[16:17]
	ds_load_b128 v[6:9], v1 offset:1456
	scratch_load_b128 v[14:17], off, off offset:640
	s_wait_loadcnt_dscnt 0x901
	v_mul_f64_e32 v[175:176], v[2:3], v[20:21]
	v_mul_f64_e32 v[20:21], v[4:5], v[20:21]
	v_add_f64_e32 v[171:172], v[171:172], v[183:184]
	v_add_f64_e32 v[173:174], v[173:174], v[177:178]
	s_wait_loadcnt_dscnt 0x800
	v_mul_f64_e32 v[177:178], v[6:7], v[24:25]
	v_mul_f64_e32 v[24:25], v[8:9], v[24:25]
	v_fma_f64 v[175:176], v[4:5], v[18:19], v[175:176]
	v_fma_f64 v[183:184], v[2:3], v[18:19], -v[20:21]
	ds_load_b128 v[2:5], v1 offset:1472
	scratch_load_b128 v[18:21], off, off offset:656
	v_add_f64_e32 v[171:172], v[171:172], v[181:182]
	v_add_f64_e32 v[173:174], v[173:174], v[179:180]
	v_fma_f64 v[177:178], v[8:9], v[22:23], v[177:178]
	v_fma_f64 v[181:182], v[6:7], v[22:23], -v[24:25]
	ds_load_b128 v[6:9], v1 offset:1488
	s_wait_loadcnt_dscnt 0x801
	v_mul_f64_e32 v[179:180], v[2:3], v[28:29]
	v_mul_f64_e32 v[28:29], v[4:5], v[28:29]
	scratch_load_b128 v[22:25], off, off offset:672
	v_add_f64_e32 v[171:172], v[171:172], v[183:184]
	v_add_f64_e32 v[173:174], v[173:174], v[175:176]
	s_wait_loadcnt_dscnt 0x800
	v_mul_f64_e32 v[175:176], v[6:7], v[32:33]
	v_mul_f64_e32 v[32:33], v[8:9], v[32:33]
	v_fma_f64 v[179:180], v[4:5], v[26:27], v[179:180]
	v_fma_f64 v[183:184], v[2:3], v[26:27], -v[28:29]
	ds_load_b128 v[2:5], v1 offset:1504
	scratch_load_b128 v[26:29], off, off offset:688
	v_add_f64_e32 v[171:172], v[171:172], v[181:182]
	v_add_f64_e32 v[173:174], v[173:174], v[177:178]
	v_fma_f64 v[175:176], v[8:9], v[30:31], v[175:176]
	v_fma_f64 v[181:182], v[6:7], v[30:31], -v[32:33]
	ds_load_b128 v[6:9], v1 offset:1520
	s_wait_loadcnt_dscnt 0x801
	v_mul_f64_e32 v[177:178], v[2:3], v[36:37]
	v_mul_f64_e32 v[36:37], v[4:5], v[36:37]
	scratch_load_b128 v[30:33], off, off offset:704
	v_add_f64_e32 v[171:172], v[171:172], v[183:184]
	v_add_f64_e32 v[173:174], v[173:174], v[179:180]
	s_wait_loadcnt_dscnt 0x800
	v_mul_f64_e32 v[179:180], v[6:7], v[169:170]
	v_mul_f64_e32 v[169:170], v[8:9], v[169:170]
	v_fma_f64 v[177:178], v[4:5], v[34:35], v[177:178]
	v_fma_f64 v[183:184], v[2:3], v[34:35], -v[36:37]
	ds_load_b128 v[2:5], v1 offset:1536
	scratch_load_b128 v[34:37], off, off offset:720
	v_add_f64_e32 v[171:172], v[171:172], v[181:182]
	v_add_f64_e32 v[173:174], v[173:174], v[175:176]
	v_fma_f64 v[179:180], v[8:9], v[167:168], v[179:180]
	v_fma_f64 v[181:182], v[6:7], v[167:168], -v[169:170]
	ds_load_b128 v[6:9], v1 offset:1552
	scratch_load_b128 v[167:170], off, off offset:736
	s_wait_loadcnt_dscnt 0x901
	v_mul_f64_e32 v[175:176], v[2:3], v[40:41]
	v_mul_f64_e32 v[40:41], v[4:5], v[40:41]
	v_add_f64_e32 v[171:172], v[171:172], v[183:184]
	v_add_f64_e32 v[173:174], v[173:174], v[177:178]
	s_wait_loadcnt_dscnt 0x800
	v_mul_f64_e32 v[177:178], v[6:7], v[165:166]
	v_mul_f64_e32 v[165:166], v[8:9], v[165:166]
	v_fma_f64 v[175:176], v[4:5], v[38:39], v[175:176]
	v_fma_f64 v[183:184], v[2:3], v[38:39], -v[40:41]
	ds_load_b128 v[2:5], v1 offset:1568
	scratch_load_b128 v[38:41], off, off offset:752
	v_add_f64_e32 v[171:172], v[171:172], v[181:182]
	v_add_f64_e32 v[173:174], v[173:174], v[179:180]
	v_fma_f64 v[177:178], v[8:9], v[163:164], v[177:178]
	v_fma_f64 v[181:182], v[6:7], v[163:164], -v[165:166]
	ds_load_b128 v[6:9], v1 offset:1584
	s_wait_loadcnt_dscnt 0x801
	v_mul_f64_e32 v[179:180], v[2:3], v[12:13]
	v_mul_f64_e32 v[12:13], v[4:5], v[12:13]
	scratch_load_b128 v[163:166], off, off offset:768
	v_add_f64_e32 v[171:172], v[171:172], v[183:184]
	v_add_f64_e32 v[173:174], v[173:174], v[175:176]
	s_wait_loadcnt_dscnt 0x800
	v_mul_f64_e32 v[175:176], v[6:7], v[16:17]
	v_mul_f64_e32 v[16:17], v[8:9], v[16:17]
	v_fma_f64 v[179:180], v[4:5], v[10:11], v[179:180]
	v_fma_f64 v[183:184], v[2:3], v[10:11], -v[12:13]
	ds_load_b128 v[2:5], v1 offset:1600
	scratch_load_b128 v[10:13], off, off offset:784
	v_add_f64_e32 v[171:172], v[171:172], v[181:182]
	v_add_f64_e32 v[173:174], v[173:174], v[177:178]
	v_fma_f64 v[175:176], v[8:9], v[14:15], v[175:176]
	v_fma_f64 v[181:182], v[6:7], v[14:15], -v[16:17]
	ds_load_b128 v[6:9], v1 offset:1616
	s_wait_loadcnt_dscnt 0x801
	v_mul_f64_e32 v[177:178], v[2:3], v[20:21]
	v_mul_f64_e32 v[20:21], v[4:5], v[20:21]
	scratch_load_b128 v[14:17], off, off offset:800
	;; [unrolled: 18-line block ×7, first 2 shown]
	v_add_f64_e32 v[171:172], v[171:172], v[183:184]
	v_add_f64_e32 v[173:174], v[173:174], v[175:176]
	s_wait_loadcnt_dscnt 0x800
	v_mul_f64_e32 v[175:176], v[6:7], v[24:25]
	v_mul_f64_e32 v[24:25], v[8:9], v[24:25]
	v_fma_f64 v[179:180], v[4:5], v[18:19], v[179:180]
	v_fma_f64 v[18:19], v[2:3], v[18:19], -v[20:21]
	ds_load_b128 v[2:5], v1 offset:1792
	v_add_f64_e32 v[20:21], v[171:172], v[181:182]
	v_add_f64_e32 v[171:172], v[173:174], v[177:178]
	v_fma_f64 v[175:176], v[8:9], v[22:23], v[175:176]
	v_fma_f64 v[22:23], v[6:7], v[22:23], -v[24:25]
	ds_load_b128 v[6:9], v1 offset:1808
	s_wait_loadcnt_dscnt 0x701
	v_mul_f64_e32 v[173:174], v[2:3], v[28:29]
	v_mul_f64_e32 v[28:29], v[4:5], v[28:29]
	v_add_f64_e32 v[18:19], v[20:21], v[18:19]
	v_add_f64_e32 v[20:21], v[171:172], v[179:180]
	s_delay_alu instid0(VALU_DEP_4) | instskip(NEXT) | instid1(VALU_DEP_4)
	v_fma_f64 v[171:172], v[4:5], v[26:27], v[173:174]
	v_fma_f64 v[26:27], v[2:3], v[26:27], -v[28:29]
	ds_load_b128 v[2:5], v1 offset:1824
	v_add_f64_e32 v[22:23], v[18:19], v[22:23]
	v_add_f64_e32 v[28:29], v[20:21], v[175:176]
	scratch_load_b128 v[18:21], off, off offset:416
	s_wait_loadcnt_dscnt 0x701
	v_mul_f64_e32 v[24:25], v[6:7], v[32:33]
	v_mul_f64_e32 v[32:33], v[8:9], v[32:33]
	v_add_f64_e32 v[22:23], v[22:23], v[26:27]
	v_add_f64_e32 v[26:27], v[28:29], v[171:172]
	s_delay_alu instid0(VALU_DEP_4) | instskip(NEXT) | instid1(VALU_DEP_4)
	v_fma_f64 v[24:25], v[8:9], v[30:31], v[24:25]
	v_fma_f64 v[30:31], v[6:7], v[30:31], -v[32:33]
	ds_load_b128 v[6:9], v1 offset:1840
	s_wait_loadcnt_dscnt 0x601
	v_mul_f64_e32 v[173:174], v[2:3], v[36:37]
	v_mul_f64_e32 v[36:37], v[4:5], v[36:37]
	s_wait_loadcnt_dscnt 0x500
	v_mul_f64_e32 v[28:29], v[6:7], v[169:170]
	v_mul_f64_e32 v[32:33], v[8:9], v[169:170]
	v_add_f64_e32 v[24:25], v[26:27], v[24:25]
	v_add_f64_e32 v[22:23], v[22:23], v[30:31]
	v_fma_f64 v[169:170], v[4:5], v[34:35], v[173:174]
	v_fma_f64 v[34:35], v[2:3], v[34:35], -v[36:37]
	ds_load_b128 v[2:5], v1 offset:1856
	v_fma_f64 v[28:29], v[8:9], v[167:168], v[28:29]
	v_fma_f64 v[32:33], v[6:7], v[167:168], -v[32:33]
	ds_load_b128 v[6:9], v1 offset:1872
	s_wait_loadcnt_dscnt 0x401
	v_mul_f64_e32 v[26:27], v[2:3], v[40:41]
	v_mul_f64_e32 v[30:31], v[4:5], v[40:41]
	v_add_f64_e32 v[24:25], v[24:25], v[169:170]
	v_add_f64_e32 v[22:23], v[22:23], v[34:35]
	s_wait_loadcnt_dscnt 0x300
	v_mul_f64_e32 v[34:35], v[6:7], v[165:166]
	v_mul_f64_e32 v[36:37], v[8:9], v[165:166]
	v_fma_f64 v[26:27], v[4:5], v[38:39], v[26:27]
	v_fma_f64 v[30:31], v[2:3], v[38:39], -v[30:31]
	ds_load_b128 v[2:5], v1 offset:1888
	v_add_f64_e32 v[24:25], v[24:25], v[28:29]
	v_add_f64_e32 v[22:23], v[22:23], v[32:33]
	v_fma_f64 v[32:33], v[8:9], v[163:164], v[34:35]
	v_fma_f64 v[34:35], v[6:7], v[163:164], -v[36:37]
	ds_load_b128 v[6:9], v1 offset:1904
	s_wait_loadcnt_dscnt 0x201
	v_mul_f64_e32 v[28:29], v[2:3], v[12:13]
	v_mul_f64_e32 v[12:13], v[4:5], v[12:13]
	v_add_f64_e32 v[24:25], v[24:25], v[26:27]
	v_add_f64_e32 v[22:23], v[22:23], v[30:31]
	s_wait_loadcnt_dscnt 0x100
	v_mul_f64_e32 v[26:27], v[6:7], v[16:17]
	v_mul_f64_e32 v[16:17], v[8:9], v[16:17]
	v_fma_f64 v[4:5], v[4:5], v[10:11], v[28:29]
	v_fma_f64 v[1:2], v[2:3], v[10:11], -v[12:13]
	v_add_f64_e32 v[12:13], v[24:25], v[32:33]
	v_add_f64_e32 v[10:11], v[22:23], v[34:35]
	v_fma_f64 v[8:9], v[8:9], v[14:15], v[26:27]
	v_fma_f64 v[6:7], v[6:7], v[14:15], -v[16:17]
	s_delay_alu instid0(VALU_DEP_4) | instskip(NEXT) | instid1(VALU_DEP_4)
	v_add_f64_e32 v[3:4], v[12:13], v[4:5]
	v_add_f64_e32 v[1:2], v[10:11], v[1:2]
	s_delay_alu instid0(VALU_DEP_2) | instskip(NEXT) | instid1(VALU_DEP_2)
	v_add_f64_e32 v[3:4], v[3:4], v[8:9]
	v_add_f64_e32 v[1:2], v[1:2], v[6:7]
	s_wait_loadcnt 0x0
	s_delay_alu instid0(VALU_DEP_2) | instskip(NEXT) | instid1(VALU_DEP_2)
	v_add_f64_e64 v[3:4], v[20:21], -v[3:4]
	v_add_f64_e64 v[1:2], v[18:19], -v[1:2]
	scratch_store_b128 off, v[1:4], off offset:416
	v_cmpx_lt_u32_e32 24, v0
	s_cbranch_execz .LBB59_325
; %bb.324:
	scratch_load_b128 v[1:4], off, s44
	v_mov_b32_e32 v5, 0
	s_delay_alu instid0(VALU_DEP_1)
	v_dual_mov_b32 v6, v5 :: v_dual_mov_b32 v7, v5
	v_mov_b32_e32 v8, v5
	scratch_store_b128 off, v[5:8], off offset:400
	s_wait_loadcnt 0x0
	ds_store_b128 v162, v[1:4]
.LBB59_325:
	s_wait_alu 0xfffe
	s_or_b32 exec_lo, exec_lo, s0
	s_wait_storecnt_dscnt 0x0
	s_barrier_signal -1
	s_barrier_wait -1
	global_inv scope:SCOPE_SE
	s_clause 0x7
	scratch_load_b128 v[2:5], off, off offset:416
	scratch_load_b128 v[6:9], off, off offset:432
	;; [unrolled: 1-line block ×8, first 2 shown]
	v_mov_b32_e32 v1, 0
	s_clause 0x1
	scratch_load_b128 v[34:37], off, off offset:544
	scratch_load_b128 v[167:170], off, off offset:560
	s_mov_b32 s0, exec_lo
	ds_load_b128 v[38:41], v1 offset:1360
	ds_load_b128 v[163:166], v1 offset:1376
	s_wait_loadcnt_dscnt 0x901
	v_mul_f64_e32 v[171:172], v[40:41], v[4:5]
	v_mul_f64_e32 v[4:5], v[38:39], v[4:5]
	s_wait_loadcnt_dscnt 0x800
	v_mul_f64_e32 v[173:174], v[163:164], v[8:9]
	v_mul_f64_e32 v[8:9], v[165:166], v[8:9]
	s_delay_alu instid0(VALU_DEP_4) | instskip(NEXT) | instid1(VALU_DEP_4)
	v_fma_f64 v[171:172], v[38:39], v[2:3], -v[171:172]
	v_fma_f64 v[175:176], v[40:41], v[2:3], v[4:5]
	ds_load_b128 v[2:5], v1 offset:1392
	scratch_load_b128 v[38:41], off, off offset:576
	v_fma_f64 v[173:174], v[165:166], v[6:7], v[173:174]
	v_fma_f64 v[179:180], v[163:164], v[6:7], -v[8:9]
	ds_load_b128 v[6:9], v1 offset:1408
	scratch_load_b128 v[163:166], off, off offset:592
	s_wait_loadcnt_dscnt 0x901
	v_mul_f64_e32 v[177:178], v[2:3], v[12:13]
	v_mul_f64_e32 v[12:13], v[4:5], v[12:13]
	s_wait_loadcnt_dscnt 0x800
	v_mul_f64_e32 v[181:182], v[6:7], v[16:17]
	v_mul_f64_e32 v[16:17], v[8:9], v[16:17]
	v_add_f64_e32 v[171:172], 0, v[171:172]
	v_add_f64_e32 v[175:176], 0, v[175:176]
	v_fma_f64 v[177:178], v[4:5], v[10:11], v[177:178]
	v_fma_f64 v[183:184], v[2:3], v[10:11], -v[12:13]
	ds_load_b128 v[2:5], v1 offset:1424
	scratch_load_b128 v[10:13], off, off offset:608
	v_add_f64_e32 v[171:172], v[171:172], v[179:180]
	v_add_f64_e32 v[173:174], v[175:176], v[173:174]
	v_fma_f64 v[179:180], v[8:9], v[14:15], v[181:182]
	v_fma_f64 v[181:182], v[6:7], v[14:15], -v[16:17]
	ds_load_b128 v[6:9], v1 offset:1440
	scratch_load_b128 v[14:17], off, off offset:624
	s_wait_loadcnt_dscnt 0x901
	v_mul_f64_e32 v[175:176], v[2:3], v[20:21]
	v_mul_f64_e32 v[20:21], v[4:5], v[20:21]
	v_add_f64_e32 v[171:172], v[171:172], v[183:184]
	v_add_f64_e32 v[173:174], v[173:174], v[177:178]
	s_wait_loadcnt_dscnt 0x800
	v_mul_f64_e32 v[177:178], v[6:7], v[24:25]
	v_mul_f64_e32 v[24:25], v[8:9], v[24:25]
	v_fma_f64 v[175:176], v[4:5], v[18:19], v[175:176]
	v_fma_f64 v[183:184], v[2:3], v[18:19], -v[20:21]
	ds_load_b128 v[2:5], v1 offset:1456
	scratch_load_b128 v[18:21], off, off offset:640
	v_add_f64_e32 v[171:172], v[171:172], v[181:182]
	v_add_f64_e32 v[173:174], v[173:174], v[179:180]
	v_fma_f64 v[177:178], v[8:9], v[22:23], v[177:178]
	v_fma_f64 v[181:182], v[6:7], v[22:23], -v[24:25]
	ds_load_b128 v[6:9], v1 offset:1472
	s_wait_loadcnt_dscnt 0x801
	v_mul_f64_e32 v[179:180], v[2:3], v[28:29]
	v_mul_f64_e32 v[28:29], v[4:5], v[28:29]
	scratch_load_b128 v[22:25], off, off offset:656
	v_add_f64_e32 v[171:172], v[171:172], v[183:184]
	v_add_f64_e32 v[173:174], v[173:174], v[175:176]
	s_wait_loadcnt_dscnt 0x800
	v_mul_f64_e32 v[175:176], v[6:7], v[32:33]
	v_mul_f64_e32 v[32:33], v[8:9], v[32:33]
	v_fma_f64 v[179:180], v[4:5], v[26:27], v[179:180]
	v_fma_f64 v[183:184], v[2:3], v[26:27], -v[28:29]
	ds_load_b128 v[2:5], v1 offset:1488
	scratch_load_b128 v[26:29], off, off offset:672
	v_add_f64_e32 v[171:172], v[171:172], v[181:182]
	v_add_f64_e32 v[173:174], v[173:174], v[177:178]
	v_fma_f64 v[175:176], v[8:9], v[30:31], v[175:176]
	v_fma_f64 v[181:182], v[6:7], v[30:31], -v[32:33]
	ds_load_b128 v[6:9], v1 offset:1504
	s_wait_loadcnt_dscnt 0x801
	v_mul_f64_e32 v[177:178], v[2:3], v[36:37]
	v_mul_f64_e32 v[36:37], v[4:5], v[36:37]
	scratch_load_b128 v[30:33], off, off offset:688
	v_add_f64_e32 v[171:172], v[171:172], v[183:184]
	v_add_f64_e32 v[173:174], v[173:174], v[179:180]
	s_wait_loadcnt_dscnt 0x800
	v_mul_f64_e32 v[179:180], v[6:7], v[169:170]
	v_mul_f64_e32 v[169:170], v[8:9], v[169:170]
	v_fma_f64 v[177:178], v[4:5], v[34:35], v[177:178]
	v_fma_f64 v[183:184], v[2:3], v[34:35], -v[36:37]
	ds_load_b128 v[2:5], v1 offset:1520
	scratch_load_b128 v[34:37], off, off offset:704
	v_add_f64_e32 v[171:172], v[171:172], v[181:182]
	v_add_f64_e32 v[173:174], v[173:174], v[175:176]
	v_fma_f64 v[179:180], v[8:9], v[167:168], v[179:180]
	v_fma_f64 v[181:182], v[6:7], v[167:168], -v[169:170]
	ds_load_b128 v[6:9], v1 offset:1536
	scratch_load_b128 v[167:170], off, off offset:720
	s_wait_loadcnt_dscnt 0x901
	v_mul_f64_e32 v[175:176], v[2:3], v[40:41]
	v_mul_f64_e32 v[40:41], v[4:5], v[40:41]
	v_add_f64_e32 v[171:172], v[171:172], v[183:184]
	v_add_f64_e32 v[173:174], v[173:174], v[177:178]
	s_wait_loadcnt_dscnt 0x800
	v_mul_f64_e32 v[177:178], v[6:7], v[165:166]
	v_mul_f64_e32 v[165:166], v[8:9], v[165:166]
	v_fma_f64 v[175:176], v[4:5], v[38:39], v[175:176]
	v_fma_f64 v[183:184], v[2:3], v[38:39], -v[40:41]
	ds_load_b128 v[2:5], v1 offset:1552
	scratch_load_b128 v[38:41], off, off offset:736
	v_add_f64_e32 v[171:172], v[171:172], v[181:182]
	v_add_f64_e32 v[173:174], v[173:174], v[179:180]
	v_fma_f64 v[177:178], v[8:9], v[163:164], v[177:178]
	v_fma_f64 v[181:182], v[6:7], v[163:164], -v[165:166]
	ds_load_b128 v[6:9], v1 offset:1568
	s_wait_loadcnt_dscnt 0x801
	v_mul_f64_e32 v[179:180], v[2:3], v[12:13]
	v_mul_f64_e32 v[12:13], v[4:5], v[12:13]
	scratch_load_b128 v[163:166], off, off offset:752
	v_add_f64_e32 v[171:172], v[171:172], v[183:184]
	v_add_f64_e32 v[173:174], v[173:174], v[175:176]
	s_wait_loadcnt_dscnt 0x800
	v_mul_f64_e32 v[175:176], v[6:7], v[16:17]
	v_mul_f64_e32 v[16:17], v[8:9], v[16:17]
	v_fma_f64 v[179:180], v[4:5], v[10:11], v[179:180]
	v_fma_f64 v[183:184], v[2:3], v[10:11], -v[12:13]
	ds_load_b128 v[2:5], v1 offset:1584
	scratch_load_b128 v[10:13], off, off offset:768
	v_add_f64_e32 v[171:172], v[171:172], v[181:182]
	v_add_f64_e32 v[173:174], v[173:174], v[177:178]
	v_fma_f64 v[175:176], v[8:9], v[14:15], v[175:176]
	v_fma_f64 v[181:182], v[6:7], v[14:15], -v[16:17]
	ds_load_b128 v[6:9], v1 offset:1600
	s_wait_loadcnt_dscnt 0x801
	v_mul_f64_e32 v[177:178], v[2:3], v[20:21]
	v_mul_f64_e32 v[20:21], v[4:5], v[20:21]
	scratch_load_b128 v[14:17], off, off offset:784
	;; [unrolled: 18-line block ×7, first 2 shown]
	v_add_f64_e32 v[171:172], v[171:172], v[183:184]
	v_add_f64_e32 v[173:174], v[173:174], v[175:176]
	s_wait_loadcnt_dscnt 0x800
	v_mul_f64_e32 v[175:176], v[6:7], v[24:25]
	v_mul_f64_e32 v[24:25], v[8:9], v[24:25]
	v_fma_f64 v[179:180], v[4:5], v[18:19], v[179:180]
	v_fma_f64 v[183:184], v[2:3], v[18:19], -v[20:21]
	ds_load_b128 v[2:5], v1 offset:1776
	scratch_load_b128 v[18:21], off, off offset:960
	v_add_f64_e32 v[171:172], v[171:172], v[181:182]
	v_add_f64_e32 v[173:174], v[173:174], v[177:178]
	v_fma_f64 v[175:176], v[8:9], v[22:23], v[175:176]
	v_fma_f64 v[22:23], v[6:7], v[22:23], -v[24:25]
	ds_load_b128 v[6:9], v1 offset:1792
	s_wait_loadcnt_dscnt 0x801
	v_mul_f64_e32 v[177:178], v[2:3], v[28:29]
	v_mul_f64_e32 v[28:29], v[4:5], v[28:29]
	v_add_f64_e32 v[24:25], v[171:172], v[183:184]
	v_add_f64_e32 v[171:172], v[173:174], v[179:180]
	s_wait_loadcnt_dscnt 0x700
	v_mul_f64_e32 v[173:174], v[6:7], v[32:33]
	v_mul_f64_e32 v[32:33], v[8:9], v[32:33]
	v_fma_f64 v[177:178], v[4:5], v[26:27], v[177:178]
	v_fma_f64 v[26:27], v[2:3], v[26:27], -v[28:29]
	ds_load_b128 v[2:5], v1 offset:1808
	v_add_f64_e32 v[22:23], v[24:25], v[22:23]
	v_add_f64_e32 v[24:25], v[171:172], v[175:176]
	v_fma_f64 v[171:172], v[8:9], v[30:31], v[173:174]
	v_fma_f64 v[30:31], v[6:7], v[30:31], -v[32:33]
	ds_load_b128 v[6:9], v1 offset:1824
	s_wait_loadcnt_dscnt 0x500
	v_mul_f64_e32 v[173:174], v[6:7], v[169:170]
	v_mul_f64_e32 v[169:170], v[8:9], v[169:170]
	v_add_f64_e32 v[26:27], v[22:23], v[26:27]
	v_add_f64_e32 v[32:33], v[24:25], v[177:178]
	scratch_load_b128 v[22:25], off, off offset:400
	v_mul_f64_e32 v[28:29], v[2:3], v[36:37]
	v_mul_f64_e32 v[36:37], v[4:5], v[36:37]
	v_add_f64_e32 v[26:27], v[26:27], v[30:31]
	v_add_f64_e32 v[30:31], v[32:33], v[171:172]
	s_delay_alu instid0(VALU_DEP_4) | instskip(NEXT) | instid1(VALU_DEP_4)
	v_fma_f64 v[28:29], v[4:5], v[34:35], v[28:29]
	v_fma_f64 v[34:35], v[2:3], v[34:35], -v[36:37]
	ds_load_b128 v[2:5], v1 offset:1840
	s_wait_loadcnt_dscnt 0x500
	v_mul_f64_e32 v[32:33], v[2:3], v[40:41]
	v_mul_f64_e32 v[36:37], v[4:5], v[40:41]
	v_fma_f64 v[40:41], v[8:9], v[167:168], v[173:174]
	v_fma_f64 v[167:168], v[6:7], v[167:168], -v[169:170]
	ds_load_b128 v[6:9], v1 offset:1856
	v_add_f64_e32 v[28:29], v[30:31], v[28:29]
	v_add_f64_e32 v[26:27], v[26:27], v[34:35]
	v_fma_f64 v[32:33], v[4:5], v[38:39], v[32:33]
	v_fma_f64 v[36:37], v[2:3], v[38:39], -v[36:37]
	ds_load_b128 v[2:5], v1 offset:1872
	s_wait_loadcnt_dscnt 0x401
	v_mul_f64_e32 v[30:31], v[6:7], v[165:166]
	v_mul_f64_e32 v[34:35], v[8:9], v[165:166]
	v_add_f64_e32 v[28:29], v[28:29], v[40:41]
	v_add_f64_e32 v[26:27], v[26:27], v[167:168]
	s_wait_loadcnt_dscnt 0x300
	v_mul_f64_e32 v[38:39], v[2:3], v[12:13]
	v_mul_f64_e32 v[12:13], v[4:5], v[12:13]
	v_fma_f64 v[30:31], v[8:9], v[163:164], v[30:31]
	v_fma_f64 v[34:35], v[6:7], v[163:164], -v[34:35]
	ds_load_b128 v[6:9], v1 offset:1888
	v_add_f64_e32 v[28:29], v[28:29], v[32:33]
	v_add_f64_e32 v[26:27], v[26:27], v[36:37]
	v_fma_f64 v[36:37], v[4:5], v[10:11], v[38:39]
	v_fma_f64 v[10:11], v[2:3], v[10:11], -v[12:13]
	ds_load_b128 v[2:5], v1 offset:1904
	s_wait_loadcnt_dscnt 0x201
	v_mul_f64_e32 v[32:33], v[6:7], v[16:17]
	v_mul_f64_e32 v[16:17], v[8:9], v[16:17]
	v_add_f64_e32 v[12:13], v[26:27], v[34:35]
	v_add_f64_e32 v[26:27], v[28:29], v[30:31]
	s_wait_loadcnt_dscnt 0x100
	v_mul_f64_e32 v[28:29], v[2:3], v[20:21]
	v_mul_f64_e32 v[20:21], v[4:5], v[20:21]
	v_fma_f64 v[8:9], v[8:9], v[14:15], v[32:33]
	v_fma_f64 v[6:7], v[6:7], v[14:15], -v[16:17]
	v_add_f64_e32 v[10:11], v[12:13], v[10:11]
	v_add_f64_e32 v[12:13], v[26:27], v[36:37]
	v_fma_f64 v[4:5], v[4:5], v[18:19], v[28:29]
	v_fma_f64 v[2:3], v[2:3], v[18:19], -v[20:21]
	s_delay_alu instid0(VALU_DEP_4) | instskip(NEXT) | instid1(VALU_DEP_4)
	v_add_f64_e32 v[6:7], v[10:11], v[6:7]
	v_add_f64_e32 v[8:9], v[12:13], v[8:9]
	s_delay_alu instid0(VALU_DEP_2) | instskip(NEXT) | instid1(VALU_DEP_2)
	v_add_f64_e32 v[2:3], v[6:7], v[2:3]
	v_add_f64_e32 v[4:5], v[8:9], v[4:5]
	s_wait_loadcnt 0x0
	s_delay_alu instid0(VALU_DEP_2) | instskip(NEXT) | instid1(VALU_DEP_2)
	v_add_f64_e64 v[2:3], v[22:23], -v[2:3]
	v_add_f64_e64 v[4:5], v[24:25], -v[4:5]
	scratch_store_b128 off, v[2:5], off offset:400
	v_cmpx_lt_u32_e32 23, v0
	s_cbranch_execz .LBB59_327
; %bb.326:
	scratch_load_b128 v[5:8], off, s43
	v_dual_mov_b32 v2, v1 :: v_dual_mov_b32 v3, v1
	v_mov_b32_e32 v4, v1
	scratch_store_b128 off, v[1:4], off offset:384
	s_wait_loadcnt 0x0
	ds_store_b128 v162, v[5:8]
.LBB59_327:
	s_wait_alu 0xfffe
	s_or_b32 exec_lo, exec_lo, s0
	s_wait_storecnt_dscnt 0x0
	s_barrier_signal -1
	s_barrier_wait -1
	global_inv scope:SCOPE_SE
	s_clause 0x7
	scratch_load_b128 v[2:5], off, off offset:400
	scratch_load_b128 v[6:9], off, off offset:416
	;; [unrolled: 1-line block ×8, first 2 shown]
	ds_load_b128 v[38:41], v1 offset:1344
	ds_load_b128 v[163:166], v1 offset:1360
	s_clause 0x1
	scratch_load_b128 v[34:37], off, off offset:528
	scratch_load_b128 v[167:170], off, off offset:544
	s_mov_b32 s0, exec_lo
	s_wait_loadcnt_dscnt 0x901
	v_mul_f64_e32 v[171:172], v[40:41], v[4:5]
	v_mul_f64_e32 v[4:5], v[38:39], v[4:5]
	s_wait_loadcnt_dscnt 0x800
	v_mul_f64_e32 v[173:174], v[163:164], v[8:9]
	v_mul_f64_e32 v[8:9], v[165:166], v[8:9]
	s_delay_alu instid0(VALU_DEP_4) | instskip(NEXT) | instid1(VALU_DEP_4)
	v_fma_f64 v[171:172], v[38:39], v[2:3], -v[171:172]
	v_fma_f64 v[175:176], v[40:41], v[2:3], v[4:5]
	ds_load_b128 v[2:5], v1 offset:1376
	scratch_load_b128 v[38:41], off, off offset:560
	v_fma_f64 v[173:174], v[165:166], v[6:7], v[173:174]
	v_fma_f64 v[179:180], v[163:164], v[6:7], -v[8:9]
	ds_load_b128 v[6:9], v1 offset:1392
	scratch_load_b128 v[163:166], off, off offset:576
	s_wait_loadcnt_dscnt 0x901
	v_mul_f64_e32 v[177:178], v[2:3], v[12:13]
	v_mul_f64_e32 v[12:13], v[4:5], v[12:13]
	s_wait_loadcnt_dscnt 0x800
	v_mul_f64_e32 v[181:182], v[6:7], v[16:17]
	v_mul_f64_e32 v[16:17], v[8:9], v[16:17]
	v_add_f64_e32 v[171:172], 0, v[171:172]
	v_add_f64_e32 v[175:176], 0, v[175:176]
	v_fma_f64 v[177:178], v[4:5], v[10:11], v[177:178]
	v_fma_f64 v[183:184], v[2:3], v[10:11], -v[12:13]
	ds_load_b128 v[2:5], v1 offset:1408
	scratch_load_b128 v[10:13], off, off offset:592
	v_add_f64_e32 v[171:172], v[171:172], v[179:180]
	v_add_f64_e32 v[173:174], v[175:176], v[173:174]
	v_fma_f64 v[179:180], v[8:9], v[14:15], v[181:182]
	v_fma_f64 v[181:182], v[6:7], v[14:15], -v[16:17]
	ds_load_b128 v[6:9], v1 offset:1424
	scratch_load_b128 v[14:17], off, off offset:608
	s_wait_loadcnt_dscnt 0x901
	v_mul_f64_e32 v[175:176], v[2:3], v[20:21]
	v_mul_f64_e32 v[20:21], v[4:5], v[20:21]
	v_add_f64_e32 v[171:172], v[171:172], v[183:184]
	v_add_f64_e32 v[173:174], v[173:174], v[177:178]
	s_wait_loadcnt_dscnt 0x800
	v_mul_f64_e32 v[177:178], v[6:7], v[24:25]
	v_mul_f64_e32 v[24:25], v[8:9], v[24:25]
	v_fma_f64 v[175:176], v[4:5], v[18:19], v[175:176]
	v_fma_f64 v[183:184], v[2:3], v[18:19], -v[20:21]
	ds_load_b128 v[2:5], v1 offset:1440
	scratch_load_b128 v[18:21], off, off offset:624
	v_add_f64_e32 v[171:172], v[171:172], v[181:182]
	v_add_f64_e32 v[173:174], v[173:174], v[179:180]
	v_fma_f64 v[177:178], v[8:9], v[22:23], v[177:178]
	v_fma_f64 v[181:182], v[6:7], v[22:23], -v[24:25]
	ds_load_b128 v[6:9], v1 offset:1456
	s_wait_loadcnt_dscnt 0x801
	v_mul_f64_e32 v[179:180], v[2:3], v[28:29]
	v_mul_f64_e32 v[28:29], v[4:5], v[28:29]
	scratch_load_b128 v[22:25], off, off offset:640
	v_add_f64_e32 v[171:172], v[171:172], v[183:184]
	v_add_f64_e32 v[173:174], v[173:174], v[175:176]
	s_wait_loadcnt_dscnt 0x800
	v_mul_f64_e32 v[175:176], v[6:7], v[32:33]
	v_mul_f64_e32 v[32:33], v[8:9], v[32:33]
	v_fma_f64 v[179:180], v[4:5], v[26:27], v[179:180]
	v_fma_f64 v[183:184], v[2:3], v[26:27], -v[28:29]
	ds_load_b128 v[2:5], v1 offset:1472
	scratch_load_b128 v[26:29], off, off offset:656
	v_add_f64_e32 v[171:172], v[171:172], v[181:182]
	v_add_f64_e32 v[173:174], v[173:174], v[177:178]
	v_fma_f64 v[175:176], v[8:9], v[30:31], v[175:176]
	v_fma_f64 v[181:182], v[6:7], v[30:31], -v[32:33]
	ds_load_b128 v[6:9], v1 offset:1488
	s_wait_loadcnt_dscnt 0x801
	v_mul_f64_e32 v[177:178], v[2:3], v[36:37]
	v_mul_f64_e32 v[36:37], v[4:5], v[36:37]
	scratch_load_b128 v[30:33], off, off offset:672
	v_add_f64_e32 v[171:172], v[171:172], v[183:184]
	v_add_f64_e32 v[173:174], v[173:174], v[179:180]
	s_wait_loadcnt_dscnt 0x800
	v_mul_f64_e32 v[179:180], v[6:7], v[169:170]
	v_mul_f64_e32 v[169:170], v[8:9], v[169:170]
	v_fma_f64 v[177:178], v[4:5], v[34:35], v[177:178]
	v_fma_f64 v[183:184], v[2:3], v[34:35], -v[36:37]
	ds_load_b128 v[2:5], v1 offset:1504
	scratch_load_b128 v[34:37], off, off offset:688
	v_add_f64_e32 v[171:172], v[171:172], v[181:182]
	v_add_f64_e32 v[173:174], v[173:174], v[175:176]
	v_fma_f64 v[179:180], v[8:9], v[167:168], v[179:180]
	v_fma_f64 v[181:182], v[6:7], v[167:168], -v[169:170]
	ds_load_b128 v[6:9], v1 offset:1520
	scratch_load_b128 v[167:170], off, off offset:704
	s_wait_loadcnt_dscnt 0x901
	v_mul_f64_e32 v[175:176], v[2:3], v[40:41]
	v_mul_f64_e32 v[40:41], v[4:5], v[40:41]
	v_add_f64_e32 v[171:172], v[171:172], v[183:184]
	v_add_f64_e32 v[173:174], v[173:174], v[177:178]
	s_wait_loadcnt_dscnt 0x800
	v_mul_f64_e32 v[177:178], v[6:7], v[165:166]
	v_mul_f64_e32 v[165:166], v[8:9], v[165:166]
	v_fma_f64 v[175:176], v[4:5], v[38:39], v[175:176]
	v_fma_f64 v[183:184], v[2:3], v[38:39], -v[40:41]
	ds_load_b128 v[2:5], v1 offset:1536
	scratch_load_b128 v[38:41], off, off offset:720
	v_add_f64_e32 v[171:172], v[171:172], v[181:182]
	v_add_f64_e32 v[173:174], v[173:174], v[179:180]
	v_fma_f64 v[177:178], v[8:9], v[163:164], v[177:178]
	v_fma_f64 v[181:182], v[6:7], v[163:164], -v[165:166]
	ds_load_b128 v[6:9], v1 offset:1552
	s_wait_loadcnt_dscnt 0x801
	v_mul_f64_e32 v[179:180], v[2:3], v[12:13]
	v_mul_f64_e32 v[12:13], v[4:5], v[12:13]
	scratch_load_b128 v[163:166], off, off offset:736
	v_add_f64_e32 v[171:172], v[171:172], v[183:184]
	v_add_f64_e32 v[173:174], v[173:174], v[175:176]
	s_wait_loadcnt_dscnt 0x800
	v_mul_f64_e32 v[175:176], v[6:7], v[16:17]
	v_mul_f64_e32 v[16:17], v[8:9], v[16:17]
	v_fma_f64 v[179:180], v[4:5], v[10:11], v[179:180]
	v_fma_f64 v[183:184], v[2:3], v[10:11], -v[12:13]
	ds_load_b128 v[2:5], v1 offset:1568
	scratch_load_b128 v[10:13], off, off offset:752
	v_add_f64_e32 v[171:172], v[171:172], v[181:182]
	v_add_f64_e32 v[173:174], v[173:174], v[177:178]
	v_fma_f64 v[175:176], v[8:9], v[14:15], v[175:176]
	v_fma_f64 v[181:182], v[6:7], v[14:15], -v[16:17]
	ds_load_b128 v[6:9], v1 offset:1584
	s_wait_loadcnt_dscnt 0x801
	v_mul_f64_e32 v[177:178], v[2:3], v[20:21]
	v_mul_f64_e32 v[20:21], v[4:5], v[20:21]
	scratch_load_b128 v[14:17], off, off offset:768
	;; [unrolled: 18-line block ×8, first 2 shown]
	v_add_f64_e32 v[171:172], v[171:172], v[183:184]
	v_add_f64_e32 v[173:174], v[173:174], v[179:180]
	s_wait_loadcnt_dscnt 0x800
	v_mul_f64_e32 v[179:180], v[6:7], v[32:33]
	v_mul_f64_e32 v[32:33], v[8:9], v[32:33]
	v_fma_f64 v[177:178], v[4:5], v[26:27], v[177:178]
	v_fma_f64 v[26:27], v[2:3], v[26:27], -v[28:29]
	ds_load_b128 v[2:5], v1 offset:1792
	v_add_f64_e32 v[28:29], v[171:172], v[181:182]
	v_add_f64_e32 v[171:172], v[173:174], v[175:176]
	v_fma_f64 v[175:176], v[8:9], v[30:31], v[179:180]
	v_fma_f64 v[30:31], v[6:7], v[30:31], -v[32:33]
	ds_load_b128 v[6:9], v1 offset:1808
	s_wait_loadcnt_dscnt 0x701
	v_mul_f64_e32 v[173:174], v[2:3], v[36:37]
	v_mul_f64_e32 v[36:37], v[4:5], v[36:37]
	v_add_f64_e32 v[26:27], v[28:29], v[26:27]
	v_add_f64_e32 v[28:29], v[171:172], v[177:178]
	s_delay_alu instid0(VALU_DEP_4) | instskip(NEXT) | instid1(VALU_DEP_4)
	v_fma_f64 v[171:172], v[4:5], v[34:35], v[173:174]
	v_fma_f64 v[34:35], v[2:3], v[34:35], -v[36:37]
	ds_load_b128 v[2:5], v1 offset:1824
	v_add_f64_e32 v[30:31], v[26:27], v[30:31]
	v_add_f64_e32 v[36:37], v[28:29], v[175:176]
	scratch_load_b128 v[26:29], off, off offset:384
	s_wait_loadcnt_dscnt 0x701
	v_mul_f64_e32 v[32:33], v[6:7], v[169:170]
	v_mul_f64_e32 v[169:170], v[8:9], v[169:170]
	v_add_f64_e32 v[30:31], v[30:31], v[34:35]
	v_add_f64_e32 v[34:35], v[36:37], v[171:172]
	s_delay_alu instid0(VALU_DEP_4) | instskip(NEXT) | instid1(VALU_DEP_4)
	v_fma_f64 v[32:33], v[8:9], v[167:168], v[32:33]
	v_fma_f64 v[167:168], v[6:7], v[167:168], -v[169:170]
	ds_load_b128 v[6:9], v1 offset:1840
	s_wait_loadcnt_dscnt 0x601
	v_mul_f64_e32 v[173:174], v[2:3], v[40:41]
	v_mul_f64_e32 v[40:41], v[4:5], v[40:41]
	s_wait_loadcnt_dscnt 0x500
	v_mul_f64_e32 v[36:37], v[6:7], v[165:166]
	v_mul_f64_e32 v[165:166], v[8:9], v[165:166]
	v_add_f64_e32 v[32:33], v[34:35], v[32:33]
	v_add_f64_e32 v[30:31], v[30:31], v[167:168]
	v_fma_f64 v[169:170], v[4:5], v[38:39], v[173:174]
	v_fma_f64 v[38:39], v[2:3], v[38:39], -v[40:41]
	ds_load_b128 v[2:5], v1 offset:1856
	v_fma_f64 v[36:37], v[8:9], v[163:164], v[36:37]
	v_fma_f64 v[40:41], v[6:7], v[163:164], -v[165:166]
	ds_load_b128 v[6:9], v1 offset:1872
	s_wait_loadcnt_dscnt 0x401
	v_mul_f64_e32 v[34:35], v[2:3], v[12:13]
	v_mul_f64_e32 v[12:13], v[4:5], v[12:13]
	v_add_f64_e32 v[32:33], v[32:33], v[169:170]
	v_add_f64_e32 v[30:31], v[30:31], v[38:39]
	s_wait_loadcnt_dscnt 0x300
	v_mul_f64_e32 v[38:39], v[6:7], v[16:17]
	v_mul_f64_e32 v[16:17], v[8:9], v[16:17]
	v_fma_f64 v[34:35], v[4:5], v[10:11], v[34:35]
	v_fma_f64 v[10:11], v[2:3], v[10:11], -v[12:13]
	ds_load_b128 v[2:5], v1 offset:1888
	v_add_f64_e32 v[12:13], v[30:31], v[40:41]
	v_add_f64_e32 v[30:31], v[32:33], v[36:37]
	v_fma_f64 v[36:37], v[8:9], v[14:15], v[38:39]
	v_fma_f64 v[14:15], v[6:7], v[14:15], -v[16:17]
	ds_load_b128 v[6:9], v1 offset:1904
	s_wait_loadcnt_dscnt 0x201
	v_mul_f64_e32 v[32:33], v[2:3], v[20:21]
	v_mul_f64_e32 v[20:21], v[4:5], v[20:21]
	s_wait_loadcnt_dscnt 0x100
	v_mul_f64_e32 v[16:17], v[6:7], v[24:25]
	v_mul_f64_e32 v[24:25], v[8:9], v[24:25]
	v_add_f64_e32 v[10:11], v[12:13], v[10:11]
	v_add_f64_e32 v[12:13], v[30:31], v[34:35]
	v_fma_f64 v[4:5], v[4:5], v[18:19], v[32:33]
	v_fma_f64 v[1:2], v[2:3], v[18:19], -v[20:21]
	v_fma_f64 v[8:9], v[8:9], v[22:23], v[16:17]
	v_fma_f64 v[6:7], v[6:7], v[22:23], -v[24:25]
	v_add_f64_e32 v[10:11], v[10:11], v[14:15]
	v_add_f64_e32 v[12:13], v[12:13], v[36:37]
	s_delay_alu instid0(VALU_DEP_2) | instskip(NEXT) | instid1(VALU_DEP_2)
	v_add_f64_e32 v[1:2], v[10:11], v[1:2]
	v_add_f64_e32 v[3:4], v[12:13], v[4:5]
	s_delay_alu instid0(VALU_DEP_2) | instskip(NEXT) | instid1(VALU_DEP_2)
	v_add_f64_e32 v[1:2], v[1:2], v[6:7]
	v_add_f64_e32 v[3:4], v[3:4], v[8:9]
	s_wait_loadcnt 0x0
	s_delay_alu instid0(VALU_DEP_2) | instskip(NEXT) | instid1(VALU_DEP_2)
	v_add_f64_e64 v[1:2], v[26:27], -v[1:2]
	v_add_f64_e64 v[3:4], v[28:29], -v[3:4]
	scratch_store_b128 off, v[1:4], off offset:384
	v_cmpx_lt_u32_e32 22, v0
	s_cbranch_execz .LBB59_329
; %bb.328:
	scratch_load_b128 v[1:4], off, s46
	v_mov_b32_e32 v5, 0
	s_delay_alu instid0(VALU_DEP_1)
	v_dual_mov_b32 v6, v5 :: v_dual_mov_b32 v7, v5
	v_mov_b32_e32 v8, v5
	scratch_store_b128 off, v[5:8], off offset:368
	s_wait_loadcnt 0x0
	ds_store_b128 v162, v[1:4]
.LBB59_329:
	s_wait_alu 0xfffe
	s_or_b32 exec_lo, exec_lo, s0
	s_wait_storecnt_dscnt 0x0
	s_barrier_signal -1
	s_barrier_wait -1
	global_inv scope:SCOPE_SE
	s_clause 0x7
	scratch_load_b128 v[2:5], off, off offset:384
	scratch_load_b128 v[6:9], off, off offset:400
	;; [unrolled: 1-line block ×8, first 2 shown]
	v_mov_b32_e32 v1, 0
	s_clause 0x1
	scratch_load_b128 v[34:37], off, off offset:512
	scratch_load_b128 v[167:170], off, off offset:528
	s_mov_b32 s0, exec_lo
	ds_load_b128 v[38:41], v1 offset:1328
	ds_load_b128 v[163:166], v1 offset:1344
	s_wait_loadcnt_dscnt 0x901
	v_mul_f64_e32 v[171:172], v[40:41], v[4:5]
	v_mul_f64_e32 v[4:5], v[38:39], v[4:5]
	s_wait_loadcnt_dscnt 0x800
	v_mul_f64_e32 v[173:174], v[163:164], v[8:9]
	v_mul_f64_e32 v[8:9], v[165:166], v[8:9]
	s_delay_alu instid0(VALU_DEP_4) | instskip(NEXT) | instid1(VALU_DEP_4)
	v_fma_f64 v[171:172], v[38:39], v[2:3], -v[171:172]
	v_fma_f64 v[175:176], v[40:41], v[2:3], v[4:5]
	ds_load_b128 v[2:5], v1 offset:1360
	scratch_load_b128 v[38:41], off, off offset:544
	v_fma_f64 v[173:174], v[165:166], v[6:7], v[173:174]
	v_fma_f64 v[179:180], v[163:164], v[6:7], -v[8:9]
	ds_load_b128 v[6:9], v1 offset:1376
	scratch_load_b128 v[163:166], off, off offset:560
	s_wait_loadcnt_dscnt 0x901
	v_mul_f64_e32 v[177:178], v[2:3], v[12:13]
	v_mul_f64_e32 v[12:13], v[4:5], v[12:13]
	s_wait_loadcnt_dscnt 0x800
	v_mul_f64_e32 v[181:182], v[6:7], v[16:17]
	v_mul_f64_e32 v[16:17], v[8:9], v[16:17]
	v_add_f64_e32 v[171:172], 0, v[171:172]
	v_add_f64_e32 v[175:176], 0, v[175:176]
	v_fma_f64 v[177:178], v[4:5], v[10:11], v[177:178]
	v_fma_f64 v[183:184], v[2:3], v[10:11], -v[12:13]
	ds_load_b128 v[2:5], v1 offset:1392
	scratch_load_b128 v[10:13], off, off offset:576
	v_add_f64_e32 v[171:172], v[171:172], v[179:180]
	v_add_f64_e32 v[173:174], v[175:176], v[173:174]
	v_fma_f64 v[179:180], v[8:9], v[14:15], v[181:182]
	v_fma_f64 v[181:182], v[6:7], v[14:15], -v[16:17]
	ds_load_b128 v[6:9], v1 offset:1408
	scratch_load_b128 v[14:17], off, off offset:592
	s_wait_loadcnt_dscnt 0x901
	v_mul_f64_e32 v[175:176], v[2:3], v[20:21]
	v_mul_f64_e32 v[20:21], v[4:5], v[20:21]
	v_add_f64_e32 v[171:172], v[171:172], v[183:184]
	v_add_f64_e32 v[173:174], v[173:174], v[177:178]
	s_wait_loadcnt_dscnt 0x800
	v_mul_f64_e32 v[177:178], v[6:7], v[24:25]
	v_mul_f64_e32 v[24:25], v[8:9], v[24:25]
	v_fma_f64 v[175:176], v[4:5], v[18:19], v[175:176]
	v_fma_f64 v[183:184], v[2:3], v[18:19], -v[20:21]
	ds_load_b128 v[2:5], v1 offset:1424
	scratch_load_b128 v[18:21], off, off offset:608
	v_add_f64_e32 v[171:172], v[171:172], v[181:182]
	v_add_f64_e32 v[173:174], v[173:174], v[179:180]
	v_fma_f64 v[177:178], v[8:9], v[22:23], v[177:178]
	v_fma_f64 v[181:182], v[6:7], v[22:23], -v[24:25]
	ds_load_b128 v[6:9], v1 offset:1440
	s_wait_loadcnt_dscnt 0x801
	v_mul_f64_e32 v[179:180], v[2:3], v[28:29]
	v_mul_f64_e32 v[28:29], v[4:5], v[28:29]
	scratch_load_b128 v[22:25], off, off offset:624
	v_add_f64_e32 v[171:172], v[171:172], v[183:184]
	v_add_f64_e32 v[173:174], v[173:174], v[175:176]
	s_wait_loadcnt_dscnt 0x800
	v_mul_f64_e32 v[175:176], v[6:7], v[32:33]
	v_mul_f64_e32 v[32:33], v[8:9], v[32:33]
	v_fma_f64 v[179:180], v[4:5], v[26:27], v[179:180]
	v_fma_f64 v[183:184], v[2:3], v[26:27], -v[28:29]
	ds_load_b128 v[2:5], v1 offset:1456
	scratch_load_b128 v[26:29], off, off offset:640
	v_add_f64_e32 v[171:172], v[171:172], v[181:182]
	v_add_f64_e32 v[173:174], v[173:174], v[177:178]
	v_fma_f64 v[175:176], v[8:9], v[30:31], v[175:176]
	v_fma_f64 v[181:182], v[6:7], v[30:31], -v[32:33]
	ds_load_b128 v[6:9], v1 offset:1472
	s_wait_loadcnt_dscnt 0x801
	v_mul_f64_e32 v[177:178], v[2:3], v[36:37]
	v_mul_f64_e32 v[36:37], v[4:5], v[36:37]
	scratch_load_b128 v[30:33], off, off offset:656
	v_add_f64_e32 v[171:172], v[171:172], v[183:184]
	v_add_f64_e32 v[173:174], v[173:174], v[179:180]
	s_wait_loadcnt_dscnt 0x800
	v_mul_f64_e32 v[179:180], v[6:7], v[169:170]
	v_mul_f64_e32 v[169:170], v[8:9], v[169:170]
	v_fma_f64 v[177:178], v[4:5], v[34:35], v[177:178]
	v_fma_f64 v[183:184], v[2:3], v[34:35], -v[36:37]
	ds_load_b128 v[2:5], v1 offset:1488
	scratch_load_b128 v[34:37], off, off offset:672
	v_add_f64_e32 v[171:172], v[171:172], v[181:182]
	v_add_f64_e32 v[173:174], v[173:174], v[175:176]
	v_fma_f64 v[179:180], v[8:9], v[167:168], v[179:180]
	v_fma_f64 v[181:182], v[6:7], v[167:168], -v[169:170]
	ds_load_b128 v[6:9], v1 offset:1504
	scratch_load_b128 v[167:170], off, off offset:688
	s_wait_loadcnt_dscnt 0x901
	v_mul_f64_e32 v[175:176], v[2:3], v[40:41]
	v_mul_f64_e32 v[40:41], v[4:5], v[40:41]
	v_add_f64_e32 v[171:172], v[171:172], v[183:184]
	v_add_f64_e32 v[173:174], v[173:174], v[177:178]
	s_wait_loadcnt_dscnt 0x800
	v_mul_f64_e32 v[177:178], v[6:7], v[165:166]
	v_mul_f64_e32 v[165:166], v[8:9], v[165:166]
	v_fma_f64 v[175:176], v[4:5], v[38:39], v[175:176]
	v_fma_f64 v[183:184], v[2:3], v[38:39], -v[40:41]
	ds_load_b128 v[2:5], v1 offset:1520
	scratch_load_b128 v[38:41], off, off offset:704
	v_add_f64_e32 v[171:172], v[171:172], v[181:182]
	v_add_f64_e32 v[173:174], v[173:174], v[179:180]
	v_fma_f64 v[177:178], v[8:9], v[163:164], v[177:178]
	v_fma_f64 v[181:182], v[6:7], v[163:164], -v[165:166]
	ds_load_b128 v[6:9], v1 offset:1536
	s_wait_loadcnt_dscnt 0x801
	v_mul_f64_e32 v[179:180], v[2:3], v[12:13]
	v_mul_f64_e32 v[12:13], v[4:5], v[12:13]
	scratch_load_b128 v[163:166], off, off offset:720
	v_add_f64_e32 v[171:172], v[171:172], v[183:184]
	v_add_f64_e32 v[173:174], v[173:174], v[175:176]
	s_wait_loadcnt_dscnt 0x800
	v_mul_f64_e32 v[175:176], v[6:7], v[16:17]
	v_mul_f64_e32 v[16:17], v[8:9], v[16:17]
	v_fma_f64 v[179:180], v[4:5], v[10:11], v[179:180]
	v_fma_f64 v[183:184], v[2:3], v[10:11], -v[12:13]
	ds_load_b128 v[2:5], v1 offset:1552
	scratch_load_b128 v[10:13], off, off offset:736
	v_add_f64_e32 v[171:172], v[171:172], v[181:182]
	v_add_f64_e32 v[173:174], v[173:174], v[177:178]
	v_fma_f64 v[175:176], v[8:9], v[14:15], v[175:176]
	v_fma_f64 v[181:182], v[6:7], v[14:15], -v[16:17]
	ds_load_b128 v[6:9], v1 offset:1568
	s_wait_loadcnt_dscnt 0x801
	v_mul_f64_e32 v[177:178], v[2:3], v[20:21]
	v_mul_f64_e32 v[20:21], v[4:5], v[20:21]
	scratch_load_b128 v[14:17], off, off offset:752
	;; [unrolled: 18-line block ×8, first 2 shown]
	v_add_f64_e32 v[171:172], v[171:172], v[183:184]
	v_add_f64_e32 v[173:174], v[173:174], v[179:180]
	s_wait_loadcnt_dscnt 0x800
	v_mul_f64_e32 v[179:180], v[6:7], v[32:33]
	v_mul_f64_e32 v[32:33], v[8:9], v[32:33]
	v_fma_f64 v[177:178], v[4:5], v[26:27], v[177:178]
	v_fma_f64 v[183:184], v[2:3], v[26:27], -v[28:29]
	ds_load_b128 v[2:5], v1 offset:1776
	scratch_load_b128 v[26:29], off, off offset:960
	v_add_f64_e32 v[171:172], v[171:172], v[181:182]
	v_add_f64_e32 v[173:174], v[173:174], v[175:176]
	v_fma_f64 v[179:180], v[8:9], v[30:31], v[179:180]
	v_fma_f64 v[30:31], v[6:7], v[30:31], -v[32:33]
	ds_load_b128 v[6:9], v1 offset:1792
	s_wait_loadcnt_dscnt 0x801
	v_mul_f64_e32 v[175:176], v[2:3], v[36:37]
	v_mul_f64_e32 v[36:37], v[4:5], v[36:37]
	v_add_f64_e32 v[32:33], v[171:172], v[183:184]
	v_add_f64_e32 v[171:172], v[173:174], v[177:178]
	s_wait_loadcnt_dscnt 0x700
	v_mul_f64_e32 v[173:174], v[6:7], v[169:170]
	v_mul_f64_e32 v[169:170], v[8:9], v[169:170]
	v_fma_f64 v[175:176], v[4:5], v[34:35], v[175:176]
	v_fma_f64 v[34:35], v[2:3], v[34:35], -v[36:37]
	ds_load_b128 v[2:5], v1 offset:1808
	v_add_f64_e32 v[30:31], v[32:33], v[30:31]
	v_add_f64_e32 v[32:33], v[171:172], v[179:180]
	v_fma_f64 v[171:172], v[8:9], v[167:168], v[173:174]
	v_fma_f64 v[167:168], v[6:7], v[167:168], -v[169:170]
	ds_load_b128 v[6:9], v1 offset:1824
	s_wait_loadcnt_dscnt 0x500
	v_mul_f64_e32 v[173:174], v[6:7], v[165:166]
	v_mul_f64_e32 v[165:166], v[8:9], v[165:166]
	v_add_f64_e32 v[34:35], v[30:31], v[34:35]
	v_add_f64_e32 v[169:170], v[32:33], v[175:176]
	scratch_load_b128 v[30:33], off, off offset:368
	v_mul_f64_e32 v[36:37], v[2:3], v[40:41]
	v_mul_f64_e32 v[40:41], v[4:5], v[40:41]
	v_add_f64_e32 v[34:35], v[34:35], v[167:168]
	s_delay_alu instid0(VALU_DEP_3) | instskip(NEXT) | instid1(VALU_DEP_3)
	v_fma_f64 v[36:37], v[4:5], v[38:39], v[36:37]
	v_fma_f64 v[38:39], v[2:3], v[38:39], -v[40:41]
	v_add_f64_e32 v[40:41], v[169:170], v[171:172]
	ds_load_b128 v[2:5], v1 offset:1840
	v_fma_f64 v[169:170], v[8:9], v[163:164], v[173:174]
	v_fma_f64 v[163:164], v[6:7], v[163:164], -v[165:166]
	ds_load_b128 v[6:9], v1 offset:1856
	s_wait_loadcnt_dscnt 0x501
	v_mul_f64_e32 v[167:168], v[2:3], v[12:13]
	v_mul_f64_e32 v[12:13], v[4:5], v[12:13]
	v_add_f64_e32 v[34:35], v[34:35], v[38:39]
	v_add_f64_e32 v[36:37], v[40:41], v[36:37]
	s_wait_loadcnt_dscnt 0x400
	v_mul_f64_e32 v[38:39], v[6:7], v[16:17]
	v_mul_f64_e32 v[16:17], v[8:9], v[16:17]
	v_fma_f64 v[40:41], v[4:5], v[10:11], v[167:168]
	v_fma_f64 v[10:11], v[2:3], v[10:11], -v[12:13]
	ds_load_b128 v[2:5], v1 offset:1872
	v_add_f64_e32 v[12:13], v[34:35], v[163:164]
	v_add_f64_e32 v[34:35], v[36:37], v[169:170]
	v_fma_f64 v[38:39], v[8:9], v[14:15], v[38:39]
	v_fma_f64 v[14:15], v[6:7], v[14:15], -v[16:17]
	ds_load_b128 v[6:9], v1 offset:1888
	s_wait_loadcnt_dscnt 0x301
	v_mul_f64_e32 v[36:37], v[2:3], v[20:21]
	v_mul_f64_e32 v[20:21], v[4:5], v[20:21]
	s_wait_loadcnt_dscnt 0x200
	v_mul_f64_e32 v[16:17], v[6:7], v[24:25]
	v_mul_f64_e32 v[24:25], v[8:9], v[24:25]
	v_add_f64_e32 v[10:11], v[12:13], v[10:11]
	v_add_f64_e32 v[12:13], v[34:35], v[40:41]
	v_fma_f64 v[34:35], v[4:5], v[18:19], v[36:37]
	v_fma_f64 v[18:19], v[2:3], v[18:19], -v[20:21]
	ds_load_b128 v[2:5], v1 offset:1904
	v_fma_f64 v[8:9], v[8:9], v[22:23], v[16:17]
	v_fma_f64 v[6:7], v[6:7], v[22:23], -v[24:25]
	s_wait_loadcnt_dscnt 0x100
	v_mul_f64_e32 v[20:21], v[4:5], v[28:29]
	v_add_f64_e32 v[10:11], v[10:11], v[14:15]
	v_add_f64_e32 v[12:13], v[12:13], v[38:39]
	v_mul_f64_e32 v[14:15], v[2:3], v[28:29]
	s_delay_alu instid0(VALU_DEP_4) | instskip(NEXT) | instid1(VALU_DEP_4)
	v_fma_f64 v[2:3], v[2:3], v[26:27], -v[20:21]
	v_add_f64_e32 v[10:11], v[10:11], v[18:19]
	s_delay_alu instid0(VALU_DEP_4) | instskip(NEXT) | instid1(VALU_DEP_4)
	v_add_f64_e32 v[12:13], v[12:13], v[34:35]
	v_fma_f64 v[4:5], v[4:5], v[26:27], v[14:15]
	s_delay_alu instid0(VALU_DEP_3) | instskip(NEXT) | instid1(VALU_DEP_3)
	v_add_f64_e32 v[6:7], v[10:11], v[6:7]
	v_add_f64_e32 v[8:9], v[12:13], v[8:9]
	s_delay_alu instid0(VALU_DEP_2) | instskip(NEXT) | instid1(VALU_DEP_2)
	v_add_f64_e32 v[2:3], v[6:7], v[2:3]
	v_add_f64_e32 v[4:5], v[8:9], v[4:5]
	s_wait_loadcnt 0x0
	s_delay_alu instid0(VALU_DEP_2) | instskip(NEXT) | instid1(VALU_DEP_2)
	v_add_f64_e64 v[2:3], v[30:31], -v[2:3]
	v_add_f64_e64 v[4:5], v[32:33], -v[4:5]
	scratch_store_b128 off, v[2:5], off offset:368
	v_cmpx_lt_u32_e32 21, v0
	s_cbranch_execz .LBB59_331
; %bb.330:
	scratch_load_b128 v[5:8], off, s48
	v_dual_mov_b32 v2, v1 :: v_dual_mov_b32 v3, v1
	v_mov_b32_e32 v4, v1
	scratch_store_b128 off, v[1:4], off offset:352
	s_wait_loadcnt 0x0
	ds_store_b128 v162, v[5:8]
.LBB59_331:
	s_wait_alu 0xfffe
	s_or_b32 exec_lo, exec_lo, s0
	s_wait_storecnt_dscnt 0x0
	s_barrier_signal -1
	s_barrier_wait -1
	global_inv scope:SCOPE_SE
	s_clause 0x7
	scratch_load_b128 v[2:5], off, off offset:368
	scratch_load_b128 v[6:9], off, off offset:384
	;; [unrolled: 1-line block ×8, first 2 shown]
	ds_load_b128 v[38:41], v1 offset:1312
	ds_load_b128 v[163:166], v1 offset:1328
	s_clause 0x1
	scratch_load_b128 v[34:37], off, off offset:496
	scratch_load_b128 v[167:170], off, off offset:512
	s_mov_b32 s0, exec_lo
	s_wait_loadcnt_dscnt 0x901
	v_mul_f64_e32 v[171:172], v[40:41], v[4:5]
	v_mul_f64_e32 v[4:5], v[38:39], v[4:5]
	s_wait_loadcnt_dscnt 0x800
	v_mul_f64_e32 v[173:174], v[163:164], v[8:9]
	v_mul_f64_e32 v[8:9], v[165:166], v[8:9]
	s_delay_alu instid0(VALU_DEP_4) | instskip(NEXT) | instid1(VALU_DEP_4)
	v_fma_f64 v[171:172], v[38:39], v[2:3], -v[171:172]
	v_fma_f64 v[175:176], v[40:41], v[2:3], v[4:5]
	ds_load_b128 v[2:5], v1 offset:1344
	scratch_load_b128 v[38:41], off, off offset:528
	v_fma_f64 v[173:174], v[165:166], v[6:7], v[173:174]
	v_fma_f64 v[179:180], v[163:164], v[6:7], -v[8:9]
	ds_load_b128 v[6:9], v1 offset:1360
	scratch_load_b128 v[163:166], off, off offset:544
	s_wait_loadcnt_dscnt 0x901
	v_mul_f64_e32 v[177:178], v[2:3], v[12:13]
	v_mul_f64_e32 v[12:13], v[4:5], v[12:13]
	s_wait_loadcnt_dscnt 0x800
	v_mul_f64_e32 v[181:182], v[6:7], v[16:17]
	v_mul_f64_e32 v[16:17], v[8:9], v[16:17]
	v_add_f64_e32 v[171:172], 0, v[171:172]
	v_add_f64_e32 v[175:176], 0, v[175:176]
	v_fma_f64 v[177:178], v[4:5], v[10:11], v[177:178]
	v_fma_f64 v[183:184], v[2:3], v[10:11], -v[12:13]
	ds_load_b128 v[2:5], v1 offset:1376
	scratch_load_b128 v[10:13], off, off offset:560
	v_add_f64_e32 v[171:172], v[171:172], v[179:180]
	v_add_f64_e32 v[173:174], v[175:176], v[173:174]
	v_fma_f64 v[179:180], v[8:9], v[14:15], v[181:182]
	v_fma_f64 v[181:182], v[6:7], v[14:15], -v[16:17]
	ds_load_b128 v[6:9], v1 offset:1392
	scratch_load_b128 v[14:17], off, off offset:576
	s_wait_loadcnt_dscnt 0x901
	v_mul_f64_e32 v[175:176], v[2:3], v[20:21]
	v_mul_f64_e32 v[20:21], v[4:5], v[20:21]
	v_add_f64_e32 v[171:172], v[171:172], v[183:184]
	v_add_f64_e32 v[173:174], v[173:174], v[177:178]
	s_wait_loadcnt_dscnt 0x800
	v_mul_f64_e32 v[177:178], v[6:7], v[24:25]
	v_mul_f64_e32 v[24:25], v[8:9], v[24:25]
	v_fma_f64 v[175:176], v[4:5], v[18:19], v[175:176]
	v_fma_f64 v[183:184], v[2:3], v[18:19], -v[20:21]
	ds_load_b128 v[2:5], v1 offset:1408
	scratch_load_b128 v[18:21], off, off offset:592
	v_add_f64_e32 v[171:172], v[171:172], v[181:182]
	v_add_f64_e32 v[173:174], v[173:174], v[179:180]
	v_fma_f64 v[177:178], v[8:9], v[22:23], v[177:178]
	v_fma_f64 v[181:182], v[6:7], v[22:23], -v[24:25]
	ds_load_b128 v[6:9], v1 offset:1424
	s_wait_loadcnt_dscnt 0x801
	v_mul_f64_e32 v[179:180], v[2:3], v[28:29]
	v_mul_f64_e32 v[28:29], v[4:5], v[28:29]
	scratch_load_b128 v[22:25], off, off offset:608
	v_add_f64_e32 v[171:172], v[171:172], v[183:184]
	v_add_f64_e32 v[173:174], v[173:174], v[175:176]
	s_wait_loadcnt_dscnt 0x800
	v_mul_f64_e32 v[175:176], v[6:7], v[32:33]
	v_mul_f64_e32 v[32:33], v[8:9], v[32:33]
	v_fma_f64 v[179:180], v[4:5], v[26:27], v[179:180]
	v_fma_f64 v[183:184], v[2:3], v[26:27], -v[28:29]
	ds_load_b128 v[2:5], v1 offset:1440
	scratch_load_b128 v[26:29], off, off offset:624
	v_add_f64_e32 v[171:172], v[171:172], v[181:182]
	v_add_f64_e32 v[173:174], v[173:174], v[177:178]
	v_fma_f64 v[175:176], v[8:9], v[30:31], v[175:176]
	v_fma_f64 v[181:182], v[6:7], v[30:31], -v[32:33]
	ds_load_b128 v[6:9], v1 offset:1456
	s_wait_loadcnt_dscnt 0x801
	v_mul_f64_e32 v[177:178], v[2:3], v[36:37]
	v_mul_f64_e32 v[36:37], v[4:5], v[36:37]
	scratch_load_b128 v[30:33], off, off offset:640
	v_add_f64_e32 v[171:172], v[171:172], v[183:184]
	v_add_f64_e32 v[173:174], v[173:174], v[179:180]
	s_wait_loadcnt_dscnt 0x800
	v_mul_f64_e32 v[179:180], v[6:7], v[169:170]
	v_mul_f64_e32 v[169:170], v[8:9], v[169:170]
	v_fma_f64 v[177:178], v[4:5], v[34:35], v[177:178]
	v_fma_f64 v[183:184], v[2:3], v[34:35], -v[36:37]
	ds_load_b128 v[2:5], v1 offset:1472
	scratch_load_b128 v[34:37], off, off offset:656
	v_add_f64_e32 v[171:172], v[171:172], v[181:182]
	v_add_f64_e32 v[173:174], v[173:174], v[175:176]
	v_fma_f64 v[179:180], v[8:9], v[167:168], v[179:180]
	v_fma_f64 v[181:182], v[6:7], v[167:168], -v[169:170]
	ds_load_b128 v[6:9], v1 offset:1488
	scratch_load_b128 v[167:170], off, off offset:672
	s_wait_loadcnt_dscnt 0x901
	v_mul_f64_e32 v[175:176], v[2:3], v[40:41]
	v_mul_f64_e32 v[40:41], v[4:5], v[40:41]
	v_add_f64_e32 v[171:172], v[171:172], v[183:184]
	v_add_f64_e32 v[173:174], v[173:174], v[177:178]
	s_wait_loadcnt_dscnt 0x800
	v_mul_f64_e32 v[177:178], v[6:7], v[165:166]
	v_mul_f64_e32 v[165:166], v[8:9], v[165:166]
	v_fma_f64 v[175:176], v[4:5], v[38:39], v[175:176]
	v_fma_f64 v[183:184], v[2:3], v[38:39], -v[40:41]
	ds_load_b128 v[2:5], v1 offset:1504
	scratch_load_b128 v[38:41], off, off offset:688
	v_add_f64_e32 v[171:172], v[171:172], v[181:182]
	v_add_f64_e32 v[173:174], v[173:174], v[179:180]
	v_fma_f64 v[177:178], v[8:9], v[163:164], v[177:178]
	v_fma_f64 v[181:182], v[6:7], v[163:164], -v[165:166]
	ds_load_b128 v[6:9], v1 offset:1520
	s_wait_loadcnt_dscnt 0x801
	v_mul_f64_e32 v[179:180], v[2:3], v[12:13]
	v_mul_f64_e32 v[12:13], v[4:5], v[12:13]
	scratch_load_b128 v[163:166], off, off offset:704
	v_add_f64_e32 v[171:172], v[171:172], v[183:184]
	v_add_f64_e32 v[173:174], v[173:174], v[175:176]
	s_wait_loadcnt_dscnt 0x800
	v_mul_f64_e32 v[175:176], v[6:7], v[16:17]
	v_mul_f64_e32 v[16:17], v[8:9], v[16:17]
	v_fma_f64 v[179:180], v[4:5], v[10:11], v[179:180]
	v_fma_f64 v[183:184], v[2:3], v[10:11], -v[12:13]
	ds_load_b128 v[2:5], v1 offset:1536
	scratch_load_b128 v[10:13], off, off offset:720
	v_add_f64_e32 v[171:172], v[171:172], v[181:182]
	v_add_f64_e32 v[173:174], v[173:174], v[177:178]
	v_fma_f64 v[175:176], v[8:9], v[14:15], v[175:176]
	v_fma_f64 v[181:182], v[6:7], v[14:15], -v[16:17]
	ds_load_b128 v[6:9], v1 offset:1552
	s_wait_loadcnt_dscnt 0x801
	v_mul_f64_e32 v[177:178], v[2:3], v[20:21]
	v_mul_f64_e32 v[20:21], v[4:5], v[20:21]
	scratch_load_b128 v[14:17], off, off offset:736
	;; [unrolled: 18-line block ×9, first 2 shown]
	v_add_f64_e32 v[171:172], v[171:172], v[183:184]
	v_add_f64_e32 v[173:174], v[173:174], v[177:178]
	s_wait_loadcnt_dscnt 0x800
	v_mul_f64_e32 v[177:178], v[6:7], v[169:170]
	v_mul_f64_e32 v[169:170], v[8:9], v[169:170]
	v_fma_f64 v[175:176], v[4:5], v[34:35], v[175:176]
	v_fma_f64 v[34:35], v[2:3], v[34:35], -v[36:37]
	ds_load_b128 v[2:5], v1 offset:1792
	v_add_f64_e32 v[36:37], v[171:172], v[181:182]
	v_add_f64_e32 v[171:172], v[173:174], v[179:180]
	v_fma_f64 v[177:178], v[8:9], v[167:168], v[177:178]
	v_fma_f64 v[167:168], v[6:7], v[167:168], -v[169:170]
	ds_load_b128 v[6:9], v1 offset:1808
	s_wait_loadcnt_dscnt 0x701
	v_mul_f64_e32 v[173:174], v[2:3], v[40:41]
	v_mul_f64_e32 v[40:41], v[4:5], v[40:41]
	v_add_f64_e32 v[34:35], v[36:37], v[34:35]
	v_add_f64_e32 v[36:37], v[171:172], v[175:176]
	s_delay_alu instid0(VALU_DEP_4) | instskip(NEXT) | instid1(VALU_DEP_4)
	v_fma_f64 v[171:172], v[4:5], v[38:39], v[173:174]
	v_fma_f64 v[38:39], v[2:3], v[38:39], -v[40:41]
	ds_load_b128 v[2:5], v1 offset:1824
	v_add_f64_e32 v[40:41], v[34:35], v[167:168]
	v_add_f64_e32 v[167:168], v[36:37], v[177:178]
	scratch_load_b128 v[34:37], off, off offset:352
	s_wait_loadcnt_dscnt 0x701
	v_mul_f64_e32 v[169:170], v[6:7], v[165:166]
	v_mul_f64_e32 v[165:166], v[8:9], v[165:166]
	v_add_f64_e32 v[38:39], v[40:41], v[38:39]
	v_add_f64_e32 v[40:41], v[167:168], v[171:172]
	s_delay_alu instid0(VALU_DEP_4) | instskip(NEXT) | instid1(VALU_DEP_4)
	v_fma_f64 v[169:170], v[8:9], v[163:164], v[169:170]
	v_fma_f64 v[163:164], v[6:7], v[163:164], -v[165:166]
	ds_load_b128 v[6:9], v1 offset:1840
	s_wait_loadcnt_dscnt 0x601
	v_mul_f64_e32 v[173:174], v[2:3], v[12:13]
	v_mul_f64_e32 v[12:13], v[4:5], v[12:13]
	s_wait_loadcnt_dscnt 0x500
	v_mul_f64_e32 v[165:166], v[6:7], v[16:17]
	v_mul_f64_e32 v[16:17], v[8:9], v[16:17]
	s_delay_alu instid0(VALU_DEP_4) | instskip(NEXT) | instid1(VALU_DEP_4)
	v_fma_f64 v[167:168], v[4:5], v[10:11], v[173:174]
	v_fma_f64 v[10:11], v[2:3], v[10:11], -v[12:13]
	v_add_f64_e32 v[12:13], v[38:39], v[163:164]
	v_add_f64_e32 v[38:39], v[40:41], v[169:170]
	ds_load_b128 v[2:5], v1 offset:1856
	v_fma_f64 v[163:164], v[8:9], v[14:15], v[165:166]
	v_fma_f64 v[14:15], v[6:7], v[14:15], -v[16:17]
	ds_load_b128 v[6:9], v1 offset:1872
	s_wait_loadcnt_dscnt 0x401
	v_mul_f64_e32 v[40:41], v[2:3], v[20:21]
	v_mul_f64_e32 v[20:21], v[4:5], v[20:21]
	v_add_f64_e32 v[10:11], v[12:13], v[10:11]
	v_add_f64_e32 v[12:13], v[38:39], v[167:168]
	s_wait_loadcnt_dscnt 0x300
	v_mul_f64_e32 v[16:17], v[6:7], v[24:25]
	v_mul_f64_e32 v[24:25], v[8:9], v[24:25]
	v_fma_f64 v[38:39], v[4:5], v[18:19], v[40:41]
	v_fma_f64 v[18:19], v[2:3], v[18:19], -v[20:21]
	ds_load_b128 v[2:5], v1 offset:1888
	v_add_f64_e32 v[10:11], v[10:11], v[14:15]
	v_add_f64_e32 v[12:13], v[12:13], v[163:164]
	v_fma_f64 v[16:17], v[8:9], v[22:23], v[16:17]
	v_fma_f64 v[22:23], v[6:7], v[22:23], -v[24:25]
	ds_load_b128 v[6:9], v1 offset:1904
	s_wait_loadcnt_dscnt 0x201
	v_mul_f64_e32 v[14:15], v[2:3], v[28:29]
	v_mul_f64_e32 v[20:21], v[4:5], v[28:29]
	s_wait_loadcnt_dscnt 0x100
	v_mul_f64_e32 v[24:25], v[8:9], v[32:33]
	v_add_f64_e32 v[10:11], v[10:11], v[18:19]
	v_add_f64_e32 v[12:13], v[12:13], v[38:39]
	v_mul_f64_e32 v[18:19], v[6:7], v[32:33]
	v_fma_f64 v[4:5], v[4:5], v[26:27], v[14:15]
	v_fma_f64 v[1:2], v[2:3], v[26:27], -v[20:21]
	v_fma_f64 v[6:7], v[6:7], v[30:31], -v[24:25]
	v_add_f64_e32 v[10:11], v[10:11], v[22:23]
	v_add_f64_e32 v[12:13], v[12:13], v[16:17]
	v_fma_f64 v[8:9], v[8:9], v[30:31], v[18:19]
	s_delay_alu instid0(VALU_DEP_3) | instskip(NEXT) | instid1(VALU_DEP_3)
	v_add_f64_e32 v[1:2], v[10:11], v[1:2]
	v_add_f64_e32 v[3:4], v[12:13], v[4:5]
	s_delay_alu instid0(VALU_DEP_2) | instskip(NEXT) | instid1(VALU_DEP_2)
	v_add_f64_e32 v[1:2], v[1:2], v[6:7]
	v_add_f64_e32 v[3:4], v[3:4], v[8:9]
	s_wait_loadcnt 0x0
	s_delay_alu instid0(VALU_DEP_2) | instskip(NEXT) | instid1(VALU_DEP_2)
	v_add_f64_e64 v[1:2], v[34:35], -v[1:2]
	v_add_f64_e64 v[3:4], v[36:37], -v[3:4]
	scratch_store_b128 off, v[1:4], off offset:352
	v_cmpx_lt_u32_e32 20, v0
	s_cbranch_execz .LBB59_333
; %bb.332:
	scratch_load_b128 v[1:4], off, s47
	v_mov_b32_e32 v5, 0
	s_delay_alu instid0(VALU_DEP_1)
	v_dual_mov_b32 v6, v5 :: v_dual_mov_b32 v7, v5
	v_mov_b32_e32 v8, v5
	scratch_store_b128 off, v[5:8], off offset:336
	s_wait_loadcnt 0x0
	ds_store_b128 v162, v[1:4]
.LBB59_333:
	s_wait_alu 0xfffe
	s_or_b32 exec_lo, exec_lo, s0
	s_wait_storecnt_dscnt 0x0
	s_barrier_signal -1
	s_barrier_wait -1
	global_inv scope:SCOPE_SE
	s_clause 0x7
	scratch_load_b128 v[2:5], off, off offset:352
	scratch_load_b128 v[6:9], off, off offset:368
	;; [unrolled: 1-line block ×8, first 2 shown]
	v_mov_b32_e32 v1, 0
	s_clause 0x1
	scratch_load_b128 v[34:37], off, off offset:480
	scratch_load_b128 v[167:170], off, off offset:496
	s_mov_b32 s0, exec_lo
	ds_load_b128 v[38:41], v1 offset:1296
	ds_load_b128 v[163:166], v1 offset:1312
	s_wait_loadcnt_dscnt 0x901
	v_mul_f64_e32 v[171:172], v[40:41], v[4:5]
	v_mul_f64_e32 v[4:5], v[38:39], v[4:5]
	s_wait_loadcnt_dscnt 0x800
	v_mul_f64_e32 v[173:174], v[163:164], v[8:9]
	v_mul_f64_e32 v[8:9], v[165:166], v[8:9]
	s_delay_alu instid0(VALU_DEP_4) | instskip(NEXT) | instid1(VALU_DEP_4)
	v_fma_f64 v[171:172], v[38:39], v[2:3], -v[171:172]
	v_fma_f64 v[175:176], v[40:41], v[2:3], v[4:5]
	ds_load_b128 v[2:5], v1 offset:1328
	scratch_load_b128 v[38:41], off, off offset:512
	v_fma_f64 v[173:174], v[165:166], v[6:7], v[173:174]
	v_fma_f64 v[179:180], v[163:164], v[6:7], -v[8:9]
	ds_load_b128 v[6:9], v1 offset:1344
	scratch_load_b128 v[163:166], off, off offset:528
	s_wait_loadcnt_dscnt 0x901
	v_mul_f64_e32 v[177:178], v[2:3], v[12:13]
	v_mul_f64_e32 v[12:13], v[4:5], v[12:13]
	s_wait_loadcnt_dscnt 0x800
	v_mul_f64_e32 v[181:182], v[6:7], v[16:17]
	v_mul_f64_e32 v[16:17], v[8:9], v[16:17]
	v_add_f64_e32 v[171:172], 0, v[171:172]
	v_add_f64_e32 v[175:176], 0, v[175:176]
	v_fma_f64 v[177:178], v[4:5], v[10:11], v[177:178]
	v_fma_f64 v[183:184], v[2:3], v[10:11], -v[12:13]
	ds_load_b128 v[2:5], v1 offset:1360
	scratch_load_b128 v[10:13], off, off offset:544
	v_add_f64_e32 v[171:172], v[171:172], v[179:180]
	v_add_f64_e32 v[173:174], v[175:176], v[173:174]
	v_fma_f64 v[179:180], v[8:9], v[14:15], v[181:182]
	v_fma_f64 v[181:182], v[6:7], v[14:15], -v[16:17]
	ds_load_b128 v[6:9], v1 offset:1376
	scratch_load_b128 v[14:17], off, off offset:560
	s_wait_loadcnt_dscnt 0x901
	v_mul_f64_e32 v[175:176], v[2:3], v[20:21]
	v_mul_f64_e32 v[20:21], v[4:5], v[20:21]
	v_add_f64_e32 v[171:172], v[171:172], v[183:184]
	v_add_f64_e32 v[173:174], v[173:174], v[177:178]
	s_wait_loadcnt_dscnt 0x800
	v_mul_f64_e32 v[177:178], v[6:7], v[24:25]
	v_mul_f64_e32 v[24:25], v[8:9], v[24:25]
	v_fma_f64 v[175:176], v[4:5], v[18:19], v[175:176]
	v_fma_f64 v[183:184], v[2:3], v[18:19], -v[20:21]
	ds_load_b128 v[2:5], v1 offset:1392
	scratch_load_b128 v[18:21], off, off offset:576
	v_add_f64_e32 v[171:172], v[171:172], v[181:182]
	v_add_f64_e32 v[173:174], v[173:174], v[179:180]
	v_fma_f64 v[177:178], v[8:9], v[22:23], v[177:178]
	v_fma_f64 v[181:182], v[6:7], v[22:23], -v[24:25]
	ds_load_b128 v[6:9], v1 offset:1408
	s_wait_loadcnt_dscnt 0x801
	v_mul_f64_e32 v[179:180], v[2:3], v[28:29]
	v_mul_f64_e32 v[28:29], v[4:5], v[28:29]
	scratch_load_b128 v[22:25], off, off offset:592
	v_add_f64_e32 v[171:172], v[171:172], v[183:184]
	v_add_f64_e32 v[173:174], v[173:174], v[175:176]
	s_wait_loadcnt_dscnt 0x800
	v_mul_f64_e32 v[175:176], v[6:7], v[32:33]
	v_mul_f64_e32 v[32:33], v[8:9], v[32:33]
	v_fma_f64 v[179:180], v[4:5], v[26:27], v[179:180]
	v_fma_f64 v[183:184], v[2:3], v[26:27], -v[28:29]
	ds_load_b128 v[2:5], v1 offset:1424
	scratch_load_b128 v[26:29], off, off offset:608
	v_add_f64_e32 v[171:172], v[171:172], v[181:182]
	v_add_f64_e32 v[173:174], v[173:174], v[177:178]
	v_fma_f64 v[175:176], v[8:9], v[30:31], v[175:176]
	v_fma_f64 v[181:182], v[6:7], v[30:31], -v[32:33]
	ds_load_b128 v[6:9], v1 offset:1440
	s_wait_loadcnt_dscnt 0x801
	v_mul_f64_e32 v[177:178], v[2:3], v[36:37]
	v_mul_f64_e32 v[36:37], v[4:5], v[36:37]
	scratch_load_b128 v[30:33], off, off offset:624
	v_add_f64_e32 v[171:172], v[171:172], v[183:184]
	v_add_f64_e32 v[173:174], v[173:174], v[179:180]
	s_wait_loadcnt_dscnt 0x800
	v_mul_f64_e32 v[179:180], v[6:7], v[169:170]
	v_mul_f64_e32 v[169:170], v[8:9], v[169:170]
	v_fma_f64 v[177:178], v[4:5], v[34:35], v[177:178]
	v_fma_f64 v[183:184], v[2:3], v[34:35], -v[36:37]
	ds_load_b128 v[2:5], v1 offset:1456
	scratch_load_b128 v[34:37], off, off offset:640
	v_add_f64_e32 v[171:172], v[171:172], v[181:182]
	v_add_f64_e32 v[173:174], v[173:174], v[175:176]
	v_fma_f64 v[179:180], v[8:9], v[167:168], v[179:180]
	v_fma_f64 v[181:182], v[6:7], v[167:168], -v[169:170]
	ds_load_b128 v[6:9], v1 offset:1472
	scratch_load_b128 v[167:170], off, off offset:656
	s_wait_loadcnt_dscnt 0x901
	v_mul_f64_e32 v[175:176], v[2:3], v[40:41]
	v_mul_f64_e32 v[40:41], v[4:5], v[40:41]
	v_add_f64_e32 v[171:172], v[171:172], v[183:184]
	v_add_f64_e32 v[173:174], v[173:174], v[177:178]
	s_wait_loadcnt_dscnt 0x800
	v_mul_f64_e32 v[177:178], v[6:7], v[165:166]
	v_mul_f64_e32 v[165:166], v[8:9], v[165:166]
	v_fma_f64 v[175:176], v[4:5], v[38:39], v[175:176]
	v_fma_f64 v[183:184], v[2:3], v[38:39], -v[40:41]
	ds_load_b128 v[2:5], v1 offset:1488
	scratch_load_b128 v[38:41], off, off offset:672
	v_add_f64_e32 v[171:172], v[171:172], v[181:182]
	v_add_f64_e32 v[173:174], v[173:174], v[179:180]
	v_fma_f64 v[177:178], v[8:9], v[163:164], v[177:178]
	v_fma_f64 v[181:182], v[6:7], v[163:164], -v[165:166]
	ds_load_b128 v[6:9], v1 offset:1504
	s_wait_loadcnt_dscnt 0x801
	v_mul_f64_e32 v[179:180], v[2:3], v[12:13]
	v_mul_f64_e32 v[12:13], v[4:5], v[12:13]
	scratch_load_b128 v[163:166], off, off offset:688
	v_add_f64_e32 v[171:172], v[171:172], v[183:184]
	v_add_f64_e32 v[173:174], v[173:174], v[175:176]
	s_wait_loadcnt_dscnt 0x800
	v_mul_f64_e32 v[175:176], v[6:7], v[16:17]
	v_mul_f64_e32 v[16:17], v[8:9], v[16:17]
	v_fma_f64 v[179:180], v[4:5], v[10:11], v[179:180]
	v_fma_f64 v[183:184], v[2:3], v[10:11], -v[12:13]
	ds_load_b128 v[2:5], v1 offset:1520
	scratch_load_b128 v[10:13], off, off offset:704
	v_add_f64_e32 v[171:172], v[171:172], v[181:182]
	v_add_f64_e32 v[173:174], v[173:174], v[177:178]
	v_fma_f64 v[175:176], v[8:9], v[14:15], v[175:176]
	v_fma_f64 v[181:182], v[6:7], v[14:15], -v[16:17]
	ds_load_b128 v[6:9], v1 offset:1536
	s_wait_loadcnt_dscnt 0x801
	v_mul_f64_e32 v[177:178], v[2:3], v[20:21]
	v_mul_f64_e32 v[20:21], v[4:5], v[20:21]
	scratch_load_b128 v[14:17], off, off offset:720
	;; [unrolled: 18-line block ×9, first 2 shown]
	v_add_f64_e32 v[171:172], v[171:172], v[183:184]
	v_add_f64_e32 v[173:174], v[173:174], v[177:178]
	s_wait_loadcnt_dscnt 0x800
	v_mul_f64_e32 v[177:178], v[6:7], v[169:170]
	v_mul_f64_e32 v[169:170], v[8:9], v[169:170]
	v_fma_f64 v[175:176], v[4:5], v[34:35], v[175:176]
	v_fma_f64 v[183:184], v[2:3], v[34:35], -v[36:37]
	ds_load_b128 v[2:5], v1 offset:1776
	scratch_load_b128 v[34:37], off, off offset:960
	v_add_f64_e32 v[171:172], v[171:172], v[181:182]
	v_add_f64_e32 v[173:174], v[173:174], v[179:180]
	v_fma_f64 v[177:178], v[8:9], v[167:168], v[177:178]
	v_fma_f64 v[167:168], v[6:7], v[167:168], -v[169:170]
	ds_load_b128 v[6:9], v1 offset:1792
	s_wait_loadcnt_dscnt 0x801
	v_mul_f64_e32 v[179:180], v[2:3], v[40:41]
	v_mul_f64_e32 v[40:41], v[4:5], v[40:41]
	v_add_f64_e32 v[169:170], v[171:172], v[183:184]
	v_add_f64_e32 v[171:172], v[173:174], v[175:176]
	s_wait_loadcnt_dscnt 0x700
	v_mul_f64_e32 v[173:174], v[6:7], v[165:166]
	v_mul_f64_e32 v[165:166], v[8:9], v[165:166]
	v_fma_f64 v[175:176], v[4:5], v[38:39], v[179:180]
	v_fma_f64 v[38:39], v[2:3], v[38:39], -v[40:41]
	ds_load_b128 v[2:5], v1 offset:1808
	v_add_f64_e32 v[40:41], v[169:170], v[167:168]
	v_add_f64_e32 v[167:168], v[171:172], v[177:178]
	v_fma_f64 v[171:172], v[8:9], v[163:164], v[173:174]
	v_fma_f64 v[163:164], v[6:7], v[163:164], -v[165:166]
	ds_load_b128 v[6:9], v1 offset:1824
	s_wait_loadcnt_dscnt 0x500
	v_mul_f64_e32 v[173:174], v[6:7], v[16:17]
	v_mul_f64_e32 v[16:17], v[8:9], v[16:17]
	v_add_f64_e32 v[165:166], v[40:41], v[38:39]
	v_add_f64_e32 v[167:168], v[167:168], v[175:176]
	scratch_load_b128 v[38:41], off, off offset:336
	v_mul_f64_e32 v[169:170], v[2:3], v[12:13]
	v_mul_f64_e32 v[12:13], v[4:5], v[12:13]
	s_delay_alu instid0(VALU_DEP_2) | instskip(NEXT) | instid1(VALU_DEP_2)
	v_fma_f64 v[169:170], v[4:5], v[10:11], v[169:170]
	v_fma_f64 v[10:11], v[2:3], v[10:11], -v[12:13]
	v_add_f64_e32 v[12:13], v[165:166], v[163:164]
	v_add_f64_e32 v[163:164], v[167:168], v[171:172]
	ds_load_b128 v[2:5], v1 offset:1840
	v_fma_f64 v[167:168], v[8:9], v[14:15], v[173:174]
	v_fma_f64 v[14:15], v[6:7], v[14:15], -v[16:17]
	ds_load_b128 v[6:9], v1 offset:1856
	s_wait_loadcnt_dscnt 0x501
	v_mul_f64_e32 v[165:166], v[2:3], v[20:21]
	v_mul_f64_e32 v[20:21], v[4:5], v[20:21]
	s_wait_loadcnt_dscnt 0x400
	v_mul_f64_e32 v[16:17], v[6:7], v[24:25]
	v_mul_f64_e32 v[24:25], v[8:9], v[24:25]
	v_add_f64_e32 v[10:11], v[12:13], v[10:11]
	v_add_f64_e32 v[12:13], v[163:164], v[169:170]
	v_fma_f64 v[163:164], v[4:5], v[18:19], v[165:166]
	v_fma_f64 v[18:19], v[2:3], v[18:19], -v[20:21]
	ds_load_b128 v[2:5], v1 offset:1872
	v_fma_f64 v[16:17], v[8:9], v[22:23], v[16:17]
	v_fma_f64 v[22:23], v[6:7], v[22:23], -v[24:25]
	ds_load_b128 v[6:9], v1 offset:1888
	v_add_f64_e32 v[10:11], v[10:11], v[14:15]
	v_add_f64_e32 v[12:13], v[12:13], v[167:168]
	s_wait_loadcnt_dscnt 0x301
	v_mul_f64_e32 v[14:15], v[2:3], v[28:29]
	v_mul_f64_e32 v[20:21], v[4:5], v[28:29]
	s_wait_loadcnt_dscnt 0x200
	v_mul_f64_e32 v[24:25], v[8:9], v[32:33]
	v_add_f64_e32 v[10:11], v[10:11], v[18:19]
	v_add_f64_e32 v[12:13], v[12:13], v[163:164]
	v_mul_f64_e32 v[18:19], v[6:7], v[32:33]
	v_fma_f64 v[14:15], v[4:5], v[26:27], v[14:15]
	v_fma_f64 v[20:21], v[2:3], v[26:27], -v[20:21]
	ds_load_b128 v[2:5], v1 offset:1904
	v_fma_f64 v[6:7], v[6:7], v[30:31], -v[24:25]
	v_add_f64_e32 v[10:11], v[10:11], v[22:23]
	v_add_f64_e32 v[12:13], v[12:13], v[16:17]
	s_wait_loadcnt_dscnt 0x100
	v_mul_f64_e32 v[16:17], v[2:3], v[36:37]
	v_mul_f64_e32 v[22:23], v[4:5], v[36:37]
	v_fma_f64 v[8:9], v[8:9], v[30:31], v[18:19]
	v_add_f64_e32 v[10:11], v[10:11], v[20:21]
	v_add_f64_e32 v[12:13], v[12:13], v[14:15]
	v_fma_f64 v[4:5], v[4:5], v[34:35], v[16:17]
	v_fma_f64 v[2:3], v[2:3], v[34:35], -v[22:23]
	s_delay_alu instid0(VALU_DEP_4) | instskip(NEXT) | instid1(VALU_DEP_4)
	v_add_f64_e32 v[6:7], v[10:11], v[6:7]
	v_add_f64_e32 v[8:9], v[12:13], v[8:9]
	s_delay_alu instid0(VALU_DEP_2) | instskip(NEXT) | instid1(VALU_DEP_2)
	v_add_f64_e32 v[2:3], v[6:7], v[2:3]
	v_add_f64_e32 v[4:5], v[8:9], v[4:5]
	s_wait_loadcnt 0x0
	s_delay_alu instid0(VALU_DEP_2) | instskip(NEXT) | instid1(VALU_DEP_2)
	v_add_f64_e64 v[2:3], v[38:39], -v[2:3]
	v_add_f64_e64 v[4:5], v[40:41], -v[4:5]
	scratch_store_b128 off, v[2:5], off offset:336
	v_cmpx_lt_u32_e32 19, v0
	s_cbranch_execz .LBB59_335
; %bb.334:
	scratch_load_b128 v[5:8], off, s49
	v_dual_mov_b32 v2, v1 :: v_dual_mov_b32 v3, v1
	v_mov_b32_e32 v4, v1
	scratch_store_b128 off, v[1:4], off offset:320
	s_wait_loadcnt 0x0
	ds_store_b128 v162, v[5:8]
.LBB59_335:
	s_wait_alu 0xfffe
	s_or_b32 exec_lo, exec_lo, s0
	s_wait_storecnt_dscnt 0x0
	s_barrier_signal -1
	s_barrier_wait -1
	global_inv scope:SCOPE_SE
	s_clause 0x7
	scratch_load_b128 v[2:5], off, off offset:336
	scratch_load_b128 v[6:9], off, off offset:352
	;; [unrolled: 1-line block ×8, first 2 shown]
	ds_load_b128 v[38:41], v1 offset:1280
	ds_load_b128 v[163:166], v1 offset:1296
	s_clause 0x1
	scratch_load_b128 v[34:37], off, off offset:464
	scratch_load_b128 v[167:170], off, off offset:480
	s_mov_b32 s0, exec_lo
	s_wait_loadcnt_dscnt 0x901
	v_mul_f64_e32 v[171:172], v[40:41], v[4:5]
	v_mul_f64_e32 v[4:5], v[38:39], v[4:5]
	s_wait_loadcnt_dscnt 0x800
	v_mul_f64_e32 v[173:174], v[163:164], v[8:9]
	v_mul_f64_e32 v[8:9], v[165:166], v[8:9]
	s_delay_alu instid0(VALU_DEP_4) | instskip(NEXT) | instid1(VALU_DEP_4)
	v_fma_f64 v[171:172], v[38:39], v[2:3], -v[171:172]
	v_fma_f64 v[175:176], v[40:41], v[2:3], v[4:5]
	ds_load_b128 v[2:5], v1 offset:1312
	scratch_load_b128 v[38:41], off, off offset:496
	v_fma_f64 v[173:174], v[165:166], v[6:7], v[173:174]
	v_fma_f64 v[179:180], v[163:164], v[6:7], -v[8:9]
	ds_load_b128 v[6:9], v1 offset:1328
	scratch_load_b128 v[163:166], off, off offset:512
	s_wait_loadcnt_dscnt 0x901
	v_mul_f64_e32 v[177:178], v[2:3], v[12:13]
	v_mul_f64_e32 v[12:13], v[4:5], v[12:13]
	s_wait_loadcnt_dscnt 0x800
	v_mul_f64_e32 v[181:182], v[6:7], v[16:17]
	v_mul_f64_e32 v[16:17], v[8:9], v[16:17]
	v_add_f64_e32 v[171:172], 0, v[171:172]
	v_add_f64_e32 v[175:176], 0, v[175:176]
	v_fma_f64 v[177:178], v[4:5], v[10:11], v[177:178]
	v_fma_f64 v[183:184], v[2:3], v[10:11], -v[12:13]
	ds_load_b128 v[2:5], v1 offset:1344
	scratch_load_b128 v[10:13], off, off offset:528
	v_add_f64_e32 v[171:172], v[171:172], v[179:180]
	v_add_f64_e32 v[173:174], v[175:176], v[173:174]
	v_fma_f64 v[179:180], v[8:9], v[14:15], v[181:182]
	v_fma_f64 v[181:182], v[6:7], v[14:15], -v[16:17]
	ds_load_b128 v[6:9], v1 offset:1360
	scratch_load_b128 v[14:17], off, off offset:544
	s_wait_loadcnt_dscnt 0x901
	v_mul_f64_e32 v[175:176], v[2:3], v[20:21]
	v_mul_f64_e32 v[20:21], v[4:5], v[20:21]
	v_add_f64_e32 v[171:172], v[171:172], v[183:184]
	v_add_f64_e32 v[173:174], v[173:174], v[177:178]
	s_wait_loadcnt_dscnt 0x800
	v_mul_f64_e32 v[177:178], v[6:7], v[24:25]
	v_mul_f64_e32 v[24:25], v[8:9], v[24:25]
	v_fma_f64 v[175:176], v[4:5], v[18:19], v[175:176]
	v_fma_f64 v[183:184], v[2:3], v[18:19], -v[20:21]
	ds_load_b128 v[2:5], v1 offset:1376
	scratch_load_b128 v[18:21], off, off offset:560
	v_add_f64_e32 v[171:172], v[171:172], v[181:182]
	v_add_f64_e32 v[173:174], v[173:174], v[179:180]
	v_fma_f64 v[177:178], v[8:9], v[22:23], v[177:178]
	v_fma_f64 v[181:182], v[6:7], v[22:23], -v[24:25]
	ds_load_b128 v[6:9], v1 offset:1392
	s_wait_loadcnt_dscnt 0x801
	v_mul_f64_e32 v[179:180], v[2:3], v[28:29]
	v_mul_f64_e32 v[28:29], v[4:5], v[28:29]
	scratch_load_b128 v[22:25], off, off offset:576
	v_add_f64_e32 v[171:172], v[171:172], v[183:184]
	v_add_f64_e32 v[173:174], v[173:174], v[175:176]
	s_wait_loadcnt_dscnt 0x800
	v_mul_f64_e32 v[175:176], v[6:7], v[32:33]
	v_mul_f64_e32 v[32:33], v[8:9], v[32:33]
	v_fma_f64 v[179:180], v[4:5], v[26:27], v[179:180]
	v_fma_f64 v[183:184], v[2:3], v[26:27], -v[28:29]
	ds_load_b128 v[2:5], v1 offset:1408
	scratch_load_b128 v[26:29], off, off offset:592
	v_add_f64_e32 v[171:172], v[171:172], v[181:182]
	v_add_f64_e32 v[173:174], v[173:174], v[177:178]
	v_fma_f64 v[175:176], v[8:9], v[30:31], v[175:176]
	v_fma_f64 v[181:182], v[6:7], v[30:31], -v[32:33]
	ds_load_b128 v[6:9], v1 offset:1424
	s_wait_loadcnt_dscnt 0x801
	v_mul_f64_e32 v[177:178], v[2:3], v[36:37]
	v_mul_f64_e32 v[36:37], v[4:5], v[36:37]
	scratch_load_b128 v[30:33], off, off offset:608
	v_add_f64_e32 v[171:172], v[171:172], v[183:184]
	v_add_f64_e32 v[173:174], v[173:174], v[179:180]
	s_wait_loadcnt_dscnt 0x800
	v_mul_f64_e32 v[179:180], v[6:7], v[169:170]
	v_mul_f64_e32 v[169:170], v[8:9], v[169:170]
	v_fma_f64 v[177:178], v[4:5], v[34:35], v[177:178]
	v_fma_f64 v[183:184], v[2:3], v[34:35], -v[36:37]
	ds_load_b128 v[2:5], v1 offset:1440
	scratch_load_b128 v[34:37], off, off offset:624
	v_add_f64_e32 v[171:172], v[171:172], v[181:182]
	v_add_f64_e32 v[173:174], v[173:174], v[175:176]
	v_fma_f64 v[179:180], v[8:9], v[167:168], v[179:180]
	v_fma_f64 v[181:182], v[6:7], v[167:168], -v[169:170]
	ds_load_b128 v[6:9], v1 offset:1456
	scratch_load_b128 v[167:170], off, off offset:640
	s_wait_loadcnt_dscnt 0x901
	v_mul_f64_e32 v[175:176], v[2:3], v[40:41]
	v_mul_f64_e32 v[40:41], v[4:5], v[40:41]
	v_add_f64_e32 v[171:172], v[171:172], v[183:184]
	v_add_f64_e32 v[173:174], v[173:174], v[177:178]
	s_wait_loadcnt_dscnt 0x800
	v_mul_f64_e32 v[177:178], v[6:7], v[165:166]
	v_mul_f64_e32 v[165:166], v[8:9], v[165:166]
	v_fma_f64 v[175:176], v[4:5], v[38:39], v[175:176]
	v_fma_f64 v[183:184], v[2:3], v[38:39], -v[40:41]
	ds_load_b128 v[2:5], v1 offset:1472
	scratch_load_b128 v[38:41], off, off offset:656
	v_add_f64_e32 v[171:172], v[171:172], v[181:182]
	v_add_f64_e32 v[173:174], v[173:174], v[179:180]
	v_fma_f64 v[177:178], v[8:9], v[163:164], v[177:178]
	v_fma_f64 v[181:182], v[6:7], v[163:164], -v[165:166]
	ds_load_b128 v[6:9], v1 offset:1488
	s_wait_loadcnt_dscnt 0x801
	v_mul_f64_e32 v[179:180], v[2:3], v[12:13]
	v_mul_f64_e32 v[12:13], v[4:5], v[12:13]
	scratch_load_b128 v[163:166], off, off offset:672
	v_add_f64_e32 v[171:172], v[171:172], v[183:184]
	v_add_f64_e32 v[173:174], v[173:174], v[175:176]
	s_wait_loadcnt_dscnt 0x800
	v_mul_f64_e32 v[175:176], v[6:7], v[16:17]
	v_mul_f64_e32 v[16:17], v[8:9], v[16:17]
	v_fma_f64 v[179:180], v[4:5], v[10:11], v[179:180]
	v_fma_f64 v[183:184], v[2:3], v[10:11], -v[12:13]
	scratch_load_b128 v[10:13], off, off offset:688
	ds_load_b128 v[2:5], v1 offset:1504
	v_add_f64_e32 v[171:172], v[171:172], v[181:182]
	v_add_f64_e32 v[173:174], v[173:174], v[177:178]
	v_fma_f64 v[175:176], v[8:9], v[14:15], v[175:176]
	v_fma_f64 v[181:182], v[6:7], v[14:15], -v[16:17]
	ds_load_b128 v[6:9], v1 offset:1520
	s_wait_loadcnt_dscnt 0x801
	v_mul_f64_e32 v[177:178], v[2:3], v[20:21]
	v_mul_f64_e32 v[20:21], v[4:5], v[20:21]
	scratch_load_b128 v[14:17], off, off offset:704
	v_add_f64_e32 v[171:172], v[171:172], v[183:184]
	v_add_f64_e32 v[173:174], v[173:174], v[179:180]
	s_wait_loadcnt_dscnt 0x800
	v_mul_f64_e32 v[179:180], v[6:7], v[24:25]
	v_mul_f64_e32 v[24:25], v[8:9], v[24:25]
	v_fma_f64 v[177:178], v[4:5], v[18:19], v[177:178]
	v_fma_f64 v[183:184], v[2:3], v[18:19], -v[20:21]
	ds_load_b128 v[2:5], v1 offset:1536
	scratch_load_b128 v[18:21], off, off offset:720
	v_add_f64_e32 v[171:172], v[171:172], v[181:182]
	v_add_f64_e32 v[173:174], v[173:174], v[175:176]
	v_fma_f64 v[179:180], v[8:9], v[22:23], v[179:180]
	v_fma_f64 v[181:182], v[6:7], v[22:23], -v[24:25]
	ds_load_b128 v[6:9], v1 offset:1552
	s_wait_loadcnt_dscnt 0x801
	v_mul_f64_e32 v[175:176], v[2:3], v[28:29]
	v_mul_f64_e32 v[28:29], v[4:5], v[28:29]
	scratch_load_b128 v[22:25], off, off offset:736
	v_add_f64_e32 v[171:172], v[171:172], v[183:184]
	v_add_f64_e32 v[173:174], v[173:174], v[177:178]
	s_wait_loadcnt_dscnt 0x800
	v_mul_f64_e32 v[177:178], v[6:7], v[32:33]
	v_mul_f64_e32 v[32:33], v[8:9], v[32:33]
	v_fma_f64 v[175:176], v[4:5], v[26:27], v[175:176]
	v_fma_f64 v[183:184], v[2:3], v[26:27], -v[28:29]
	ds_load_b128 v[2:5], v1 offset:1568
	scratch_load_b128 v[26:29], off, off offset:752
	;; [unrolled: 18-line block ×4, first 2 shown]
	v_add_f64_e32 v[171:172], v[171:172], v[181:182]
	v_add_f64_e32 v[173:174], v[173:174], v[175:176]
	v_fma_f64 v[179:180], v[8:9], v[163:164], v[179:180]
	v_fma_f64 v[181:182], v[6:7], v[163:164], -v[165:166]
	ds_load_b128 v[6:9], v1 offset:1648
	s_wait_loadcnt_dscnt 0x801
	v_mul_f64_e32 v[175:176], v[2:3], v[12:13]
	v_mul_f64_e32 v[12:13], v[4:5], v[12:13]
	scratch_load_b128 v[163:166], off, off offset:832
	v_add_f64_e32 v[171:172], v[171:172], v[183:184]
	v_add_f64_e32 v[173:174], v[173:174], v[177:178]
	s_wait_loadcnt_dscnt 0x800
	v_mul_f64_e32 v[177:178], v[6:7], v[16:17]
	v_mul_f64_e32 v[16:17], v[8:9], v[16:17]
	v_fma_f64 v[175:176], v[4:5], v[10:11], v[175:176]
	v_fma_f64 v[183:184], v[2:3], v[10:11], -v[12:13]
	scratch_load_b128 v[10:13], off, off offset:848
	ds_load_b128 v[2:5], v1 offset:1664
	v_add_f64_e32 v[171:172], v[171:172], v[181:182]
	v_add_f64_e32 v[173:174], v[173:174], v[179:180]
	v_fma_f64 v[177:178], v[8:9], v[14:15], v[177:178]
	v_fma_f64 v[181:182], v[6:7], v[14:15], -v[16:17]
	ds_load_b128 v[6:9], v1 offset:1680
	s_wait_loadcnt_dscnt 0x801
	v_mul_f64_e32 v[179:180], v[2:3], v[20:21]
	v_mul_f64_e32 v[20:21], v[4:5], v[20:21]
	scratch_load_b128 v[14:17], off, off offset:864
	v_add_f64_e32 v[171:172], v[171:172], v[183:184]
	v_add_f64_e32 v[173:174], v[173:174], v[175:176]
	s_wait_loadcnt_dscnt 0x800
	v_mul_f64_e32 v[175:176], v[6:7], v[24:25]
	v_mul_f64_e32 v[24:25], v[8:9], v[24:25]
	v_fma_f64 v[179:180], v[4:5], v[18:19], v[179:180]
	v_fma_f64 v[183:184], v[2:3], v[18:19], -v[20:21]
	ds_load_b128 v[2:5], v1 offset:1696
	scratch_load_b128 v[18:21], off, off offset:880
	v_add_f64_e32 v[171:172], v[171:172], v[181:182]
	v_add_f64_e32 v[173:174], v[173:174], v[177:178]
	v_fma_f64 v[175:176], v[8:9], v[22:23], v[175:176]
	v_fma_f64 v[181:182], v[6:7], v[22:23], -v[24:25]
	ds_load_b128 v[6:9], v1 offset:1712
	s_wait_loadcnt_dscnt 0x801
	v_mul_f64_e32 v[177:178], v[2:3], v[28:29]
	v_mul_f64_e32 v[28:29], v[4:5], v[28:29]
	scratch_load_b128 v[22:25], off, off offset:896
	v_add_f64_e32 v[171:172], v[171:172], v[183:184]
	v_add_f64_e32 v[173:174], v[173:174], v[179:180]
	s_wait_loadcnt_dscnt 0x800
	v_mul_f64_e32 v[179:180], v[6:7], v[32:33]
	v_mul_f64_e32 v[32:33], v[8:9], v[32:33]
	v_fma_f64 v[177:178], v[4:5], v[26:27], v[177:178]
	v_fma_f64 v[183:184], v[2:3], v[26:27], -v[28:29]
	ds_load_b128 v[2:5], v1 offset:1728
	scratch_load_b128 v[26:29], off, off offset:912
	;; [unrolled: 18-line block ×3, first 2 shown]
	v_add_f64_e32 v[171:172], v[171:172], v[181:182]
	v_add_f64_e32 v[173:174], v[173:174], v[179:180]
	v_fma_f64 v[177:178], v[8:9], v[167:168], v[177:178]
	v_fma_f64 v[181:182], v[6:7], v[167:168], -v[169:170]
	ds_load_b128 v[6:9], v1 offset:1776
	s_wait_loadcnt_dscnt 0x801
	v_mul_f64_e32 v[179:180], v[2:3], v[40:41]
	v_mul_f64_e32 v[40:41], v[4:5], v[40:41]
	scratch_load_b128 v[167:170], off, off offset:960
	v_add_f64_e32 v[171:172], v[171:172], v[183:184]
	v_add_f64_e32 v[173:174], v[173:174], v[175:176]
	v_fma_f64 v[179:180], v[4:5], v[38:39], v[179:180]
	v_fma_f64 v[38:39], v[2:3], v[38:39], -v[40:41]
	ds_load_b128 v[2:5], v1 offset:1792
	v_add_f64_e32 v[40:41], v[171:172], v[181:182]
	v_add_f64_e32 v[171:172], v[173:174], v[177:178]
	s_wait_loadcnt_dscnt 0x700
	v_mul_f64_e32 v[173:174], v[2:3], v[12:13]
	v_mul_f64_e32 v[12:13], v[4:5], v[12:13]
	s_delay_alu instid0(VALU_DEP_4) | instskip(NEXT) | instid1(VALU_DEP_4)
	v_add_f64_e32 v[38:39], v[40:41], v[38:39]
	v_add_f64_e32 v[40:41], v[171:172], v[179:180]
	s_delay_alu instid0(VALU_DEP_4) | instskip(NEXT) | instid1(VALU_DEP_4)
	v_fma_f64 v[171:172], v[4:5], v[10:11], v[173:174]
	v_fma_f64 v[173:174], v[2:3], v[10:11], -v[12:13]
	scratch_load_b128 v[10:13], off, off offset:320
	v_mul_f64_e32 v[175:176], v[6:7], v[165:166]
	v_mul_f64_e32 v[165:166], v[8:9], v[165:166]
	ds_load_b128 v[2:5], v1 offset:1824
	v_fma_f64 v[175:176], v[8:9], v[163:164], v[175:176]
	v_fma_f64 v[163:164], v[6:7], v[163:164], -v[165:166]
	ds_load_b128 v[6:9], v1 offset:1808
	s_wait_loadcnt_dscnt 0x700
	v_mul_f64_e32 v[165:166], v[6:7], v[16:17]
	v_mul_f64_e32 v[16:17], v[8:9], v[16:17]
	v_add_f64_e32 v[40:41], v[40:41], v[175:176]
	v_add_f64_e32 v[38:39], v[38:39], v[163:164]
	s_wait_loadcnt 0x6
	v_mul_f64_e32 v[163:164], v[2:3], v[20:21]
	v_mul_f64_e32 v[20:21], v[4:5], v[20:21]
	v_fma_f64 v[165:166], v[8:9], v[14:15], v[165:166]
	v_fma_f64 v[14:15], v[6:7], v[14:15], -v[16:17]
	ds_load_b128 v[6:9], v1 offset:1840
	v_add_f64_e32 v[16:17], v[38:39], v[173:174]
	v_add_f64_e32 v[38:39], v[40:41], v[171:172]
	v_fma_f64 v[163:164], v[4:5], v[18:19], v[163:164]
	v_fma_f64 v[18:19], v[2:3], v[18:19], -v[20:21]
	ds_load_b128 v[2:5], v1 offset:1856
	s_wait_loadcnt_dscnt 0x501
	v_mul_f64_e32 v[40:41], v[6:7], v[24:25]
	v_mul_f64_e32 v[24:25], v[8:9], v[24:25]
	s_wait_loadcnt_dscnt 0x400
	v_mul_f64_e32 v[20:21], v[2:3], v[28:29]
	v_mul_f64_e32 v[28:29], v[4:5], v[28:29]
	v_add_f64_e32 v[14:15], v[16:17], v[14:15]
	v_add_f64_e32 v[16:17], v[38:39], v[165:166]
	v_fma_f64 v[38:39], v[8:9], v[22:23], v[40:41]
	v_fma_f64 v[22:23], v[6:7], v[22:23], -v[24:25]
	ds_load_b128 v[6:9], v1 offset:1872
	v_fma_f64 v[20:21], v[4:5], v[26:27], v[20:21]
	v_fma_f64 v[26:27], v[2:3], v[26:27], -v[28:29]
	ds_load_b128 v[2:5], v1 offset:1888
	s_wait_loadcnt_dscnt 0x301
	v_mul_f64_e32 v[24:25], v[8:9], v[32:33]
	v_add_f64_e32 v[14:15], v[14:15], v[18:19]
	v_add_f64_e32 v[16:17], v[16:17], v[163:164]
	v_mul_f64_e32 v[18:19], v[6:7], v[32:33]
	s_wait_loadcnt_dscnt 0x200
	v_mul_f64_e32 v[28:29], v[4:5], v[36:37]
	v_fma_f64 v[24:25], v[6:7], v[30:31], -v[24:25]
	v_add_f64_e32 v[14:15], v[14:15], v[22:23]
	v_add_f64_e32 v[16:17], v[16:17], v[38:39]
	v_mul_f64_e32 v[22:23], v[2:3], v[36:37]
	v_fma_f64 v[18:19], v[8:9], v[30:31], v[18:19]
	ds_load_b128 v[6:9], v1 offset:1904
	v_fma_f64 v[1:2], v[2:3], v[34:35], -v[28:29]
	v_add_f64_e32 v[14:15], v[14:15], v[26:27]
	v_add_f64_e32 v[16:17], v[16:17], v[20:21]
	s_wait_loadcnt_dscnt 0x100
	v_mul_f64_e32 v[20:21], v[6:7], v[169:170]
	v_mul_f64_e32 v[26:27], v[8:9], v[169:170]
	v_fma_f64 v[4:5], v[4:5], v[34:35], v[22:23]
	v_add_f64_e32 v[14:15], v[14:15], v[24:25]
	v_add_f64_e32 v[16:17], v[16:17], v[18:19]
	v_fma_f64 v[8:9], v[8:9], v[167:168], v[20:21]
	v_fma_f64 v[6:7], v[6:7], v[167:168], -v[26:27]
	s_delay_alu instid0(VALU_DEP_4) | instskip(NEXT) | instid1(VALU_DEP_4)
	v_add_f64_e32 v[1:2], v[14:15], v[1:2]
	v_add_f64_e32 v[3:4], v[16:17], v[4:5]
	s_delay_alu instid0(VALU_DEP_2) | instskip(NEXT) | instid1(VALU_DEP_2)
	v_add_f64_e32 v[1:2], v[1:2], v[6:7]
	v_add_f64_e32 v[3:4], v[3:4], v[8:9]
	s_wait_loadcnt 0x0
	s_delay_alu instid0(VALU_DEP_2) | instskip(NEXT) | instid1(VALU_DEP_2)
	v_add_f64_e64 v[1:2], v[10:11], -v[1:2]
	v_add_f64_e64 v[3:4], v[12:13], -v[3:4]
	scratch_store_b128 off, v[1:4], off offset:320
	v_cmpx_lt_u32_e32 18, v0
	s_cbranch_execz .LBB59_337
; %bb.336:
	scratch_load_b128 v[1:4], off, s51
	v_mov_b32_e32 v5, 0
	s_delay_alu instid0(VALU_DEP_1)
	v_dual_mov_b32 v6, v5 :: v_dual_mov_b32 v7, v5
	v_mov_b32_e32 v8, v5
	scratch_store_b128 off, v[5:8], off offset:304
	s_wait_loadcnt 0x0
	ds_store_b128 v162, v[1:4]
.LBB59_337:
	s_wait_alu 0xfffe
	s_or_b32 exec_lo, exec_lo, s0
	s_wait_storecnt_dscnt 0x0
	s_barrier_signal -1
	s_barrier_wait -1
	global_inv scope:SCOPE_SE
	s_clause 0x7
	scratch_load_b128 v[2:5], off, off offset:320
	scratch_load_b128 v[6:9], off, off offset:336
	;; [unrolled: 1-line block ×8, first 2 shown]
	v_mov_b32_e32 v1, 0
	s_clause 0x1
	scratch_load_b128 v[34:37], off, off offset:448
	scratch_load_b128 v[167:170], off, off offset:464
	s_mov_b32 s0, exec_lo
	ds_load_b128 v[38:41], v1 offset:1264
	ds_load_b128 v[163:166], v1 offset:1280
	s_wait_loadcnt_dscnt 0x901
	v_mul_f64_e32 v[171:172], v[40:41], v[4:5]
	v_mul_f64_e32 v[4:5], v[38:39], v[4:5]
	s_wait_loadcnt_dscnt 0x800
	v_mul_f64_e32 v[173:174], v[163:164], v[8:9]
	v_mul_f64_e32 v[8:9], v[165:166], v[8:9]
	s_delay_alu instid0(VALU_DEP_4) | instskip(NEXT) | instid1(VALU_DEP_4)
	v_fma_f64 v[171:172], v[38:39], v[2:3], -v[171:172]
	v_fma_f64 v[175:176], v[40:41], v[2:3], v[4:5]
	ds_load_b128 v[2:5], v1 offset:1296
	scratch_load_b128 v[38:41], off, off offset:480
	v_fma_f64 v[173:174], v[165:166], v[6:7], v[173:174]
	v_fma_f64 v[179:180], v[163:164], v[6:7], -v[8:9]
	ds_load_b128 v[6:9], v1 offset:1312
	scratch_load_b128 v[163:166], off, off offset:496
	s_wait_loadcnt_dscnt 0x901
	v_mul_f64_e32 v[177:178], v[2:3], v[12:13]
	v_mul_f64_e32 v[12:13], v[4:5], v[12:13]
	s_wait_loadcnt_dscnt 0x800
	v_mul_f64_e32 v[181:182], v[6:7], v[16:17]
	v_mul_f64_e32 v[16:17], v[8:9], v[16:17]
	v_add_f64_e32 v[171:172], 0, v[171:172]
	v_add_f64_e32 v[175:176], 0, v[175:176]
	v_fma_f64 v[177:178], v[4:5], v[10:11], v[177:178]
	v_fma_f64 v[183:184], v[2:3], v[10:11], -v[12:13]
	ds_load_b128 v[2:5], v1 offset:1328
	scratch_load_b128 v[10:13], off, off offset:512
	v_add_f64_e32 v[171:172], v[171:172], v[179:180]
	v_add_f64_e32 v[173:174], v[175:176], v[173:174]
	v_fma_f64 v[179:180], v[8:9], v[14:15], v[181:182]
	v_fma_f64 v[181:182], v[6:7], v[14:15], -v[16:17]
	ds_load_b128 v[6:9], v1 offset:1344
	scratch_load_b128 v[14:17], off, off offset:528
	s_wait_loadcnt_dscnt 0x901
	v_mul_f64_e32 v[175:176], v[2:3], v[20:21]
	v_mul_f64_e32 v[20:21], v[4:5], v[20:21]
	v_add_f64_e32 v[171:172], v[171:172], v[183:184]
	v_add_f64_e32 v[173:174], v[173:174], v[177:178]
	s_wait_loadcnt_dscnt 0x800
	v_mul_f64_e32 v[177:178], v[6:7], v[24:25]
	v_mul_f64_e32 v[24:25], v[8:9], v[24:25]
	v_fma_f64 v[175:176], v[4:5], v[18:19], v[175:176]
	v_fma_f64 v[183:184], v[2:3], v[18:19], -v[20:21]
	ds_load_b128 v[2:5], v1 offset:1360
	scratch_load_b128 v[18:21], off, off offset:544
	v_add_f64_e32 v[171:172], v[171:172], v[181:182]
	v_add_f64_e32 v[173:174], v[173:174], v[179:180]
	v_fma_f64 v[177:178], v[8:9], v[22:23], v[177:178]
	v_fma_f64 v[181:182], v[6:7], v[22:23], -v[24:25]
	ds_load_b128 v[6:9], v1 offset:1376
	s_wait_loadcnt_dscnt 0x801
	v_mul_f64_e32 v[179:180], v[2:3], v[28:29]
	v_mul_f64_e32 v[28:29], v[4:5], v[28:29]
	scratch_load_b128 v[22:25], off, off offset:560
	v_add_f64_e32 v[171:172], v[171:172], v[183:184]
	v_add_f64_e32 v[173:174], v[173:174], v[175:176]
	s_wait_loadcnt_dscnt 0x800
	v_mul_f64_e32 v[175:176], v[6:7], v[32:33]
	v_mul_f64_e32 v[32:33], v[8:9], v[32:33]
	v_fma_f64 v[179:180], v[4:5], v[26:27], v[179:180]
	v_fma_f64 v[183:184], v[2:3], v[26:27], -v[28:29]
	ds_load_b128 v[2:5], v1 offset:1392
	scratch_load_b128 v[26:29], off, off offset:576
	v_add_f64_e32 v[171:172], v[171:172], v[181:182]
	v_add_f64_e32 v[173:174], v[173:174], v[177:178]
	v_fma_f64 v[175:176], v[8:9], v[30:31], v[175:176]
	v_fma_f64 v[181:182], v[6:7], v[30:31], -v[32:33]
	ds_load_b128 v[6:9], v1 offset:1408
	s_wait_loadcnt_dscnt 0x801
	v_mul_f64_e32 v[177:178], v[2:3], v[36:37]
	v_mul_f64_e32 v[36:37], v[4:5], v[36:37]
	scratch_load_b128 v[30:33], off, off offset:592
	v_add_f64_e32 v[171:172], v[171:172], v[183:184]
	v_add_f64_e32 v[173:174], v[173:174], v[179:180]
	s_wait_loadcnt_dscnt 0x800
	v_mul_f64_e32 v[179:180], v[6:7], v[169:170]
	v_mul_f64_e32 v[169:170], v[8:9], v[169:170]
	v_fma_f64 v[177:178], v[4:5], v[34:35], v[177:178]
	v_fma_f64 v[183:184], v[2:3], v[34:35], -v[36:37]
	ds_load_b128 v[2:5], v1 offset:1424
	scratch_load_b128 v[34:37], off, off offset:608
	v_add_f64_e32 v[171:172], v[171:172], v[181:182]
	v_add_f64_e32 v[173:174], v[173:174], v[175:176]
	v_fma_f64 v[179:180], v[8:9], v[167:168], v[179:180]
	v_fma_f64 v[181:182], v[6:7], v[167:168], -v[169:170]
	ds_load_b128 v[6:9], v1 offset:1440
	scratch_load_b128 v[167:170], off, off offset:624
	s_wait_loadcnt_dscnt 0x901
	v_mul_f64_e32 v[175:176], v[2:3], v[40:41]
	v_mul_f64_e32 v[40:41], v[4:5], v[40:41]
	v_add_f64_e32 v[171:172], v[171:172], v[183:184]
	v_add_f64_e32 v[173:174], v[173:174], v[177:178]
	s_wait_loadcnt_dscnt 0x800
	v_mul_f64_e32 v[177:178], v[6:7], v[165:166]
	v_mul_f64_e32 v[165:166], v[8:9], v[165:166]
	v_fma_f64 v[175:176], v[4:5], v[38:39], v[175:176]
	v_fma_f64 v[183:184], v[2:3], v[38:39], -v[40:41]
	ds_load_b128 v[2:5], v1 offset:1456
	scratch_load_b128 v[38:41], off, off offset:640
	v_add_f64_e32 v[171:172], v[171:172], v[181:182]
	v_add_f64_e32 v[173:174], v[173:174], v[179:180]
	v_fma_f64 v[177:178], v[8:9], v[163:164], v[177:178]
	v_fma_f64 v[181:182], v[6:7], v[163:164], -v[165:166]
	ds_load_b128 v[6:9], v1 offset:1472
	s_wait_loadcnt_dscnt 0x801
	v_mul_f64_e32 v[179:180], v[2:3], v[12:13]
	v_mul_f64_e32 v[12:13], v[4:5], v[12:13]
	scratch_load_b128 v[163:166], off, off offset:656
	v_add_f64_e32 v[171:172], v[171:172], v[183:184]
	v_add_f64_e32 v[173:174], v[173:174], v[175:176]
	s_wait_loadcnt_dscnt 0x800
	v_mul_f64_e32 v[175:176], v[6:7], v[16:17]
	v_mul_f64_e32 v[16:17], v[8:9], v[16:17]
	v_fma_f64 v[179:180], v[4:5], v[10:11], v[179:180]
	v_fma_f64 v[183:184], v[2:3], v[10:11], -v[12:13]
	ds_load_b128 v[2:5], v1 offset:1488
	scratch_load_b128 v[10:13], off, off offset:672
	v_add_f64_e32 v[171:172], v[171:172], v[181:182]
	v_add_f64_e32 v[173:174], v[173:174], v[177:178]
	v_fma_f64 v[175:176], v[8:9], v[14:15], v[175:176]
	v_fma_f64 v[181:182], v[6:7], v[14:15], -v[16:17]
	ds_load_b128 v[6:9], v1 offset:1504
	s_wait_loadcnt_dscnt 0x801
	v_mul_f64_e32 v[177:178], v[2:3], v[20:21]
	v_mul_f64_e32 v[20:21], v[4:5], v[20:21]
	scratch_load_b128 v[14:17], off, off offset:688
	;; [unrolled: 18-line block ×10, first 2 shown]
	v_add_f64_e32 v[171:172], v[171:172], v[183:184]
	v_add_f64_e32 v[173:174], v[173:174], v[175:176]
	s_wait_loadcnt_dscnt 0x800
	v_mul_f64_e32 v[175:176], v[6:7], v[165:166]
	v_mul_f64_e32 v[165:166], v[8:9], v[165:166]
	v_fma_f64 v[179:180], v[4:5], v[38:39], v[179:180]
	v_fma_f64 v[183:184], v[2:3], v[38:39], -v[40:41]
	ds_load_b128 v[2:5], v1 offset:1776
	scratch_load_b128 v[38:41], off, off offset:960
	v_add_f64_e32 v[171:172], v[171:172], v[181:182]
	v_add_f64_e32 v[173:174], v[173:174], v[177:178]
	v_fma_f64 v[175:176], v[8:9], v[163:164], v[175:176]
	v_fma_f64 v[163:164], v[6:7], v[163:164], -v[165:166]
	ds_load_b128 v[6:9], v1 offset:1792
	s_wait_loadcnt_dscnt 0x801
	v_mul_f64_e32 v[177:178], v[2:3], v[12:13]
	v_mul_f64_e32 v[12:13], v[4:5], v[12:13]
	v_add_f64_e32 v[165:166], v[171:172], v[183:184]
	v_add_f64_e32 v[171:172], v[173:174], v[179:180]
	s_wait_loadcnt_dscnt 0x700
	v_mul_f64_e32 v[173:174], v[6:7], v[16:17]
	v_mul_f64_e32 v[16:17], v[8:9], v[16:17]
	v_fma_f64 v[177:178], v[4:5], v[10:11], v[177:178]
	v_fma_f64 v[10:11], v[2:3], v[10:11], -v[12:13]
	ds_load_b128 v[2:5], v1 offset:1808
	v_add_f64_e32 v[12:13], v[165:166], v[163:164]
	v_add_f64_e32 v[163:164], v[171:172], v[175:176]
	v_fma_f64 v[171:172], v[8:9], v[14:15], v[173:174]
	v_fma_f64 v[14:15], v[6:7], v[14:15], -v[16:17]
	ds_load_b128 v[6:9], v1 offset:1824
	s_wait_loadcnt_dscnt 0x500
	v_mul_f64_e32 v[173:174], v[6:7], v[24:25]
	v_mul_f64_e32 v[24:25], v[8:9], v[24:25]
	v_add_f64_e32 v[16:17], v[12:13], v[10:11]
	v_add_f64_e32 v[163:164], v[163:164], v[177:178]
	scratch_load_b128 v[10:13], off, off offset:304
	v_mul_f64_e32 v[165:166], v[2:3], v[20:21]
	v_mul_f64_e32 v[20:21], v[4:5], v[20:21]
	v_add_f64_e32 v[14:15], v[16:17], v[14:15]
	v_add_f64_e32 v[16:17], v[163:164], v[171:172]
	v_fma_f64 v[163:164], v[8:9], v[22:23], v[173:174]
	v_fma_f64 v[165:166], v[4:5], v[18:19], v[165:166]
	v_fma_f64 v[18:19], v[2:3], v[18:19], -v[20:21]
	ds_load_b128 v[2:5], v1 offset:1840
	v_fma_f64 v[22:23], v[6:7], v[22:23], -v[24:25]
	ds_load_b128 v[6:9], v1 offset:1856
	s_wait_loadcnt_dscnt 0x501
	v_mul_f64_e32 v[20:21], v[2:3], v[28:29]
	v_mul_f64_e32 v[28:29], v[4:5], v[28:29]
	s_wait_loadcnt_dscnt 0x400
	v_mul_f64_e32 v[24:25], v[8:9], v[32:33]
	v_add_f64_e32 v[16:17], v[16:17], v[165:166]
	v_add_f64_e32 v[14:15], v[14:15], v[18:19]
	v_mul_f64_e32 v[18:19], v[6:7], v[32:33]
	v_fma_f64 v[20:21], v[4:5], v[26:27], v[20:21]
	v_fma_f64 v[26:27], v[2:3], v[26:27], -v[28:29]
	ds_load_b128 v[2:5], v1 offset:1872
	v_fma_f64 v[24:25], v[6:7], v[30:31], -v[24:25]
	v_add_f64_e32 v[16:17], v[16:17], v[163:164]
	v_add_f64_e32 v[14:15], v[14:15], v[22:23]
	v_fma_f64 v[18:19], v[8:9], v[30:31], v[18:19]
	ds_load_b128 v[6:9], v1 offset:1888
	s_wait_loadcnt_dscnt 0x301
	v_mul_f64_e32 v[22:23], v[2:3], v[36:37]
	v_mul_f64_e32 v[28:29], v[4:5], v[36:37]
	v_add_f64_e32 v[16:17], v[16:17], v[20:21]
	v_add_f64_e32 v[14:15], v[14:15], v[26:27]
	s_wait_loadcnt_dscnt 0x200
	v_mul_f64_e32 v[20:21], v[6:7], v[169:170]
	v_mul_f64_e32 v[26:27], v[8:9], v[169:170]
	v_fma_f64 v[22:23], v[4:5], v[34:35], v[22:23]
	v_fma_f64 v[28:29], v[2:3], v[34:35], -v[28:29]
	ds_load_b128 v[2:5], v1 offset:1904
	v_add_f64_e32 v[16:17], v[16:17], v[18:19]
	v_add_f64_e32 v[14:15], v[14:15], v[24:25]
	s_wait_loadcnt_dscnt 0x100
	v_mul_f64_e32 v[18:19], v[2:3], v[40:41]
	v_mul_f64_e32 v[24:25], v[4:5], v[40:41]
	v_fma_f64 v[8:9], v[8:9], v[167:168], v[20:21]
	v_fma_f64 v[6:7], v[6:7], v[167:168], -v[26:27]
	v_add_f64_e32 v[16:17], v[16:17], v[22:23]
	v_add_f64_e32 v[14:15], v[14:15], v[28:29]
	v_fma_f64 v[4:5], v[4:5], v[38:39], v[18:19]
	v_fma_f64 v[2:3], v[2:3], v[38:39], -v[24:25]
	s_delay_alu instid0(VALU_DEP_4) | instskip(NEXT) | instid1(VALU_DEP_4)
	v_add_f64_e32 v[8:9], v[16:17], v[8:9]
	v_add_f64_e32 v[6:7], v[14:15], v[6:7]
	s_delay_alu instid0(VALU_DEP_2) | instskip(NEXT) | instid1(VALU_DEP_2)
	v_add_f64_e32 v[4:5], v[8:9], v[4:5]
	v_add_f64_e32 v[2:3], v[6:7], v[2:3]
	s_wait_loadcnt 0x0
	s_delay_alu instid0(VALU_DEP_2) | instskip(NEXT) | instid1(VALU_DEP_2)
	v_add_f64_e64 v[4:5], v[12:13], -v[4:5]
	v_add_f64_e64 v[2:3], v[10:11], -v[2:3]
	scratch_store_b128 off, v[2:5], off offset:304
	v_cmpx_lt_u32_e32 17, v0
	s_cbranch_execz .LBB59_339
; %bb.338:
	scratch_load_b128 v[5:8], off, s50
	v_dual_mov_b32 v2, v1 :: v_dual_mov_b32 v3, v1
	v_mov_b32_e32 v4, v1
	scratch_store_b128 off, v[1:4], off offset:288
	s_wait_loadcnt 0x0
	ds_store_b128 v162, v[5:8]
.LBB59_339:
	s_wait_alu 0xfffe
	s_or_b32 exec_lo, exec_lo, s0
	s_wait_storecnt_dscnt 0x0
	s_barrier_signal -1
	s_barrier_wait -1
	global_inv scope:SCOPE_SE
	s_clause 0x7
	scratch_load_b128 v[2:5], off, off offset:304
	scratch_load_b128 v[6:9], off, off offset:320
	;; [unrolled: 1-line block ×8, first 2 shown]
	ds_load_b128 v[38:41], v1 offset:1248
	ds_load_b128 v[163:166], v1 offset:1264
	s_clause 0x1
	scratch_load_b128 v[34:37], off, off offset:432
	scratch_load_b128 v[167:170], off, off offset:448
	s_mov_b32 s0, exec_lo
	s_wait_loadcnt_dscnt 0x901
	v_mul_f64_e32 v[171:172], v[40:41], v[4:5]
	v_mul_f64_e32 v[4:5], v[38:39], v[4:5]
	s_wait_loadcnt_dscnt 0x800
	v_mul_f64_e32 v[173:174], v[163:164], v[8:9]
	v_mul_f64_e32 v[8:9], v[165:166], v[8:9]
	s_delay_alu instid0(VALU_DEP_4) | instskip(NEXT) | instid1(VALU_DEP_4)
	v_fma_f64 v[171:172], v[38:39], v[2:3], -v[171:172]
	v_fma_f64 v[175:176], v[40:41], v[2:3], v[4:5]
	ds_load_b128 v[2:5], v1 offset:1280
	scratch_load_b128 v[38:41], off, off offset:464
	v_fma_f64 v[173:174], v[165:166], v[6:7], v[173:174]
	v_fma_f64 v[179:180], v[163:164], v[6:7], -v[8:9]
	ds_load_b128 v[6:9], v1 offset:1296
	scratch_load_b128 v[163:166], off, off offset:480
	s_wait_loadcnt_dscnt 0x901
	v_mul_f64_e32 v[177:178], v[2:3], v[12:13]
	v_mul_f64_e32 v[12:13], v[4:5], v[12:13]
	s_wait_loadcnt_dscnt 0x800
	v_mul_f64_e32 v[181:182], v[6:7], v[16:17]
	v_mul_f64_e32 v[16:17], v[8:9], v[16:17]
	v_add_f64_e32 v[171:172], 0, v[171:172]
	v_add_f64_e32 v[175:176], 0, v[175:176]
	v_fma_f64 v[177:178], v[4:5], v[10:11], v[177:178]
	v_fma_f64 v[183:184], v[2:3], v[10:11], -v[12:13]
	ds_load_b128 v[2:5], v1 offset:1312
	scratch_load_b128 v[10:13], off, off offset:496
	v_add_f64_e32 v[171:172], v[171:172], v[179:180]
	v_add_f64_e32 v[173:174], v[175:176], v[173:174]
	v_fma_f64 v[179:180], v[8:9], v[14:15], v[181:182]
	v_fma_f64 v[181:182], v[6:7], v[14:15], -v[16:17]
	ds_load_b128 v[6:9], v1 offset:1328
	scratch_load_b128 v[14:17], off, off offset:512
	s_wait_loadcnt_dscnt 0x901
	v_mul_f64_e32 v[175:176], v[2:3], v[20:21]
	v_mul_f64_e32 v[20:21], v[4:5], v[20:21]
	v_add_f64_e32 v[171:172], v[171:172], v[183:184]
	v_add_f64_e32 v[173:174], v[173:174], v[177:178]
	s_wait_loadcnt_dscnt 0x800
	v_mul_f64_e32 v[177:178], v[6:7], v[24:25]
	v_mul_f64_e32 v[24:25], v[8:9], v[24:25]
	v_fma_f64 v[175:176], v[4:5], v[18:19], v[175:176]
	v_fma_f64 v[183:184], v[2:3], v[18:19], -v[20:21]
	ds_load_b128 v[2:5], v1 offset:1344
	scratch_load_b128 v[18:21], off, off offset:528
	v_add_f64_e32 v[171:172], v[171:172], v[181:182]
	v_add_f64_e32 v[173:174], v[173:174], v[179:180]
	v_fma_f64 v[177:178], v[8:9], v[22:23], v[177:178]
	v_fma_f64 v[181:182], v[6:7], v[22:23], -v[24:25]
	ds_load_b128 v[6:9], v1 offset:1360
	s_wait_loadcnt_dscnt 0x801
	v_mul_f64_e32 v[179:180], v[2:3], v[28:29]
	v_mul_f64_e32 v[28:29], v[4:5], v[28:29]
	scratch_load_b128 v[22:25], off, off offset:544
	v_add_f64_e32 v[171:172], v[171:172], v[183:184]
	v_add_f64_e32 v[173:174], v[173:174], v[175:176]
	s_wait_loadcnt_dscnt 0x800
	v_mul_f64_e32 v[175:176], v[6:7], v[32:33]
	v_mul_f64_e32 v[32:33], v[8:9], v[32:33]
	v_fma_f64 v[179:180], v[4:5], v[26:27], v[179:180]
	v_fma_f64 v[183:184], v[2:3], v[26:27], -v[28:29]
	ds_load_b128 v[2:5], v1 offset:1376
	scratch_load_b128 v[26:29], off, off offset:560
	v_add_f64_e32 v[171:172], v[171:172], v[181:182]
	v_add_f64_e32 v[173:174], v[173:174], v[177:178]
	v_fma_f64 v[175:176], v[8:9], v[30:31], v[175:176]
	v_fma_f64 v[181:182], v[6:7], v[30:31], -v[32:33]
	ds_load_b128 v[6:9], v1 offset:1392
	s_wait_loadcnt_dscnt 0x801
	v_mul_f64_e32 v[177:178], v[2:3], v[36:37]
	v_mul_f64_e32 v[36:37], v[4:5], v[36:37]
	scratch_load_b128 v[30:33], off, off offset:576
	v_add_f64_e32 v[171:172], v[171:172], v[183:184]
	v_add_f64_e32 v[173:174], v[173:174], v[179:180]
	s_wait_loadcnt_dscnt 0x800
	v_mul_f64_e32 v[179:180], v[6:7], v[169:170]
	v_mul_f64_e32 v[169:170], v[8:9], v[169:170]
	v_fma_f64 v[177:178], v[4:5], v[34:35], v[177:178]
	v_fma_f64 v[183:184], v[2:3], v[34:35], -v[36:37]
	ds_load_b128 v[2:5], v1 offset:1408
	scratch_load_b128 v[34:37], off, off offset:592
	v_add_f64_e32 v[171:172], v[171:172], v[181:182]
	v_add_f64_e32 v[173:174], v[173:174], v[175:176]
	v_fma_f64 v[179:180], v[8:9], v[167:168], v[179:180]
	v_fma_f64 v[181:182], v[6:7], v[167:168], -v[169:170]
	ds_load_b128 v[6:9], v1 offset:1424
	scratch_load_b128 v[167:170], off, off offset:608
	s_wait_loadcnt_dscnt 0x901
	v_mul_f64_e32 v[175:176], v[2:3], v[40:41]
	v_mul_f64_e32 v[40:41], v[4:5], v[40:41]
	v_add_f64_e32 v[171:172], v[171:172], v[183:184]
	v_add_f64_e32 v[173:174], v[173:174], v[177:178]
	s_wait_loadcnt_dscnt 0x800
	v_mul_f64_e32 v[177:178], v[6:7], v[165:166]
	v_mul_f64_e32 v[165:166], v[8:9], v[165:166]
	v_fma_f64 v[175:176], v[4:5], v[38:39], v[175:176]
	v_fma_f64 v[183:184], v[2:3], v[38:39], -v[40:41]
	ds_load_b128 v[2:5], v1 offset:1440
	scratch_load_b128 v[38:41], off, off offset:624
	v_add_f64_e32 v[171:172], v[171:172], v[181:182]
	v_add_f64_e32 v[173:174], v[173:174], v[179:180]
	v_fma_f64 v[177:178], v[8:9], v[163:164], v[177:178]
	v_fma_f64 v[181:182], v[6:7], v[163:164], -v[165:166]
	ds_load_b128 v[6:9], v1 offset:1456
	s_wait_loadcnt_dscnt 0x801
	v_mul_f64_e32 v[179:180], v[2:3], v[12:13]
	v_mul_f64_e32 v[12:13], v[4:5], v[12:13]
	scratch_load_b128 v[163:166], off, off offset:640
	v_add_f64_e32 v[171:172], v[171:172], v[183:184]
	v_add_f64_e32 v[173:174], v[173:174], v[175:176]
	s_wait_loadcnt_dscnt 0x800
	v_mul_f64_e32 v[175:176], v[6:7], v[16:17]
	v_mul_f64_e32 v[16:17], v[8:9], v[16:17]
	v_fma_f64 v[179:180], v[4:5], v[10:11], v[179:180]
	v_fma_f64 v[183:184], v[2:3], v[10:11], -v[12:13]
	ds_load_b128 v[2:5], v1 offset:1472
	scratch_load_b128 v[10:13], off, off offset:656
	v_add_f64_e32 v[171:172], v[171:172], v[181:182]
	v_add_f64_e32 v[173:174], v[173:174], v[177:178]
	v_fma_f64 v[175:176], v[8:9], v[14:15], v[175:176]
	v_fma_f64 v[181:182], v[6:7], v[14:15], -v[16:17]
	ds_load_b128 v[6:9], v1 offset:1488
	s_wait_loadcnt_dscnt 0x801
	v_mul_f64_e32 v[177:178], v[2:3], v[20:21]
	v_mul_f64_e32 v[20:21], v[4:5], v[20:21]
	scratch_load_b128 v[14:17], off, off offset:672
	;; [unrolled: 18-line block ×11, first 2 shown]
	v_add_f64_e32 v[171:172], v[171:172], v[183:184]
	v_add_f64_e32 v[173:174], v[173:174], v[179:180]
	s_wait_loadcnt_dscnt 0x800
	v_mul_f64_e32 v[179:180], v[6:7], v[16:17]
	v_mul_f64_e32 v[16:17], v[8:9], v[16:17]
	v_fma_f64 v[177:178], v[4:5], v[10:11], v[177:178]
	v_fma_f64 v[10:11], v[2:3], v[10:11], -v[12:13]
	ds_load_b128 v[2:5], v1 offset:1792
	v_add_f64_e32 v[12:13], v[171:172], v[181:182]
	v_add_f64_e32 v[171:172], v[173:174], v[175:176]
	v_fma_f64 v[175:176], v[8:9], v[14:15], v[179:180]
	v_fma_f64 v[14:15], v[6:7], v[14:15], -v[16:17]
	ds_load_b128 v[6:9], v1 offset:1808
	s_wait_loadcnt_dscnt 0x701
	v_mul_f64_e32 v[173:174], v[2:3], v[20:21]
	v_mul_f64_e32 v[20:21], v[4:5], v[20:21]
	v_add_f64_e32 v[10:11], v[12:13], v[10:11]
	v_add_f64_e32 v[12:13], v[171:172], v[177:178]
	s_delay_alu instid0(VALU_DEP_4) | instskip(NEXT) | instid1(VALU_DEP_4)
	v_fma_f64 v[171:172], v[4:5], v[18:19], v[173:174]
	v_fma_f64 v[18:19], v[2:3], v[18:19], -v[20:21]
	ds_load_b128 v[2:5], v1 offset:1824
	v_add_f64_e32 v[14:15], v[10:11], v[14:15]
	v_add_f64_e32 v[20:21], v[12:13], v[175:176]
	scratch_load_b128 v[10:13], off, off offset:288
	s_wait_loadcnt_dscnt 0x701
	v_mul_f64_e32 v[16:17], v[6:7], v[24:25]
	v_mul_f64_e32 v[24:25], v[8:9], v[24:25]
	v_add_f64_e32 v[14:15], v[14:15], v[18:19]
	v_add_f64_e32 v[18:19], v[20:21], v[171:172]
	s_delay_alu instid0(VALU_DEP_4) | instskip(NEXT) | instid1(VALU_DEP_4)
	v_fma_f64 v[16:17], v[8:9], v[22:23], v[16:17]
	v_fma_f64 v[22:23], v[6:7], v[22:23], -v[24:25]
	ds_load_b128 v[6:9], v1 offset:1840
	s_wait_loadcnt_dscnt 0x601
	v_mul_f64_e32 v[173:174], v[2:3], v[28:29]
	v_mul_f64_e32 v[28:29], v[4:5], v[28:29]
	s_wait_loadcnt_dscnt 0x500
	v_mul_f64_e32 v[20:21], v[6:7], v[32:33]
	v_mul_f64_e32 v[24:25], v[8:9], v[32:33]
	v_add_f64_e32 v[16:17], v[18:19], v[16:17]
	v_add_f64_e32 v[14:15], v[14:15], v[22:23]
	v_fma_f64 v[32:33], v[4:5], v[26:27], v[173:174]
	v_fma_f64 v[26:27], v[2:3], v[26:27], -v[28:29]
	ds_load_b128 v[2:5], v1 offset:1856
	v_fma_f64 v[20:21], v[8:9], v[30:31], v[20:21]
	v_fma_f64 v[24:25], v[6:7], v[30:31], -v[24:25]
	ds_load_b128 v[6:9], v1 offset:1872
	s_wait_loadcnt_dscnt 0x401
	v_mul_f64_e32 v[18:19], v[2:3], v[36:37]
	v_mul_f64_e32 v[22:23], v[4:5], v[36:37]
	v_add_f64_e32 v[16:17], v[16:17], v[32:33]
	v_add_f64_e32 v[14:15], v[14:15], v[26:27]
	s_wait_loadcnt_dscnt 0x300
	v_mul_f64_e32 v[26:27], v[6:7], v[169:170]
	v_mul_f64_e32 v[28:29], v[8:9], v[169:170]
	v_fma_f64 v[18:19], v[4:5], v[34:35], v[18:19]
	v_fma_f64 v[22:23], v[2:3], v[34:35], -v[22:23]
	ds_load_b128 v[2:5], v1 offset:1888
	v_add_f64_e32 v[16:17], v[16:17], v[20:21]
	v_add_f64_e32 v[14:15], v[14:15], v[24:25]
	v_fma_f64 v[26:27], v[8:9], v[167:168], v[26:27]
	v_fma_f64 v[28:29], v[6:7], v[167:168], -v[28:29]
	ds_load_b128 v[6:9], v1 offset:1904
	s_wait_loadcnt_dscnt 0x201
	v_mul_f64_e32 v[20:21], v[2:3], v[40:41]
	v_mul_f64_e32 v[24:25], v[4:5], v[40:41]
	v_add_f64_e32 v[16:17], v[16:17], v[18:19]
	v_add_f64_e32 v[14:15], v[14:15], v[22:23]
	s_wait_loadcnt_dscnt 0x100
	v_mul_f64_e32 v[18:19], v[6:7], v[165:166]
	v_mul_f64_e32 v[22:23], v[8:9], v[165:166]
	v_fma_f64 v[4:5], v[4:5], v[38:39], v[20:21]
	v_fma_f64 v[1:2], v[2:3], v[38:39], -v[24:25]
	v_add_f64_e32 v[16:17], v[16:17], v[26:27]
	v_add_f64_e32 v[14:15], v[14:15], v[28:29]
	v_fma_f64 v[8:9], v[8:9], v[163:164], v[18:19]
	v_fma_f64 v[6:7], v[6:7], v[163:164], -v[22:23]
	s_delay_alu instid0(VALU_DEP_4) | instskip(NEXT) | instid1(VALU_DEP_4)
	v_add_f64_e32 v[3:4], v[16:17], v[4:5]
	v_add_f64_e32 v[1:2], v[14:15], v[1:2]
	s_delay_alu instid0(VALU_DEP_2) | instskip(NEXT) | instid1(VALU_DEP_2)
	v_add_f64_e32 v[3:4], v[3:4], v[8:9]
	v_add_f64_e32 v[1:2], v[1:2], v[6:7]
	s_wait_loadcnt 0x0
	s_delay_alu instid0(VALU_DEP_2) | instskip(NEXT) | instid1(VALU_DEP_2)
	v_add_f64_e64 v[3:4], v[12:13], -v[3:4]
	v_add_f64_e64 v[1:2], v[10:11], -v[1:2]
	scratch_store_b128 off, v[1:4], off offset:288
	v_cmpx_lt_u32_e32 16, v0
	s_cbranch_execz .LBB59_341
; %bb.340:
	scratch_load_b128 v[1:4], off, s52
	v_mov_b32_e32 v5, 0
	s_delay_alu instid0(VALU_DEP_1)
	v_dual_mov_b32 v6, v5 :: v_dual_mov_b32 v7, v5
	v_mov_b32_e32 v8, v5
	scratch_store_b128 off, v[5:8], off offset:272
	s_wait_loadcnt 0x0
	ds_store_b128 v162, v[1:4]
.LBB59_341:
	s_wait_alu 0xfffe
	s_or_b32 exec_lo, exec_lo, s0
	s_wait_storecnt_dscnt 0x0
	s_barrier_signal -1
	s_barrier_wait -1
	global_inv scope:SCOPE_SE
	s_clause 0x7
	scratch_load_b128 v[2:5], off, off offset:288
	scratch_load_b128 v[6:9], off, off offset:304
	;; [unrolled: 1-line block ×8, first 2 shown]
	v_mov_b32_e32 v1, 0
	s_clause 0x1
	scratch_load_b128 v[34:37], off, off offset:416
	scratch_load_b128 v[167:170], off, off offset:432
	s_mov_b32 s0, exec_lo
	ds_load_b128 v[38:41], v1 offset:1232
	ds_load_b128 v[163:166], v1 offset:1248
	s_wait_loadcnt_dscnt 0x901
	v_mul_f64_e32 v[171:172], v[40:41], v[4:5]
	v_mul_f64_e32 v[4:5], v[38:39], v[4:5]
	s_wait_loadcnt_dscnt 0x800
	v_mul_f64_e32 v[173:174], v[163:164], v[8:9]
	v_mul_f64_e32 v[8:9], v[165:166], v[8:9]
	s_delay_alu instid0(VALU_DEP_4) | instskip(NEXT) | instid1(VALU_DEP_4)
	v_fma_f64 v[171:172], v[38:39], v[2:3], -v[171:172]
	v_fma_f64 v[175:176], v[40:41], v[2:3], v[4:5]
	ds_load_b128 v[2:5], v1 offset:1264
	scratch_load_b128 v[38:41], off, off offset:448
	v_fma_f64 v[173:174], v[165:166], v[6:7], v[173:174]
	v_fma_f64 v[179:180], v[163:164], v[6:7], -v[8:9]
	ds_load_b128 v[6:9], v1 offset:1280
	scratch_load_b128 v[163:166], off, off offset:464
	s_wait_loadcnt_dscnt 0x901
	v_mul_f64_e32 v[177:178], v[2:3], v[12:13]
	v_mul_f64_e32 v[12:13], v[4:5], v[12:13]
	s_wait_loadcnt_dscnt 0x800
	v_mul_f64_e32 v[181:182], v[6:7], v[16:17]
	v_mul_f64_e32 v[16:17], v[8:9], v[16:17]
	v_add_f64_e32 v[171:172], 0, v[171:172]
	v_add_f64_e32 v[175:176], 0, v[175:176]
	v_fma_f64 v[177:178], v[4:5], v[10:11], v[177:178]
	v_fma_f64 v[183:184], v[2:3], v[10:11], -v[12:13]
	ds_load_b128 v[2:5], v1 offset:1296
	scratch_load_b128 v[10:13], off, off offset:480
	v_add_f64_e32 v[171:172], v[171:172], v[179:180]
	v_add_f64_e32 v[173:174], v[175:176], v[173:174]
	v_fma_f64 v[179:180], v[8:9], v[14:15], v[181:182]
	v_fma_f64 v[181:182], v[6:7], v[14:15], -v[16:17]
	ds_load_b128 v[6:9], v1 offset:1312
	scratch_load_b128 v[14:17], off, off offset:496
	s_wait_loadcnt_dscnt 0x901
	v_mul_f64_e32 v[175:176], v[2:3], v[20:21]
	v_mul_f64_e32 v[20:21], v[4:5], v[20:21]
	v_add_f64_e32 v[171:172], v[171:172], v[183:184]
	v_add_f64_e32 v[173:174], v[173:174], v[177:178]
	s_wait_loadcnt_dscnt 0x800
	v_mul_f64_e32 v[177:178], v[6:7], v[24:25]
	v_mul_f64_e32 v[24:25], v[8:9], v[24:25]
	v_fma_f64 v[175:176], v[4:5], v[18:19], v[175:176]
	v_fma_f64 v[183:184], v[2:3], v[18:19], -v[20:21]
	ds_load_b128 v[2:5], v1 offset:1328
	scratch_load_b128 v[18:21], off, off offset:512
	v_add_f64_e32 v[171:172], v[171:172], v[181:182]
	v_add_f64_e32 v[173:174], v[173:174], v[179:180]
	v_fma_f64 v[177:178], v[8:9], v[22:23], v[177:178]
	v_fma_f64 v[181:182], v[6:7], v[22:23], -v[24:25]
	ds_load_b128 v[6:9], v1 offset:1344
	s_wait_loadcnt_dscnt 0x801
	v_mul_f64_e32 v[179:180], v[2:3], v[28:29]
	v_mul_f64_e32 v[28:29], v[4:5], v[28:29]
	scratch_load_b128 v[22:25], off, off offset:528
	v_add_f64_e32 v[171:172], v[171:172], v[183:184]
	v_add_f64_e32 v[173:174], v[173:174], v[175:176]
	s_wait_loadcnt_dscnt 0x800
	v_mul_f64_e32 v[175:176], v[6:7], v[32:33]
	v_mul_f64_e32 v[32:33], v[8:9], v[32:33]
	v_fma_f64 v[179:180], v[4:5], v[26:27], v[179:180]
	v_fma_f64 v[183:184], v[2:3], v[26:27], -v[28:29]
	ds_load_b128 v[2:5], v1 offset:1360
	scratch_load_b128 v[26:29], off, off offset:544
	v_add_f64_e32 v[171:172], v[171:172], v[181:182]
	v_add_f64_e32 v[173:174], v[173:174], v[177:178]
	v_fma_f64 v[175:176], v[8:9], v[30:31], v[175:176]
	v_fma_f64 v[181:182], v[6:7], v[30:31], -v[32:33]
	ds_load_b128 v[6:9], v1 offset:1376
	s_wait_loadcnt_dscnt 0x801
	v_mul_f64_e32 v[177:178], v[2:3], v[36:37]
	v_mul_f64_e32 v[36:37], v[4:5], v[36:37]
	scratch_load_b128 v[30:33], off, off offset:560
	v_add_f64_e32 v[171:172], v[171:172], v[183:184]
	v_add_f64_e32 v[173:174], v[173:174], v[179:180]
	s_wait_loadcnt_dscnt 0x800
	v_mul_f64_e32 v[179:180], v[6:7], v[169:170]
	v_mul_f64_e32 v[169:170], v[8:9], v[169:170]
	v_fma_f64 v[177:178], v[4:5], v[34:35], v[177:178]
	v_fma_f64 v[183:184], v[2:3], v[34:35], -v[36:37]
	ds_load_b128 v[2:5], v1 offset:1392
	scratch_load_b128 v[34:37], off, off offset:576
	v_add_f64_e32 v[171:172], v[171:172], v[181:182]
	v_add_f64_e32 v[173:174], v[173:174], v[175:176]
	v_fma_f64 v[179:180], v[8:9], v[167:168], v[179:180]
	v_fma_f64 v[181:182], v[6:7], v[167:168], -v[169:170]
	ds_load_b128 v[6:9], v1 offset:1408
	scratch_load_b128 v[167:170], off, off offset:592
	s_wait_loadcnt_dscnt 0x901
	v_mul_f64_e32 v[175:176], v[2:3], v[40:41]
	v_mul_f64_e32 v[40:41], v[4:5], v[40:41]
	v_add_f64_e32 v[171:172], v[171:172], v[183:184]
	v_add_f64_e32 v[173:174], v[173:174], v[177:178]
	s_wait_loadcnt_dscnt 0x800
	v_mul_f64_e32 v[177:178], v[6:7], v[165:166]
	v_mul_f64_e32 v[165:166], v[8:9], v[165:166]
	v_fma_f64 v[175:176], v[4:5], v[38:39], v[175:176]
	v_fma_f64 v[183:184], v[2:3], v[38:39], -v[40:41]
	ds_load_b128 v[2:5], v1 offset:1424
	scratch_load_b128 v[38:41], off, off offset:608
	v_add_f64_e32 v[171:172], v[171:172], v[181:182]
	v_add_f64_e32 v[173:174], v[173:174], v[179:180]
	v_fma_f64 v[177:178], v[8:9], v[163:164], v[177:178]
	v_fma_f64 v[181:182], v[6:7], v[163:164], -v[165:166]
	ds_load_b128 v[6:9], v1 offset:1440
	s_wait_loadcnt_dscnt 0x801
	v_mul_f64_e32 v[179:180], v[2:3], v[12:13]
	v_mul_f64_e32 v[12:13], v[4:5], v[12:13]
	scratch_load_b128 v[163:166], off, off offset:624
	v_add_f64_e32 v[171:172], v[171:172], v[183:184]
	v_add_f64_e32 v[173:174], v[173:174], v[175:176]
	s_wait_loadcnt_dscnt 0x800
	v_mul_f64_e32 v[175:176], v[6:7], v[16:17]
	v_mul_f64_e32 v[16:17], v[8:9], v[16:17]
	v_fma_f64 v[179:180], v[4:5], v[10:11], v[179:180]
	v_fma_f64 v[183:184], v[2:3], v[10:11], -v[12:13]
	ds_load_b128 v[2:5], v1 offset:1456
	scratch_load_b128 v[10:13], off, off offset:640
	v_add_f64_e32 v[171:172], v[171:172], v[181:182]
	v_add_f64_e32 v[173:174], v[173:174], v[177:178]
	v_fma_f64 v[175:176], v[8:9], v[14:15], v[175:176]
	v_fma_f64 v[181:182], v[6:7], v[14:15], -v[16:17]
	ds_load_b128 v[6:9], v1 offset:1472
	s_wait_loadcnt_dscnt 0x801
	v_mul_f64_e32 v[177:178], v[2:3], v[20:21]
	v_mul_f64_e32 v[20:21], v[4:5], v[20:21]
	scratch_load_b128 v[14:17], off, off offset:656
	;; [unrolled: 18-line block ×11, first 2 shown]
	v_add_f64_e32 v[171:172], v[171:172], v[183:184]
	v_add_f64_e32 v[173:174], v[173:174], v[179:180]
	s_wait_loadcnt_dscnt 0x800
	v_mul_f64_e32 v[179:180], v[6:7], v[16:17]
	v_mul_f64_e32 v[16:17], v[8:9], v[16:17]
	v_fma_f64 v[177:178], v[4:5], v[10:11], v[177:178]
	v_fma_f64 v[183:184], v[2:3], v[10:11], -v[12:13]
	ds_load_b128 v[2:5], v1 offset:1776
	scratch_load_b128 v[10:13], off, off offset:960
	v_add_f64_e32 v[171:172], v[171:172], v[181:182]
	v_add_f64_e32 v[173:174], v[173:174], v[175:176]
	v_fma_f64 v[179:180], v[8:9], v[14:15], v[179:180]
	v_fma_f64 v[14:15], v[6:7], v[14:15], -v[16:17]
	ds_load_b128 v[6:9], v1 offset:1792
	s_wait_loadcnt_dscnt 0x801
	v_mul_f64_e32 v[175:176], v[2:3], v[20:21]
	v_mul_f64_e32 v[20:21], v[4:5], v[20:21]
	v_add_f64_e32 v[16:17], v[171:172], v[183:184]
	v_add_f64_e32 v[171:172], v[173:174], v[177:178]
	s_wait_loadcnt_dscnt 0x700
	v_mul_f64_e32 v[173:174], v[6:7], v[24:25]
	v_mul_f64_e32 v[24:25], v[8:9], v[24:25]
	v_fma_f64 v[175:176], v[4:5], v[18:19], v[175:176]
	v_fma_f64 v[18:19], v[2:3], v[18:19], -v[20:21]
	ds_load_b128 v[2:5], v1 offset:1808
	v_add_f64_e32 v[14:15], v[16:17], v[14:15]
	v_add_f64_e32 v[16:17], v[171:172], v[179:180]
	v_fma_f64 v[171:172], v[8:9], v[22:23], v[173:174]
	v_fma_f64 v[22:23], v[6:7], v[22:23], -v[24:25]
	ds_load_b128 v[6:9], v1 offset:1824
	s_wait_loadcnt_dscnt 0x500
	v_mul_f64_e32 v[173:174], v[6:7], v[32:33]
	v_mul_f64_e32 v[32:33], v[8:9], v[32:33]
	v_add_f64_e32 v[18:19], v[14:15], v[18:19]
	v_add_f64_e32 v[24:25], v[16:17], v[175:176]
	scratch_load_b128 v[14:17], off, off offset:272
	v_mul_f64_e32 v[20:21], v[2:3], v[28:29]
	v_mul_f64_e32 v[28:29], v[4:5], v[28:29]
	v_add_f64_e32 v[18:19], v[18:19], v[22:23]
	v_add_f64_e32 v[22:23], v[24:25], v[171:172]
	s_delay_alu instid0(VALU_DEP_4) | instskip(NEXT) | instid1(VALU_DEP_4)
	v_fma_f64 v[20:21], v[4:5], v[26:27], v[20:21]
	v_fma_f64 v[26:27], v[2:3], v[26:27], -v[28:29]
	ds_load_b128 v[2:5], v1 offset:1840
	s_wait_loadcnt_dscnt 0x500
	v_mul_f64_e32 v[24:25], v[2:3], v[36:37]
	v_mul_f64_e32 v[28:29], v[4:5], v[36:37]
	v_fma_f64 v[36:37], v[8:9], v[30:31], v[173:174]
	v_fma_f64 v[30:31], v[6:7], v[30:31], -v[32:33]
	ds_load_b128 v[6:9], v1 offset:1856
	v_add_f64_e32 v[20:21], v[22:23], v[20:21]
	v_add_f64_e32 v[18:19], v[18:19], v[26:27]
	v_fma_f64 v[24:25], v[4:5], v[34:35], v[24:25]
	v_fma_f64 v[28:29], v[2:3], v[34:35], -v[28:29]
	ds_load_b128 v[2:5], v1 offset:1872
	s_wait_loadcnt_dscnt 0x401
	v_mul_f64_e32 v[22:23], v[6:7], v[169:170]
	v_mul_f64_e32 v[26:27], v[8:9], v[169:170]
	v_add_f64_e32 v[20:21], v[20:21], v[36:37]
	v_add_f64_e32 v[18:19], v[18:19], v[30:31]
	s_wait_loadcnt_dscnt 0x300
	v_mul_f64_e32 v[30:31], v[2:3], v[40:41]
	v_mul_f64_e32 v[32:33], v[4:5], v[40:41]
	v_fma_f64 v[22:23], v[8:9], v[167:168], v[22:23]
	v_fma_f64 v[26:27], v[6:7], v[167:168], -v[26:27]
	ds_load_b128 v[6:9], v1 offset:1888
	v_add_f64_e32 v[20:21], v[20:21], v[24:25]
	v_add_f64_e32 v[18:19], v[18:19], v[28:29]
	v_fma_f64 v[30:31], v[4:5], v[38:39], v[30:31]
	v_fma_f64 v[32:33], v[2:3], v[38:39], -v[32:33]
	ds_load_b128 v[2:5], v1 offset:1904
	s_wait_loadcnt_dscnt 0x201
	v_mul_f64_e32 v[24:25], v[6:7], v[165:166]
	v_mul_f64_e32 v[28:29], v[8:9], v[165:166]
	v_add_f64_e32 v[20:21], v[20:21], v[22:23]
	v_add_f64_e32 v[18:19], v[18:19], v[26:27]
	s_wait_loadcnt_dscnt 0x100
	v_mul_f64_e32 v[22:23], v[2:3], v[12:13]
	v_mul_f64_e32 v[12:13], v[4:5], v[12:13]
	v_fma_f64 v[8:9], v[8:9], v[163:164], v[24:25]
	v_fma_f64 v[6:7], v[6:7], v[163:164], -v[28:29]
	v_add_f64_e32 v[20:21], v[20:21], v[30:31]
	v_add_f64_e32 v[18:19], v[18:19], v[32:33]
	v_fma_f64 v[4:5], v[4:5], v[10:11], v[22:23]
	v_fma_f64 v[2:3], v[2:3], v[10:11], -v[12:13]
	s_delay_alu instid0(VALU_DEP_4) | instskip(NEXT) | instid1(VALU_DEP_4)
	v_add_f64_e32 v[8:9], v[20:21], v[8:9]
	v_add_f64_e32 v[6:7], v[18:19], v[6:7]
	s_delay_alu instid0(VALU_DEP_2) | instskip(NEXT) | instid1(VALU_DEP_2)
	v_add_f64_e32 v[4:5], v[8:9], v[4:5]
	v_add_f64_e32 v[2:3], v[6:7], v[2:3]
	s_wait_loadcnt 0x0
	s_delay_alu instid0(VALU_DEP_2) | instskip(NEXT) | instid1(VALU_DEP_2)
	v_add_f64_e64 v[4:5], v[16:17], -v[4:5]
	v_add_f64_e64 v[2:3], v[14:15], -v[2:3]
	scratch_store_b128 off, v[2:5], off offset:272
	v_cmpx_lt_u32_e32 15, v0
	s_cbranch_execz .LBB59_343
; %bb.342:
	scratch_load_b128 v[5:8], off, s54
	v_dual_mov_b32 v2, v1 :: v_dual_mov_b32 v3, v1
	v_mov_b32_e32 v4, v1
	scratch_store_b128 off, v[1:4], off offset:256
	s_wait_loadcnt 0x0
	ds_store_b128 v162, v[5:8]
.LBB59_343:
	s_wait_alu 0xfffe
	s_or_b32 exec_lo, exec_lo, s0
	s_wait_storecnt_dscnt 0x0
	s_barrier_signal -1
	s_barrier_wait -1
	global_inv scope:SCOPE_SE
	s_clause 0x7
	scratch_load_b128 v[2:5], off, off offset:272
	scratch_load_b128 v[6:9], off, off offset:288
	scratch_load_b128 v[10:13], off, off offset:304
	scratch_load_b128 v[14:17], off, off offset:320
	scratch_load_b128 v[18:21], off, off offset:336
	scratch_load_b128 v[22:25], off, off offset:352
	scratch_load_b128 v[26:29], off, off offset:368
	scratch_load_b128 v[30:33], off, off offset:384
	ds_load_b128 v[38:41], v1 offset:1216
	ds_load_b128 v[163:166], v1 offset:1232
	s_clause 0x1
	scratch_load_b128 v[34:37], off, off offset:400
	scratch_load_b128 v[167:170], off, off offset:416
	s_mov_b32 s0, exec_lo
	s_wait_loadcnt_dscnt 0x901
	v_mul_f64_e32 v[171:172], v[40:41], v[4:5]
	v_mul_f64_e32 v[4:5], v[38:39], v[4:5]
	s_wait_loadcnt_dscnt 0x800
	v_mul_f64_e32 v[173:174], v[163:164], v[8:9]
	v_mul_f64_e32 v[8:9], v[165:166], v[8:9]
	s_delay_alu instid0(VALU_DEP_4) | instskip(NEXT) | instid1(VALU_DEP_4)
	v_fma_f64 v[171:172], v[38:39], v[2:3], -v[171:172]
	v_fma_f64 v[175:176], v[40:41], v[2:3], v[4:5]
	ds_load_b128 v[2:5], v1 offset:1248
	scratch_load_b128 v[38:41], off, off offset:432
	v_fma_f64 v[173:174], v[165:166], v[6:7], v[173:174]
	v_fma_f64 v[179:180], v[163:164], v[6:7], -v[8:9]
	ds_load_b128 v[6:9], v1 offset:1264
	scratch_load_b128 v[163:166], off, off offset:448
	s_wait_loadcnt_dscnt 0x901
	v_mul_f64_e32 v[177:178], v[2:3], v[12:13]
	v_mul_f64_e32 v[12:13], v[4:5], v[12:13]
	s_wait_loadcnt_dscnt 0x800
	v_mul_f64_e32 v[181:182], v[6:7], v[16:17]
	v_mul_f64_e32 v[16:17], v[8:9], v[16:17]
	v_add_f64_e32 v[171:172], 0, v[171:172]
	v_add_f64_e32 v[175:176], 0, v[175:176]
	v_fma_f64 v[177:178], v[4:5], v[10:11], v[177:178]
	v_fma_f64 v[183:184], v[2:3], v[10:11], -v[12:13]
	ds_load_b128 v[2:5], v1 offset:1280
	scratch_load_b128 v[10:13], off, off offset:464
	v_add_f64_e32 v[171:172], v[171:172], v[179:180]
	v_add_f64_e32 v[173:174], v[175:176], v[173:174]
	v_fma_f64 v[179:180], v[8:9], v[14:15], v[181:182]
	v_fma_f64 v[181:182], v[6:7], v[14:15], -v[16:17]
	ds_load_b128 v[6:9], v1 offset:1296
	scratch_load_b128 v[14:17], off, off offset:480
	s_wait_loadcnt_dscnt 0x901
	v_mul_f64_e32 v[175:176], v[2:3], v[20:21]
	v_mul_f64_e32 v[20:21], v[4:5], v[20:21]
	v_add_f64_e32 v[171:172], v[171:172], v[183:184]
	v_add_f64_e32 v[173:174], v[173:174], v[177:178]
	s_wait_loadcnt_dscnt 0x800
	v_mul_f64_e32 v[177:178], v[6:7], v[24:25]
	v_mul_f64_e32 v[24:25], v[8:9], v[24:25]
	v_fma_f64 v[175:176], v[4:5], v[18:19], v[175:176]
	v_fma_f64 v[183:184], v[2:3], v[18:19], -v[20:21]
	ds_load_b128 v[2:5], v1 offset:1312
	scratch_load_b128 v[18:21], off, off offset:496
	v_add_f64_e32 v[171:172], v[171:172], v[181:182]
	v_add_f64_e32 v[173:174], v[173:174], v[179:180]
	v_fma_f64 v[177:178], v[8:9], v[22:23], v[177:178]
	v_fma_f64 v[181:182], v[6:7], v[22:23], -v[24:25]
	ds_load_b128 v[6:9], v1 offset:1328
	s_wait_loadcnt_dscnt 0x801
	v_mul_f64_e32 v[179:180], v[2:3], v[28:29]
	v_mul_f64_e32 v[28:29], v[4:5], v[28:29]
	scratch_load_b128 v[22:25], off, off offset:512
	v_add_f64_e32 v[171:172], v[171:172], v[183:184]
	v_add_f64_e32 v[173:174], v[173:174], v[175:176]
	s_wait_loadcnt_dscnt 0x800
	v_mul_f64_e32 v[175:176], v[6:7], v[32:33]
	v_mul_f64_e32 v[32:33], v[8:9], v[32:33]
	v_fma_f64 v[179:180], v[4:5], v[26:27], v[179:180]
	v_fma_f64 v[183:184], v[2:3], v[26:27], -v[28:29]
	ds_load_b128 v[2:5], v1 offset:1344
	scratch_load_b128 v[26:29], off, off offset:528
	v_add_f64_e32 v[171:172], v[171:172], v[181:182]
	v_add_f64_e32 v[173:174], v[173:174], v[177:178]
	v_fma_f64 v[175:176], v[8:9], v[30:31], v[175:176]
	v_fma_f64 v[181:182], v[6:7], v[30:31], -v[32:33]
	ds_load_b128 v[6:9], v1 offset:1360
	s_wait_loadcnt_dscnt 0x801
	v_mul_f64_e32 v[177:178], v[2:3], v[36:37]
	v_mul_f64_e32 v[36:37], v[4:5], v[36:37]
	scratch_load_b128 v[30:33], off, off offset:544
	v_add_f64_e32 v[171:172], v[171:172], v[183:184]
	v_add_f64_e32 v[173:174], v[173:174], v[179:180]
	s_wait_loadcnt_dscnt 0x800
	v_mul_f64_e32 v[179:180], v[6:7], v[169:170]
	v_mul_f64_e32 v[169:170], v[8:9], v[169:170]
	v_fma_f64 v[177:178], v[4:5], v[34:35], v[177:178]
	v_fma_f64 v[183:184], v[2:3], v[34:35], -v[36:37]
	ds_load_b128 v[2:5], v1 offset:1376
	scratch_load_b128 v[34:37], off, off offset:560
	v_add_f64_e32 v[171:172], v[171:172], v[181:182]
	v_add_f64_e32 v[173:174], v[173:174], v[175:176]
	v_fma_f64 v[179:180], v[8:9], v[167:168], v[179:180]
	v_fma_f64 v[181:182], v[6:7], v[167:168], -v[169:170]
	ds_load_b128 v[6:9], v1 offset:1392
	scratch_load_b128 v[167:170], off, off offset:576
	s_wait_loadcnt_dscnt 0x901
	v_mul_f64_e32 v[175:176], v[2:3], v[40:41]
	v_mul_f64_e32 v[40:41], v[4:5], v[40:41]
	v_add_f64_e32 v[171:172], v[171:172], v[183:184]
	v_add_f64_e32 v[173:174], v[173:174], v[177:178]
	s_wait_loadcnt_dscnt 0x800
	v_mul_f64_e32 v[177:178], v[6:7], v[165:166]
	v_mul_f64_e32 v[165:166], v[8:9], v[165:166]
	v_fma_f64 v[175:176], v[4:5], v[38:39], v[175:176]
	v_fma_f64 v[183:184], v[2:3], v[38:39], -v[40:41]
	ds_load_b128 v[2:5], v1 offset:1408
	scratch_load_b128 v[38:41], off, off offset:592
	v_add_f64_e32 v[171:172], v[171:172], v[181:182]
	v_add_f64_e32 v[173:174], v[173:174], v[179:180]
	v_fma_f64 v[177:178], v[8:9], v[163:164], v[177:178]
	v_fma_f64 v[181:182], v[6:7], v[163:164], -v[165:166]
	ds_load_b128 v[6:9], v1 offset:1424
	s_wait_loadcnt_dscnt 0x801
	v_mul_f64_e32 v[179:180], v[2:3], v[12:13]
	v_mul_f64_e32 v[12:13], v[4:5], v[12:13]
	scratch_load_b128 v[163:166], off, off offset:608
	v_add_f64_e32 v[171:172], v[171:172], v[183:184]
	v_add_f64_e32 v[173:174], v[173:174], v[175:176]
	s_wait_loadcnt_dscnt 0x800
	v_mul_f64_e32 v[175:176], v[6:7], v[16:17]
	v_mul_f64_e32 v[16:17], v[8:9], v[16:17]
	v_fma_f64 v[179:180], v[4:5], v[10:11], v[179:180]
	v_fma_f64 v[183:184], v[2:3], v[10:11], -v[12:13]
	ds_load_b128 v[2:5], v1 offset:1440
	scratch_load_b128 v[10:13], off, off offset:624
	v_add_f64_e32 v[171:172], v[171:172], v[181:182]
	v_add_f64_e32 v[173:174], v[173:174], v[177:178]
	v_fma_f64 v[175:176], v[8:9], v[14:15], v[175:176]
	v_fma_f64 v[181:182], v[6:7], v[14:15], -v[16:17]
	ds_load_b128 v[6:9], v1 offset:1456
	s_wait_loadcnt_dscnt 0x801
	v_mul_f64_e32 v[177:178], v[2:3], v[20:21]
	v_mul_f64_e32 v[20:21], v[4:5], v[20:21]
	scratch_load_b128 v[14:17], off, off offset:640
	;; [unrolled: 18-line block ×12, first 2 shown]
	v_add_f64_e32 v[171:172], v[171:172], v[183:184]
	v_add_f64_e32 v[173:174], v[173:174], v[177:178]
	s_wait_loadcnt_dscnt 0x800
	v_mul_f64_e32 v[177:178], v[6:7], v[24:25]
	v_mul_f64_e32 v[24:25], v[8:9], v[24:25]
	v_fma_f64 v[175:176], v[4:5], v[18:19], v[175:176]
	v_fma_f64 v[18:19], v[2:3], v[18:19], -v[20:21]
	ds_load_b128 v[2:5], v1 offset:1792
	v_add_f64_e32 v[20:21], v[171:172], v[181:182]
	v_add_f64_e32 v[171:172], v[173:174], v[179:180]
	v_fma_f64 v[177:178], v[8:9], v[22:23], v[177:178]
	v_fma_f64 v[22:23], v[6:7], v[22:23], -v[24:25]
	ds_load_b128 v[6:9], v1 offset:1808
	s_wait_loadcnt_dscnt 0x701
	v_mul_f64_e32 v[173:174], v[2:3], v[28:29]
	v_mul_f64_e32 v[28:29], v[4:5], v[28:29]
	v_add_f64_e32 v[18:19], v[20:21], v[18:19]
	v_add_f64_e32 v[20:21], v[171:172], v[175:176]
	s_delay_alu instid0(VALU_DEP_4) | instskip(NEXT) | instid1(VALU_DEP_4)
	v_fma_f64 v[171:172], v[4:5], v[26:27], v[173:174]
	v_fma_f64 v[26:27], v[2:3], v[26:27], -v[28:29]
	ds_load_b128 v[2:5], v1 offset:1824
	v_add_f64_e32 v[22:23], v[18:19], v[22:23]
	v_add_f64_e32 v[28:29], v[20:21], v[177:178]
	scratch_load_b128 v[18:21], off, off offset:256
	s_wait_loadcnt_dscnt 0x701
	v_mul_f64_e32 v[24:25], v[6:7], v[32:33]
	v_mul_f64_e32 v[32:33], v[8:9], v[32:33]
	v_add_f64_e32 v[22:23], v[22:23], v[26:27]
	v_add_f64_e32 v[26:27], v[28:29], v[171:172]
	s_delay_alu instid0(VALU_DEP_4) | instskip(NEXT) | instid1(VALU_DEP_4)
	v_fma_f64 v[24:25], v[8:9], v[30:31], v[24:25]
	v_fma_f64 v[30:31], v[6:7], v[30:31], -v[32:33]
	ds_load_b128 v[6:9], v1 offset:1840
	s_wait_loadcnt_dscnt 0x601
	v_mul_f64_e32 v[173:174], v[2:3], v[36:37]
	v_mul_f64_e32 v[36:37], v[4:5], v[36:37]
	s_wait_loadcnt_dscnt 0x500
	v_mul_f64_e32 v[28:29], v[6:7], v[169:170]
	v_mul_f64_e32 v[32:33], v[8:9], v[169:170]
	v_add_f64_e32 v[24:25], v[26:27], v[24:25]
	v_add_f64_e32 v[22:23], v[22:23], v[30:31]
	v_fma_f64 v[169:170], v[4:5], v[34:35], v[173:174]
	v_fma_f64 v[34:35], v[2:3], v[34:35], -v[36:37]
	ds_load_b128 v[2:5], v1 offset:1856
	v_fma_f64 v[28:29], v[8:9], v[167:168], v[28:29]
	v_fma_f64 v[32:33], v[6:7], v[167:168], -v[32:33]
	ds_load_b128 v[6:9], v1 offset:1872
	s_wait_loadcnt_dscnt 0x401
	v_mul_f64_e32 v[26:27], v[2:3], v[40:41]
	v_mul_f64_e32 v[30:31], v[4:5], v[40:41]
	v_add_f64_e32 v[24:25], v[24:25], v[169:170]
	v_add_f64_e32 v[22:23], v[22:23], v[34:35]
	s_wait_loadcnt_dscnt 0x300
	v_mul_f64_e32 v[34:35], v[6:7], v[165:166]
	v_mul_f64_e32 v[36:37], v[8:9], v[165:166]
	v_fma_f64 v[26:27], v[4:5], v[38:39], v[26:27]
	v_fma_f64 v[30:31], v[2:3], v[38:39], -v[30:31]
	ds_load_b128 v[2:5], v1 offset:1888
	v_add_f64_e32 v[24:25], v[24:25], v[28:29]
	v_add_f64_e32 v[22:23], v[22:23], v[32:33]
	v_fma_f64 v[32:33], v[8:9], v[163:164], v[34:35]
	v_fma_f64 v[34:35], v[6:7], v[163:164], -v[36:37]
	ds_load_b128 v[6:9], v1 offset:1904
	s_wait_loadcnt_dscnt 0x201
	v_mul_f64_e32 v[28:29], v[2:3], v[12:13]
	v_mul_f64_e32 v[12:13], v[4:5], v[12:13]
	v_add_f64_e32 v[24:25], v[24:25], v[26:27]
	v_add_f64_e32 v[22:23], v[22:23], v[30:31]
	s_wait_loadcnt_dscnt 0x100
	v_mul_f64_e32 v[26:27], v[6:7], v[16:17]
	v_mul_f64_e32 v[16:17], v[8:9], v[16:17]
	v_fma_f64 v[4:5], v[4:5], v[10:11], v[28:29]
	v_fma_f64 v[1:2], v[2:3], v[10:11], -v[12:13]
	v_add_f64_e32 v[12:13], v[24:25], v[32:33]
	v_add_f64_e32 v[10:11], v[22:23], v[34:35]
	v_fma_f64 v[8:9], v[8:9], v[14:15], v[26:27]
	v_fma_f64 v[6:7], v[6:7], v[14:15], -v[16:17]
	s_delay_alu instid0(VALU_DEP_4) | instskip(NEXT) | instid1(VALU_DEP_4)
	v_add_f64_e32 v[3:4], v[12:13], v[4:5]
	v_add_f64_e32 v[1:2], v[10:11], v[1:2]
	s_delay_alu instid0(VALU_DEP_2) | instskip(NEXT) | instid1(VALU_DEP_2)
	v_add_f64_e32 v[3:4], v[3:4], v[8:9]
	v_add_f64_e32 v[1:2], v[1:2], v[6:7]
	s_wait_loadcnt 0x0
	s_delay_alu instid0(VALU_DEP_2) | instskip(NEXT) | instid1(VALU_DEP_2)
	v_add_f64_e64 v[3:4], v[20:21], -v[3:4]
	v_add_f64_e64 v[1:2], v[18:19], -v[1:2]
	scratch_store_b128 off, v[1:4], off offset:256
	v_cmpx_lt_u32_e32 14, v0
	s_cbranch_execz .LBB59_345
; %bb.344:
	scratch_load_b128 v[1:4], off, s59
	v_mov_b32_e32 v5, 0
	s_delay_alu instid0(VALU_DEP_1)
	v_dual_mov_b32 v6, v5 :: v_dual_mov_b32 v7, v5
	v_mov_b32_e32 v8, v5
	scratch_store_b128 off, v[5:8], off offset:240
	s_wait_loadcnt 0x0
	ds_store_b128 v162, v[1:4]
.LBB59_345:
	s_wait_alu 0xfffe
	s_or_b32 exec_lo, exec_lo, s0
	s_wait_storecnt_dscnt 0x0
	s_barrier_signal -1
	s_barrier_wait -1
	global_inv scope:SCOPE_SE
	s_clause 0x7
	scratch_load_b128 v[2:5], off, off offset:256
	scratch_load_b128 v[6:9], off, off offset:272
	;; [unrolled: 1-line block ×8, first 2 shown]
	v_mov_b32_e32 v1, 0
	s_clause 0x1
	scratch_load_b128 v[34:37], off, off offset:384
	scratch_load_b128 v[167:170], off, off offset:400
	s_mov_b32 s0, exec_lo
	ds_load_b128 v[38:41], v1 offset:1200
	ds_load_b128 v[163:166], v1 offset:1216
	s_wait_loadcnt_dscnt 0x901
	v_mul_f64_e32 v[171:172], v[40:41], v[4:5]
	v_mul_f64_e32 v[4:5], v[38:39], v[4:5]
	s_wait_loadcnt_dscnt 0x800
	v_mul_f64_e32 v[173:174], v[163:164], v[8:9]
	v_mul_f64_e32 v[8:9], v[165:166], v[8:9]
	s_delay_alu instid0(VALU_DEP_4) | instskip(NEXT) | instid1(VALU_DEP_4)
	v_fma_f64 v[171:172], v[38:39], v[2:3], -v[171:172]
	v_fma_f64 v[175:176], v[40:41], v[2:3], v[4:5]
	ds_load_b128 v[2:5], v1 offset:1232
	scratch_load_b128 v[38:41], off, off offset:416
	v_fma_f64 v[173:174], v[165:166], v[6:7], v[173:174]
	v_fma_f64 v[179:180], v[163:164], v[6:7], -v[8:9]
	ds_load_b128 v[6:9], v1 offset:1248
	scratch_load_b128 v[163:166], off, off offset:432
	s_wait_loadcnt_dscnt 0x901
	v_mul_f64_e32 v[177:178], v[2:3], v[12:13]
	v_mul_f64_e32 v[12:13], v[4:5], v[12:13]
	s_wait_loadcnt_dscnt 0x800
	v_mul_f64_e32 v[181:182], v[6:7], v[16:17]
	v_mul_f64_e32 v[16:17], v[8:9], v[16:17]
	v_add_f64_e32 v[171:172], 0, v[171:172]
	v_add_f64_e32 v[175:176], 0, v[175:176]
	v_fma_f64 v[177:178], v[4:5], v[10:11], v[177:178]
	v_fma_f64 v[183:184], v[2:3], v[10:11], -v[12:13]
	ds_load_b128 v[2:5], v1 offset:1264
	scratch_load_b128 v[10:13], off, off offset:448
	v_add_f64_e32 v[171:172], v[171:172], v[179:180]
	v_add_f64_e32 v[173:174], v[175:176], v[173:174]
	v_fma_f64 v[179:180], v[8:9], v[14:15], v[181:182]
	v_fma_f64 v[181:182], v[6:7], v[14:15], -v[16:17]
	ds_load_b128 v[6:9], v1 offset:1280
	scratch_load_b128 v[14:17], off, off offset:464
	s_wait_loadcnt_dscnt 0x901
	v_mul_f64_e32 v[175:176], v[2:3], v[20:21]
	v_mul_f64_e32 v[20:21], v[4:5], v[20:21]
	v_add_f64_e32 v[171:172], v[171:172], v[183:184]
	v_add_f64_e32 v[173:174], v[173:174], v[177:178]
	s_wait_loadcnt_dscnt 0x800
	v_mul_f64_e32 v[177:178], v[6:7], v[24:25]
	v_mul_f64_e32 v[24:25], v[8:9], v[24:25]
	v_fma_f64 v[175:176], v[4:5], v[18:19], v[175:176]
	v_fma_f64 v[183:184], v[2:3], v[18:19], -v[20:21]
	ds_load_b128 v[2:5], v1 offset:1296
	scratch_load_b128 v[18:21], off, off offset:480
	v_add_f64_e32 v[171:172], v[171:172], v[181:182]
	v_add_f64_e32 v[173:174], v[173:174], v[179:180]
	v_fma_f64 v[177:178], v[8:9], v[22:23], v[177:178]
	v_fma_f64 v[181:182], v[6:7], v[22:23], -v[24:25]
	ds_load_b128 v[6:9], v1 offset:1312
	s_wait_loadcnt_dscnt 0x801
	v_mul_f64_e32 v[179:180], v[2:3], v[28:29]
	v_mul_f64_e32 v[28:29], v[4:5], v[28:29]
	scratch_load_b128 v[22:25], off, off offset:496
	v_add_f64_e32 v[171:172], v[171:172], v[183:184]
	v_add_f64_e32 v[173:174], v[173:174], v[175:176]
	s_wait_loadcnt_dscnt 0x800
	v_mul_f64_e32 v[175:176], v[6:7], v[32:33]
	v_mul_f64_e32 v[32:33], v[8:9], v[32:33]
	v_fma_f64 v[179:180], v[4:5], v[26:27], v[179:180]
	v_fma_f64 v[183:184], v[2:3], v[26:27], -v[28:29]
	ds_load_b128 v[2:5], v1 offset:1328
	scratch_load_b128 v[26:29], off, off offset:512
	v_add_f64_e32 v[171:172], v[171:172], v[181:182]
	v_add_f64_e32 v[173:174], v[173:174], v[177:178]
	v_fma_f64 v[175:176], v[8:9], v[30:31], v[175:176]
	v_fma_f64 v[181:182], v[6:7], v[30:31], -v[32:33]
	ds_load_b128 v[6:9], v1 offset:1344
	s_wait_loadcnt_dscnt 0x801
	v_mul_f64_e32 v[177:178], v[2:3], v[36:37]
	v_mul_f64_e32 v[36:37], v[4:5], v[36:37]
	scratch_load_b128 v[30:33], off, off offset:528
	v_add_f64_e32 v[171:172], v[171:172], v[183:184]
	v_add_f64_e32 v[173:174], v[173:174], v[179:180]
	s_wait_loadcnt_dscnt 0x800
	v_mul_f64_e32 v[179:180], v[6:7], v[169:170]
	v_mul_f64_e32 v[169:170], v[8:9], v[169:170]
	v_fma_f64 v[177:178], v[4:5], v[34:35], v[177:178]
	v_fma_f64 v[183:184], v[2:3], v[34:35], -v[36:37]
	ds_load_b128 v[2:5], v1 offset:1360
	scratch_load_b128 v[34:37], off, off offset:544
	v_add_f64_e32 v[171:172], v[171:172], v[181:182]
	v_add_f64_e32 v[173:174], v[173:174], v[175:176]
	v_fma_f64 v[179:180], v[8:9], v[167:168], v[179:180]
	v_fma_f64 v[181:182], v[6:7], v[167:168], -v[169:170]
	ds_load_b128 v[6:9], v1 offset:1376
	scratch_load_b128 v[167:170], off, off offset:560
	s_wait_loadcnt_dscnt 0x901
	v_mul_f64_e32 v[175:176], v[2:3], v[40:41]
	v_mul_f64_e32 v[40:41], v[4:5], v[40:41]
	v_add_f64_e32 v[171:172], v[171:172], v[183:184]
	v_add_f64_e32 v[173:174], v[173:174], v[177:178]
	s_wait_loadcnt_dscnt 0x800
	v_mul_f64_e32 v[177:178], v[6:7], v[165:166]
	v_mul_f64_e32 v[165:166], v[8:9], v[165:166]
	v_fma_f64 v[175:176], v[4:5], v[38:39], v[175:176]
	v_fma_f64 v[183:184], v[2:3], v[38:39], -v[40:41]
	ds_load_b128 v[2:5], v1 offset:1392
	scratch_load_b128 v[38:41], off, off offset:576
	v_add_f64_e32 v[171:172], v[171:172], v[181:182]
	v_add_f64_e32 v[173:174], v[173:174], v[179:180]
	v_fma_f64 v[177:178], v[8:9], v[163:164], v[177:178]
	v_fma_f64 v[181:182], v[6:7], v[163:164], -v[165:166]
	ds_load_b128 v[6:9], v1 offset:1408
	s_wait_loadcnt_dscnt 0x801
	v_mul_f64_e32 v[179:180], v[2:3], v[12:13]
	v_mul_f64_e32 v[12:13], v[4:5], v[12:13]
	scratch_load_b128 v[163:166], off, off offset:592
	v_add_f64_e32 v[171:172], v[171:172], v[183:184]
	v_add_f64_e32 v[173:174], v[173:174], v[175:176]
	s_wait_loadcnt_dscnt 0x800
	v_mul_f64_e32 v[175:176], v[6:7], v[16:17]
	v_mul_f64_e32 v[16:17], v[8:9], v[16:17]
	v_fma_f64 v[179:180], v[4:5], v[10:11], v[179:180]
	v_fma_f64 v[183:184], v[2:3], v[10:11], -v[12:13]
	ds_load_b128 v[2:5], v1 offset:1424
	scratch_load_b128 v[10:13], off, off offset:608
	v_add_f64_e32 v[171:172], v[171:172], v[181:182]
	v_add_f64_e32 v[173:174], v[173:174], v[177:178]
	v_fma_f64 v[175:176], v[8:9], v[14:15], v[175:176]
	v_fma_f64 v[181:182], v[6:7], v[14:15], -v[16:17]
	ds_load_b128 v[6:9], v1 offset:1440
	s_wait_loadcnt_dscnt 0x801
	v_mul_f64_e32 v[177:178], v[2:3], v[20:21]
	v_mul_f64_e32 v[20:21], v[4:5], v[20:21]
	scratch_load_b128 v[14:17], off, off offset:624
	;; [unrolled: 18-line block ×12, first 2 shown]
	v_add_f64_e32 v[171:172], v[171:172], v[183:184]
	v_add_f64_e32 v[173:174], v[173:174], v[177:178]
	s_wait_loadcnt_dscnt 0x800
	v_mul_f64_e32 v[177:178], v[6:7], v[24:25]
	v_mul_f64_e32 v[24:25], v[8:9], v[24:25]
	v_fma_f64 v[175:176], v[4:5], v[18:19], v[175:176]
	v_fma_f64 v[183:184], v[2:3], v[18:19], -v[20:21]
	ds_load_b128 v[2:5], v1 offset:1776
	scratch_load_b128 v[18:21], off, off offset:960
	v_add_f64_e32 v[171:172], v[171:172], v[181:182]
	v_add_f64_e32 v[173:174], v[173:174], v[179:180]
	v_fma_f64 v[177:178], v[8:9], v[22:23], v[177:178]
	v_fma_f64 v[22:23], v[6:7], v[22:23], -v[24:25]
	ds_load_b128 v[6:9], v1 offset:1792
	s_wait_loadcnt_dscnt 0x801
	v_mul_f64_e32 v[179:180], v[2:3], v[28:29]
	v_mul_f64_e32 v[28:29], v[4:5], v[28:29]
	v_add_f64_e32 v[24:25], v[171:172], v[183:184]
	v_add_f64_e32 v[171:172], v[173:174], v[175:176]
	s_wait_loadcnt_dscnt 0x700
	v_mul_f64_e32 v[173:174], v[6:7], v[32:33]
	v_mul_f64_e32 v[32:33], v[8:9], v[32:33]
	v_fma_f64 v[175:176], v[4:5], v[26:27], v[179:180]
	v_fma_f64 v[26:27], v[2:3], v[26:27], -v[28:29]
	ds_load_b128 v[2:5], v1 offset:1808
	v_add_f64_e32 v[22:23], v[24:25], v[22:23]
	v_add_f64_e32 v[24:25], v[171:172], v[177:178]
	v_fma_f64 v[171:172], v[8:9], v[30:31], v[173:174]
	v_fma_f64 v[30:31], v[6:7], v[30:31], -v[32:33]
	ds_load_b128 v[6:9], v1 offset:1824
	s_wait_loadcnt_dscnt 0x500
	v_mul_f64_e32 v[173:174], v[6:7], v[169:170]
	v_mul_f64_e32 v[169:170], v[8:9], v[169:170]
	v_add_f64_e32 v[26:27], v[22:23], v[26:27]
	v_add_f64_e32 v[32:33], v[24:25], v[175:176]
	scratch_load_b128 v[22:25], off, off offset:240
	v_mul_f64_e32 v[28:29], v[2:3], v[36:37]
	v_mul_f64_e32 v[36:37], v[4:5], v[36:37]
	v_add_f64_e32 v[26:27], v[26:27], v[30:31]
	v_add_f64_e32 v[30:31], v[32:33], v[171:172]
	s_delay_alu instid0(VALU_DEP_4) | instskip(NEXT) | instid1(VALU_DEP_4)
	v_fma_f64 v[28:29], v[4:5], v[34:35], v[28:29]
	v_fma_f64 v[34:35], v[2:3], v[34:35], -v[36:37]
	ds_load_b128 v[2:5], v1 offset:1840
	s_wait_loadcnt_dscnt 0x500
	v_mul_f64_e32 v[32:33], v[2:3], v[40:41]
	v_mul_f64_e32 v[36:37], v[4:5], v[40:41]
	v_fma_f64 v[40:41], v[8:9], v[167:168], v[173:174]
	v_fma_f64 v[167:168], v[6:7], v[167:168], -v[169:170]
	ds_load_b128 v[6:9], v1 offset:1856
	v_add_f64_e32 v[28:29], v[30:31], v[28:29]
	v_add_f64_e32 v[26:27], v[26:27], v[34:35]
	v_fma_f64 v[32:33], v[4:5], v[38:39], v[32:33]
	v_fma_f64 v[36:37], v[2:3], v[38:39], -v[36:37]
	ds_load_b128 v[2:5], v1 offset:1872
	s_wait_loadcnt_dscnt 0x401
	v_mul_f64_e32 v[30:31], v[6:7], v[165:166]
	v_mul_f64_e32 v[34:35], v[8:9], v[165:166]
	v_add_f64_e32 v[28:29], v[28:29], v[40:41]
	v_add_f64_e32 v[26:27], v[26:27], v[167:168]
	s_wait_loadcnt_dscnt 0x300
	v_mul_f64_e32 v[38:39], v[2:3], v[12:13]
	v_mul_f64_e32 v[12:13], v[4:5], v[12:13]
	v_fma_f64 v[30:31], v[8:9], v[163:164], v[30:31]
	v_fma_f64 v[34:35], v[6:7], v[163:164], -v[34:35]
	ds_load_b128 v[6:9], v1 offset:1888
	v_add_f64_e32 v[28:29], v[28:29], v[32:33]
	v_add_f64_e32 v[26:27], v[26:27], v[36:37]
	v_fma_f64 v[36:37], v[4:5], v[10:11], v[38:39]
	v_fma_f64 v[10:11], v[2:3], v[10:11], -v[12:13]
	ds_load_b128 v[2:5], v1 offset:1904
	s_wait_loadcnt_dscnt 0x201
	v_mul_f64_e32 v[32:33], v[6:7], v[16:17]
	v_mul_f64_e32 v[16:17], v[8:9], v[16:17]
	v_add_f64_e32 v[12:13], v[26:27], v[34:35]
	v_add_f64_e32 v[26:27], v[28:29], v[30:31]
	s_wait_loadcnt_dscnt 0x100
	v_mul_f64_e32 v[28:29], v[2:3], v[20:21]
	v_mul_f64_e32 v[20:21], v[4:5], v[20:21]
	v_fma_f64 v[8:9], v[8:9], v[14:15], v[32:33]
	v_fma_f64 v[6:7], v[6:7], v[14:15], -v[16:17]
	v_add_f64_e32 v[10:11], v[12:13], v[10:11]
	v_add_f64_e32 v[12:13], v[26:27], v[36:37]
	v_fma_f64 v[4:5], v[4:5], v[18:19], v[28:29]
	v_fma_f64 v[2:3], v[2:3], v[18:19], -v[20:21]
	s_delay_alu instid0(VALU_DEP_4) | instskip(NEXT) | instid1(VALU_DEP_4)
	v_add_f64_e32 v[6:7], v[10:11], v[6:7]
	v_add_f64_e32 v[8:9], v[12:13], v[8:9]
	s_delay_alu instid0(VALU_DEP_2) | instskip(NEXT) | instid1(VALU_DEP_2)
	v_add_f64_e32 v[2:3], v[6:7], v[2:3]
	v_add_f64_e32 v[4:5], v[8:9], v[4:5]
	s_wait_loadcnt 0x0
	s_delay_alu instid0(VALU_DEP_2) | instskip(NEXT) | instid1(VALU_DEP_2)
	v_add_f64_e64 v[2:3], v[22:23], -v[2:3]
	v_add_f64_e64 v[4:5], v[24:25], -v[4:5]
	scratch_store_b128 off, v[2:5], off offset:240
	v_cmpx_lt_u32_e32 13, v0
	s_cbranch_execz .LBB59_347
; %bb.346:
	scratch_load_b128 v[5:8], off, s60
	v_dual_mov_b32 v2, v1 :: v_dual_mov_b32 v3, v1
	v_mov_b32_e32 v4, v1
	scratch_store_b128 off, v[1:4], off offset:224
	s_wait_loadcnt 0x0
	ds_store_b128 v162, v[5:8]
.LBB59_347:
	s_wait_alu 0xfffe
	s_or_b32 exec_lo, exec_lo, s0
	s_wait_storecnt_dscnt 0x0
	s_barrier_signal -1
	s_barrier_wait -1
	global_inv scope:SCOPE_SE
	s_clause 0x7
	scratch_load_b128 v[2:5], off, off offset:240
	scratch_load_b128 v[6:9], off, off offset:256
	;; [unrolled: 1-line block ×8, first 2 shown]
	ds_load_b128 v[38:41], v1 offset:1184
	ds_load_b128 v[163:166], v1 offset:1200
	s_clause 0x1
	scratch_load_b128 v[34:37], off, off offset:368
	scratch_load_b128 v[167:170], off, off offset:384
	s_mov_b32 s0, exec_lo
	s_wait_loadcnt_dscnt 0x901
	v_mul_f64_e32 v[171:172], v[40:41], v[4:5]
	v_mul_f64_e32 v[4:5], v[38:39], v[4:5]
	s_wait_loadcnt_dscnt 0x800
	v_mul_f64_e32 v[173:174], v[163:164], v[8:9]
	v_mul_f64_e32 v[8:9], v[165:166], v[8:9]
	s_delay_alu instid0(VALU_DEP_4) | instskip(NEXT) | instid1(VALU_DEP_4)
	v_fma_f64 v[171:172], v[38:39], v[2:3], -v[171:172]
	v_fma_f64 v[175:176], v[40:41], v[2:3], v[4:5]
	ds_load_b128 v[2:5], v1 offset:1216
	scratch_load_b128 v[38:41], off, off offset:400
	v_fma_f64 v[173:174], v[165:166], v[6:7], v[173:174]
	v_fma_f64 v[179:180], v[163:164], v[6:7], -v[8:9]
	ds_load_b128 v[6:9], v1 offset:1232
	scratch_load_b128 v[163:166], off, off offset:416
	s_wait_loadcnt_dscnt 0x901
	v_mul_f64_e32 v[177:178], v[2:3], v[12:13]
	v_mul_f64_e32 v[12:13], v[4:5], v[12:13]
	s_wait_loadcnt_dscnt 0x800
	v_mul_f64_e32 v[181:182], v[6:7], v[16:17]
	v_mul_f64_e32 v[16:17], v[8:9], v[16:17]
	v_add_f64_e32 v[171:172], 0, v[171:172]
	v_add_f64_e32 v[175:176], 0, v[175:176]
	v_fma_f64 v[177:178], v[4:5], v[10:11], v[177:178]
	v_fma_f64 v[183:184], v[2:3], v[10:11], -v[12:13]
	ds_load_b128 v[2:5], v1 offset:1248
	scratch_load_b128 v[10:13], off, off offset:432
	v_add_f64_e32 v[171:172], v[171:172], v[179:180]
	v_add_f64_e32 v[173:174], v[175:176], v[173:174]
	v_fma_f64 v[179:180], v[8:9], v[14:15], v[181:182]
	v_fma_f64 v[181:182], v[6:7], v[14:15], -v[16:17]
	ds_load_b128 v[6:9], v1 offset:1264
	scratch_load_b128 v[14:17], off, off offset:448
	s_wait_loadcnt_dscnt 0x901
	v_mul_f64_e32 v[175:176], v[2:3], v[20:21]
	v_mul_f64_e32 v[20:21], v[4:5], v[20:21]
	v_add_f64_e32 v[171:172], v[171:172], v[183:184]
	v_add_f64_e32 v[173:174], v[173:174], v[177:178]
	s_wait_loadcnt_dscnt 0x800
	v_mul_f64_e32 v[177:178], v[6:7], v[24:25]
	v_mul_f64_e32 v[24:25], v[8:9], v[24:25]
	v_fma_f64 v[175:176], v[4:5], v[18:19], v[175:176]
	v_fma_f64 v[183:184], v[2:3], v[18:19], -v[20:21]
	ds_load_b128 v[2:5], v1 offset:1280
	scratch_load_b128 v[18:21], off, off offset:464
	v_add_f64_e32 v[171:172], v[171:172], v[181:182]
	v_add_f64_e32 v[173:174], v[173:174], v[179:180]
	v_fma_f64 v[177:178], v[8:9], v[22:23], v[177:178]
	v_fma_f64 v[181:182], v[6:7], v[22:23], -v[24:25]
	ds_load_b128 v[6:9], v1 offset:1296
	s_wait_loadcnt_dscnt 0x801
	v_mul_f64_e32 v[179:180], v[2:3], v[28:29]
	v_mul_f64_e32 v[28:29], v[4:5], v[28:29]
	scratch_load_b128 v[22:25], off, off offset:480
	v_add_f64_e32 v[171:172], v[171:172], v[183:184]
	v_add_f64_e32 v[173:174], v[173:174], v[175:176]
	s_wait_loadcnt_dscnt 0x800
	v_mul_f64_e32 v[175:176], v[6:7], v[32:33]
	v_mul_f64_e32 v[32:33], v[8:9], v[32:33]
	v_fma_f64 v[179:180], v[4:5], v[26:27], v[179:180]
	v_fma_f64 v[183:184], v[2:3], v[26:27], -v[28:29]
	ds_load_b128 v[2:5], v1 offset:1312
	scratch_load_b128 v[26:29], off, off offset:496
	v_add_f64_e32 v[171:172], v[171:172], v[181:182]
	v_add_f64_e32 v[173:174], v[173:174], v[177:178]
	v_fma_f64 v[175:176], v[8:9], v[30:31], v[175:176]
	v_fma_f64 v[181:182], v[6:7], v[30:31], -v[32:33]
	ds_load_b128 v[6:9], v1 offset:1328
	s_wait_loadcnt_dscnt 0x801
	v_mul_f64_e32 v[177:178], v[2:3], v[36:37]
	v_mul_f64_e32 v[36:37], v[4:5], v[36:37]
	scratch_load_b128 v[30:33], off, off offset:512
	v_add_f64_e32 v[171:172], v[171:172], v[183:184]
	v_add_f64_e32 v[173:174], v[173:174], v[179:180]
	s_wait_loadcnt_dscnt 0x800
	v_mul_f64_e32 v[179:180], v[6:7], v[169:170]
	v_mul_f64_e32 v[169:170], v[8:9], v[169:170]
	v_fma_f64 v[177:178], v[4:5], v[34:35], v[177:178]
	v_fma_f64 v[183:184], v[2:3], v[34:35], -v[36:37]
	ds_load_b128 v[2:5], v1 offset:1344
	scratch_load_b128 v[34:37], off, off offset:528
	v_add_f64_e32 v[171:172], v[171:172], v[181:182]
	v_add_f64_e32 v[173:174], v[173:174], v[175:176]
	v_fma_f64 v[179:180], v[8:9], v[167:168], v[179:180]
	v_fma_f64 v[181:182], v[6:7], v[167:168], -v[169:170]
	ds_load_b128 v[6:9], v1 offset:1360
	scratch_load_b128 v[167:170], off, off offset:544
	s_wait_loadcnt_dscnt 0x901
	v_mul_f64_e32 v[175:176], v[2:3], v[40:41]
	v_mul_f64_e32 v[40:41], v[4:5], v[40:41]
	v_add_f64_e32 v[171:172], v[171:172], v[183:184]
	v_add_f64_e32 v[173:174], v[173:174], v[177:178]
	s_wait_loadcnt_dscnt 0x800
	v_mul_f64_e32 v[177:178], v[6:7], v[165:166]
	v_mul_f64_e32 v[165:166], v[8:9], v[165:166]
	v_fma_f64 v[175:176], v[4:5], v[38:39], v[175:176]
	v_fma_f64 v[183:184], v[2:3], v[38:39], -v[40:41]
	ds_load_b128 v[2:5], v1 offset:1376
	scratch_load_b128 v[38:41], off, off offset:560
	v_add_f64_e32 v[171:172], v[171:172], v[181:182]
	v_add_f64_e32 v[173:174], v[173:174], v[179:180]
	v_fma_f64 v[177:178], v[8:9], v[163:164], v[177:178]
	v_fma_f64 v[181:182], v[6:7], v[163:164], -v[165:166]
	ds_load_b128 v[6:9], v1 offset:1392
	s_wait_loadcnt_dscnt 0x801
	v_mul_f64_e32 v[179:180], v[2:3], v[12:13]
	v_mul_f64_e32 v[12:13], v[4:5], v[12:13]
	scratch_load_b128 v[163:166], off, off offset:576
	v_add_f64_e32 v[171:172], v[171:172], v[183:184]
	v_add_f64_e32 v[173:174], v[173:174], v[175:176]
	s_wait_loadcnt_dscnt 0x800
	v_mul_f64_e32 v[175:176], v[6:7], v[16:17]
	v_mul_f64_e32 v[16:17], v[8:9], v[16:17]
	v_fma_f64 v[179:180], v[4:5], v[10:11], v[179:180]
	v_fma_f64 v[183:184], v[2:3], v[10:11], -v[12:13]
	ds_load_b128 v[2:5], v1 offset:1408
	scratch_load_b128 v[10:13], off, off offset:592
	v_add_f64_e32 v[171:172], v[171:172], v[181:182]
	v_add_f64_e32 v[173:174], v[173:174], v[177:178]
	v_fma_f64 v[175:176], v[8:9], v[14:15], v[175:176]
	v_fma_f64 v[181:182], v[6:7], v[14:15], -v[16:17]
	ds_load_b128 v[6:9], v1 offset:1424
	s_wait_loadcnt_dscnt 0x801
	v_mul_f64_e32 v[177:178], v[2:3], v[20:21]
	v_mul_f64_e32 v[20:21], v[4:5], v[20:21]
	scratch_load_b128 v[14:17], off, off offset:608
	;; [unrolled: 18-line block ×13, first 2 shown]
	v_add_f64_e32 v[171:172], v[171:172], v[183:184]
	v_add_f64_e32 v[173:174], v[173:174], v[175:176]
	s_wait_loadcnt_dscnt 0x800
	v_mul_f64_e32 v[175:176], v[6:7], v[32:33]
	v_mul_f64_e32 v[32:33], v[8:9], v[32:33]
	v_fma_f64 v[179:180], v[4:5], v[26:27], v[179:180]
	v_fma_f64 v[26:27], v[2:3], v[26:27], -v[28:29]
	ds_load_b128 v[2:5], v1 offset:1792
	v_add_f64_e32 v[28:29], v[171:172], v[181:182]
	v_add_f64_e32 v[171:172], v[173:174], v[177:178]
	v_fma_f64 v[175:176], v[8:9], v[30:31], v[175:176]
	v_fma_f64 v[30:31], v[6:7], v[30:31], -v[32:33]
	ds_load_b128 v[6:9], v1 offset:1808
	s_wait_loadcnt_dscnt 0x701
	v_mul_f64_e32 v[173:174], v[2:3], v[36:37]
	v_mul_f64_e32 v[36:37], v[4:5], v[36:37]
	v_add_f64_e32 v[26:27], v[28:29], v[26:27]
	v_add_f64_e32 v[28:29], v[171:172], v[179:180]
	s_delay_alu instid0(VALU_DEP_4) | instskip(NEXT) | instid1(VALU_DEP_4)
	v_fma_f64 v[171:172], v[4:5], v[34:35], v[173:174]
	v_fma_f64 v[34:35], v[2:3], v[34:35], -v[36:37]
	ds_load_b128 v[2:5], v1 offset:1824
	v_add_f64_e32 v[30:31], v[26:27], v[30:31]
	v_add_f64_e32 v[36:37], v[28:29], v[175:176]
	scratch_load_b128 v[26:29], off, off offset:224
	s_wait_loadcnt_dscnt 0x701
	v_mul_f64_e32 v[32:33], v[6:7], v[169:170]
	v_mul_f64_e32 v[169:170], v[8:9], v[169:170]
	v_add_f64_e32 v[30:31], v[30:31], v[34:35]
	v_add_f64_e32 v[34:35], v[36:37], v[171:172]
	s_delay_alu instid0(VALU_DEP_4) | instskip(NEXT) | instid1(VALU_DEP_4)
	v_fma_f64 v[32:33], v[8:9], v[167:168], v[32:33]
	v_fma_f64 v[167:168], v[6:7], v[167:168], -v[169:170]
	ds_load_b128 v[6:9], v1 offset:1840
	s_wait_loadcnt_dscnt 0x601
	v_mul_f64_e32 v[173:174], v[2:3], v[40:41]
	v_mul_f64_e32 v[40:41], v[4:5], v[40:41]
	s_wait_loadcnt_dscnt 0x500
	v_mul_f64_e32 v[36:37], v[6:7], v[165:166]
	v_mul_f64_e32 v[165:166], v[8:9], v[165:166]
	v_add_f64_e32 v[32:33], v[34:35], v[32:33]
	v_add_f64_e32 v[30:31], v[30:31], v[167:168]
	v_fma_f64 v[169:170], v[4:5], v[38:39], v[173:174]
	v_fma_f64 v[38:39], v[2:3], v[38:39], -v[40:41]
	ds_load_b128 v[2:5], v1 offset:1856
	v_fma_f64 v[36:37], v[8:9], v[163:164], v[36:37]
	v_fma_f64 v[40:41], v[6:7], v[163:164], -v[165:166]
	ds_load_b128 v[6:9], v1 offset:1872
	s_wait_loadcnt_dscnt 0x401
	v_mul_f64_e32 v[34:35], v[2:3], v[12:13]
	v_mul_f64_e32 v[12:13], v[4:5], v[12:13]
	v_add_f64_e32 v[32:33], v[32:33], v[169:170]
	v_add_f64_e32 v[30:31], v[30:31], v[38:39]
	s_wait_loadcnt_dscnt 0x300
	v_mul_f64_e32 v[38:39], v[6:7], v[16:17]
	v_mul_f64_e32 v[16:17], v[8:9], v[16:17]
	v_fma_f64 v[34:35], v[4:5], v[10:11], v[34:35]
	v_fma_f64 v[10:11], v[2:3], v[10:11], -v[12:13]
	ds_load_b128 v[2:5], v1 offset:1888
	v_add_f64_e32 v[12:13], v[30:31], v[40:41]
	v_add_f64_e32 v[30:31], v[32:33], v[36:37]
	v_fma_f64 v[36:37], v[8:9], v[14:15], v[38:39]
	v_fma_f64 v[14:15], v[6:7], v[14:15], -v[16:17]
	ds_load_b128 v[6:9], v1 offset:1904
	s_wait_loadcnt_dscnt 0x201
	v_mul_f64_e32 v[32:33], v[2:3], v[20:21]
	v_mul_f64_e32 v[20:21], v[4:5], v[20:21]
	s_wait_loadcnt_dscnt 0x100
	v_mul_f64_e32 v[16:17], v[6:7], v[24:25]
	v_mul_f64_e32 v[24:25], v[8:9], v[24:25]
	v_add_f64_e32 v[10:11], v[12:13], v[10:11]
	v_add_f64_e32 v[12:13], v[30:31], v[34:35]
	v_fma_f64 v[4:5], v[4:5], v[18:19], v[32:33]
	v_fma_f64 v[1:2], v[2:3], v[18:19], -v[20:21]
	v_fma_f64 v[8:9], v[8:9], v[22:23], v[16:17]
	v_fma_f64 v[6:7], v[6:7], v[22:23], -v[24:25]
	v_add_f64_e32 v[10:11], v[10:11], v[14:15]
	v_add_f64_e32 v[12:13], v[12:13], v[36:37]
	s_delay_alu instid0(VALU_DEP_2) | instskip(NEXT) | instid1(VALU_DEP_2)
	v_add_f64_e32 v[1:2], v[10:11], v[1:2]
	v_add_f64_e32 v[3:4], v[12:13], v[4:5]
	s_delay_alu instid0(VALU_DEP_2) | instskip(NEXT) | instid1(VALU_DEP_2)
	v_add_f64_e32 v[1:2], v[1:2], v[6:7]
	v_add_f64_e32 v[3:4], v[3:4], v[8:9]
	s_wait_loadcnt 0x0
	s_delay_alu instid0(VALU_DEP_2) | instskip(NEXT) | instid1(VALU_DEP_2)
	v_add_f64_e64 v[1:2], v[26:27], -v[1:2]
	v_add_f64_e64 v[3:4], v[28:29], -v[3:4]
	scratch_store_b128 off, v[1:4], off offset:224
	v_cmpx_lt_u32_e32 12, v0
	s_cbranch_execz .LBB59_349
; %bb.348:
	scratch_load_b128 v[1:4], off, s61
	v_mov_b32_e32 v5, 0
	s_delay_alu instid0(VALU_DEP_1)
	v_dual_mov_b32 v6, v5 :: v_dual_mov_b32 v7, v5
	v_mov_b32_e32 v8, v5
	scratch_store_b128 off, v[5:8], off offset:208
	s_wait_loadcnt 0x0
	ds_store_b128 v162, v[1:4]
.LBB59_349:
	s_wait_alu 0xfffe
	s_or_b32 exec_lo, exec_lo, s0
	s_wait_storecnt_dscnt 0x0
	s_barrier_signal -1
	s_barrier_wait -1
	global_inv scope:SCOPE_SE
	s_clause 0x7
	scratch_load_b128 v[2:5], off, off offset:224
	scratch_load_b128 v[6:9], off, off offset:240
	;; [unrolled: 1-line block ×8, first 2 shown]
	v_mov_b32_e32 v1, 0
	s_clause 0x1
	scratch_load_b128 v[34:37], off, off offset:352
	scratch_load_b128 v[167:170], off, off offset:368
	s_mov_b32 s0, exec_lo
	ds_load_b128 v[38:41], v1 offset:1168
	ds_load_b128 v[163:166], v1 offset:1184
	s_wait_loadcnt_dscnt 0x901
	v_mul_f64_e32 v[171:172], v[40:41], v[4:5]
	v_mul_f64_e32 v[4:5], v[38:39], v[4:5]
	s_wait_loadcnt_dscnt 0x800
	v_mul_f64_e32 v[173:174], v[163:164], v[8:9]
	v_mul_f64_e32 v[8:9], v[165:166], v[8:9]
	s_delay_alu instid0(VALU_DEP_4) | instskip(NEXT) | instid1(VALU_DEP_4)
	v_fma_f64 v[171:172], v[38:39], v[2:3], -v[171:172]
	v_fma_f64 v[175:176], v[40:41], v[2:3], v[4:5]
	ds_load_b128 v[2:5], v1 offset:1200
	scratch_load_b128 v[38:41], off, off offset:384
	v_fma_f64 v[173:174], v[165:166], v[6:7], v[173:174]
	v_fma_f64 v[179:180], v[163:164], v[6:7], -v[8:9]
	ds_load_b128 v[6:9], v1 offset:1216
	scratch_load_b128 v[163:166], off, off offset:400
	s_wait_loadcnt_dscnt 0x901
	v_mul_f64_e32 v[177:178], v[2:3], v[12:13]
	v_mul_f64_e32 v[12:13], v[4:5], v[12:13]
	s_wait_loadcnt_dscnt 0x800
	v_mul_f64_e32 v[181:182], v[6:7], v[16:17]
	v_mul_f64_e32 v[16:17], v[8:9], v[16:17]
	v_add_f64_e32 v[171:172], 0, v[171:172]
	v_add_f64_e32 v[175:176], 0, v[175:176]
	v_fma_f64 v[177:178], v[4:5], v[10:11], v[177:178]
	v_fma_f64 v[183:184], v[2:3], v[10:11], -v[12:13]
	ds_load_b128 v[2:5], v1 offset:1232
	scratch_load_b128 v[10:13], off, off offset:416
	v_add_f64_e32 v[171:172], v[171:172], v[179:180]
	v_add_f64_e32 v[173:174], v[175:176], v[173:174]
	v_fma_f64 v[179:180], v[8:9], v[14:15], v[181:182]
	v_fma_f64 v[181:182], v[6:7], v[14:15], -v[16:17]
	ds_load_b128 v[6:9], v1 offset:1248
	scratch_load_b128 v[14:17], off, off offset:432
	s_wait_loadcnt_dscnt 0x901
	v_mul_f64_e32 v[175:176], v[2:3], v[20:21]
	v_mul_f64_e32 v[20:21], v[4:5], v[20:21]
	v_add_f64_e32 v[171:172], v[171:172], v[183:184]
	v_add_f64_e32 v[173:174], v[173:174], v[177:178]
	s_wait_loadcnt_dscnt 0x800
	v_mul_f64_e32 v[177:178], v[6:7], v[24:25]
	v_mul_f64_e32 v[24:25], v[8:9], v[24:25]
	v_fma_f64 v[175:176], v[4:5], v[18:19], v[175:176]
	v_fma_f64 v[183:184], v[2:3], v[18:19], -v[20:21]
	ds_load_b128 v[2:5], v1 offset:1264
	scratch_load_b128 v[18:21], off, off offset:448
	v_add_f64_e32 v[171:172], v[171:172], v[181:182]
	v_add_f64_e32 v[173:174], v[173:174], v[179:180]
	v_fma_f64 v[177:178], v[8:9], v[22:23], v[177:178]
	v_fma_f64 v[181:182], v[6:7], v[22:23], -v[24:25]
	ds_load_b128 v[6:9], v1 offset:1280
	s_wait_loadcnt_dscnt 0x801
	v_mul_f64_e32 v[179:180], v[2:3], v[28:29]
	v_mul_f64_e32 v[28:29], v[4:5], v[28:29]
	scratch_load_b128 v[22:25], off, off offset:464
	v_add_f64_e32 v[171:172], v[171:172], v[183:184]
	v_add_f64_e32 v[173:174], v[173:174], v[175:176]
	s_wait_loadcnt_dscnt 0x800
	v_mul_f64_e32 v[175:176], v[6:7], v[32:33]
	v_mul_f64_e32 v[32:33], v[8:9], v[32:33]
	v_fma_f64 v[179:180], v[4:5], v[26:27], v[179:180]
	v_fma_f64 v[183:184], v[2:3], v[26:27], -v[28:29]
	ds_load_b128 v[2:5], v1 offset:1296
	scratch_load_b128 v[26:29], off, off offset:480
	v_add_f64_e32 v[171:172], v[171:172], v[181:182]
	v_add_f64_e32 v[173:174], v[173:174], v[177:178]
	v_fma_f64 v[175:176], v[8:9], v[30:31], v[175:176]
	v_fma_f64 v[181:182], v[6:7], v[30:31], -v[32:33]
	ds_load_b128 v[6:9], v1 offset:1312
	s_wait_loadcnt_dscnt 0x801
	v_mul_f64_e32 v[177:178], v[2:3], v[36:37]
	v_mul_f64_e32 v[36:37], v[4:5], v[36:37]
	scratch_load_b128 v[30:33], off, off offset:496
	v_add_f64_e32 v[171:172], v[171:172], v[183:184]
	v_add_f64_e32 v[173:174], v[173:174], v[179:180]
	s_wait_loadcnt_dscnt 0x800
	v_mul_f64_e32 v[179:180], v[6:7], v[169:170]
	v_mul_f64_e32 v[169:170], v[8:9], v[169:170]
	v_fma_f64 v[177:178], v[4:5], v[34:35], v[177:178]
	v_fma_f64 v[183:184], v[2:3], v[34:35], -v[36:37]
	ds_load_b128 v[2:5], v1 offset:1328
	scratch_load_b128 v[34:37], off, off offset:512
	v_add_f64_e32 v[171:172], v[171:172], v[181:182]
	v_add_f64_e32 v[173:174], v[173:174], v[175:176]
	v_fma_f64 v[179:180], v[8:9], v[167:168], v[179:180]
	v_fma_f64 v[181:182], v[6:7], v[167:168], -v[169:170]
	ds_load_b128 v[6:9], v1 offset:1344
	scratch_load_b128 v[167:170], off, off offset:528
	s_wait_loadcnt_dscnt 0x901
	v_mul_f64_e32 v[175:176], v[2:3], v[40:41]
	v_mul_f64_e32 v[40:41], v[4:5], v[40:41]
	v_add_f64_e32 v[171:172], v[171:172], v[183:184]
	v_add_f64_e32 v[173:174], v[173:174], v[177:178]
	s_wait_loadcnt_dscnt 0x800
	v_mul_f64_e32 v[177:178], v[6:7], v[165:166]
	v_mul_f64_e32 v[165:166], v[8:9], v[165:166]
	v_fma_f64 v[175:176], v[4:5], v[38:39], v[175:176]
	v_fma_f64 v[183:184], v[2:3], v[38:39], -v[40:41]
	ds_load_b128 v[2:5], v1 offset:1360
	scratch_load_b128 v[38:41], off, off offset:544
	v_add_f64_e32 v[171:172], v[171:172], v[181:182]
	v_add_f64_e32 v[173:174], v[173:174], v[179:180]
	v_fma_f64 v[177:178], v[8:9], v[163:164], v[177:178]
	v_fma_f64 v[181:182], v[6:7], v[163:164], -v[165:166]
	ds_load_b128 v[6:9], v1 offset:1376
	s_wait_loadcnt_dscnt 0x801
	v_mul_f64_e32 v[179:180], v[2:3], v[12:13]
	v_mul_f64_e32 v[12:13], v[4:5], v[12:13]
	scratch_load_b128 v[163:166], off, off offset:560
	v_add_f64_e32 v[171:172], v[171:172], v[183:184]
	v_add_f64_e32 v[173:174], v[173:174], v[175:176]
	s_wait_loadcnt_dscnt 0x800
	v_mul_f64_e32 v[175:176], v[6:7], v[16:17]
	v_mul_f64_e32 v[16:17], v[8:9], v[16:17]
	v_fma_f64 v[179:180], v[4:5], v[10:11], v[179:180]
	v_fma_f64 v[183:184], v[2:3], v[10:11], -v[12:13]
	ds_load_b128 v[2:5], v1 offset:1392
	scratch_load_b128 v[10:13], off, off offset:576
	v_add_f64_e32 v[171:172], v[171:172], v[181:182]
	v_add_f64_e32 v[173:174], v[173:174], v[177:178]
	v_fma_f64 v[175:176], v[8:9], v[14:15], v[175:176]
	v_fma_f64 v[181:182], v[6:7], v[14:15], -v[16:17]
	ds_load_b128 v[6:9], v1 offset:1408
	s_wait_loadcnt_dscnt 0x801
	v_mul_f64_e32 v[177:178], v[2:3], v[20:21]
	v_mul_f64_e32 v[20:21], v[4:5], v[20:21]
	scratch_load_b128 v[14:17], off, off offset:592
	;; [unrolled: 18-line block ×13, first 2 shown]
	v_add_f64_e32 v[171:172], v[171:172], v[183:184]
	v_add_f64_e32 v[173:174], v[173:174], v[175:176]
	s_wait_loadcnt_dscnt 0x800
	v_mul_f64_e32 v[175:176], v[6:7], v[32:33]
	v_mul_f64_e32 v[32:33], v[8:9], v[32:33]
	v_fma_f64 v[179:180], v[4:5], v[26:27], v[179:180]
	v_fma_f64 v[183:184], v[2:3], v[26:27], -v[28:29]
	ds_load_b128 v[2:5], v1 offset:1776
	scratch_load_b128 v[26:29], off, off offset:960
	v_add_f64_e32 v[171:172], v[171:172], v[181:182]
	v_add_f64_e32 v[173:174], v[173:174], v[177:178]
	v_fma_f64 v[175:176], v[8:9], v[30:31], v[175:176]
	v_fma_f64 v[30:31], v[6:7], v[30:31], -v[32:33]
	ds_load_b128 v[6:9], v1 offset:1792
	s_wait_loadcnt_dscnt 0x801
	v_mul_f64_e32 v[177:178], v[2:3], v[36:37]
	v_mul_f64_e32 v[36:37], v[4:5], v[36:37]
	v_add_f64_e32 v[32:33], v[171:172], v[183:184]
	v_add_f64_e32 v[171:172], v[173:174], v[179:180]
	s_wait_loadcnt_dscnt 0x700
	v_mul_f64_e32 v[173:174], v[6:7], v[169:170]
	v_mul_f64_e32 v[169:170], v[8:9], v[169:170]
	v_fma_f64 v[177:178], v[4:5], v[34:35], v[177:178]
	v_fma_f64 v[34:35], v[2:3], v[34:35], -v[36:37]
	ds_load_b128 v[2:5], v1 offset:1808
	v_add_f64_e32 v[30:31], v[32:33], v[30:31]
	v_add_f64_e32 v[32:33], v[171:172], v[175:176]
	v_fma_f64 v[171:172], v[8:9], v[167:168], v[173:174]
	v_fma_f64 v[167:168], v[6:7], v[167:168], -v[169:170]
	ds_load_b128 v[6:9], v1 offset:1824
	s_wait_loadcnt_dscnt 0x500
	v_mul_f64_e32 v[173:174], v[6:7], v[165:166]
	v_mul_f64_e32 v[165:166], v[8:9], v[165:166]
	v_add_f64_e32 v[34:35], v[30:31], v[34:35]
	v_add_f64_e32 v[169:170], v[32:33], v[177:178]
	scratch_load_b128 v[30:33], off, off offset:208
	v_mul_f64_e32 v[36:37], v[2:3], v[40:41]
	v_mul_f64_e32 v[40:41], v[4:5], v[40:41]
	v_add_f64_e32 v[34:35], v[34:35], v[167:168]
	s_delay_alu instid0(VALU_DEP_3) | instskip(NEXT) | instid1(VALU_DEP_3)
	v_fma_f64 v[36:37], v[4:5], v[38:39], v[36:37]
	v_fma_f64 v[38:39], v[2:3], v[38:39], -v[40:41]
	v_add_f64_e32 v[40:41], v[169:170], v[171:172]
	ds_load_b128 v[2:5], v1 offset:1840
	v_fma_f64 v[169:170], v[8:9], v[163:164], v[173:174]
	v_fma_f64 v[163:164], v[6:7], v[163:164], -v[165:166]
	ds_load_b128 v[6:9], v1 offset:1856
	s_wait_loadcnt_dscnt 0x501
	v_mul_f64_e32 v[167:168], v[2:3], v[12:13]
	v_mul_f64_e32 v[12:13], v[4:5], v[12:13]
	v_add_f64_e32 v[34:35], v[34:35], v[38:39]
	v_add_f64_e32 v[36:37], v[40:41], v[36:37]
	s_wait_loadcnt_dscnt 0x400
	v_mul_f64_e32 v[38:39], v[6:7], v[16:17]
	v_mul_f64_e32 v[16:17], v[8:9], v[16:17]
	v_fma_f64 v[40:41], v[4:5], v[10:11], v[167:168]
	v_fma_f64 v[10:11], v[2:3], v[10:11], -v[12:13]
	ds_load_b128 v[2:5], v1 offset:1872
	v_add_f64_e32 v[12:13], v[34:35], v[163:164]
	v_add_f64_e32 v[34:35], v[36:37], v[169:170]
	v_fma_f64 v[38:39], v[8:9], v[14:15], v[38:39]
	v_fma_f64 v[14:15], v[6:7], v[14:15], -v[16:17]
	ds_load_b128 v[6:9], v1 offset:1888
	s_wait_loadcnt_dscnt 0x301
	v_mul_f64_e32 v[36:37], v[2:3], v[20:21]
	v_mul_f64_e32 v[20:21], v[4:5], v[20:21]
	s_wait_loadcnt_dscnt 0x200
	v_mul_f64_e32 v[16:17], v[6:7], v[24:25]
	v_mul_f64_e32 v[24:25], v[8:9], v[24:25]
	v_add_f64_e32 v[10:11], v[12:13], v[10:11]
	v_add_f64_e32 v[12:13], v[34:35], v[40:41]
	v_fma_f64 v[34:35], v[4:5], v[18:19], v[36:37]
	v_fma_f64 v[18:19], v[2:3], v[18:19], -v[20:21]
	ds_load_b128 v[2:5], v1 offset:1904
	v_fma_f64 v[8:9], v[8:9], v[22:23], v[16:17]
	v_fma_f64 v[6:7], v[6:7], v[22:23], -v[24:25]
	s_wait_loadcnt_dscnt 0x100
	v_mul_f64_e32 v[20:21], v[4:5], v[28:29]
	v_add_f64_e32 v[10:11], v[10:11], v[14:15]
	v_add_f64_e32 v[12:13], v[12:13], v[38:39]
	v_mul_f64_e32 v[14:15], v[2:3], v[28:29]
	s_delay_alu instid0(VALU_DEP_4) | instskip(NEXT) | instid1(VALU_DEP_4)
	v_fma_f64 v[2:3], v[2:3], v[26:27], -v[20:21]
	v_add_f64_e32 v[10:11], v[10:11], v[18:19]
	s_delay_alu instid0(VALU_DEP_4) | instskip(NEXT) | instid1(VALU_DEP_4)
	v_add_f64_e32 v[12:13], v[12:13], v[34:35]
	v_fma_f64 v[4:5], v[4:5], v[26:27], v[14:15]
	s_delay_alu instid0(VALU_DEP_3) | instskip(NEXT) | instid1(VALU_DEP_3)
	v_add_f64_e32 v[6:7], v[10:11], v[6:7]
	v_add_f64_e32 v[8:9], v[12:13], v[8:9]
	s_delay_alu instid0(VALU_DEP_2) | instskip(NEXT) | instid1(VALU_DEP_2)
	v_add_f64_e32 v[2:3], v[6:7], v[2:3]
	v_add_f64_e32 v[4:5], v[8:9], v[4:5]
	s_wait_loadcnt 0x0
	s_delay_alu instid0(VALU_DEP_2) | instskip(NEXT) | instid1(VALU_DEP_2)
	v_add_f64_e64 v[2:3], v[30:31], -v[2:3]
	v_add_f64_e64 v[4:5], v[32:33], -v[4:5]
	scratch_store_b128 off, v[2:5], off offset:208
	v_cmpx_lt_u32_e32 11, v0
	s_cbranch_execz .LBB59_351
; %bb.350:
	scratch_load_b128 v[5:8], off, s62
	v_dual_mov_b32 v2, v1 :: v_dual_mov_b32 v3, v1
	v_mov_b32_e32 v4, v1
	scratch_store_b128 off, v[1:4], off offset:192
	s_wait_loadcnt 0x0
	ds_store_b128 v162, v[5:8]
.LBB59_351:
	s_wait_alu 0xfffe
	s_or_b32 exec_lo, exec_lo, s0
	s_wait_storecnt_dscnt 0x0
	s_barrier_signal -1
	s_barrier_wait -1
	global_inv scope:SCOPE_SE
	s_clause 0x7
	scratch_load_b128 v[2:5], off, off offset:208
	scratch_load_b128 v[6:9], off, off offset:224
	scratch_load_b128 v[10:13], off, off offset:240
	scratch_load_b128 v[14:17], off, off offset:256
	scratch_load_b128 v[18:21], off, off offset:272
	scratch_load_b128 v[22:25], off, off offset:288
	scratch_load_b128 v[26:29], off, off offset:304
	scratch_load_b128 v[30:33], off, off offset:320
	ds_load_b128 v[38:41], v1 offset:1152
	ds_load_b128 v[163:166], v1 offset:1168
	s_clause 0x1
	scratch_load_b128 v[34:37], off, off offset:336
	scratch_load_b128 v[167:170], off, off offset:352
	s_mov_b32 s0, exec_lo
	s_wait_loadcnt_dscnt 0x901
	v_mul_f64_e32 v[171:172], v[40:41], v[4:5]
	v_mul_f64_e32 v[4:5], v[38:39], v[4:5]
	s_wait_loadcnt_dscnt 0x800
	v_mul_f64_e32 v[173:174], v[163:164], v[8:9]
	v_mul_f64_e32 v[8:9], v[165:166], v[8:9]
	s_delay_alu instid0(VALU_DEP_4) | instskip(NEXT) | instid1(VALU_DEP_4)
	v_fma_f64 v[171:172], v[38:39], v[2:3], -v[171:172]
	v_fma_f64 v[175:176], v[40:41], v[2:3], v[4:5]
	ds_load_b128 v[2:5], v1 offset:1184
	scratch_load_b128 v[38:41], off, off offset:368
	v_fma_f64 v[173:174], v[165:166], v[6:7], v[173:174]
	v_fma_f64 v[179:180], v[163:164], v[6:7], -v[8:9]
	ds_load_b128 v[6:9], v1 offset:1200
	scratch_load_b128 v[163:166], off, off offset:384
	s_wait_loadcnt_dscnt 0x901
	v_mul_f64_e32 v[177:178], v[2:3], v[12:13]
	v_mul_f64_e32 v[12:13], v[4:5], v[12:13]
	s_wait_loadcnt_dscnt 0x800
	v_mul_f64_e32 v[181:182], v[6:7], v[16:17]
	v_mul_f64_e32 v[16:17], v[8:9], v[16:17]
	v_add_f64_e32 v[171:172], 0, v[171:172]
	v_add_f64_e32 v[175:176], 0, v[175:176]
	v_fma_f64 v[177:178], v[4:5], v[10:11], v[177:178]
	v_fma_f64 v[183:184], v[2:3], v[10:11], -v[12:13]
	ds_load_b128 v[2:5], v1 offset:1216
	scratch_load_b128 v[10:13], off, off offset:400
	v_add_f64_e32 v[171:172], v[171:172], v[179:180]
	v_add_f64_e32 v[173:174], v[175:176], v[173:174]
	v_fma_f64 v[179:180], v[8:9], v[14:15], v[181:182]
	v_fma_f64 v[181:182], v[6:7], v[14:15], -v[16:17]
	ds_load_b128 v[6:9], v1 offset:1232
	scratch_load_b128 v[14:17], off, off offset:416
	s_wait_loadcnt_dscnt 0x901
	v_mul_f64_e32 v[175:176], v[2:3], v[20:21]
	v_mul_f64_e32 v[20:21], v[4:5], v[20:21]
	v_add_f64_e32 v[171:172], v[171:172], v[183:184]
	v_add_f64_e32 v[173:174], v[173:174], v[177:178]
	s_wait_loadcnt_dscnt 0x800
	v_mul_f64_e32 v[177:178], v[6:7], v[24:25]
	v_mul_f64_e32 v[24:25], v[8:9], v[24:25]
	v_fma_f64 v[175:176], v[4:5], v[18:19], v[175:176]
	v_fma_f64 v[183:184], v[2:3], v[18:19], -v[20:21]
	ds_load_b128 v[2:5], v1 offset:1248
	scratch_load_b128 v[18:21], off, off offset:432
	v_add_f64_e32 v[171:172], v[171:172], v[181:182]
	v_add_f64_e32 v[173:174], v[173:174], v[179:180]
	v_fma_f64 v[177:178], v[8:9], v[22:23], v[177:178]
	v_fma_f64 v[181:182], v[6:7], v[22:23], -v[24:25]
	ds_load_b128 v[6:9], v1 offset:1264
	s_wait_loadcnt_dscnt 0x801
	v_mul_f64_e32 v[179:180], v[2:3], v[28:29]
	v_mul_f64_e32 v[28:29], v[4:5], v[28:29]
	scratch_load_b128 v[22:25], off, off offset:448
	v_add_f64_e32 v[171:172], v[171:172], v[183:184]
	v_add_f64_e32 v[173:174], v[173:174], v[175:176]
	s_wait_loadcnt_dscnt 0x800
	v_mul_f64_e32 v[175:176], v[6:7], v[32:33]
	v_mul_f64_e32 v[32:33], v[8:9], v[32:33]
	v_fma_f64 v[179:180], v[4:5], v[26:27], v[179:180]
	v_fma_f64 v[183:184], v[2:3], v[26:27], -v[28:29]
	ds_load_b128 v[2:5], v1 offset:1280
	scratch_load_b128 v[26:29], off, off offset:464
	v_add_f64_e32 v[171:172], v[171:172], v[181:182]
	v_add_f64_e32 v[173:174], v[173:174], v[177:178]
	v_fma_f64 v[175:176], v[8:9], v[30:31], v[175:176]
	v_fma_f64 v[181:182], v[6:7], v[30:31], -v[32:33]
	ds_load_b128 v[6:9], v1 offset:1296
	s_wait_loadcnt_dscnt 0x801
	v_mul_f64_e32 v[177:178], v[2:3], v[36:37]
	v_mul_f64_e32 v[36:37], v[4:5], v[36:37]
	scratch_load_b128 v[30:33], off, off offset:480
	v_add_f64_e32 v[171:172], v[171:172], v[183:184]
	v_add_f64_e32 v[173:174], v[173:174], v[179:180]
	s_wait_loadcnt_dscnt 0x800
	v_mul_f64_e32 v[179:180], v[6:7], v[169:170]
	v_mul_f64_e32 v[169:170], v[8:9], v[169:170]
	v_fma_f64 v[177:178], v[4:5], v[34:35], v[177:178]
	v_fma_f64 v[183:184], v[2:3], v[34:35], -v[36:37]
	ds_load_b128 v[2:5], v1 offset:1312
	scratch_load_b128 v[34:37], off, off offset:496
	v_add_f64_e32 v[171:172], v[171:172], v[181:182]
	v_add_f64_e32 v[173:174], v[173:174], v[175:176]
	v_fma_f64 v[179:180], v[8:9], v[167:168], v[179:180]
	v_fma_f64 v[181:182], v[6:7], v[167:168], -v[169:170]
	ds_load_b128 v[6:9], v1 offset:1328
	scratch_load_b128 v[167:170], off, off offset:512
	s_wait_loadcnt_dscnt 0x901
	v_mul_f64_e32 v[175:176], v[2:3], v[40:41]
	v_mul_f64_e32 v[40:41], v[4:5], v[40:41]
	v_add_f64_e32 v[171:172], v[171:172], v[183:184]
	v_add_f64_e32 v[173:174], v[173:174], v[177:178]
	s_wait_loadcnt_dscnt 0x800
	v_mul_f64_e32 v[177:178], v[6:7], v[165:166]
	v_mul_f64_e32 v[165:166], v[8:9], v[165:166]
	v_fma_f64 v[175:176], v[4:5], v[38:39], v[175:176]
	v_fma_f64 v[183:184], v[2:3], v[38:39], -v[40:41]
	ds_load_b128 v[2:5], v1 offset:1344
	scratch_load_b128 v[38:41], off, off offset:528
	v_add_f64_e32 v[171:172], v[171:172], v[181:182]
	v_add_f64_e32 v[173:174], v[173:174], v[179:180]
	v_fma_f64 v[177:178], v[8:9], v[163:164], v[177:178]
	v_fma_f64 v[181:182], v[6:7], v[163:164], -v[165:166]
	ds_load_b128 v[6:9], v1 offset:1360
	s_wait_loadcnt_dscnt 0x801
	v_mul_f64_e32 v[179:180], v[2:3], v[12:13]
	v_mul_f64_e32 v[12:13], v[4:5], v[12:13]
	scratch_load_b128 v[163:166], off, off offset:544
	v_add_f64_e32 v[171:172], v[171:172], v[183:184]
	v_add_f64_e32 v[173:174], v[173:174], v[175:176]
	s_wait_loadcnt_dscnt 0x800
	v_mul_f64_e32 v[175:176], v[6:7], v[16:17]
	v_mul_f64_e32 v[16:17], v[8:9], v[16:17]
	v_fma_f64 v[179:180], v[4:5], v[10:11], v[179:180]
	v_fma_f64 v[183:184], v[2:3], v[10:11], -v[12:13]
	ds_load_b128 v[2:5], v1 offset:1376
	scratch_load_b128 v[10:13], off, off offset:560
	v_add_f64_e32 v[171:172], v[171:172], v[181:182]
	v_add_f64_e32 v[173:174], v[173:174], v[177:178]
	v_fma_f64 v[175:176], v[8:9], v[14:15], v[175:176]
	v_fma_f64 v[181:182], v[6:7], v[14:15], -v[16:17]
	ds_load_b128 v[6:9], v1 offset:1392
	s_wait_loadcnt_dscnt 0x801
	v_mul_f64_e32 v[177:178], v[2:3], v[20:21]
	v_mul_f64_e32 v[20:21], v[4:5], v[20:21]
	scratch_load_b128 v[14:17], off, off offset:576
	;; [unrolled: 18-line block ×14, first 2 shown]
	v_add_f64_e32 v[171:172], v[171:172], v[183:184]
	v_add_f64_e32 v[173:174], v[173:174], v[179:180]
	s_wait_loadcnt_dscnt 0x800
	v_mul_f64_e32 v[179:180], v[6:7], v[169:170]
	v_mul_f64_e32 v[169:170], v[8:9], v[169:170]
	v_fma_f64 v[177:178], v[4:5], v[34:35], v[177:178]
	v_fma_f64 v[34:35], v[2:3], v[34:35], -v[36:37]
	ds_load_b128 v[2:5], v1 offset:1792
	v_add_f64_e32 v[36:37], v[171:172], v[181:182]
	v_add_f64_e32 v[171:172], v[173:174], v[175:176]
	v_fma_f64 v[175:176], v[8:9], v[167:168], v[179:180]
	v_fma_f64 v[167:168], v[6:7], v[167:168], -v[169:170]
	ds_load_b128 v[6:9], v1 offset:1808
	s_wait_loadcnt_dscnt 0x701
	v_mul_f64_e32 v[173:174], v[2:3], v[40:41]
	v_mul_f64_e32 v[40:41], v[4:5], v[40:41]
	v_add_f64_e32 v[34:35], v[36:37], v[34:35]
	v_add_f64_e32 v[36:37], v[171:172], v[177:178]
	s_delay_alu instid0(VALU_DEP_4) | instskip(NEXT) | instid1(VALU_DEP_4)
	v_fma_f64 v[171:172], v[4:5], v[38:39], v[173:174]
	v_fma_f64 v[38:39], v[2:3], v[38:39], -v[40:41]
	ds_load_b128 v[2:5], v1 offset:1824
	v_add_f64_e32 v[40:41], v[34:35], v[167:168]
	v_add_f64_e32 v[167:168], v[36:37], v[175:176]
	scratch_load_b128 v[34:37], off, off offset:192
	s_wait_loadcnt_dscnt 0x701
	v_mul_f64_e32 v[169:170], v[6:7], v[165:166]
	v_mul_f64_e32 v[165:166], v[8:9], v[165:166]
	v_add_f64_e32 v[38:39], v[40:41], v[38:39]
	v_add_f64_e32 v[40:41], v[167:168], v[171:172]
	s_delay_alu instid0(VALU_DEP_4) | instskip(NEXT) | instid1(VALU_DEP_4)
	v_fma_f64 v[169:170], v[8:9], v[163:164], v[169:170]
	v_fma_f64 v[163:164], v[6:7], v[163:164], -v[165:166]
	ds_load_b128 v[6:9], v1 offset:1840
	s_wait_loadcnt_dscnt 0x601
	v_mul_f64_e32 v[173:174], v[2:3], v[12:13]
	v_mul_f64_e32 v[12:13], v[4:5], v[12:13]
	s_wait_loadcnt_dscnt 0x500
	v_mul_f64_e32 v[165:166], v[6:7], v[16:17]
	v_mul_f64_e32 v[16:17], v[8:9], v[16:17]
	s_delay_alu instid0(VALU_DEP_4) | instskip(NEXT) | instid1(VALU_DEP_4)
	v_fma_f64 v[167:168], v[4:5], v[10:11], v[173:174]
	v_fma_f64 v[10:11], v[2:3], v[10:11], -v[12:13]
	v_add_f64_e32 v[12:13], v[38:39], v[163:164]
	v_add_f64_e32 v[38:39], v[40:41], v[169:170]
	ds_load_b128 v[2:5], v1 offset:1856
	v_fma_f64 v[163:164], v[8:9], v[14:15], v[165:166]
	v_fma_f64 v[14:15], v[6:7], v[14:15], -v[16:17]
	ds_load_b128 v[6:9], v1 offset:1872
	s_wait_loadcnt_dscnt 0x401
	v_mul_f64_e32 v[40:41], v[2:3], v[20:21]
	v_mul_f64_e32 v[20:21], v[4:5], v[20:21]
	v_add_f64_e32 v[10:11], v[12:13], v[10:11]
	v_add_f64_e32 v[12:13], v[38:39], v[167:168]
	s_wait_loadcnt_dscnt 0x300
	v_mul_f64_e32 v[16:17], v[6:7], v[24:25]
	v_mul_f64_e32 v[24:25], v[8:9], v[24:25]
	v_fma_f64 v[38:39], v[4:5], v[18:19], v[40:41]
	v_fma_f64 v[18:19], v[2:3], v[18:19], -v[20:21]
	ds_load_b128 v[2:5], v1 offset:1888
	v_add_f64_e32 v[10:11], v[10:11], v[14:15]
	v_add_f64_e32 v[12:13], v[12:13], v[163:164]
	v_fma_f64 v[16:17], v[8:9], v[22:23], v[16:17]
	v_fma_f64 v[22:23], v[6:7], v[22:23], -v[24:25]
	ds_load_b128 v[6:9], v1 offset:1904
	s_wait_loadcnt_dscnt 0x201
	v_mul_f64_e32 v[14:15], v[2:3], v[28:29]
	v_mul_f64_e32 v[20:21], v[4:5], v[28:29]
	s_wait_loadcnt_dscnt 0x100
	v_mul_f64_e32 v[24:25], v[8:9], v[32:33]
	v_add_f64_e32 v[10:11], v[10:11], v[18:19]
	v_add_f64_e32 v[12:13], v[12:13], v[38:39]
	v_mul_f64_e32 v[18:19], v[6:7], v[32:33]
	v_fma_f64 v[4:5], v[4:5], v[26:27], v[14:15]
	v_fma_f64 v[1:2], v[2:3], v[26:27], -v[20:21]
	v_fma_f64 v[6:7], v[6:7], v[30:31], -v[24:25]
	v_add_f64_e32 v[10:11], v[10:11], v[22:23]
	v_add_f64_e32 v[12:13], v[12:13], v[16:17]
	v_fma_f64 v[8:9], v[8:9], v[30:31], v[18:19]
	s_delay_alu instid0(VALU_DEP_3) | instskip(NEXT) | instid1(VALU_DEP_3)
	v_add_f64_e32 v[1:2], v[10:11], v[1:2]
	v_add_f64_e32 v[3:4], v[12:13], v[4:5]
	s_delay_alu instid0(VALU_DEP_2) | instskip(NEXT) | instid1(VALU_DEP_2)
	v_add_f64_e32 v[1:2], v[1:2], v[6:7]
	v_add_f64_e32 v[3:4], v[3:4], v[8:9]
	s_wait_loadcnt 0x0
	s_delay_alu instid0(VALU_DEP_2) | instskip(NEXT) | instid1(VALU_DEP_2)
	v_add_f64_e64 v[1:2], v[34:35], -v[1:2]
	v_add_f64_e64 v[3:4], v[36:37], -v[3:4]
	scratch_store_b128 off, v[1:4], off offset:192
	v_cmpx_lt_u32_e32 10, v0
	s_cbranch_execz .LBB59_353
; %bb.352:
	scratch_load_b128 v[1:4], off, s63
	v_mov_b32_e32 v5, 0
	s_delay_alu instid0(VALU_DEP_1)
	v_dual_mov_b32 v6, v5 :: v_dual_mov_b32 v7, v5
	v_mov_b32_e32 v8, v5
	scratch_store_b128 off, v[5:8], off offset:176
	s_wait_loadcnt 0x0
	ds_store_b128 v162, v[1:4]
.LBB59_353:
	s_wait_alu 0xfffe
	s_or_b32 exec_lo, exec_lo, s0
	s_wait_storecnt_dscnt 0x0
	s_barrier_signal -1
	s_barrier_wait -1
	global_inv scope:SCOPE_SE
	s_clause 0x7
	scratch_load_b128 v[2:5], off, off offset:192
	scratch_load_b128 v[6:9], off, off offset:208
	scratch_load_b128 v[10:13], off, off offset:224
	scratch_load_b128 v[14:17], off, off offset:240
	scratch_load_b128 v[18:21], off, off offset:256
	scratch_load_b128 v[22:25], off, off offset:272
	scratch_load_b128 v[26:29], off, off offset:288
	scratch_load_b128 v[30:33], off, off offset:304
	v_mov_b32_e32 v1, 0
	s_clause 0x1
	scratch_load_b128 v[34:37], off, off offset:320
	scratch_load_b128 v[167:170], off, off offset:336
	s_mov_b32 s0, exec_lo
	ds_load_b128 v[38:41], v1 offset:1136
	ds_load_b128 v[163:166], v1 offset:1152
	s_wait_loadcnt_dscnt 0x901
	v_mul_f64_e32 v[171:172], v[40:41], v[4:5]
	v_mul_f64_e32 v[4:5], v[38:39], v[4:5]
	s_wait_loadcnt_dscnt 0x800
	v_mul_f64_e32 v[173:174], v[163:164], v[8:9]
	v_mul_f64_e32 v[8:9], v[165:166], v[8:9]
	s_delay_alu instid0(VALU_DEP_4) | instskip(NEXT) | instid1(VALU_DEP_4)
	v_fma_f64 v[171:172], v[38:39], v[2:3], -v[171:172]
	v_fma_f64 v[175:176], v[40:41], v[2:3], v[4:5]
	ds_load_b128 v[2:5], v1 offset:1168
	scratch_load_b128 v[38:41], off, off offset:352
	v_fma_f64 v[173:174], v[165:166], v[6:7], v[173:174]
	v_fma_f64 v[179:180], v[163:164], v[6:7], -v[8:9]
	ds_load_b128 v[6:9], v1 offset:1184
	scratch_load_b128 v[163:166], off, off offset:368
	s_wait_loadcnt_dscnt 0x901
	v_mul_f64_e32 v[177:178], v[2:3], v[12:13]
	v_mul_f64_e32 v[12:13], v[4:5], v[12:13]
	s_wait_loadcnt_dscnt 0x800
	v_mul_f64_e32 v[181:182], v[6:7], v[16:17]
	v_mul_f64_e32 v[16:17], v[8:9], v[16:17]
	v_add_f64_e32 v[171:172], 0, v[171:172]
	v_add_f64_e32 v[175:176], 0, v[175:176]
	v_fma_f64 v[177:178], v[4:5], v[10:11], v[177:178]
	v_fma_f64 v[183:184], v[2:3], v[10:11], -v[12:13]
	ds_load_b128 v[2:5], v1 offset:1200
	scratch_load_b128 v[10:13], off, off offset:384
	v_add_f64_e32 v[171:172], v[171:172], v[179:180]
	v_add_f64_e32 v[173:174], v[175:176], v[173:174]
	v_fma_f64 v[179:180], v[8:9], v[14:15], v[181:182]
	v_fma_f64 v[181:182], v[6:7], v[14:15], -v[16:17]
	ds_load_b128 v[6:9], v1 offset:1216
	scratch_load_b128 v[14:17], off, off offset:400
	s_wait_loadcnt_dscnt 0x901
	v_mul_f64_e32 v[175:176], v[2:3], v[20:21]
	v_mul_f64_e32 v[20:21], v[4:5], v[20:21]
	v_add_f64_e32 v[171:172], v[171:172], v[183:184]
	v_add_f64_e32 v[173:174], v[173:174], v[177:178]
	s_wait_loadcnt_dscnt 0x800
	v_mul_f64_e32 v[177:178], v[6:7], v[24:25]
	v_mul_f64_e32 v[24:25], v[8:9], v[24:25]
	v_fma_f64 v[175:176], v[4:5], v[18:19], v[175:176]
	v_fma_f64 v[183:184], v[2:3], v[18:19], -v[20:21]
	ds_load_b128 v[2:5], v1 offset:1232
	scratch_load_b128 v[18:21], off, off offset:416
	v_add_f64_e32 v[171:172], v[171:172], v[181:182]
	v_add_f64_e32 v[173:174], v[173:174], v[179:180]
	v_fma_f64 v[177:178], v[8:9], v[22:23], v[177:178]
	v_fma_f64 v[181:182], v[6:7], v[22:23], -v[24:25]
	ds_load_b128 v[6:9], v1 offset:1248
	s_wait_loadcnt_dscnt 0x801
	v_mul_f64_e32 v[179:180], v[2:3], v[28:29]
	v_mul_f64_e32 v[28:29], v[4:5], v[28:29]
	scratch_load_b128 v[22:25], off, off offset:432
	v_add_f64_e32 v[171:172], v[171:172], v[183:184]
	v_add_f64_e32 v[173:174], v[173:174], v[175:176]
	s_wait_loadcnt_dscnt 0x800
	v_mul_f64_e32 v[175:176], v[6:7], v[32:33]
	v_mul_f64_e32 v[32:33], v[8:9], v[32:33]
	v_fma_f64 v[179:180], v[4:5], v[26:27], v[179:180]
	v_fma_f64 v[183:184], v[2:3], v[26:27], -v[28:29]
	ds_load_b128 v[2:5], v1 offset:1264
	scratch_load_b128 v[26:29], off, off offset:448
	v_add_f64_e32 v[171:172], v[171:172], v[181:182]
	v_add_f64_e32 v[173:174], v[173:174], v[177:178]
	v_fma_f64 v[175:176], v[8:9], v[30:31], v[175:176]
	v_fma_f64 v[181:182], v[6:7], v[30:31], -v[32:33]
	ds_load_b128 v[6:9], v1 offset:1280
	s_wait_loadcnt_dscnt 0x801
	v_mul_f64_e32 v[177:178], v[2:3], v[36:37]
	v_mul_f64_e32 v[36:37], v[4:5], v[36:37]
	scratch_load_b128 v[30:33], off, off offset:464
	v_add_f64_e32 v[171:172], v[171:172], v[183:184]
	v_add_f64_e32 v[173:174], v[173:174], v[179:180]
	s_wait_loadcnt_dscnt 0x800
	v_mul_f64_e32 v[179:180], v[6:7], v[169:170]
	v_mul_f64_e32 v[169:170], v[8:9], v[169:170]
	v_fma_f64 v[177:178], v[4:5], v[34:35], v[177:178]
	v_fma_f64 v[183:184], v[2:3], v[34:35], -v[36:37]
	ds_load_b128 v[2:5], v1 offset:1296
	scratch_load_b128 v[34:37], off, off offset:480
	v_add_f64_e32 v[171:172], v[171:172], v[181:182]
	v_add_f64_e32 v[173:174], v[173:174], v[175:176]
	v_fma_f64 v[179:180], v[8:9], v[167:168], v[179:180]
	v_fma_f64 v[181:182], v[6:7], v[167:168], -v[169:170]
	ds_load_b128 v[6:9], v1 offset:1312
	scratch_load_b128 v[167:170], off, off offset:496
	s_wait_loadcnt_dscnt 0x901
	v_mul_f64_e32 v[175:176], v[2:3], v[40:41]
	v_mul_f64_e32 v[40:41], v[4:5], v[40:41]
	v_add_f64_e32 v[171:172], v[171:172], v[183:184]
	v_add_f64_e32 v[173:174], v[173:174], v[177:178]
	s_wait_loadcnt_dscnt 0x800
	v_mul_f64_e32 v[177:178], v[6:7], v[165:166]
	v_mul_f64_e32 v[165:166], v[8:9], v[165:166]
	v_fma_f64 v[175:176], v[4:5], v[38:39], v[175:176]
	v_fma_f64 v[183:184], v[2:3], v[38:39], -v[40:41]
	ds_load_b128 v[2:5], v1 offset:1328
	scratch_load_b128 v[38:41], off, off offset:512
	v_add_f64_e32 v[171:172], v[171:172], v[181:182]
	v_add_f64_e32 v[173:174], v[173:174], v[179:180]
	v_fma_f64 v[177:178], v[8:9], v[163:164], v[177:178]
	v_fma_f64 v[181:182], v[6:7], v[163:164], -v[165:166]
	ds_load_b128 v[6:9], v1 offset:1344
	s_wait_loadcnt_dscnt 0x801
	v_mul_f64_e32 v[179:180], v[2:3], v[12:13]
	v_mul_f64_e32 v[12:13], v[4:5], v[12:13]
	scratch_load_b128 v[163:166], off, off offset:528
	v_add_f64_e32 v[171:172], v[171:172], v[183:184]
	v_add_f64_e32 v[173:174], v[173:174], v[175:176]
	s_wait_loadcnt_dscnt 0x800
	v_mul_f64_e32 v[175:176], v[6:7], v[16:17]
	v_mul_f64_e32 v[16:17], v[8:9], v[16:17]
	v_fma_f64 v[179:180], v[4:5], v[10:11], v[179:180]
	v_fma_f64 v[183:184], v[2:3], v[10:11], -v[12:13]
	ds_load_b128 v[2:5], v1 offset:1360
	scratch_load_b128 v[10:13], off, off offset:544
	v_add_f64_e32 v[171:172], v[171:172], v[181:182]
	v_add_f64_e32 v[173:174], v[173:174], v[177:178]
	v_fma_f64 v[175:176], v[8:9], v[14:15], v[175:176]
	v_fma_f64 v[181:182], v[6:7], v[14:15], -v[16:17]
	ds_load_b128 v[6:9], v1 offset:1376
	s_wait_loadcnt_dscnt 0x801
	v_mul_f64_e32 v[177:178], v[2:3], v[20:21]
	v_mul_f64_e32 v[20:21], v[4:5], v[20:21]
	scratch_load_b128 v[14:17], off, off offset:560
	;; [unrolled: 18-line block ×14, first 2 shown]
	v_add_f64_e32 v[171:172], v[171:172], v[183:184]
	v_add_f64_e32 v[173:174], v[173:174], v[179:180]
	s_wait_loadcnt_dscnt 0x800
	v_mul_f64_e32 v[179:180], v[6:7], v[169:170]
	v_mul_f64_e32 v[169:170], v[8:9], v[169:170]
	v_fma_f64 v[177:178], v[4:5], v[34:35], v[177:178]
	v_fma_f64 v[183:184], v[2:3], v[34:35], -v[36:37]
	ds_load_b128 v[2:5], v1 offset:1776
	scratch_load_b128 v[34:37], off, off offset:960
	v_add_f64_e32 v[171:172], v[171:172], v[181:182]
	v_add_f64_e32 v[173:174], v[173:174], v[175:176]
	v_fma_f64 v[179:180], v[8:9], v[167:168], v[179:180]
	v_fma_f64 v[167:168], v[6:7], v[167:168], -v[169:170]
	ds_load_b128 v[6:9], v1 offset:1792
	s_wait_loadcnt_dscnt 0x801
	v_mul_f64_e32 v[175:176], v[2:3], v[40:41]
	v_mul_f64_e32 v[40:41], v[4:5], v[40:41]
	v_add_f64_e32 v[169:170], v[171:172], v[183:184]
	v_add_f64_e32 v[171:172], v[173:174], v[177:178]
	s_wait_loadcnt_dscnt 0x700
	v_mul_f64_e32 v[173:174], v[6:7], v[165:166]
	v_mul_f64_e32 v[165:166], v[8:9], v[165:166]
	v_fma_f64 v[175:176], v[4:5], v[38:39], v[175:176]
	v_fma_f64 v[38:39], v[2:3], v[38:39], -v[40:41]
	ds_load_b128 v[2:5], v1 offset:1808
	v_add_f64_e32 v[40:41], v[169:170], v[167:168]
	v_add_f64_e32 v[167:168], v[171:172], v[179:180]
	v_fma_f64 v[171:172], v[8:9], v[163:164], v[173:174]
	v_fma_f64 v[163:164], v[6:7], v[163:164], -v[165:166]
	ds_load_b128 v[6:9], v1 offset:1824
	s_wait_loadcnt_dscnt 0x500
	v_mul_f64_e32 v[173:174], v[6:7], v[16:17]
	v_mul_f64_e32 v[16:17], v[8:9], v[16:17]
	v_add_f64_e32 v[165:166], v[40:41], v[38:39]
	v_add_f64_e32 v[167:168], v[167:168], v[175:176]
	scratch_load_b128 v[38:41], off, off offset:176
	v_mul_f64_e32 v[169:170], v[2:3], v[12:13]
	v_mul_f64_e32 v[12:13], v[4:5], v[12:13]
	s_delay_alu instid0(VALU_DEP_2) | instskip(NEXT) | instid1(VALU_DEP_2)
	v_fma_f64 v[169:170], v[4:5], v[10:11], v[169:170]
	v_fma_f64 v[10:11], v[2:3], v[10:11], -v[12:13]
	v_add_f64_e32 v[12:13], v[165:166], v[163:164]
	v_add_f64_e32 v[163:164], v[167:168], v[171:172]
	ds_load_b128 v[2:5], v1 offset:1840
	v_fma_f64 v[167:168], v[8:9], v[14:15], v[173:174]
	v_fma_f64 v[14:15], v[6:7], v[14:15], -v[16:17]
	ds_load_b128 v[6:9], v1 offset:1856
	s_wait_loadcnt_dscnt 0x501
	v_mul_f64_e32 v[165:166], v[2:3], v[20:21]
	v_mul_f64_e32 v[20:21], v[4:5], v[20:21]
	s_wait_loadcnt_dscnt 0x400
	v_mul_f64_e32 v[16:17], v[6:7], v[24:25]
	v_mul_f64_e32 v[24:25], v[8:9], v[24:25]
	v_add_f64_e32 v[10:11], v[12:13], v[10:11]
	v_add_f64_e32 v[12:13], v[163:164], v[169:170]
	v_fma_f64 v[163:164], v[4:5], v[18:19], v[165:166]
	v_fma_f64 v[18:19], v[2:3], v[18:19], -v[20:21]
	ds_load_b128 v[2:5], v1 offset:1872
	v_fma_f64 v[16:17], v[8:9], v[22:23], v[16:17]
	v_fma_f64 v[22:23], v[6:7], v[22:23], -v[24:25]
	ds_load_b128 v[6:9], v1 offset:1888
	v_add_f64_e32 v[10:11], v[10:11], v[14:15]
	v_add_f64_e32 v[12:13], v[12:13], v[167:168]
	s_wait_loadcnt_dscnt 0x301
	v_mul_f64_e32 v[14:15], v[2:3], v[28:29]
	v_mul_f64_e32 v[20:21], v[4:5], v[28:29]
	s_wait_loadcnt_dscnt 0x200
	v_mul_f64_e32 v[24:25], v[8:9], v[32:33]
	v_add_f64_e32 v[10:11], v[10:11], v[18:19]
	v_add_f64_e32 v[12:13], v[12:13], v[163:164]
	v_mul_f64_e32 v[18:19], v[6:7], v[32:33]
	v_fma_f64 v[14:15], v[4:5], v[26:27], v[14:15]
	v_fma_f64 v[20:21], v[2:3], v[26:27], -v[20:21]
	ds_load_b128 v[2:5], v1 offset:1904
	v_fma_f64 v[6:7], v[6:7], v[30:31], -v[24:25]
	v_add_f64_e32 v[10:11], v[10:11], v[22:23]
	v_add_f64_e32 v[12:13], v[12:13], v[16:17]
	s_wait_loadcnt_dscnt 0x100
	v_mul_f64_e32 v[16:17], v[2:3], v[36:37]
	v_mul_f64_e32 v[22:23], v[4:5], v[36:37]
	v_fma_f64 v[8:9], v[8:9], v[30:31], v[18:19]
	v_add_f64_e32 v[10:11], v[10:11], v[20:21]
	v_add_f64_e32 v[12:13], v[12:13], v[14:15]
	v_fma_f64 v[4:5], v[4:5], v[34:35], v[16:17]
	v_fma_f64 v[2:3], v[2:3], v[34:35], -v[22:23]
	s_delay_alu instid0(VALU_DEP_4) | instskip(NEXT) | instid1(VALU_DEP_4)
	v_add_f64_e32 v[6:7], v[10:11], v[6:7]
	v_add_f64_e32 v[8:9], v[12:13], v[8:9]
	s_delay_alu instid0(VALU_DEP_2) | instskip(NEXT) | instid1(VALU_DEP_2)
	v_add_f64_e32 v[2:3], v[6:7], v[2:3]
	v_add_f64_e32 v[4:5], v[8:9], v[4:5]
	s_wait_loadcnt 0x0
	s_delay_alu instid0(VALU_DEP_2) | instskip(NEXT) | instid1(VALU_DEP_2)
	v_add_f64_e64 v[2:3], v[38:39], -v[2:3]
	v_add_f64_e64 v[4:5], v[40:41], -v[4:5]
	scratch_store_b128 off, v[2:5], off offset:176
	v_cmpx_lt_u32_e32 9, v0
	s_cbranch_execz .LBB59_355
; %bb.354:
	scratch_load_b128 v[5:8], off, s64
	v_dual_mov_b32 v2, v1 :: v_dual_mov_b32 v3, v1
	v_mov_b32_e32 v4, v1
	scratch_store_b128 off, v[1:4], off offset:160
	s_wait_loadcnt 0x0
	ds_store_b128 v162, v[5:8]
.LBB59_355:
	s_wait_alu 0xfffe
	s_or_b32 exec_lo, exec_lo, s0
	s_wait_storecnt_dscnt 0x0
	s_barrier_signal -1
	s_barrier_wait -1
	global_inv scope:SCOPE_SE
	s_clause 0x7
	scratch_load_b128 v[2:5], off, off offset:176
	scratch_load_b128 v[6:9], off, off offset:192
	;; [unrolled: 1-line block ×8, first 2 shown]
	ds_load_b128 v[38:41], v1 offset:1120
	ds_load_b128 v[163:166], v1 offset:1136
	s_clause 0x1
	scratch_load_b128 v[34:37], off, off offset:304
	scratch_load_b128 v[167:170], off, off offset:320
	s_mov_b32 s0, exec_lo
	s_wait_loadcnt_dscnt 0x901
	v_mul_f64_e32 v[171:172], v[40:41], v[4:5]
	v_mul_f64_e32 v[4:5], v[38:39], v[4:5]
	s_wait_loadcnt_dscnt 0x800
	v_mul_f64_e32 v[173:174], v[163:164], v[8:9]
	v_mul_f64_e32 v[8:9], v[165:166], v[8:9]
	s_delay_alu instid0(VALU_DEP_4) | instskip(NEXT) | instid1(VALU_DEP_4)
	v_fma_f64 v[171:172], v[38:39], v[2:3], -v[171:172]
	v_fma_f64 v[175:176], v[40:41], v[2:3], v[4:5]
	ds_load_b128 v[2:5], v1 offset:1152
	scratch_load_b128 v[38:41], off, off offset:336
	v_fma_f64 v[173:174], v[165:166], v[6:7], v[173:174]
	v_fma_f64 v[179:180], v[163:164], v[6:7], -v[8:9]
	ds_load_b128 v[6:9], v1 offset:1168
	scratch_load_b128 v[163:166], off, off offset:352
	s_wait_loadcnt_dscnt 0x901
	v_mul_f64_e32 v[177:178], v[2:3], v[12:13]
	v_mul_f64_e32 v[12:13], v[4:5], v[12:13]
	s_wait_loadcnt_dscnt 0x800
	v_mul_f64_e32 v[181:182], v[6:7], v[16:17]
	v_mul_f64_e32 v[16:17], v[8:9], v[16:17]
	v_add_f64_e32 v[171:172], 0, v[171:172]
	v_add_f64_e32 v[175:176], 0, v[175:176]
	v_fma_f64 v[177:178], v[4:5], v[10:11], v[177:178]
	v_fma_f64 v[183:184], v[2:3], v[10:11], -v[12:13]
	ds_load_b128 v[2:5], v1 offset:1184
	scratch_load_b128 v[10:13], off, off offset:368
	v_add_f64_e32 v[171:172], v[171:172], v[179:180]
	v_add_f64_e32 v[173:174], v[175:176], v[173:174]
	v_fma_f64 v[179:180], v[8:9], v[14:15], v[181:182]
	v_fma_f64 v[181:182], v[6:7], v[14:15], -v[16:17]
	ds_load_b128 v[6:9], v1 offset:1200
	scratch_load_b128 v[14:17], off, off offset:384
	s_wait_loadcnt_dscnt 0x901
	v_mul_f64_e32 v[175:176], v[2:3], v[20:21]
	v_mul_f64_e32 v[20:21], v[4:5], v[20:21]
	v_add_f64_e32 v[171:172], v[171:172], v[183:184]
	v_add_f64_e32 v[173:174], v[173:174], v[177:178]
	s_wait_loadcnt_dscnt 0x800
	v_mul_f64_e32 v[177:178], v[6:7], v[24:25]
	v_mul_f64_e32 v[24:25], v[8:9], v[24:25]
	v_fma_f64 v[175:176], v[4:5], v[18:19], v[175:176]
	v_fma_f64 v[183:184], v[2:3], v[18:19], -v[20:21]
	ds_load_b128 v[2:5], v1 offset:1216
	scratch_load_b128 v[18:21], off, off offset:400
	v_add_f64_e32 v[171:172], v[171:172], v[181:182]
	v_add_f64_e32 v[173:174], v[173:174], v[179:180]
	v_fma_f64 v[177:178], v[8:9], v[22:23], v[177:178]
	v_fma_f64 v[181:182], v[6:7], v[22:23], -v[24:25]
	ds_load_b128 v[6:9], v1 offset:1232
	s_wait_loadcnt_dscnt 0x801
	v_mul_f64_e32 v[179:180], v[2:3], v[28:29]
	v_mul_f64_e32 v[28:29], v[4:5], v[28:29]
	scratch_load_b128 v[22:25], off, off offset:416
	v_add_f64_e32 v[171:172], v[171:172], v[183:184]
	v_add_f64_e32 v[173:174], v[173:174], v[175:176]
	s_wait_loadcnt_dscnt 0x800
	v_mul_f64_e32 v[175:176], v[6:7], v[32:33]
	v_mul_f64_e32 v[32:33], v[8:9], v[32:33]
	v_fma_f64 v[179:180], v[4:5], v[26:27], v[179:180]
	v_fma_f64 v[183:184], v[2:3], v[26:27], -v[28:29]
	ds_load_b128 v[2:5], v1 offset:1248
	scratch_load_b128 v[26:29], off, off offset:432
	v_add_f64_e32 v[171:172], v[171:172], v[181:182]
	v_add_f64_e32 v[173:174], v[173:174], v[177:178]
	v_fma_f64 v[175:176], v[8:9], v[30:31], v[175:176]
	v_fma_f64 v[181:182], v[6:7], v[30:31], -v[32:33]
	ds_load_b128 v[6:9], v1 offset:1264
	s_wait_loadcnt_dscnt 0x801
	v_mul_f64_e32 v[177:178], v[2:3], v[36:37]
	v_mul_f64_e32 v[36:37], v[4:5], v[36:37]
	scratch_load_b128 v[30:33], off, off offset:448
	v_add_f64_e32 v[171:172], v[171:172], v[183:184]
	v_add_f64_e32 v[173:174], v[173:174], v[179:180]
	s_wait_loadcnt_dscnt 0x800
	v_mul_f64_e32 v[179:180], v[6:7], v[169:170]
	v_mul_f64_e32 v[169:170], v[8:9], v[169:170]
	v_fma_f64 v[177:178], v[4:5], v[34:35], v[177:178]
	v_fma_f64 v[183:184], v[2:3], v[34:35], -v[36:37]
	ds_load_b128 v[2:5], v1 offset:1280
	scratch_load_b128 v[34:37], off, off offset:464
	v_add_f64_e32 v[171:172], v[171:172], v[181:182]
	v_add_f64_e32 v[173:174], v[173:174], v[175:176]
	v_fma_f64 v[179:180], v[8:9], v[167:168], v[179:180]
	v_fma_f64 v[181:182], v[6:7], v[167:168], -v[169:170]
	ds_load_b128 v[6:9], v1 offset:1296
	scratch_load_b128 v[167:170], off, off offset:480
	s_wait_loadcnt_dscnt 0x901
	v_mul_f64_e32 v[175:176], v[2:3], v[40:41]
	v_mul_f64_e32 v[40:41], v[4:5], v[40:41]
	v_add_f64_e32 v[171:172], v[171:172], v[183:184]
	v_add_f64_e32 v[173:174], v[173:174], v[177:178]
	s_wait_loadcnt_dscnt 0x800
	v_mul_f64_e32 v[177:178], v[6:7], v[165:166]
	v_mul_f64_e32 v[165:166], v[8:9], v[165:166]
	v_fma_f64 v[175:176], v[4:5], v[38:39], v[175:176]
	v_fma_f64 v[183:184], v[2:3], v[38:39], -v[40:41]
	ds_load_b128 v[2:5], v1 offset:1312
	scratch_load_b128 v[38:41], off, off offset:496
	v_add_f64_e32 v[171:172], v[171:172], v[181:182]
	v_add_f64_e32 v[173:174], v[173:174], v[179:180]
	v_fma_f64 v[177:178], v[8:9], v[163:164], v[177:178]
	v_fma_f64 v[181:182], v[6:7], v[163:164], -v[165:166]
	ds_load_b128 v[6:9], v1 offset:1328
	s_wait_loadcnt_dscnt 0x801
	v_mul_f64_e32 v[179:180], v[2:3], v[12:13]
	v_mul_f64_e32 v[12:13], v[4:5], v[12:13]
	scratch_load_b128 v[163:166], off, off offset:512
	v_add_f64_e32 v[171:172], v[171:172], v[183:184]
	v_add_f64_e32 v[173:174], v[173:174], v[175:176]
	s_wait_loadcnt_dscnt 0x800
	v_mul_f64_e32 v[175:176], v[6:7], v[16:17]
	v_mul_f64_e32 v[16:17], v[8:9], v[16:17]
	v_fma_f64 v[179:180], v[4:5], v[10:11], v[179:180]
	v_fma_f64 v[183:184], v[2:3], v[10:11], -v[12:13]
	ds_load_b128 v[2:5], v1 offset:1344
	scratch_load_b128 v[10:13], off, off offset:528
	v_add_f64_e32 v[171:172], v[171:172], v[181:182]
	v_add_f64_e32 v[173:174], v[173:174], v[177:178]
	v_fma_f64 v[175:176], v[8:9], v[14:15], v[175:176]
	v_fma_f64 v[181:182], v[6:7], v[14:15], -v[16:17]
	ds_load_b128 v[6:9], v1 offset:1360
	s_wait_loadcnt_dscnt 0x801
	v_mul_f64_e32 v[177:178], v[2:3], v[20:21]
	v_mul_f64_e32 v[20:21], v[4:5], v[20:21]
	scratch_load_b128 v[14:17], off, off offset:544
	;; [unrolled: 18-line block ×6, first 2 shown]
	v_add_f64_e32 v[171:172], v[171:172], v[183:184]
	v_add_f64_e32 v[173:174], v[173:174], v[177:178]
	s_wait_loadcnt_dscnt 0x800
	v_mul_f64_e32 v[177:178], v[6:7], v[16:17]
	v_mul_f64_e32 v[16:17], v[8:9], v[16:17]
	v_fma_f64 v[175:176], v[4:5], v[10:11], v[175:176]
	v_fma_f64 v[183:184], v[2:3], v[10:11], -v[12:13]
	scratch_load_b128 v[10:13], off, off offset:688
	ds_load_b128 v[2:5], v1 offset:1504
	v_add_f64_e32 v[171:172], v[171:172], v[181:182]
	v_add_f64_e32 v[173:174], v[173:174], v[179:180]
	v_fma_f64 v[177:178], v[8:9], v[14:15], v[177:178]
	v_fma_f64 v[181:182], v[6:7], v[14:15], -v[16:17]
	ds_load_b128 v[6:9], v1 offset:1520
	s_wait_loadcnt_dscnt 0x801
	v_mul_f64_e32 v[179:180], v[2:3], v[20:21]
	v_mul_f64_e32 v[20:21], v[4:5], v[20:21]
	scratch_load_b128 v[14:17], off, off offset:704
	v_add_f64_e32 v[171:172], v[171:172], v[183:184]
	v_add_f64_e32 v[173:174], v[173:174], v[175:176]
	s_wait_loadcnt_dscnt 0x800
	v_mul_f64_e32 v[175:176], v[6:7], v[24:25]
	v_mul_f64_e32 v[24:25], v[8:9], v[24:25]
	v_fma_f64 v[179:180], v[4:5], v[18:19], v[179:180]
	v_fma_f64 v[183:184], v[2:3], v[18:19], -v[20:21]
	ds_load_b128 v[2:5], v1 offset:1536
	scratch_load_b128 v[18:21], off, off offset:720
	v_add_f64_e32 v[171:172], v[171:172], v[181:182]
	v_add_f64_e32 v[173:174], v[173:174], v[177:178]
	v_fma_f64 v[175:176], v[8:9], v[22:23], v[175:176]
	v_fma_f64 v[181:182], v[6:7], v[22:23], -v[24:25]
	ds_load_b128 v[6:9], v1 offset:1552
	s_wait_loadcnt_dscnt 0x801
	v_mul_f64_e32 v[177:178], v[2:3], v[28:29]
	v_mul_f64_e32 v[28:29], v[4:5], v[28:29]
	scratch_load_b128 v[22:25], off, off offset:736
	v_add_f64_e32 v[171:172], v[171:172], v[183:184]
	v_add_f64_e32 v[173:174], v[173:174], v[179:180]
	s_wait_loadcnt_dscnt 0x800
	v_mul_f64_e32 v[179:180], v[6:7], v[32:33]
	v_mul_f64_e32 v[32:33], v[8:9], v[32:33]
	v_fma_f64 v[177:178], v[4:5], v[26:27], v[177:178]
	v_fma_f64 v[183:184], v[2:3], v[26:27], -v[28:29]
	ds_load_b128 v[2:5], v1 offset:1568
	scratch_load_b128 v[26:29], off, off offset:752
	;; [unrolled: 18-line block ×4, first 2 shown]
	v_add_f64_e32 v[171:172], v[171:172], v[181:182]
	v_add_f64_e32 v[173:174], v[173:174], v[177:178]
	v_fma_f64 v[175:176], v[8:9], v[163:164], v[175:176]
	v_fma_f64 v[181:182], v[6:7], v[163:164], -v[165:166]
	ds_load_b128 v[6:9], v1 offset:1648
	s_wait_loadcnt_dscnt 0x801
	v_mul_f64_e32 v[177:178], v[2:3], v[12:13]
	v_mul_f64_e32 v[12:13], v[4:5], v[12:13]
	scratch_load_b128 v[163:166], off, off offset:832
	v_add_f64_e32 v[171:172], v[171:172], v[183:184]
	v_add_f64_e32 v[173:174], v[173:174], v[179:180]
	s_wait_loadcnt_dscnt 0x800
	v_mul_f64_e32 v[179:180], v[6:7], v[16:17]
	v_mul_f64_e32 v[16:17], v[8:9], v[16:17]
	v_fma_f64 v[177:178], v[4:5], v[10:11], v[177:178]
	v_fma_f64 v[183:184], v[2:3], v[10:11], -v[12:13]
	scratch_load_b128 v[10:13], off, off offset:848
	ds_load_b128 v[2:5], v1 offset:1664
	v_add_f64_e32 v[171:172], v[171:172], v[181:182]
	v_add_f64_e32 v[173:174], v[173:174], v[175:176]
	v_fma_f64 v[179:180], v[8:9], v[14:15], v[179:180]
	v_fma_f64 v[181:182], v[6:7], v[14:15], -v[16:17]
	ds_load_b128 v[6:9], v1 offset:1680
	s_wait_loadcnt_dscnt 0x801
	v_mul_f64_e32 v[175:176], v[2:3], v[20:21]
	v_mul_f64_e32 v[20:21], v[4:5], v[20:21]
	scratch_load_b128 v[14:17], off, off offset:864
	v_add_f64_e32 v[171:172], v[171:172], v[183:184]
	v_add_f64_e32 v[173:174], v[173:174], v[177:178]
	s_wait_loadcnt_dscnt 0x800
	v_mul_f64_e32 v[177:178], v[6:7], v[24:25]
	v_mul_f64_e32 v[24:25], v[8:9], v[24:25]
	v_fma_f64 v[175:176], v[4:5], v[18:19], v[175:176]
	v_fma_f64 v[183:184], v[2:3], v[18:19], -v[20:21]
	ds_load_b128 v[2:5], v1 offset:1696
	scratch_load_b128 v[18:21], off, off offset:880
	v_add_f64_e32 v[171:172], v[171:172], v[181:182]
	v_add_f64_e32 v[173:174], v[173:174], v[179:180]
	v_fma_f64 v[177:178], v[8:9], v[22:23], v[177:178]
	v_fma_f64 v[181:182], v[6:7], v[22:23], -v[24:25]
	ds_load_b128 v[6:9], v1 offset:1712
	s_wait_loadcnt_dscnt 0x801
	v_mul_f64_e32 v[179:180], v[2:3], v[28:29]
	v_mul_f64_e32 v[28:29], v[4:5], v[28:29]
	scratch_load_b128 v[22:25], off, off offset:896
	v_add_f64_e32 v[171:172], v[171:172], v[183:184]
	v_add_f64_e32 v[173:174], v[173:174], v[175:176]
	s_wait_loadcnt_dscnt 0x800
	v_mul_f64_e32 v[175:176], v[6:7], v[32:33]
	v_mul_f64_e32 v[32:33], v[8:9], v[32:33]
	v_fma_f64 v[179:180], v[4:5], v[26:27], v[179:180]
	v_fma_f64 v[183:184], v[2:3], v[26:27], -v[28:29]
	ds_load_b128 v[2:5], v1 offset:1728
	scratch_load_b128 v[26:29], off, off offset:912
	;; [unrolled: 18-line block ×3, first 2 shown]
	v_add_f64_e32 v[171:172], v[171:172], v[181:182]
	v_add_f64_e32 v[173:174], v[173:174], v[175:176]
	v_fma_f64 v[179:180], v[8:9], v[167:168], v[179:180]
	v_fma_f64 v[181:182], v[6:7], v[167:168], -v[169:170]
	ds_load_b128 v[6:9], v1 offset:1776
	s_wait_loadcnt_dscnt 0x801
	v_mul_f64_e32 v[175:176], v[2:3], v[40:41]
	v_mul_f64_e32 v[40:41], v[4:5], v[40:41]
	scratch_load_b128 v[167:170], off, off offset:960
	v_add_f64_e32 v[171:172], v[171:172], v[183:184]
	v_add_f64_e32 v[173:174], v[173:174], v[177:178]
	v_fma_f64 v[175:176], v[4:5], v[38:39], v[175:176]
	v_fma_f64 v[38:39], v[2:3], v[38:39], -v[40:41]
	ds_load_b128 v[2:5], v1 offset:1792
	v_add_f64_e32 v[40:41], v[171:172], v[181:182]
	v_add_f64_e32 v[171:172], v[173:174], v[179:180]
	s_wait_loadcnt_dscnt 0x700
	v_mul_f64_e32 v[173:174], v[2:3], v[12:13]
	v_mul_f64_e32 v[12:13], v[4:5], v[12:13]
	s_delay_alu instid0(VALU_DEP_4) | instskip(NEXT) | instid1(VALU_DEP_4)
	v_add_f64_e32 v[38:39], v[40:41], v[38:39]
	v_add_f64_e32 v[40:41], v[171:172], v[175:176]
	s_delay_alu instid0(VALU_DEP_4) | instskip(NEXT) | instid1(VALU_DEP_4)
	v_fma_f64 v[171:172], v[4:5], v[10:11], v[173:174]
	v_fma_f64 v[173:174], v[2:3], v[10:11], -v[12:13]
	scratch_load_b128 v[10:13], off, off offset:160
	v_mul_f64_e32 v[177:178], v[6:7], v[165:166]
	v_mul_f64_e32 v[165:166], v[8:9], v[165:166]
	ds_load_b128 v[2:5], v1 offset:1824
	v_fma_f64 v[177:178], v[8:9], v[163:164], v[177:178]
	v_fma_f64 v[163:164], v[6:7], v[163:164], -v[165:166]
	ds_load_b128 v[6:9], v1 offset:1808
	s_wait_loadcnt_dscnt 0x700
	v_mul_f64_e32 v[165:166], v[6:7], v[16:17]
	v_mul_f64_e32 v[16:17], v[8:9], v[16:17]
	v_add_f64_e32 v[40:41], v[40:41], v[177:178]
	v_add_f64_e32 v[38:39], v[38:39], v[163:164]
	s_wait_loadcnt 0x6
	v_mul_f64_e32 v[163:164], v[2:3], v[20:21]
	v_mul_f64_e32 v[20:21], v[4:5], v[20:21]
	v_fma_f64 v[165:166], v[8:9], v[14:15], v[165:166]
	v_fma_f64 v[14:15], v[6:7], v[14:15], -v[16:17]
	ds_load_b128 v[6:9], v1 offset:1840
	v_add_f64_e32 v[16:17], v[38:39], v[173:174]
	v_add_f64_e32 v[38:39], v[40:41], v[171:172]
	v_fma_f64 v[163:164], v[4:5], v[18:19], v[163:164]
	v_fma_f64 v[18:19], v[2:3], v[18:19], -v[20:21]
	ds_load_b128 v[2:5], v1 offset:1856
	s_wait_loadcnt_dscnt 0x501
	v_mul_f64_e32 v[40:41], v[6:7], v[24:25]
	v_mul_f64_e32 v[24:25], v[8:9], v[24:25]
	s_wait_loadcnt_dscnt 0x400
	v_mul_f64_e32 v[20:21], v[2:3], v[28:29]
	v_mul_f64_e32 v[28:29], v[4:5], v[28:29]
	v_add_f64_e32 v[14:15], v[16:17], v[14:15]
	v_add_f64_e32 v[16:17], v[38:39], v[165:166]
	v_fma_f64 v[38:39], v[8:9], v[22:23], v[40:41]
	v_fma_f64 v[22:23], v[6:7], v[22:23], -v[24:25]
	ds_load_b128 v[6:9], v1 offset:1872
	v_fma_f64 v[20:21], v[4:5], v[26:27], v[20:21]
	v_fma_f64 v[26:27], v[2:3], v[26:27], -v[28:29]
	ds_load_b128 v[2:5], v1 offset:1888
	s_wait_loadcnt_dscnt 0x301
	v_mul_f64_e32 v[24:25], v[8:9], v[32:33]
	v_add_f64_e32 v[14:15], v[14:15], v[18:19]
	v_add_f64_e32 v[16:17], v[16:17], v[163:164]
	v_mul_f64_e32 v[18:19], v[6:7], v[32:33]
	s_wait_loadcnt_dscnt 0x200
	v_mul_f64_e32 v[28:29], v[4:5], v[36:37]
	v_fma_f64 v[24:25], v[6:7], v[30:31], -v[24:25]
	v_add_f64_e32 v[14:15], v[14:15], v[22:23]
	v_add_f64_e32 v[16:17], v[16:17], v[38:39]
	v_mul_f64_e32 v[22:23], v[2:3], v[36:37]
	v_fma_f64 v[18:19], v[8:9], v[30:31], v[18:19]
	ds_load_b128 v[6:9], v1 offset:1904
	v_fma_f64 v[1:2], v[2:3], v[34:35], -v[28:29]
	v_add_f64_e32 v[14:15], v[14:15], v[26:27]
	v_add_f64_e32 v[16:17], v[16:17], v[20:21]
	s_wait_loadcnt_dscnt 0x100
	v_mul_f64_e32 v[20:21], v[6:7], v[169:170]
	v_mul_f64_e32 v[26:27], v[8:9], v[169:170]
	v_fma_f64 v[4:5], v[4:5], v[34:35], v[22:23]
	v_add_f64_e32 v[14:15], v[14:15], v[24:25]
	v_add_f64_e32 v[16:17], v[16:17], v[18:19]
	v_fma_f64 v[8:9], v[8:9], v[167:168], v[20:21]
	v_fma_f64 v[6:7], v[6:7], v[167:168], -v[26:27]
	s_delay_alu instid0(VALU_DEP_4) | instskip(NEXT) | instid1(VALU_DEP_4)
	v_add_f64_e32 v[1:2], v[14:15], v[1:2]
	v_add_f64_e32 v[3:4], v[16:17], v[4:5]
	s_delay_alu instid0(VALU_DEP_2) | instskip(NEXT) | instid1(VALU_DEP_2)
	v_add_f64_e32 v[1:2], v[1:2], v[6:7]
	v_add_f64_e32 v[3:4], v[3:4], v[8:9]
	s_wait_loadcnt 0x0
	s_delay_alu instid0(VALU_DEP_2) | instskip(NEXT) | instid1(VALU_DEP_2)
	v_add_f64_e64 v[1:2], v[10:11], -v[1:2]
	v_add_f64_e64 v[3:4], v[12:13], -v[3:4]
	scratch_store_b128 off, v[1:4], off offset:160
	v_cmpx_lt_u32_e32 8, v0
	s_cbranch_execz .LBB59_357
; %bb.356:
	scratch_load_b128 v[1:4], off, s65
	v_mov_b32_e32 v5, 0
	s_delay_alu instid0(VALU_DEP_1)
	v_dual_mov_b32 v6, v5 :: v_dual_mov_b32 v7, v5
	v_mov_b32_e32 v8, v5
	scratch_store_b128 off, v[5:8], off offset:144
	s_wait_loadcnt 0x0
	ds_store_b128 v162, v[1:4]
.LBB59_357:
	s_wait_alu 0xfffe
	s_or_b32 exec_lo, exec_lo, s0
	s_wait_storecnt_dscnt 0x0
	s_barrier_signal -1
	s_barrier_wait -1
	global_inv scope:SCOPE_SE
	s_clause 0x7
	scratch_load_b128 v[2:5], off, off offset:160
	scratch_load_b128 v[6:9], off, off offset:176
	;; [unrolled: 1-line block ×8, first 2 shown]
	v_mov_b32_e32 v1, 0
	s_clause 0x1
	scratch_load_b128 v[34:37], off, off offset:288
	scratch_load_b128 v[167:170], off, off offset:304
	s_mov_b32 s0, exec_lo
	ds_load_b128 v[38:41], v1 offset:1104
	ds_load_b128 v[163:166], v1 offset:1120
	s_wait_loadcnt_dscnt 0x901
	v_mul_f64_e32 v[171:172], v[40:41], v[4:5]
	v_mul_f64_e32 v[4:5], v[38:39], v[4:5]
	s_wait_loadcnt_dscnt 0x800
	v_mul_f64_e32 v[173:174], v[163:164], v[8:9]
	v_mul_f64_e32 v[8:9], v[165:166], v[8:9]
	s_delay_alu instid0(VALU_DEP_4) | instskip(NEXT) | instid1(VALU_DEP_4)
	v_fma_f64 v[171:172], v[38:39], v[2:3], -v[171:172]
	v_fma_f64 v[175:176], v[40:41], v[2:3], v[4:5]
	ds_load_b128 v[2:5], v1 offset:1136
	scratch_load_b128 v[38:41], off, off offset:320
	v_fma_f64 v[173:174], v[165:166], v[6:7], v[173:174]
	v_fma_f64 v[179:180], v[163:164], v[6:7], -v[8:9]
	ds_load_b128 v[6:9], v1 offset:1152
	scratch_load_b128 v[163:166], off, off offset:336
	s_wait_loadcnt_dscnt 0x901
	v_mul_f64_e32 v[177:178], v[2:3], v[12:13]
	v_mul_f64_e32 v[12:13], v[4:5], v[12:13]
	s_wait_loadcnt_dscnt 0x800
	v_mul_f64_e32 v[181:182], v[6:7], v[16:17]
	v_mul_f64_e32 v[16:17], v[8:9], v[16:17]
	v_add_f64_e32 v[171:172], 0, v[171:172]
	v_add_f64_e32 v[175:176], 0, v[175:176]
	v_fma_f64 v[177:178], v[4:5], v[10:11], v[177:178]
	v_fma_f64 v[183:184], v[2:3], v[10:11], -v[12:13]
	ds_load_b128 v[2:5], v1 offset:1168
	scratch_load_b128 v[10:13], off, off offset:352
	v_add_f64_e32 v[171:172], v[171:172], v[179:180]
	v_add_f64_e32 v[173:174], v[175:176], v[173:174]
	v_fma_f64 v[179:180], v[8:9], v[14:15], v[181:182]
	v_fma_f64 v[181:182], v[6:7], v[14:15], -v[16:17]
	ds_load_b128 v[6:9], v1 offset:1184
	scratch_load_b128 v[14:17], off, off offset:368
	s_wait_loadcnt_dscnt 0x901
	v_mul_f64_e32 v[175:176], v[2:3], v[20:21]
	v_mul_f64_e32 v[20:21], v[4:5], v[20:21]
	v_add_f64_e32 v[171:172], v[171:172], v[183:184]
	v_add_f64_e32 v[173:174], v[173:174], v[177:178]
	s_wait_loadcnt_dscnt 0x800
	v_mul_f64_e32 v[177:178], v[6:7], v[24:25]
	v_mul_f64_e32 v[24:25], v[8:9], v[24:25]
	v_fma_f64 v[175:176], v[4:5], v[18:19], v[175:176]
	v_fma_f64 v[183:184], v[2:3], v[18:19], -v[20:21]
	ds_load_b128 v[2:5], v1 offset:1200
	scratch_load_b128 v[18:21], off, off offset:384
	v_add_f64_e32 v[171:172], v[171:172], v[181:182]
	v_add_f64_e32 v[173:174], v[173:174], v[179:180]
	v_fma_f64 v[177:178], v[8:9], v[22:23], v[177:178]
	v_fma_f64 v[181:182], v[6:7], v[22:23], -v[24:25]
	ds_load_b128 v[6:9], v1 offset:1216
	s_wait_loadcnt_dscnt 0x801
	v_mul_f64_e32 v[179:180], v[2:3], v[28:29]
	v_mul_f64_e32 v[28:29], v[4:5], v[28:29]
	scratch_load_b128 v[22:25], off, off offset:400
	v_add_f64_e32 v[171:172], v[171:172], v[183:184]
	v_add_f64_e32 v[173:174], v[173:174], v[175:176]
	s_wait_loadcnt_dscnt 0x800
	v_mul_f64_e32 v[175:176], v[6:7], v[32:33]
	v_mul_f64_e32 v[32:33], v[8:9], v[32:33]
	v_fma_f64 v[179:180], v[4:5], v[26:27], v[179:180]
	v_fma_f64 v[183:184], v[2:3], v[26:27], -v[28:29]
	ds_load_b128 v[2:5], v1 offset:1232
	scratch_load_b128 v[26:29], off, off offset:416
	v_add_f64_e32 v[171:172], v[171:172], v[181:182]
	v_add_f64_e32 v[173:174], v[173:174], v[177:178]
	v_fma_f64 v[175:176], v[8:9], v[30:31], v[175:176]
	v_fma_f64 v[181:182], v[6:7], v[30:31], -v[32:33]
	ds_load_b128 v[6:9], v1 offset:1248
	s_wait_loadcnt_dscnt 0x801
	v_mul_f64_e32 v[177:178], v[2:3], v[36:37]
	v_mul_f64_e32 v[36:37], v[4:5], v[36:37]
	scratch_load_b128 v[30:33], off, off offset:432
	v_add_f64_e32 v[171:172], v[171:172], v[183:184]
	v_add_f64_e32 v[173:174], v[173:174], v[179:180]
	s_wait_loadcnt_dscnt 0x800
	v_mul_f64_e32 v[179:180], v[6:7], v[169:170]
	v_mul_f64_e32 v[169:170], v[8:9], v[169:170]
	v_fma_f64 v[177:178], v[4:5], v[34:35], v[177:178]
	v_fma_f64 v[183:184], v[2:3], v[34:35], -v[36:37]
	ds_load_b128 v[2:5], v1 offset:1264
	scratch_load_b128 v[34:37], off, off offset:448
	v_add_f64_e32 v[171:172], v[171:172], v[181:182]
	v_add_f64_e32 v[173:174], v[173:174], v[175:176]
	v_fma_f64 v[179:180], v[8:9], v[167:168], v[179:180]
	v_fma_f64 v[181:182], v[6:7], v[167:168], -v[169:170]
	ds_load_b128 v[6:9], v1 offset:1280
	scratch_load_b128 v[167:170], off, off offset:464
	s_wait_loadcnt_dscnt 0x901
	v_mul_f64_e32 v[175:176], v[2:3], v[40:41]
	v_mul_f64_e32 v[40:41], v[4:5], v[40:41]
	v_add_f64_e32 v[171:172], v[171:172], v[183:184]
	v_add_f64_e32 v[173:174], v[173:174], v[177:178]
	s_wait_loadcnt_dscnt 0x800
	v_mul_f64_e32 v[177:178], v[6:7], v[165:166]
	v_mul_f64_e32 v[165:166], v[8:9], v[165:166]
	v_fma_f64 v[175:176], v[4:5], v[38:39], v[175:176]
	v_fma_f64 v[183:184], v[2:3], v[38:39], -v[40:41]
	ds_load_b128 v[2:5], v1 offset:1296
	scratch_load_b128 v[38:41], off, off offset:480
	v_add_f64_e32 v[171:172], v[171:172], v[181:182]
	v_add_f64_e32 v[173:174], v[173:174], v[179:180]
	v_fma_f64 v[177:178], v[8:9], v[163:164], v[177:178]
	v_fma_f64 v[181:182], v[6:7], v[163:164], -v[165:166]
	ds_load_b128 v[6:9], v1 offset:1312
	s_wait_loadcnt_dscnt 0x801
	v_mul_f64_e32 v[179:180], v[2:3], v[12:13]
	v_mul_f64_e32 v[12:13], v[4:5], v[12:13]
	scratch_load_b128 v[163:166], off, off offset:496
	v_add_f64_e32 v[171:172], v[171:172], v[183:184]
	v_add_f64_e32 v[173:174], v[173:174], v[175:176]
	s_wait_loadcnt_dscnt 0x800
	v_mul_f64_e32 v[175:176], v[6:7], v[16:17]
	v_mul_f64_e32 v[16:17], v[8:9], v[16:17]
	v_fma_f64 v[179:180], v[4:5], v[10:11], v[179:180]
	v_fma_f64 v[183:184], v[2:3], v[10:11], -v[12:13]
	ds_load_b128 v[2:5], v1 offset:1328
	scratch_load_b128 v[10:13], off, off offset:512
	v_add_f64_e32 v[171:172], v[171:172], v[181:182]
	v_add_f64_e32 v[173:174], v[173:174], v[177:178]
	v_fma_f64 v[175:176], v[8:9], v[14:15], v[175:176]
	v_fma_f64 v[181:182], v[6:7], v[14:15], -v[16:17]
	ds_load_b128 v[6:9], v1 offset:1344
	s_wait_loadcnt_dscnt 0x801
	v_mul_f64_e32 v[177:178], v[2:3], v[20:21]
	v_mul_f64_e32 v[20:21], v[4:5], v[20:21]
	scratch_load_b128 v[14:17], off, off offset:528
	;; [unrolled: 18-line block ×15, first 2 shown]
	v_add_f64_e32 v[171:172], v[171:172], v[183:184]
	v_add_f64_e32 v[173:174], v[173:174], v[177:178]
	s_wait_loadcnt_dscnt 0x800
	v_mul_f64_e32 v[177:178], v[6:7], v[165:166]
	v_mul_f64_e32 v[165:166], v[8:9], v[165:166]
	v_fma_f64 v[175:176], v[4:5], v[38:39], v[175:176]
	v_fma_f64 v[183:184], v[2:3], v[38:39], -v[40:41]
	ds_load_b128 v[2:5], v1 offset:1776
	scratch_load_b128 v[38:41], off, off offset:960
	v_add_f64_e32 v[171:172], v[171:172], v[181:182]
	v_add_f64_e32 v[173:174], v[173:174], v[179:180]
	v_fma_f64 v[177:178], v[8:9], v[163:164], v[177:178]
	v_fma_f64 v[163:164], v[6:7], v[163:164], -v[165:166]
	ds_load_b128 v[6:9], v1 offset:1792
	s_wait_loadcnt_dscnt 0x801
	v_mul_f64_e32 v[179:180], v[2:3], v[12:13]
	v_mul_f64_e32 v[12:13], v[4:5], v[12:13]
	v_add_f64_e32 v[165:166], v[171:172], v[183:184]
	v_add_f64_e32 v[171:172], v[173:174], v[175:176]
	s_wait_loadcnt_dscnt 0x700
	v_mul_f64_e32 v[173:174], v[6:7], v[16:17]
	v_mul_f64_e32 v[16:17], v[8:9], v[16:17]
	v_fma_f64 v[175:176], v[4:5], v[10:11], v[179:180]
	v_fma_f64 v[10:11], v[2:3], v[10:11], -v[12:13]
	ds_load_b128 v[2:5], v1 offset:1808
	v_add_f64_e32 v[12:13], v[165:166], v[163:164]
	v_add_f64_e32 v[163:164], v[171:172], v[177:178]
	v_fma_f64 v[171:172], v[8:9], v[14:15], v[173:174]
	v_fma_f64 v[14:15], v[6:7], v[14:15], -v[16:17]
	ds_load_b128 v[6:9], v1 offset:1824
	s_wait_loadcnt_dscnt 0x500
	v_mul_f64_e32 v[173:174], v[6:7], v[24:25]
	v_mul_f64_e32 v[24:25], v[8:9], v[24:25]
	v_add_f64_e32 v[16:17], v[12:13], v[10:11]
	v_add_f64_e32 v[163:164], v[163:164], v[175:176]
	scratch_load_b128 v[10:13], off, off offset:144
	v_mul_f64_e32 v[165:166], v[2:3], v[20:21]
	v_mul_f64_e32 v[20:21], v[4:5], v[20:21]
	v_add_f64_e32 v[14:15], v[16:17], v[14:15]
	v_add_f64_e32 v[16:17], v[163:164], v[171:172]
	v_fma_f64 v[163:164], v[8:9], v[22:23], v[173:174]
	v_fma_f64 v[165:166], v[4:5], v[18:19], v[165:166]
	v_fma_f64 v[18:19], v[2:3], v[18:19], -v[20:21]
	ds_load_b128 v[2:5], v1 offset:1840
	v_fma_f64 v[22:23], v[6:7], v[22:23], -v[24:25]
	ds_load_b128 v[6:9], v1 offset:1856
	s_wait_loadcnt_dscnt 0x501
	v_mul_f64_e32 v[20:21], v[2:3], v[28:29]
	v_mul_f64_e32 v[28:29], v[4:5], v[28:29]
	s_wait_loadcnt_dscnt 0x400
	v_mul_f64_e32 v[24:25], v[8:9], v[32:33]
	v_add_f64_e32 v[16:17], v[16:17], v[165:166]
	v_add_f64_e32 v[14:15], v[14:15], v[18:19]
	v_mul_f64_e32 v[18:19], v[6:7], v[32:33]
	v_fma_f64 v[20:21], v[4:5], v[26:27], v[20:21]
	v_fma_f64 v[26:27], v[2:3], v[26:27], -v[28:29]
	ds_load_b128 v[2:5], v1 offset:1872
	v_fma_f64 v[24:25], v[6:7], v[30:31], -v[24:25]
	v_add_f64_e32 v[16:17], v[16:17], v[163:164]
	v_add_f64_e32 v[14:15], v[14:15], v[22:23]
	v_fma_f64 v[18:19], v[8:9], v[30:31], v[18:19]
	ds_load_b128 v[6:9], v1 offset:1888
	s_wait_loadcnt_dscnt 0x301
	v_mul_f64_e32 v[22:23], v[2:3], v[36:37]
	v_mul_f64_e32 v[28:29], v[4:5], v[36:37]
	v_add_f64_e32 v[16:17], v[16:17], v[20:21]
	v_add_f64_e32 v[14:15], v[14:15], v[26:27]
	s_wait_loadcnt_dscnt 0x200
	v_mul_f64_e32 v[20:21], v[6:7], v[169:170]
	v_mul_f64_e32 v[26:27], v[8:9], v[169:170]
	v_fma_f64 v[22:23], v[4:5], v[34:35], v[22:23]
	v_fma_f64 v[28:29], v[2:3], v[34:35], -v[28:29]
	ds_load_b128 v[2:5], v1 offset:1904
	v_add_f64_e32 v[16:17], v[16:17], v[18:19]
	v_add_f64_e32 v[14:15], v[14:15], v[24:25]
	s_wait_loadcnt_dscnt 0x100
	v_mul_f64_e32 v[18:19], v[2:3], v[40:41]
	v_mul_f64_e32 v[24:25], v[4:5], v[40:41]
	v_fma_f64 v[8:9], v[8:9], v[167:168], v[20:21]
	v_fma_f64 v[6:7], v[6:7], v[167:168], -v[26:27]
	v_add_f64_e32 v[16:17], v[16:17], v[22:23]
	v_add_f64_e32 v[14:15], v[14:15], v[28:29]
	v_fma_f64 v[4:5], v[4:5], v[38:39], v[18:19]
	v_fma_f64 v[2:3], v[2:3], v[38:39], -v[24:25]
	s_delay_alu instid0(VALU_DEP_4) | instskip(NEXT) | instid1(VALU_DEP_4)
	v_add_f64_e32 v[8:9], v[16:17], v[8:9]
	v_add_f64_e32 v[6:7], v[14:15], v[6:7]
	s_delay_alu instid0(VALU_DEP_2) | instskip(NEXT) | instid1(VALU_DEP_2)
	v_add_f64_e32 v[4:5], v[8:9], v[4:5]
	v_add_f64_e32 v[2:3], v[6:7], v[2:3]
	s_wait_loadcnt 0x0
	s_delay_alu instid0(VALU_DEP_2) | instskip(NEXT) | instid1(VALU_DEP_2)
	v_add_f64_e64 v[4:5], v[12:13], -v[4:5]
	v_add_f64_e64 v[2:3], v[10:11], -v[2:3]
	scratch_store_b128 off, v[2:5], off offset:144
	v_cmpx_lt_u32_e32 7, v0
	s_cbranch_execz .LBB59_359
; %bb.358:
	scratch_load_b128 v[5:8], off, s66
	v_dual_mov_b32 v2, v1 :: v_dual_mov_b32 v3, v1
	v_mov_b32_e32 v4, v1
	scratch_store_b128 off, v[1:4], off offset:128
	s_wait_loadcnt 0x0
	ds_store_b128 v162, v[5:8]
.LBB59_359:
	s_wait_alu 0xfffe
	s_or_b32 exec_lo, exec_lo, s0
	s_wait_storecnt_dscnt 0x0
	s_barrier_signal -1
	s_barrier_wait -1
	global_inv scope:SCOPE_SE
	s_clause 0x7
	scratch_load_b128 v[2:5], off, off offset:144
	scratch_load_b128 v[6:9], off, off offset:160
	;; [unrolled: 1-line block ×8, first 2 shown]
	ds_load_b128 v[38:41], v1 offset:1088
	ds_load_b128 v[163:166], v1 offset:1104
	s_clause 0x1
	scratch_load_b128 v[34:37], off, off offset:272
	scratch_load_b128 v[167:170], off, off offset:288
	s_mov_b32 s0, exec_lo
	s_wait_loadcnt_dscnt 0x901
	v_mul_f64_e32 v[171:172], v[40:41], v[4:5]
	v_mul_f64_e32 v[4:5], v[38:39], v[4:5]
	s_wait_loadcnt_dscnt 0x800
	v_mul_f64_e32 v[173:174], v[163:164], v[8:9]
	v_mul_f64_e32 v[8:9], v[165:166], v[8:9]
	s_delay_alu instid0(VALU_DEP_4) | instskip(NEXT) | instid1(VALU_DEP_4)
	v_fma_f64 v[171:172], v[38:39], v[2:3], -v[171:172]
	v_fma_f64 v[175:176], v[40:41], v[2:3], v[4:5]
	ds_load_b128 v[2:5], v1 offset:1120
	scratch_load_b128 v[38:41], off, off offset:304
	v_fma_f64 v[173:174], v[165:166], v[6:7], v[173:174]
	v_fma_f64 v[179:180], v[163:164], v[6:7], -v[8:9]
	ds_load_b128 v[6:9], v1 offset:1136
	scratch_load_b128 v[163:166], off, off offset:320
	s_wait_loadcnt_dscnt 0x901
	v_mul_f64_e32 v[177:178], v[2:3], v[12:13]
	v_mul_f64_e32 v[12:13], v[4:5], v[12:13]
	s_wait_loadcnt_dscnt 0x800
	v_mul_f64_e32 v[181:182], v[6:7], v[16:17]
	v_mul_f64_e32 v[16:17], v[8:9], v[16:17]
	v_add_f64_e32 v[171:172], 0, v[171:172]
	v_add_f64_e32 v[175:176], 0, v[175:176]
	v_fma_f64 v[177:178], v[4:5], v[10:11], v[177:178]
	v_fma_f64 v[183:184], v[2:3], v[10:11], -v[12:13]
	ds_load_b128 v[2:5], v1 offset:1152
	scratch_load_b128 v[10:13], off, off offset:336
	v_add_f64_e32 v[171:172], v[171:172], v[179:180]
	v_add_f64_e32 v[173:174], v[175:176], v[173:174]
	v_fma_f64 v[179:180], v[8:9], v[14:15], v[181:182]
	v_fma_f64 v[181:182], v[6:7], v[14:15], -v[16:17]
	ds_load_b128 v[6:9], v1 offset:1168
	scratch_load_b128 v[14:17], off, off offset:352
	s_wait_loadcnt_dscnt 0x901
	v_mul_f64_e32 v[175:176], v[2:3], v[20:21]
	v_mul_f64_e32 v[20:21], v[4:5], v[20:21]
	v_add_f64_e32 v[171:172], v[171:172], v[183:184]
	v_add_f64_e32 v[173:174], v[173:174], v[177:178]
	s_wait_loadcnt_dscnt 0x800
	v_mul_f64_e32 v[177:178], v[6:7], v[24:25]
	v_mul_f64_e32 v[24:25], v[8:9], v[24:25]
	v_fma_f64 v[175:176], v[4:5], v[18:19], v[175:176]
	v_fma_f64 v[183:184], v[2:3], v[18:19], -v[20:21]
	ds_load_b128 v[2:5], v1 offset:1184
	scratch_load_b128 v[18:21], off, off offset:368
	v_add_f64_e32 v[171:172], v[171:172], v[181:182]
	v_add_f64_e32 v[173:174], v[173:174], v[179:180]
	v_fma_f64 v[177:178], v[8:9], v[22:23], v[177:178]
	v_fma_f64 v[181:182], v[6:7], v[22:23], -v[24:25]
	ds_load_b128 v[6:9], v1 offset:1200
	s_wait_loadcnt_dscnt 0x801
	v_mul_f64_e32 v[179:180], v[2:3], v[28:29]
	v_mul_f64_e32 v[28:29], v[4:5], v[28:29]
	scratch_load_b128 v[22:25], off, off offset:384
	v_add_f64_e32 v[171:172], v[171:172], v[183:184]
	v_add_f64_e32 v[173:174], v[173:174], v[175:176]
	s_wait_loadcnt_dscnt 0x800
	v_mul_f64_e32 v[175:176], v[6:7], v[32:33]
	v_mul_f64_e32 v[32:33], v[8:9], v[32:33]
	v_fma_f64 v[179:180], v[4:5], v[26:27], v[179:180]
	v_fma_f64 v[183:184], v[2:3], v[26:27], -v[28:29]
	ds_load_b128 v[2:5], v1 offset:1216
	scratch_load_b128 v[26:29], off, off offset:400
	v_add_f64_e32 v[171:172], v[171:172], v[181:182]
	v_add_f64_e32 v[173:174], v[173:174], v[177:178]
	v_fma_f64 v[175:176], v[8:9], v[30:31], v[175:176]
	v_fma_f64 v[181:182], v[6:7], v[30:31], -v[32:33]
	ds_load_b128 v[6:9], v1 offset:1232
	s_wait_loadcnt_dscnt 0x801
	v_mul_f64_e32 v[177:178], v[2:3], v[36:37]
	v_mul_f64_e32 v[36:37], v[4:5], v[36:37]
	scratch_load_b128 v[30:33], off, off offset:416
	v_add_f64_e32 v[171:172], v[171:172], v[183:184]
	v_add_f64_e32 v[173:174], v[173:174], v[179:180]
	s_wait_loadcnt_dscnt 0x800
	v_mul_f64_e32 v[179:180], v[6:7], v[169:170]
	v_mul_f64_e32 v[169:170], v[8:9], v[169:170]
	v_fma_f64 v[177:178], v[4:5], v[34:35], v[177:178]
	v_fma_f64 v[183:184], v[2:3], v[34:35], -v[36:37]
	ds_load_b128 v[2:5], v1 offset:1248
	scratch_load_b128 v[34:37], off, off offset:432
	v_add_f64_e32 v[171:172], v[171:172], v[181:182]
	v_add_f64_e32 v[173:174], v[173:174], v[175:176]
	v_fma_f64 v[179:180], v[8:9], v[167:168], v[179:180]
	v_fma_f64 v[181:182], v[6:7], v[167:168], -v[169:170]
	ds_load_b128 v[6:9], v1 offset:1264
	scratch_load_b128 v[167:170], off, off offset:448
	s_wait_loadcnt_dscnt 0x901
	v_mul_f64_e32 v[175:176], v[2:3], v[40:41]
	v_mul_f64_e32 v[40:41], v[4:5], v[40:41]
	v_add_f64_e32 v[171:172], v[171:172], v[183:184]
	v_add_f64_e32 v[173:174], v[173:174], v[177:178]
	s_wait_loadcnt_dscnt 0x800
	v_mul_f64_e32 v[177:178], v[6:7], v[165:166]
	v_mul_f64_e32 v[165:166], v[8:9], v[165:166]
	v_fma_f64 v[175:176], v[4:5], v[38:39], v[175:176]
	v_fma_f64 v[183:184], v[2:3], v[38:39], -v[40:41]
	ds_load_b128 v[2:5], v1 offset:1280
	scratch_load_b128 v[38:41], off, off offset:464
	v_add_f64_e32 v[171:172], v[171:172], v[181:182]
	v_add_f64_e32 v[173:174], v[173:174], v[179:180]
	v_fma_f64 v[177:178], v[8:9], v[163:164], v[177:178]
	v_fma_f64 v[181:182], v[6:7], v[163:164], -v[165:166]
	ds_load_b128 v[6:9], v1 offset:1296
	s_wait_loadcnt_dscnt 0x801
	v_mul_f64_e32 v[179:180], v[2:3], v[12:13]
	v_mul_f64_e32 v[12:13], v[4:5], v[12:13]
	scratch_load_b128 v[163:166], off, off offset:480
	v_add_f64_e32 v[171:172], v[171:172], v[183:184]
	v_add_f64_e32 v[173:174], v[173:174], v[175:176]
	s_wait_loadcnt_dscnt 0x800
	v_mul_f64_e32 v[175:176], v[6:7], v[16:17]
	v_mul_f64_e32 v[16:17], v[8:9], v[16:17]
	v_fma_f64 v[179:180], v[4:5], v[10:11], v[179:180]
	v_fma_f64 v[183:184], v[2:3], v[10:11], -v[12:13]
	ds_load_b128 v[2:5], v1 offset:1312
	scratch_load_b128 v[10:13], off, off offset:496
	v_add_f64_e32 v[171:172], v[171:172], v[181:182]
	v_add_f64_e32 v[173:174], v[173:174], v[177:178]
	v_fma_f64 v[175:176], v[8:9], v[14:15], v[175:176]
	v_fma_f64 v[181:182], v[6:7], v[14:15], -v[16:17]
	ds_load_b128 v[6:9], v1 offset:1328
	s_wait_loadcnt_dscnt 0x801
	v_mul_f64_e32 v[177:178], v[2:3], v[20:21]
	v_mul_f64_e32 v[20:21], v[4:5], v[20:21]
	scratch_load_b128 v[14:17], off, off offset:512
	;; [unrolled: 18-line block ×16, first 2 shown]
	v_add_f64_e32 v[171:172], v[171:172], v[183:184]
	v_add_f64_e32 v[173:174], v[173:174], v[175:176]
	s_wait_loadcnt_dscnt 0x800
	v_mul_f64_e32 v[175:176], v[6:7], v[16:17]
	v_mul_f64_e32 v[16:17], v[8:9], v[16:17]
	v_fma_f64 v[179:180], v[4:5], v[10:11], v[179:180]
	v_fma_f64 v[10:11], v[2:3], v[10:11], -v[12:13]
	ds_load_b128 v[2:5], v1 offset:1792
	v_add_f64_e32 v[12:13], v[171:172], v[181:182]
	v_add_f64_e32 v[171:172], v[173:174], v[177:178]
	v_fma_f64 v[175:176], v[8:9], v[14:15], v[175:176]
	v_fma_f64 v[14:15], v[6:7], v[14:15], -v[16:17]
	ds_load_b128 v[6:9], v1 offset:1808
	s_wait_loadcnt_dscnt 0x701
	v_mul_f64_e32 v[173:174], v[2:3], v[20:21]
	v_mul_f64_e32 v[20:21], v[4:5], v[20:21]
	v_add_f64_e32 v[10:11], v[12:13], v[10:11]
	v_add_f64_e32 v[12:13], v[171:172], v[179:180]
	s_delay_alu instid0(VALU_DEP_4) | instskip(NEXT) | instid1(VALU_DEP_4)
	v_fma_f64 v[171:172], v[4:5], v[18:19], v[173:174]
	v_fma_f64 v[18:19], v[2:3], v[18:19], -v[20:21]
	ds_load_b128 v[2:5], v1 offset:1824
	v_add_f64_e32 v[14:15], v[10:11], v[14:15]
	v_add_f64_e32 v[20:21], v[12:13], v[175:176]
	scratch_load_b128 v[10:13], off, off offset:128
	s_wait_loadcnt_dscnt 0x701
	v_mul_f64_e32 v[16:17], v[6:7], v[24:25]
	v_mul_f64_e32 v[24:25], v[8:9], v[24:25]
	v_add_f64_e32 v[14:15], v[14:15], v[18:19]
	v_add_f64_e32 v[18:19], v[20:21], v[171:172]
	s_delay_alu instid0(VALU_DEP_4) | instskip(NEXT) | instid1(VALU_DEP_4)
	v_fma_f64 v[16:17], v[8:9], v[22:23], v[16:17]
	v_fma_f64 v[22:23], v[6:7], v[22:23], -v[24:25]
	ds_load_b128 v[6:9], v1 offset:1840
	s_wait_loadcnt_dscnt 0x601
	v_mul_f64_e32 v[173:174], v[2:3], v[28:29]
	v_mul_f64_e32 v[28:29], v[4:5], v[28:29]
	s_wait_loadcnt_dscnt 0x500
	v_mul_f64_e32 v[20:21], v[6:7], v[32:33]
	v_mul_f64_e32 v[24:25], v[8:9], v[32:33]
	v_add_f64_e32 v[16:17], v[18:19], v[16:17]
	v_add_f64_e32 v[14:15], v[14:15], v[22:23]
	v_fma_f64 v[32:33], v[4:5], v[26:27], v[173:174]
	v_fma_f64 v[26:27], v[2:3], v[26:27], -v[28:29]
	ds_load_b128 v[2:5], v1 offset:1856
	v_fma_f64 v[20:21], v[8:9], v[30:31], v[20:21]
	v_fma_f64 v[24:25], v[6:7], v[30:31], -v[24:25]
	ds_load_b128 v[6:9], v1 offset:1872
	s_wait_loadcnt_dscnt 0x401
	v_mul_f64_e32 v[18:19], v[2:3], v[36:37]
	v_mul_f64_e32 v[22:23], v[4:5], v[36:37]
	v_add_f64_e32 v[16:17], v[16:17], v[32:33]
	v_add_f64_e32 v[14:15], v[14:15], v[26:27]
	s_wait_loadcnt_dscnt 0x300
	v_mul_f64_e32 v[26:27], v[6:7], v[169:170]
	v_mul_f64_e32 v[28:29], v[8:9], v[169:170]
	v_fma_f64 v[18:19], v[4:5], v[34:35], v[18:19]
	v_fma_f64 v[22:23], v[2:3], v[34:35], -v[22:23]
	ds_load_b128 v[2:5], v1 offset:1888
	v_add_f64_e32 v[16:17], v[16:17], v[20:21]
	v_add_f64_e32 v[14:15], v[14:15], v[24:25]
	v_fma_f64 v[26:27], v[8:9], v[167:168], v[26:27]
	v_fma_f64 v[28:29], v[6:7], v[167:168], -v[28:29]
	ds_load_b128 v[6:9], v1 offset:1904
	s_wait_loadcnt_dscnt 0x201
	v_mul_f64_e32 v[20:21], v[2:3], v[40:41]
	v_mul_f64_e32 v[24:25], v[4:5], v[40:41]
	v_add_f64_e32 v[16:17], v[16:17], v[18:19]
	v_add_f64_e32 v[14:15], v[14:15], v[22:23]
	s_wait_loadcnt_dscnt 0x100
	v_mul_f64_e32 v[18:19], v[6:7], v[165:166]
	v_mul_f64_e32 v[22:23], v[8:9], v[165:166]
	v_fma_f64 v[4:5], v[4:5], v[38:39], v[20:21]
	v_fma_f64 v[1:2], v[2:3], v[38:39], -v[24:25]
	v_add_f64_e32 v[16:17], v[16:17], v[26:27]
	v_add_f64_e32 v[14:15], v[14:15], v[28:29]
	v_fma_f64 v[8:9], v[8:9], v[163:164], v[18:19]
	v_fma_f64 v[6:7], v[6:7], v[163:164], -v[22:23]
	s_delay_alu instid0(VALU_DEP_4) | instskip(NEXT) | instid1(VALU_DEP_4)
	v_add_f64_e32 v[3:4], v[16:17], v[4:5]
	v_add_f64_e32 v[1:2], v[14:15], v[1:2]
	s_delay_alu instid0(VALU_DEP_2) | instskip(NEXT) | instid1(VALU_DEP_2)
	v_add_f64_e32 v[3:4], v[3:4], v[8:9]
	v_add_f64_e32 v[1:2], v[1:2], v[6:7]
	s_wait_loadcnt 0x0
	s_delay_alu instid0(VALU_DEP_2) | instskip(NEXT) | instid1(VALU_DEP_2)
	v_add_f64_e64 v[3:4], v[12:13], -v[3:4]
	v_add_f64_e64 v[1:2], v[10:11], -v[1:2]
	scratch_store_b128 off, v[1:4], off offset:128
	v_cmpx_lt_u32_e32 6, v0
	s_cbranch_execz .LBB59_361
; %bb.360:
	scratch_load_b128 v[1:4], off, s67
	v_mov_b32_e32 v5, 0
	s_delay_alu instid0(VALU_DEP_1)
	v_dual_mov_b32 v6, v5 :: v_dual_mov_b32 v7, v5
	v_mov_b32_e32 v8, v5
	scratch_store_b128 off, v[5:8], off offset:112
	s_wait_loadcnt 0x0
	ds_store_b128 v162, v[1:4]
.LBB59_361:
	s_wait_alu 0xfffe
	s_or_b32 exec_lo, exec_lo, s0
	s_wait_storecnt_dscnt 0x0
	s_barrier_signal -1
	s_barrier_wait -1
	global_inv scope:SCOPE_SE
	s_clause 0x7
	scratch_load_b128 v[2:5], off, off offset:128
	scratch_load_b128 v[6:9], off, off offset:144
	;; [unrolled: 1-line block ×8, first 2 shown]
	v_mov_b32_e32 v1, 0
	s_clause 0x1
	scratch_load_b128 v[34:37], off, off offset:256
	scratch_load_b128 v[167:170], off, off offset:272
	s_mov_b32 s0, exec_lo
	ds_load_b128 v[38:41], v1 offset:1072
	ds_load_b128 v[163:166], v1 offset:1088
	s_wait_loadcnt_dscnt 0x901
	v_mul_f64_e32 v[171:172], v[40:41], v[4:5]
	v_mul_f64_e32 v[4:5], v[38:39], v[4:5]
	s_wait_loadcnt_dscnt 0x800
	v_mul_f64_e32 v[173:174], v[163:164], v[8:9]
	v_mul_f64_e32 v[8:9], v[165:166], v[8:9]
	s_delay_alu instid0(VALU_DEP_4) | instskip(NEXT) | instid1(VALU_DEP_4)
	v_fma_f64 v[171:172], v[38:39], v[2:3], -v[171:172]
	v_fma_f64 v[175:176], v[40:41], v[2:3], v[4:5]
	ds_load_b128 v[2:5], v1 offset:1104
	scratch_load_b128 v[38:41], off, off offset:288
	v_fma_f64 v[173:174], v[165:166], v[6:7], v[173:174]
	v_fma_f64 v[179:180], v[163:164], v[6:7], -v[8:9]
	ds_load_b128 v[6:9], v1 offset:1120
	scratch_load_b128 v[163:166], off, off offset:304
	s_wait_loadcnt_dscnt 0x901
	v_mul_f64_e32 v[177:178], v[2:3], v[12:13]
	v_mul_f64_e32 v[12:13], v[4:5], v[12:13]
	s_wait_loadcnt_dscnt 0x800
	v_mul_f64_e32 v[181:182], v[6:7], v[16:17]
	v_mul_f64_e32 v[16:17], v[8:9], v[16:17]
	v_add_f64_e32 v[171:172], 0, v[171:172]
	v_add_f64_e32 v[175:176], 0, v[175:176]
	v_fma_f64 v[177:178], v[4:5], v[10:11], v[177:178]
	v_fma_f64 v[183:184], v[2:3], v[10:11], -v[12:13]
	ds_load_b128 v[2:5], v1 offset:1136
	scratch_load_b128 v[10:13], off, off offset:320
	v_add_f64_e32 v[171:172], v[171:172], v[179:180]
	v_add_f64_e32 v[173:174], v[175:176], v[173:174]
	v_fma_f64 v[179:180], v[8:9], v[14:15], v[181:182]
	v_fma_f64 v[181:182], v[6:7], v[14:15], -v[16:17]
	ds_load_b128 v[6:9], v1 offset:1152
	scratch_load_b128 v[14:17], off, off offset:336
	s_wait_loadcnt_dscnt 0x901
	v_mul_f64_e32 v[175:176], v[2:3], v[20:21]
	v_mul_f64_e32 v[20:21], v[4:5], v[20:21]
	v_add_f64_e32 v[171:172], v[171:172], v[183:184]
	v_add_f64_e32 v[173:174], v[173:174], v[177:178]
	s_wait_loadcnt_dscnt 0x800
	v_mul_f64_e32 v[177:178], v[6:7], v[24:25]
	v_mul_f64_e32 v[24:25], v[8:9], v[24:25]
	v_fma_f64 v[175:176], v[4:5], v[18:19], v[175:176]
	v_fma_f64 v[183:184], v[2:3], v[18:19], -v[20:21]
	ds_load_b128 v[2:5], v1 offset:1168
	scratch_load_b128 v[18:21], off, off offset:352
	v_add_f64_e32 v[171:172], v[171:172], v[181:182]
	v_add_f64_e32 v[173:174], v[173:174], v[179:180]
	v_fma_f64 v[177:178], v[8:9], v[22:23], v[177:178]
	v_fma_f64 v[181:182], v[6:7], v[22:23], -v[24:25]
	ds_load_b128 v[6:9], v1 offset:1184
	s_wait_loadcnt_dscnt 0x801
	v_mul_f64_e32 v[179:180], v[2:3], v[28:29]
	v_mul_f64_e32 v[28:29], v[4:5], v[28:29]
	scratch_load_b128 v[22:25], off, off offset:368
	v_add_f64_e32 v[171:172], v[171:172], v[183:184]
	v_add_f64_e32 v[173:174], v[173:174], v[175:176]
	s_wait_loadcnt_dscnt 0x800
	v_mul_f64_e32 v[175:176], v[6:7], v[32:33]
	v_mul_f64_e32 v[32:33], v[8:9], v[32:33]
	v_fma_f64 v[179:180], v[4:5], v[26:27], v[179:180]
	v_fma_f64 v[183:184], v[2:3], v[26:27], -v[28:29]
	ds_load_b128 v[2:5], v1 offset:1200
	scratch_load_b128 v[26:29], off, off offset:384
	v_add_f64_e32 v[171:172], v[171:172], v[181:182]
	v_add_f64_e32 v[173:174], v[173:174], v[177:178]
	v_fma_f64 v[175:176], v[8:9], v[30:31], v[175:176]
	v_fma_f64 v[181:182], v[6:7], v[30:31], -v[32:33]
	ds_load_b128 v[6:9], v1 offset:1216
	s_wait_loadcnt_dscnt 0x801
	v_mul_f64_e32 v[177:178], v[2:3], v[36:37]
	v_mul_f64_e32 v[36:37], v[4:5], v[36:37]
	scratch_load_b128 v[30:33], off, off offset:400
	v_add_f64_e32 v[171:172], v[171:172], v[183:184]
	v_add_f64_e32 v[173:174], v[173:174], v[179:180]
	s_wait_loadcnt_dscnt 0x800
	v_mul_f64_e32 v[179:180], v[6:7], v[169:170]
	v_mul_f64_e32 v[169:170], v[8:9], v[169:170]
	v_fma_f64 v[177:178], v[4:5], v[34:35], v[177:178]
	v_fma_f64 v[183:184], v[2:3], v[34:35], -v[36:37]
	ds_load_b128 v[2:5], v1 offset:1232
	scratch_load_b128 v[34:37], off, off offset:416
	v_add_f64_e32 v[171:172], v[171:172], v[181:182]
	v_add_f64_e32 v[173:174], v[173:174], v[175:176]
	v_fma_f64 v[179:180], v[8:9], v[167:168], v[179:180]
	v_fma_f64 v[181:182], v[6:7], v[167:168], -v[169:170]
	ds_load_b128 v[6:9], v1 offset:1248
	scratch_load_b128 v[167:170], off, off offset:432
	s_wait_loadcnt_dscnt 0x901
	v_mul_f64_e32 v[175:176], v[2:3], v[40:41]
	v_mul_f64_e32 v[40:41], v[4:5], v[40:41]
	v_add_f64_e32 v[171:172], v[171:172], v[183:184]
	v_add_f64_e32 v[173:174], v[173:174], v[177:178]
	s_wait_loadcnt_dscnt 0x800
	v_mul_f64_e32 v[177:178], v[6:7], v[165:166]
	v_mul_f64_e32 v[165:166], v[8:9], v[165:166]
	v_fma_f64 v[175:176], v[4:5], v[38:39], v[175:176]
	v_fma_f64 v[183:184], v[2:3], v[38:39], -v[40:41]
	ds_load_b128 v[2:5], v1 offset:1264
	scratch_load_b128 v[38:41], off, off offset:448
	v_add_f64_e32 v[171:172], v[171:172], v[181:182]
	v_add_f64_e32 v[173:174], v[173:174], v[179:180]
	v_fma_f64 v[177:178], v[8:9], v[163:164], v[177:178]
	v_fma_f64 v[181:182], v[6:7], v[163:164], -v[165:166]
	ds_load_b128 v[6:9], v1 offset:1280
	s_wait_loadcnt_dscnt 0x801
	v_mul_f64_e32 v[179:180], v[2:3], v[12:13]
	v_mul_f64_e32 v[12:13], v[4:5], v[12:13]
	scratch_load_b128 v[163:166], off, off offset:464
	v_add_f64_e32 v[171:172], v[171:172], v[183:184]
	v_add_f64_e32 v[173:174], v[173:174], v[175:176]
	s_wait_loadcnt_dscnt 0x800
	v_mul_f64_e32 v[175:176], v[6:7], v[16:17]
	v_mul_f64_e32 v[16:17], v[8:9], v[16:17]
	v_fma_f64 v[179:180], v[4:5], v[10:11], v[179:180]
	v_fma_f64 v[183:184], v[2:3], v[10:11], -v[12:13]
	ds_load_b128 v[2:5], v1 offset:1296
	scratch_load_b128 v[10:13], off, off offset:480
	v_add_f64_e32 v[171:172], v[171:172], v[181:182]
	v_add_f64_e32 v[173:174], v[173:174], v[177:178]
	v_fma_f64 v[175:176], v[8:9], v[14:15], v[175:176]
	v_fma_f64 v[181:182], v[6:7], v[14:15], -v[16:17]
	ds_load_b128 v[6:9], v1 offset:1312
	s_wait_loadcnt_dscnt 0x801
	v_mul_f64_e32 v[177:178], v[2:3], v[20:21]
	v_mul_f64_e32 v[20:21], v[4:5], v[20:21]
	scratch_load_b128 v[14:17], off, off offset:496
	;; [unrolled: 18-line block ×16, first 2 shown]
	v_add_f64_e32 v[171:172], v[171:172], v[183:184]
	v_add_f64_e32 v[173:174], v[173:174], v[175:176]
	s_wait_loadcnt_dscnt 0x800
	v_mul_f64_e32 v[175:176], v[6:7], v[16:17]
	v_mul_f64_e32 v[16:17], v[8:9], v[16:17]
	v_fma_f64 v[179:180], v[4:5], v[10:11], v[179:180]
	v_fma_f64 v[183:184], v[2:3], v[10:11], -v[12:13]
	ds_load_b128 v[2:5], v1 offset:1776
	scratch_load_b128 v[10:13], off, off offset:960
	v_add_f64_e32 v[171:172], v[171:172], v[181:182]
	v_add_f64_e32 v[173:174], v[173:174], v[177:178]
	v_fma_f64 v[175:176], v[8:9], v[14:15], v[175:176]
	v_fma_f64 v[14:15], v[6:7], v[14:15], -v[16:17]
	ds_load_b128 v[6:9], v1 offset:1792
	s_wait_loadcnt_dscnt 0x801
	v_mul_f64_e32 v[177:178], v[2:3], v[20:21]
	v_mul_f64_e32 v[20:21], v[4:5], v[20:21]
	v_add_f64_e32 v[16:17], v[171:172], v[183:184]
	v_add_f64_e32 v[171:172], v[173:174], v[179:180]
	s_wait_loadcnt_dscnt 0x700
	v_mul_f64_e32 v[173:174], v[6:7], v[24:25]
	v_mul_f64_e32 v[24:25], v[8:9], v[24:25]
	v_fma_f64 v[177:178], v[4:5], v[18:19], v[177:178]
	v_fma_f64 v[18:19], v[2:3], v[18:19], -v[20:21]
	ds_load_b128 v[2:5], v1 offset:1808
	v_add_f64_e32 v[14:15], v[16:17], v[14:15]
	v_add_f64_e32 v[16:17], v[171:172], v[175:176]
	v_fma_f64 v[171:172], v[8:9], v[22:23], v[173:174]
	v_fma_f64 v[22:23], v[6:7], v[22:23], -v[24:25]
	ds_load_b128 v[6:9], v1 offset:1824
	s_wait_loadcnt_dscnt 0x500
	v_mul_f64_e32 v[173:174], v[6:7], v[32:33]
	v_mul_f64_e32 v[32:33], v[8:9], v[32:33]
	v_add_f64_e32 v[18:19], v[14:15], v[18:19]
	v_add_f64_e32 v[24:25], v[16:17], v[177:178]
	scratch_load_b128 v[14:17], off, off offset:112
	v_mul_f64_e32 v[20:21], v[2:3], v[28:29]
	v_mul_f64_e32 v[28:29], v[4:5], v[28:29]
	v_add_f64_e32 v[18:19], v[18:19], v[22:23]
	v_add_f64_e32 v[22:23], v[24:25], v[171:172]
	s_delay_alu instid0(VALU_DEP_4) | instskip(NEXT) | instid1(VALU_DEP_4)
	v_fma_f64 v[20:21], v[4:5], v[26:27], v[20:21]
	v_fma_f64 v[26:27], v[2:3], v[26:27], -v[28:29]
	ds_load_b128 v[2:5], v1 offset:1840
	s_wait_loadcnt_dscnt 0x500
	v_mul_f64_e32 v[24:25], v[2:3], v[36:37]
	v_mul_f64_e32 v[28:29], v[4:5], v[36:37]
	v_fma_f64 v[36:37], v[8:9], v[30:31], v[173:174]
	v_fma_f64 v[30:31], v[6:7], v[30:31], -v[32:33]
	ds_load_b128 v[6:9], v1 offset:1856
	v_add_f64_e32 v[20:21], v[22:23], v[20:21]
	v_add_f64_e32 v[18:19], v[18:19], v[26:27]
	v_fma_f64 v[24:25], v[4:5], v[34:35], v[24:25]
	v_fma_f64 v[28:29], v[2:3], v[34:35], -v[28:29]
	ds_load_b128 v[2:5], v1 offset:1872
	s_wait_loadcnt_dscnt 0x401
	v_mul_f64_e32 v[22:23], v[6:7], v[169:170]
	v_mul_f64_e32 v[26:27], v[8:9], v[169:170]
	v_add_f64_e32 v[20:21], v[20:21], v[36:37]
	v_add_f64_e32 v[18:19], v[18:19], v[30:31]
	s_wait_loadcnt_dscnt 0x300
	v_mul_f64_e32 v[30:31], v[2:3], v[40:41]
	v_mul_f64_e32 v[32:33], v[4:5], v[40:41]
	v_fma_f64 v[22:23], v[8:9], v[167:168], v[22:23]
	v_fma_f64 v[26:27], v[6:7], v[167:168], -v[26:27]
	ds_load_b128 v[6:9], v1 offset:1888
	v_add_f64_e32 v[20:21], v[20:21], v[24:25]
	v_add_f64_e32 v[18:19], v[18:19], v[28:29]
	v_fma_f64 v[30:31], v[4:5], v[38:39], v[30:31]
	v_fma_f64 v[32:33], v[2:3], v[38:39], -v[32:33]
	ds_load_b128 v[2:5], v1 offset:1904
	s_wait_loadcnt_dscnt 0x201
	v_mul_f64_e32 v[24:25], v[6:7], v[165:166]
	v_mul_f64_e32 v[28:29], v[8:9], v[165:166]
	v_add_f64_e32 v[20:21], v[20:21], v[22:23]
	v_add_f64_e32 v[18:19], v[18:19], v[26:27]
	s_wait_loadcnt_dscnt 0x100
	v_mul_f64_e32 v[22:23], v[2:3], v[12:13]
	v_mul_f64_e32 v[12:13], v[4:5], v[12:13]
	v_fma_f64 v[8:9], v[8:9], v[163:164], v[24:25]
	v_fma_f64 v[6:7], v[6:7], v[163:164], -v[28:29]
	v_add_f64_e32 v[20:21], v[20:21], v[30:31]
	v_add_f64_e32 v[18:19], v[18:19], v[32:33]
	v_fma_f64 v[4:5], v[4:5], v[10:11], v[22:23]
	v_fma_f64 v[2:3], v[2:3], v[10:11], -v[12:13]
	s_delay_alu instid0(VALU_DEP_4) | instskip(NEXT) | instid1(VALU_DEP_4)
	v_add_f64_e32 v[8:9], v[20:21], v[8:9]
	v_add_f64_e32 v[6:7], v[18:19], v[6:7]
	s_delay_alu instid0(VALU_DEP_2) | instskip(NEXT) | instid1(VALU_DEP_2)
	v_add_f64_e32 v[4:5], v[8:9], v[4:5]
	v_add_f64_e32 v[2:3], v[6:7], v[2:3]
	s_wait_loadcnt 0x0
	s_delay_alu instid0(VALU_DEP_2) | instskip(NEXT) | instid1(VALU_DEP_2)
	v_add_f64_e64 v[4:5], v[16:17], -v[4:5]
	v_add_f64_e64 v[2:3], v[14:15], -v[2:3]
	scratch_store_b128 off, v[2:5], off offset:112
	v_cmpx_lt_u32_e32 5, v0
	s_cbranch_execz .LBB59_363
; %bb.362:
	scratch_load_b128 v[5:8], off, s68
	v_dual_mov_b32 v2, v1 :: v_dual_mov_b32 v3, v1
	v_mov_b32_e32 v4, v1
	scratch_store_b128 off, v[1:4], off offset:96
	s_wait_loadcnt 0x0
	ds_store_b128 v162, v[5:8]
.LBB59_363:
	s_wait_alu 0xfffe
	s_or_b32 exec_lo, exec_lo, s0
	s_wait_storecnt_dscnt 0x0
	s_barrier_signal -1
	s_barrier_wait -1
	global_inv scope:SCOPE_SE
	s_clause 0x7
	scratch_load_b128 v[2:5], off, off offset:112
	scratch_load_b128 v[6:9], off, off offset:128
	;; [unrolled: 1-line block ×8, first 2 shown]
	ds_load_b128 v[38:41], v1 offset:1056
	ds_load_b128 v[163:166], v1 offset:1072
	s_clause 0x1
	scratch_load_b128 v[34:37], off, off offset:240
	scratch_load_b128 v[167:170], off, off offset:256
	s_mov_b32 s0, exec_lo
	s_wait_loadcnt_dscnt 0x901
	v_mul_f64_e32 v[171:172], v[40:41], v[4:5]
	v_mul_f64_e32 v[4:5], v[38:39], v[4:5]
	s_wait_loadcnt_dscnt 0x800
	v_mul_f64_e32 v[173:174], v[163:164], v[8:9]
	v_mul_f64_e32 v[8:9], v[165:166], v[8:9]
	s_delay_alu instid0(VALU_DEP_4) | instskip(NEXT) | instid1(VALU_DEP_4)
	v_fma_f64 v[171:172], v[38:39], v[2:3], -v[171:172]
	v_fma_f64 v[175:176], v[40:41], v[2:3], v[4:5]
	ds_load_b128 v[2:5], v1 offset:1088
	scratch_load_b128 v[38:41], off, off offset:272
	v_fma_f64 v[173:174], v[165:166], v[6:7], v[173:174]
	v_fma_f64 v[179:180], v[163:164], v[6:7], -v[8:9]
	ds_load_b128 v[6:9], v1 offset:1104
	scratch_load_b128 v[163:166], off, off offset:288
	s_wait_loadcnt_dscnt 0x901
	v_mul_f64_e32 v[177:178], v[2:3], v[12:13]
	v_mul_f64_e32 v[12:13], v[4:5], v[12:13]
	s_wait_loadcnt_dscnt 0x800
	v_mul_f64_e32 v[181:182], v[6:7], v[16:17]
	v_mul_f64_e32 v[16:17], v[8:9], v[16:17]
	v_add_f64_e32 v[171:172], 0, v[171:172]
	v_add_f64_e32 v[175:176], 0, v[175:176]
	v_fma_f64 v[177:178], v[4:5], v[10:11], v[177:178]
	v_fma_f64 v[183:184], v[2:3], v[10:11], -v[12:13]
	ds_load_b128 v[2:5], v1 offset:1120
	scratch_load_b128 v[10:13], off, off offset:304
	v_add_f64_e32 v[171:172], v[171:172], v[179:180]
	v_add_f64_e32 v[173:174], v[175:176], v[173:174]
	v_fma_f64 v[179:180], v[8:9], v[14:15], v[181:182]
	v_fma_f64 v[181:182], v[6:7], v[14:15], -v[16:17]
	ds_load_b128 v[6:9], v1 offset:1136
	scratch_load_b128 v[14:17], off, off offset:320
	s_wait_loadcnt_dscnt 0x901
	v_mul_f64_e32 v[175:176], v[2:3], v[20:21]
	v_mul_f64_e32 v[20:21], v[4:5], v[20:21]
	v_add_f64_e32 v[171:172], v[171:172], v[183:184]
	v_add_f64_e32 v[173:174], v[173:174], v[177:178]
	s_wait_loadcnt_dscnt 0x800
	v_mul_f64_e32 v[177:178], v[6:7], v[24:25]
	v_mul_f64_e32 v[24:25], v[8:9], v[24:25]
	v_fma_f64 v[175:176], v[4:5], v[18:19], v[175:176]
	v_fma_f64 v[183:184], v[2:3], v[18:19], -v[20:21]
	ds_load_b128 v[2:5], v1 offset:1152
	scratch_load_b128 v[18:21], off, off offset:336
	v_add_f64_e32 v[171:172], v[171:172], v[181:182]
	v_add_f64_e32 v[173:174], v[173:174], v[179:180]
	v_fma_f64 v[177:178], v[8:9], v[22:23], v[177:178]
	v_fma_f64 v[181:182], v[6:7], v[22:23], -v[24:25]
	ds_load_b128 v[6:9], v1 offset:1168
	s_wait_loadcnt_dscnt 0x801
	v_mul_f64_e32 v[179:180], v[2:3], v[28:29]
	v_mul_f64_e32 v[28:29], v[4:5], v[28:29]
	scratch_load_b128 v[22:25], off, off offset:352
	v_add_f64_e32 v[171:172], v[171:172], v[183:184]
	v_add_f64_e32 v[173:174], v[173:174], v[175:176]
	s_wait_loadcnt_dscnt 0x800
	v_mul_f64_e32 v[175:176], v[6:7], v[32:33]
	v_mul_f64_e32 v[32:33], v[8:9], v[32:33]
	v_fma_f64 v[179:180], v[4:5], v[26:27], v[179:180]
	v_fma_f64 v[183:184], v[2:3], v[26:27], -v[28:29]
	ds_load_b128 v[2:5], v1 offset:1184
	scratch_load_b128 v[26:29], off, off offset:368
	v_add_f64_e32 v[171:172], v[171:172], v[181:182]
	v_add_f64_e32 v[173:174], v[173:174], v[177:178]
	v_fma_f64 v[175:176], v[8:9], v[30:31], v[175:176]
	v_fma_f64 v[181:182], v[6:7], v[30:31], -v[32:33]
	ds_load_b128 v[6:9], v1 offset:1200
	s_wait_loadcnt_dscnt 0x801
	v_mul_f64_e32 v[177:178], v[2:3], v[36:37]
	v_mul_f64_e32 v[36:37], v[4:5], v[36:37]
	scratch_load_b128 v[30:33], off, off offset:384
	v_add_f64_e32 v[171:172], v[171:172], v[183:184]
	v_add_f64_e32 v[173:174], v[173:174], v[179:180]
	s_wait_loadcnt_dscnt 0x800
	v_mul_f64_e32 v[179:180], v[6:7], v[169:170]
	v_mul_f64_e32 v[169:170], v[8:9], v[169:170]
	v_fma_f64 v[177:178], v[4:5], v[34:35], v[177:178]
	v_fma_f64 v[183:184], v[2:3], v[34:35], -v[36:37]
	ds_load_b128 v[2:5], v1 offset:1216
	scratch_load_b128 v[34:37], off, off offset:400
	v_add_f64_e32 v[171:172], v[171:172], v[181:182]
	v_add_f64_e32 v[173:174], v[173:174], v[175:176]
	v_fma_f64 v[179:180], v[8:9], v[167:168], v[179:180]
	v_fma_f64 v[181:182], v[6:7], v[167:168], -v[169:170]
	ds_load_b128 v[6:9], v1 offset:1232
	scratch_load_b128 v[167:170], off, off offset:416
	s_wait_loadcnt_dscnt 0x901
	v_mul_f64_e32 v[175:176], v[2:3], v[40:41]
	v_mul_f64_e32 v[40:41], v[4:5], v[40:41]
	v_add_f64_e32 v[171:172], v[171:172], v[183:184]
	v_add_f64_e32 v[173:174], v[173:174], v[177:178]
	s_wait_loadcnt_dscnt 0x800
	v_mul_f64_e32 v[177:178], v[6:7], v[165:166]
	v_mul_f64_e32 v[165:166], v[8:9], v[165:166]
	v_fma_f64 v[175:176], v[4:5], v[38:39], v[175:176]
	v_fma_f64 v[183:184], v[2:3], v[38:39], -v[40:41]
	ds_load_b128 v[2:5], v1 offset:1248
	scratch_load_b128 v[38:41], off, off offset:432
	v_add_f64_e32 v[171:172], v[171:172], v[181:182]
	v_add_f64_e32 v[173:174], v[173:174], v[179:180]
	v_fma_f64 v[177:178], v[8:9], v[163:164], v[177:178]
	v_fma_f64 v[181:182], v[6:7], v[163:164], -v[165:166]
	ds_load_b128 v[6:9], v1 offset:1264
	s_wait_loadcnt_dscnt 0x801
	v_mul_f64_e32 v[179:180], v[2:3], v[12:13]
	v_mul_f64_e32 v[12:13], v[4:5], v[12:13]
	scratch_load_b128 v[163:166], off, off offset:448
	v_add_f64_e32 v[171:172], v[171:172], v[183:184]
	v_add_f64_e32 v[173:174], v[173:174], v[175:176]
	s_wait_loadcnt_dscnt 0x800
	v_mul_f64_e32 v[175:176], v[6:7], v[16:17]
	v_mul_f64_e32 v[16:17], v[8:9], v[16:17]
	v_fma_f64 v[179:180], v[4:5], v[10:11], v[179:180]
	v_fma_f64 v[183:184], v[2:3], v[10:11], -v[12:13]
	ds_load_b128 v[2:5], v1 offset:1280
	scratch_load_b128 v[10:13], off, off offset:464
	v_add_f64_e32 v[171:172], v[171:172], v[181:182]
	v_add_f64_e32 v[173:174], v[173:174], v[177:178]
	v_fma_f64 v[175:176], v[8:9], v[14:15], v[175:176]
	v_fma_f64 v[181:182], v[6:7], v[14:15], -v[16:17]
	ds_load_b128 v[6:9], v1 offset:1296
	s_wait_loadcnt_dscnt 0x801
	v_mul_f64_e32 v[177:178], v[2:3], v[20:21]
	v_mul_f64_e32 v[20:21], v[4:5], v[20:21]
	scratch_load_b128 v[14:17], off, off offset:480
	;; [unrolled: 18-line block ×17, first 2 shown]
	v_add_f64_e32 v[171:172], v[171:172], v[183:184]
	v_add_f64_e32 v[173:174], v[173:174], v[179:180]
	s_wait_loadcnt_dscnt 0x800
	v_mul_f64_e32 v[179:180], v[6:7], v[24:25]
	v_mul_f64_e32 v[24:25], v[8:9], v[24:25]
	v_fma_f64 v[177:178], v[4:5], v[18:19], v[177:178]
	v_fma_f64 v[18:19], v[2:3], v[18:19], -v[20:21]
	ds_load_b128 v[2:5], v1 offset:1792
	v_add_f64_e32 v[20:21], v[171:172], v[181:182]
	v_add_f64_e32 v[171:172], v[173:174], v[175:176]
	v_fma_f64 v[175:176], v[8:9], v[22:23], v[179:180]
	v_fma_f64 v[22:23], v[6:7], v[22:23], -v[24:25]
	ds_load_b128 v[6:9], v1 offset:1808
	s_wait_loadcnt_dscnt 0x701
	v_mul_f64_e32 v[173:174], v[2:3], v[28:29]
	v_mul_f64_e32 v[28:29], v[4:5], v[28:29]
	v_add_f64_e32 v[18:19], v[20:21], v[18:19]
	v_add_f64_e32 v[20:21], v[171:172], v[177:178]
	s_delay_alu instid0(VALU_DEP_4) | instskip(NEXT) | instid1(VALU_DEP_4)
	v_fma_f64 v[171:172], v[4:5], v[26:27], v[173:174]
	v_fma_f64 v[26:27], v[2:3], v[26:27], -v[28:29]
	ds_load_b128 v[2:5], v1 offset:1824
	v_add_f64_e32 v[22:23], v[18:19], v[22:23]
	v_add_f64_e32 v[28:29], v[20:21], v[175:176]
	scratch_load_b128 v[18:21], off, off offset:96
	s_wait_loadcnt_dscnt 0x701
	v_mul_f64_e32 v[24:25], v[6:7], v[32:33]
	v_mul_f64_e32 v[32:33], v[8:9], v[32:33]
	v_add_f64_e32 v[22:23], v[22:23], v[26:27]
	v_add_f64_e32 v[26:27], v[28:29], v[171:172]
	s_delay_alu instid0(VALU_DEP_4) | instskip(NEXT) | instid1(VALU_DEP_4)
	v_fma_f64 v[24:25], v[8:9], v[30:31], v[24:25]
	v_fma_f64 v[30:31], v[6:7], v[30:31], -v[32:33]
	ds_load_b128 v[6:9], v1 offset:1840
	s_wait_loadcnt_dscnt 0x601
	v_mul_f64_e32 v[173:174], v[2:3], v[36:37]
	v_mul_f64_e32 v[36:37], v[4:5], v[36:37]
	s_wait_loadcnt_dscnt 0x500
	v_mul_f64_e32 v[28:29], v[6:7], v[169:170]
	v_mul_f64_e32 v[32:33], v[8:9], v[169:170]
	v_add_f64_e32 v[24:25], v[26:27], v[24:25]
	v_add_f64_e32 v[22:23], v[22:23], v[30:31]
	v_fma_f64 v[169:170], v[4:5], v[34:35], v[173:174]
	v_fma_f64 v[34:35], v[2:3], v[34:35], -v[36:37]
	ds_load_b128 v[2:5], v1 offset:1856
	v_fma_f64 v[28:29], v[8:9], v[167:168], v[28:29]
	v_fma_f64 v[32:33], v[6:7], v[167:168], -v[32:33]
	ds_load_b128 v[6:9], v1 offset:1872
	s_wait_loadcnt_dscnt 0x401
	v_mul_f64_e32 v[26:27], v[2:3], v[40:41]
	v_mul_f64_e32 v[30:31], v[4:5], v[40:41]
	v_add_f64_e32 v[24:25], v[24:25], v[169:170]
	v_add_f64_e32 v[22:23], v[22:23], v[34:35]
	s_wait_loadcnt_dscnt 0x300
	v_mul_f64_e32 v[34:35], v[6:7], v[165:166]
	v_mul_f64_e32 v[36:37], v[8:9], v[165:166]
	v_fma_f64 v[26:27], v[4:5], v[38:39], v[26:27]
	v_fma_f64 v[30:31], v[2:3], v[38:39], -v[30:31]
	ds_load_b128 v[2:5], v1 offset:1888
	v_add_f64_e32 v[24:25], v[24:25], v[28:29]
	v_add_f64_e32 v[22:23], v[22:23], v[32:33]
	v_fma_f64 v[32:33], v[8:9], v[163:164], v[34:35]
	v_fma_f64 v[34:35], v[6:7], v[163:164], -v[36:37]
	ds_load_b128 v[6:9], v1 offset:1904
	s_wait_loadcnt_dscnt 0x201
	v_mul_f64_e32 v[28:29], v[2:3], v[12:13]
	v_mul_f64_e32 v[12:13], v[4:5], v[12:13]
	v_add_f64_e32 v[24:25], v[24:25], v[26:27]
	v_add_f64_e32 v[22:23], v[22:23], v[30:31]
	s_wait_loadcnt_dscnt 0x100
	v_mul_f64_e32 v[26:27], v[6:7], v[16:17]
	v_mul_f64_e32 v[16:17], v[8:9], v[16:17]
	v_fma_f64 v[4:5], v[4:5], v[10:11], v[28:29]
	v_fma_f64 v[1:2], v[2:3], v[10:11], -v[12:13]
	v_add_f64_e32 v[12:13], v[24:25], v[32:33]
	v_add_f64_e32 v[10:11], v[22:23], v[34:35]
	v_fma_f64 v[8:9], v[8:9], v[14:15], v[26:27]
	v_fma_f64 v[6:7], v[6:7], v[14:15], -v[16:17]
	s_delay_alu instid0(VALU_DEP_4) | instskip(NEXT) | instid1(VALU_DEP_4)
	v_add_f64_e32 v[3:4], v[12:13], v[4:5]
	v_add_f64_e32 v[1:2], v[10:11], v[1:2]
	s_delay_alu instid0(VALU_DEP_2) | instskip(NEXT) | instid1(VALU_DEP_2)
	v_add_f64_e32 v[3:4], v[3:4], v[8:9]
	v_add_f64_e32 v[1:2], v[1:2], v[6:7]
	s_wait_loadcnt 0x0
	s_delay_alu instid0(VALU_DEP_2) | instskip(NEXT) | instid1(VALU_DEP_2)
	v_add_f64_e64 v[3:4], v[20:21], -v[3:4]
	v_add_f64_e64 v[1:2], v[18:19], -v[1:2]
	scratch_store_b128 off, v[1:4], off offset:96
	v_cmpx_lt_u32_e32 4, v0
	s_cbranch_execz .LBB59_365
; %bb.364:
	scratch_load_b128 v[1:4], off, s55
	v_mov_b32_e32 v5, 0
	s_delay_alu instid0(VALU_DEP_1)
	v_dual_mov_b32 v6, v5 :: v_dual_mov_b32 v7, v5
	v_mov_b32_e32 v8, v5
	scratch_store_b128 off, v[5:8], off offset:80
	s_wait_loadcnt 0x0
	ds_store_b128 v162, v[1:4]
.LBB59_365:
	s_wait_alu 0xfffe
	s_or_b32 exec_lo, exec_lo, s0
	s_wait_storecnt_dscnt 0x0
	s_barrier_signal -1
	s_barrier_wait -1
	global_inv scope:SCOPE_SE
	s_clause 0x7
	scratch_load_b128 v[2:5], off, off offset:96
	scratch_load_b128 v[6:9], off, off offset:112
	;; [unrolled: 1-line block ×8, first 2 shown]
	v_mov_b32_e32 v1, 0
	s_clause 0x1
	scratch_load_b128 v[34:37], off, off offset:224
	scratch_load_b128 v[167:170], off, off offset:240
	s_mov_b32 s0, exec_lo
	ds_load_b128 v[38:41], v1 offset:1040
	ds_load_b128 v[163:166], v1 offset:1056
	s_wait_loadcnt_dscnt 0x901
	v_mul_f64_e32 v[171:172], v[40:41], v[4:5]
	v_mul_f64_e32 v[4:5], v[38:39], v[4:5]
	s_wait_loadcnt_dscnt 0x800
	v_mul_f64_e32 v[173:174], v[163:164], v[8:9]
	v_mul_f64_e32 v[8:9], v[165:166], v[8:9]
	s_delay_alu instid0(VALU_DEP_4) | instskip(NEXT) | instid1(VALU_DEP_4)
	v_fma_f64 v[171:172], v[38:39], v[2:3], -v[171:172]
	v_fma_f64 v[175:176], v[40:41], v[2:3], v[4:5]
	ds_load_b128 v[2:5], v1 offset:1072
	scratch_load_b128 v[38:41], off, off offset:256
	v_fma_f64 v[173:174], v[165:166], v[6:7], v[173:174]
	v_fma_f64 v[179:180], v[163:164], v[6:7], -v[8:9]
	ds_load_b128 v[6:9], v1 offset:1088
	scratch_load_b128 v[163:166], off, off offset:272
	s_wait_loadcnt_dscnt 0x901
	v_mul_f64_e32 v[177:178], v[2:3], v[12:13]
	v_mul_f64_e32 v[12:13], v[4:5], v[12:13]
	s_wait_loadcnt_dscnt 0x800
	v_mul_f64_e32 v[181:182], v[6:7], v[16:17]
	v_mul_f64_e32 v[16:17], v[8:9], v[16:17]
	v_add_f64_e32 v[171:172], 0, v[171:172]
	v_add_f64_e32 v[175:176], 0, v[175:176]
	v_fma_f64 v[177:178], v[4:5], v[10:11], v[177:178]
	v_fma_f64 v[183:184], v[2:3], v[10:11], -v[12:13]
	ds_load_b128 v[2:5], v1 offset:1104
	scratch_load_b128 v[10:13], off, off offset:288
	v_add_f64_e32 v[171:172], v[171:172], v[179:180]
	v_add_f64_e32 v[173:174], v[175:176], v[173:174]
	v_fma_f64 v[179:180], v[8:9], v[14:15], v[181:182]
	v_fma_f64 v[181:182], v[6:7], v[14:15], -v[16:17]
	ds_load_b128 v[6:9], v1 offset:1120
	scratch_load_b128 v[14:17], off, off offset:304
	s_wait_loadcnt_dscnt 0x901
	v_mul_f64_e32 v[175:176], v[2:3], v[20:21]
	v_mul_f64_e32 v[20:21], v[4:5], v[20:21]
	v_add_f64_e32 v[171:172], v[171:172], v[183:184]
	v_add_f64_e32 v[173:174], v[173:174], v[177:178]
	s_wait_loadcnt_dscnt 0x800
	v_mul_f64_e32 v[177:178], v[6:7], v[24:25]
	v_mul_f64_e32 v[24:25], v[8:9], v[24:25]
	v_fma_f64 v[175:176], v[4:5], v[18:19], v[175:176]
	v_fma_f64 v[183:184], v[2:3], v[18:19], -v[20:21]
	ds_load_b128 v[2:5], v1 offset:1136
	scratch_load_b128 v[18:21], off, off offset:320
	v_add_f64_e32 v[171:172], v[171:172], v[181:182]
	v_add_f64_e32 v[173:174], v[173:174], v[179:180]
	v_fma_f64 v[177:178], v[8:9], v[22:23], v[177:178]
	v_fma_f64 v[181:182], v[6:7], v[22:23], -v[24:25]
	ds_load_b128 v[6:9], v1 offset:1152
	s_wait_loadcnt_dscnt 0x801
	v_mul_f64_e32 v[179:180], v[2:3], v[28:29]
	v_mul_f64_e32 v[28:29], v[4:5], v[28:29]
	scratch_load_b128 v[22:25], off, off offset:336
	v_add_f64_e32 v[171:172], v[171:172], v[183:184]
	v_add_f64_e32 v[173:174], v[173:174], v[175:176]
	s_wait_loadcnt_dscnt 0x800
	v_mul_f64_e32 v[175:176], v[6:7], v[32:33]
	v_mul_f64_e32 v[32:33], v[8:9], v[32:33]
	v_fma_f64 v[179:180], v[4:5], v[26:27], v[179:180]
	v_fma_f64 v[183:184], v[2:3], v[26:27], -v[28:29]
	ds_load_b128 v[2:5], v1 offset:1168
	scratch_load_b128 v[26:29], off, off offset:352
	v_add_f64_e32 v[171:172], v[171:172], v[181:182]
	v_add_f64_e32 v[173:174], v[173:174], v[177:178]
	v_fma_f64 v[175:176], v[8:9], v[30:31], v[175:176]
	v_fma_f64 v[181:182], v[6:7], v[30:31], -v[32:33]
	ds_load_b128 v[6:9], v1 offset:1184
	s_wait_loadcnt_dscnt 0x801
	v_mul_f64_e32 v[177:178], v[2:3], v[36:37]
	v_mul_f64_e32 v[36:37], v[4:5], v[36:37]
	scratch_load_b128 v[30:33], off, off offset:368
	v_add_f64_e32 v[171:172], v[171:172], v[183:184]
	v_add_f64_e32 v[173:174], v[173:174], v[179:180]
	s_wait_loadcnt_dscnt 0x800
	v_mul_f64_e32 v[179:180], v[6:7], v[169:170]
	v_mul_f64_e32 v[169:170], v[8:9], v[169:170]
	v_fma_f64 v[177:178], v[4:5], v[34:35], v[177:178]
	v_fma_f64 v[183:184], v[2:3], v[34:35], -v[36:37]
	ds_load_b128 v[2:5], v1 offset:1200
	scratch_load_b128 v[34:37], off, off offset:384
	v_add_f64_e32 v[171:172], v[171:172], v[181:182]
	v_add_f64_e32 v[173:174], v[173:174], v[175:176]
	v_fma_f64 v[179:180], v[8:9], v[167:168], v[179:180]
	v_fma_f64 v[181:182], v[6:7], v[167:168], -v[169:170]
	ds_load_b128 v[6:9], v1 offset:1216
	scratch_load_b128 v[167:170], off, off offset:400
	s_wait_loadcnt_dscnt 0x901
	v_mul_f64_e32 v[175:176], v[2:3], v[40:41]
	v_mul_f64_e32 v[40:41], v[4:5], v[40:41]
	v_add_f64_e32 v[171:172], v[171:172], v[183:184]
	v_add_f64_e32 v[173:174], v[173:174], v[177:178]
	s_wait_loadcnt_dscnt 0x800
	v_mul_f64_e32 v[177:178], v[6:7], v[165:166]
	v_mul_f64_e32 v[165:166], v[8:9], v[165:166]
	v_fma_f64 v[175:176], v[4:5], v[38:39], v[175:176]
	v_fma_f64 v[183:184], v[2:3], v[38:39], -v[40:41]
	ds_load_b128 v[2:5], v1 offset:1232
	scratch_load_b128 v[38:41], off, off offset:416
	v_add_f64_e32 v[171:172], v[171:172], v[181:182]
	v_add_f64_e32 v[173:174], v[173:174], v[179:180]
	v_fma_f64 v[177:178], v[8:9], v[163:164], v[177:178]
	v_fma_f64 v[181:182], v[6:7], v[163:164], -v[165:166]
	ds_load_b128 v[6:9], v1 offset:1248
	s_wait_loadcnt_dscnt 0x801
	v_mul_f64_e32 v[179:180], v[2:3], v[12:13]
	v_mul_f64_e32 v[12:13], v[4:5], v[12:13]
	scratch_load_b128 v[163:166], off, off offset:432
	v_add_f64_e32 v[171:172], v[171:172], v[183:184]
	v_add_f64_e32 v[173:174], v[173:174], v[175:176]
	s_wait_loadcnt_dscnt 0x800
	v_mul_f64_e32 v[175:176], v[6:7], v[16:17]
	v_mul_f64_e32 v[16:17], v[8:9], v[16:17]
	v_fma_f64 v[179:180], v[4:5], v[10:11], v[179:180]
	v_fma_f64 v[183:184], v[2:3], v[10:11], -v[12:13]
	ds_load_b128 v[2:5], v1 offset:1264
	scratch_load_b128 v[10:13], off, off offset:448
	v_add_f64_e32 v[171:172], v[171:172], v[181:182]
	v_add_f64_e32 v[173:174], v[173:174], v[177:178]
	v_fma_f64 v[175:176], v[8:9], v[14:15], v[175:176]
	v_fma_f64 v[181:182], v[6:7], v[14:15], -v[16:17]
	ds_load_b128 v[6:9], v1 offset:1280
	s_wait_loadcnt_dscnt 0x801
	v_mul_f64_e32 v[177:178], v[2:3], v[20:21]
	v_mul_f64_e32 v[20:21], v[4:5], v[20:21]
	scratch_load_b128 v[14:17], off, off offset:464
	v_add_f64_e32 v[171:172], v[171:172], v[183:184]
	v_add_f64_e32 v[173:174], v[173:174], v[179:180]
	s_wait_loadcnt_dscnt 0x800
	v_mul_f64_e32 v[179:180], v[6:7], v[24:25]
	v_mul_f64_e32 v[24:25], v[8:9], v[24:25]
	v_fma_f64 v[177:178], v[4:5], v[18:19], v[177:178]
	v_fma_f64 v[183:184], v[2:3], v[18:19], -v[20:21]
	ds_load_b128 v[2:5], v1 offset:1296
	scratch_load_b128 v[18:21], off, off offset:480
	v_add_f64_e32 v[171:172], v[171:172], v[181:182]
	v_add_f64_e32 v[173:174], v[173:174], v[175:176]
	v_fma_f64 v[179:180], v[8:9], v[22:23], v[179:180]
	v_fma_f64 v[181:182], v[6:7], v[22:23], -v[24:25]
	ds_load_b128 v[6:9], v1 offset:1312
	s_wait_loadcnt_dscnt 0x801
	v_mul_f64_e32 v[175:176], v[2:3], v[28:29]
	v_mul_f64_e32 v[28:29], v[4:5], v[28:29]
	scratch_load_b128 v[22:25], off, off offset:496
	v_add_f64_e32 v[171:172], v[171:172], v[183:184]
	v_add_f64_e32 v[173:174], v[173:174], v[177:178]
	s_wait_loadcnt_dscnt 0x800
	v_mul_f64_e32 v[177:178], v[6:7], v[32:33]
	v_mul_f64_e32 v[32:33], v[8:9], v[32:33]
	v_fma_f64 v[175:176], v[4:5], v[26:27], v[175:176]
	v_fma_f64 v[183:184], v[2:3], v[26:27], -v[28:29]
	ds_load_b128 v[2:5], v1 offset:1328
	scratch_load_b128 v[26:29], off, off offset:512
	v_add_f64_e32 v[171:172], v[171:172], v[181:182]
	v_add_f64_e32 v[173:174], v[173:174], v[179:180]
	v_fma_f64 v[177:178], v[8:9], v[30:31], v[177:178]
	v_fma_f64 v[181:182], v[6:7], v[30:31], -v[32:33]
	ds_load_b128 v[6:9], v1 offset:1344
	s_wait_loadcnt_dscnt 0x801
	v_mul_f64_e32 v[179:180], v[2:3], v[36:37]
	v_mul_f64_e32 v[36:37], v[4:5], v[36:37]
	scratch_load_b128 v[30:33], off, off offset:528
	v_add_f64_e32 v[171:172], v[171:172], v[183:184]
	v_add_f64_e32 v[173:174], v[173:174], v[175:176]
	s_wait_loadcnt_dscnt 0x800
	v_mul_f64_e32 v[175:176], v[6:7], v[169:170]
	v_mul_f64_e32 v[169:170], v[8:9], v[169:170]
	v_fma_f64 v[179:180], v[4:5], v[34:35], v[179:180]
	v_fma_f64 v[183:184], v[2:3], v[34:35], -v[36:37]
	ds_load_b128 v[2:5], v1 offset:1360
	scratch_load_b128 v[34:37], off, off offset:544
	v_add_f64_e32 v[171:172], v[171:172], v[181:182]
	v_add_f64_e32 v[173:174], v[173:174], v[177:178]
	v_fma_f64 v[175:176], v[8:9], v[167:168], v[175:176]
	v_fma_f64 v[181:182], v[6:7], v[167:168], -v[169:170]
	ds_load_b128 v[6:9], v1 offset:1376
	s_wait_loadcnt_dscnt 0x801
	v_mul_f64_e32 v[177:178], v[2:3], v[40:41]
	v_mul_f64_e32 v[40:41], v[4:5], v[40:41]
	scratch_load_b128 v[167:170], off, off offset:560
	v_add_f64_e32 v[171:172], v[171:172], v[183:184]
	v_add_f64_e32 v[173:174], v[173:174], v[179:180]
	s_wait_loadcnt_dscnt 0x800
	v_mul_f64_e32 v[179:180], v[6:7], v[165:166]
	v_mul_f64_e32 v[165:166], v[8:9], v[165:166]
	v_fma_f64 v[177:178], v[4:5], v[38:39], v[177:178]
	v_fma_f64 v[183:184], v[2:3], v[38:39], -v[40:41]
	ds_load_b128 v[2:5], v1 offset:1392
	scratch_load_b128 v[38:41], off, off offset:576
	v_add_f64_e32 v[171:172], v[171:172], v[181:182]
	v_add_f64_e32 v[173:174], v[173:174], v[175:176]
	v_fma_f64 v[179:180], v[8:9], v[163:164], v[179:180]
	v_fma_f64 v[181:182], v[6:7], v[163:164], -v[165:166]
	ds_load_b128 v[6:9], v1 offset:1408
	s_wait_loadcnt_dscnt 0x801
	v_mul_f64_e32 v[175:176], v[2:3], v[12:13]
	v_mul_f64_e32 v[12:13], v[4:5], v[12:13]
	scratch_load_b128 v[163:166], off, off offset:592
	v_add_f64_e32 v[171:172], v[171:172], v[183:184]
	v_add_f64_e32 v[173:174], v[173:174], v[177:178]
	s_wait_loadcnt_dscnt 0x800
	v_mul_f64_e32 v[177:178], v[6:7], v[16:17]
	v_mul_f64_e32 v[16:17], v[8:9], v[16:17]
	v_fma_f64 v[175:176], v[4:5], v[10:11], v[175:176]
	v_fma_f64 v[183:184], v[2:3], v[10:11], -v[12:13]
	ds_load_b128 v[2:5], v1 offset:1424
	scratch_load_b128 v[10:13], off, off offset:608
	v_add_f64_e32 v[171:172], v[171:172], v[181:182]
	v_add_f64_e32 v[173:174], v[173:174], v[179:180]
	v_fma_f64 v[177:178], v[8:9], v[14:15], v[177:178]
	v_fma_f64 v[181:182], v[6:7], v[14:15], -v[16:17]
	ds_load_b128 v[6:9], v1 offset:1440
	s_wait_loadcnt_dscnt 0x801
	v_mul_f64_e32 v[179:180], v[2:3], v[20:21]
	v_mul_f64_e32 v[20:21], v[4:5], v[20:21]
	scratch_load_b128 v[14:17], off, off offset:624
	v_add_f64_e32 v[171:172], v[171:172], v[183:184]
	v_add_f64_e32 v[173:174], v[173:174], v[175:176]
	s_wait_loadcnt_dscnt 0x800
	v_mul_f64_e32 v[175:176], v[6:7], v[24:25]
	v_mul_f64_e32 v[24:25], v[8:9], v[24:25]
	v_fma_f64 v[179:180], v[4:5], v[18:19], v[179:180]
	v_fma_f64 v[183:184], v[2:3], v[18:19], -v[20:21]
	ds_load_b128 v[2:5], v1 offset:1456
	scratch_load_b128 v[18:21], off, off offset:640
	v_add_f64_e32 v[171:172], v[171:172], v[181:182]
	v_add_f64_e32 v[173:174], v[173:174], v[177:178]
	v_fma_f64 v[175:176], v[8:9], v[22:23], v[175:176]
	v_fma_f64 v[181:182], v[6:7], v[22:23], -v[24:25]
	ds_load_b128 v[6:9], v1 offset:1472
	s_wait_loadcnt_dscnt 0x801
	v_mul_f64_e32 v[177:178], v[2:3], v[28:29]
	v_mul_f64_e32 v[28:29], v[4:5], v[28:29]
	scratch_load_b128 v[22:25], off, off offset:656
	v_add_f64_e32 v[171:172], v[171:172], v[183:184]
	v_add_f64_e32 v[173:174], v[173:174], v[179:180]
	s_wait_loadcnt_dscnt 0x800
	v_mul_f64_e32 v[179:180], v[6:7], v[32:33]
	v_mul_f64_e32 v[32:33], v[8:9], v[32:33]
	v_fma_f64 v[177:178], v[4:5], v[26:27], v[177:178]
	v_fma_f64 v[183:184], v[2:3], v[26:27], -v[28:29]
	ds_load_b128 v[2:5], v1 offset:1488
	scratch_load_b128 v[26:29], off, off offset:672
	v_add_f64_e32 v[171:172], v[171:172], v[181:182]
	v_add_f64_e32 v[173:174], v[173:174], v[175:176]
	v_fma_f64 v[179:180], v[8:9], v[30:31], v[179:180]
	v_fma_f64 v[181:182], v[6:7], v[30:31], -v[32:33]
	ds_load_b128 v[6:9], v1 offset:1504
	s_wait_loadcnt_dscnt 0x801
	v_mul_f64_e32 v[175:176], v[2:3], v[36:37]
	v_mul_f64_e32 v[36:37], v[4:5], v[36:37]
	scratch_load_b128 v[30:33], off, off offset:688
	v_add_f64_e32 v[171:172], v[171:172], v[183:184]
	v_add_f64_e32 v[173:174], v[173:174], v[177:178]
	s_wait_loadcnt_dscnt 0x800
	v_mul_f64_e32 v[177:178], v[6:7], v[169:170]
	v_mul_f64_e32 v[169:170], v[8:9], v[169:170]
	v_fma_f64 v[175:176], v[4:5], v[34:35], v[175:176]
	v_fma_f64 v[183:184], v[2:3], v[34:35], -v[36:37]
	ds_load_b128 v[2:5], v1 offset:1520
	scratch_load_b128 v[34:37], off, off offset:704
	v_add_f64_e32 v[171:172], v[171:172], v[181:182]
	v_add_f64_e32 v[173:174], v[173:174], v[179:180]
	v_fma_f64 v[177:178], v[8:9], v[167:168], v[177:178]
	v_fma_f64 v[181:182], v[6:7], v[167:168], -v[169:170]
	ds_load_b128 v[6:9], v1 offset:1536
	s_wait_loadcnt_dscnt 0x801
	v_mul_f64_e32 v[179:180], v[2:3], v[40:41]
	v_mul_f64_e32 v[40:41], v[4:5], v[40:41]
	scratch_load_b128 v[167:170], off, off offset:720
	v_add_f64_e32 v[171:172], v[171:172], v[183:184]
	v_add_f64_e32 v[173:174], v[173:174], v[175:176]
	s_wait_loadcnt_dscnt 0x800
	v_mul_f64_e32 v[175:176], v[6:7], v[165:166]
	v_mul_f64_e32 v[165:166], v[8:9], v[165:166]
	v_fma_f64 v[179:180], v[4:5], v[38:39], v[179:180]
	v_fma_f64 v[183:184], v[2:3], v[38:39], -v[40:41]
	ds_load_b128 v[2:5], v1 offset:1552
	scratch_load_b128 v[38:41], off, off offset:736
	v_add_f64_e32 v[171:172], v[171:172], v[181:182]
	v_add_f64_e32 v[173:174], v[173:174], v[177:178]
	v_fma_f64 v[175:176], v[8:9], v[163:164], v[175:176]
	v_fma_f64 v[181:182], v[6:7], v[163:164], -v[165:166]
	ds_load_b128 v[6:9], v1 offset:1568
	s_wait_loadcnt_dscnt 0x801
	v_mul_f64_e32 v[177:178], v[2:3], v[12:13]
	v_mul_f64_e32 v[12:13], v[4:5], v[12:13]
	scratch_load_b128 v[163:166], off, off offset:752
	v_add_f64_e32 v[171:172], v[171:172], v[183:184]
	v_add_f64_e32 v[173:174], v[173:174], v[179:180]
	s_wait_loadcnt_dscnt 0x800
	v_mul_f64_e32 v[179:180], v[6:7], v[16:17]
	v_mul_f64_e32 v[16:17], v[8:9], v[16:17]
	v_fma_f64 v[177:178], v[4:5], v[10:11], v[177:178]
	v_fma_f64 v[183:184], v[2:3], v[10:11], -v[12:13]
	ds_load_b128 v[2:5], v1 offset:1584
	scratch_load_b128 v[10:13], off, off offset:768
	v_add_f64_e32 v[171:172], v[171:172], v[181:182]
	v_add_f64_e32 v[173:174], v[173:174], v[175:176]
	v_fma_f64 v[179:180], v[8:9], v[14:15], v[179:180]
	v_fma_f64 v[181:182], v[6:7], v[14:15], -v[16:17]
	ds_load_b128 v[6:9], v1 offset:1600
	s_wait_loadcnt_dscnt 0x801
	v_mul_f64_e32 v[175:176], v[2:3], v[20:21]
	v_mul_f64_e32 v[20:21], v[4:5], v[20:21]
	scratch_load_b128 v[14:17], off, off offset:784
	v_add_f64_e32 v[171:172], v[171:172], v[183:184]
	v_add_f64_e32 v[173:174], v[173:174], v[177:178]
	s_wait_loadcnt_dscnt 0x800
	v_mul_f64_e32 v[177:178], v[6:7], v[24:25]
	v_mul_f64_e32 v[24:25], v[8:9], v[24:25]
	v_fma_f64 v[175:176], v[4:5], v[18:19], v[175:176]
	v_fma_f64 v[183:184], v[2:3], v[18:19], -v[20:21]
	ds_load_b128 v[2:5], v1 offset:1616
	scratch_load_b128 v[18:21], off, off offset:800
	v_add_f64_e32 v[171:172], v[171:172], v[181:182]
	v_add_f64_e32 v[173:174], v[173:174], v[179:180]
	v_fma_f64 v[177:178], v[8:9], v[22:23], v[177:178]
	v_fma_f64 v[181:182], v[6:7], v[22:23], -v[24:25]
	ds_load_b128 v[6:9], v1 offset:1632
	s_wait_loadcnt_dscnt 0x801
	v_mul_f64_e32 v[179:180], v[2:3], v[28:29]
	v_mul_f64_e32 v[28:29], v[4:5], v[28:29]
	scratch_load_b128 v[22:25], off, off offset:816
	v_add_f64_e32 v[171:172], v[171:172], v[183:184]
	v_add_f64_e32 v[173:174], v[173:174], v[175:176]
	s_wait_loadcnt_dscnt 0x800
	v_mul_f64_e32 v[175:176], v[6:7], v[32:33]
	v_mul_f64_e32 v[32:33], v[8:9], v[32:33]
	v_fma_f64 v[179:180], v[4:5], v[26:27], v[179:180]
	v_fma_f64 v[183:184], v[2:3], v[26:27], -v[28:29]
	ds_load_b128 v[2:5], v1 offset:1648
	scratch_load_b128 v[26:29], off, off offset:832
	v_add_f64_e32 v[171:172], v[171:172], v[181:182]
	v_add_f64_e32 v[173:174], v[173:174], v[177:178]
	v_fma_f64 v[175:176], v[8:9], v[30:31], v[175:176]
	v_fma_f64 v[181:182], v[6:7], v[30:31], -v[32:33]
	ds_load_b128 v[6:9], v1 offset:1664
	s_wait_loadcnt_dscnt 0x801
	v_mul_f64_e32 v[177:178], v[2:3], v[36:37]
	v_mul_f64_e32 v[36:37], v[4:5], v[36:37]
	scratch_load_b128 v[30:33], off, off offset:848
	v_add_f64_e32 v[171:172], v[171:172], v[183:184]
	v_add_f64_e32 v[173:174], v[173:174], v[179:180]
	s_wait_loadcnt_dscnt 0x800
	v_mul_f64_e32 v[179:180], v[6:7], v[169:170]
	v_mul_f64_e32 v[169:170], v[8:9], v[169:170]
	v_fma_f64 v[177:178], v[4:5], v[34:35], v[177:178]
	v_fma_f64 v[183:184], v[2:3], v[34:35], -v[36:37]
	ds_load_b128 v[2:5], v1 offset:1680
	scratch_load_b128 v[34:37], off, off offset:864
	v_add_f64_e32 v[171:172], v[171:172], v[181:182]
	v_add_f64_e32 v[173:174], v[173:174], v[175:176]
	v_fma_f64 v[179:180], v[8:9], v[167:168], v[179:180]
	v_fma_f64 v[181:182], v[6:7], v[167:168], -v[169:170]
	ds_load_b128 v[6:9], v1 offset:1696
	s_wait_loadcnt_dscnt 0x801
	v_mul_f64_e32 v[175:176], v[2:3], v[40:41]
	v_mul_f64_e32 v[40:41], v[4:5], v[40:41]
	scratch_load_b128 v[167:170], off, off offset:880
	v_add_f64_e32 v[171:172], v[171:172], v[183:184]
	v_add_f64_e32 v[173:174], v[173:174], v[177:178]
	s_wait_loadcnt_dscnt 0x800
	v_mul_f64_e32 v[177:178], v[6:7], v[165:166]
	v_mul_f64_e32 v[165:166], v[8:9], v[165:166]
	v_fma_f64 v[175:176], v[4:5], v[38:39], v[175:176]
	v_fma_f64 v[183:184], v[2:3], v[38:39], -v[40:41]
	ds_load_b128 v[2:5], v1 offset:1712
	scratch_load_b128 v[38:41], off, off offset:896
	v_add_f64_e32 v[171:172], v[171:172], v[181:182]
	v_add_f64_e32 v[173:174], v[173:174], v[179:180]
	v_fma_f64 v[177:178], v[8:9], v[163:164], v[177:178]
	v_fma_f64 v[181:182], v[6:7], v[163:164], -v[165:166]
	ds_load_b128 v[6:9], v1 offset:1728
	s_wait_loadcnt_dscnt 0x801
	v_mul_f64_e32 v[179:180], v[2:3], v[12:13]
	v_mul_f64_e32 v[12:13], v[4:5], v[12:13]
	scratch_load_b128 v[163:166], off, off offset:912
	v_add_f64_e32 v[171:172], v[171:172], v[183:184]
	v_add_f64_e32 v[173:174], v[173:174], v[175:176]
	s_wait_loadcnt_dscnt 0x800
	v_mul_f64_e32 v[175:176], v[6:7], v[16:17]
	v_mul_f64_e32 v[16:17], v[8:9], v[16:17]
	v_fma_f64 v[179:180], v[4:5], v[10:11], v[179:180]
	v_fma_f64 v[183:184], v[2:3], v[10:11], -v[12:13]
	ds_load_b128 v[2:5], v1 offset:1744
	scratch_load_b128 v[10:13], off, off offset:928
	v_add_f64_e32 v[171:172], v[171:172], v[181:182]
	v_add_f64_e32 v[173:174], v[173:174], v[177:178]
	v_fma_f64 v[175:176], v[8:9], v[14:15], v[175:176]
	v_fma_f64 v[181:182], v[6:7], v[14:15], -v[16:17]
	ds_load_b128 v[6:9], v1 offset:1760
	s_wait_loadcnt_dscnt 0x801
	v_mul_f64_e32 v[177:178], v[2:3], v[20:21]
	v_mul_f64_e32 v[20:21], v[4:5], v[20:21]
	scratch_load_b128 v[14:17], off, off offset:944
	v_add_f64_e32 v[171:172], v[171:172], v[183:184]
	v_add_f64_e32 v[173:174], v[173:174], v[179:180]
	s_wait_loadcnt_dscnt 0x800
	v_mul_f64_e32 v[179:180], v[6:7], v[24:25]
	v_mul_f64_e32 v[24:25], v[8:9], v[24:25]
	v_fma_f64 v[177:178], v[4:5], v[18:19], v[177:178]
	v_fma_f64 v[183:184], v[2:3], v[18:19], -v[20:21]
	ds_load_b128 v[2:5], v1 offset:1776
	scratch_load_b128 v[18:21], off, off offset:960
	v_add_f64_e32 v[171:172], v[171:172], v[181:182]
	v_add_f64_e32 v[173:174], v[173:174], v[175:176]
	v_fma_f64 v[179:180], v[8:9], v[22:23], v[179:180]
	v_fma_f64 v[22:23], v[6:7], v[22:23], -v[24:25]
	ds_load_b128 v[6:9], v1 offset:1792
	s_wait_loadcnt_dscnt 0x801
	v_mul_f64_e32 v[175:176], v[2:3], v[28:29]
	v_mul_f64_e32 v[28:29], v[4:5], v[28:29]
	v_add_f64_e32 v[24:25], v[171:172], v[183:184]
	v_add_f64_e32 v[171:172], v[173:174], v[177:178]
	s_wait_loadcnt_dscnt 0x700
	v_mul_f64_e32 v[173:174], v[6:7], v[32:33]
	v_mul_f64_e32 v[32:33], v[8:9], v[32:33]
	v_fma_f64 v[175:176], v[4:5], v[26:27], v[175:176]
	v_fma_f64 v[26:27], v[2:3], v[26:27], -v[28:29]
	ds_load_b128 v[2:5], v1 offset:1808
	v_add_f64_e32 v[22:23], v[24:25], v[22:23]
	v_add_f64_e32 v[24:25], v[171:172], v[179:180]
	v_fma_f64 v[171:172], v[8:9], v[30:31], v[173:174]
	v_fma_f64 v[30:31], v[6:7], v[30:31], -v[32:33]
	ds_load_b128 v[6:9], v1 offset:1824
	s_wait_loadcnt_dscnt 0x500
	v_mul_f64_e32 v[173:174], v[6:7], v[169:170]
	v_mul_f64_e32 v[169:170], v[8:9], v[169:170]
	v_add_f64_e32 v[26:27], v[22:23], v[26:27]
	v_add_f64_e32 v[32:33], v[24:25], v[175:176]
	scratch_load_b128 v[22:25], off, off offset:80
	v_mul_f64_e32 v[28:29], v[2:3], v[36:37]
	v_mul_f64_e32 v[36:37], v[4:5], v[36:37]
	v_add_f64_e32 v[26:27], v[26:27], v[30:31]
	v_add_f64_e32 v[30:31], v[32:33], v[171:172]
	s_delay_alu instid0(VALU_DEP_4) | instskip(NEXT) | instid1(VALU_DEP_4)
	v_fma_f64 v[28:29], v[4:5], v[34:35], v[28:29]
	v_fma_f64 v[34:35], v[2:3], v[34:35], -v[36:37]
	ds_load_b128 v[2:5], v1 offset:1840
	s_wait_loadcnt_dscnt 0x500
	v_mul_f64_e32 v[32:33], v[2:3], v[40:41]
	v_mul_f64_e32 v[36:37], v[4:5], v[40:41]
	v_fma_f64 v[40:41], v[8:9], v[167:168], v[173:174]
	v_fma_f64 v[167:168], v[6:7], v[167:168], -v[169:170]
	ds_load_b128 v[6:9], v1 offset:1856
	v_add_f64_e32 v[28:29], v[30:31], v[28:29]
	v_add_f64_e32 v[26:27], v[26:27], v[34:35]
	v_fma_f64 v[32:33], v[4:5], v[38:39], v[32:33]
	v_fma_f64 v[36:37], v[2:3], v[38:39], -v[36:37]
	ds_load_b128 v[2:5], v1 offset:1872
	s_wait_loadcnt_dscnt 0x401
	v_mul_f64_e32 v[30:31], v[6:7], v[165:166]
	v_mul_f64_e32 v[34:35], v[8:9], v[165:166]
	v_add_f64_e32 v[28:29], v[28:29], v[40:41]
	v_add_f64_e32 v[26:27], v[26:27], v[167:168]
	s_wait_loadcnt_dscnt 0x300
	v_mul_f64_e32 v[38:39], v[2:3], v[12:13]
	v_mul_f64_e32 v[12:13], v[4:5], v[12:13]
	v_fma_f64 v[30:31], v[8:9], v[163:164], v[30:31]
	v_fma_f64 v[34:35], v[6:7], v[163:164], -v[34:35]
	ds_load_b128 v[6:9], v1 offset:1888
	v_add_f64_e32 v[28:29], v[28:29], v[32:33]
	v_add_f64_e32 v[26:27], v[26:27], v[36:37]
	v_fma_f64 v[36:37], v[4:5], v[10:11], v[38:39]
	v_fma_f64 v[10:11], v[2:3], v[10:11], -v[12:13]
	ds_load_b128 v[2:5], v1 offset:1904
	s_wait_loadcnt_dscnt 0x201
	v_mul_f64_e32 v[32:33], v[6:7], v[16:17]
	v_mul_f64_e32 v[16:17], v[8:9], v[16:17]
	v_add_f64_e32 v[12:13], v[26:27], v[34:35]
	v_add_f64_e32 v[26:27], v[28:29], v[30:31]
	s_wait_loadcnt_dscnt 0x100
	v_mul_f64_e32 v[28:29], v[2:3], v[20:21]
	v_mul_f64_e32 v[20:21], v[4:5], v[20:21]
	v_fma_f64 v[8:9], v[8:9], v[14:15], v[32:33]
	v_fma_f64 v[6:7], v[6:7], v[14:15], -v[16:17]
	v_add_f64_e32 v[10:11], v[12:13], v[10:11]
	v_add_f64_e32 v[12:13], v[26:27], v[36:37]
	v_fma_f64 v[4:5], v[4:5], v[18:19], v[28:29]
	v_fma_f64 v[2:3], v[2:3], v[18:19], -v[20:21]
	s_delay_alu instid0(VALU_DEP_4) | instskip(NEXT) | instid1(VALU_DEP_4)
	v_add_f64_e32 v[6:7], v[10:11], v[6:7]
	v_add_f64_e32 v[8:9], v[12:13], v[8:9]
	s_delay_alu instid0(VALU_DEP_2) | instskip(NEXT) | instid1(VALU_DEP_2)
	v_add_f64_e32 v[2:3], v[6:7], v[2:3]
	v_add_f64_e32 v[4:5], v[8:9], v[4:5]
	s_wait_loadcnt 0x0
	s_delay_alu instid0(VALU_DEP_2) | instskip(NEXT) | instid1(VALU_DEP_2)
	v_add_f64_e64 v[2:3], v[22:23], -v[2:3]
	v_add_f64_e64 v[4:5], v[24:25], -v[4:5]
	scratch_store_b128 off, v[2:5], off offset:80
	v_cmpx_lt_u32_e32 3, v0
	s_cbranch_execz .LBB59_367
; %bb.366:
	scratch_load_b128 v[5:8], off, s56
	v_dual_mov_b32 v2, v1 :: v_dual_mov_b32 v3, v1
	v_mov_b32_e32 v4, v1
	scratch_store_b128 off, v[1:4], off offset:64
	s_wait_loadcnt 0x0
	ds_store_b128 v162, v[5:8]
.LBB59_367:
	s_wait_alu 0xfffe
	s_or_b32 exec_lo, exec_lo, s0
	s_wait_storecnt_dscnt 0x0
	s_barrier_signal -1
	s_barrier_wait -1
	global_inv scope:SCOPE_SE
	s_clause 0x7
	scratch_load_b128 v[2:5], off, off offset:80
	scratch_load_b128 v[6:9], off, off offset:96
	scratch_load_b128 v[10:13], off, off offset:112
	scratch_load_b128 v[14:17], off, off offset:128
	scratch_load_b128 v[18:21], off, off offset:144
	scratch_load_b128 v[22:25], off, off offset:160
	scratch_load_b128 v[26:29], off, off offset:176
	scratch_load_b128 v[30:33], off, off offset:192
	ds_load_b128 v[38:41], v1 offset:1024
	ds_load_b128 v[163:166], v1 offset:1040
	s_clause 0x1
	scratch_load_b128 v[34:37], off, off offset:208
	scratch_load_b128 v[167:170], off, off offset:224
	s_mov_b32 s0, exec_lo
	s_wait_loadcnt_dscnt 0x901
	v_mul_f64_e32 v[171:172], v[40:41], v[4:5]
	v_mul_f64_e32 v[4:5], v[38:39], v[4:5]
	s_wait_loadcnt_dscnt 0x800
	v_mul_f64_e32 v[173:174], v[163:164], v[8:9]
	v_mul_f64_e32 v[8:9], v[165:166], v[8:9]
	s_delay_alu instid0(VALU_DEP_4) | instskip(NEXT) | instid1(VALU_DEP_4)
	v_fma_f64 v[171:172], v[38:39], v[2:3], -v[171:172]
	v_fma_f64 v[175:176], v[40:41], v[2:3], v[4:5]
	ds_load_b128 v[2:5], v1 offset:1056
	scratch_load_b128 v[38:41], off, off offset:240
	v_fma_f64 v[173:174], v[165:166], v[6:7], v[173:174]
	v_fma_f64 v[179:180], v[163:164], v[6:7], -v[8:9]
	ds_load_b128 v[6:9], v1 offset:1072
	scratch_load_b128 v[163:166], off, off offset:256
	s_wait_loadcnt_dscnt 0x901
	v_mul_f64_e32 v[177:178], v[2:3], v[12:13]
	v_mul_f64_e32 v[12:13], v[4:5], v[12:13]
	s_wait_loadcnt_dscnt 0x800
	v_mul_f64_e32 v[181:182], v[6:7], v[16:17]
	v_mul_f64_e32 v[16:17], v[8:9], v[16:17]
	v_add_f64_e32 v[171:172], 0, v[171:172]
	v_add_f64_e32 v[175:176], 0, v[175:176]
	v_fma_f64 v[177:178], v[4:5], v[10:11], v[177:178]
	v_fma_f64 v[183:184], v[2:3], v[10:11], -v[12:13]
	ds_load_b128 v[2:5], v1 offset:1088
	scratch_load_b128 v[10:13], off, off offset:272
	v_add_f64_e32 v[171:172], v[171:172], v[179:180]
	v_add_f64_e32 v[173:174], v[175:176], v[173:174]
	v_fma_f64 v[179:180], v[8:9], v[14:15], v[181:182]
	v_fma_f64 v[181:182], v[6:7], v[14:15], -v[16:17]
	ds_load_b128 v[6:9], v1 offset:1104
	scratch_load_b128 v[14:17], off, off offset:288
	s_wait_loadcnt_dscnt 0x901
	v_mul_f64_e32 v[175:176], v[2:3], v[20:21]
	v_mul_f64_e32 v[20:21], v[4:5], v[20:21]
	v_add_f64_e32 v[171:172], v[171:172], v[183:184]
	v_add_f64_e32 v[173:174], v[173:174], v[177:178]
	s_wait_loadcnt_dscnt 0x800
	v_mul_f64_e32 v[177:178], v[6:7], v[24:25]
	v_mul_f64_e32 v[24:25], v[8:9], v[24:25]
	v_fma_f64 v[175:176], v[4:5], v[18:19], v[175:176]
	v_fma_f64 v[183:184], v[2:3], v[18:19], -v[20:21]
	ds_load_b128 v[2:5], v1 offset:1120
	scratch_load_b128 v[18:21], off, off offset:304
	v_add_f64_e32 v[171:172], v[171:172], v[181:182]
	v_add_f64_e32 v[173:174], v[173:174], v[179:180]
	v_fma_f64 v[177:178], v[8:9], v[22:23], v[177:178]
	v_fma_f64 v[181:182], v[6:7], v[22:23], -v[24:25]
	ds_load_b128 v[6:9], v1 offset:1136
	s_wait_loadcnt_dscnt 0x801
	v_mul_f64_e32 v[179:180], v[2:3], v[28:29]
	v_mul_f64_e32 v[28:29], v[4:5], v[28:29]
	scratch_load_b128 v[22:25], off, off offset:320
	v_add_f64_e32 v[171:172], v[171:172], v[183:184]
	v_add_f64_e32 v[173:174], v[173:174], v[175:176]
	s_wait_loadcnt_dscnt 0x800
	v_mul_f64_e32 v[175:176], v[6:7], v[32:33]
	v_mul_f64_e32 v[32:33], v[8:9], v[32:33]
	v_fma_f64 v[179:180], v[4:5], v[26:27], v[179:180]
	v_fma_f64 v[183:184], v[2:3], v[26:27], -v[28:29]
	ds_load_b128 v[2:5], v1 offset:1152
	scratch_load_b128 v[26:29], off, off offset:336
	v_add_f64_e32 v[171:172], v[171:172], v[181:182]
	v_add_f64_e32 v[173:174], v[173:174], v[177:178]
	v_fma_f64 v[175:176], v[8:9], v[30:31], v[175:176]
	v_fma_f64 v[181:182], v[6:7], v[30:31], -v[32:33]
	ds_load_b128 v[6:9], v1 offset:1168
	s_wait_loadcnt_dscnt 0x801
	v_mul_f64_e32 v[177:178], v[2:3], v[36:37]
	v_mul_f64_e32 v[36:37], v[4:5], v[36:37]
	scratch_load_b128 v[30:33], off, off offset:352
	v_add_f64_e32 v[171:172], v[171:172], v[183:184]
	v_add_f64_e32 v[173:174], v[173:174], v[179:180]
	s_wait_loadcnt_dscnt 0x800
	v_mul_f64_e32 v[179:180], v[6:7], v[169:170]
	v_mul_f64_e32 v[169:170], v[8:9], v[169:170]
	v_fma_f64 v[177:178], v[4:5], v[34:35], v[177:178]
	v_fma_f64 v[183:184], v[2:3], v[34:35], -v[36:37]
	ds_load_b128 v[2:5], v1 offset:1184
	scratch_load_b128 v[34:37], off, off offset:368
	v_add_f64_e32 v[171:172], v[171:172], v[181:182]
	v_add_f64_e32 v[173:174], v[173:174], v[175:176]
	v_fma_f64 v[179:180], v[8:9], v[167:168], v[179:180]
	v_fma_f64 v[181:182], v[6:7], v[167:168], -v[169:170]
	ds_load_b128 v[6:9], v1 offset:1200
	scratch_load_b128 v[167:170], off, off offset:384
	s_wait_loadcnt_dscnt 0x901
	v_mul_f64_e32 v[175:176], v[2:3], v[40:41]
	v_mul_f64_e32 v[40:41], v[4:5], v[40:41]
	v_add_f64_e32 v[171:172], v[171:172], v[183:184]
	v_add_f64_e32 v[173:174], v[173:174], v[177:178]
	s_wait_loadcnt_dscnt 0x800
	v_mul_f64_e32 v[177:178], v[6:7], v[165:166]
	v_mul_f64_e32 v[165:166], v[8:9], v[165:166]
	v_fma_f64 v[175:176], v[4:5], v[38:39], v[175:176]
	v_fma_f64 v[183:184], v[2:3], v[38:39], -v[40:41]
	ds_load_b128 v[2:5], v1 offset:1216
	scratch_load_b128 v[38:41], off, off offset:400
	v_add_f64_e32 v[171:172], v[171:172], v[181:182]
	v_add_f64_e32 v[173:174], v[173:174], v[179:180]
	v_fma_f64 v[177:178], v[8:9], v[163:164], v[177:178]
	v_fma_f64 v[181:182], v[6:7], v[163:164], -v[165:166]
	ds_load_b128 v[6:9], v1 offset:1232
	s_wait_loadcnt_dscnt 0x801
	v_mul_f64_e32 v[179:180], v[2:3], v[12:13]
	v_mul_f64_e32 v[12:13], v[4:5], v[12:13]
	scratch_load_b128 v[163:166], off, off offset:416
	v_add_f64_e32 v[171:172], v[171:172], v[183:184]
	v_add_f64_e32 v[173:174], v[173:174], v[175:176]
	s_wait_loadcnt_dscnt 0x800
	v_mul_f64_e32 v[175:176], v[6:7], v[16:17]
	v_mul_f64_e32 v[16:17], v[8:9], v[16:17]
	v_fma_f64 v[179:180], v[4:5], v[10:11], v[179:180]
	v_fma_f64 v[183:184], v[2:3], v[10:11], -v[12:13]
	ds_load_b128 v[2:5], v1 offset:1248
	scratch_load_b128 v[10:13], off, off offset:432
	v_add_f64_e32 v[171:172], v[171:172], v[181:182]
	v_add_f64_e32 v[173:174], v[173:174], v[177:178]
	v_fma_f64 v[175:176], v[8:9], v[14:15], v[175:176]
	v_fma_f64 v[181:182], v[6:7], v[14:15], -v[16:17]
	ds_load_b128 v[6:9], v1 offset:1264
	s_wait_loadcnt_dscnt 0x801
	v_mul_f64_e32 v[177:178], v[2:3], v[20:21]
	v_mul_f64_e32 v[20:21], v[4:5], v[20:21]
	scratch_load_b128 v[14:17], off, off offset:448
	;; [unrolled: 18-line block ×18, first 2 shown]
	v_add_f64_e32 v[171:172], v[171:172], v[183:184]
	v_add_f64_e32 v[173:174], v[173:174], v[177:178]
	s_wait_loadcnt_dscnt 0x800
	v_mul_f64_e32 v[177:178], v[6:7], v[32:33]
	v_mul_f64_e32 v[32:33], v[8:9], v[32:33]
	v_fma_f64 v[175:176], v[4:5], v[26:27], v[175:176]
	v_fma_f64 v[26:27], v[2:3], v[26:27], -v[28:29]
	ds_load_b128 v[2:5], v1 offset:1792
	v_add_f64_e32 v[28:29], v[171:172], v[181:182]
	v_add_f64_e32 v[171:172], v[173:174], v[179:180]
	v_fma_f64 v[177:178], v[8:9], v[30:31], v[177:178]
	v_fma_f64 v[30:31], v[6:7], v[30:31], -v[32:33]
	ds_load_b128 v[6:9], v1 offset:1808
	s_wait_loadcnt_dscnt 0x701
	v_mul_f64_e32 v[173:174], v[2:3], v[36:37]
	v_mul_f64_e32 v[36:37], v[4:5], v[36:37]
	v_add_f64_e32 v[26:27], v[28:29], v[26:27]
	v_add_f64_e32 v[28:29], v[171:172], v[175:176]
	s_delay_alu instid0(VALU_DEP_4) | instskip(NEXT) | instid1(VALU_DEP_4)
	v_fma_f64 v[171:172], v[4:5], v[34:35], v[173:174]
	v_fma_f64 v[34:35], v[2:3], v[34:35], -v[36:37]
	ds_load_b128 v[2:5], v1 offset:1824
	v_add_f64_e32 v[30:31], v[26:27], v[30:31]
	v_add_f64_e32 v[36:37], v[28:29], v[177:178]
	scratch_load_b128 v[26:29], off, off offset:64
	s_wait_loadcnt_dscnt 0x701
	v_mul_f64_e32 v[32:33], v[6:7], v[169:170]
	v_mul_f64_e32 v[169:170], v[8:9], v[169:170]
	v_add_f64_e32 v[30:31], v[30:31], v[34:35]
	v_add_f64_e32 v[34:35], v[36:37], v[171:172]
	s_delay_alu instid0(VALU_DEP_4) | instskip(NEXT) | instid1(VALU_DEP_4)
	v_fma_f64 v[32:33], v[8:9], v[167:168], v[32:33]
	v_fma_f64 v[167:168], v[6:7], v[167:168], -v[169:170]
	ds_load_b128 v[6:9], v1 offset:1840
	s_wait_loadcnt_dscnt 0x601
	v_mul_f64_e32 v[173:174], v[2:3], v[40:41]
	v_mul_f64_e32 v[40:41], v[4:5], v[40:41]
	s_wait_loadcnt_dscnt 0x500
	v_mul_f64_e32 v[36:37], v[6:7], v[165:166]
	v_mul_f64_e32 v[165:166], v[8:9], v[165:166]
	v_add_f64_e32 v[32:33], v[34:35], v[32:33]
	v_add_f64_e32 v[30:31], v[30:31], v[167:168]
	v_fma_f64 v[169:170], v[4:5], v[38:39], v[173:174]
	v_fma_f64 v[38:39], v[2:3], v[38:39], -v[40:41]
	ds_load_b128 v[2:5], v1 offset:1856
	v_fma_f64 v[36:37], v[8:9], v[163:164], v[36:37]
	v_fma_f64 v[40:41], v[6:7], v[163:164], -v[165:166]
	ds_load_b128 v[6:9], v1 offset:1872
	s_wait_loadcnt_dscnt 0x401
	v_mul_f64_e32 v[34:35], v[2:3], v[12:13]
	v_mul_f64_e32 v[12:13], v[4:5], v[12:13]
	v_add_f64_e32 v[32:33], v[32:33], v[169:170]
	v_add_f64_e32 v[30:31], v[30:31], v[38:39]
	s_wait_loadcnt_dscnt 0x300
	v_mul_f64_e32 v[38:39], v[6:7], v[16:17]
	v_mul_f64_e32 v[16:17], v[8:9], v[16:17]
	v_fma_f64 v[34:35], v[4:5], v[10:11], v[34:35]
	v_fma_f64 v[10:11], v[2:3], v[10:11], -v[12:13]
	ds_load_b128 v[2:5], v1 offset:1888
	v_add_f64_e32 v[12:13], v[30:31], v[40:41]
	v_add_f64_e32 v[30:31], v[32:33], v[36:37]
	v_fma_f64 v[36:37], v[8:9], v[14:15], v[38:39]
	v_fma_f64 v[14:15], v[6:7], v[14:15], -v[16:17]
	ds_load_b128 v[6:9], v1 offset:1904
	s_wait_loadcnt_dscnt 0x201
	v_mul_f64_e32 v[32:33], v[2:3], v[20:21]
	v_mul_f64_e32 v[20:21], v[4:5], v[20:21]
	s_wait_loadcnt_dscnt 0x100
	v_mul_f64_e32 v[16:17], v[6:7], v[24:25]
	v_mul_f64_e32 v[24:25], v[8:9], v[24:25]
	v_add_f64_e32 v[10:11], v[12:13], v[10:11]
	v_add_f64_e32 v[12:13], v[30:31], v[34:35]
	v_fma_f64 v[4:5], v[4:5], v[18:19], v[32:33]
	v_fma_f64 v[1:2], v[2:3], v[18:19], -v[20:21]
	v_fma_f64 v[8:9], v[8:9], v[22:23], v[16:17]
	v_fma_f64 v[6:7], v[6:7], v[22:23], -v[24:25]
	v_add_f64_e32 v[10:11], v[10:11], v[14:15]
	v_add_f64_e32 v[12:13], v[12:13], v[36:37]
	s_delay_alu instid0(VALU_DEP_2) | instskip(NEXT) | instid1(VALU_DEP_2)
	v_add_f64_e32 v[1:2], v[10:11], v[1:2]
	v_add_f64_e32 v[3:4], v[12:13], v[4:5]
	s_delay_alu instid0(VALU_DEP_2) | instskip(NEXT) | instid1(VALU_DEP_2)
	v_add_f64_e32 v[1:2], v[1:2], v[6:7]
	v_add_f64_e32 v[3:4], v[3:4], v[8:9]
	s_wait_loadcnt 0x0
	s_delay_alu instid0(VALU_DEP_2) | instskip(NEXT) | instid1(VALU_DEP_2)
	v_add_f64_e64 v[1:2], v[26:27], -v[1:2]
	v_add_f64_e64 v[3:4], v[28:29], -v[3:4]
	scratch_store_b128 off, v[1:4], off offset:64
	v_cmpx_lt_u32_e32 2, v0
	s_cbranch_execz .LBB59_369
; %bb.368:
	scratch_load_b128 v[1:4], off, s57
	v_mov_b32_e32 v5, 0
	s_delay_alu instid0(VALU_DEP_1)
	v_dual_mov_b32 v6, v5 :: v_dual_mov_b32 v7, v5
	v_mov_b32_e32 v8, v5
	scratch_store_b128 off, v[5:8], off offset:48
	s_wait_loadcnt 0x0
	ds_store_b128 v162, v[1:4]
.LBB59_369:
	s_wait_alu 0xfffe
	s_or_b32 exec_lo, exec_lo, s0
	s_wait_storecnt_dscnt 0x0
	s_barrier_signal -1
	s_barrier_wait -1
	global_inv scope:SCOPE_SE
	s_clause 0x7
	scratch_load_b128 v[2:5], off, off offset:64
	scratch_load_b128 v[6:9], off, off offset:80
	;; [unrolled: 1-line block ×8, first 2 shown]
	v_mov_b32_e32 v1, 0
	s_clause 0x1
	scratch_load_b128 v[34:37], off, off offset:192
	scratch_load_b128 v[167:170], off, off offset:208
	s_mov_b32 s0, exec_lo
	ds_load_b128 v[38:41], v1 offset:1008
	ds_load_b128 v[163:166], v1 offset:1024
	s_wait_loadcnt_dscnt 0x901
	v_mul_f64_e32 v[171:172], v[40:41], v[4:5]
	v_mul_f64_e32 v[4:5], v[38:39], v[4:5]
	s_wait_loadcnt_dscnt 0x800
	v_mul_f64_e32 v[173:174], v[163:164], v[8:9]
	v_mul_f64_e32 v[8:9], v[165:166], v[8:9]
	s_delay_alu instid0(VALU_DEP_4) | instskip(NEXT) | instid1(VALU_DEP_4)
	v_fma_f64 v[171:172], v[38:39], v[2:3], -v[171:172]
	v_fma_f64 v[175:176], v[40:41], v[2:3], v[4:5]
	ds_load_b128 v[2:5], v1 offset:1040
	scratch_load_b128 v[38:41], off, off offset:224
	v_fma_f64 v[173:174], v[165:166], v[6:7], v[173:174]
	v_fma_f64 v[179:180], v[163:164], v[6:7], -v[8:9]
	ds_load_b128 v[6:9], v1 offset:1056
	scratch_load_b128 v[163:166], off, off offset:240
	s_wait_loadcnt_dscnt 0x901
	v_mul_f64_e32 v[177:178], v[2:3], v[12:13]
	v_mul_f64_e32 v[12:13], v[4:5], v[12:13]
	s_wait_loadcnt_dscnt 0x800
	v_mul_f64_e32 v[181:182], v[6:7], v[16:17]
	v_mul_f64_e32 v[16:17], v[8:9], v[16:17]
	v_add_f64_e32 v[171:172], 0, v[171:172]
	v_add_f64_e32 v[175:176], 0, v[175:176]
	v_fma_f64 v[177:178], v[4:5], v[10:11], v[177:178]
	v_fma_f64 v[183:184], v[2:3], v[10:11], -v[12:13]
	ds_load_b128 v[2:5], v1 offset:1072
	scratch_load_b128 v[10:13], off, off offset:256
	v_add_f64_e32 v[171:172], v[171:172], v[179:180]
	v_add_f64_e32 v[173:174], v[175:176], v[173:174]
	v_fma_f64 v[179:180], v[8:9], v[14:15], v[181:182]
	v_fma_f64 v[181:182], v[6:7], v[14:15], -v[16:17]
	ds_load_b128 v[6:9], v1 offset:1088
	scratch_load_b128 v[14:17], off, off offset:272
	s_wait_loadcnt_dscnt 0x901
	v_mul_f64_e32 v[175:176], v[2:3], v[20:21]
	v_mul_f64_e32 v[20:21], v[4:5], v[20:21]
	v_add_f64_e32 v[171:172], v[171:172], v[183:184]
	v_add_f64_e32 v[173:174], v[173:174], v[177:178]
	s_wait_loadcnt_dscnt 0x800
	v_mul_f64_e32 v[177:178], v[6:7], v[24:25]
	v_mul_f64_e32 v[24:25], v[8:9], v[24:25]
	v_fma_f64 v[175:176], v[4:5], v[18:19], v[175:176]
	v_fma_f64 v[183:184], v[2:3], v[18:19], -v[20:21]
	ds_load_b128 v[2:5], v1 offset:1104
	scratch_load_b128 v[18:21], off, off offset:288
	v_add_f64_e32 v[171:172], v[171:172], v[181:182]
	v_add_f64_e32 v[173:174], v[173:174], v[179:180]
	v_fma_f64 v[177:178], v[8:9], v[22:23], v[177:178]
	v_fma_f64 v[181:182], v[6:7], v[22:23], -v[24:25]
	ds_load_b128 v[6:9], v1 offset:1120
	s_wait_loadcnt_dscnt 0x801
	v_mul_f64_e32 v[179:180], v[2:3], v[28:29]
	v_mul_f64_e32 v[28:29], v[4:5], v[28:29]
	scratch_load_b128 v[22:25], off, off offset:304
	v_add_f64_e32 v[171:172], v[171:172], v[183:184]
	v_add_f64_e32 v[173:174], v[173:174], v[175:176]
	s_wait_loadcnt_dscnt 0x800
	v_mul_f64_e32 v[175:176], v[6:7], v[32:33]
	v_mul_f64_e32 v[32:33], v[8:9], v[32:33]
	v_fma_f64 v[179:180], v[4:5], v[26:27], v[179:180]
	v_fma_f64 v[183:184], v[2:3], v[26:27], -v[28:29]
	ds_load_b128 v[2:5], v1 offset:1136
	scratch_load_b128 v[26:29], off, off offset:320
	v_add_f64_e32 v[171:172], v[171:172], v[181:182]
	v_add_f64_e32 v[173:174], v[173:174], v[177:178]
	v_fma_f64 v[175:176], v[8:9], v[30:31], v[175:176]
	v_fma_f64 v[181:182], v[6:7], v[30:31], -v[32:33]
	ds_load_b128 v[6:9], v1 offset:1152
	s_wait_loadcnt_dscnt 0x801
	v_mul_f64_e32 v[177:178], v[2:3], v[36:37]
	v_mul_f64_e32 v[36:37], v[4:5], v[36:37]
	scratch_load_b128 v[30:33], off, off offset:336
	v_add_f64_e32 v[171:172], v[171:172], v[183:184]
	v_add_f64_e32 v[173:174], v[173:174], v[179:180]
	s_wait_loadcnt_dscnt 0x800
	v_mul_f64_e32 v[179:180], v[6:7], v[169:170]
	v_mul_f64_e32 v[169:170], v[8:9], v[169:170]
	v_fma_f64 v[177:178], v[4:5], v[34:35], v[177:178]
	v_fma_f64 v[183:184], v[2:3], v[34:35], -v[36:37]
	ds_load_b128 v[2:5], v1 offset:1168
	scratch_load_b128 v[34:37], off, off offset:352
	v_add_f64_e32 v[171:172], v[171:172], v[181:182]
	v_add_f64_e32 v[173:174], v[173:174], v[175:176]
	v_fma_f64 v[179:180], v[8:9], v[167:168], v[179:180]
	v_fma_f64 v[181:182], v[6:7], v[167:168], -v[169:170]
	ds_load_b128 v[6:9], v1 offset:1184
	scratch_load_b128 v[167:170], off, off offset:368
	s_wait_loadcnt_dscnt 0x901
	v_mul_f64_e32 v[175:176], v[2:3], v[40:41]
	v_mul_f64_e32 v[40:41], v[4:5], v[40:41]
	v_add_f64_e32 v[171:172], v[171:172], v[183:184]
	v_add_f64_e32 v[173:174], v[173:174], v[177:178]
	s_wait_loadcnt_dscnt 0x800
	v_mul_f64_e32 v[177:178], v[6:7], v[165:166]
	v_mul_f64_e32 v[165:166], v[8:9], v[165:166]
	v_fma_f64 v[175:176], v[4:5], v[38:39], v[175:176]
	v_fma_f64 v[183:184], v[2:3], v[38:39], -v[40:41]
	ds_load_b128 v[2:5], v1 offset:1200
	scratch_load_b128 v[38:41], off, off offset:384
	v_add_f64_e32 v[171:172], v[171:172], v[181:182]
	v_add_f64_e32 v[173:174], v[173:174], v[179:180]
	v_fma_f64 v[177:178], v[8:9], v[163:164], v[177:178]
	v_fma_f64 v[181:182], v[6:7], v[163:164], -v[165:166]
	ds_load_b128 v[6:9], v1 offset:1216
	s_wait_loadcnt_dscnt 0x801
	v_mul_f64_e32 v[179:180], v[2:3], v[12:13]
	v_mul_f64_e32 v[12:13], v[4:5], v[12:13]
	scratch_load_b128 v[163:166], off, off offset:400
	v_add_f64_e32 v[171:172], v[171:172], v[183:184]
	v_add_f64_e32 v[173:174], v[173:174], v[175:176]
	s_wait_loadcnt_dscnt 0x800
	v_mul_f64_e32 v[175:176], v[6:7], v[16:17]
	v_mul_f64_e32 v[16:17], v[8:9], v[16:17]
	v_fma_f64 v[179:180], v[4:5], v[10:11], v[179:180]
	v_fma_f64 v[183:184], v[2:3], v[10:11], -v[12:13]
	ds_load_b128 v[2:5], v1 offset:1232
	scratch_load_b128 v[10:13], off, off offset:416
	v_add_f64_e32 v[171:172], v[171:172], v[181:182]
	v_add_f64_e32 v[173:174], v[173:174], v[177:178]
	v_fma_f64 v[175:176], v[8:9], v[14:15], v[175:176]
	v_fma_f64 v[181:182], v[6:7], v[14:15], -v[16:17]
	ds_load_b128 v[6:9], v1 offset:1248
	s_wait_loadcnt_dscnt 0x801
	v_mul_f64_e32 v[177:178], v[2:3], v[20:21]
	v_mul_f64_e32 v[20:21], v[4:5], v[20:21]
	scratch_load_b128 v[14:17], off, off offset:432
	;; [unrolled: 18-line block ×18, first 2 shown]
	v_add_f64_e32 v[171:172], v[171:172], v[183:184]
	v_add_f64_e32 v[173:174], v[173:174], v[177:178]
	s_wait_loadcnt_dscnt 0x800
	v_mul_f64_e32 v[177:178], v[6:7], v[32:33]
	v_mul_f64_e32 v[32:33], v[8:9], v[32:33]
	v_fma_f64 v[175:176], v[4:5], v[26:27], v[175:176]
	v_fma_f64 v[183:184], v[2:3], v[26:27], -v[28:29]
	ds_load_b128 v[2:5], v1 offset:1776
	scratch_load_b128 v[26:29], off, off offset:960
	v_add_f64_e32 v[171:172], v[171:172], v[181:182]
	v_add_f64_e32 v[173:174], v[173:174], v[179:180]
	v_fma_f64 v[177:178], v[8:9], v[30:31], v[177:178]
	v_fma_f64 v[30:31], v[6:7], v[30:31], -v[32:33]
	ds_load_b128 v[6:9], v1 offset:1792
	s_wait_loadcnt_dscnt 0x801
	v_mul_f64_e32 v[179:180], v[2:3], v[36:37]
	v_mul_f64_e32 v[36:37], v[4:5], v[36:37]
	v_add_f64_e32 v[32:33], v[171:172], v[183:184]
	v_add_f64_e32 v[171:172], v[173:174], v[175:176]
	s_wait_loadcnt_dscnt 0x700
	v_mul_f64_e32 v[173:174], v[6:7], v[169:170]
	v_mul_f64_e32 v[169:170], v[8:9], v[169:170]
	v_fma_f64 v[175:176], v[4:5], v[34:35], v[179:180]
	v_fma_f64 v[34:35], v[2:3], v[34:35], -v[36:37]
	ds_load_b128 v[2:5], v1 offset:1808
	v_add_f64_e32 v[30:31], v[32:33], v[30:31]
	v_add_f64_e32 v[32:33], v[171:172], v[177:178]
	v_fma_f64 v[171:172], v[8:9], v[167:168], v[173:174]
	v_fma_f64 v[167:168], v[6:7], v[167:168], -v[169:170]
	ds_load_b128 v[6:9], v1 offset:1824
	s_wait_loadcnt_dscnt 0x500
	v_mul_f64_e32 v[173:174], v[6:7], v[165:166]
	v_mul_f64_e32 v[165:166], v[8:9], v[165:166]
	v_add_f64_e32 v[34:35], v[30:31], v[34:35]
	v_add_f64_e32 v[169:170], v[32:33], v[175:176]
	scratch_load_b128 v[30:33], off, off offset:48
	v_mul_f64_e32 v[36:37], v[2:3], v[40:41]
	v_mul_f64_e32 v[40:41], v[4:5], v[40:41]
	v_add_f64_e32 v[34:35], v[34:35], v[167:168]
	s_delay_alu instid0(VALU_DEP_3) | instskip(NEXT) | instid1(VALU_DEP_3)
	v_fma_f64 v[36:37], v[4:5], v[38:39], v[36:37]
	v_fma_f64 v[38:39], v[2:3], v[38:39], -v[40:41]
	v_add_f64_e32 v[40:41], v[169:170], v[171:172]
	ds_load_b128 v[2:5], v1 offset:1840
	v_fma_f64 v[169:170], v[8:9], v[163:164], v[173:174]
	v_fma_f64 v[163:164], v[6:7], v[163:164], -v[165:166]
	ds_load_b128 v[6:9], v1 offset:1856
	s_wait_loadcnt_dscnt 0x501
	v_mul_f64_e32 v[167:168], v[2:3], v[12:13]
	v_mul_f64_e32 v[12:13], v[4:5], v[12:13]
	v_add_f64_e32 v[34:35], v[34:35], v[38:39]
	v_add_f64_e32 v[36:37], v[40:41], v[36:37]
	s_wait_loadcnt_dscnt 0x400
	v_mul_f64_e32 v[38:39], v[6:7], v[16:17]
	v_mul_f64_e32 v[16:17], v[8:9], v[16:17]
	v_fma_f64 v[40:41], v[4:5], v[10:11], v[167:168]
	v_fma_f64 v[10:11], v[2:3], v[10:11], -v[12:13]
	ds_load_b128 v[2:5], v1 offset:1872
	v_add_f64_e32 v[12:13], v[34:35], v[163:164]
	v_add_f64_e32 v[34:35], v[36:37], v[169:170]
	v_fma_f64 v[38:39], v[8:9], v[14:15], v[38:39]
	v_fma_f64 v[14:15], v[6:7], v[14:15], -v[16:17]
	ds_load_b128 v[6:9], v1 offset:1888
	s_wait_loadcnt_dscnt 0x301
	v_mul_f64_e32 v[36:37], v[2:3], v[20:21]
	v_mul_f64_e32 v[20:21], v[4:5], v[20:21]
	s_wait_loadcnt_dscnt 0x200
	v_mul_f64_e32 v[16:17], v[6:7], v[24:25]
	v_mul_f64_e32 v[24:25], v[8:9], v[24:25]
	v_add_f64_e32 v[10:11], v[12:13], v[10:11]
	v_add_f64_e32 v[12:13], v[34:35], v[40:41]
	v_fma_f64 v[34:35], v[4:5], v[18:19], v[36:37]
	v_fma_f64 v[18:19], v[2:3], v[18:19], -v[20:21]
	ds_load_b128 v[2:5], v1 offset:1904
	v_fma_f64 v[8:9], v[8:9], v[22:23], v[16:17]
	v_fma_f64 v[6:7], v[6:7], v[22:23], -v[24:25]
	s_wait_loadcnt_dscnt 0x100
	v_mul_f64_e32 v[20:21], v[4:5], v[28:29]
	v_add_f64_e32 v[10:11], v[10:11], v[14:15]
	v_add_f64_e32 v[12:13], v[12:13], v[38:39]
	v_mul_f64_e32 v[14:15], v[2:3], v[28:29]
	s_delay_alu instid0(VALU_DEP_4) | instskip(NEXT) | instid1(VALU_DEP_4)
	v_fma_f64 v[2:3], v[2:3], v[26:27], -v[20:21]
	v_add_f64_e32 v[10:11], v[10:11], v[18:19]
	s_delay_alu instid0(VALU_DEP_4) | instskip(NEXT) | instid1(VALU_DEP_4)
	v_add_f64_e32 v[12:13], v[12:13], v[34:35]
	v_fma_f64 v[4:5], v[4:5], v[26:27], v[14:15]
	s_delay_alu instid0(VALU_DEP_3) | instskip(NEXT) | instid1(VALU_DEP_3)
	v_add_f64_e32 v[6:7], v[10:11], v[6:7]
	v_add_f64_e32 v[8:9], v[12:13], v[8:9]
	s_delay_alu instid0(VALU_DEP_2) | instskip(NEXT) | instid1(VALU_DEP_2)
	v_add_f64_e32 v[2:3], v[6:7], v[2:3]
	v_add_f64_e32 v[4:5], v[8:9], v[4:5]
	s_wait_loadcnt 0x0
	s_delay_alu instid0(VALU_DEP_2) | instskip(NEXT) | instid1(VALU_DEP_2)
	v_add_f64_e64 v[2:3], v[30:31], -v[2:3]
	v_add_f64_e64 v[4:5], v[32:33], -v[4:5]
	scratch_store_b128 off, v[2:5], off offset:48
	v_cmpx_lt_u32_e32 1, v0
	s_cbranch_execz .LBB59_371
; %bb.370:
	scratch_load_b128 v[5:8], off, s58
	v_dual_mov_b32 v2, v1 :: v_dual_mov_b32 v3, v1
	v_mov_b32_e32 v4, v1
	scratch_store_b128 off, v[1:4], off offset:32
	s_wait_loadcnt 0x0
	ds_store_b128 v162, v[5:8]
.LBB59_371:
	s_wait_alu 0xfffe
	s_or_b32 exec_lo, exec_lo, s0
	s_wait_storecnt_dscnt 0x0
	s_barrier_signal -1
	s_barrier_wait -1
	global_inv scope:SCOPE_SE
	s_clause 0x7
	scratch_load_b128 v[2:5], off, off offset:48
	scratch_load_b128 v[6:9], off, off offset:64
	;; [unrolled: 1-line block ×8, first 2 shown]
	ds_load_b128 v[38:41], v1 offset:992
	ds_load_b128 v[163:166], v1 offset:1008
	s_clause 0x1
	scratch_load_b128 v[34:37], off, off offset:176
	scratch_load_b128 v[167:170], off, off offset:192
	s_mov_b32 s0, exec_lo
	s_wait_loadcnt_dscnt 0x901
	v_mul_f64_e32 v[171:172], v[40:41], v[4:5]
	v_mul_f64_e32 v[4:5], v[38:39], v[4:5]
	s_wait_loadcnt_dscnt 0x800
	v_mul_f64_e32 v[173:174], v[163:164], v[8:9]
	v_mul_f64_e32 v[8:9], v[165:166], v[8:9]
	s_delay_alu instid0(VALU_DEP_4) | instskip(NEXT) | instid1(VALU_DEP_4)
	v_fma_f64 v[171:172], v[38:39], v[2:3], -v[171:172]
	v_fma_f64 v[175:176], v[40:41], v[2:3], v[4:5]
	ds_load_b128 v[2:5], v1 offset:1024
	scratch_load_b128 v[38:41], off, off offset:208
	v_fma_f64 v[173:174], v[165:166], v[6:7], v[173:174]
	v_fma_f64 v[179:180], v[163:164], v[6:7], -v[8:9]
	ds_load_b128 v[6:9], v1 offset:1040
	scratch_load_b128 v[163:166], off, off offset:224
	s_wait_loadcnt_dscnt 0x901
	v_mul_f64_e32 v[177:178], v[2:3], v[12:13]
	v_mul_f64_e32 v[12:13], v[4:5], v[12:13]
	s_wait_loadcnt_dscnt 0x800
	v_mul_f64_e32 v[181:182], v[6:7], v[16:17]
	v_mul_f64_e32 v[16:17], v[8:9], v[16:17]
	v_add_f64_e32 v[171:172], 0, v[171:172]
	v_add_f64_e32 v[175:176], 0, v[175:176]
	v_fma_f64 v[177:178], v[4:5], v[10:11], v[177:178]
	v_fma_f64 v[183:184], v[2:3], v[10:11], -v[12:13]
	ds_load_b128 v[2:5], v1 offset:1056
	scratch_load_b128 v[10:13], off, off offset:240
	v_add_f64_e32 v[171:172], v[171:172], v[179:180]
	v_add_f64_e32 v[173:174], v[175:176], v[173:174]
	v_fma_f64 v[179:180], v[8:9], v[14:15], v[181:182]
	v_fma_f64 v[181:182], v[6:7], v[14:15], -v[16:17]
	ds_load_b128 v[6:9], v1 offset:1072
	scratch_load_b128 v[14:17], off, off offset:256
	s_wait_loadcnt_dscnt 0x901
	v_mul_f64_e32 v[175:176], v[2:3], v[20:21]
	v_mul_f64_e32 v[20:21], v[4:5], v[20:21]
	v_add_f64_e32 v[171:172], v[171:172], v[183:184]
	v_add_f64_e32 v[173:174], v[173:174], v[177:178]
	s_wait_loadcnt_dscnt 0x800
	v_mul_f64_e32 v[177:178], v[6:7], v[24:25]
	v_mul_f64_e32 v[24:25], v[8:9], v[24:25]
	v_fma_f64 v[175:176], v[4:5], v[18:19], v[175:176]
	v_fma_f64 v[183:184], v[2:3], v[18:19], -v[20:21]
	ds_load_b128 v[2:5], v1 offset:1088
	scratch_load_b128 v[18:21], off, off offset:272
	v_add_f64_e32 v[171:172], v[171:172], v[181:182]
	v_add_f64_e32 v[173:174], v[173:174], v[179:180]
	v_fma_f64 v[177:178], v[8:9], v[22:23], v[177:178]
	v_fma_f64 v[181:182], v[6:7], v[22:23], -v[24:25]
	ds_load_b128 v[6:9], v1 offset:1104
	s_wait_loadcnt_dscnt 0x801
	v_mul_f64_e32 v[179:180], v[2:3], v[28:29]
	v_mul_f64_e32 v[28:29], v[4:5], v[28:29]
	scratch_load_b128 v[22:25], off, off offset:288
	v_add_f64_e32 v[171:172], v[171:172], v[183:184]
	v_add_f64_e32 v[173:174], v[173:174], v[175:176]
	s_wait_loadcnt_dscnt 0x800
	v_mul_f64_e32 v[175:176], v[6:7], v[32:33]
	v_mul_f64_e32 v[32:33], v[8:9], v[32:33]
	v_fma_f64 v[179:180], v[4:5], v[26:27], v[179:180]
	v_fma_f64 v[183:184], v[2:3], v[26:27], -v[28:29]
	ds_load_b128 v[2:5], v1 offset:1120
	scratch_load_b128 v[26:29], off, off offset:304
	v_add_f64_e32 v[171:172], v[171:172], v[181:182]
	v_add_f64_e32 v[173:174], v[173:174], v[177:178]
	v_fma_f64 v[175:176], v[8:9], v[30:31], v[175:176]
	v_fma_f64 v[181:182], v[6:7], v[30:31], -v[32:33]
	ds_load_b128 v[6:9], v1 offset:1136
	s_wait_loadcnt_dscnt 0x801
	v_mul_f64_e32 v[177:178], v[2:3], v[36:37]
	v_mul_f64_e32 v[36:37], v[4:5], v[36:37]
	scratch_load_b128 v[30:33], off, off offset:320
	v_add_f64_e32 v[171:172], v[171:172], v[183:184]
	v_add_f64_e32 v[173:174], v[173:174], v[179:180]
	s_wait_loadcnt_dscnt 0x800
	v_mul_f64_e32 v[179:180], v[6:7], v[169:170]
	v_mul_f64_e32 v[169:170], v[8:9], v[169:170]
	v_fma_f64 v[177:178], v[4:5], v[34:35], v[177:178]
	v_fma_f64 v[183:184], v[2:3], v[34:35], -v[36:37]
	ds_load_b128 v[2:5], v1 offset:1152
	scratch_load_b128 v[34:37], off, off offset:336
	v_add_f64_e32 v[171:172], v[171:172], v[181:182]
	v_add_f64_e32 v[173:174], v[173:174], v[175:176]
	v_fma_f64 v[179:180], v[8:9], v[167:168], v[179:180]
	v_fma_f64 v[181:182], v[6:7], v[167:168], -v[169:170]
	ds_load_b128 v[6:9], v1 offset:1168
	scratch_load_b128 v[167:170], off, off offset:352
	s_wait_loadcnt_dscnt 0x901
	v_mul_f64_e32 v[175:176], v[2:3], v[40:41]
	v_mul_f64_e32 v[40:41], v[4:5], v[40:41]
	v_add_f64_e32 v[171:172], v[171:172], v[183:184]
	v_add_f64_e32 v[173:174], v[173:174], v[177:178]
	s_wait_loadcnt_dscnt 0x800
	v_mul_f64_e32 v[177:178], v[6:7], v[165:166]
	v_mul_f64_e32 v[165:166], v[8:9], v[165:166]
	v_fma_f64 v[175:176], v[4:5], v[38:39], v[175:176]
	v_fma_f64 v[183:184], v[2:3], v[38:39], -v[40:41]
	ds_load_b128 v[2:5], v1 offset:1184
	scratch_load_b128 v[38:41], off, off offset:368
	v_add_f64_e32 v[171:172], v[171:172], v[181:182]
	v_add_f64_e32 v[173:174], v[173:174], v[179:180]
	v_fma_f64 v[177:178], v[8:9], v[163:164], v[177:178]
	v_fma_f64 v[181:182], v[6:7], v[163:164], -v[165:166]
	ds_load_b128 v[6:9], v1 offset:1200
	s_wait_loadcnt_dscnt 0x801
	v_mul_f64_e32 v[179:180], v[2:3], v[12:13]
	v_mul_f64_e32 v[12:13], v[4:5], v[12:13]
	scratch_load_b128 v[163:166], off, off offset:384
	v_add_f64_e32 v[171:172], v[171:172], v[183:184]
	v_add_f64_e32 v[173:174], v[173:174], v[175:176]
	s_wait_loadcnt_dscnt 0x800
	v_mul_f64_e32 v[175:176], v[6:7], v[16:17]
	v_mul_f64_e32 v[16:17], v[8:9], v[16:17]
	v_fma_f64 v[179:180], v[4:5], v[10:11], v[179:180]
	v_fma_f64 v[183:184], v[2:3], v[10:11], -v[12:13]
	ds_load_b128 v[2:5], v1 offset:1216
	scratch_load_b128 v[10:13], off, off offset:400
	v_add_f64_e32 v[171:172], v[171:172], v[181:182]
	v_add_f64_e32 v[173:174], v[173:174], v[177:178]
	v_fma_f64 v[175:176], v[8:9], v[14:15], v[175:176]
	v_fma_f64 v[181:182], v[6:7], v[14:15], -v[16:17]
	ds_load_b128 v[6:9], v1 offset:1232
	s_wait_loadcnt_dscnt 0x801
	v_mul_f64_e32 v[177:178], v[2:3], v[20:21]
	v_mul_f64_e32 v[20:21], v[4:5], v[20:21]
	scratch_load_b128 v[14:17], off, off offset:416
	;; [unrolled: 18-line block ×19, first 2 shown]
	v_add_f64_e32 v[171:172], v[171:172], v[183:184]
	v_add_f64_e32 v[173:174], v[173:174], v[175:176]
	s_wait_loadcnt_dscnt 0x800
	v_mul_f64_e32 v[175:176], v[6:7], v[169:170]
	v_mul_f64_e32 v[169:170], v[8:9], v[169:170]
	v_fma_f64 v[179:180], v[4:5], v[34:35], v[179:180]
	v_fma_f64 v[34:35], v[2:3], v[34:35], -v[36:37]
	ds_load_b128 v[2:5], v1 offset:1792
	v_add_f64_e32 v[36:37], v[171:172], v[181:182]
	v_add_f64_e32 v[171:172], v[173:174], v[177:178]
	v_fma_f64 v[175:176], v[8:9], v[167:168], v[175:176]
	v_fma_f64 v[167:168], v[6:7], v[167:168], -v[169:170]
	ds_load_b128 v[6:9], v1 offset:1808
	s_wait_loadcnt_dscnt 0x701
	v_mul_f64_e32 v[173:174], v[2:3], v[40:41]
	v_mul_f64_e32 v[40:41], v[4:5], v[40:41]
	v_add_f64_e32 v[34:35], v[36:37], v[34:35]
	v_add_f64_e32 v[36:37], v[171:172], v[179:180]
	s_delay_alu instid0(VALU_DEP_4) | instskip(NEXT) | instid1(VALU_DEP_4)
	v_fma_f64 v[171:172], v[4:5], v[38:39], v[173:174]
	v_fma_f64 v[38:39], v[2:3], v[38:39], -v[40:41]
	ds_load_b128 v[2:5], v1 offset:1824
	v_add_f64_e32 v[40:41], v[34:35], v[167:168]
	v_add_f64_e32 v[167:168], v[36:37], v[175:176]
	scratch_load_b128 v[34:37], off, off offset:32
	s_wait_loadcnt_dscnt 0x701
	v_mul_f64_e32 v[169:170], v[6:7], v[165:166]
	v_mul_f64_e32 v[165:166], v[8:9], v[165:166]
	v_add_f64_e32 v[38:39], v[40:41], v[38:39]
	v_add_f64_e32 v[40:41], v[167:168], v[171:172]
	s_delay_alu instid0(VALU_DEP_4) | instskip(NEXT) | instid1(VALU_DEP_4)
	v_fma_f64 v[169:170], v[8:9], v[163:164], v[169:170]
	v_fma_f64 v[163:164], v[6:7], v[163:164], -v[165:166]
	ds_load_b128 v[6:9], v1 offset:1840
	s_wait_loadcnt_dscnt 0x601
	v_mul_f64_e32 v[173:174], v[2:3], v[12:13]
	v_mul_f64_e32 v[12:13], v[4:5], v[12:13]
	s_wait_loadcnt_dscnt 0x500
	v_mul_f64_e32 v[165:166], v[6:7], v[16:17]
	v_mul_f64_e32 v[16:17], v[8:9], v[16:17]
	s_delay_alu instid0(VALU_DEP_4) | instskip(NEXT) | instid1(VALU_DEP_4)
	v_fma_f64 v[167:168], v[4:5], v[10:11], v[173:174]
	v_fma_f64 v[10:11], v[2:3], v[10:11], -v[12:13]
	v_add_f64_e32 v[12:13], v[38:39], v[163:164]
	v_add_f64_e32 v[38:39], v[40:41], v[169:170]
	ds_load_b128 v[2:5], v1 offset:1856
	v_fma_f64 v[163:164], v[8:9], v[14:15], v[165:166]
	v_fma_f64 v[14:15], v[6:7], v[14:15], -v[16:17]
	ds_load_b128 v[6:9], v1 offset:1872
	s_wait_loadcnt_dscnt 0x401
	v_mul_f64_e32 v[40:41], v[2:3], v[20:21]
	v_mul_f64_e32 v[20:21], v[4:5], v[20:21]
	v_add_f64_e32 v[10:11], v[12:13], v[10:11]
	v_add_f64_e32 v[12:13], v[38:39], v[167:168]
	s_wait_loadcnt_dscnt 0x300
	v_mul_f64_e32 v[16:17], v[6:7], v[24:25]
	v_mul_f64_e32 v[24:25], v[8:9], v[24:25]
	v_fma_f64 v[38:39], v[4:5], v[18:19], v[40:41]
	v_fma_f64 v[18:19], v[2:3], v[18:19], -v[20:21]
	ds_load_b128 v[2:5], v1 offset:1888
	v_add_f64_e32 v[10:11], v[10:11], v[14:15]
	v_add_f64_e32 v[12:13], v[12:13], v[163:164]
	v_fma_f64 v[16:17], v[8:9], v[22:23], v[16:17]
	v_fma_f64 v[22:23], v[6:7], v[22:23], -v[24:25]
	ds_load_b128 v[6:9], v1 offset:1904
	s_wait_loadcnt_dscnt 0x201
	v_mul_f64_e32 v[14:15], v[2:3], v[28:29]
	v_mul_f64_e32 v[20:21], v[4:5], v[28:29]
	s_wait_loadcnt_dscnt 0x100
	v_mul_f64_e32 v[24:25], v[8:9], v[32:33]
	v_add_f64_e32 v[10:11], v[10:11], v[18:19]
	v_add_f64_e32 v[12:13], v[12:13], v[38:39]
	v_mul_f64_e32 v[18:19], v[6:7], v[32:33]
	v_fma_f64 v[4:5], v[4:5], v[26:27], v[14:15]
	v_fma_f64 v[1:2], v[2:3], v[26:27], -v[20:21]
	v_fma_f64 v[6:7], v[6:7], v[30:31], -v[24:25]
	v_add_f64_e32 v[10:11], v[10:11], v[22:23]
	v_add_f64_e32 v[12:13], v[12:13], v[16:17]
	v_fma_f64 v[8:9], v[8:9], v[30:31], v[18:19]
	s_delay_alu instid0(VALU_DEP_3) | instskip(NEXT) | instid1(VALU_DEP_3)
	v_add_f64_e32 v[1:2], v[10:11], v[1:2]
	v_add_f64_e32 v[3:4], v[12:13], v[4:5]
	s_delay_alu instid0(VALU_DEP_2) | instskip(NEXT) | instid1(VALU_DEP_2)
	v_add_f64_e32 v[1:2], v[1:2], v[6:7]
	v_add_f64_e32 v[3:4], v[3:4], v[8:9]
	s_wait_loadcnt 0x0
	s_delay_alu instid0(VALU_DEP_2) | instskip(NEXT) | instid1(VALU_DEP_2)
	v_add_f64_e64 v[1:2], v[34:35], -v[1:2]
	v_add_f64_e64 v[3:4], v[36:37], -v[3:4]
	scratch_store_b128 off, v[1:4], off offset:32
	v_cmpx_ne_u32_e32 0, v0
	s_cbranch_execz .LBB59_373
; %bb.372:
	scratch_load_b128 v[0:3], off, off offset:16
	v_mov_b32_e32 v4, 0
	s_delay_alu instid0(VALU_DEP_1)
	v_dual_mov_b32 v5, v4 :: v_dual_mov_b32 v6, v4
	v_mov_b32_e32 v7, v4
	scratch_store_b128 off, v[4:7], off offset:16
	s_wait_loadcnt 0x0
	ds_store_b128 v162, v[0:3]
.LBB59_373:
	s_wait_alu 0xfffe
	s_or_b32 exec_lo, exec_lo, s0
	s_wait_storecnt_dscnt 0x0
	s_barrier_signal -1
	s_barrier_wait -1
	global_inv scope:SCOPE_SE
	s_clause 0x7
	scratch_load_b128 v[0:3], off, off offset:32
	scratch_load_b128 v[4:7], off, off offset:48
	;; [unrolled: 1-line block ×8, first 2 shown]
	v_mov_b32_e32 v40, 0
	s_and_b32 vcc_lo, exec_lo, s18
	ds_load_b128 v[36:39], v40 offset:976
	s_clause 0x1
	scratch_load_b128 v[32:35], off, off offset:160
	scratch_load_b128 v[162:165], off, off offset:16
	ds_load_b128 v[166:169], v40 offset:992
	scratch_load_b128 v[170:173], off, off offset:176
	s_wait_loadcnt_dscnt 0xa01
	v_mul_f64_e32 v[174:175], v[38:39], v[2:3]
	v_mul_f64_e32 v[2:3], v[36:37], v[2:3]
	s_delay_alu instid0(VALU_DEP_2) | instskip(NEXT) | instid1(VALU_DEP_2)
	v_fma_f64 v[180:181], v[36:37], v[0:1], -v[174:175]
	v_fma_f64 v[182:183], v[38:39], v[0:1], v[2:3]
	ds_load_b128 v[0:3], v40 offset:1008
	s_wait_loadcnt_dscnt 0x901
	v_mul_f64_e32 v[178:179], v[166:167], v[6:7]
	v_mul_f64_e32 v[6:7], v[168:169], v[6:7]
	scratch_load_b128 v[36:39], off, off offset:192
	ds_load_b128 v[174:177], v40 offset:1024
	s_wait_loadcnt_dscnt 0x901
	v_mul_f64_e32 v[184:185], v[0:1], v[10:11]
	v_mul_f64_e32 v[10:11], v[2:3], v[10:11]
	v_fma_f64 v[168:169], v[168:169], v[4:5], v[178:179]
	v_fma_f64 v[166:167], v[166:167], v[4:5], -v[6:7]
	v_add_f64_e32 v[178:179], 0, v[180:181]
	v_add_f64_e32 v[180:181], 0, v[182:183]
	scratch_load_b128 v[4:7], off, off offset:208
	v_fma_f64 v[184:185], v[2:3], v[8:9], v[184:185]
	v_fma_f64 v[186:187], v[0:1], v[8:9], -v[10:11]
	ds_load_b128 v[0:3], v40 offset:1040
	s_wait_loadcnt_dscnt 0x901
	v_mul_f64_e32 v[182:183], v[174:175], v[14:15]
	v_mul_f64_e32 v[14:15], v[176:177], v[14:15]
	scratch_load_b128 v[8:11], off, off offset:224
	v_add_f64_e32 v[178:179], v[178:179], v[166:167]
	v_add_f64_e32 v[180:181], v[180:181], v[168:169]
	s_wait_loadcnt_dscnt 0x900
	v_mul_f64_e32 v[188:189], v[0:1], v[18:19]
	v_mul_f64_e32 v[18:19], v[2:3], v[18:19]
	ds_load_b128 v[166:169], v40 offset:1056
	v_fma_f64 v[176:177], v[176:177], v[12:13], v[182:183]
	v_fma_f64 v[174:175], v[174:175], v[12:13], -v[14:15]
	scratch_load_b128 v[12:15], off, off offset:240
	v_add_f64_e32 v[178:179], v[178:179], v[186:187]
	v_add_f64_e32 v[180:181], v[180:181], v[184:185]
	v_fma_f64 v[184:185], v[2:3], v[16:17], v[188:189]
	v_fma_f64 v[186:187], v[0:1], v[16:17], -v[18:19]
	ds_load_b128 v[0:3], v40 offset:1072
	s_wait_loadcnt_dscnt 0x901
	v_mul_f64_e32 v[182:183], v[166:167], v[22:23]
	v_mul_f64_e32 v[22:23], v[168:169], v[22:23]
	scratch_load_b128 v[16:19], off, off offset:256
	s_wait_loadcnt_dscnt 0x900
	v_mul_f64_e32 v[188:189], v[0:1], v[26:27]
	v_mul_f64_e32 v[26:27], v[2:3], v[26:27]
	v_add_f64_e32 v[178:179], v[178:179], v[174:175]
	v_add_f64_e32 v[180:181], v[180:181], v[176:177]
	ds_load_b128 v[174:177], v40 offset:1088
	v_fma_f64 v[168:169], v[168:169], v[20:21], v[182:183]
	v_fma_f64 v[166:167], v[166:167], v[20:21], -v[22:23]
	scratch_load_b128 v[20:23], off, off offset:272
	v_add_f64_e32 v[178:179], v[178:179], v[186:187]
	v_add_f64_e32 v[180:181], v[180:181], v[184:185]
	v_fma_f64 v[184:185], v[2:3], v[24:25], v[188:189]
	v_fma_f64 v[186:187], v[0:1], v[24:25], -v[26:27]
	ds_load_b128 v[0:3], v40 offset:1104
	s_wait_loadcnt_dscnt 0x901
	v_mul_f64_e32 v[182:183], v[174:175], v[30:31]
	v_mul_f64_e32 v[30:31], v[176:177], v[30:31]
	scratch_load_b128 v[24:27], off, off offset:288
	s_wait_loadcnt_dscnt 0x900
	v_mul_f64_e32 v[188:189], v[0:1], v[34:35]
	v_mul_f64_e32 v[34:35], v[2:3], v[34:35]
	v_add_f64_e32 v[178:179], v[178:179], v[166:167]
	v_add_f64_e32 v[180:181], v[180:181], v[168:169]
	ds_load_b128 v[166:169], v40 offset:1120
	v_fma_f64 v[176:177], v[176:177], v[28:29], v[182:183]
	v_fma_f64 v[174:175], v[174:175], v[28:29], -v[30:31]
	scratch_load_b128 v[28:31], off, off offset:304
	v_add_f64_e32 v[178:179], v[178:179], v[186:187]
	v_add_f64_e32 v[180:181], v[180:181], v[184:185]
	v_fma_f64 v[186:187], v[2:3], v[32:33], v[188:189]
	v_fma_f64 v[188:189], v[0:1], v[32:33], -v[34:35]
	ds_load_b128 v[0:3], v40 offset:1136
	s_wait_loadcnt_dscnt 0x801
	v_mul_f64_e32 v[182:183], v[166:167], v[172:173]
	v_mul_f64_e32 v[184:185], v[168:169], v[172:173]
	scratch_load_b128 v[32:35], off, off offset:320
	v_add_f64_e32 v[178:179], v[178:179], v[174:175]
	v_add_f64_e32 v[176:177], v[180:181], v[176:177]
	ds_load_b128 v[172:175], v40 offset:1152
	v_fma_f64 v[182:183], v[168:169], v[170:171], v[182:183]
	v_fma_f64 v[170:171], v[166:167], v[170:171], -v[184:185]
	scratch_load_b128 v[166:169], off, off offset:336
	s_wait_loadcnt_dscnt 0x901
	v_mul_f64_e32 v[180:181], v[0:1], v[38:39]
	v_mul_f64_e32 v[38:39], v[2:3], v[38:39]
	v_add_f64_e32 v[178:179], v[178:179], v[188:189]
	v_add_f64_e32 v[176:177], v[176:177], v[186:187]
	s_delay_alu instid0(VALU_DEP_4) | instskip(NEXT) | instid1(VALU_DEP_4)
	v_fma_f64 v[180:181], v[2:3], v[36:37], v[180:181]
	v_fma_f64 v[186:187], v[0:1], v[36:37], -v[38:39]
	ds_load_b128 v[0:3], v40 offset:1168
	s_wait_loadcnt_dscnt 0x801
	v_mul_f64_e32 v[184:185], v[172:173], v[6:7]
	v_mul_f64_e32 v[6:7], v[174:175], v[6:7]
	scratch_load_b128 v[36:39], off, off offset:352
	s_wait_loadcnt_dscnt 0x800
	v_mul_f64_e32 v[188:189], v[0:1], v[10:11]
	v_add_f64_e32 v[170:171], v[178:179], v[170:171]
	v_add_f64_e32 v[182:183], v[176:177], v[182:183]
	v_mul_f64_e32 v[10:11], v[2:3], v[10:11]
	ds_load_b128 v[176:179], v40 offset:1184
	v_fma_f64 v[174:175], v[174:175], v[4:5], v[184:185]
	v_fma_f64 v[172:173], v[172:173], v[4:5], -v[6:7]
	scratch_load_b128 v[4:7], off, off offset:368
	v_fma_f64 v[184:185], v[2:3], v[8:9], v[188:189]
	v_add_f64_e32 v[170:171], v[170:171], v[186:187]
	v_add_f64_e32 v[180:181], v[182:183], v[180:181]
	v_fma_f64 v[186:187], v[0:1], v[8:9], -v[10:11]
	ds_load_b128 v[0:3], v40 offset:1200
	s_wait_loadcnt_dscnt 0x801
	v_mul_f64_e32 v[182:183], v[176:177], v[14:15]
	v_mul_f64_e32 v[14:15], v[178:179], v[14:15]
	scratch_load_b128 v[8:11], off, off offset:384
	v_add_f64_e32 v[188:189], v[170:171], v[172:173]
	v_add_f64_e32 v[174:175], v[180:181], v[174:175]
	s_wait_loadcnt_dscnt 0x800
	v_mul_f64_e32 v[180:181], v[0:1], v[18:19]
	v_mul_f64_e32 v[18:19], v[2:3], v[18:19]
	v_fma_f64 v[178:179], v[178:179], v[12:13], v[182:183]
	v_fma_f64 v[176:177], v[176:177], v[12:13], -v[14:15]
	ds_load_b128 v[170:173], v40 offset:1216
	scratch_load_b128 v[12:15], off, off offset:400
	v_add_f64_e32 v[182:183], v[188:189], v[186:187]
	v_add_f64_e32 v[174:175], v[174:175], v[184:185]
	v_fma_f64 v[180:181], v[2:3], v[16:17], v[180:181]
	v_fma_f64 v[186:187], v[0:1], v[16:17], -v[18:19]
	ds_load_b128 v[0:3], v40 offset:1232
	s_wait_loadcnt_dscnt 0x801
	v_mul_f64_e32 v[184:185], v[170:171], v[22:23]
	v_mul_f64_e32 v[22:23], v[172:173], v[22:23]
	scratch_load_b128 v[16:19], off, off offset:416
	s_wait_loadcnt_dscnt 0x800
	v_mul_f64_e32 v[188:189], v[0:1], v[26:27]
	v_mul_f64_e32 v[26:27], v[2:3], v[26:27]
	v_add_f64_e32 v[182:183], v[182:183], v[176:177]
	v_add_f64_e32 v[178:179], v[174:175], v[178:179]
	ds_load_b128 v[174:177], v40 offset:1248
	v_fma_f64 v[172:173], v[172:173], v[20:21], v[184:185]
	v_fma_f64 v[170:171], v[170:171], v[20:21], -v[22:23]
	scratch_load_b128 v[20:23], off, off offset:432
	v_fma_f64 v[184:185], v[2:3], v[24:25], v[188:189]
	v_add_f64_e32 v[182:183], v[182:183], v[186:187]
	v_add_f64_e32 v[178:179], v[178:179], v[180:181]
	v_fma_f64 v[186:187], v[0:1], v[24:25], -v[26:27]
	ds_load_b128 v[0:3], v40 offset:1264
	s_wait_loadcnt_dscnt 0x801
	v_mul_f64_e32 v[180:181], v[174:175], v[30:31]
	v_mul_f64_e32 v[30:31], v[176:177], v[30:31]
	scratch_load_b128 v[24:27], off, off offset:448
	s_wait_loadcnt_dscnt 0x800
	v_mul_f64_e32 v[188:189], v[0:1], v[34:35]
	v_mul_f64_e32 v[34:35], v[2:3], v[34:35]
	v_add_f64_e32 v[182:183], v[182:183], v[170:171]
	v_add_f64_e32 v[178:179], v[178:179], v[172:173]
	ds_load_b128 v[170:173], v40 offset:1280
	v_fma_f64 v[176:177], v[176:177], v[28:29], v[180:181]
	v_fma_f64 v[174:175], v[174:175], v[28:29], -v[30:31]
	scratch_load_b128 v[28:31], off, off offset:464
	v_add_f64_e32 v[180:181], v[182:183], v[186:187]
	v_add_f64_e32 v[178:179], v[178:179], v[184:185]
	v_fma_f64 v[184:185], v[2:3], v[32:33], v[188:189]
	v_fma_f64 v[186:187], v[0:1], v[32:33], -v[34:35]
	ds_load_b128 v[0:3], v40 offset:1296
	s_wait_loadcnt_dscnt 0x801
	v_mul_f64_e32 v[182:183], v[170:171], v[168:169]
	v_mul_f64_e32 v[168:169], v[172:173], v[168:169]
	scratch_load_b128 v[32:35], off, off offset:480
	s_wait_loadcnt_dscnt 0x800
	v_mul_f64_e32 v[188:189], v[0:1], v[38:39]
	v_mul_f64_e32 v[38:39], v[2:3], v[38:39]
	v_add_f64_e32 v[180:181], v[180:181], v[174:175]
	v_add_f64_e32 v[178:179], v[178:179], v[176:177]
	ds_load_b128 v[174:177], v40 offset:1312
	v_fma_f64 v[172:173], v[172:173], v[166:167], v[182:183]
	v_fma_f64 v[170:171], v[170:171], v[166:167], -v[168:169]
	scratch_load_b128 v[166:169], off, off offset:496
	v_add_f64_e32 v[180:181], v[180:181], v[186:187]
	v_add_f64_e32 v[178:179], v[178:179], v[184:185]
	v_fma_f64 v[184:185], v[2:3], v[36:37], v[188:189]
	;; [unrolled: 18-line block ×6, first 2 shown]
	v_fma_f64 v[188:189], v[0:1], v[32:33], -v[34:35]
	ds_load_b128 v[0:3], v40 offset:1456
	s_wait_loadcnt_dscnt 0x801
	v_mul_f64_e32 v[182:183], v[174:175], v[168:169]
	v_mul_f64_e32 v[184:185], v[176:177], v[168:169]
	scratch_load_b128 v[32:35], off, off offset:640
	v_add_f64_e32 v[180:181], v[180:181], v[170:171]
	v_add_f64_e32 v[172:173], v[178:179], v[172:173]
	s_wait_loadcnt_dscnt 0x800
	v_mul_f64_e32 v[178:179], v[0:1], v[38:39]
	v_mul_f64_e32 v[38:39], v[2:3], v[38:39]
	ds_load_b128 v[168:171], v40 offset:1472
	v_fma_f64 v[176:177], v[176:177], v[166:167], v[182:183]
	v_fma_f64 v[166:167], v[174:175], v[166:167], -v[184:185]
	v_add_f64_e32 v[180:181], v[180:181], v[188:189]
	v_add_f64_e32 v[182:183], v[172:173], v[186:187]
	scratch_load_b128 v[172:175], off, off offset:656
	v_fma_f64 v[186:187], v[2:3], v[36:37], v[178:179]
	v_fma_f64 v[188:189], v[0:1], v[36:37], -v[38:39]
	ds_load_b128 v[0:3], v40 offset:1488
	s_wait_loadcnt_dscnt 0x801
	v_mul_f64_e32 v[184:185], v[168:169], v[6:7]
	v_mul_f64_e32 v[6:7], v[170:171], v[6:7]
	scratch_load_b128 v[36:39], off, off offset:672
	v_add_f64_e32 v[166:167], v[180:181], v[166:167]
	v_add_f64_e32 v[180:181], v[182:183], v[176:177]
	s_wait_loadcnt_dscnt 0x800
	v_mul_f64_e32 v[182:183], v[0:1], v[10:11]
	v_mul_f64_e32 v[10:11], v[2:3], v[10:11]
	ds_load_b128 v[176:179], v40 offset:1504
	v_fma_f64 v[170:171], v[170:171], v[4:5], v[184:185]
	v_fma_f64 v[168:169], v[168:169], v[4:5], -v[6:7]
	scratch_load_b128 v[4:7], off, off offset:688
	v_add_f64_e32 v[166:167], v[166:167], v[188:189]
	v_add_f64_e32 v[180:181], v[180:181], v[186:187]
	v_fma_f64 v[182:183], v[2:3], v[8:9], v[182:183]
	v_fma_f64 v[186:187], v[0:1], v[8:9], -v[10:11]
	ds_load_b128 v[0:3], v40 offset:1520
	s_wait_loadcnt_dscnt 0x801
	v_mul_f64_e32 v[184:185], v[176:177], v[14:15]
	v_mul_f64_e32 v[14:15], v[178:179], v[14:15]
	scratch_load_b128 v[8:11], off, off offset:704
	v_add_f64_e32 v[188:189], v[166:167], v[168:169]
	v_add_f64_e32 v[170:171], v[180:181], v[170:171]
	s_wait_loadcnt_dscnt 0x800
	v_mul_f64_e32 v[180:181], v[0:1], v[18:19]
	v_mul_f64_e32 v[18:19], v[2:3], v[18:19]
	ds_load_b128 v[166:169], v40 offset:1536
	v_fma_f64 v[178:179], v[178:179], v[12:13], v[184:185]
	v_fma_f64 v[176:177], v[176:177], v[12:13], -v[14:15]
	scratch_load_b128 v[12:15], off, off offset:720
	v_add_f64_e32 v[184:185], v[188:189], v[186:187]
	v_add_f64_e32 v[170:171], v[170:171], v[182:183]
	v_fma_f64 v[180:181], v[2:3], v[16:17], v[180:181]
	v_fma_f64 v[186:187], v[0:1], v[16:17], -v[18:19]
	ds_load_b128 v[0:3], v40 offset:1552
	s_wait_loadcnt_dscnt 0x801
	v_mul_f64_e32 v[182:183], v[166:167], v[22:23]
	v_mul_f64_e32 v[22:23], v[168:169], v[22:23]
	scratch_load_b128 v[16:19], off, off offset:736
	s_wait_loadcnt_dscnt 0x800
	v_mul_f64_e32 v[188:189], v[0:1], v[26:27]
	v_mul_f64_e32 v[26:27], v[2:3], v[26:27]
	v_add_f64_e32 v[184:185], v[184:185], v[176:177]
	v_add_f64_e32 v[170:171], v[170:171], v[178:179]
	ds_load_b128 v[176:179], v40 offset:1568
	v_fma_f64 v[168:169], v[168:169], v[20:21], v[182:183]
	v_fma_f64 v[166:167], v[166:167], v[20:21], -v[22:23]
	scratch_load_b128 v[20:23], off, off offset:752
	v_add_f64_e32 v[182:183], v[184:185], v[186:187]
	v_add_f64_e32 v[170:171], v[170:171], v[180:181]
	v_fma_f64 v[184:185], v[2:3], v[24:25], v[188:189]
	v_fma_f64 v[186:187], v[0:1], v[24:25], -v[26:27]
	ds_load_b128 v[0:3], v40 offset:1584
	s_wait_loadcnt_dscnt 0x801
	v_mul_f64_e32 v[180:181], v[176:177], v[30:31]
	v_mul_f64_e32 v[30:31], v[178:179], v[30:31]
	scratch_load_b128 v[24:27], off, off offset:768
	s_wait_loadcnt_dscnt 0x800
	v_mul_f64_e32 v[188:189], v[0:1], v[34:35]
	v_mul_f64_e32 v[34:35], v[2:3], v[34:35]
	v_add_f64_e32 v[182:183], v[182:183], v[166:167]
	v_add_f64_e32 v[170:171], v[170:171], v[168:169]
	ds_load_b128 v[166:169], v40 offset:1600
	v_fma_f64 v[178:179], v[178:179], v[28:29], v[180:181]
	v_fma_f64 v[176:177], v[176:177], v[28:29], -v[30:31]
	scratch_load_b128 v[28:31], off, off offset:784
	v_add_f64_e32 v[180:181], v[182:183], v[186:187]
	v_add_f64_e32 v[170:171], v[170:171], v[184:185]
	v_fma_f64 v[186:187], v[2:3], v[32:33], v[188:189]
	v_fma_f64 v[188:189], v[0:1], v[32:33], -v[34:35]
	ds_load_b128 v[0:3], v40 offset:1616
	scratch_load_b128 v[32:35], off, off offset:800
	s_wait_loadcnt_dscnt 0x901
	v_mul_f64_e32 v[182:183], v[166:167], v[174:175]
	v_mul_f64_e32 v[184:185], v[168:169], v[174:175]
	v_add_f64_e32 v[180:181], v[180:181], v[176:177]
	v_add_f64_e32 v[170:171], v[170:171], v[178:179]
	s_wait_loadcnt_dscnt 0x800
	v_mul_f64_e32 v[178:179], v[0:1], v[38:39]
	v_mul_f64_e32 v[38:39], v[2:3], v[38:39]
	ds_load_b128 v[174:177], v40 offset:1632
	v_fma_f64 v[182:183], v[168:169], v[172:173], v[182:183]
	v_fma_f64 v[172:173], v[166:167], v[172:173], -v[184:185]
	scratch_load_b128 v[166:169], off, off offset:816
	v_add_f64_e32 v[180:181], v[180:181], v[188:189]
	v_add_f64_e32 v[170:171], v[170:171], v[186:187]
	v_fma_f64 v[178:179], v[2:3], v[36:37], v[178:179]
	v_fma_f64 v[186:187], v[0:1], v[36:37], -v[38:39]
	ds_load_b128 v[0:3], v40 offset:1648
	s_wait_loadcnt_dscnt 0x801
	v_mul_f64_e32 v[184:185], v[174:175], v[6:7]
	v_mul_f64_e32 v[6:7], v[176:177], v[6:7]
	scratch_load_b128 v[36:39], off, off offset:832
	s_wait_loadcnt_dscnt 0x800
	v_mul_f64_e32 v[188:189], v[0:1], v[10:11]
	v_mul_f64_e32 v[10:11], v[2:3], v[10:11]
	v_add_f64_e32 v[180:181], v[180:181], v[172:173]
	v_add_f64_e32 v[182:183], v[170:171], v[182:183]
	ds_load_b128 v[170:173], v40 offset:1664
	v_fma_f64 v[176:177], v[176:177], v[4:5], v[184:185]
	v_fma_f64 v[174:175], v[174:175], v[4:5], -v[6:7]
	scratch_load_b128 v[4:7], off, off offset:848
	v_fma_f64 v[184:185], v[2:3], v[8:9], v[188:189]
	v_add_f64_e32 v[180:181], v[180:181], v[186:187]
	v_add_f64_e32 v[178:179], v[182:183], v[178:179]
	v_fma_f64 v[186:187], v[0:1], v[8:9], -v[10:11]
	ds_load_b128 v[0:3], v40 offset:1680
	s_wait_loadcnt_dscnt 0x801
	v_mul_f64_e32 v[182:183], v[170:171], v[14:15]
	v_mul_f64_e32 v[14:15], v[172:173], v[14:15]
	scratch_load_b128 v[8:11], off, off offset:864
	s_wait_loadcnt_dscnt 0x800
	v_mul_f64_e32 v[188:189], v[0:1], v[18:19]
	v_mul_f64_e32 v[18:19], v[2:3], v[18:19]
	v_add_f64_e32 v[180:181], v[180:181], v[174:175]
	v_add_f64_e32 v[178:179], v[178:179], v[176:177]
	ds_load_b128 v[174:177], v40 offset:1696
	v_fma_f64 v[172:173], v[172:173], v[12:13], v[182:183]
	v_fma_f64 v[170:171], v[170:171], v[12:13], -v[14:15]
	scratch_load_b128 v[12:15], off, off offset:880
	v_add_f64_e32 v[180:181], v[180:181], v[186:187]
	v_add_f64_e32 v[178:179], v[178:179], v[184:185]
	v_fma_f64 v[184:185], v[2:3], v[16:17], v[188:189]
	v_fma_f64 v[186:187], v[0:1], v[16:17], -v[18:19]
	ds_load_b128 v[0:3], v40 offset:1712
	s_wait_loadcnt_dscnt 0x801
	v_mul_f64_e32 v[182:183], v[174:175], v[22:23]
	v_mul_f64_e32 v[22:23], v[176:177], v[22:23]
	scratch_load_b128 v[16:19], off, off offset:896
	s_wait_loadcnt_dscnt 0x800
	v_mul_f64_e32 v[188:189], v[0:1], v[26:27]
	v_mul_f64_e32 v[26:27], v[2:3], v[26:27]
	v_add_f64_e32 v[180:181], v[180:181], v[170:171]
	v_add_f64_e32 v[178:179], v[178:179], v[172:173]
	ds_load_b128 v[170:173], v40 offset:1728
	v_fma_f64 v[176:177], v[176:177], v[20:21], v[182:183]
	v_fma_f64 v[174:175], v[174:175], v[20:21], -v[22:23]
	scratch_load_b128 v[20:23], off, off offset:912
	v_add_f64_e32 v[180:181], v[180:181], v[186:187]
	v_add_f64_e32 v[178:179], v[178:179], v[184:185]
	v_fma_f64 v[184:185], v[2:3], v[24:25], v[188:189]
	;; [unrolled: 18-line block ×3, first 2 shown]
	v_fma_f64 v[188:189], v[0:1], v[32:33], -v[34:35]
	ds_load_b128 v[0:3], v40 offset:1776
	s_wait_loadcnt_dscnt 0x801
	v_mul_f64_e32 v[182:183], v[174:175], v[168:169]
	v_mul_f64_e32 v[184:185], v[176:177], v[168:169]
	scratch_load_b128 v[32:35], off, off offset:960
	v_add_f64_e32 v[180:181], v[180:181], v[170:171]
	v_add_f64_e32 v[172:173], v[178:179], v[172:173]
	s_wait_loadcnt_dscnt 0x800
	v_mul_f64_e32 v[178:179], v[0:1], v[38:39]
	v_mul_f64_e32 v[38:39], v[2:3], v[38:39]
	ds_load_b128 v[168:171], v40 offset:1792
	v_fma_f64 v[176:177], v[176:177], v[166:167], v[182:183]
	v_fma_f64 v[166:167], v[174:175], v[166:167], -v[184:185]
	v_add_f64_e32 v[174:175], v[180:181], v[188:189]
	v_add_f64_e32 v[172:173], v[172:173], v[186:187]
	s_wait_loadcnt_dscnt 0x700
	v_mul_f64_e32 v[180:181], v[168:169], v[6:7]
	v_mul_f64_e32 v[6:7], v[170:171], v[6:7]
	v_fma_f64 v[178:179], v[2:3], v[36:37], v[178:179]
	v_fma_f64 v[182:183], v[0:1], v[36:37], -v[38:39]
	ds_load_b128 v[0:3], v40 offset:1808
	ds_load_b128 v[36:39], v40 offset:1824
	v_add_f64_e32 v[166:167], v[174:175], v[166:167]
	v_add_f64_e32 v[172:173], v[172:173], v[176:177]
	s_wait_loadcnt_dscnt 0x601
	v_mul_f64_e32 v[174:175], v[0:1], v[10:11]
	v_mul_f64_e32 v[10:11], v[2:3], v[10:11]
	v_fma_f64 v[170:171], v[170:171], v[4:5], v[180:181]
	v_fma_f64 v[4:5], v[168:169], v[4:5], -v[6:7]
	s_wait_loadcnt_dscnt 0x500
	v_mul_f64_e32 v[168:169], v[36:37], v[14:15]
	v_mul_f64_e32 v[14:15], v[38:39], v[14:15]
	v_add_f64_e32 v[6:7], v[166:167], v[182:183]
	v_add_f64_e32 v[166:167], v[172:173], v[178:179]
	v_fma_f64 v[172:173], v[2:3], v[8:9], v[174:175]
	v_fma_f64 v[8:9], v[0:1], v[8:9], -v[10:11]
	v_fma_f64 v[38:39], v[38:39], v[12:13], v[168:169]
	v_fma_f64 v[12:13], v[36:37], v[12:13], -v[14:15]
	v_add_f64_e32 v[10:11], v[6:7], v[4:5]
	v_add_f64_e32 v[166:167], v[166:167], v[170:171]
	ds_load_b128 v[0:3], v40 offset:1840
	ds_load_b128 v[4:7], v40 offset:1856
	s_wait_loadcnt_dscnt 0x401
	v_mul_f64_e32 v[170:171], v[0:1], v[18:19]
	v_mul_f64_e32 v[18:19], v[2:3], v[18:19]
	s_wait_loadcnt_dscnt 0x300
	v_mul_f64_e32 v[14:15], v[4:5], v[22:23]
	v_mul_f64_e32 v[22:23], v[6:7], v[22:23]
	v_add_f64_e32 v[8:9], v[10:11], v[8:9]
	v_add_f64_e32 v[10:11], v[166:167], v[172:173]
	v_fma_f64 v[36:37], v[2:3], v[16:17], v[170:171]
	v_fma_f64 v[16:17], v[0:1], v[16:17], -v[18:19]
	v_fma_f64 v[6:7], v[6:7], v[20:21], v[14:15]
	v_fma_f64 v[4:5], v[4:5], v[20:21], -v[22:23]
	v_add_f64_e32 v[12:13], v[8:9], v[12:13]
	v_add_f64_e32 v[18:19], v[10:11], v[38:39]
	ds_load_b128 v[0:3], v40 offset:1872
	ds_load_b128 v[8:11], v40 offset:1888
	s_wait_loadcnt_dscnt 0x201
	v_mul_f64_e32 v[38:39], v[0:1], v[26:27]
	v_mul_f64_e32 v[26:27], v[2:3], v[26:27]
	v_add_f64_e32 v[12:13], v[12:13], v[16:17]
	v_add_f64_e32 v[14:15], v[18:19], v[36:37]
	s_wait_loadcnt_dscnt 0x100
	v_mul_f64_e32 v[16:17], v[8:9], v[30:31]
	v_mul_f64_e32 v[18:19], v[10:11], v[30:31]
	v_fma_f64 v[20:21], v[2:3], v[24:25], v[38:39]
	v_fma_f64 v[22:23], v[0:1], v[24:25], -v[26:27]
	ds_load_b128 v[0:3], v40 offset:1904
	v_add_f64_e32 v[4:5], v[12:13], v[4:5]
	v_add_f64_e32 v[6:7], v[14:15], v[6:7]
	v_fma_f64 v[10:11], v[10:11], v[28:29], v[16:17]
	v_fma_f64 v[8:9], v[8:9], v[28:29], -v[18:19]
	s_wait_loadcnt_dscnt 0x0
	v_mul_f64_e32 v[12:13], v[0:1], v[34:35]
	v_mul_f64_e32 v[14:15], v[2:3], v[34:35]
	v_add_f64_e32 v[4:5], v[4:5], v[22:23]
	v_add_f64_e32 v[6:7], v[6:7], v[20:21]
	s_delay_alu instid0(VALU_DEP_4) | instskip(NEXT) | instid1(VALU_DEP_4)
	v_fma_f64 v[2:3], v[2:3], v[32:33], v[12:13]
	v_fma_f64 v[0:1], v[0:1], v[32:33], -v[14:15]
	s_delay_alu instid0(VALU_DEP_4) | instskip(NEXT) | instid1(VALU_DEP_4)
	v_add_f64_e32 v[4:5], v[4:5], v[8:9]
	v_add_f64_e32 v[6:7], v[6:7], v[10:11]
	s_delay_alu instid0(VALU_DEP_2) | instskip(NEXT) | instid1(VALU_DEP_2)
	v_add_f64_e32 v[0:1], v[4:5], v[0:1]
	v_add_f64_e32 v[2:3], v[6:7], v[2:3]
	s_delay_alu instid0(VALU_DEP_2) | instskip(NEXT) | instid1(VALU_DEP_2)
	v_add_f64_e64 v[0:1], v[162:163], -v[0:1]
	v_add_f64_e64 v[2:3], v[164:165], -v[2:3]
	scratch_store_b128 off, v[0:3], off offset:16
	s_wait_alu 0xfffe
	s_cbranch_vccz .LBB59_492
; %bb.374:
	global_load_b32 v0, v40, s[2:3] offset:232
	s_wait_loadcnt 0x0
	v_cmp_ne_u32_e32 vcc_lo, 59, v0
	s_cbranch_vccz .LBB59_376
; %bb.375:
	v_lshlrev_b32_e32 v0, 4, v0
	s_delay_alu instid0(VALU_DEP_1)
	v_add_nc_u32_e32 v8, 16, v0
	s_clause 0x1
	scratch_load_b128 v[0:3], v8, off offset:-16
	scratch_load_b128 v[4:7], off, s35
	s_wait_loadcnt 0x1
	scratch_store_b128 off, v[0:3], s35
	s_wait_loadcnt 0x0
	scratch_store_b128 v8, v[4:7], off offset:-16
.LBB59_376:
	v_mov_b32_e32 v0, 0
	global_load_b32 v1, v0, s[2:3] offset:228
	s_wait_loadcnt 0x0
	v_cmp_eq_u32_e32 vcc_lo, 58, v1
	s_cbranch_vccnz .LBB59_378
; %bb.377:
	v_lshlrev_b32_e32 v1, 4, v1
	s_delay_alu instid0(VALU_DEP_1)
	v_add_nc_u32_e32 v9, 16, v1
	s_clause 0x1
	scratch_load_b128 v[1:4], v9, off offset:-16
	scratch_load_b128 v[5:8], off, s26
	s_wait_loadcnt 0x1
	scratch_store_b128 off, v[1:4], s26
	s_wait_loadcnt 0x0
	scratch_store_b128 v9, v[5:8], off offset:-16
.LBB59_378:
	global_load_b32 v0, v0, s[2:3] offset:224
	s_wait_loadcnt 0x0
	v_cmp_eq_u32_e32 vcc_lo, 57, v0
	s_cbranch_vccnz .LBB59_380
; %bb.379:
	v_lshlrev_b32_e32 v0, 4, v0
	s_delay_alu instid0(VALU_DEP_1)
	v_add_nc_u32_e32 v8, 16, v0
	s_clause 0x1
	scratch_load_b128 v[0:3], v8, off offset:-16
	scratch_load_b128 v[4:7], off, s33
	s_wait_loadcnt 0x1
	scratch_store_b128 off, v[0:3], s33
	s_wait_loadcnt 0x0
	scratch_store_b128 v8, v[4:7], off offset:-16
.LBB59_380:
	v_mov_b32_e32 v0, 0
	global_load_b32 v1, v0, s[2:3] offset:220
	s_wait_loadcnt 0x0
	v_cmp_eq_u32_e32 vcc_lo, 56, v1
	s_cbranch_vccnz .LBB59_382
; %bb.381:
	v_lshlrev_b32_e32 v1, 4, v1
	s_delay_alu instid0(VALU_DEP_1)
	v_add_nc_u32_e32 v9, 16, v1
	s_clause 0x1
	scratch_load_b128 v[1:4], v9, off offset:-16
	scratch_load_b128 v[5:8], off, s23
	s_wait_loadcnt 0x1
	scratch_store_b128 off, v[1:4], s23
	s_wait_loadcnt 0x0
	scratch_store_b128 v9, v[5:8], off offset:-16
.LBB59_382:
	global_load_b32 v0, v0, s[2:3] offset:216
	s_wait_loadcnt 0x0
	v_cmp_eq_u32_e32 vcc_lo, 55, v0
	s_cbranch_vccnz .LBB59_384
; %bb.383:
	v_lshlrev_b32_e32 v0, 4, v0
	s_delay_alu instid0(VALU_DEP_1)
	v_add_nc_u32_e32 v8, 16, v0
	s_clause 0x1
	scratch_load_b128 v[0:3], v8, off offset:-16
	scratch_load_b128 v[4:7], off, s31
	s_wait_loadcnt 0x1
	scratch_store_b128 off, v[0:3], s31
	s_wait_loadcnt 0x0
	scratch_store_b128 v8, v[4:7], off offset:-16
.LBB59_384:
	;; [unrolled: 33-line block ×28, first 2 shown]
	v_mov_b32_e32 v0, 0
	global_load_b32 v1, v0, s[2:3] offset:4
	s_wait_loadcnt 0x0
	v_cmp_eq_u32_e32 vcc_lo, 2, v1
	s_cbranch_vccnz .LBB59_490
; %bb.489:
	v_lshlrev_b32_e32 v1, 4, v1
	s_delay_alu instid0(VALU_DEP_1)
	v_add_nc_u32_e32 v9, 16, v1
	s_clause 0x1
	scratch_load_b128 v[1:4], v9, off offset:-16
	scratch_load_b128 v[5:8], off, s58
	s_wait_loadcnt 0x1
	scratch_store_b128 off, v[1:4], s58
	s_wait_loadcnt 0x0
	scratch_store_b128 v9, v[5:8], off offset:-16
.LBB59_490:
	global_load_b32 v0, v0, s[2:3]
	s_wait_loadcnt 0x0
	v_cmp_eq_u32_e32 vcc_lo, 1, v0
	s_cbranch_vccnz .LBB59_492
; %bb.491:
	v_lshlrev_b32_e32 v0, 4, v0
	s_delay_alu instid0(VALU_DEP_1)
	v_add_nc_u32_e32 v8, 16, v0
	scratch_load_b128 v[0:3], v8, off offset:-16
	scratch_load_b128 v[4:7], off, off offset:16
	s_wait_loadcnt 0x1
	scratch_store_b128 off, v[0:3], off offset:16
	s_wait_loadcnt 0x0
	scratch_store_b128 v8, v[4:7], off offset:-16
.LBB59_492:
	scratch_load_b128 v[0:3], off, off offset:16
	s_clause 0xf
	scratch_load_b128 v[4:7], off, s58
	scratch_load_b128 v[8:11], off, s57
	;; [unrolled: 1-line block ×16, first 2 shown]
	s_wait_loadcnt 0x10
	global_store_b128 v[42:43], v[0:3], off
	scratch_load_b128 v[0:3], off, s52
	s_wait_loadcnt 0x10
	global_store_b128 v[44:45], v[4:7], off
	s_clause 0x1
	scratch_load_b128 v[4:7], off, s50
	scratch_load_b128 v[40:43], off, s51
	s_wait_loadcnt 0x11
	global_store_b128 v[46:47], v[8:11], off
	scratch_load_b128 v[8:11], off, s49
	s_wait_loadcnt 0x11
	global_store_b128 v[48:49], v[12:15], off
	s_clause 0x1
	scratch_load_b128 v[12:15], off, s47
	scratch_load_b128 v[44:47], off, s48
	;; [unrolled: 8-line block ×5, first 2 shown]
	s_wait_loadcnt 0x15
	global_store_b128 v[62:63], v[162:165], off
	s_wait_loadcnt 0x14
	global_store_b128 v[64:65], v[166:169], off
	s_clause 0x1
	scratch_load_b128 v[60:63], off, s20
	scratch_load_b128 v[162:165], off, s21
	s_wait_loadcnt 0x15
	global_store_b128 v[66:67], v[170:173], off
	s_clause 0x1
	scratch_load_b128 v[64:67], off, s15
	scratch_load_b128 v[166:169], off, s19
	s_wait_loadcnt 0x16
	global_store_b128 v[68:69], v[174:177], off
	s_clause 0x1
	scratch_load_b128 v[170:173], off, s13
	scratch_load_b128 v[174:177], off, s14
	s_wait_loadcnt 0x17
	global_store_b128 v[70:71], v[178:181], off
	s_wait_loadcnt 0x16
	global_store_b128 v[72:73], v[182:185], off
	s_clause 0x1
	scratch_load_b128 v[68:71], off, s11
	scratch_load_b128 v[178:181], off, s12
	s_wait_loadcnt 0x16
	global_store_b128 v[74:75], v[0:3], off
	s_clause 0x1
	scratch_load_b128 v[0:3], off, s9
	scratch_load_b128 v[72:75], off, s10
	s_wait_loadcnt 0x17
	global_store_b128 v[76:77], v[4:7], off
	s_clause 0x1
	scratch_load_b128 v[4:7], off, s5
	scratch_load_b128 v[182:185], off, s8
	;; [unrolled: 17-line block ×4, first 2 shown]
	s_wait_loadcnt 0x1c
	global_store_b128 v[92:93], v[28:31], off
	s_wait_loadcnt 0x1b
	global_store_b128 v[96:97], v[52:55], off
	s_clause 0x1
	scratch_load_b128 v[28:31], off, s23
	scratch_load_b128 v[52:55], off, s33
	s_wait_loadcnt 0x1c
	global_store_b128 v[98:99], v[32:35], off
	s_clause 0x1
	scratch_load_b128 v[32:35], off, s26
	scratch_load_b128 v[92:95], off, s35
	s_wait_loadcnt 0x1d
	global_store_b128 v[100:101], v[36:39], off
	s_wait_loadcnt 0x1c
	global_store_b128 v[102:103], v[56:59], off
	;; [unrolled: 2-line block ×29, first 2 shown]
	s_wait_loadcnt 0x0
	s_clause 0x1
	global_store_b128 v[158:159], v[92:95], off
	global_store_b128 v[160:161], v[186:189], off
	s_nop 0
	s_sendmsg sendmsg(MSG_DEALLOC_VGPRS)
	s_endpgm
	.section	.rodata,"a",@progbits
	.p2align	6, 0x0
	.amdhsa_kernel _ZN9rocsolver6v33100L18getri_kernel_smallILi60E19rocblas_complex_numIdEPS3_EEvT1_iilPiilS6_bb
		.amdhsa_group_segment_fixed_size 1928
		.amdhsa_private_segment_fixed_size 992
		.amdhsa_kernarg_size 60
		.amdhsa_user_sgpr_count 2
		.amdhsa_user_sgpr_dispatch_ptr 0
		.amdhsa_user_sgpr_queue_ptr 0
		.amdhsa_user_sgpr_kernarg_segment_ptr 1
		.amdhsa_user_sgpr_dispatch_id 0
		.amdhsa_user_sgpr_private_segment_size 0
		.amdhsa_wavefront_size32 1
		.amdhsa_uses_dynamic_stack 0
		.amdhsa_enable_private_segment 1
		.amdhsa_system_sgpr_workgroup_id_x 1
		.amdhsa_system_sgpr_workgroup_id_y 0
		.amdhsa_system_sgpr_workgroup_id_z 0
		.amdhsa_system_sgpr_workgroup_info 0
		.amdhsa_system_vgpr_workitem_id 0
		.amdhsa_next_free_vgpr 202
		.amdhsa_next_free_sgpr 86
		.amdhsa_reserve_vcc 1
		.amdhsa_float_round_mode_32 0
		.amdhsa_float_round_mode_16_64 0
		.amdhsa_float_denorm_mode_32 3
		.amdhsa_float_denorm_mode_16_64 3
		.amdhsa_fp16_overflow 0
		.amdhsa_workgroup_processor_mode 1
		.amdhsa_memory_ordered 1
		.amdhsa_forward_progress 1
		.amdhsa_inst_pref_size 255
		.amdhsa_round_robin_scheduling 0
		.amdhsa_exception_fp_ieee_invalid_op 0
		.amdhsa_exception_fp_denorm_src 0
		.amdhsa_exception_fp_ieee_div_zero 0
		.amdhsa_exception_fp_ieee_overflow 0
		.amdhsa_exception_fp_ieee_underflow 0
		.amdhsa_exception_fp_ieee_inexact 0
		.amdhsa_exception_int_div_zero 0
	.end_amdhsa_kernel
	.section	.text._ZN9rocsolver6v33100L18getri_kernel_smallILi60E19rocblas_complex_numIdEPS3_EEvT1_iilPiilS6_bb,"axG",@progbits,_ZN9rocsolver6v33100L18getri_kernel_smallILi60E19rocblas_complex_numIdEPS3_EEvT1_iilPiilS6_bb,comdat
.Lfunc_end59:
	.size	_ZN9rocsolver6v33100L18getri_kernel_smallILi60E19rocblas_complex_numIdEPS3_EEvT1_iilPiilS6_bb, .Lfunc_end59-_ZN9rocsolver6v33100L18getri_kernel_smallILi60E19rocblas_complex_numIdEPS3_EEvT1_iilPiilS6_bb
                                        ; -- End function
	.set _ZN9rocsolver6v33100L18getri_kernel_smallILi60E19rocblas_complex_numIdEPS3_EEvT1_iilPiilS6_bb.num_vgpr, 202
	.set _ZN9rocsolver6v33100L18getri_kernel_smallILi60E19rocblas_complex_numIdEPS3_EEvT1_iilPiilS6_bb.num_agpr, 0
	.set _ZN9rocsolver6v33100L18getri_kernel_smallILi60E19rocblas_complex_numIdEPS3_EEvT1_iilPiilS6_bb.numbered_sgpr, 86
	.set _ZN9rocsolver6v33100L18getri_kernel_smallILi60E19rocblas_complex_numIdEPS3_EEvT1_iilPiilS6_bb.num_named_barrier, 0
	.set _ZN9rocsolver6v33100L18getri_kernel_smallILi60E19rocblas_complex_numIdEPS3_EEvT1_iilPiilS6_bb.private_seg_size, 992
	.set _ZN9rocsolver6v33100L18getri_kernel_smallILi60E19rocblas_complex_numIdEPS3_EEvT1_iilPiilS6_bb.uses_vcc, 1
	.set _ZN9rocsolver6v33100L18getri_kernel_smallILi60E19rocblas_complex_numIdEPS3_EEvT1_iilPiilS6_bb.uses_flat_scratch, 1
	.set _ZN9rocsolver6v33100L18getri_kernel_smallILi60E19rocblas_complex_numIdEPS3_EEvT1_iilPiilS6_bb.has_dyn_sized_stack, 0
	.set _ZN9rocsolver6v33100L18getri_kernel_smallILi60E19rocblas_complex_numIdEPS3_EEvT1_iilPiilS6_bb.has_recursion, 0
	.set _ZN9rocsolver6v33100L18getri_kernel_smallILi60E19rocblas_complex_numIdEPS3_EEvT1_iilPiilS6_bb.has_indirect_call, 0
	.section	.AMDGPU.csdata,"",@progbits
; Kernel info:
; codeLenInByte = 139432
; TotalNumSgprs: 88
; NumVgprs: 202
; ScratchSize: 992
; MemoryBound: 0
; FloatMode: 240
; IeeeMode: 1
; LDSByteSize: 1928 bytes/workgroup (compile time only)
; SGPRBlocks: 0
; VGPRBlocks: 25
; NumSGPRsForWavesPerEU: 88
; NumVGPRsForWavesPerEU: 202
; Occupancy: 7
; WaveLimiterHint : 1
; COMPUTE_PGM_RSRC2:SCRATCH_EN: 1
; COMPUTE_PGM_RSRC2:USER_SGPR: 2
; COMPUTE_PGM_RSRC2:TRAP_HANDLER: 0
; COMPUTE_PGM_RSRC2:TGID_X_EN: 1
; COMPUTE_PGM_RSRC2:TGID_Y_EN: 0
; COMPUTE_PGM_RSRC2:TGID_Z_EN: 0
; COMPUTE_PGM_RSRC2:TIDIG_COMP_CNT: 0
	.section	.text._ZN9rocsolver6v33100L18getri_kernel_smallILi61E19rocblas_complex_numIdEPS3_EEvT1_iilPiilS6_bb,"axG",@progbits,_ZN9rocsolver6v33100L18getri_kernel_smallILi61E19rocblas_complex_numIdEPS3_EEvT1_iilPiilS6_bb,comdat
	.globl	_ZN9rocsolver6v33100L18getri_kernel_smallILi61E19rocblas_complex_numIdEPS3_EEvT1_iilPiilS6_bb ; -- Begin function _ZN9rocsolver6v33100L18getri_kernel_smallILi61E19rocblas_complex_numIdEPS3_EEvT1_iilPiilS6_bb
	.p2align	8
	.type	_ZN9rocsolver6v33100L18getri_kernel_smallILi61E19rocblas_complex_numIdEPS3_EEvT1_iilPiilS6_bb,@function
_ZN9rocsolver6v33100L18getri_kernel_smallILi61E19rocblas_complex_numIdEPS3_EEvT1_iilPiilS6_bb: ; @_ZN9rocsolver6v33100L18getri_kernel_smallILi61E19rocblas_complex_numIdEPS3_EEvT1_iilPiilS6_bb
; %bb.0:
	s_mov_b32 s2, exec_lo
	v_cmpx_gt_u32_e32 61, v0
	s_cbranch_execz .LBB60_270
; %bb.1:
	s_clause 0x2
	s_load_b32 s2, s[0:1], 0x38
	s_load_b128 s[12:15], s[0:1], 0x10
	s_load_b128 s[4:7], s[0:1], 0x28
	s_mov_b32 s18, ttmp9
                                        ; implicit-def: $sgpr16_sgpr17
	s_wait_kmcnt 0x0
	s_bitcmp1_b32 s2, 8
	s_cselect_b32 s20, -1, 0
	s_bfe_u32 s2, s2, 0x10008
	s_ashr_i32 s19, ttmp9, 31
	s_cmp_eq_u32 s2, 0
	s_cbranch_scc1 .LBB60_3
; %bb.2:
	s_load_b32 s2, s[0:1], 0x20
	s_mul_u64 s[4:5], s[4:5], s[18:19]
	s_delay_alu instid0(SALU_CYCLE_1) | instskip(NEXT) | instid1(SALU_CYCLE_1)
	s_lshl_b64 s[4:5], s[4:5], 2
	s_add_nc_u64 s[4:5], s[14:15], s[4:5]
	s_wait_kmcnt 0x0
	s_ashr_i32 s3, s2, 31
	s_delay_alu instid0(SALU_CYCLE_1) | instskip(NEXT) | instid1(SALU_CYCLE_1)
	s_lshl_b64 s[2:3], s[2:3], 2
	s_add_nc_u64 s[16:17], s[4:5], s[2:3]
.LBB60_3:
	s_clause 0x1
	s_load_b128 s[8:11], s[0:1], 0x0
	s_load_b32 s2, s[0:1], 0x38
	s_mul_u64 s[0:1], s[12:13], s[18:19]
	v_lshlrev_b32_e32 v15, 4, v0
	s_lshl_b64 s[0:1], s[0:1], 4
	s_movk_i32 s14, 0x100
	s_movk_i32 s22, 0x130
	s_movk_i32 s12, 0xe0
	s_add_co_i32 s60, s14, 16
	s_add_co_i32 s57, s22, 16
	s_movk_i32 s13, 0xf0
	s_add_co_i32 s62, s12, 16
	s_add_co_i32 s61, s13, 16
	s_movk_i32 s15, 0x110
	s_movk_i32 s21, 0x120
	;; [unrolled: 1-line block ×7, first 2 shown]
	s_wait_kmcnt 0x0
	v_add3_u32 v5, s11, s11, v0
	s_ashr_i32 s5, s10, 31
	s_mov_b32 s4, s10
	s_add_nc_u64 s[0:1], s[8:9], s[0:1]
	s_lshl_b64 s[4:5], s[4:5], 4
	v_add_nc_u32_e32 v7, s11, v5
	v_ashrrev_i32_e32 v6, 31, v5
	s_add_nc_u64 s[0:1], s[0:1], s[4:5]
	s_ashr_i32 s9, s11, 31
	v_add_co_u32 v42, s3, s0, v15
	v_add_nc_u32_e32 v9, s11, v7
	s_mov_b32 s8, s11
	v_lshlrev_b64_e32 v[12:13], 4, v[5:6]
	v_add_co_ci_u32_e64 v43, null, s1, 0, s3
	s_lshl_b64 s[8:9], s[8:9], 4
	v_add_nc_u32_e32 v11, s11, v9
	v_add_co_u32 v44, vcc_lo, v42, s8
	s_delay_alu instid0(VALU_DEP_1)
	v_add_co_ci_u32_e64 v45, null, s9, v43, vcc_lo
	v_add_co_u32 v46, vcc_lo, s0, v12
	s_wait_alu 0xfffd
	v_add_co_ci_u32_e64 v47, null, s1, v13, vcc_lo
	v_add_nc_u32_e32 v13, s11, v11
	v_ashrrev_i32_e32 v8, 31, v7
	v_ashrrev_i32_e32 v10, 31, v9
	;; [unrolled: 1-line block ×3, first 2 shown]
	global_load_b128 v[1:4], v15, s[0:1]
	v_add_nc_u32_e32 v24, s11, v13
	v_lshlrev_b64_e32 v[16:17], 4, v[7:8]
	v_ashrrev_i32_e32 v14, 31, v13
	v_lshlrev_b64_e32 v[9:10], 4, v[9:10]
	v_lshlrev_b64_e32 v[11:12], 4, v[11:12]
	v_add_nc_u32_e32 v26, s11, v24
	v_ashrrev_i32_e32 v25, 31, v24
	v_add_co_u32 v48, vcc_lo, s0, v16
	v_lshlrev_b64_e32 v[13:14], 4, v[13:14]
	s_delay_alu instid0(VALU_DEP_4) | instskip(SKIP_3) | instid1(VALU_DEP_3)
	v_add_nc_u32_e32 v32, s11, v26
	s_wait_alu 0xfffd
	v_add_co_ci_u32_e64 v49, null, s1, v17, vcc_lo
	v_add_co_u32 v62, vcc_lo, s0, v9
	v_add_nc_u32_e32 v34, s11, v32
	v_ashrrev_i32_e32 v27, 31, v26
	s_wait_alu 0xfffd
	v_add_co_ci_u32_e64 v63, null, s1, v10, vcc_lo
	v_add_co_u32 v56, vcc_lo, s0, v11
	s_wait_alu 0xfffd
	v_add_co_ci_u32_e64 v57, null, s1, v12, vcc_lo
	v_lshlrev_b64_e32 v[24:25], 4, v[24:25]
	v_add_co_u32 v58, vcc_lo, s0, v13
	v_add_nc_u32_e32 v40, s11, v34
	s_wait_alu 0xfffd
	v_add_co_ci_u32_e64 v59, null, s1, v14, vcc_lo
	v_lshlrev_b64_e32 v[13:14], 4, v[26:27]
	v_ashrrev_i32_e32 v33, 31, v32
	v_ashrrev_i32_e32 v35, 31, v34
	v_add_co_u32 v52, vcc_lo, s0, v24
	v_add_nc_u32_e32 v54, s11, v40
	s_wait_alu 0xfffd
	v_add_co_ci_u32_e64 v53, null, s1, v25, vcc_lo
	v_lshlrev_b64_e32 v[32:33], 4, v[32:33]
	v_add_co_u32 v70, vcc_lo, s0, v13
	v_ashrrev_i32_e32 v41, 31, v40
	global_load_b128 v[5:8], v[44:45], off
	s_wait_alu 0xfffd
	v_add_co_ci_u32_e64 v71, null, s1, v14, vcc_lo
	v_lshlrev_b64_e32 v[13:14], 4, v[34:35]
	v_add_nc_u32_e32 v60, s11, v54
	v_lshlrev_b64_e32 v[40:41], 4, v[40:41]
	v_ashrrev_i32_e32 v55, 31, v54
	v_add_co_u32 v50, vcc_lo, s0, v32
	s_wait_alu 0xfffd
	v_add_co_ci_u32_e64 v51, null, s1, v33, vcc_lo
	v_add_co_u32 v64, vcc_lo, s0, v13
	v_ashrrev_i32_e32 v61, 31, v60
	v_add_nc_u32_e32 v66, s11, v60
	s_wait_alu 0xfffd
	v_add_co_ci_u32_e64 v65, null, s1, v14, vcc_lo
	v_lshlrev_b64_e32 v[13:14], 4, v[54:55]
	v_add_co_u32 v54, vcc_lo, s0, v40
	s_wait_alu 0xfffd
	v_add_co_ci_u32_e64 v55, null, s1, v41, vcc_lo
	v_lshlrev_b64_e32 v[40:41], 4, v[60:61]
	v_ashrrev_i32_e32 v67, 31, v66
	v_add_nc_u32_e32 v60, s11, v66
	v_add_co_u32 v76, vcc_lo, s0, v13
	s_wait_alu 0xfffd
	v_add_co_ci_u32_e64 v77, null, s1, v14, vcc_lo
	v_lshlrev_b64_e32 v[13:14], 4, v[66:67]
	v_add_nc_u32_e32 v66, s11, v60
	v_ashrrev_i32_e32 v61, 31, v60
	v_add_co_u32 v68, vcc_lo, s0, v40
	global_load_b128 v[16:19], v[46:47], off
	v_ashrrev_i32_e32 v67, 31, v66
	v_add_nc_u32_e32 v74, s11, v66
	s_wait_alu 0xfffd
	v_add_co_ci_u32_e64 v69, null, s1, v41, vcc_lo
	v_add_co_u32 v72, vcc_lo, s0, v13
	s_clause 0x1
	global_load_b128 v[9:12], v[48:49], off
	global_load_b128 v[20:23], v[62:63], off
	v_lshlrev_b64_e32 v[40:41], 4, v[60:61]
	s_wait_alu 0xfffd
	v_add_co_ci_u32_e64 v73, null, s1, v14, vcc_lo
	v_lshlrev_b64_e32 v[13:14], 4, v[66:67]
	v_add_nc_u32_e32 v66, s11, v74
	v_ashrrev_i32_e32 v75, 31, v74
	v_add_co_u32 v60, vcc_lo, s0, v40
	s_wait_alu 0xfffd
	v_add_co_ci_u32_e64 v61, null, s1, v41, vcc_lo
	v_ashrrev_i32_e32 v67, 31, v66
	v_add_nc_u32_e32 v78, s11, v66
	v_add_co_u32 v82, vcc_lo, s0, v13
	v_lshlrev_b64_e32 v[40:41], 4, v[74:75]
	s_wait_alu 0xfffd
	v_add_co_ci_u32_e64 v83, null, s1, v14, vcc_lo
	v_lshlrev_b64_e32 v[13:14], 4, v[66:67]
	v_add_nc_u32_e32 v66, s11, v78
	v_ashrrev_i32_e32 v79, 31, v78
	v_add_co_u32 v74, vcc_lo, s0, v40
	s_wait_alu 0xfffd
	v_add_co_ci_u32_e64 v75, null, s1, v41, vcc_lo
	v_add_nc_u32_e32 v80, s11, v66
	v_lshlrev_b64_e32 v[40:41], 4, v[78:79]
	s_clause 0x1
	global_load_b128 v[24:27], v[56:57], off
	global_load_b128 v[28:31], v[58:59], off
	v_ashrrev_i32_e32 v67, 31, v66
	v_add_co_u32 v78, vcc_lo, s0, v13
	v_ashrrev_i32_e32 v81, 31, v80
	v_add_nc_u32_e32 v84, s11, v80
	s_wait_alu 0xfffd
	v_add_co_ci_u32_e64 v79, null, s1, v14, vcc_lo
	v_lshlrev_b64_e32 v[13:14], 4, v[66:67]
	v_add_co_u32 v66, vcc_lo, s0, v40
	s_wait_alu 0xfffd
	v_add_co_ci_u32_e64 v67, null, s1, v41, vcc_lo
	v_lshlrev_b64_e32 v[40:41], 4, v[80:81]
	v_add_nc_u32_e32 v80, s11, v84
	v_ashrrev_i32_e32 v85, 31, v84
	s_clause 0x3
	global_load_b128 v[32:35], v[52:53], off
	global_load_b128 v[36:39], v[70:71], off
	;; [unrolled: 1-line block ×4, first 2 shown]
	v_add_co_u32 v92, vcc_lo, s0, v13
	v_add_nc_u32_e32 v86, s11, v80
	s_wait_alu 0xfffd
	v_add_co_ci_u32_e64 v93, null, s1, v14, vcc_lo
	v_lshlrev_b64_e32 v[13:14], 4, v[84:85]
	v_ashrrev_i32_e32 v81, 31, v80
	v_ashrrev_i32_e32 v87, 31, v86
	v_add_co_u32 v88, vcc_lo, s0, v40
	s_wait_alu 0xfffd
	v_add_co_ci_u32_e64 v89, null, s1, v41, vcc_lo
	v_lshlrev_b64_e32 v[40:41], 4, v[80:81]
	v_add_co_u32 v84, vcc_lo, s0, v13
	s_wait_alu 0xfffd
	v_add_co_ci_u32_e64 v85, null, s1, v14, vcc_lo
	v_lshlrev_b64_e32 v[13:14], 4, v[86:87]
	v_add_nc_u32_e32 v80, s11, v86
	v_add_co_u32 v86, vcc_lo, s0, v40
	s_wait_alu 0xfffd
	v_add_co_ci_u32_e64 v87, null, s1, v41, vcc_lo
	s_delay_alu instid0(VALU_DEP_4)
	v_add_co_u32 v90, vcc_lo, s0, v13
	s_clause 0x1
	global_load_b128 v[138:141], v[54:55], off
	global_load_b128 v[142:145], v[76:77], off
	s_wait_alu 0xfffd
	v_add_co_ci_u32_e64 v91, null, s1, v14, vcc_lo
	s_clause 0xb
	global_load_b128 v[146:149], v[68:69], off
	global_load_b128 v[150:153], v[72:73], off
	;; [unrolled: 1-line block ×12, first 2 shown]
	v_ashrrev_i32_e32 v81, 31, v80
	v_add_nc_u32_e32 v96, s11, v80
	s_movk_i32 s9, 0xb0
	s_movk_i32 s4, 0x80
	;; [unrolled: 1-line block ×3, first 2 shown]
	v_lshlrev_b64_e32 v[13:14], 4, v[80:81]
	v_add_nc_u32_e32 v40, s11, v96
	v_ashrrev_i32_e32 v97, 31, v96
	s_wait_alu 0xfffe
	s_add_co_i32 s65, s9, 16
	s_movk_i32 s3, 0x70
	s_movk_i32 s5, 0x90
	v_add_co_u32 v94, vcc_lo, s0, v13
	v_add_nc_u32_e32 v100, s11, v40
	s_wait_alu 0xfffd
	v_add_co_ci_u32_e64 v95, null, s1, v14, vcc_lo
	v_lshlrev_b64_e32 v[13:14], 4, v[96:97]
	v_ashrrev_i32_e32 v41, 31, v40
	v_ashrrev_i32_e32 v101, 31, v100
	global_load_b128 v[194:197], v[94:95], off
	s_movk_i32 s8, 0xa0
	s_movk_i32 s28, 0x190
	v_lshlrev_b64_e32 v[40:41], 4, v[40:41]
	v_add_co_u32 v96, vcc_lo, s0, v13
	s_wait_alu 0xfffd
	v_add_co_ci_u32_e64 v97, null, s1, v14, vcc_lo
	v_lshlrev_b64_e32 v[13:14], 4, v[100:101]
	s_delay_alu instid0(VALU_DEP_4)
	v_add_co_u32 v80, vcc_lo, s0, v40
	s_wait_alu 0xfffd
	v_add_co_ci_u32_e64 v81, null, s1, v41, vcc_lo
	global_load_b128 v[198:201], v[96:97], off
	v_add_co_u32 v98, vcc_lo, s0, v13
	v_add_nc_u32_e32 v13, s11, v100
	s_wait_alu 0xfffd
	v_add_co_ci_u32_e64 v99, null, s1, v14, vcc_lo
	global_load_b128 v[202:205], v[80:81], off
	s_movk_i32 s29, 0x1a0
	v_add_nc_u32_e32 v40, s11, v13
	v_ashrrev_i32_e32 v14, 31, v13
	global_load_b128 v[206:209], v[98:99], off
	s_movk_i32 s30, 0x1b0
	s_movk_i32 s31, 0x1c0
	v_add_nc_u32_e32 v102, s11, v40
	v_lshlrev_b64_e32 v[13:14], 4, v[13:14]
	v_ashrrev_i32_e32 v41, 31, v40
	s_movk_i32 s33, 0x1d0
	s_movk_i32 s34, 0x1e0
	v_ashrrev_i32_e32 v103, 31, v102
	v_add_nc_u32_e32 v106, s11, v102
	v_lshlrev_b64_e32 v[40:41], 4, v[40:41]
	v_add_co_u32 v100, vcc_lo, s0, v13
	s_wait_alu 0xfffd
	v_add_co_ci_u32_e64 v101, null, s1, v14, vcc_lo
	v_lshlrev_b64_e32 v[13:14], 4, v[102:103]
	v_add_nc_u32_e32 v108, s11, v106
	v_add_co_u32 v102, vcc_lo, s0, v40
	s_wait_alu 0xfffd
	v_add_co_ci_u32_e64 v103, null, s1, v41, vcc_lo
	s_delay_alu instid0(VALU_DEP_4)
	v_add_co_u32 v104, vcc_lo, s0, v13
	v_add_nc_u32_e32 v13, s11, v108
	v_ashrrev_i32_e32 v107, 31, v106
	v_ashrrev_i32_e32 v109, 31, v108
	s_wait_alu 0xfffd
	v_add_co_ci_u32_e64 v105, null, s1, v14, vcc_lo
	v_ashrrev_i32_e32 v14, 31, v13
	v_lshlrev_b64_e32 v[40:41], 4, v[106:107]
	v_lshlrev_b64_e32 v[108:109], 4, v[108:109]
	s_movk_i32 s35, 0x1f0
	s_movk_i32 s36, 0x200
	;; [unrolled: 1-line block ×4, first 2 shown]
	v_add_co_u32 v106, vcc_lo, s0, v40
	s_wait_alu 0xfffd
	v_add_co_ci_u32_e64 v107, null, s1, v41, vcc_lo
	v_add_co_u32 v108, vcc_lo, s0, v108
	s_wait_alu 0xfffd
	v_add_co_ci_u32_e64 v109, null, s1, v109, vcc_lo
	s_movk_i32 s72, 0x230
	s_movk_i32 s73, 0x240
	;; [unrolled: 1-line block ×16, first 2 shown]
	s_add_co_i32 s68, s4, 16
	s_add_co_i32 s64, s10, 16
	s_wait_alu 0xfffe
	s_add_co_i32 s69, s3, 16
	s_add_co_i32 s67, s5, 16
	s_add_co_i32 s66, s8, 16
	s_add_co_i32 s59, s15, 16
	s_add_co_i32 s58, s21, 16
	s_add_co_i32 s56, s23, 16
	s_add_co_i32 s54, s24, 16
	s_add_co_i32 s50, s25, 16
	s_add_co_i32 s48, s26, 16
	s_add_co_i32 s49, s27, 16
	s_add_co_i32 s47, s28, 16
	s_add_co_i32 s46, s29, 16
	s_add_co_i32 s45, s30, 16
	s_add_co_i32 s44, s31, 16
	s_add_co_i32 s43, s33, 16
	s_add_co_i32 s42, s34, 16
	s_add_co_i32 s41, s35, 16
	s_add_co_i32 s40, s36, 16
	s_add_co_i32 s39, s37, 16
	s_add_co_i32 s38, s38, 16
	s_add_co_i32 s36, s72, 16
	s_add_co_i32 s37, s73, 16
	s_add_co_i32 s35, s74, 16
	s_add_co_i32 s34, s75, 16
	s_add_co_i32 s33, s76, 16
	s_add_co_i32 s31, s77, 16
	s_add_co_i32 s29, s78, 16
	s_add_co_i32 s30, s79, 16
	s_add_co_i32 s26, s80, 16
	s_add_co_i32 s25, s81, 16
	s_add_co_i32 s24, s82, 16
	s_add_co_i32 s15, s83, 16
	s_add_co_i32 s27, s84, 16
	s_add_co_i32 s28, s85, 16
	s_add_co_i32 s23, s86, 16
	s_add_co_i32 s21, s87, 16
	s_mov_b32 s55, 32
	s_mov_b32 s53, 48
	;; [unrolled: 1-line block ×3, first 2 shown]
	s_movk_i32 s51, 0x50
	s_wait_loadcnt 0x1c
	scratch_store_b128 off, v[1:4], off offset:16
	v_add_nc_u32_e32 v1, s11, v13
	v_lshlrev_b64_e32 v[13:14], 4, v[13:14]
	s_delay_alu instid0(VALU_DEP_2) | instskip(SKIP_1) | instid1(VALU_DEP_3)
	v_ashrrev_i32_e32 v2, 31, v1
	v_add_nc_u32_e32 v3, s11, v1
	v_add_co_u32 v110, vcc_lo, s0, v13
	s_wait_alu 0xfffd
	s_delay_alu instid0(VALU_DEP_4) | instskip(SKIP_2) | instid1(VALU_DEP_2)
	v_add_co_ci_u32_e64 v111, null, s1, v14, vcc_lo
	v_lshlrev_b64_e32 v[1:2], 4, v[1:2]
	v_ashrrev_i32_e32 v4, 31, v3
	v_add_co_u32 v112, vcc_lo, s0, v1
	s_wait_alu 0xfffd
	s_delay_alu instid0(VALU_DEP_3) | instskip(SKIP_4) | instid1(VALU_DEP_2)
	v_add_co_ci_u32_e64 v113, null, s1, v2, vcc_lo
	s_wait_loadcnt 0x1b
	scratch_store_b128 off, v[5:8], off offset:32
	v_add_nc_u32_e32 v5, s11, v3
	v_lshlrev_b64_e32 v[3:4], 4, v[3:4]
	v_add_nc_u32_e32 v1, s11, v5
	v_ashrrev_i32_e32 v6, 31, v5
	s_delay_alu instid0(VALU_DEP_3) | instskip(SKIP_1) | instid1(VALU_DEP_4)
	v_add_co_u32 v114, vcc_lo, s0, v3
	s_wait_alu 0xfffd
	v_add_co_ci_u32_e64 v115, null, s1, v4, vcc_lo
	v_add_nc_u32_e32 v7, s11, v1
	v_lshlrev_b64_e32 v[5:6], 4, v[5:6]
	v_ashrrev_i32_e32 v2, 31, v1
	s_delay_alu instid0(VALU_DEP_3) | instskip(SKIP_1) | instid1(VALU_DEP_4)
	v_add_nc_u32_e32 v3, s11, v7
	v_ashrrev_i32_e32 v8, 31, v7
	v_add_co_u32 v116, vcc_lo, s0, v5
	s_wait_alu 0xfffd
	v_add_co_ci_u32_e64 v117, null, s1, v6, vcc_lo
	s_delay_alu instid0(VALU_DEP_3) | instskip(SKIP_3) | instid1(VALU_DEP_3)
	v_lshlrev_b64_e32 v[5:6], 4, v[7:8]
	v_add_nc_u32_e32 v7, s11, v3
	v_lshlrev_b64_e32 v[1:2], 4, v[1:2]
	v_ashrrev_i32_e32 v4, 31, v3
	v_ashrrev_i32_e32 v8, 31, v7
	s_delay_alu instid0(VALU_DEP_3) | instskip(SKIP_1) | instid1(VALU_DEP_4)
	v_add_co_u32 v118, vcc_lo, s0, v1
	s_wait_alu 0xfffd
	v_add_co_ci_u32_e64 v119, null, s1, v2, vcc_lo
	s_wait_loadcnt 0x1a
	scratch_store_b128 off, v[16:19], off offset:48
	v_lshlrev_b64_e32 v[1:2], 4, v[3:4]
	v_lshlrev_b64_e32 v[3:4], 4, v[7:8]
	v_add_co_u32 v120, vcc_lo, s0, v5
	s_wait_loadcnt 0x19
	scratch_store_b128 off, v[9:12], off offset:64
	v_add_nc_u32_e32 v9, s11, v7
	s_wait_loadcnt 0x18
	scratch_store_b128 off, v[20:23], off offset:80
	s_wait_loadcnt 0x17
	scratch_store_b128 off, v[24:27], off offset:96
	;; [unrolled: 2-line block ×3, first 2 shown]
	v_add_nc_u32_e32 v11, s11, v9
	v_ashrrev_i32_e32 v10, 31, v9
	s_wait_alu 0xfffd
	v_add_co_ci_u32_e64 v121, null, s1, v6, vcc_lo
	v_add_co_u32 v122, vcc_lo, s0, v1
	v_add_nc_u32_e32 v13, s11, v11
	v_ashrrev_i32_e32 v12, 31, v11
	v_lshlrev_b64_e32 v[9:10], 4, v[9:10]
	s_wait_alu 0xfffd
	v_add_co_ci_u32_e64 v123, null, s1, v2, vcc_lo
	v_add_nc_u32_e32 v20, s11, v13
	v_ashrrev_i32_e32 v14, 31, v13
	v_lshlrev_b64_e32 v[11:12], 4, v[11:12]
	v_add_co_u32 v124, vcc_lo, s0, v3
	s_delay_alu instid0(VALU_DEP_4) | instskip(NEXT) | instid1(VALU_DEP_4)
	v_add_nc_u32_e32 v28, s11, v20
	v_lshlrev_b64_e32 v[13:14], 4, v[13:14]
	s_wait_alu 0xfffd
	v_add_co_ci_u32_e64 v125, null, s1, v4, vcc_lo
	v_add_co_u32 v126, vcc_lo, s0, v9
	v_add_nc_u32_e32 v30, s11, v28
	s_wait_alu 0xfffd
	v_add_co_ci_u32_e64 v127, null, s1, v10, vcc_lo
	v_add_co_u32 v128, vcc_lo, s0, v11
	s_clause 0x1
	global_load_b128 v[1:4], v[100:101], off
	global_load_b128 v[5:8], v[102:103], off
	s_wait_loadcnt 0x17
	scratch_store_b128 off, v[32:35], off offset:128
	s_wait_alu 0xfffd
	v_add_co_ci_u32_e64 v129, null, s1, v12, vcc_lo
	s_wait_loadcnt 0x16
	scratch_store_b128 off, v[36:39], off offset:144
	s_wait_loadcnt 0x15
	scratch_store_b128 off, v[130:133], off offset:160
	v_add_co_u32 v130, vcc_lo, s0, v13
	v_add_nc_u32_e32 v13, s11, v30
	v_ashrrev_i32_e32 v21, 31, v20
	v_ashrrev_i32_e32 v29, 31, v28
	;; [unrolled: 1-line block ×3, first 2 shown]
	s_wait_alu 0xfffd
	v_add_co_ci_u32_e64 v131, null, s1, v14, vcc_lo
	v_add_nc_u32_e32 v36, s11, v13
	v_lshlrev_b64_e32 v[20:21], 4, v[20:21]
	v_ashrrev_i32_e32 v14, 31, v13
	v_lshlrev_b64_e32 v[28:29], 4, v[28:29]
	v_lshlrev_b64_e32 v[30:31], 4, v[30:31]
	v_ashrrev_i32_e32 v37, 31, v36
	s_clause 0x1
	global_load_b128 v[9:12], v[104:105], off
	global_load_b128 v[16:19], v[106:107], off
	v_add_co_u32 v132, vcc_lo, s0, v20
	v_lshlrev_b64_e32 v[13:14], 4, v[13:14]
	s_wait_loadcnt 0x16
	scratch_store_b128 off, v[134:137], off offset:176
	s_wait_alu 0xfffd
	v_add_co_ci_u32_e64 v133, null, s1, v21, vcc_lo
	v_add_co_u32 v134, vcc_lo, s0, v28
	v_add_nc_u32_e32 v40, s11, v36
	v_lshlrev_b64_e32 v[36:37], 4, v[36:37]
	s_wait_alu 0xfffd
	v_add_co_ci_u32_e64 v135, null, s1, v29, vcc_lo
	v_add_co_u32 v136, vcc_lo, s0, v30
	s_wait_loadcnt 0x15
	scratch_store_b128 off, v[138:141], off offset:192
	s_wait_loadcnt 0x14
	scratch_store_b128 off, v[142:145], off offset:208
	s_wait_alu 0xfffd
	v_add_co_ci_u32_e64 v137, null, s1, v31, vcc_lo
	v_add_co_u32 v138, vcc_lo, s0, v13
	s_clause 0x1
	global_load_b128 v[20:23], v[108:109], off
	global_load_b128 v[24:27], v[110:111], off
	s_wait_loadcnt 0x15
	scratch_store_b128 off, v[146:149], off offset:224
	s_wait_loadcnt 0x14
	scratch_store_b128 off, v[150:153], off offset:240
	s_wait_loadcnt 0x13
	scratch_store_b128 off, v[154:157], off offset:256
	s_wait_alu 0xfffd
	v_add_co_ci_u32_e64 v139, null, s1, v14, vcc_lo
	v_add_co_u32 v140, vcc_lo, s0, v36
	s_clause 0x1
	global_load_b128 v[28:31], v[112:113], off
	global_load_b128 v[32:35], v[114:115], off
	s_wait_loadcnt 0x14
	scratch_store_b128 off, v[158:161], off offset:272
	s_wait_loadcnt 0x13
	scratch_store_b128 off, v[162:165], off offset:288
	;; [unrolled: 2-line block ×3, first 2 shown]
	s_wait_alu 0xfffd
	v_add_co_ci_u32_e64 v141, null, s1, v37, vcc_lo
	s_clause 0x1
	global_load_b128 v[36:39], v[116:117], off
	global_load_b128 v[164:167], v[118:119], off
	s_wait_loadcnt 0x13
	scratch_store_b128 off, v[170:173], off offset:320
	s_wait_loadcnt 0x11
	scratch_store_b128 off, v[174:177], off offset:336
	;; [unrolled: 2-line block ×3, first 2 shown]
	s_clause 0x1
	global_load_b128 v[168:171], v[120:121], off
	global_load_b128 v[172:175], v[122:123], off
	scratch_store_b128 off, v[182:185], off offset:368
	s_wait_loadcnt 0x11
	scratch_store_b128 off, v[186:189], off offset:384
	s_wait_loadcnt 0x10
	scratch_store_b128 off, v[190:193], off offset:400
	s_clause 0x3
	global_load_b128 v[176:179], v[124:125], off
	global_load_b128 v[180:183], v[126:127], off
	;; [unrolled: 1-line block ×4, first 2 shown]
	v_add_nc_u32_e32 v142, s11, v40
	v_ashrrev_i32_e32 v41, 31, v40
	s_wait_loadcnt 0x13
	scratch_store_b128 off, v[194:197], off offset:416
	s_wait_loadcnt 0x12
	scratch_store_b128 off, v[198:201], off offset:432
	;; [unrolled: 2-line block ×3, first 2 shown]
	v_add_nc_u32_e32 v13, s11, v142
	v_lshlrev_b64_e32 v[40:41], 4, v[40:41]
	v_ashrrev_i32_e32 v143, 31, v142
	s_wait_loadcnt 0x10
	scratch_store_b128 off, v[206:209], off offset:464
	s_wait_loadcnt 0xf
	scratch_store_b128 off, v[1:4], off offset:480
	;; [unrolled: 2-line block ×3, first 2 shown]
	v_add_nc_u32_e32 v146, s11, v13
	v_ashrrev_i32_e32 v14, 31, v13
	v_lshlrev_b64_e32 v[144:145], 4, v[142:143]
	v_add_co_u32 v142, vcc_lo, s0, v40
	s_delay_alu instid0(VALU_DEP_4) | instskip(NEXT) | instid1(VALU_DEP_4)
	v_add_nc_u32_e32 v40, s11, v146
	v_lshlrev_b64_e32 v[13:14], 4, v[13:14]
	v_ashrrev_i32_e32 v147, 31, v146
	s_wait_alu 0xfffd
	v_add_co_ci_u32_e64 v143, null, s1, v41, vcc_lo
	v_add_nc_u32_e32 v150, s11, v40
	v_add_co_u32 v144, vcc_lo, s0, v144
	v_ashrrev_i32_e32 v41, 31, v40
	s_wait_alu 0xfffd
	v_add_co_ci_u32_e64 v145, null, s1, v145, vcc_lo
	v_lshlrev_b64_e32 v[148:149], 4, v[146:147]
	v_add_co_u32 v146, vcc_lo, s0, v13
	v_add_nc_u32_e32 v13, s11, v150
	v_lshlrev_b64_e32 v[40:41], 4, v[40:41]
	v_ashrrev_i32_e32 v151, 31, v150
	s_wait_alu 0xfffd
	v_add_co_ci_u32_e64 v147, null, s1, v14, vcc_lo
	v_add_nc_u32_e32 v154, s11, v13
	v_add_co_u32 v148, vcc_lo, s0, v148
	v_ashrrev_i32_e32 v14, 31, v13
	s_wait_alu 0xfffd
	v_add_co_ci_u32_e64 v149, null, s1, v149, vcc_lo
	v_lshlrev_b64_e32 v[152:153], 4, v[150:151]
	v_add_co_u32 v150, vcc_lo, s0, v40
	v_add_nc_u32_e32 v40, s11, v154
	v_lshlrev_b64_e32 v[13:14], 4, v[13:14]
	v_ashrrev_i32_e32 v155, 31, v154
	s_wait_alu 0xfffd
	v_add_co_ci_u32_e64 v151, null, s1, v41, vcc_lo
	v_add_nc_u32_e32 v158, s11, v40
	v_add_co_u32 v152, vcc_lo, s0, v152
	s_wait_alu 0xfffd
	v_add_co_ci_u32_e64 v153, null, s1, v153, vcc_lo
	v_lshlrev_b64_e32 v[156:157], 4, v[154:155]
	v_add_co_u32 v154, vcc_lo, s0, v13
	v_add_nc_u32_e32 v13, s11, v158
	v_ashrrev_i32_e32 v41, 31, v40
	v_ashrrev_i32_e32 v159, 31, v158
	s_wait_alu 0xfffd
	v_add_co_ci_u32_e64 v155, null, s1, v14, vcc_lo
	v_ashrrev_i32_e32 v14, 31, v13
	v_lshlrev_b64_e32 v[40:41], 4, v[40:41]
	v_lshlrev_b64_e32 v[160:161], 4, v[158:159]
	v_add_co_u32 v156, vcc_lo, s0, v156
	s_delay_alu instid0(VALU_DEP_4)
	v_lshlrev_b64_e32 v[13:14], 4, v[13:14]
	s_wait_alu 0xfffd
	v_add_co_ci_u32_e64 v157, null, s1, v157, vcc_lo
	v_add_co_u32 v158, vcc_lo, s0, v40
	s_wait_alu 0xfffd
	v_add_co_ci_u32_e64 v159, null, s1, v41, vcc_lo
	v_add_co_u32 v160, vcc_lo, s0, v160
	;; [unrolled: 3-line block ×3, first 2 shown]
	s_clause 0x1
	global_load_b128 v[1:4], v[132:133], off
	global_load_b128 v[5:8], v[134:135], off
	s_wait_loadcnt 0xf
	scratch_store_b128 off, v[9:12], off offset:512
	s_wait_loadcnt 0xe
	scratch_store_b128 off, v[16:19], off offset:528
	s_wait_alu 0xfffd
	v_add_co_ci_u32_e64 v163, null, s1, v14, vcc_lo
	s_clause 0x1
	global_load_b128 v[9:12], v[136:137], off
	global_load_b128 v[16:19], v[138:139], off
	s_wait_loadcnt 0xf
	scratch_store_b128 off, v[20:23], off offset:544
	s_wait_loadcnt 0xe
	scratch_store_b128 off, v[24:27], off offset:560
	s_clause 0x1
	global_load_b128 v[20:23], v[140:141], off
	global_load_b128 v[24:27], v[142:143], off
	s_wait_loadcnt 0xf
	scratch_store_b128 off, v[28:31], off offset:576
	s_wait_loadcnt 0xe
	scratch_store_b128 off, v[32:35], off offset:592
	s_clause 0x1
	global_load_b128 v[28:31], v[144:145], off
	global_load_b128 v[32:35], v[146:147], off
	s_wait_loadcnt 0xf
	scratch_store_b128 off, v[36:39], off offset:608
	s_wait_loadcnt 0xe
	scratch_store_b128 off, v[164:167], off offset:624
	s_clause 0x1
	global_load_b128 v[36:39], v[148:149], off
	global_load_b128 v[164:167], v[150:151], off
	s_wait_loadcnt 0xf
	scratch_store_b128 off, v[168:171], off offset:640
	s_wait_loadcnt 0xe
	scratch_store_b128 off, v[172:175], off offset:656
	s_clause 0x1
	global_load_b128 v[168:171], v[152:153], off
	global_load_b128 v[172:175], v[154:155], off
	s_wait_loadcnt 0xf
	scratch_store_b128 off, v[176:179], off offset:672
	s_wait_loadcnt 0xe
	scratch_store_b128 off, v[180:183], off offset:688
	s_clause 0x1
	global_load_b128 v[176:179], v[156:157], off
	global_load_b128 v[180:183], v[158:159], off
	s_wait_loadcnt 0xf
	scratch_store_b128 off, v[184:187], off offset:704
	s_wait_loadcnt 0xe
	scratch_store_b128 off, v[188:191], off offset:720
	s_clause 0x1
	global_load_b128 v[184:187], v[160:161], off
	global_load_b128 v[188:191], v[162:163], off
	s_movk_i32 s0, 0x50
	s_movk_i32 s1, 0x60
	s_wait_alu 0xfffe
	s_add_co_i32 s71, s0, 16
	s_add_co_i32 s70, s1, 16
	s_movk_i32 s0, 0x330
	s_movk_i32 s1, 0x340
	;; [unrolled: 1-line block ×3, first 2 shown]
	s_wait_alu 0xfffe
	s_add_co_i32 s22, s0, 16
	s_add_co_i32 s14, s1, 16
	s_movk_i32 s0, 0x350
	s_movk_i32 s1, 0x360
	s_add_co_i32 s63, s11, 16
	s_wait_alu 0xfffe
	s_add_co_i32 s11, s0, 16
	s_add_co_i32 s12, s1, 16
	s_movk_i32 s0, 0x370
	s_movk_i32 s1, 0x380
	s_wait_alu 0xfffe
	s_add_co_i32 s13, s0, 16
	s_add_co_i32 s9, s1, 16
	s_movk_i32 s0, 0x390
	s_movk_i32 s1, 0x3a0
	;; [unrolled: 5-line block ×3, first 2 shown]
	s_wait_alu 0xfffe
	s_add_co_i32 s5, s0, 16
	s_add_co_i32 s8, s1, 16
	s_bitcmp0_b32 s2, 0
	s_mov_b32 s1, -1
	s_wait_loadcnt 0xf
	scratch_store_b128 off, v[1:4], off offset:736
	s_wait_loadcnt 0xe
	scratch_store_b128 off, v[5:8], off offset:752
	;; [unrolled: 2-line block ×16, first 2 shown]
	s_cbranch_scc1 .LBB60_268
; %bb.4:
	v_cmp_eq_u32_e64 s0, 0, v0
	s_and_saveexec_b32 s1, s0
; %bb.5:
	v_mov_b32_e32 v1, 0
	ds_store_b32 v1, v1 offset:1952
; %bb.6:
	s_wait_alu 0xfffe
	s_or_b32 exec_lo, exec_lo, s1
	s_wait_storecnt_dscnt 0x0
	s_barrier_signal -1
	s_barrier_wait -1
	global_inv scope:SCOPE_SE
	scratch_load_b128 v[1:4], v15, off offset:16
	s_wait_loadcnt 0x0
	v_cmp_eq_f64_e32 vcc_lo, 0, v[1:2]
	v_cmp_eq_f64_e64 s1, 0, v[3:4]
	s_and_b32 s1, vcc_lo, s1
	s_wait_alu 0xfffe
	s_and_saveexec_b32 s2, s1
	s_cbranch_execz .LBB60_10
; %bb.7:
	v_mov_b32_e32 v1, 0
	s_mov_b32 s3, 0
	ds_load_b32 v2, v1 offset:1952
	s_wait_dscnt 0x0
	v_readfirstlane_b32 s1, v2
	v_add_nc_u32_e32 v2, 1, v0
	s_cmp_eq_u32 s1, 0
	s_delay_alu instid0(VALU_DEP_1) | instskip(SKIP_1) | instid1(SALU_CYCLE_1)
	v_cmp_gt_i32_e32 vcc_lo, s1, v2
	s_cselect_b32 s72, -1, 0
	s_or_b32 s72, s72, vcc_lo
	s_delay_alu instid0(SALU_CYCLE_1)
	s_and_b32 exec_lo, exec_lo, s72
	s_cbranch_execz .LBB60_10
; %bb.8:
	v_mov_b32_e32 v3, s1
.LBB60_9:                               ; =>This Inner Loop Header: Depth=1
	ds_cmpstore_rtn_b32 v3, v1, v2, v3 offset:1952
	s_wait_dscnt 0x0
	v_cmp_ne_u32_e32 vcc_lo, 0, v3
	v_cmp_le_i32_e64 s1, v3, v2
	s_and_b32 s1, vcc_lo, s1
	s_wait_alu 0xfffe
	s_and_b32 s1, exec_lo, s1
	s_wait_alu 0xfffe
	s_or_b32 s3, s1, s3
	s_wait_alu 0xfffe
	s_and_not1_b32 exec_lo, exec_lo, s3
	s_cbranch_execnz .LBB60_9
.LBB60_10:
	s_wait_alu 0xfffe
	s_or_b32 exec_lo, exec_lo, s2
	v_mov_b32_e32 v1, 0
	s_barrier_signal -1
	s_barrier_wait -1
	global_inv scope:SCOPE_SE
	ds_load_b32 v2, v1 offset:1952
	s_and_saveexec_b32 s1, s0
	s_cbranch_execz .LBB60_12
; %bb.11:
	s_lshl_b64 s[2:3], s[18:19], 2
	s_wait_alu 0xfffe
	s_add_nc_u64 s[2:3], s[6:7], s[2:3]
	s_wait_dscnt 0x0
	global_store_b32 v1, v2, s[2:3]
.LBB60_12:
	s_wait_alu 0xfffe
	s_or_b32 exec_lo, exec_lo, s1
	s_wait_dscnt 0x0
	v_cmp_ne_u32_e32 vcc_lo, 0, v2
	s_mov_b32 s1, 0
	s_cbranch_vccnz .LBB60_268
; %bb.13:
	v_add_nc_u32_e32 v13, 16, v15
                                        ; implicit-def: $vgpr1_vgpr2
                                        ; implicit-def: $vgpr9_vgpr10
	scratch_load_b128 v[5:8], v13, off
	s_wait_loadcnt 0x0
	v_cmp_ngt_f64_e64 s1, |v[5:6]|, |v[7:8]|
	s_wait_alu 0xfffe
	s_and_saveexec_b32 s2, s1
	s_wait_alu 0xfffe
	s_xor_b32 s1, exec_lo, s2
	s_cbranch_execz .LBB60_15
; %bb.14:
	v_div_scale_f64 v[1:2], null, v[7:8], v[7:8], v[5:6]
	v_div_scale_f64 v[11:12], vcc_lo, v[5:6], v[7:8], v[5:6]
	s_delay_alu instid0(VALU_DEP_2) | instskip(NEXT) | instid1(TRANS32_DEP_1)
	v_rcp_f64_e32 v[3:4], v[1:2]
	v_fma_f64 v[9:10], -v[1:2], v[3:4], 1.0
	s_delay_alu instid0(VALU_DEP_1) | instskip(NEXT) | instid1(VALU_DEP_1)
	v_fma_f64 v[3:4], v[3:4], v[9:10], v[3:4]
	v_fma_f64 v[9:10], -v[1:2], v[3:4], 1.0
	s_delay_alu instid0(VALU_DEP_1) | instskip(NEXT) | instid1(VALU_DEP_1)
	v_fma_f64 v[3:4], v[3:4], v[9:10], v[3:4]
	v_mul_f64_e32 v[9:10], v[11:12], v[3:4]
	s_delay_alu instid0(VALU_DEP_1) | instskip(SKIP_1) | instid1(VALU_DEP_1)
	v_fma_f64 v[1:2], -v[1:2], v[9:10], v[11:12]
	s_wait_alu 0xfffd
	v_div_fmas_f64 v[1:2], v[1:2], v[3:4], v[9:10]
	s_delay_alu instid0(VALU_DEP_1) | instskip(NEXT) | instid1(VALU_DEP_1)
	v_div_fixup_f64 v[1:2], v[1:2], v[7:8], v[5:6]
	v_fma_f64 v[3:4], v[5:6], v[1:2], v[7:8]
	s_delay_alu instid0(VALU_DEP_1) | instskip(SKIP_1) | instid1(VALU_DEP_2)
	v_div_scale_f64 v[5:6], null, v[3:4], v[3:4], 1.0
	v_div_scale_f64 v[11:12], vcc_lo, 1.0, v[3:4], 1.0
	v_rcp_f64_e32 v[7:8], v[5:6]
	s_delay_alu instid0(TRANS32_DEP_1) | instskip(NEXT) | instid1(VALU_DEP_1)
	v_fma_f64 v[9:10], -v[5:6], v[7:8], 1.0
	v_fma_f64 v[7:8], v[7:8], v[9:10], v[7:8]
	s_delay_alu instid0(VALU_DEP_1) | instskip(NEXT) | instid1(VALU_DEP_1)
	v_fma_f64 v[9:10], -v[5:6], v[7:8], 1.0
	v_fma_f64 v[7:8], v[7:8], v[9:10], v[7:8]
	s_delay_alu instid0(VALU_DEP_1) | instskip(NEXT) | instid1(VALU_DEP_1)
	v_mul_f64_e32 v[9:10], v[11:12], v[7:8]
	v_fma_f64 v[5:6], -v[5:6], v[9:10], v[11:12]
	s_wait_alu 0xfffd
	s_delay_alu instid0(VALU_DEP_1) | instskip(NEXT) | instid1(VALU_DEP_1)
	v_div_fmas_f64 v[5:6], v[5:6], v[7:8], v[9:10]
	v_div_fixup_f64 v[3:4], v[5:6], v[3:4], 1.0
                                        ; implicit-def: $vgpr5_vgpr6
	s_delay_alu instid0(VALU_DEP_1) | instskip(SKIP_1) | instid1(VALU_DEP_2)
	v_mul_f64_e32 v[1:2], v[1:2], v[3:4]
	v_xor_b32_e32 v4, 0x80000000, v4
	v_xor_b32_e32 v10, 0x80000000, v2
	s_delay_alu instid0(VALU_DEP_3)
	v_mov_b32_e32 v9, v1
.LBB60_15:
	s_wait_alu 0xfffe
	s_and_not1_saveexec_b32 s1, s1
	s_cbranch_execz .LBB60_17
; %bb.16:
	v_div_scale_f64 v[1:2], null, v[5:6], v[5:6], v[7:8]
	v_div_scale_f64 v[11:12], vcc_lo, v[7:8], v[5:6], v[7:8]
	s_delay_alu instid0(VALU_DEP_2) | instskip(NEXT) | instid1(TRANS32_DEP_1)
	v_rcp_f64_e32 v[3:4], v[1:2]
	v_fma_f64 v[9:10], -v[1:2], v[3:4], 1.0
	s_delay_alu instid0(VALU_DEP_1) | instskip(NEXT) | instid1(VALU_DEP_1)
	v_fma_f64 v[3:4], v[3:4], v[9:10], v[3:4]
	v_fma_f64 v[9:10], -v[1:2], v[3:4], 1.0
	s_delay_alu instid0(VALU_DEP_1) | instskip(NEXT) | instid1(VALU_DEP_1)
	v_fma_f64 v[3:4], v[3:4], v[9:10], v[3:4]
	v_mul_f64_e32 v[9:10], v[11:12], v[3:4]
	s_delay_alu instid0(VALU_DEP_1) | instskip(SKIP_1) | instid1(VALU_DEP_1)
	v_fma_f64 v[1:2], -v[1:2], v[9:10], v[11:12]
	s_wait_alu 0xfffd
	v_div_fmas_f64 v[1:2], v[1:2], v[3:4], v[9:10]
	s_delay_alu instid0(VALU_DEP_1) | instskip(NEXT) | instid1(VALU_DEP_1)
	v_div_fixup_f64 v[3:4], v[1:2], v[5:6], v[7:8]
	v_fma_f64 v[1:2], v[7:8], v[3:4], v[5:6]
	s_delay_alu instid0(VALU_DEP_1) | instskip(NEXT) | instid1(VALU_DEP_1)
	v_div_scale_f64 v[5:6], null, v[1:2], v[1:2], 1.0
	v_rcp_f64_e32 v[7:8], v[5:6]
	s_delay_alu instid0(TRANS32_DEP_1) | instskip(NEXT) | instid1(VALU_DEP_1)
	v_fma_f64 v[9:10], -v[5:6], v[7:8], 1.0
	v_fma_f64 v[7:8], v[7:8], v[9:10], v[7:8]
	s_delay_alu instid0(VALU_DEP_1) | instskip(NEXT) | instid1(VALU_DEP_1)
	v_fma_f64 v[9:10], -v[5:6], v[7:8], 1.0
	v_fma_f64 v[7:8], v[7:8], v[9:10], v[7:8]
	v_div_scale_f64 v[9:10], vcc_lo, 1.0, v[1:2], 1.0
	s_delay_alu instid0(VALU_DEP_1) | instskip(NEXT) | instid1(VALU_DEP_1)
	v_mul_f64_e32 v[11:12], v[9:10], v[7:8]
	v_fma_f64 v[5:6], -v[5:6], v[11:12], v[9:10]
	s_wait_alu 0xfffd
	s_delay_alu instid0(VALU_DEP_1) | instskip(NEXT) | instid1(VALU_DEP_1)
	v_div_fmas_f64 v[5:6], v[5:6], v[7:8], v[11:12]
	v_div_fixup_f64 v[1:2], v[5:6], v[1:2], 1.0
	s_delay_alu instid0(VALU_DEP_1)
	v_mul_f64_e64 v[3:4], v[3:4], -v[1:2]
	v_xor_b32_e32 v10, 0x80000000, v2
	v_mov_b32_e32 v9, v1
.LBB60_17:
	s_wait_alu 0xfffe
	s_or_b32 exec_lo, exec_lo, s1
	scratch_store_b128 v13, v[1:4], off
	scratch_load_b128 v[16:19], off, s55
	v_xor_b32_e32 v12, 0x80000000, v4
	v_mov_b32_e32 v11, v3
	v_add_nc_u32_e32 v5, 0x3d0, v15
	ds_store_b128 v15, v[9:12]
	s_wait_loadcnt 0x0
	ds_store_b128 v15, v[16:19] offset:976
	s_wait_storecnt_dscnt 0x0
	s_barrier_signal -1
	s_barrier_wait -1
	global_inv scope:SCOPE_SE
	s_and_saveexec_b32 s1, s0
	s_cbranch_execz .LBB60_19
; %bb.18:
	scratch_load_b128 v[1:4], v13, off
	ds_load_b128 v[6:9], v5
	v_mov_b32_e32 v10, 0
	ds_load_b128 v[16:19], v10 offset:16
	s_wait_loadcnt_dscnt 0x1
	v_mul_f64_e32 v[10:11], v[6:7], v[3:4]
	v_mul_f64_e32 v[3:4], v[8:9], v[3:4]
	s_delay_alu instid0(VALU_DEP_2) | instskip(NEXT) | instid1(VALU_DEP_2)
	v_fma_f64 v[8:9], v[8:9], v[1:2], v[10:11]
	v_fma_f64 v[1:2], v[6:7], v[1:2], -v[3:4]
	s_delay_alu instid0(VALU_DEP_2) | instskip(NEXT) | instid1(VALU_DEP_2)
	v_add_f64_e32 v[3:4], 0, v[8:9]
	v_add_f64_e32 v[1:2], 0, v[1:2]
	s_wait_dscnt 0x0
	s_delay_alu instid0(VALU_DEP_2) | instskip(NEXT) | instid1(VALU_DEP_2)
	v_mul_f64_e32 v[6:7], v[3:4], v[18:19]
	v_mul_f64_e32 v[8:9], v[1:2], v[18:19]
	s_delay_alu instid0(VALU_DEP_2) | instskip(NEXT) | instid1(VALU_DEP_2)
	v_fma_f64 v[1:2], v[1:2], v[16:17], -v[6:7]
	v_fma_f64 v[3:4], v[3:4], v[16:17], v[8:9]
	scratch_store_b128 off, v[1:4], off offset:32
.LBB60_19:
	s_wait_alu 0xfffe
	s_or_b32 exec_lo, exec_lo, s1
	s_wait_loadcnt 0x0
	s_wait_storecnt 0x0
	s_barrier_signal -1
	s_barrier_wait -1
	global_inv scope:SCOPE_SE
	scratch_load_b128 v[1:4], off, s53
	v_cmp_gt_u32_e32 vcc_lo, 2, v0
	s_wait_loadcnt 0x0
	ds_store_b128 v5, v[1:4]
	s_wait_dscnt 0x0
	s_barrier_signal -1
	s_barrier_wait -1
	global_inv scope:SCOPE_SE
	s_and_saveexec_b32 s1, vcc_lo
	s_cbranch_execz .LBB60_23
; %bb.20:
	scratch_load_b128 v[1:4], v13, off
	ds_load_b128 v[6:9], v5
	s_wait_loadcnt_dscnt 0x0
	v_mul_f64_e32 v[10:11], v[8:9], v[3:4]
	v_mul_f64_e32 v[3:4], v[6:7], v[3:4]
	s_delay_alu instid0(VALU_DEP_2) | instskip(NEXT) | instid1(VALU_DEP_2)
	v_fma_f64 v[6:7], v[6:7], v[1:2], -v[10:11]
	v_fma_f64 v[3:4], v[8:9], v[1:2], v[3:4]
	s_delay_alu instid0(VALU_DEP_2) | instskip(NEXT) | instid1(VALU_DEP_2)
	v_add_f64_e32 v[1:2], 0, v[6:7]
	v_add_f64_e32 v[3:4], 0, v[3:4]
	s_and_saveexec_b32 s2, s0
	s_cbranch_execz .LBB60_22
; %bb.21:
	scratch_load_b128 v[6:9], off, off offset:32
	v_mov_b32_e32 v10, 0
	ds_load_b128 v[16:19], v10 offset:992
	s_wait_loadcnt_dscnt 0x0
	v_mul_f64_e32 v[10:11], v[16:17], v[8:9]
	v_mul_f64_e32 v[8:9], v[18:19], v[8:9]
	s_delay_alu instid0(VALU_DEP_2) | instskip(NEXT) | instid1(VALU_DEP_2)
	v_fma_f64 v[10:11], v[18:19], v[6:7], v[10:11]
	v_fma_f64 v[6:7], v[16:17], v[6:7], -v[8:9]
	s_delay_alu instid0(VALU_DEP_2) | instskip(NEXT) | instid1(VALU_DEP_2)
	v_add_f64_e32 v[3:4], v[3:4], v[10:11]
	v_add_f64_e32 v[1:2], v[1:2], v[6:7]
.LBB60_22:
	s_wait_alu 0xfffe
	s_or_b32 exec_lo, exec_lo, s2
	v_mov_b32_e32 v6, 0
	ds_load_b128 v[6:9], v6 offset:32
	s_wait_dscnt 0x0
	v_mul_f64_e32 v[10:11], v[3:4], v[8:9]
	v_mul_f64_e32 v[8:9], v[1:2], v[8:9]
	s_delay_alu instid0(VALU_DEP_2) | instskip(NEXT) | instid1(VALU_DEP_2)
	v_fma_f64 v[1:2], v[1:2], v[6:7], -v[10:11]
	v_fma_f64 v[3:4], v[3:4], v[6:7], v[8:9]
	scratch_store_b128 off, v[1:4], off offset:48
.LBB60_23:
	s_wait_alu 0xfffe
	s_or_b32 exec_lo, exec_lo, s1
	s_wait_loadcnt 0x0
	s_wait_storecnt 0x0
	s_barrier_signal -1
	s_barrier_wait -1
	global_inv scope:SCOPE_SE
	scratch_load_b128 v[1:4], off, s52
	v_add_nc_u32_e32 v6, -1, v0
	s_mov_b32 s2, exec_lo
	s_wait_loadcnt 0x0
	ds_store_b128 v5, v[1:4]
	s_wait_dscnt 0x0
	s_barrier_signal -1
	s_barrier_wait -1
	global_inv scope:SCOPE_SE
	v_cmpx_gt_u32_e32 3, v0
	s_cbranch_execz .LBB60_27
; %bb.24:
	v_dual_mov_b32 v1, 0 :: v_dual_add_nc_u32 v8, 0x3d0, v15
	v_mov_b32_e32 v3, 0
	v_dual_mov_b32 v2, 0 :: v_dual_add_nc_u32 v7, -1, v0
	v_mov_b32_e32 v4, 0
	v_or_b32_e32 v9, 8, v13
	s_mov_b32 s3, 0
.LBB60_25:                              ; =>This Inner Loop Header: Depth=1
	scratch_load_b128 v[16:19], v9, off offset:-8
	ds_load_b128 v[20:23], v8
	v_add_nc_u32_e32 v7, 1, v7
	v_add_nc_u32_e32 v8, 16, v8
	;; [unrolled: 1-line block ×3, first 2 shown]
	s_delay_alu instid0(VALU_DEP_3)
	v_cmp_lt_u32_e64 s1, 1, v7
	s_wait_alu 0xfffe
	s_or_b32 s3, s1, s3
	s_wait_loadcnt_dscnt 0x0
	v_mul_f64_e32 v[10:11], v[22:23], v[18:19]
	v_mul_f64_e32 v[18:19], v[20:21], v[18:19]
	s_delay_alu instid0(VALU_DEP_2) | instskip(NEXT) | instid1(VALU_DEP_2)
	v_fma_f64 v[10:11], v[20:21], v[16:17], -v[10:11]
	v_fma_f64 v[16:17], v[22:23], v[16:17], v[18:19]
	s_delay_alu instid0(VALU_DEP_2) | instskip(NEXT) | instid1(VALU_DEP_2)
	v_add_f64_e32 v[3:4], v[3:4], v[10:11]
	v_add_f64_e32 v[1:2], v[1:2], v[16:17]
	s_wait_alu 0xfffe
	s_and_not1_b32 exec_lo, exec_lo, s3
	s_cbranch_execnz .LBB60_25
; %bb.26:
	s_or_b32 exec_lo, exec_lo, s3
	v_mov_b32_e32 v7, 0
	ds_load_b128 v[7:10], v7 offset:48
	s_wait_dscnt 0x0
	v_mul_f64_e32 v[11:12], v[1:2], v[9:10]
	v_mul_f64_e32 v[16:17], v[3:4], v[9:10]
	s_delay_alu instid0(VALU_DEP_2) | instskip(NEXT) | instid1(VALU_DEP_2)
	v_fma_f64 v[9:10], v[3:4], v[7:8], -v[11:12]
	v_fma_f64 v[11:12], v[1:2], v[7:8], v[16:17]
	scratch_store_b128 off, v[9:12], off offset:64
.LBB60_27:
	s_wait_alu 0xfffe
	s_or_b32 exec_lo, exec_lo, s2
	s_wait_loadcnt 0x0
	s_wait_storecnt 0x0
	s_barrier_signal -1
	s_barrier_wait -1
	global_inv scope:SCOPE_SE
	scratch_load_b128 v[1:4], off, s51
	v_cmp_gt_u32_e64 s1, 4, v0
	s_wait_loadcnt 0x0
	ds_store_b128 v5, v[1:4]
	s_wait_dscnt 0x0
	s_barrier_signal -1
	s_barrier_wait -1
	global_inv scope:SCOPE_SE
	s_and_saveexec_b32 s3, s1
	s_cbranch_execz .LBB60_31
; %bb.28:
	v_dual_mov_b32 v1, 0 :: v_dual_add_nc_u32 v8, 0x3d0, v15
	v_mov_b32_e32 v3, 0
	v_dual_mov_b32 v2, 0 :: v_dual_add_nc_u32 v7, -1, v0
	v_mov_b32_e32 v4, 0
	v_or_b32_e32 v9, 8, v13
	s_mov_b32 s72, 0
.LBB60_29:                              ; =>This Inner Loop Header: Depth=1
	scratch_load_b128 v[16:19], v9, off offset:-8
	ds_load_b128 v[20:23], v8
	v_add_nc_u32_e32 v7, 1, v7
	v_add_nc_u32_e32 v8, 16, v8
	;; [unrolled: 1-line block ×3, first 2 shown]
	s_delay_alu instid0(VALU_DEP_3) | instskip(SKIP_4) | instid1(VALU_DEP_2)
	v_cmp_lt_u32_e64 s2, 2, v7
	s_or_b32 s72, s2, s72
	s_wait_loadcnt_dscnt 0x0
	v_mul_f64_e32 v[10:11], v[22:23], v[18:19]
	v_mul_f64_e32 v[18:19], v[20:21], v[18:19]
	v_fma_f64 v[10:11], v[20:21], v[16:17], -v[10:11]
	s_delay_alu instid0(VALU_DEP_2) | instskip(NEXT) | instid1(VALU_DEP_2)
	v_fma_f64 v[16:17], v[22:23], v[16:17], v[18:19]
	v_add_f64_e32 v[3:4], v[3:4], v[10:11]
	s_delay_alu instid0(VALU_DEP_2)
	v_add_f64_e32 v[1:2], v[1:2], v[16:17]
	s_and_not1_b32 exec_lo, exec_lo, s72
	s_cbranch_execnz .LBB60_29
; %bb.30:
	s_or_b32 exec_lo, exec_lo, s72
	v_mov_b32_e32 v7, 0
	ds_load_b128 v[7:10], v7 offset:64
	s_wait_dscnt 0x0
	v_mul_f64_e32 v[11:12], v[1:2], v[9:10]
	v_mul_f64_e32 v[16:17], v[3:4], v[9:10]
	s_delay_alu instid0(VALU_DEP_2) | instskip(NEXT) | instid1(VALU_DEP_2)
	v_fma_f64 v[9:10], v[3:4], v[7:8], -v[11:12]
	v_fma_f64 v[11:12], v[1:2], v[7:8], v[16:17]
	scratch_store_b128 off, v[9:12], off offset:80
.LBB60_31:
	s_wait_alu 0xfffe
	s_or_b32 exec_lo, exec_lo, s3
	s_wait_loadcnt 0x0
	s_wait_storecnt 0x0
	s_barrier_signal -1
	s_barrier_wait -1
	global_inv scope:SCOPE_SE
	scratch_load_b128 v[1:4], off, s71
	s_mov_b32 s3, exec_lo
	s_wait_loadcnt 0x0
	ds_store_b128 v5, v[1:4]
	s_wait_dscnt 0x0
	s_barrier_signal -1
	s_barrier_wait -1
	global_inv scope:SCOPE_SE
	v_cmpx_gt_u32_e32 5, v0
	s_cbranch_execz .LBB60_35
; %bb.32:
	v_dual_mov_b32 v1, 0 :: v_dual_add_nc_u32 v8, 0x3d0, v15
	v_mov_b32_e32 v3, 0
	v_dual_mov_b32 v2, 0 :: v_dual_add_nc_u32 v7, -1, v0
	v_mov_b32_e32 v4, 0
	v_or_b32_e32 v9, 8, v13
	s_mov_b32 s72, 0
.LBB60_33:                              ; =>This Inner Loop Header: Depth=1
	scratch_load_b128 v[16:19], v9, off offset:-8
	ds_load_b128 v[20:23], v8
	v_add_nc_u32_e32 v7, 1, v7
	v_add_nc_u32_e32 v8, 16, v8
	;; [unrolled: 1-line block ×3, first 2 shown]
	s_delay_alu instid0(VALU_DEP_3) | instskip(SKIP_4) | instid1(VALU_DEP_2)
	v_cmp_lt_u32_e64 s2, 3, v7
	s_or_b32 s72, s2, s72
	s_wait_loadcnt_dscnt 0x0
	v_mul_f64_e32 v[10:11], v[22:23], v[18:19]
	v_mul_f64_e32 v[18:19], v[20:21], v[18:19]
	v_fma_f64 v[10:11], v[20:21], v[16:17], -v[10:11]
	s_delay_alu instid0(VALU_DEP_2) | instskip(NEXT) | instid1(VALU_DEP_2)
	v_fma_f64 v[16:17], v[22:23], v[16:17], v[18:19]
	v_add_f64_e32 v[3:4], v[3:4], v[10:11]
	s_delay_alu instid0(VALU_DEP_2)
	v_add_f64_e32 v[1:2], v[1:2], v[16:17]
	s_and_not1_b32 exec_lo, exec_lo, s72
	s_cbranch_execnz .LBB60_33
; %bb.34:
	s_or_b32 exec_lo, exec_lo, s72
	v_mov_b32_e32 v7, 0
	ds_load_b128 v[7:10], v7 offset:80
	s_wait_dscnt 0x0
	v_mul_f64_e32 v[11:12], v[1:2], v[9:10]
	v_mul_f64_e32 v[16:17], v[3:4], v[9:10]
	s_delay_alu instid0(VALU_DEP_2) | instskip(NEXT) | instid1(VALU_DEP_2)
	v_fma_f64 v[9:10], v[3:4], v[7:8], -v[11:12]
	v_fma_f64 v[11:12], v[1:2], v[7:8], v[16:17]
	scratch_store_b128 off, v[9:12], off offset:96
.LBB60_35:
	s_wait_alu 0xfffe
	s_or_b32 exec_lo, exec_lo, s3
	s_wait_loadcnt 0x0
	s_wait_storecnt 0x0
	s_barrier_signal -1
	s_barrier_wait -1
	global_inv scope:SCOPE_SE
	scratch_load_b128 v[1:4], off, s70
	v_cmp_gt_u32_e64 s2, 6, v0
	s_wait_loadcnt 0x0
	ds_store_b128 v5, v[1:4]
	s_wait_dscnt 0x0
	s_barrier_signal -1
	s_barrier_wait -1
	global_inv scope:SCOPE_SE
	s_and_saveexec_b32 s72, s2
	s_cbranch_execz .LBB60_39
; %bb.36:
	v_dual_mov_b32 v1, 0 :: v_dual_add_nc_u32 v8, 0x3d0, v15
	v_mov_b32_e32 v3, 0
	v_dual_mov_b32 v2, 0 :: v_dual_add_nc_u32 v7, -1, v0
	v_mov_b32_e32 v4, 0
	v_or_b32_e32 v9, 8, v13
	s_mov_b32 s73, 0
.LBB60_37:                              ; =>This Inner Loop Header: Depth=1
	scratch_load_b128 v[16:19], v9, off offset:-8
	ds_load_b128 v[20:23], v8
	v_add_nc_u32_e32 v7, 1, v7
	v_add_nc_u32_e32 v8, 16, v8
	;; [unrolled: 1-line block ×3, first 2 shown]
	s_delay_alu instid0(VALU_DEP_3) | instskip(SKIP_4) | instid1(VALU_DEP_2)
	v_cmp_lt_u32_e64 s3, 4, v7
	s_or_b32 s73, s3, s73
	s_wait_loadcnt_dscnt 0x0
	v_mul_f64_e32 v[10:11], v[22:23], v[18:19]
	v_mul_f64_e32 v[18:19], v[20:21], v[18:19]
	v_fma_f64 v[10:11], v[20:21], v[16:17], -v[10:11]
	s_delay_alu instid0(VALU_DEP_2) | instskip(NEXT) | instid1(VALU_DEP_2)
	v_fma_f64 v[16:17], v[22:23], v[16:17], v[18:19]
	v_add_f64_e32 v[3:4], v[3:4], v[10:11]
	s_delay_alu instid0(VALU_DEP_2)
	v_add_f64_e32 v[1:2], v[1:2], v[16:17]
	s_and_not1_b32 exec_lo, exec_lo, s73
	s_cbranch_execnz .LBB60_37
; %bb.38:
	s_or_b32 exec_lo, exec_lo, s73
	v_mov_b32_e32 v7, 0
	ds_load_b128 v[7:10], v7 offset:96
	s_wait_dscnt 0x0
	v_mul_f64_e32 v[11:12], v[1:2], v[9:10]
	v_mul_f64_e32 v[16:17], v[3:4], v[9:10]
	s_delay_alu instid0(VALU_DEP_2) | instskip(NEXT) | instid1(VALU_DEP_2)
	v_fma_f64 v[9:10], v[3:4], v[7:8], -v[11:12]
	v_fma_f64 v[11:12], v[1:2], v[7:8], v[16:17]
	scratch_store_b128 off, v[9:12], off offset:112
.LBB60_39:
	s_or_b32 exec_lo, exec_lo, s72
	s_wait_loadcnt 0x0
	s_wait_storecnt 0x0
	s_barrier_signal -1
	s_barrier_wait -1
	global_inv scope:SCOPE_SE
	scratch_load_b128 v[1:4], off, s69
	s_mov_b32 s72, exec_lo
	s_wait_loadcnt 0x0
	ds_store_b128 v5, v[1:4]
	s_wait_dscnt 0x0
	s_barrier_signal -1
	s_barrier_wait -1
	global_inv scope:SCOPE_SE
	v_cmpx_gt_u32_e32 7, v0
	s_cbranch_execz .LBB60_43
; %bb.40:
	v_dual_mov_b32 v1, 0 :: v_dual_add_nc_u32 v8, 0x3d0, v15
	v_mov_b32_e32 v3, 0
	v_dual_mov_b32 v2, 0 :: v_dual_add_nc_u32 v7, -1, v0
	v_mov_b32_e32 v4, 0
	v_or_b32_e32 v9, 8, v13
	s_mov_b32 s73, 0
.LBB60_41:                              ; =>This Inner Loop Header: Depth=1
	scratch_load_b128 v[16:19], v9, off offset:-8
	ds_load_b128 v[20:23], v8
	v_add_nc_u32_e32 v7, 1, v7
	v_add_nc_u32_e32 v8, 16, v8
	;; [unrolled: 1-line block ×3, first 2 shown]
	s_delay_alu instid0(VALU_DEP_3) | instskip(SKIP_4) | instid1(VALU_DEP_2)
	v_cmp_lt_u32_e64 s3, 5, v7
	s_or_b32 s73, s3, s73
	s_wait_loadcnt_dscnt 0x0
	v_mul_f64_e32 v[10:11], v[22:23], v[18:19]
	v_mul_f64_e32 v[18:19], v[20:21], v[18:19]
	v_fma_f64 v[10:11], v[20:21], v[16:17], -v[10:11]
	s_delay_alu instid0(VALU_DEP_2) | instskip(NEXT) | instid1(VALU_DEP_2)
	v_fma_f64 v[16:17], v[22:23], v[16:17], v[18:19]
	v_add_f64_e32 v[3:4], v[3:4], v[10:11]
	s_delay_alu instid0(VALU_DEP_2)
	v_add_f64_e32 v[1:2], v[1:2], v[16:17]
	s_and_not1_b32 exec_lo, exec_lo, s73
	s_cbranch_execnz .LBB60_41
; %bb.42:
	s_or_b32 exec_lo, exec_lo, s73
	v_mov_b32_e32 v7, 0
	ds_load_b128 v[7:10], v7 offset:112
	s_wait_dscnt 0x0
	v_mul_f64_e32 v[11:12], v[1:2], v[9:10]
	v_mul_f64_e32 v[16:17], v[3:4], v[9:10]
	s_delay_alu instid0(VALU_DEP_2) | instskip(NEXT) | instid1(VALU_DEP_2)
	v_fma_f64 v[9:10], v[3:4], v[7:8], -v[11:12]
	v_fma_f64 v[11:12], v[1:2], v[7:8], v[16:17]
	scratch_store_b128 off, v[9:12], off offset:128
.LBB60_43:
	s_or_b32 exec_lo, exec_lo, s72
	s_wait_loadcnt 0x0
	s_wait_storecnt 0x0
	s_barrier_signal -1
	s_barrier_wait -1
	global_inv scope:SCOPE_SE
	scratch_load_b128 v[1:4], off, s68
	s_mov_b32 s72, exec_lo
	s_wait_loadcnt 0x0
	ds_store_b128 v5, v[1:4]
	s_wait_dscnt 0x0
	s_barrier_signal -1
	s_barrier_wait -1
	global_inv scope:SCOPE_SE
	v_cmpx_gt_u32_e32 8, v0
	s_cbranch_execz .LBB60_59
; %bb.44:
	scratch_load_b128 v[1:4], v13, off
	ds_load_b128 v[7:10], v5
	s_mov_b32 s73, exec_lo
	s_wait_loadcnt_dscnt 0x0
	v_mul_f64_e32 v[11:12], v[9:10], v[3:4]
	v_mul_f64_e32 v[3:4], v[7:8], v[3:4]
	s_delay_alu instid0(VALU_DEP_2) | instskip(NEXT) | instid1(VALU_DEP_2)
	v_fma_f64 v[7:8], v[7:8], v[1:2], -v[11:12]
	v_fma_f64 v[1:2], v[9:10], v[1:2], v[3:4]
	s_delay_alu instid0(VALU_DEP_2) | instskip(NEXT) | instid1(VALU_DEP_2)
	v_add_f64_e32 v[3:4], 0, v[7:8]
	v_add_f64_e32 v[1:2], 0, v[1:2]
	v_cmpx_ne_u32_e32 7, v0
	s_cbranch_execz .LBB60_58
; %bb.45:
	scratch_load_b128 v[7:10], v13, off offset:16
	ds_load_b128 v[16:19], v5 offset:16
	s_wait_loadcnt_dscnt 0x0
	v_mul_f64_e32 v[11:12], v[18:19], v[9:10]
	v_mul_f64_e32 v[9:10], v[16:17], v[9:10]
	s_delay_alu instid0(VALU_DEP_2) | instskip(NEXT) | instid1(VALU_DEP_2)
	v_fma_f64 v[11:12], v[16:17], v[7:8], -v[11:12]
	v_fma_f64 v[7:8], v[18:19], v[7:8], v[9:10]
	s_delay_alu instid0(VALU_DEP_2) | instskip(NEXT) | instid1(VALU_DEP_2)
	v_add_f64_e32 v[3:4], v[3:4], v[11:12]
	v_add_f64_e32 v[1:2], v[1:2], v[7:8]
	s_and_saveexec_b32 s3, s2
	s_cbranch_execz .LBB60_57
; %bb.46:
	scratch_load_b128 v[7:10], v13, off offset:32
	ds_load_b128 v[16:19], v5 offset:32
	s_mov_b32 s74, exec_lo
	s_wait_loadcnt_dscnt 0x0
	v_mul_f64_e32 v[11:12], v[18:19], v[9:10]
	v_mul_f64_e32 v[9:10], v[16:17], v[9:10]
	s_delay_alu instid0(VALU_DEP_2) | instskip(NEXT) | instid1(VALU_DEP_2)
	v_fma_f64 v[11:12], v[16:17], v[7:8], -v[11:12]
	v_fma_f64 v[7:8], v[18:19], v[7:8], v[9:10]
	s_delay_alu instid0(VALU_DEP_2) | instskip(NEXT) | instid1(VALU_DEP_2)
	v_add_f64_e32 v[3:4], v[3:4], v[11:12]
	v_add_f64_e32 v[1:2], v[1:2], v[7:8]
	v_cmpx_ne_u32_e32 5, v0
	s_cbranch_execz .LBB60_56
; %bb.47:
	scratch_load_b128 v[7:10], v13, off offset:48
	ds_load_b128 v[16:19], v5 offset:48
	s_wait_loadcnt_dscnt 0x0
	v_mul_f64_e32 v[11:12], v[18:19], v[9:10]
	v_mul_f64_e32 v[9:10], v[16:17], v[9:10]
	s_delay_alu instid0(VALU_DEP_2) | instskip(NEXT) | instid1(VALU_DEP_2)
	v_fma_f64 v[11:12], v[16:17], v[7:8], -v[11:12]
	v_fma_f64 v[7:8], v[18:19], v[7:8], v[9:10]
	s_delay_alu instid0(VALU_DEP_2) | instskip(NEXT) | instid1(VALU_DEP_2)
	v_add_f64_e32 v[3:4], v[3:4], v[11:12]
	v_add_f64_e32 v[1:2], v[1:2], v[7:8]
	s_and_saveexec_b32 s2, s1
	s_cbranch_execz .LBB60_55
; %bb.48:
	scratch_load_b128 v[7:10], v13, off offset:64
	ds_load_b128 v[16:19], v5 offset:64
	s_mov_b32 s75, exec_lo
	s_wait_loadcnt_dscnt 0x0
	v_mul_f64_e32 v[11:12], v[18:19], v[9:10]
	v_mul_f64_e32 v[9:10], v[16:17], v[9:10]
	s_delay_alu instid0(VALU_DEP_2) | instskip(NEXT) | instid1(VALU_DEP_2)
	v_fma_f64 v[11:12], v[16:17], v[7:8], -v[11:12]
	v_fma_f64 v[7:8], v[18:19], v[7:8], v[9:10]
	s_delay_alu instid0(VALU_DEP_2) | instskip(NEXT) | instid1(VALU_DEP_2)
	v_add_f64_e32 v[3:4], v[3:4], v[11:12]
	v_add_f64_e32 v[1:2], v[1:2], v[7:8]
	v_cmpx_ne_u32_e32 3, v0
	s_cbranch_execz .LBB60_54
; %bb.49:
	scratch_load_b128 v[7:10], v13, off offset:80
	ds_load_b128 v[16:19], v5 offset:80
	s_wait_loadcnt_dscnt 0x0
	v_mul_f64_e32 v[11:12], v[18:19], v[9:10]
	v_mul_f64_e32 v[9:10], v[16:17], v[9:10]
	s_delay_alu instid0(VALU_DEP_2) | instskip(NEXT) | instid1(VALU_DEP_2)
	v_fma_f64 v[11:12], v[16:17], v[7:8], -v[11:12]
	v_fma_f64 v[7:8], v[18:19], v[7:8], v[9:10]
	s_delay_alu instid0(VALU_DEP_2) | instskip(NEXT) | instid1(VALU_DEP_2)
	v_add_f64_e32 v[3:4], v[3:4], v[11:12]
	v_add_f64_e32 v[1:2], v[1:2], v[7:8]
	s_and_saveexec_b32 s1, vcc_lo
	s_cbranch_execz .LBB60_53
; %bb.50:
	scratch_load_b128 v[7:10], v13, off offset:96
	ds_load_b128 v[16:19], v5 offset:96
	s_wait_loadcnt_dscnt 0x0
	v_mul_f64_e32 v[11:12], v[18:19], v[9:10]
	v_mul_f64_e32 v[9:10], v[16:17], v[9:10]
	s_delay_alu instid0(VALU_DEP_2) | instskip(NEXT) | instid1(VALU_DEP_2)
	v_fma_f64 v[11:12], v[16:17], v[7:8], -v[11:12]
	v_fma_f64 v[7:8], v[18:19], v[7:8], v[9:10]
	s_delay_alu instid0(VALU_DEP_2) | instskip(NEXT) | instid1(VALU_DEP_2)
	v_add_f64_e32 v[3:4], v[3:4], v[11:12]
	v_add_f64_e32 v[1:2], v[1:2], v[7:8]
	s_and_saveexec_b32 s76, s0
	s_cbranch_execz .LBB60_52
; %bb.51:
	scratch_load_b128 v[7:10], v13, off offset:112
	ds_load_b128 v[16:19], v5 offset:112
	s_wait_loadcnt_dscnt 0x0
	v_mul_f64_e32 v[11:12], v[18:19], v[9:10]
	v_mul_f64_e32 v[9:10], v[16:17], v[9:10]
	s_delay_alu instid0(VALU_DEP_2) | instskip(NEXT) | instid1(VALU_DEP_2)
	v_fma_f64 v[11:12], v[16:17], v[7:8], -v[11:12]
	v_fma_f64 v[7:8], v[18:19], v[7:8], v[9:10]
	s_delay_alu instid0(VALU_DEP_2) | instskip(NEXT) | instid1(VALU_DEP_2)
	v_add_f64_e32 v[3:4], v[3:4], v[11:12]
	v_add_f64_e32 v[1:2], v[1:2], v[7:8]
.LBB60_52:
	s_or_b32 exec_lo, exec_lo, s76
.LBB60_53:
	s_wait_alu 0xfffe
	s_or_b32 exec_lo, exec_lo, s1
.LBB60_54:
	s_delay_alu instid0(SALU_CYCLE_1)
	s_or_b32 exec_lo, exec_lo, s75
.LBB60_55:
	s_wait_alu 0xfffe
	s_or_b32 exec_lo, exec_lo, s2
.LBB60_56:
	s_delay_alu instid0(SALU_CYCLE_1)
	s_or_b32 exec_lo, exec_lo, s74
.LBB60_57:
	s_wait_alu 0xfffe
	s_or_b32 exec_lo, exec_lo, s3
.LBB60_58:
	s_delay_alu instid0(SALU_CYCLE_1)
	s_or_b32 exec_lo, exec_lo, s73
	v_mov_b32_e32 v7, 0
	ds_load_b128 v[7:10], v7 offset:128
	s_wait_dscnt 0x0
	v_mul_f64_e32 v[11:12], v[1:2], v[9:10]
	v_mul_f64_e32 v[16:17], v[3:4], v[9:10]
	s_delay_alu instid0(VALU_DEP_2) | instskip(NEXT) | instid1(VALU_DEP_2)
	v_fma_f64 v[9:10], v[3:4], v[7:8], -v[11:12]
	v_fma_f64 v[11:12], v[1:2], v[7:8], v[16:17]
	scratch_store_b128 off, v[9:12], off offset:144
.LBB60_59:
	s_or_b32 exec_lo, exec_lo, s72
	s_wait_loadcnt 0x0
	s_wait_storecnt 0x0
	s_barrier_signal -1
	s_barrier_wait -1
	global_inv scope:SCOPE_SE
	scratch_load_b128 v[1:4], off, s67
	s_mov_b32 s0, exec_lo
	s_wait_loadcnt 0x0
	ds_store_b128 v5, v[1:4]
	s_wait_dscnt 0x0
	s_barrier_signal -1
	s_barrier_wait -1
	global_inv scope:SCOPE_SE
	v_cmpx_gt_u32_e32 9, v0
	s_cbranch_execz .LBB60_63
; %bb.60:
	v_dual_mov_b32 v1, 0 :: v_dual_add_nc_u32 v8, 0x3d0, v15
	v_mov_b32_e32 v3, 0
	v_dual_mov_b32 v2, 0 :: v_dual_add_nc_u32 v7, -1, v0
	v_mov_b32_e32 v4, 0
	v_or_b32_e32 v9, 8, v13
	s_mov_b32 s1, 0
.LBB60_61:                              ; =>This Inner Loop Header: Depth=1
	scratch_load_b128 v[16:19], v9, off offset:-8
	ds_load_b128 v[20:23], v8
	v_add_nc_u32_e32 v7, 1, v7
	v_add_nc_u32_e32 v8, 16, v8
	v_add_nc_u32_e32 v9, 16, v9
	s_delay_alu instid0(VALU_DEP_3)
	v_cmp_lt_u32_e32 vcc_lo, 7, v7
	s_wait_alu 0xfffe
	s_or_b32 s1, vcc_lo, s1
	s_wait_loadcnt_dscnt 0x0
	v_mul_f64_e32 v[10:11], v[22:23], v[18:19]
	v_mul_f64_e32 v[18:19], v[20:21], v[18:19]
	s_delay_alu instid0(VALU_DEP_2) | instskip(NEXT) | instid1(VALU_DEP_2)
	v_fma_f64 v[10:11], v[20:21], v[16:17], -v[10:11]
	v_fma_f64 v[16:17], v[22:23], v[16:17], v[18:19]
	s_delay_alu instid0(VALU_DEP_2) | instskip(NEXT) | instid1(VALU_DEP_2)
	v_add_f64_e32 v[3:4], v[3:4], v[10:11]
	v_add_f64_e32 v[1:2], v[1:2], v[16:17]
	s_wait_alu 0xfffe
	s_and_not1_b32 exec_lo, exec_lo, s1
	s_cbranch_execnz .LBB60_61
; %bb.62:
	s_or_b32 exec_lo, exec_lo, s1
	v_mov_b32_e32 v7, 0
	ds_load_b128 v[7:10], v7 offset:144
	s_wait_dscnt 0x0
	v_mul_f64_e32 v[11:12], v[1:2], v[9:10]
	v_mul_f64_e32 v[16:17], v[3:4], v[9:10]
	s_delay_alu instid0(VALU_DEP_2) | instskip(NEXT) | instid1(VALU_DEP_2)
	v_fma_f64 v[9:10], v[3:4], v[7:8], -v[11:12]
	v_fma_f64 v[11:12], v[1:2], v[7:8], v[16:17]
	scratch_store_b128 off, v[9:12], off offset:160
.LBB60_63:
	s_wait_alu 0xfffe
	s_or_b32 exec_lo, exec_lo, s0
	s_wait_loadcnt 0x0
	s_wait_storecnt 0x0
	s_barrier_signal -1
	s_barrier_wait -1
	global_inv scope:SCOPE_SE
	scratch_load_b128 v[1:4], off, s66
	s_mov_b32 s0, exec_lo
	s_wait_loadcnt 0x0
	ds_store_b128 v5, v[1:4]
	s_wait_dscnt 0x0
	s_barrier_signal -1
	s_barrier_wait -1
	global_inv scope:SCOPE_SE
	v_cmpx_gt_u32_e32 10, v0
	s_cbranch_execz .LBB60_67
; %bb.64:
	v_dual_mov_b32 v1, 0 :: v_dual_add_nc_u32 v8, 0x3d0, v15
	v_mov_b32_e32 v3, 0
	v_dual_mov_b32 v2, 0 :: v_dual_add_nc_u32 v7, -1, v0
	v_mov_b32_e32 v4, 0
	v_or_b32_e32 v9, 8, v13
	s_mov_b32 s1, 0
.LBB60_65:                              ; =>This Inner Loop Header: Depth=1
	scratch_load_b128 v[16:19], v9, off offset:-8
	ds_load_b128 v[20:23], v8
	v_add_nc_u32_e32 v7, 1, v7
	v_add_nc_u32_e32 v8, 16, v8
	v_add_nc_u32_e32 v9, 16, v9
	s_delay_alu instid0(VALU_DEP_3)
	v_cmp_lt_u32_e32 vcc_lo, 8, v7
	s_wait_alu 0xfffe
	s_or_b32 s1, vcc_lo, s1
	s_wait_loadcnt_dscnt 0x0
	v_mul_f64_e32 v[10:11], v[22:23], v[18:19]
	v_mul_f64_e32 v[18:19], v[20:21], v[18:19]
	s_delay_alu instid0(VALU_DEP_2) | instskip(NEXT) | instid1(VALU_DEP_2)
	v_fma_f64 v[10:11], v[20:21], v[16:17], -v[10:11]
	v_fma_f64 v[16:17], v[22:23], v[16:17], v[18:19]
	s_delay_alu instid0(VALU_DEP_2) | instskip(NEXT) | instid1(VALU_DEP_2)
	v_add_f64_e32 v[3:4], v[3:4], v[10:11]
	v_add_f64_e32 v[1:2], v[1:2], v[16:17]
	s_wait_alu 0xfffe
	s_and_not1_b32 exec_lo, exec_lo, s1
	s_cbranch_execnz .LBB60_65
; %bb.66:
	s_or_b32 exec_lo, exec_lo, s1
	v_mov_b32_e32 v7, 0
	ds_load_b128 v[7:10], v7 offset:160
	s_wait_dscnt 0x0
	v_mul_f64_e32 v[11:12], v[1:2], v[9:10]
	v_mul_f64_e32 v[16:17], v[3:4], v[9:10]
	s_delay_alu instid0(VALU_DEP_2) | instskip(NEXT) | instid1(VALU_DEP_2)
	v_fma_f64 v[9:10], v[3:4], v[7:8], -v[11:12]
	v_fma_f64 v[11:12], v[1:2], v[7:8], v[16:17]
	scratch_store_b128 off, v[9:12], off offset:176
.LBB60_67:
	s_wait_alu 0xfffe
	;; [unrolled: 58-line block ×10, first 2 shown]
	s_or_b32 exec_lo, exec_lo, s0
	s_wait_loadcnt 0x0
	s_wait_storecnt 0x0
	s_barrier_signal -1
	s_barrier_wait -1
	global_inv scope:SCOPE_SE
	scratch_load_b128 v[1:4], off, s57
	s_mov_b32 s0, exec_lo
	s_wait_loadcnt 0x0
	ds_store_b128 v5, v[1:4]
	s_wait_dscnt 0x0
	s_barrier_signal -1
	s_barrier_wait -1
	global_inv scope:SCOPE_SE
	v_cmpx_gt_u32_e32 19, v0
	s_cbranch_execz .LBB60_103
; %bb.100:
	v_dual_mov_b32 v1, 0 :: v_dual_add_nc_u32 v8, 0x3d0, v15
	v_mov_b32_e32 v3, 0
	v_dual_mov_b32 v2, 0 :: v_dual_add_nc_u32 v7, -1, v0
	v_mov_b32_e32 v4, 0
	v_or_b32_e32 v9, 8, v13
	s_mov_b32 s1, 0
.LBB60_101:                             ; =>This Inner Loop Header: Depth=1
	scratch_load_b128 v[16:19], v9, off offset:-8
	ds_load_b128 v[20:23], v8
	v_add_nc_u32_e32 v7, 1, v7
	v_add_nc_u32_e32 v8, 16, v8
	v_add_nc_u32_e32 v9, 16, v9
	s_delay_alu instid0(VALU_DEP_3)
	v_cmp_lt_u32_e32 vcc_lo, 17, v7
	s_wait_alu 0xfffe
	s_or_b32 s1, vcc_lo, s1
	s_wait_loadcnt_dscnt 0x0
	v_mul_f64_e32 v[10:11], v[22:23], v[18:19]
	v_mul_f64_e32 v[18:19], v[20:21], v[18:19]
	s_delay_alu instid0(VALU_DEP_2) | instskip(NEXT) | instid1(VALU_DEP_2)
	v_fma_f64 v[10:11], v[20:21], v[16:17], -v[10:11]
	v_fma_f64 v[16:17], v[22:23], v[16:17], v[18:19]
	s_delay_alu instid0(VALU_DEP_2) | instskip(NEXT) | instid1(VALU_DEP_2)
	v_add_f64_e32 v[3:4], v[3:4], v[10:11]
	v_add_f64_e32 v[1:2], v[1:2], v[16:17]
	s_wait_alu 0xfffe
	s_and_not1_b32 exec_lo, exec_lo, s1
	s_cbranch_execnz .LBB60_101
; %bb.102:
	s_or_b32 exec_lo, exec_lo, s1
	v_mov_b32_e32 v7, 0
	ds_load_b128 v[7:10], v7 offset:304
	s_wait_dscnt 0x0
	v_mul_f64_e32 v[11:12], v[1:2], v[9:10]
	v_mul_f64_e32 v[16:17], v[3:4], v[9:10]
	s_delay_alu instid0(VALU_DEP_2) | instskip(NEXT) | instid1(VALU_DEP_2)
	v_fma_f64 v[9:10], v[3:4], v[7:8], -v[11:12]
	v_fma_f64 v[11:12], v[1:2], v[7:8], v[16:17]
	scratch_store_b128 off, v[9:12], off offset:320
.LBB60_103:
	s_wait_alu 0xfffe
	s_or_b32 exec_lo, exec_lo, s0
	s_wait_loadcnt 0x0
	s_wait_storecnt 0x0
	s_barrier_signal -1
	s_barrier_wait -1
	global_inv scope:SCOPE_SE
	scratch_load_b128 v[1:4], off, s56
	s_mov_b32 s0, exec_lo
	s_wait_loadcnt 0x0
	ds_store_b128 v5, v[1:4]
	s_wait_dscnt 0x0
	s_barrier_signal -1
	s_barrier_wait -1
	global_inv scope:SCOPE_SE
	v_cmpx_gt_u32_e32 20, v0
	s_cbranch_execz .LBB60_107
; %bb.104:
	v_dual_mov_b32 v1, 0 :: v_dual_add_nc_u32 v8, 0x3d0, v15
	v_mov_b32_e32 v3, 0
	v_dual_mov_b32 v2, 0 :: v_dual_add_nc_u32 v7, -1, v0
	v_mov_b32_e32 v4, 0
	v_or_b32_e32 v9, 8, v13
	s_mov_b32 s1, 0
.LBB60_105:                             ; =>This Inner Loop Header: Depth=1
	scratch_load_b128 v[16:19], v9, off offset:-8
	ds_load_b128 v[20:23], v8
	v_add_nc_u32_e32 v7, 1, v7
	v_add_nc_u32_e32 v8, 16, v8
	v_add_nc_u32_e32 v9, 16, v9
	s_delay_alu instid0(VALU_DEP_3)
	v_cmp_lt_u32_e32 vcc_lo, 18, v7
	s_wait_alu 0xfffe
	s_or_b32 s1, vcc_lo, s1
	s_wait_loadcnt_dscnt 0x0
	v_mul_f64_e32 v[10:11], v[22:23], v[18:19]
	v_mul_f64_e32 v[18:19], v[20:21], v[18:19]
	s_delay_alu instid0(VALU_DEP_2) | instskip(NEXT) | instid1(VALU_DEP_2)
	v_fma_f64 v[10:11], v[20:21], v[16:17], -v[10:11]
	v_fma_f64 v[16:17], v[22:23], v[16:17], v[18:19]
	s_delay_alu instid0(VALU_DEP_2) | instskip(NEXT) | instid1(VALU_DEP_2)
	v_add_f64_e32 v[3:4], v[3:4], v[10:11]
	v_add_f64_e32 v[1:2], v[1:2], v[16:17]
	s_wait_alu 0xfffe
	s_and_not1_b32 exec_lo, exec_lo, s1
	s_cbranch_execnz .LBB60_105
; %bb.106:
	s_or_b32 exec_lo, exec_lo, s1
	v_mov_b32_e32 v7, 0
	ds_load_b128 v[7:10], v7 offset:320
	s_wait_dscnt 0x0
	v_mul_f64_e32 v[11:12], v[1:2], v[9:10]
	v_mul_f64_e32 v[16:17], v[3:4], v[9:10]
	s_delay_alu instid0(VALU_DEP_2) | instskip(NEXT) | instid1(VALU_DEP_2)
	v_fma_f64 v[9:10], v[3:4], v[7:8], -v[11:12]
	v_fma_f64 v[11:12], v[1:2], v[7:8], v[16:17]
	scratch_store_b128 off, v[9:12], off offset:336
.LBB60_107:
	s_wait_alu 0xfffe
	;; [unrolled: 58-line block ×41, first 2 shown]
	s_or_b32 exec_lo, exec_lo, s0
	s_wait_loadcnt 0x0
	s_wait_storecnt 0x0
	s_barrier_signal -1
	s_barrier_wait -1
	global_inv scope:SCOPE_SE
	scratch_load_b128 v[1:4], off, s8
	s_mov_b32 s0, exec_lo
	s_wait_loadcnt 0x0
	ds_store_b128 v5, v[1:4]
	s_wait_dscnt 0x0
	s_barrier_signal -1
	s_barrier_wait -1
	global_inv scope:SCOPE_SE
	v_cmpx_ne_u32_e32 60, v0
	s_cbranch_execz .LBB60_267
; %bb.264:
	v_mov_b32_e32 v1, 0
	v_dual_mov_b32 v2, 0 :: v_dual_mov_b32 v3, 0
	v_mov_b32_e32 v4, 0
	v_or_b32_e32 v7, 8, v13
	s_mov_b32 s1, 0
.LBB60_265:                             ; =>This Inner Loop Header: Depth=1
	scratch_load_b128 v[8:11], v7, off offset:-8
	ds_load_b128 v[12:15], v5
	v_add_nc_u32_e32 v6, 1, v6
	v_add_nc_u32_e32 v5, 16, v5
	;; [unrolled: 1-line block ×3, first 2 shown]
	s_delay_alu instid0(VALU_DEP_3)
	v_cmp_lt_u32_e32 vcc_lo, 58, v6
	s_wait_alu 0xfffe
	s_or_b32 s1, vcc_lo, s1
	s_wait_loadcnt_dscnt 0x0
	v_mul_f64_e32 v[16:17], v[14:15], v[10:11]
	v_mul_f64_e32 v[10:11], v[12:13], v[10:11]
	s_delay_alu instid0(VALU_DEP_2) | instskip(NEXT) | instid1(VALU_DEP_2)
	v_fma_f64 v[12:13], v[12:13], v[8:9], -v[16:17]
	v_fma_f64 v[8:9], v[14:15], v[8:9], v[10:11]
	s_delay_alu instid0(VALU_DEP_2) | instskip(NEXT) | instid1(VALU_DEP_2)
	v_add_f64_e32 v[3:4], v[3:4], v[12:13]
	v_add_f64_e32 v[1:2], v[1:2], v[8:9]
	s_wait_alu 0xfffe
	s_and_not1_b32 exec_lo, exec_lo, s1
	s_cbranch_execnz .LBB60_265
; %bb.266:
	s_or_b32 exec_lo, exec_lo, s1
	v_mov_b32_e32 v5, 0
	ds_load_b128 v[5:8], v5 offset:960
	s_wait_dscnt 0x0
	v_mul_f64_e32 v[9:10], v[1:2], v[7:8]
	v_mul_f64_e32 v[7:8], v[3:4], v[7:8]
	s_delay_alu instid0(VALU_DEP_2) | instskip(NEXT) | instid1(VALU_DEP_2)
	v_fma_f64 v[3:4], v[3:4], v[5:6], -v[9:10]
	v_fma_f64 v[5:6], v[1:2], v[5:6], v[7:8]
	scratch_store_b128 off, v[3:6], off offset:976
.LBB60_267:
	s_wait_alu 0xfffe
	s_or_b32 exec_lo, exec_lo, s0
	s_mov_b32 s1, -1
	s_wait_loadcnt 0x0
	s_wait_storecnt 0x0
	s_barrier_signal -1
	s_barrier_wait -1
	global_inv scope:SCOPE_SE
.LBB60_268:
	s_wait_alu 0xfffe
	s_and_b32 vcc_lo, exec_lo, s1
	s_wait_alu 0xfffe
	s_cbranch_vccz .LBB60_270
; %bb.269:
	v_mov_b32_e32 v1, 0
	s_lshl_b64 s[0:1], s[18:19], 2
	s_wait_alu 0xfffe
	s_add_nc_u64 s[0:1], s[6:7], s[0:1]
	global_load_b32 v1, v1, s[0:1]
	s_wait_loadcnt 0x0
	v_cmp_ne_u32_e32 vcc_lo, 0, v1
	s_cbranch_vccz .LBB60_271
.LBB60_270:
	s_nop 0
	s_sendmsg sendmsg(MSG_DEALLOC_VGPRS)
	s_endpgm
.LBB60_271:
	v_lshl_add_u32 v164, v0, 4, 0x3d0
	s_mov_b32 s0, exec_lo
	v_cmpx_eq_u32_e32 60, v0
	s_cbranch_execz .LBB60_273
; %bb.272:
	scratch_load_b128 v[1:4], off, s5
	v_mov_b32_e32 v5, 0
	s_delay_alu instid0(VALU_DEP_1)
	v_dual_mov_b32 v6, v5 :: v_dual_mov_b32 v7, v5
	v_mov_b32_e32 v8, v5
	scratch_store_b128 off, v[5:8], off offset:960
	s_wait_loadcnt 0x0
	ds_store_b128 v164, v[1:4]
.LBB60_273:
	s_wait_alu 0xfffe
	s_or_b32 exec_lo, exec_lo, s0
	s_wait_storecnt_dscnt 0x0
	s_barrier_signal -1
	s_barrier_wait -1
	global_inv scope:SCOPE_SE
	s_clause 0x1
	scratch_load_b128 v[2:5], off, off offset:976
	scratch_load_b128 v[6:9], off, off offset:960
	v_mov_b32_e32 v1, 0
	s_mov_b32 s0, exec_lo
	ds_load_b128 v[10:13], v1 offset:1936
	s_wait_loadcnt_dscnt 0x100
	v_mul_f64_e32 v[14:15], v[12:13], v[4:5]
	v_mul_f64_e32 v[4:5], v[10:11], v[4:5]
	s_delay_alu instid0(VALU_DEP_2) | instskip(NEXT) | instid1(VALU_DEP_2)
	v_fma_f64 v[10:11], v[10:11], v[2:3], -v[14:15]
	v_fma_f64 v[2:3], v[12:13], v[2:3], v[4:5]
	s_delay_alu instid0(VALU_DEP_2) | instskip(NEXT) | instid1(VALU_DEP_2)
	v_add_f64_e32 v[4:5], 0, v[10:11]
	v_add_f64_e32 v[10:11], 0, v[2:3]
	s_wait_loadcnt 0x0
	s_delay_alu instid0(VALU_DEP_2) | instskip(NEXT) | instid1(VALU_DEP_2)
	v_add_f64_e64 v[2:3], v[6:7], -v[4:5]
	v_add_f64_e64 v[4:5], v[8:9], -v[10:11]
	scratch_store_b128 off, v[2:5], off offset:960
	v_cmpx_lt_u32_e32 58, v0
	s_cbranch_execz .LBB60_275
; %bb.274:
	scratch_load_b128 v[5:8], off, s4
	v_dual_mov_b32 v2, v1 :: v_dual_mov_b32 v3, v1
	v_mov_b32_e32 v4, v1
	scratch_store_b128 off, v[1:4], off offset:944
	s_wait_loadcnt 0x0
	ds_store_b128 v164, v[5:8]
.LBB60_275:
	s_wait_alu 0xfffe
	s_or_b32 exec_lo, exec_lo, s0
	s_wait_storecnt_dscnt 0x0
	s_barrier_signal -1
	s_barrier_wait -1
	global_inv scope:SCOPE_SE
	s_clause 0x2
	scratch_load_b128 v[2:5], off, off offset:960
	scratch_load_b128 v[6:9], off, off offset:976
	;; [unrolled: 1-line block ×3, first 2 shown]
	ds_load_b128 v[14:17], v1 offset:1920
	ds_load_b128 v[18:21], v1 offset:1936
	s_mov_b32 s0, exec_lo
	s_wait_loadcnt_dscnt 0x201
	v_mul_f64_e32 v[22:23], v[16:17], v[4:5]
	v_mul_f64_e32 v[4:5], v[14:15], v[4:5]
	s_wait_loadcnt_dscnt 0x100
	v_mul_f64_e32 v[24:25], v[18:19], v[8:9]
	v_mul_f64_e32 v[8:9], v[20:21], v[8:9]
	s_delay_alu instid0(VALU_DEP_4) | instskip(NEXT) | instid1(VALU_DEP_4)
	v_fma_f64 v[14:15], v[14:15], v[2:3], -v[22:23]
	v_fma_f64 v[1:2], v[16:17], v[2:3], v[4:5]
	s_delay_alu instid0(VALU_DEP_4) | instskip(NEXT) | instid1(VALU_DEP_4)
	v_fma_f64 v[3:4], v[20:21], v[6:7], v[24:25]
	v_fma_f64 v[5:6], v[18:19], v[6:7], -v[8:9]
	s_delay_alu instid0(VALU_DEP_4) | instskip(NEXT) | instid1(VALU_DEP_4)
	v_add_f64_e32 v[7:8], 0, v[14:15]
	v_add_f64_e32 v[1:2], 0, v[1:2]
	s_delay_alu instid0(VALU_DEP_2) | instskip(NEXT) | instid1(VALU_DEP_2)
	v_add_f64_e32 v[5:6], v[7:8], v[5:6]
	v_add_f64_e32 v[3:4], v[1:2], v[3:4]
	s_wait_loadcnt 0x0
	s_delay_alu instid0(VALU_DEP_2) | instskip(NEXT) | instid1(VALU_DEP_2)
	v_add_f64_e64 v[1:2], v[10:11], -v[5:6]
	v_add_f64_e64 v[3:4], v[12:13], -v[3:4]
	scratch_store_b128 off, v[1:4], off offset:944
	v_cmpx_lt_u32_e32 57, v0
	s_cbranch_execz .LBB60_277
; %bb.276:
	scratch_load_b128 v[1:4], off, s10
	v_mov_b32_e32 v5, 0
	s_delay_alu instid0(VALU_DEP_1)
	v_dual_mov_b32 v6, v5 :: v_dual_mov_b32 v7, v5
	v_mov_b32_e32 v8, v5
	scratch_store_b128 off, v[5:8], off offset:928
	s_wait_loadcnt 0x0
	ds_store_b128 v164, v[1:4]
.LBB60_277:
	s_wait_alu 0xfffe
	s_or_b32 exec_lo, exec_lo, s0
	s_wait_storecnt_dscnt 0x0
	s_barrier_signal -1
	s_barrier_wait -1
	global_inv scope:SCOPE_SE
	s_clause 0x3
	scratch_load_b128 v[2:5], off, off offset:944
	scratch_load_b128 v[6:9], off, off offset:960
	;; [unrolled: 1-line block ×4, first 2 shown]
	v_mov_b32_e32 v1, 0
	ds_load_b128 v[18:21], v1 offset:1904
	ds_load_b128 v[22:25], v1 offset:1920
	s_mov_b32 s0, exec_lo
	s_wait_loadcnt_dscnt 0x301
	v_mul_f64_e32 v[26:27], v[20:21], v[4:5]
	v_mul_f64_e32 v[4:5], v[18:19], v[4:5]
	s_wait_loadcnt_dscnt 0x200
	v_mul_f64_e32 v[28:29], v[22:23], v[8:9]
	v_mul_f64_e32 v[8:9], v[24:25], v[8:9]
	s_delay_alu instid0(VALU_DEP_4) | instskip(NEXT) | instid1(VALU_DEP_4)
	v_fma_f64 v[18:19], v[18:19], v[2:3], -v[26:27]
	v_fma_f64 v[20:21], v[20:21], v[2:3], v[4:5]
	ds_load_b128 v[2:5], v1 offset:1936
	v_fma_f64 v[24:25], v[24:25], v[6:7], v[28:29]
	v_fma_f64 v[6:7], v[22:23], v[6:7], -v[8:9]
	s_wait_loadcnt_dscnt 0x100
	v_mul_f64_e32 v[26:27], v[2:3], v[12:13]
	v_mul_f64_e32 v[12:13], v[4:5], v[12:13]
	v_add_f64_e32 v[8:9], 0, v[18:19]
	v_add_f64_e32 v[18:19], 0, v[20:21]
	s_delay_alu instid0(VALU_DEP_4) | instskip(NEXT) | instid1(VALU_DEP_4)
	v_fma_f64 v[4:5], v[4:5], v[10:11], v[26:27]
	v_fma_f64 v[2:3], v[2:3], v[10:11], -v[12:13]
	s_delay_alu instid0(VALU_DEP_4) | instskip(NEXT) | instid1(VALU_DEP_4)
	v_add_f64_e32 v[6:7], v[8:9], v[6:7]
	v_add_f64_e32 v[8:9], v[18:19], v[24:25]
	s_delay_alu instid0(VALU_DEP_2) | instskip(NEXT) | instid1(VALU_DEP_2)
	v_add_f64_e32 v[2:3], v[6:7], v[2:3]
	v_add_f64_e32 v[4:5], v[8:9], v[4:5]
	s_wait_loadcnt 0x0
	s_delay_alu instid0(VALU_DEP_2) | instskip(NEXT) | instid1(VALU_DEP_2)
	v_add_f64_e64 v[2:3], v[14:15], -v[2:3]
	v_add_f64_e64 v[4:5], v[16:17], -v[4:5]
	scratch_store_b128 off, v[2:5], off offset:928
	v_cmpx_lt_u32_e32 56, v0
	s_cbranch_execz .LBB60_279
; %bb.278:
	scratch_load_b128 v[5:8], off, s9
	v_dual_mov_b32 v2, v1 :: v_dual_mov_b32 v3, v1
	v_mov_b32_e32 v4, v1
	scratch_store_b128 off, v[1:4], off offset:912
	s_wait_loadcnt 0x0
	ds_store_b128 v164, v[5:8]
.LBB60_279:
	s_wait_alu 0xfffe
	s_or_b32 exec_lo, exec_lo, s0
	s_wait_storecnt_dscnt 0x0
	s_barrier_signal -1
	s_barrier_wait -1
	global_inv scope:SCOPE_SE
	s_clause 0x4
	scratch_load_b128 v[2:5], off, off offset:928
	scratch_load_b128 v[6:9], off, off offset:944
	;; [unrolled: 1-line block ×5, first 2 shown]
	ds_load_b128 v[22:25], v1 offset:1888
	ds_load_b128 v[26:29], v1 offset:1904
	s_mov_b32 s0, exec_lo
	s_wait_loadcnt_dscnt 0x401
	v_mul_f64_e32 v[30:31], v[24:25], v[4:5]
	v_mul_f64_e32 v[4:5], v[22:23], v[4:5]
	s_wait_loadcnt_dscnt 0x300
	v_mul_f64_e32 v[32:33], v[26:27], v[8:9]
	v_mul_f64_e32 v[8:9], v[28:29], v[8:9]
	s_delay_alu instid0(VALU_DEP_4) | instskip(NEXT) | instid1(VALU_DEP_4)
	v_fma_f64 v[30:31], v[22:23], v[2:3], -v[30:31]
	v_fma_f64 v[34:35], v[24:25], v[2:3], v[4:5]
	ds_load_b128 v[2:5], v1 offset:1920
	ds_load_b128 v[22:25], v1 offset:1936
	v_fma_f64 v[28:29], v[28:29], v[6:7], v[32:33]
	v_fma_f64 v[6:7], v[26:27], v[6:7], -v[8:9]
	s_wait_loadcnt_dscnt 0x201
	v_mul_f64_e32 v[36:37], v[2:3], v[12:13]
	v_mul_f64_e32 v[12:13], v[4:5], v[12:13]
	v_add_f64_e32 v[8:9], 0, v[30:31]
	v_add_f64_e32 v[26:27], 0, v[34:35]
	s_wait_loadcnt_dscnt 0x100
	v_mul_f64_e32 v[30:31], v[22:23], v[16:17]
	v_mul_f64_e32 v[16:17], v[24:25], v[16:17]
	v_fma_f64 v[4:5], v[4:5], v[10:11], v[36:37]
	v_fma_f64 v[1:2], v[2:3], v[10:11], -v[12:13]
	v_add_f64_e32 v[6:7], v[8:9], v[6:7]
	v_add_f64_e32 v[8:9], v[26:27], v[28:29]
	v_fma_f64 v[10:11], v[24:25], v[14:15], v[30:31]
	v_fma_f64 v[12:13], v[22:23], v[14:15], -v[16:17]
	s_delay_alu instid0(VALU_DEP_4) | instskip(NEXT) | instid1(VALU_DEP_4)
	v_add_f64_e32 v[1:2], v[6:7], v[1:2]
	v_add_f64_e32 v[3:4], v[8:9], v[4:5]
	s_delay_alu instid0(VALU_DEP_2) | instskip(NEXT) | instid1(VALU_DEP_2)
	v_add_f64_e32 v[1:2], v[1:2], v[12:13]
	v_add_f64_e32 v[3:4], v[3:4], v[10:11]
	s_wait_loadcnt 0x0
	s_delay_alu instid0(VALU_DEP_2) | instskip(NEXT) | instid1(VALU_DEP_2)
	v_add_f64_e64 v[1:2], v[18:19], -v[1:2]
	v_add_f64_e64 v[3:4], v[20:21], -v[3:4]
	scratch_store_b128 off, v[1:4], off offset:912
	v_cmpx_lt_u32_e32 55, v0
	s_cbranch_execz .LBB60_281
; %bb.280:
	scratch_load_b128 v[1:4], off, s13
	v_mov_b32_e32 v5, 0
	s_delay_alu instid0(VALU_DEP_1)
	v_dual_mov_b32 v6, v5 :: v_dual_mov_b32 v7, v5
	v_mov_b32_e32 v8, v5
	scratch_store_b128 off, v[5:8], off offset:896
	s_wait_loadcnt 0x0
	ds_store_b128 v164, v[1:4]
.LBB60_281:
	s_wait_alu 0xfffe
	s_or_b32 exec_lo, exec_lo, s0
	s_wait_storecnt_dscnt 0x0
	s_barrier_signal -1
	s_barrier_wait -1
	global_inv scope:SCOPE_SE
	s_clause 0x5
	scratch_load_b128 v[2:5], off, off offset:912
	scratch_load_b128 v[6:9], off, off offset:928
	;; [unrolled: 1-line block ×6, first 2 shown]
	v_mov_b32_e32 v1, 0
	ds_load_b128 v[26:29], v1 offset:1872
	ds_load_b128 v[30:33], v1 offset:1888
	s_mov_b32 s0, exec_lo
	s_wait_loadcnt_dscnt 0x501
	v_mul_f64_e32 v[34:35], v[28:29], v[4:5]
	v_mul_f64_e32 v[4:5], v[26:27], v[4:5]
	s_wait_loadcnt_dscnt 0x400
	v_mul_f64_e32 v[36:37], v[30:31], v[8:9]
	v_mul_f64_e32 v[8:9], v[32:33], v[8:9]
	s_delay_alu instid0(VALU_DEP_4) | instskip(NEXT) | instid1(VALU_DEP_4)
	v_fma_f64 v[34:35], v[26:27], v[2:3], -v[34:35]
	v_fma_f64 v[38:39], v[28:29], v[2:3], v[4:5]
	ds_load_b128 v[2:5], v1 offset:1904
	ds_load_b128 v[26:29], v1 offset:1920
	v_fma_f64 v[32:33], v[32:33], v[6:7], v[36:37]
	v_fma_f64 v[6:7], v[30:31], v[6:7], -v[8:9]
	s_wait_loadcnt_dscnt 0x301
	v_mul_f64_e32 v[40:41], v[2:3], v[12:13]
	v_mul_f64_e32 v[12:13], v[4:5], v[12:13]
	v_add_f64_e32 v[8:9], 0, v[34:35]
	v_add_f64_e32 v[30:31], 0, v[38:39]
	s_wait_loadcnt_dscnt 0x200
	v_mul_f64_e32 v[34:35], v[26:27], v[16:17]
	v_mul_f64_e32 v[16:17], v[28:29], v[16:17]
	v_fma_f64 v[36:37], v[4:5], v[10:11], v[40:41]
	v_fma_f64 v[10:11], v[2:3], v[10:11], -v[12:13]
	ds_load_b128 v[2:5], v1 offset:1936
	v_add_f64_e32 v[6:7], v[8:9], v[6:7]
	v_add_f64_e32 v[8:9], v[30:31], v[32:33]
	v_fma_f64 v[28:29], v[28:29], v[14:15], v[34:35]
	v_fma_f64 v[14:15], v[26:27], v[14:15], -v[16:17]
	s_wait_loadcnt_dscnt 0x100
	v_mul_f64_e32 v[12:13], v[2:3], v[20:21]
	v_mul_f64_e32 v[20:21], v[4:5], v[20:21]
	v_add_f64_e32 v[6:7], v[6:7], v[10:11]
	v_add_f64_e32 v[8:9], v[8:9], v[36:37]
	s_delay_alu instid0(VALU_DEP_4) | instskip(NEXT) | instid1(VALU_DEP_4)
	v_fma_f64 v[4:5], v[4:5], v[18:19], v[12:13]
	v_fma_f64 v[2:3], v[2:3], v[18:19], -v[20:21]
	s_delay_alu instid0(VALU_DEP_4) | instskip(NEXT) | instid1(VALU_DEP_4)
	v_add_f64_e32 v[6:7], v[6:7], v[14:15]
	v_add_f64_e32 v[8:9], v[8:9], v[28:29]
	s_delay_alu instid0(VALU_DEP_2) | instskip(NEXT) | instid1(VALU_DEP_2)
	v_add_f64_e32 v[2:3], v[6:7], v[2:3]
	v_add_f64_e32 v[4:5], v[8:9], v[4:5]
	s_wait_loadcnt 0x0
	s_delay_alu instid0(VALU_DEP_2) | instskip(NEXT) | instid1(VALU_DEP_2)
	v_add_f64_e64 v[2:3], v[22:23], -v[2:3]
	v_add_f64_e64 v[4:5], v[24:25], -v[4:5]
	scratch_store_b128 off, v[2:5], off offset:896
	v_cmpx_lt_u32_e32 54, v0
	s_cbranch_execz .LBB60_283
; %bb.282:
	scratch_load_b128 v[5:8], off, s12
	v_dual_mov_b32 v2, v1 :: v_dual_mov_b32 v3, v1
	v_mov_b32_e32 v4, v1
	scratch_store_b128 off, v[1:4], off offset:880
	s_wait_loadcnt 0x0
	ds_store_b128 v164, v[5:8]
.LBB60_283:
	s_wait_alu 0xfffe
	s_or_b32 exec_lo, exec_lo, s0
	s_wait_storecnt_dscnt 0x0
	s_barrier_signal -1
	s_barrier_wait -1
	global_inv scope:SCOPE_SE
	s_clause 0x5
	scratch_load_b128 v[2:5], off, off offset:896
	scratch_load_b128 v[6:9], off, off offset:912
	scratch_load_b128 v[10:13], off, off offset:928
	scratch_load_b128 v[14:17], off, off offset:944
	scratch_load_b128 v[18:21], off, off offset:960
	scratch_load_b128 v[22:25], off, off offset:976
	ds_load_b128 v[26:29], v1 offset:1856
	ds_load_b128 v[34:37], v1 offset:1872
	scratch_load_b128 v[30:33], off, off offset:880
	s_mov_b32 s0, exec_lo
	s_wait_loadcnt_dscnt 0x601
	v_mul_f64_e32 v[38:39], v[28:29], v[4:5]
	v_mul_f64_e32 v[4:5], v[26:27], v[4:5]
	s_wait_loadcnt_dscnt 0x500
	v_mul_f64_e32 v[40:41], v[34:35], v[8:9]
	v_mul_f64_e32 v[8:9], v[36:37], v[8:9]
	s_delay_alu instid0(VALU_DEP_4) | instskip(NEXT) | instid1(VALU_DEP_4)
	v_fma_f64 v[38:39], v[26:27], v[2:3], -v[38:39]
	v_fma_f64 v[165:166], v[28:29], v[2:3], v[4:5]
	ds_load_b128 v[2:5], v1 offset:1888
	ds_load_b128 v[26:29], v1 offset:1904
	v_fma_f64 v[36:37], v[36:37], v[6:7], v[40:41]
	v_fma_f64 v[6:7], v[34:35], v[6:7], -v[8:9]
	s_wait_loadcnt_dscnt 0x401
	v_mul_f64_e32 v[167:168], v[2:3], v[12:13]
	v_mul_f64_e32 v[12:13], v[4:5], v[12:13]
	v_add_f64_e32 v[8:9], 0, v[38:39]
	v_add_f64_e32 v[34:35], 0, v[165:166]
	s_wait_loadcnt_dscnt 0x300
	v_mul_f64_e32 v[38:39], v[26:27], v[16:17]
	v_mul_f64_e32 v[16:17], v[28:29], v[16:17]
	v_fma_f64 v[40:41], v[4:5], v[10:11], v[167:168]
	v_fma_f64 v[10:11], v[2:3], v[10:11], -v[12:13]
	v_add_f64_e32 v[12:13], v[8:9], v[6:7]
	v_add_f64_e32 v[34:35], v[34:35], v[36:37]
	ds_load_b128 v[2:5], v1 offset:1920
	ds_load_b128 v[6:9], v1 offset:1936
	v_fma_f64 v[28:29], v[28:29], v[14:15], v[38:39]
	v_fma_f64 v[14:15], v[26:27], v[14:15], -v[16:17]
	s_wait_loadcnt_dscnt 0x201
	v_mul_f64_e32 v[36:37], v[2:3], v[20:21]
	v_mul_f64_e32 v[20:21], v[4:5], v[20:21]
	s_wait_loadcnt_dscnt 0x100
	v_mul_f64_e32 v[16:17], v[6:7], v[24:25]
	v_mul_f64_e32 v[24:25], v[8:9], v[24:25]
	v_add_f64_e32 v[10:11], v[12:13], v[10:11]
	v_add_f64_e32 v[12:13], v[34:35], v[40:41]
	v_fma_f64 v[4:5], v[4:5], v[18:19], v[36:37]
	v_fma_f64 v[1:2], v[2:3], v[18:19], -v[20:21]
	v_fma_f64 v[8:9], v[8:9], v[22:23], v[16:17]
	v_fma_f64 v[6:7], v[6:7], v[22:23], -v[24:25]
	v_add_f64_e32 v[10:11], v[10:11], v[14:15]
	v_add_f64_e32 v[12:13], v[12:13], v[28:29]
	s_delay_alu instid0(VALU_DEP_2) | instskip(NEXT) | instid1(VALU_DEP_2)
	v_add_f64_e32 v[1:2], v[10:11], v[1:2]
	v_add_f64_e32 v[3:4], v[12:13], v[4:5]
	s_delay_alu instid0(VALU_DEP_2) | instskip(NEXT) | instid1(VALU_DEP_2)
	v_add_f64_e32 v[1:2], v[1:2], v[6:7]
	v_add_f64_e32 v[3:4], v[3:4], v[8:9]
	s_wait_loadcnt 0x0
	s_delay_alu instid0(VALU_DEP_2) | instskip(NEXT) | instid1(VALU_DEP_2)
	v_add_f64_e64 v[1:2], v[30:31], -v[1:2]
	v_add_f64_e64 v[3:4], v[32:33], -v[3:4]
	scratch_store_b128 off, v[1:4], off offset:880
	v_cmpx_lt_u32_e32 53, v0
	s_cbranch_execz .LBB60_285
; %bb.284:
	scratch_load_b128 v[1:4], off, s11
	v_mov_b32_e32 v5, 0
	s_delay_alu instid0(VALU_DEP_1)
	v_dual_mov_b32 v6, v5 :: v_dual_mov_b32 v7, v5
	v_mov_b32_e32 v8, v5
	scratch_store_b128 off, v[5:8], off offset:864
	s_wait_loadcnt 0x0
	ds_store_b128 v164, v[1:4]
.LBB60_285:
	s_wait_alu 0xfffe
	s_or_b32 exec_lo, exec_lo, s0
	s_wait_storecnt_dscnt 0x0
	s_barrier_signal -1
	s_barrier_wait -1
	global_inv scope:SCOPE_SE
	s_clause 0x6
	scratch_load_b128 v[2:5], off, off offset:880
	scratch_load_b128 v[6:9], off, off offset:896
	;; [unrolled: 1-line block ×7, first 2 shown]
	v_mov_b32_e32 v1, 0
	scratch_load_b128 v[34:37], off, off offset:864
	s_mov_b32 s0, exec_lo
	ds_load_b128 v[30:33], v1 offset:1840
	ds_load_b128 v[38:41], v1 offset:1856
	s_wait_loadcnt_dscnt 0x701
	v_mul_f64_e32 v[165:166], v[32:33], v[4:5]
	v_mul_f64_e32 v[4:5], v[30:31], v[4:5]
	s_wait_loadcnt_dscnt 0x600
	v_mul_f64_e32 v[167:168], v[38:39], v[8:9]
	v_mul_f64_e32 v[8:9], v[40:41], v[8:9]
	s_delay_alu instid0(VALU_DEP_4) | instskip(NEXT) | instid1(VALU_DEP_4)
	v_fma_f64 v[165:166], v[30:31], v[2:3], -v[165:166]
	v_fma_f64 v[169:170], v[32:33], v[2:3], v[4:5]
	ds_load_b128 v[2:5], v1 offset:1872
	ds_load_b128 v[30:33], v1 offset:1888
	v_fma_f64 v[40:41], v[40:41], v[6:7], v[167:168]
	v_fma_f64 v[6:7], v[38:39], v[6:7], -v[8:9]
	s_wait_loadcnt_dscnt 0x501
	v_mul_f64_e32 v[171:172], v[2:3], v[12:13]
	v_mul_f64_e32 v[12:13], v[4:5], v[12:13]
	v_add_f64_e32 v[8:9], 0, v[165:166]
	v_add_f64_e32 v[38:39], 0, v[169:170]
	s_wait_loadcnt_dscnt 0x400
	v_mul_f64_e32 v[165:166], v[30:31], v[16:17]
	v_mul_f64_e32 v[16:17], v[32:33], v[16:17]
	v_fma_f64 v[167:168], v[4:5], v[10:11], v[171:172]
	v_fma_f64 v[10:11], v[2:3], v[10:11], -v[12:13]
	v_add_f64_e32 v[12:13], v[8:9], v[6:7]
	v_add_f64_e32 v[38:39], v[38:39], v[40:41]
	ds_load_b128 v[2:5], v1 offset:1904
	ds_load_b128 v[6:9], v1 offset:1920
	v_fma_f64 v[32:33], v[32:33], v[14:15], v[165:166]
	v_fma_f64 v[14:15], v[30:31], v[14:15], -v[16:17]
	s_wait_loadcnt_dscnt 0x301
	v_mul_f64_e32 v[40:41], v[2:3], v[20:21]
	v_mul_f64_e32 v[20:21], v[4:5], v[20:21]
	s_wait_loadcnt_dscnt 0x200
	v_mul_f64_e32 v[16:17], v[6:7], v[24:25]
	v_mul_f64_e32 v[24:25], v[8:9], v[24:25]
	v_add_f64_e32 v[10:11], v[12:13], v[10:11]
	v_add_f64_e32 v[12:13], v[38:39], v[167:168]
	v_fma_f64 v[30:31], v[4:5], v[18:19], v[40:41]
	v_fma_f64 v[18:19], v[2:3], v[18:19], -v[20:21]
	ds_load_b128 v[2:5], v1 offset:1936
	v_fma_f64 v[8:9], v[8:9], v[22:23], v[16:17]
	v_fma_f64 v[6:7], v[6:7], v[22:23], -v[24:25]
	v_add_f64_e32 v[10:11], v[10:11], v[14:15]
	v_add_f64_e32 v[12:13], v[12:13], v[32:33]
	s_wait_loadcnt_dscnt 0x100
	v_mul_f64_e32 v[14:15], v[2:3], v[28:29]
	v_mul_f64_e32 v[20:21], v[4:5], v[28:29]
	s_delay_alu instid0(VALU_DEP_4) | instskip(NEXT) | instid1(VALU_DEP_4)
	v_add_f64_e32 v[10:11], v[10:11], v[18:19]
	v_add_f64_e32 v[12:13], v[12:13], v[30:31]
	s_delay_alu instid0(VALU_DEP_4) | instskip(NEXT) | instid1(VALU_DEP_4)
	v_fma_f64 v[4:5], v[4:5], v[26:27], v[14:15]
	v_fma_f64 v[2:3], v[2:3], v[26:27], -v[20:21]
	s_delay_alu instid0(VALU_DEP_4) | instskip(NEXT) | instid1(VALU_DEP_4)
	v_add_f64_e32 v[6:7], v[10:11], v[6:7]
	v_add_f64_e32 v[8:9], v[12:13], v[8:9]
	s_delay_alu instid0(VALU_DEP_2) | instskip(NEXT) | instid1(VALU_DEP_2)
	v_add_f64_e32 v[2:3], v[6:7], v[2:3]
	v_add_f64_e32 v[4:5], v[8:9], v[4:5]
	s_wait_loadcnt 0x0
	s_delay_alu instid0(VALU_DEP_2) | instskip(NEXT) | instid1(VALU_DEP_2)
	v_add_f64_e64 v[2:3], v[34:35], -v[2:3]
	v_add_f64_e64 v[4:5], v[36:37], -v[4:5]
	scratch_store_b128 off, v[2:5], off offset:864
	v_cmpx_lt_u32_e32 52, v0
	s_cbranch_execz .LBB60_287
; %bb.286:
	scratch_load_b128 v[5:8], off, s14
	v_dual_mov_b32 v2, v1 :: v_dual_mov_b32 v3, v1
	v_mov_b32_e32 v4, v1
	scratch_store_b128 off, v[1:4], off offset:848
	s_wait_loadcnt 0x0
	ds_store_b128 v164, v[5:8]
.LBB60_287:
	s_wait_alu 0xfffe
	s_or_b32 exec_lo, exec_lo, s0
	s_wait_storecnt_dscnt 0x0
	s_barrier_signal -1
	s_barrier_wait -1
	global_inv scope:SCOPE_SE
	s_clause 0x7
	scratch_load_b128 v[2:5], off, off offset:864
	scratch_load_b128 v[6:9], off, off offset:880
	;; [unrolled: 1-line block ×8, first 2 shown]
	ds_load_b128 v[34:37], v1 offset:1824
	ds_load_b128 v[38:41], v1 offset:1840
	scratch_load_b128 v[165:168], off, off offset:848
	s_mov_b32 s0, exec_lo
	s_wait_loadcnt_dscnt 0x801
	v_mul_f64_e32 v[169:170], v[36:37], v[4:5]
	v_mul_f64_e32 v[4:5], v[34:35], v[4:5]
	s_wait_loadcnt_dscnt 0x700
	v_mul_f64_e32 v[171:172], v[38:39], v[8:9]
	v_mul_f64_e32 v[8:9], v[40:41], v[8:9]
	s_delay_alu instid0(VALU_DEP_4) | instskip(NEXT) | instid1(VALU_DEP_4)
	v_fma_f64 v[169:170], v[34:35], v[2:3], -v[169:170]
	v_fma_f64 v[173:174], v[36:37], v[2:3], v[4:5]
	ds_load_b128 v[2:5], v1 offset:1856
	ds_load_b128 v[34:37], v1 offset:1872
	v_fma_f64 v[40:41], v[40:41], v[6:7], v[171:172]
	v_fma_f64 v[6:7], v[38:39], v[6:7], -v[8:9]
	s_wait_loadcnt_dscnt 0x601
	v_mul_f64_e32 v[175:176], v[2:3], v[12:13]
	v_mul_f64_e32 v[12:13], v[4:5], v[12:13]
	v_add_f64_e32 v[8:9], 0, v[169:170]
	v_add_f64_e32 v[38:39], 0, v[173:174]
	s_wait_loadcnt_dscnt 0x500
	v_mul_f64_e32 v[169:170], v[34:35], v[16:17]
	v_mul_f64_e32 v[16:17], v[36:37], v[16:17]
	v_fma_f64 v[171:172], v[4:5], v[10:11], v[175:176]
	v_fma_f64 v[10:11], v[2:3], v[10:11], -v[12:13]
	v_add_f64_e32 v[12:13], v[8:9], v[6:7]
	v_add_f64_e32 v[38:39], v[38:39], v[40:41]
	ds_load_b128 v[2:5], v1 offset:1888
	ds_load_b128 v[6:9], v1 offset:1904
	v_fma_f64 v[36:37], v[36:37], v[14:15], v[169:170]
	v_fma_f64 v[14:15], v[34:35], v[14:15], -v[16:17]
	s_wait_loadcnt_dscnt 0x401
	v_mul_f64_e32 v[40:41], v[2:3], v[20:21]
	v_mul_f64_e32 v[20:21], v[4:5], v[20:21]
	s_wait_loadcnt_dscnt 0x300
	v_mul_f64_e32 v[16:17], v[6:7], v[24:25]
	v_mul_f64_e32 v[24:25], v[8:9], v[24:25]
	v_add_f64_e32 v[10:11], v[12:13], v[10:11]
	v_add_f64_e32 v[12:13], v[38:39], v[171:172]
	v_fma_f64 v[34:35], v[4:5], v[18:19], v[40:41]
	v_fma_f64 v[18:19], v[2:3], v[18:19], -v[20:21]
	v_fma_f64 v[8:9], v[8:9], v[22:23], v[16:17]
	v_fma_f64 v[6:7], v[6:7], v[22:23], -v[24:25]
	v_add_f64_e32 v[14:15], v[10:11], v[14:15]
	v_add_f64_e32 v[20:21], v[12:13], v[36:37]
	ds_load_b128 v[2:5], v1 offset:1920
	ds_load_b128 v[10:13], v1 offset:1936
	s_wait_loadcnt_dscnt 0x201
	v_mul_f64_e32 v[36:37], v[2:3], v[28:29]
	v_mul_f64_e32 v[28:29], v[4:5], v[28:29]
	v_add_f64_e32 v[14:15], v[14:15], v[18:19]
	v_add_f64_e32 v[16:17], v[20:21], v[34:35]
	s_wait_loadcnt_dscnt 0x100
	v_mul_f64_e32 v[18:19], v[10:11], v[32:33]
	v_mul_f64_e32 v[20:21], v[12:13], v[32:33]
	v_fma_f64 v[4:5], v[4:5], v[26:27], v[36:37]
	v_fma_f64 v[1:2], v[2:3], v[26:27], -v[28:29]
	v_add_f64_e32 v[6:7], v[14:15], v[6:7]
	v_add_f64_e32 v[8:9], v[16:17], v[8:9]
	v_fma_f64 v[12:13], v[12:13], v[30:31], v[18:19]
	v_fma_f64 v[10:11], v[10:11], v[30:31], -v[20:21]
	s_delay_alu instid0(VALU_DEP_4) | instskip(NEXT) | instid1(VALU_DEP_4)
	v_add_f64_e32 v[1:2], v[6:7], v[1:2]
	v_add_f64_e32 v[3:4], v[8:9], v[4:5]
	s_delay_alu instid0(VALU_DEP_2) | instskip(NEXT) | instid1(VALU_DEP_2)
	v_add_f64_e32 v[1:2], v[1:2], v[10:11]
	v_add_f64_e32 v[3:4], v[3:4], v[12:13]
	s_wait_loadcnt 0x0
	s_delay_alu instid0(VALU_DEP_2) | instskip(NEXT) | instid1(VALU_DEP_2)
	v_add_f64_e64 v[1:2], v[165:166], -v[1:2]
	v_add_f64_e64 v[3:4], v[167:168], -v[3:4]
	scratch_store_b128 off, v[1:4], off offset:848
	v_cmpx_lt_u32_e32 51, v0
	s_cbranch_execz .LBB60_289
; %bb.288:
	scratch_load_b128 v[1:4], off, s22
	v_mov_b32_e32 v5, 0
	s_delay_alu instid0(VALU_DEP_1)
	v_dual_mov_b32 v6, v5 :: v_dual_mov_b32 v7, v5
	v_mov_b32_e32 v8, v5
	scratch_store_b128 off, v[5:8], off offset:832
	s_wait_loadcnt 0x0
	ds_store_b128 v164, v[1:4]
.LBB60_289:
	s_wait_alu 0xfffe
	s_or_b32 exec_lo, exec_lo, s0
	s_wait_storecnt_dscnt 0x0
	s_barrier_signal -1
	s_barrier_wait -1
	global_inv scope:SCOPE_SE
	s_clause 0x7
	scratch_load_b128 v[2:5], off, off offset:848
	scratch_load_b128 v[6:9], off, off offset:864
	;; [unrolled: 1-line block ×8, first 2 shown]
	v_mov_b32_e32 v1, 0
	s_mov_b32 s0, exec_lo
	ds_load_b128 v[34:37], v1 offset:1808
	s_clause 0x1
	scratch_load_b128 v[38:41], off, off offset:976
	scratch_load_b128 v[165:168], off, off offset:832
	ds_load_b128 v[169:172], v1 offset:1824
	s_wait_loadcnt_dscnt 0x901
	v_mul_f64_e32 v[173:174], v[36:37], v[4:5]
	v_mul_f64_e32 v[4:5], v[34:35], v[4:5]
	s_wait_loadcnt_dscnt 0x800
	v_mul_f64_e32 v[175:176], v[169:170], v[8:9]
	v_mul_f64_e32 v[8:9], v[171:172], v[8:9]
	s_delay_alu instid0(VALU_DEP_4) | instskip(NEXT) | instid1(VALU_DEP_4)
	v_fma_f64 v[173:174], v[34:35], v[2:3], -v[173:174]
	v_fma_f64 v[177:178], v[36:37], v[2:3], v[4:5]
	ds_load_b128 v[2:5], v1 offset:1840
	ds_load_b128 v[34:37], v1 offset:1856
	v_fma_f64 v[171:172], v[171:172], v[6:7], v[175:176]
	v_fma_f64 v[6:7], v[169:170], v[6:7], -v[8:9]
	s_wait_loadcnt_dscnt 0x701
	v_mul_f64_e32 v[179:180], v[2:3], v[12:13]
	v_mul_f64_e32 v[12:13], v[4:5], v[12:13]
	v_add_f64_e32 v[8:9], 0, v[173:174]
	v_add_f64_e32 v[169:170], 0, v[177:178]
	s_wait_loadcnt_dscnt 0x600
	v_mul_f64_e32 v[173:174], v[34:35], v[16:17]
	v_mul_f64_e32 v[16:17], v[36:37], v[16:17]
	v_fma_f64 v[175:176], v[4:5], v[10:11], v[179:180]
	v_fma_f64 v[10:11], v[2:3], v[10:11], -v[12:13]
	v_add_f64_e32 v[12:13], v[8:9], v[6:7]
	v_add_f64_e32 v[169:170], v[169:170], v[171:172]
	ds_load_b128 v[2:5], v1 offset:1872
	ds_load_b128 v[6:9], v1 offset:1888
	v_fma_f64 v[36:37], v[36:37], v[14:15], v[173:174]
	v_fma_f64 v[14:15], v[34:35], v[14:15], -v[16:17]
	s_wait_loadcnt_dscnt 0x501
	v_mul_f64_e32 v[171:172], v[2:3], v[20:21]
	v_mul_f64_e32 v[20:21], v[4:5], v[20:21]
	s_wait_loadcnt_dscnt 0x400
	v_mul_f64_e32 v[16:17], v[6:7], v[24:25]
	v_mul_f64_e32 v[24:25], v[8:9], v[24:25]
	v_add_f64_e32 v[10:11], v[12:13], v[10:11]
	v_add_f64_e32 v[12:13], v[169:170], v[175:176]
	v_fma_f64 v[34:35], v[4:5], v[18:19], v[171:172]
	v_fma_f64 v[18:19], v[2:3], v[18:19], -v[20:21]
	v_fma_f64 v[8:9], v[8:9], v[22:23], v[16:17]
	v_fma_f64 v[6:7], v[6:7], v[22:23], -v[24:25]
	v_add_f64_e32 v[14:15], v[10:11], v[14:15]
	v_add_f64_e32 v[20:21], v[12:13], v[36:37]
	ds_load_b128 v[2:5], v1 offset:1904
	ds_load_b128 v[10:13], v1 offset:1920
	s_wait_loadcnt_dscnt 0x301
	v_mul_f64_e32 v[36:37], v[2:3], v[28:29]
	v_mul_f64_e32 v[28:29], v[4:5], v[28:29]
	v_add_f64_e32 v[14:15], v[14:15], v[18:19]
	v_add_f64_e32 v[16:17], v[20:21], v[34:35]
	s_wait_loadcnt_dscnt 0x200
	v_mul_f64_e32 v[18:19], v[10:11], v[32:33]
	v_mul_f64_e32 v[20:21], v[12:13], v[32:33]
	v_fma_f64 v[22:23], v[4:5], v[26:27], v[36:37]
	v_fma_f64 v[24:25], v[2:3], v[26:27], -v[28:29]
	ds_load_b128 v[2:5], v1 offset:1936
	v_add_f64_e32 v[6:7], v[14:15], v[6:7]
	v_add_f64_e32 v[8:9], v[16:17], v[8:9]
	v_fma_f64 v[12:13], v[12:13], v[30:31], v[18:19]
	v_fma_f64 v[10:11], v[10:11], v[30:31], -v[20:21]
	s_wait_loadcnt_dscnt 0x100
	v_mul_f64_e32 v[14:15], v[2:3], v[40:41]
	v_mul_f64_e32 v[16:17], v[4:5], v[40:41]
	v_add_f64_e32 v[6:7], v[6:7], v[24:25]
	v_add_f64_e32 v[8:9], v[8:9], v[22:23]
	s_delay_alu instid0(VALU_DEP_4) | instskip(NEXT) | instid1(VALU_DEP_4)
	v_fma_f64 v[4:5], v[4:5], v[38:39], v[14:15]
	v_fma_f64 v[2:3], v[2:3], v[38:39], -v[16:17]
	s_delay_alu instid0(VALU_DEP_4) | instskip(NEXT) | instid1(VALU_DEP_4)
	v_add_f64_e32 v[6:7], v[6:7], v[10:11]
	v_add_f64_e32 v[8:9], v[8:9], v[12:13]
	s_delay_alu instid0(VALU_DEP_2) | instskip(NEXT) | instid1(VALU_DEP_2)
	v_add_f64_e32 v[2:3], v[6:7], v[2:3]
	v_add_f64_e32 v[4:5], v[8:9], v[4:5]
	s_wait_loadcnt 0x0
	s_delay_alu instid0(VALU_DEP_2) | instskip(NEXT) | instid1(VALU_DEP_2)
	v_add_f64_e64 v[2:3], v[165:166], -v[2:3]
	v_add_f64_e64 v[4:5], v[167:168], -v[4:5]
	scratch_store_b128 off, v[2:5], off offset:832
	v_cmpx_lt_u32_e32 50, v0
	s_cbranch_execz .LBB60_291
; %bb.290:
	scratch_load_b128 v[5:8], off, s21
	v_dual_mov_b32 v2, v1 :: v_dual_mov_b32 v3, v1
	v_mov_b32_e32 v4, v1
	scratch_store_b128 off, v[1:4], off offset:816
	s_wait_loadcnt 0x0
	ds_store_b128 v164, v[5:8]
.LBB60_291:
	s_wait_alu 0xfffe
	s_or_b32 exec_lo, exec_lo, s0
	s_wait_storecnt_dscnt 0x0
	s_barrier_signal -1
	s_barrier_wait -1
	global_inv scope:SCOPE_SE
	s_clause 0x8
	scratch_load_b128 v[2:5], off, off offset:832
	scratch_load_b128 v[6:9], off, off offset:848
	;; [unrolled: 1-line block ×9, first 2 shown]
	ds_load_b128 v[38:41], v1 offset:1792
	ds_load_b128 v[165:168], v1 offset:1808
	s_clause 0x1
	scratch_load_b128 v[169:172], off, off offset:816
	scratch_load_b128 v[173:176], off, off offset:976
	s_mov_b32 s0, exec_lo
	s_wait_loadcnt_dscnt 0xa01
	v_mul_f64_e32 v[177:178], v[40:41], v[4:5]
	v_mul_f64_e32 v[4:5], v[38:39], v[4:5]
	s_wait_loadcnt_dscnt 0x900
	v_mul_f64_e32 v[179:180], v[165:166], v[8:9]
	v_mul_f64_e32 v[8:9], v[167:168], v[8:9]
	s_delay_alu instid0(VALU_DEP_4) | instskip(NEXT) | instid1(VALU_DEP_4)
	v_fma_f64 v[177:178], v[38:39], v[2:3], -v[177:178]
	v_fma_f64 v[181:182], v[40:41], v[2:3], v[4:5]
	ds_load_b128 v[2:5], v1 offset:1824
	ds_load_b128 v[38:41], v1 offset:1840
	v_fma_f64 v[167:168], v[167:168], v[6:7], v[179:180]
	v_fma_f64 v[6:7], v[165:166], v[6:7], -v[8:9]
	s_wait_loadcnt_dscnt 0x801
	v_mul_f64_e32 v[183:184], v[2:3], v[12:13]
	v_mul_f64_e32 v[12:13], v[4:5], v[12:13]
	v_add_f64_e32 v[8:9], 0, v[177:178]
	v_add_f64_e32 v[165:166], 0, v[181:182]
	s_wait_loadcnt_dscnt 0x700
	v_mul_f64_e32 v[177:178], v[38:39], v[16:17]
	v_mul_f64_e32 v[16:17], v[40:41], v[16:17]
	v_fma_f64 v[179:180], v[4:5], v[10:11], v[183:184]
	v_fma_f64 v[10:11], v[2:3], v[10:11], -v[12:13]
	v_add_f64_e32 v[12:13], v[8:9], v[6:7]
	v_add_f64_e32 v[165:166], v[165:166], v[167:168]
	ds_load_b128 v[2:5], v1 offset:1856
	ds_load_b128 v[6:9], v1 offset:1872
	v_fma_f64 v[40:41], v[40:41], v[14:15], v[177:178]
	v_fma_f64 v[14:15], v[38:39], v[14:15], -v[16:17]
	s_wait_loadcnt_dscnt 0x601
	v_mul_f64_e32 v[167:168], v[2:3], v[20:21]
	v_mul_f64_e32 v[20:21], v[4:5], v[20:21]
	s_wait_loadcnt_dscnt 0x500
	v_mul_f64_e32 v[16:17], v[6:7], v[24:25]
	v_mul_f64_e32 v[24:25], v[8:9], v[24:25]
	v_add_f64_e32 v[10:11], v[12:13], v[10:11]
	v_add_f64_e32 v[12:13], v[165:166], v[179:180]
	v_fma_f64 v[38:39], v[4:5], v[18:19], v[167:168]
	v_fma_f64 v[18:19], v[2:3], v[18:19], -v[20:21]
	v_fma_f64 v[8:9], v[8:9], v[22:23], v[16:17]
	v_fma_f64 v[6:7], v[6:7], v[22:23], -v[24:25]
	v_add_f64_e32 v[14:15], v[10:11], v[14:15]
	v_add_f64_e32 v[20:21], v[12:13], v[40:41]
	ds_load_b128 v[2:5], v1 offset:1888
	ds_load_b128 v[10:13], v1 offset:1904
	s_wait_loadcnt_dscnt 0x401
	v_mul_f64_e32 v[40:41], v[2:3], v[28:29]
	v_mul_f64_e32 v[28:29], v[4:5], v[28:29]
	v_add_f64_e32 v[14:15], v[14:15], v[18:19]
	v_add_f64_e32 v[16:17], v[20:21], v[38:39]
	s_wait_loadcnt_dscnt 0x300
	v_mul_f64_e32 v[18:19], v[10:11], v[32:33]
	v_mul_f64_e32 v[20:21], v[12:13], v[32:33]
	v_fma_f64 v[22:23], v[4:5], v[26:27], v[40:41]
	v_fma_f64 v[24:25], v[2:3], v[26:27], -v[28:29]
	v_add_f64_e32 v[14:15], v[14:15], v[6:7]
	v_add_f64_e32 v[16:17], v[16:17], v[8:9]
	ds_load_b128 v[2:5], v1 offset:1920
	ds_load_b128 v[6:9], v1 offset:1936
	v_fma_f64 v[12:13], v[12:13], v[30:31], v[18:19]
	v_fma_f64 v[10:11], v[10:11], v[30:31], -v[20:21]
	s_wait_loadcnt_dscnt 0x201
	v_mul_f64_e32 v[26:27], v[2:3], v[36:37]
	v_mul_f64_e32 v[28:29], v[4:5], v[36:37]
	s_wait_loadcnt_dscnt 0x0
	v_mul_f64_e32 v[18:19], v[6:7], v[175:176]
	v_mul_f64_e32 v[20:21], v[8:9], v[175:176]
	v_add_f64_e32 v[14:15], v[14:15], v[24:25]
	v_add_f64_e32 v[16:17], v[16:17], v[22:23]
	v_fma_f64 v[4:5], v[4:5], v[34:35], v[26:27]
	v_fma_f64 v[1:2], v[2:3], v[34:35], -v[28:29]
	v_fma_f64 v[8:9], v[8:9], v[173:174], v[18:19]
	v_fma_f64 v[6:7], v[6:7], v[173:174], -v[20:21]
	v_add_f64_e32 v[10:11], v[14:15], v[10:11]
	v_add_f64_e32 v[12:13], v[16:17], v[12:13]
	s_delay_alu instid0(VALU_DEP_2) | instskip(NEXT) | instid1(VALU_DEP_2)
	v_add_f64_e32 v[1:2], v[10:11], v[1:2]
	v_add_f64_e32 v[3:4], v[12:13], v[4:5]
	s_delay_alu instid0(VALU_DEP_2) | instskip(NEXT) | instid1(VALU_DEP_2)
	v_add_f64_e32 v[1:2], v[1:2], v[6:7]
	v_add_f64_e32 v[3:4], v[3:4], v[8:9]
	s_delay_alu instid0(VALU_DEP_2) | instskip(NEXT) | instid1(VALU_DEP_2)
	v_add_f64_e64 v[1:2], v[169:170], -v[1:2]
	v_add_f64_e64 v[3:4], v[171:172], -v[3:4]
	scratch_store_b128 off, v[1:4], off offset:816
	v_cmpx_lt_u32_e32 49, v0
	s_cbranch_execz .LBB60_293
; %bb.292:
	scratch_load_b128 v[1:4], off, s23
	v_mov_b32_e32 v5, 0
	s_delay_alu instid0(VALU_DEP_1)
	v_dual_mov_b32 v6, v5 :: v_dual_mov_b32 v7, v5
	v_mov_b32_e32 v8, v5
	scratch_store_b128 off, v[5:8], off offset:800
	s_wait_loadcnt 0x0
	ds_store_b128 v164, v[1:4]
.LBB60_293:
	s_wait_alu 0xfffe
	s_or_b32 exec_lo, exec_lo, s0
	s_wait_storecnt_dscnt 0x0
	s_barrier_signal -1
	s_barrier_wait -1
	global_inv scope:SCOPE_SE
	s_clause 0x7
	scratch_load_b128 v[2:5], off, off offset:816
	scratch_load_b128 v[6:9], off, off offset:832
	;; [unrolled: 1-line block ×8, first 2 shown]
	v_mov_b32_e32 v1, 0
	s_mov_b32 s0, exec_lo
	ds_load_b128 v[34:37], v1 offset:1776
	s_clause 0x1
	scratch_load_b128 v[38:41], off, off offset:944
	scratch_load_b128 v[165:168], off, off offset:800
	ds_load_b128 v[169:172], v1 offset:1792
	scratch_load_b128 v[173:176], off, off offset:960
	s_wait_loadcnt_dscnt 0xa01
	v_mul_f64_e32 v[177:178], v[36:37], v[4:5]
	v_mul_f64_e32 v[4:5], v[34:35], v[4:5]
	s_delay_alu instid0(VALU_DEP_2) | instskip(NEXT) | instid1(VALU_DEP_2)
	v_fma_f64 v[183:184], v[34:35], v[2:3], -v[177:178]
	v_fma_f64 v[185:186], v[36:37], v[2:3], v[4:5]
	ds_load_b128 v[2:5], v1 offset:1808
	s_wait_loadcnt_dscnt 0x901
	v_mul_f64_e32 v[181:182], v[169:170], v[8:9]
	v_mul_f64_e32 v[8:9], v[171:172], v[8:9]
	scratch_load_b128 v[34:37], off, off offset:976
	ds_load_b128 v[177:180], v1 offset:1824
	s_wait_loadcnt_dscnt 0x901
	v_mul_f64_e32 v[187:188], v[2:3], v[12:13]
	v_mul_f64_e32 v[12:13], v[4:5], v[12:13]
	v_fma_f64 v[171:172], v[171:172], v[6:7], v[181:182]
	v_fma_f64 v[6:7], v[169:170], v[6:7], -v[8:9]
	v_add_f64_e32 v[8:9], 0, v[183:184]
	v_add_f64_e32 v[169:170], 0, v[185:186]
	s_wait_loadcnt_dscnt 0x800
	v_mul_f64_e32 v[181:182], v[177:178], v[16:17]
	v_mul_f64_e32 v[16:17], v[179:180], v[16:17]
	v_fma_f64 v[183:184], v[4:5], v[10:11], v[187:188]
	v_fma_f64 v[10:11], v[2:3], v[10:11], -v[12:13]
	v_add_f64_e32 v[12:13], v[8:9], v[6:7]
	v_add_f64_e32 v[169:170], v[169:170], v[171:172]
	ds_load_b128 v[2:5], v1 offset:1840
	ds_load_b128 v[6:9], v1 offset:1856
	v_fma_f64 v[179:180], v[179:180], v[14:15], v[181:182]
	v_fma_f64 v[14:15], v[177:178], v[14:15], -v[16:17]
	s_wait_loadcnt_dscnt 0x701
	v_mul_f64_e32 v[171:172], v[2:3], v[20:21]
	v_mul_f64_e32 v[20:21], v[4:5], v[20:21]
	s_wait_loadcnt_dscnt 0x600
	v_mul_f64_e32 v[16:17], v[6:7], v[24:25]
	v_mul_f64_e32 v[24:25], v[8:9], v[24:25]
	v_add_f64_e32 v[10:11], v[12:13], v[10:11]
	v_add_f64_e32 v[12:13], v[169:170], v[183:184]
	v_fma_f64 v[169:170], v[4:5], v[18:19], v[171:172]
	v_fma_f64 v[18:19], v[2:3], v[18:19], -v[20:21]
	v_fma_f64 v[8:9], v[8:9], v[22:23], v[16:17]
	v_fma_f64 v[6:7], v[6:7], v[22:23], -v[24:25]
	v_add_f64_e32 v[14:15], v[10:11], v[14:15]
	v_add_f64_e32 v[20:21], v[12:13], v[179:180]
	ds_load_b128 v[2:5], v1 offset:1872
	ds_load_b128 v[10:13], v1 offset:1888
	s_wait_loadcnt_dscnt 0x501
	v_mul_f64_e32 v[171:172], v[2:3], v[28:29]
	v_mul_f64_e32 v[28:29], v[4:5], v[28:29]
	v_add_f64_e32 v[14:15], v[14:15], v[18:19]
	v_add_f64_e32 v[16:17], v[20:21], v[169:170]
	s_wait_loadcnt_dscnt 0x400
	v_mul_f64_e32 v[18:19], v[10:11], v[32:33]
	v_mul_f64_e32 v[20:21], v[12:13], v[32:33]
	v_fma_f64 v[22:23], v[4:5], v[26:27], v[171:172]
	v_fma_f64 v[24:25], v[2:3], v[26:27], -v[28:29]
	v_add_f64_e32 v[14:15], v[14:15], v[6:7]
	v_add_f64_e32 v[16:17], v[16:17], v[8:9]
	ds_load_b128 v[2:5], v1 offset:1904
	ds_load_b128 v[6:9], v1 offset:1920
	v_fma_f64 v[12:13], v[12:13], v[30:31], v[18:19]
	v_fma_f64 v[10:11], v[10:11], v[30:31], -v[20:21]
	s_wait_loadcnt_dscnt 0x301
	v_mul_f64_e32 v[26:27], v[2:3], v[40:41]
	v_mul_f64_e32 v[28:29], v[4:5], v[40:41]
	s_wait_loadcnt_dscnt 0x100
	v_mul_f64_e32 v[18:19], v[6:7], v[175:176]
	v_mul_f64_e32 v[20:21], v[8:9], v[175:176]
	v_add_f64_e32 v[14:15], v[14:15], v[24:25]
	v_add_f64_e32 v[16:17], v[16:17], v[22:23]
	v_fma_f64 v[22:23], v[4:5], v[38:39], v[26:27]
	v_fma_f64 v[24:25], v[2:3], v[38:39], -v[28:29]
	ds_load_b128 v[2:5], v1 offset:1936
	v_fma_f64 v[8:9], v[8:9], v[173:174], v[18:19]
	v_fma_f64 v[6:7], v[6:7], v[173:174], -v[20:21]
	v_add_f64_e32 v[10:11], v[14:15], v[10:11]
	v_add_f64_e32 v[12:13], v[16:17], v[12:13]
	s_wait_loadcnt_dscnt 0x0
	v_mul_f64_e32 v[14:15], v[2:3], v[36:37]
	v_mul_f64_e32 v[16:17], v[4:5], v[36:37]
	s_delay_alu instid0(VALU_DEP_4) | instskip(NEXT) | instid1(VALU_DEP_4)
	v_add_f64_e32 v[10:11], v[10:11], v[24:25]
	v_add_f64_e32 v[12:13], v[12:13], v[22:23]
	s_delay_alu instid0(VALU_DEP_4) | instskip(NEXT) | instid1(VALU_DEP_4)
	v_fma_f64 v[4:5], v[4:5], v[34:35], v[14:15]
	v_fma_f64 v[2:3], v[2:3], v[34:35], -v[16:17]
	s_delay_alu instid0(VALU_DEP_4) | instskip(NEXT) | instid1(VALU_DEP_4)
	v_add_f64_e32 v[6:7], v[10:11], v[6:7]
	v_add_f64_e32 v[8:9], v[12:13], v[8:9]
	s_delay_alu instid0(VALU_DEP_2) | instskip(NEXT) | instid1(VALU_DEP_2)
	v_add_f64_e32 v[2:3], v[6:7], v[2:3]
	v_add_f64_e32 v[4:5], v[8:9], v[4:5]
	s_delay_alu instid0(VALU_DEP_2) | instskip(NEXT) | instid1(VALU_DEP_2)
	v_add_f64_e64 v[2:3], v[165:166], -v[2:3]
	v_add_f64_e64 v[4:5], v[167:168], -v[4:5]
	scratch_store_b128 off, v[2:5], off offset:800
	v_cmpx_lt_u32_e32 48, v0
	s_cbranch_execz .LBB60_295
; %bb.294:
	scratch_load_b128 v[5:8], off, s28
	v_dual_mov_b32 v2, v1 :: v_dual_mov_b32 v3, v1
	v_mov_b32_e32 v4, v1
	scratch_store_b128 off, v[1:4], off offset:784
	s_wait_loadcnt 0x0
	ds_store_b128 v164, v[5:8]
.LBB60_295:
	s_wait_alu 0xfffe
	s_or_b32 exec_lo, exec_lo, s0
	s_wait_storecnt_dscnt 0x0
	s_barrier_signal -1
	s_barrier_wait -1
	global_inv scope:SCOPE_SE
	s_clause 0x8
	scratch_load_b128 v[2:5], off, off offset:800
	scratch_load_b128 v[6:9], off, off offset:816
	scratch_load_b128 v[10:13], off, off offset:832
	scratch_load_b128 v[14:17], off, off offset:848
	scratch_load_b128 v[18:21], off, off offset:864
	scratch_load_b128 v[22:25], off, off offset:880
	scratch_load_b128 v[26:29], off, off offset:896
	scratch_load_b128 v[30:33], off, off offset:912
	scratch_load_b128 v[34:37], off, off offset:928
	ds_load_b128 v[38:41], v1 offset:1760
	ds_load_b128 v[165:168], v1 offset:1776
	s_clause 0x1
	scratch_load_b128 v[169:172], off, off offset:784
	scratch_load_b128 v[173:176], off, off offset:944
	s_mov_b32 s0, exec_lo
	s_wait_loadcnt_dscnt 0xa01
	v_mul_f64_e32 v[177:178], v[40:41], v[4:5]
	v_mul_f64_e32 v[4:5], v[38:39], v[4:5]
	s_wait_loadcnt_dscnt 0x900
	v_mul_f64_e32 v[181:182], v[165:166], v[8:9]
	v_mul_f64_e32 v[8:9], v[167:168], v[8:9]
	s_delay_alu instid0(VALU_DEP_4) | instskip(NEXT) | instid1(VALU_DEP_4)
	v_fma_f64 v[183:184], v[38:39], v[2:3], -v[177:178]
	v_fma_f64 v[185:186], v[40:41], v[2:3], v[4:5]
	ds_load_b128 v[2:5], v1 offset:1792
	ds_load_b128 v[177:180], v1 offset:1808
	scratch_load_b128 v[38:41], off, off offset:960
	v_fma_f64 v[167:168], v[167:168], v[6:7], v[181:182]
	v_fma_f64 v[165:166], v[165:166], v[6:7], -v[8:9]
	scratch_load_b128 v[6:9], off, off offset:976
	s_wait_loadcnt_dscnt 0xa01
	v_mul_f64_e32 v[187:188], v[2:3], v[12:13]
	v_mul_f64_e32 v[12:13], v[4:5], v[12:13]
	v_add_f64_e32 v[181:182], 0, v[183:184]
	v_add_f64_e32 v[183:184], 0, v[185:186]
	s_wait_loadcnt_dscnt 0x900
	v_mul_f64_e32 v[185:186], v[177:178], v[16:17]
	v_mul_f64_e32 v[16:17], v[179:180], v[16:17]
	v_fma_f64 v[187:188], v[4:5], v[10:11], v[187:188]
	v_fma_f64 v[189:190], v[2:3], v[10:11], -v[12:13]
	ds_load_b128 v[2:5], v1 offset:1824
	ds_load_b128 v[10:13], v1 offset:1840
	v_add_f64_e32 v[165:166], v[181:182], v[165:166]
	v_add_f64_e32 v[167:168], v[183:184], v[167:168]
	v_fma_f64 v[179:180], v[179:180], v[14:15], v[185:186]
	v_fma_f64 v[14:15], v[177:178], v[14:15], -v[16:17]
	s_wait_loadcnt_dscnt 0x801
	v_mul_f64_e32 v[181:182], v[2:3], v[20:21]
	v_mul_f64_e32 v[20:21], v[4:5], v[20:21]
	v_add_f64_e32 v[16:17], v[165:166], v[189:190]
	v_add_f64_e32 v[165:166], v[167:168], v[187:188]
	s_wait_loadcnt_dscnt 0x700
	v_mul_f64_e32 v[167:168], v[10:11], v[24:25]
	v_mul_f64_e32 v[24:25], v[12:13], v[24:25]
	v_fma_f64 v[177:178], v[4:5], v[18:19], v[181:182]
	v_fma_f64 v[18:19], v[2:3], v[18:19], -v[20:21]
	v_add_f64_e32 v[20:21], v[16:17], v[14:15]
	v_add_f64_e32 v[165:166], v[165:166], v[179:180]
	ds_load_b128 v[2:5], v1 offset:1856
	ds_load_b128 v[14:17], v1 offset:1872
	v_fma_f64 v[12:13], v[12:13], v[22:23], v[167:168]
	v_fma_f64 v[10:11], v[10:11], v[22:23], -v[24:25]
	s_wait_loadcnt_dscnt 0x601
	v_mul_f64_e32 v[179:180], v[2:3], v[28:29]
	v_mul_f64_e32 v[28:29], v[4:5], v[28:29]
	s_wait_loadcnt_dscnt 0x500
	v_mul_f64_e32 v[22:23], v[14:15], v[32:33]
	v_mul_f64_e32 v[24:25], v[16:17], v[32:33]
	v_add_f64_e32 v[18:19], v[20:21], v[18:19]
	v_add_f64_e32 v[20:21], v[165:166], v[177:178]
	v_fma_f64 v[32:33], v[4:5], v[26:27], v[179:180]
	v_fma_f64 v[26:27], v[2:3], v[26:27], -v[28:29]
	v_fma_f64 v[16:17], v[16:17], v[30:31], v[22:23]
	v_fma_f64 v[14:15], v[14:15], v[30:31], -v[24:25]
	v_add_f64_e32 v[18:19], v[18:19], v[10:11]
	v_add_f64_e32 v[20:21], v[20:21], v[12:13]
	ds_load_b128 v[2:5], v1 offset:1888
	ds_load_b128 v[10:13], v1 offset:1904
	s_wait_loadcnt_dscnt 0x401
	v_mul_f64_e32 v[28:29], v[2:3], v[36:37]
	v_mul_f64_e32 v[36:37], v[4:5], v[36:37]
	s_wait_loadcnt_dscnt 0x200
	v_mul_f64_e32 v[22:23], v[10:11], v[175:176]
	v_mul_f64_e32 v[24:25], v[12:13], v[175:176]
	v_add_f64_e32 v[18:19], v[18:19], v[26:27]
	v_add_f64_e32 v[20:21], v[20:21], v[32:33]
	v_fma_f64 v[26:27], v[4:5], v[34:35], v[28:29]
	v_fma_f64 v[28:29], v[2:3], v[34:35], -v[36:37]
	v_fma_f64 v[12:13], v[12:13], v[173:174], v[22:23]
	v_fma_f64 v[10:11], v[10:11], v[173:174], -v[24:25]
	v_add_f64_e32 v[18:19], v[18:19], v[14:15]
	v_add_f64_e32 v[20:21], v[20:21], v[16:17]
	ds_load_b128 v[2:5], v1 offset:1920
	ds_load_b128 v[14:17], v1 offset:1936
	s_wait_loadcnt_dscnt 0x101
	v_mul_f64_e32 v[30:31], v[2:3], v[40:41]
	v_mul_f64_e32 v[32:33], v[4:5], v[40:41]
	s_wait_loadcnt_dscnt 0x0
	v_mul_f64_e32 v[22:23], v[14:15], v[8:9]
	v_mul_f64_e32 v[8:9], v[16:17], v[8:9]
	v_add_f64_e32 v[18:19], v[18:19], v[28:29]
	v_add_f64_e32 v[20:21], v[20:21], v[26:27]
	v_fma_f64 v[4:5], v[4:5], v[38:39], v[30:31]
	v_fma_f64 v[1:2], v[2:3], v[38:39], -v[32:33]
	v_fma_f64 v[16:17], v[16:17], v[6:7], v[22:23]
	v_fma_f64 v[6:7], v[14:15], v[6:7], -v[8:9]
	v_add_f64_e32 v[10:11], v[18:19], v[10:11]
	v_add_f64_e32 v[12:13], v[20:21], v[12:13]
	s_delay_alu instid0(VALU_DEP_2) | instskip(NEXT) | instid1(VALU_DEP_2)
	v_add_f64_e32 v[1:2], v[10:11], v[1:2]
	v_add_f64_e32 v[3:4], v[12:13], v[4:5]
	s_delay_alu instid0(VALU_DEP_2) | instskip(NEXT) | instid1(VALU_DEP_2)
	;; [unrolled: 3-line block ×3, first 2 shown]
	v_add_f64_e64 v[1:2], v[169:170], -v[1:2]
	v_add_f64_e64 v[3:4], v[171:172], -v[3:4]
	scratch_store_b128 off, v[1:4], off offset:784
	v_cmpx_lt_u32_e32 47, v0
	s_cbranch_execz .LBB60_297
; %bb.296:
	scratch_load_b128 v[1:4], off, s27
	v_mov_b32_e32 v5, 0
	s_delay_alu instid0(VALU_DEP_1)
	v_dual_mov_b32 v6, v5 :: v_dual_mov_b32 v7, v5
	v_mov_b32_e32 v8, v5
	scratch_store_b128 off, v[5:8], off offset:768
	s_wait_loadcnt 0x0
	ds_store_b128 v164, v[1:4]
.LBB60_297:
	s_wait_alu 0xfffe
	s_or_b32 exec_lo, exec_lo, s0
	s_wait_storecnt_dscnt 0x0
	s_barrier_signal -1
	s_barrier_wait -1
	global_inv scope:SCOPE_SE
	s_clause 0x7
	scratch_load_b128 v[2:5], off, off offset:784
	scratch_load_b128 v[6:9], off, off offset:800
	;; [unrolled: 1-line block ×8, first 2 shown]
	v_mov_b32_e32 v1, 0
	s_clause 0x1
	scratch_load_b128 v[38:41], off, off offset:912
	scratch_load_b128 v[169:172], off, off offset:928
	s_mov_b32 s0, exec_lo
	ds_load_b128 v[34:37], v1 offset:1744
	ds_load_b128 v[165:168], v1 offset:1760
	s_wait_loadcnt_dscnt 0x901
	v_mul_f64_e32 v[173:174], v[36:37], v[4:5]
	v_mul_f64_e32 v[4:5], v[34:35], v[4:5]
	s_wait_loadcnt_dscnt 0x800
	v_mul_f64_e32 v[175:176], v[165:166], v[8:9]
	v_mul_f64_e32 v[8:9], v[167:168], v[8:9]
	s_delay_alu instid0(VALU_DEP_4) | instskip(NEXT) | instid1(VALU_DEP_4)
	v_fma_f64 v[173:174], v[34:35], v[2:3], -v[173:174]
	v_fma_f64 v[177:178], v[36:37], v[2:3], v[4:5]
	ds_load_b128 v[2:5], v1 offset:1776
	scratch_load_b128 v[34:37], off, off offset:944
	v_fma_f64 v[175:176], v[167:168], v[6:7], v[175:176]
	v_fma_f64 v[181:182], v[165:166], v[6:7], -v[8:9]
	ds_load_b128 v[6:9], v1 offset:1792
	scratch_load_b128 v[165:168], off, off offset:960
	s_wait_loadcnt_dscnt 0x901
	v_mul_f64_e32 v[179:180], v[2:3], v[12:13]
	v_mul_f64_e32 v[12:13], v[4:5], v[12:13]
	s_wait_loadcnt_dscnt 0x800
	v_mul_f64_e32 v[183:184], v[6:7], v[16:17]
	v_mul_f64_e32 v[16:17], v[8:9], v[16:17]
	v_add_f64_e32 v[173:174], 0, v[173:174]
	v_add_f64_e32 v[177:178], 0, v[177:178]
	v_fma_f64 v[179:180], v[4:5], v[10:11], v[179:180]
	v_fma_f64 v[185:186], v[2:3], v[10:11], -v[12:13]
	ds_load_b128 v[2:5], v1 offset:1808
	scratch_load_b128 v[10:13], off, off offset:976
	v_add_f64_e32 v[173:174], v[173:174], v[181:182]
	v_add_f64_e32 v[175:176], v[177:178], v[175:176]
	v_fma_f64 v[181:182], v[8:9], v[14:15], v[183:184]
	v_fma_f64 v[14:15], v[6:7], v[14:15], -v[16:17]
	ds_load_b128 v[6:9], v1 offset:1824
	s_wait_loadcnt_dscnt 0x801
	v_mul_f64_e32 v[177:178], v[2:3], v[20:21]
	v_mul_f64_e32 v[20:21], v[4:5], v[20:21]
	v_add_f64_e32 v[16:17], v[173:174], v[185:186]
	v_add_f64_e32 v[173:174], v[175:176], v[179:180]
	s_wait_loadcnt_dscnt 0x700
	v_mul_f64_e32 v[175:176], v[6:7], v[24:25]
	v_mul_f64_e32 v[24:25], v[8:9], v[24:25]
	v_fma_f64 v[177:178], v[4:5], v[18:19], v[177:178]
	v_fma_f64 v[18:19], v[2:3], v[18:19], -v[20:21]
	ds_load_b128 v[2:5], v1 offset:1840
	v_add_f64_e32 v[14:15], v[16:17], v[14:15]
	v_add_f64_e32 v[16:17], v[173:174], v[181:182]
	v_fma_f64 v[173:174], v[8:9], v[22:23], v[175:176]
	v_fma_f64 v[22:23], v[6:7], v[22:23], -v[24:25]
	ds_load_b128 v[6:9], v1 offset:1856
	s_wait_loadcnt_dscnt 0x601
	v_mul_f64_e32 v[20:21], v[2:3], v[28:29]
	v_mul_f64_e32 v[28:29], v[4:5], v[28:29]
	s_wait_loadcnt_dscnt 0x500
	v_mul_f64_e32 v[175:176], v[6:7], v[32:33]
	v_mul_f64_e32 v[32:33], v[8:9], v[32:33]
	v_add_f64_e32 v[18:19], v[14:15], v[18:19]
	v_add_f64_e32 v[24:25], v[16:17], v[177:178]
	scratch_load_b128 v[14:17], off, off offset:768
	v_fma_f64 v[20:21], v[4:5], v[26:27], v[20:21]
	v_fma_f64 v[26:27], v[2:3], v[26:27], -v[28:29]
	ds_load_b128 v[2:5], v1 offset:1872
	s_wait_loadcnt_dscnt 0x500
	v_mul_f64_e32 v[28:29], v[4:5], v[40:41]
	v_add_f64_e32 v[18:19], v[18:19], v[22:23]
	v_add_f64_e32 v[22:23], v[24:25], v[173:174]
	v_mul_f64_e32 v[24:25], v[2:3], v[40:41]
	v_fma_f64 v[40:41], v[8:9], v[30:31], v[175:176]
	v_fma_f64 v[30:31], v[6:7], v[30:31], -v[32:33]
	ds_load_b128 v[6:9], v1 offset:1888
	v_fma_f64 v[28:29], v[2:3], v[38:39], -v[28:29]
	v_add_f64_e32 v[18:19], v[18:19], v[26:27]
	v_add_f64_e32 v[20:21], v[22:23], v[20:21]
	v_fma_f64 v[24:25], v[4:5], v[38:39], v[24:25]
	ds_load_b128 v[2:5], v1 offset:1904
	s_wait_loadcnt_dscnt 0x401
	v_mul_f64_e32 v[22:23], v[6:7], v[171:172]
	v_mul_f64_e32 v[26:27], v[8:9], v[171:172]
	v_add_f64_e32 v[18:19], v[18:19], v[30:31]
	v_add_f64_e32 v[20:21], v[20:21], v[40:41]
	s_delay_alu instid0(VALU_DEP_4) | instskip(NEXT) | instid1(VALU_DEP_4)
	v_fma_f64 v[22:23], v[8:9], v[169:170], v[22:23]
	v_fma_f64 v[26:27], v[6:7], v[169:170], -v[26:27]
	ds_load_b128 v[6:9], v1 offset:1920
	s_wait_loadcnt_dscnt 0x301
	v_mul_f64_e32 v[30:31], v[2:3], v[36:37]
	v_mul_f64_e32 v[32:33], v[4:5], v[36:37]
	v_add_f64_e32 v[18:19], v[18:19], v[28:29]
	v_add_f64_e32 v[20:21], v[20:21], v[24:25]
	s_delay_alu instid0(VALU_DEP_4) | instskip(NEXT) | instid1(VALU_DEP_4)
	v_fma_f64 v[30:31], v[4:5], v[34:35], v[30:31]
	v_fma_f64 v[32:33], v[2:3], v[34:35], -v[32:33]
	ds_load_b128 v[2:5], v1 offset:1936
	s_wait_loadcnt_dscnt 0x201
	v_mul_f64_e32 v[24:25], v[6:7], v[167:168]
	v_mul_f64_e32 v[28:29], v[8:9], v[167:168]
	v_add_f64_e32 v[18:19], v[18:19], v[26:27]
	v_add_f64_e32 v[20:21], v[20:21], v[22:23]
	s_wait_loadcnt_dscnt 0x100
	v_mul_f64_e32 v[22:23], v[2:3], v[12:13]
	v_mul_f64_e32 v[12:13], v[4:5], v[12:13]
	v_fma_f64 v[8:9], v[8:9], v[165:166], v[24:25]
	v_fma_f64 v[6:7], v[6:7], v[165:166], -v[28:29]
	v_add_f64_e32 v[18:19], v[18:19], v[32:33]
	v_add_f64_e32 v[20:21], v[20:21], v[30:31]
	v_fma_f64 v[4:5], v[4:5], v[10:11], v[22:23]
	v_fma_f64 v[2:3], v[2:3], v[10:11], -v[12:13]
	s_delay_alu instid0(VALU_DEP_4) | instskip(NEXT) | instid1(VALU_DEP_4)
	v_add_f64_e32 v[6:7], v[18:19], v[6:7]
	v_add_f64_e32 v[8:9], v[20:21], v[8:9]
	s_delay_alu instid0(VALU_DEP_2) | instskip(NEXT) | instid1(VALU_DEP_2)
	v_add_f64_e32 v[2:3], v[6:7], v[2:3]
	v_add_f64_e32 v[4:5], v[8:9], v[4:5]
	s_wait_loadcnt 0x0
	s_delay_alu instid0(VALU_DEP_2) | instskip(NEXT) | instid1(VALU_DEP_2)
	v_add_f64_e64 v[2:3], v[14:15], -v[2:3]
	v_add_f64_e64 v[4:5], v[16:17], -v[4:5]
	scratch_store_b128 off, v[2:5], off offset:768
	v_cmpx_lt_u32_e32 46, v0
	s_cbranch_execz .LBB60_299
; %bb.298:
	scratch_load_b128 v[5:8], off, s15
	v_dual_mov_b32 v2, v1 :: v_dual_mov_b32 v3, v1
	v_mov_b32_e32 v4, v1
	scratch_store_b128 off, v[1:4], off offset:752
	s_wait_loadcnt 0x0
	ds_store_b128 v164, v[5:8]
.LBB60_299:
	s_wait_alu 0xfffe
	s_or_b32 exec_lo, exec_lo, s0
	s_wait_storecnt_dscnt 0x0
	s_barrier_signal -1
	s_barrier_wait -1
	global_inv scope:SCOPE_SE
	s_clause 0x7
	scratch_load_b128 v[2:5], off, off offset:768
	scratch_load_b128 v[6:9], off, off offset:784
	;; [unrolled: 1-line block ×8, first 2 shown]
	ds_load_b128 v[34:37], v1 offset:1728
	ds_load_b128 v[165:168], v1 offset:1744
	s_clause 0x1
	scratch_load_b128 v[38:41], off, off offset:896
	scratch_load_b128 v[169:172], off, off offset:912
	s_mov_b32 s0, exec_lo
	s_wait_loadcnt_dscnt 0x901
	v_mul_f64_e32 v[173:174], v[36:37], v[4:5]
	v_mul_f64_e32 v[4:5], v[34:35], v[4:5]
	s_wait_loadcnt_dscnt 0x800
	v_mul_f64_e32 v[175:176], v[165:166], v[8:9]
	v_mul_f64_e32 v[8:9], v[167:168], v[8:9]
	s_delay_alu instid0(VALU_DEP_4) | instskip(NEXT) | instid1(VALU_DEP_4)
	v_fma_f64 v[173:174], v[34:35], v[2:3], -v[173:174]
	v_fma_f64 v[177:178], v[36:37], v[2:3], v[4:5]
	ds_load_b128 v[2:5], v1 offset:1760
	scratch_load_b128 v[34:37], off, off offset:928
	v_fma_f64 v[175:176], v[167:168], v[6:7], v[175:176]
	v_fma_f64 v[181:182], v[165:166], v[6:7], -v[8:9]
	ds_load_b128 v[6:9], v1 offset:1776
	scratch_load_b128 v[165:168], off, off offset:944
	s_wait_loadcnt_dscnt 0x901
	v_mul_f64_e32 v[179:180], v[2:3], v[12:13]
	v_mul_f64_e32 v[12:13], v[4:5], v[12:13]
	s_wait_loadcnt_dscnt 0x800
	v_mul_f64_e32 v[183:184], v[6:7], v[16:17]
	v_mul_f64_e32 v[16:17], v[8:9], v[16:17]
	v_add_f64_e32 v[173:174], 0, v[173:174]
	v_add_f64_e32 v[177:178], 0, v[177:178]
	v_fma_f64 v[179:180], v[4:5], v[10:11], v[179:180]
	v_fma_f64 v[185:186], v[2:3], v[10:11], -v[12:13]
	ds_load_b128 v[2:5], v1 offset:1792
	scratch_load_b128 v[10:13], off, off offset:960
	v_add_f64_e32 v[173:174], v[173:174], v[181:182]
	v_add_f64_e32 v[175:176], v[177:178], v[175:176]
	v_fma_f64 v[181:182], v[8:9], v[14:15], v[183:184]
	v_fma_f64 v[183:184], v[6:7], v[14:15], -v[16:17]
	ds_load_b128 v[6:9], v1 offset:1808
	scratch_load_b128 v[14:17], off, off offset:976
	s_wait_loadcnt_dscnt 0x901
	v_mul_f64_e32 v[177:178], v[2:3], v[20:21]
	v_mul_f64_e32 v[20:21], v[4:5], v[20:21]
	v_add_f64_e32 v[173:174], v[173:174], v[185:186]
	v_add_f64_e32 v[175:176], v[175:176], v[179:180]
	s_wait_loadcnt_dscnt 0x800
	v_mul_f64_e32 v[179:180], v[6:7], v[24:25]
	v_mul_f64_e32 v[24:25], v[8:9], v[24:25]
	v_fma_f64 v[177:178], v[4:5], v[18:19], v[177:178]
	v_fma_f64 v[18:19], v[2:3], v[18:19], -v[20:21]
	ds_load_b128 v[2:5], v1 offset:1824
	v_add_f64_e32 v[20:21], v[173:174], v[183:184]
	v_add_f64_e32 v[173:174], v[175:176], v[181:182]
	v_fma_f64 v[179:180], v[8:9], v[22:23], v[179:180]
	v_fma_f64 v[22:23], v[6:7], v[22:23], -v[24:25]
	ds_load_b128 v[6:9], v1 offset:1840
	s_wait_loadcnt_dscnt 0x701
	v_mul_f64_e32 v[175:176], v[2:3], v[28:29]
	v_mul_f64_e32 v[28:29], v[4:5], v[28:29]
	s_wait_loadcnt_dscnt 0x600
	v_mul_f64_e32 v[24:25], v[6:7], v[32:33]
	v_mul_f64_e32 v[32:33], v[8:9], v[32:33]
	v_add_f64_e32 v[18:19], v[20:21], v[18:19]
	v_add_f64_e32 v[20:21], v[173:174], v[177:178]
	v_fma_f64 v[173:174], v[4:5], v[26:27], v[175:176]
	v_fma_f64 v[26:27], v[2:3], v[26:27], -v[28:29]
	ds_load_b128 v[2:5], v1 offset:1856
	v_fma_f64 v[24:25], v[8:9], v[30:31], v[24:25]
	v_fma_f64 v[30:31], v[6:7], v[30:31], -v[32:33]
	ds_load_b128 v[6:9], v1 offset:1872
	v_add_f64_e32 v[22:23], v[18:19], v[22:23]
	v_add_f64_e32 v[28:29], v[20:21], v[179:180]
	scratch_load_b128 v[18:21], off, off offset:752
	s_wait_loadcnt_dscnt 0x601
	v_mul_f64_e32 v[175:176], v[2:3], v[40:41]
	v_mul_f64_e32 v[40:41], v[4:5], v[40:41]
	s_wait_loadcnt_dscnt 0x500
	v_mul_f64_e32 v[32:33], v[8:9], v[171:172]
	v_add_f64_e32 v[22:23], v[22:23], v[26:27]
	v_add_f64_e32 v[26:27], v[28:29], v[173:174]
	v_mul_f64_e32 v[28:29], v[6:7], v[171:172]
	v_fma_f64 v[171:172], v[4:5], v[38:39], v[175:176]
	v_fma_f64 v[38:39], v[2:3], v[38:39], -v[40:41]
	ds_load_b128 v[2:5], v1 offset:1888
	v_fma_f64 v[32:33], v[6:7], v[169:170], -v[32:33]
	v_add_f64_e32 v[22:23], v[22:23], v[30:31]
	v_add_f64_e32 v[24:25], v[26:27], v[24:25]
	v_fma_f64 v[28:29], v[8:9], v[169:170], v[28:29]
	ds_load_b128 v[6:9], v1 offset:1904
	s_wait_loadcnt_dscnt 0x401
	v_mul_f64_e32 v[26:27], v[2:3], v[36:37]
	v_mul_f64_e32 v[30:31], v[4:5], v[36:37]
	s_wait_loadcnt_dscnt 0x300
	v_mul_f64_e32 v[36:37], v[6:7], v[167:168]
	v_add_f64_e32 v[22:23], v[22:23], v[38:39]
	v_add_f64_e32 v[24:25], v[24:25], v[171:172]
	v_mul_f64_e32 v[38:39], v[8:9], v[167:168]
	v_fma_f64 v[26:27], v[4:5], v[34:35], v[26:27]
	v_fma_f64 v[30:31], v[2:3], v[34:35], -v[30:31]
	ds_load_b128 v[2:5], v1 offset:1920
	v_add_f64_e32 v[22:23], v[22:23], v[32:33]
	v_add_f64_e32 v[24:25], v[24:25], v[28:29]
	v_fma_f64 v[32:33], v[8:9], v[165:166], v[36:37]
	v_fma_f64 v[34:35], v[6:7], v[165:166], -v[38:39]
	ds_load_b128 v[6:9], v1 offset:1936
	s_wait_loadcnt_dscnt 0x201
	v_mul_f64_e32 v[28:29], v[2:3], v[12:13]
	v_mul_f64_e32 v[12:13], v[4:5], v[12:13]
	v_add_f64_e32 v[22:23], v[22:23], v[30:31]
	v_add_f64_e32 v[24:25], v[24:25], v[26:27]
	s_wait_loadcnt_dscnt 0x100
	v_mul_f64_e32 v[26:27], v[6:7], v[16:17]
	v_mul_f64_e32 v[16:17], v[8:9], v[16:17]
	v_fma_f64 v[4:5], v[4:5], v[10:11], v[28:29]
	v_fma_f64 v[1:2], v[2:3], v[10:11], -v[12:13]
	v_add_f64_e32 v[10:11], v[22:23], v[34:35]
	v_add_f64_e32 v[12:13], v[24:25], v[32:33]
	v_fma_f64 v[8:9], v[8:9], v[14:15], v[26:27]
	v_fma_f64 v[6:7], v[6:7], v[14:15], -v[16:17]
	s_delay_alu instid0(VALU_DEP_4) | instskip(NEXT) | instid1(VALU_DEP_4)
	v_add_f64_e32 v[1:2], v[10:11], v[1:2]
	v_add_f64_e32 v[3:4], v[12:13], v[4:5]
	s_delay_alu instid0(VALU_DEP_2) | instskip(NEXT) | instid1(VALU_DEP_2)
	v_add_f64_e32 v[1:2], v[1:2], v[6:7]
	v_add_f64_e32 v[3:4], v[3:4], v[8:9]
	s_wait_loadcnt 0x0
	s_delay_alu instid0(VALU_DEP_2) | instskip(NEXT) | instid1(VALU_DEP_2)
	v_add_f64_e64 v[1:2], v[18:19], -v[1:2]
	v_add_f64_e64 v[3:4], v[20:21], -v[3:4]
	scratch_store_b128 off, v[1:4], off offset:752
	v_cmpx_lt_u32_e32 45, v0
	s_cbranch_execz .LBB60_301
; %bb.300:
	scratch_load_b128 v[1:4], off, s24
	v_mov_b32_e32 v5, 0
	s_delay_alu instid0(VALU_DEP_1)
	v_dual_mov_b32 v6, v5 :: v_dual_mov_b32 v7, v5
	v_mov_b32_e32 v8, v5
	scratch_store_b128 off, v[5:8], off offset:736
	s_wait_loadcnt 0x0
	ds_store_b128 v164, v[1:4]
.LBB60_301:
	s_wait_alu 0xfffe
	s_or_b32 exec_lo, exec_lo, s0
	s_wait_storecnt_dscnt 0x0
	s_barrier_signal -1
	s_barrier_wait -1
	global_inv scope:SCOPE_SE
	s_clause 0x7
	scratch_load_b128 v[2:5], off, off offset:752
	scratch_load_b128 v[6:9], off, off offset:768
	;; [unrolled: 1-line block ×8, first 2 shown]
	v_mov_b32_e32 v1, 0
	s_clause 0x1
	scratch_load_b128 v[38:41], off, off offset:880
	scratch_load_b128 v[169:172], off, off offset:896
	s_mov_b32 s0, exec_lo
	ds_load_b128 v[34:37], v1 offset:1712
	ds_load_b128 v[165:168], v1 offset:1728
	s_wait_loadcnt_dscnt 0x901
	v_mul_f64_e32 v[173:174], v[36:37], v[4:5]
	v_mul_f64_e32 v[4:5], v[34:35], v[4:5]
	s_wait_loadcnt_dscnt 0x800
	v_mul_f64_e32 v[175:176], v[165:166], v[8:9]
	v_mul_f64_e32 v[8:9], v[167:168], v[8:9]
	s_delay_alu instid0(VALU_DEP_4) | instskip(NEXT) | instid1(VALU_DEP_4)
	v_fma_f64 v[173:174], v[34:35], v[2:3], -v[173:174]
	v_fma_f64 v[177:178], v[36:37], v[2:3], v[4:5]
	ds_load_b128 v[2:5], v1 offset:1744
	scratch_load_b128 v[34:37], off, off offset:912
	v_fma_f64 v[175:176], v[167:168], v[6:7], v[175:176]
	v_fma_f64 v[181:182], v[165:166], v[6:7], -v[8:9]
	ds_load_b128 v[6:9], v1 offset:1760
	scratch_load_b128 v[165:168], off, off offset:928
	s_wait_loadcnt_dscnt 0x901
	v_mul_f64_e32 v[179:180], v[2:3], v[12:13]
	v_mul_f64_e32 v[12:13], v[4:5], v[12:13]
	s_wait_loadcnt_dscnt 0x800
	v_mul_f64_e32 v[183:184], v[6:7], v[16:17]
	v_mul_f64_e32 v[16:17], v[8:9], v[16:17]
	v_add_f64_e32 v[173:174], 0, v[173:174]
	v_add_f64_e32 v[177:178], 0, v[177:178]
	v_fma_f64 v[179:180], v[4:5], v[10:11], v[179:180]
	v_fma_f64 v[185:186], v[2:3], v[10:11], -v[12:13]
	ds_load_b128 v[2:5], v1 offset:1776
	scratch_load_b128 v[10:13], off, off offset:944
	v_add_f64_e32 v[173:174], v[173:174], v[181:182]
	v_add_f64_e32 v[175:176], v[177:178], v[175:176]
	v_fma_f64 v[181:182], v[8:9], v[14:15], v[183:184]
	v_fma_f64 v[183:184], v[6:7], v[14:15], -v[16:17]
	ds_load_b128 v[6:9], v1 offset:1792
	scratch_load_b128 v[14:17], off, off offset:960
	s_wait_loadcnt_dscnt 0x901
	v_mul_f64_e32 v[177:178], v[2:3], v[20:21]
	v_mul_f64_e32 v[20:21], v[4:5], v[20:21]
	v_add_f64_e32 v[173:174], v[173:174], v[185:186]
	v_add_f64_e32 v[175:176], v[175:176], v[179:180]
	s_wait_loadcnt_dscnt 0x800
	v_mul_f64_e32 v[179:180], v[6:7], v[24:25]
	v_mul_f64_e32 v[24:25], v[8:9], v[24:25]
	v_fma_f64 v[177:178], v[4:5], v[18:19], v[177:178]
	v_fma_f64 v[185:186], v[2:3], v[18:19], -v[20:21]
	ds_load_b128 v[2:5], v1 offset:1808
	scratch_load_b128 v[18:21], off, off offset:976
	v_add_f64_e32 v[173:174], v[173:174], v[183:184]
	v_add_f64_e32 v[175:176], v[175:176], v[181:182]
	v_fma_f64 v[179:180], v[8:9], v[22:23], v[179:180]
	v_fma_f64 v[22:23], v[6:7], v[22:23], -v[24:25]
	ds_load_b128 v[6:9], v1 offset:1824
	s_wait_loadcnt_dscnt 0x801
	v_mul_f64_e32 v[181:182], v[2:3], v[28:29]
	v_mul_f64_e32 v[28:29], v[4:5], v[28:29]
	v_add_f64_e32 v[24:25], v[173:174], v[185:186]
	v_add_f64_e32 v[173:174], v[175:176], v[177:178]
	s_wait_loadcnt_dscnt 0x700
	v_mul_f64_e32 v[175:176], v[6:7], v[32:33]
	v_mul_f64_e32 v[32:33], v[8:9], v[32:33]
	v_fma_f64 v[177:178], v[4:5], v[26:27], v[181:182]
	v_fma_f64 v[26:27], v[2:3], v[26:27], -v[28:29]
	ds_load_b128 v[2:5], v1 offset:1840
	v_add_f64_e32 v[22:23], v[24:25], v[22:23]
	v_add_f64_e32 v[24:25], v[173:174], v[179:180]
	v_fma_f64 v[173:174], v[8:9], v[30:31], v[175:176]
	v_fma_f64 v[30:31], v[6:7], v[30:31], -v[32:33]
	ds_load_b128 v[6:9], v1 offset:1856
	s_wait_loadcnt_dscnt 0x500
	v_mul_f64_e32 v[175:176], v[6:7], v[171:172]
	v_mul_f64_e32 v[171:172], v[8:9], v[171:172]
	v_add_f64_e32 v[26:27], v[22:23], v[26:27]
	v_add_f64_e32 v[32:33], v[24:25], v[177:178]
	scratch_load_b128 v[22:25], off, off offset:736
	v_mul_f64_e32 v[28:29], v[2:3], v[40:41]
	v_mul_f64_e32 v[40:41], v[4:5], v[40:41]
	v_add_f64_e32 v[26:27], v[26:27], v[30:31]
	v_add_f64_e32 v[30:31], v[32:33], v[173:174]
	s_delay_alu instid0(VALU_DEP_4) | instskip(NEXT) | instid1(VALU_DEP_4)
	v_fma_f64 v[28:29], v[4:5], v[38:39], v[28:29]
	v_fma_f64 v[38:39], v[2:3], v[38:39], -v[40:41]
	ds_load_b128 v[2:5], v1 offset:1872
	v_fma_f64 v[40:41], v[8:9], v[169:170], v[175:176]
	v_fma_f64 v[169:170], v[6:7], v[169:170], -v[171:172]
	ds_load_b128 v[6:9], v1 offset:1888
	s_wait_loadcnt_dscnt 0x501
	v_mul_f64_e32 v[32:33], v[2:3], v[36:37]
	v_mul_f64_e32 v[36:37], v[4:5], v[36:37]
	v_add_f64_e32 v[28:29], v[30:31], v[28:29]
	v_add_f64_e32 v[26:27], v[26:27], v[38:39]
	s_wait_loadcnt_dscnt 0x400
	v_mul_f64_e32 v[30:31], v[6:7], v[167:168]
	v_mul_f64_e32 v[38:39], v[8:9], v[167:168]
	v_fma_f64 v[32:33], v[4:5], v[34:35], v[32:33]
	v_fma_f64 v[34:35], v[2:3], v[34:35], -v[36:37]
	ds_load_b128 v[2:5], v1 offset:1904
	v_add_f64_e32 v[28:29], v[28:29], v[40:41]
	v_add_f64_e32 v[26:27], v[26:27], v[169:170]
	v_fma_f64 v[30:31], v[8:9], v[165:166], v[30:31]
	v_fma_f64 v[38:39], v[6:7], v[165:166], -v[38:39]
	ds_load_b128 v[6:9], v1 offset:1920
	s_wait_loadcnt_dscnt 0x301
	v_mul_f64_e32 v[36:37], v[2:3], v[12:13]
	v_mul_f64_e32 v[12:13], v[4:5], v[12:13]
	v_add_f64_e32 v[28:29], v[28:29], v[32:33]
	v_add_f64_e32 v[26:27], v[26:27], v[34:35]
	s_wait_loadcnt_dscnt 0x200
	v_mul_f64_e32 v[32:33], v[6:7], v[16:17]
	v_mul_f64_e32 v[16:17], v[8:9], v[16:17]
	v_fma_f64 v[34:35], v[4:5], v[10:11], v[36:37]
	v_fma_f64 v[10:11], v[2:3], v[10:11], -v[12:13]
	ds_load_b128 v[2:5], v1 offset:1936
	v_add_f64_e32 v[12:13], v[26:27], v[38:39]
	v_add_f64_e32 v[26:27], v[28:29], v[30:31]
	s_wait_loadcnt_dscnt 0x100
	v_mul_f64_e32 v[28:29], v[2:3], v[20:21]
	v_mul_f64_e32 v[20:21], v[4:5], v[20:21]
	v_fma_f64 v[8:9], v[8:9], v[14:15], v[32:33]
	v_fma_f64 v[6:7], v[6:7], v[14:15], -v[16:17]
	v_add_f64_e32 v[10:11], v[12:13], v[10:11]
	v_add_f64_e32 v[12:13], v[26:27], v[34:35]
	v_fma_f64 v[4:5], v[4:5], v[18:19], v[28:29]
	v_fma_f64 v[2:3], v[2:3], v[18:19], -v[20:21]
	s_delay_alu instid0(VALU_DEP_4) | instskip(NEXT) | instid1(VALU_DEP_4)
	v_add_f64_e32 v[6:7], v[10:11], v[6:7]
	v_add_f64_e32 v[8:9], v[12:13], v[8:9]
	s_delay_alu instid0(VALU_DEP_2) | instskip(NEXT) | instid1(VALU_DEP_2)
	v_add_f64_e32 v[2:3], v[6:7], v[2:3]
	v_add_f64_e32 v[4:5], v[8:9], v[4:5]
	s_wait_loadcnt 0x0
	s_delay_alu instid0(VALU_DEP_2) | instskip(NEXT) | instid1(VALU_DEP_2)
	v_add_f64_e64 v[2:3], v[22:23], -v[2:3]
	v_add_f64_e64 v[4:5], v[24:25], -v[4:5]
	scratch_store_b128 off, v[2:5], off offset:736
	v_cmpx_lt_u32_e32 44, v0
	s_cbranch_execz .LBB60_303
; %bb.302:
	scratch_load_b128 v[5:8], off, s25
	v_dual_mov_b32 v2, v1 :: v_dual_mov_b32 v3, v1
	v_mov_b32_e32 v4, v1
	scratch_store_b128 off, v[1:4], off offset:720
	s_wait_loadcnt 0x0
	ds_store_b128 v164, v[5:8]
.LBB60_303:
	s_wait_alu 0xfffe
	s_or_b32 exec_lo, exec_lo, s0
	s_wait_storecnt_dscnt 0x0
	s_barrier_signal -1
	s_barrier_wait -1
	global_inv scope:SCOPE_SE
	s_clause 0x7
	scratch_load_b128 v[2:5], off, off offset:736
	scratch_load_b128 v[6:9], off, off offset:752
	;; [unrolled: 1-line block ×8, first 2 shown]
	ds_load_b128 v[34:37], v1 offset:1696
	ds_load_b128 v[165:168], v1 offset:1712
	s_clause 0x1
	scratch_load_b128 v[38:41], off, off offset:864
	scratch_load_b128 v[169:172], off, off offset:880
	s_mov_b32 s0, exec_lo
	s_wait_loadcnt_dscnt 0x901
	v_mul_f64_e32 v[173:174], v[36:37], v[4:5]
	v_mul_f64_e32 v[4:5], v[34:35], v[4:5]
	s_wait_loadcnt_dscnt 0x800
	v_mul_f64_e32 v[175:176], v[165:166], v[8:9]
	v_mul_f64_e32 v[8:9], v[167:168], v[8:9]
	s_delay_alu instid0(VALU_DEP_4) | instskip(NEXT) | instid1(VALU_DEP_4)
	v_fma_f64 v[173:174], v[34:35], v[2:3], -v[173:174]
	v_fma_f64 v[177:178], v[36:37], v[2:3], v[4:5]
	ds_load_b128 v[2:5], v1 offset:1728
	scratch_load_b128 v[34:37], off, off offset:896
	v_fma_f64 v[175:176], v[167:168], v[6:7], v[175:176]
	v_fma_f64 v[181:182], v[165:166], v[6:7], -v[8:9]
	ds_load_b128 v[6:9], v1 offset:1744
	scratch_load_b128 v[165:168], off, off offset:912
	s_wait_loadcnt_dscnt 0x901
	v_mul_f64_e32 v[179:180], v[2:3], v[12:13]
	v_mul_f64_e32 v[12:13], v[4:5], v[12:13]
	s_wait_loadcnt_dscnt 0x800
	v_mul_f64_e32 v[183:184], v[6:7], v[16:17]
	v_mul_f64_e32 v[16:17], v[8:9], v[16:17]
	v_add_f64_e32 v[173:174], 0, v[173:174]
	v_add_f64_e32 v[177:178], 0, v[177:178]
	v_fma_f64 v[179:180], v[4:5], v[10:11], v[179:180]
	v_fma_f64 v[185:186], v[2:3], v[10:11], -v[12:13]
	ds_load_b128 v[2:5], v1 offset:1760
	scratch_load_b128 v[10:13], off, off offset:928
	v_add_f64_e32 v[173:174], v[173:174], v[181:182]
	v_add_f64_e32 v[175:176], v[177:178], v[175:176]
	v_fma_f64 v[181:182], v[8:9], v[14:15], v[183:184]
	v_fma_f64 v[183:184], v[6:7], v[14:15], -v[16:17]
	ds_load_b128 v[6:9], v1 offset:1776
	scratch_load_b128 v[14:17], off, off offset:944
	s_wait_loadcnt_dscnt 0x901
	v_mul_f64_e32 v[177:178], v[2:3], v[20:21]
	v_mul_f64_e32 v[20:21], v[4:5], v[20:21]
	v_add_f64_e32 v[173:174], v[173:174], v[185:186]
	v_add_f64_e32 v[175:176], v[175:176], v[179:180]
	s_wait_loadcnt_dscnt 0x800
	v_mul_f64_e32 v[179:180], v[6:7], v[24:25]
	v_mul_f64_e32 v[24:25], v[8:9], v[24:25]
	v_fma_f64 v[177:178], v[4:5], v[18:19], v[177:178]
	v_fma_f64 v[185:186], v[2:3], v[18:19], -v[20:21]
	ds_load_b128 v[2:5], v1 offset:1792
	scratch_load_b128 v[18:21], off, off offset:960
	v_add_f64_e32 v[173:174], v[173:174], v[183:184]
	v_add_f64_e32 v[175:176], v[175:176], v[181:182]
	v_fma_f64 v[179:180], v[8:9], v[22:23], v[179:180]
	v_fma_f64 v[183:184], v[6:7], v[22:23], -v[24:25]
	ds_load_b128 v[6:9], v1 offset:1808
	s_wait_loadcnt_dscnt 0x801
	v_mul_f64_e32 v[181:182], v[2:3], v[28:29]
	v_mul_f64_e32 v[28:29], v[4:5], v[28:29]
	scratch_load_b128 v[22:25], off, off offset:976
	v_add_f64_e32 v[173:174], v[173:174], v[185:186]
	v_add_f64_e32 v[175:176], v[175:176], v[177:178]
	s_wait_loadcnt_dscnt 0x800
	v_mul_f64_e32 v[177:178], v[6:7], v[32:33]
	v_mul_f64_e32 v[32:33], v[8:9], v[32:33]
	v_fma_f64 v[181:182], v[4:5], v[26:27], v[181:182]
	v_fma_f64 v[26:27], v[2:3], v[26:27], -v[28:29]
	ds_load_b128 v[2:5], v1 offset:1824
	v_add_f64_e32 v[28:29], v[173:174], v[183:184]
	v_add_f64_e32 v[173:174], v[175:176], v[179:180]
	v_fma_f64 v[177:178], v[8:9], v[30:31], v[177:178]
	v_fma_f64 v[30:31], v[6:7], v[30:31], -v[32:33]
	ds_load_b128 v[6:9], v1 offset:1840
	s_wait_loadcnt_dscnt 0x701
	v_mul_f64_e32 v[175:176], v[2:3], v[40:41]
	v_mul_f64_e32 v[40:41], v[4:5], v[40:41]
	v_add_f64_e32 v[26:27], v[28:29], v[26:27]
	v_add_f64_e32 v[28:29], v[173:174], v[181:182]
	s_delay_alu instid0(VALU_DEP_4) | instskip(NEXT) | instid1(VALU_DEP_4)
	v_fma_f64 v[173:174], v[4:5], v[38:39], v[175:176]
	v_fma_f64 v[38:39], v[2:3], v[38:39], -v[40:41]
	ds_load_b128 v[2:5], v1 offset:1856
	v_add_f64_e32 v[30:31], v[26:27], v[30:31]
	v_add_f64_e32 v[40:41], v[28:29], v[177:178]
	scratch_load_b128 v[26:29], off, off offset:720
	s_wait_loadcnt_dscnt 0x701
	v_mul_f64_e32 v[32:33], v[6:7], v[171:172]
	v_mul_f64_e32 v[171:172], v[8:9], v[171:172]
	v_add_f64_e32 v[30:31], v[30:31], v[38:39]
	v_add_f64_e32 v[38:39], v[40:41], v[173:174]
	s_delay_alu instid0(VALU_DEP_4) | instskip(NEXT) | instid1(VALU_DEP_4)
	v_fma_f64 v[32:33], v[8:9], v[169:170], v[32:33]
	v_fma_f64 v[169:170], v[6:7], v[169:170], -v[171:172]
	ds_load_b128 v[6:9], v1 offset:1872
	s_wait_loadcnt_dscnt 0x601
	v_mul_f64_e32 v[175:176], v[2:3], v[36:37]
	v_mul_f64_e32 v[36:37], v[4:5], v[36:37]
	s_wait_loadcnt_dscnt 0x500
	v_mul_f64_e32 v[40:41], v[6:7], v[167:168]
	v_mul_f64_e32 v[167:168], v[8:9], v[167:168]
	v_add_f64_e32 v[32:33], v[38:39], v[32:33]
	v_add_f64_e32 v[30:31], v[30:31], v[169:170]
	v_fma_f64 v[171:172], v[4:5], v[34:35], v[175:176]
	v_fma_f64 v[34:35], v[2:3], v[34:35], -v[36:37]
	ds_load_b128 v[2:5], v1 offset:1888
	v_fma_f64 v[38:39], v[8:9], v[165:166], v[40:41]
	v_fma_f64 v[40:41], v[6:7], v[165:166], -v[167:168]
	ds_load_b128 v[6:9], v1 offset:1904
	s_wait_loadcnt_dscnt 0x401
	v_mul_f64_e32 v[36:37], v[2:3], v[12:13]
	v_mul_f64_e32 v[12:13], v[4:5], v[12:13]
	v_add_f64_e32 v[32:33], v[32:33], v[171:172]
	v_add_f64_e32 v[30:31], v[30:31], v[34:35]
	s_wait_loadcnt_dscnt 0x300
	v_mul_f64_e32 v[34:35], v[6:7], v[16:17]
	v_mul_f64_e32 v[16:17], v[8:9], v[16:17]
	v_fma_f64 v[36:37], v[4:5], v[10:11], v[36:37]
	v_fma_f64 v[10:11], v[2:3], v[10:11], -v[12:13]
	ds_load_b128 v[2:5], v1 offset:1920
	v_add_f64_e32 v[12:13], v[30:31], v[40:41]
	v_add_f64_e32 v[30:31], v[32:33], v[38:39]
	v_fma_f64 v[34:35], v[8:9], v[14:15], v[34:35]
	v_fma_f64 v[14:15], v[6:7], v[14:15], -v[16:17]
	ds_load_b128 v[6:9], v1 offset:1936
	s_wait_loadcnt_dscnt 0x201
	v_mul_f64_e32 v[32:33], v[2:3], v[20:21]
	v_mul_f64_e32 v[20:21], v[4:5], v[20:21]
	s_wait_loadcnt_dscnt 0x100
	v_mul_f64_e32 v[16:17], v[6:7], v[24:25]
	v_mul_f64_e32 v[24:25], v[8:9], v[24:25]
	v_add_f64_e32 v[10:11], v[12:13], v[10:11]
	v_add_f64_e32 v[12:13], v[30:31], v[36:37]
	v_fma_f64 v[4:5], v[4:5], v[18:19], v[32:33]
	v_fma_f64 v[1:2], v[2:3], v[18:19], -v[20:21]
	v_fma_f64 v[8:9], v[8:9], v[22:23], v[16:17]
	v_fma_f64 v[6:7], v[6:7], v[22:23], -v[24:25]
	v_add_f64_e32 v[10:11], v[10:11], v[14:15]
	v_add_f64_e32 v[12:13], v[12:13], v[34:35]
	s_delay_alu instid0(VALU_DEP_2) | instskip(NEXT) | instid1(VALU_DEP_2)
	v_add_f64_e32 v[1:2], v[10:11], v[1:2]
	v_add_f64_e32 v[3:4], v[12:13], v[4:5]
	s_delay_alu instid0(VALU_DEP_2) | instskip(NEXT) | instid1(VALU_DEP_2)
	v_add_f64_e32 v[1:2], v[1:2], v[6:7]
	v_add_f64_e32 v[3:4], v[3:4], v[8:9]
	s_wait_loadcnt 0x0
	s_delay_alu instid0(VALU_DEP_2) | instskip(NEXT) | instid1(VALU_DEP_2)
	v_add_f64_e64 v[1:2], v[26:27], -v[1:2]
	v_add_f64_e64 v[3:4], v[28:29], -v[3:4]
	scratch_store_b128 off, v[1:4], off offset:720
	v_cmpx_lt_u32_e32 43, v0
	s_cbranch_execz .LBB60_305
; %bb.304:
	scratch_load_b128 v[1:4], off, s26
	v_mov_b32_e32 v5, 0
	s_delay_alu instid0(VALU_DEP_1)
	v_dual_mov_b32 v6, v5 :: v_dual_mov_b32 v7, v5
	v_mov_b32_e32 v8, v5
	scratch_store_b128 off, v[5:8], off offset:704
	s_wait_loadcnt 0x0
	ds_store_b128 v164, v[1:4]
.LBB60_305:
	s_wait_alu 0xfffe
	s_or_b32 exec_lo, exec_lo, s0
	s_wait_storecnt_dscnt 0x0
	s_barrier_signal -1
	s_barrier_wait -1
	global_inv scope:SCOPE_SE
	s_clause 0x7
	scratch_load_b128 v[2:5], off, off offset:720
	scratch_load_b128 v[6:9], off, off offset:736
	;; [unrolled: 1-line block ×8, first 2 shown]
	v_mov_b32_e32 v1, 0
	s_clause 0x1
	scratch_load_b128 v[38:41], off, off offset:848
	scratch_load_b128 v[169:172], off, off offset:864
	s_mov_b32 s0, exec_lo
	ds_load_b128 v[34:37], v1 offset:1680
	ds_load_b128 v[165:168], v1 offset:1696
	s_wait_loadcnt_dscnt 0x901
	v_mul_f64_e32 v[173:174], v[36:37], v[4:5]
	v_mul_f64_e32 v[4:5], v[34:35], v[4:5]
	s_wait_loadcnt_dscnt 0x800
	v_mul_f64_e32 v[175:176], v[165:166], v[8:9]
	v_mul_f64_e32 v[8:9], v[167:168], v[8:9]
	s_delay_alu instid0(VALU_DEP_4) | instskip(NEXT) | instid1(VALU_DEP_4)
	v_fma_f64 v[173:174], v[34:35], v[2:3], -v[173:174]
	v_fma_f64 v[177:178], v[36:37], v[2:3], v[4:5]
	ds_load_b128 v[2:5], v1 offset:1712
	scratch_load_b128 v[34:37], off, off offset:880
	v_fma_f64 v[175:176], v[167:168], v[6:7], v[175:176]
	v_fma_f64 v[181:182], v[165:166], v[6:7], -v[8:9]
	ds_load_b128 v[6:9], v1 offset:1728
	scratch_load_b128 v[165:168], off, off offset:896
	s_wait_loadcnt_dscnt 0x901
	v_mul_f64_e32 v[179:180], v[2:3], v[12:13]
	v_mul_f64_e32 v[12:13], v[4:5], v[12:13]
	s_wait_loadcnt_dscnt 0x800
	v_mul_f64_e32 v[183:184], v[6:7], v[16:17]
	v_mul_f64_e32 v[16:17], v[8:9], v[16:17]
	v_add_f64_e32 v[173:174], 0, v[173:174]
	v_add_f64_e32 v[177:178], 0, v[177:178]
	v_fma_f64 v[179:180], v[4:5], v[10:11], v[179:180]
	v_fma_f64 v[185:186], v[2:3], v[10:11], -v[12:13]
	ds_load_b128 v[2:5], v1 offset:1744
	scratch_load_b128 v[10:13], off, off offset:912
	v_add_f64_e32 v[173:174], v[173:174], v[181:182]
	v_add_f64_e32 v[175:176], v[177:178], v[175:176]
	v_fma_f64 v[181:182], v[8:9], v[14:15], v[183:184]
	v_fma_f64 v[183:184], v[6:7], v[14:15], -v[16:17]
	ds_load_b128 v[6:9], v1 offset:1760
	scratch_load_b128 v[14:17], off, off offset:928
	s_wait_loadcnt_dscnt 0x901
	v_mul_f64_e32 v[177:178], v[2:3], v[20:21]
	v_mul_f64_e32 v[20:21], v[4:5], v[20:21]
	v_add_f64_e32 v[173:174], v[173:174], v[185:186]
	v_add_f64_e32 v[175:176], v[175:176], v[179:180]
	s_wait_loadcnt_dscnt 0x800
	v_mul_f64_e32 v[179:180], v[6:7], v[24:25]
	v_mul_f64_e32 v[24:25], v[8:9], v[24:25]
	v_fma_f64 v[177:178], v[4:5], v[18:19], v[177:178]
	v_fma_f64 v[185:186], v[2:3], v[18:19], -v[20:21]
	ds_load_b128 v[2:5], v1 offset:1776
	scratch_load_b128 v[18:21], off, off offset:944
	v_add_f64_e32 v[173:174], v[173:174], v[183:184]
	v_add_f64_e32 v[175:176], v[175:176], v[181:182]
	v_fma_f64 v[179:180], v[8:9], v[22:23], v[179:180]
	v_fma_f64 v[183:184], v[6:7], v[22:23], -v[24:25]
	ds_load_b128 v[6:9], v1 offset:1792
	s_wait_loadcnt_dscnt 0x801
	v_mul_f64_e32 v[181:182], v[2:3], v[28:29]
	v_mul_f64_e32 v[28:29], v[4:5], v[28:29]
	scratch_load_b128 v[22:25], off, off offset:960
	v_add_f64_e32 v[173:174], v[173:174], v[185:186]
	v_add_f64_e32 v[175:176], v[175:176], v[177:178]
	s_wait_loadcnt_dscnt 0x800
	v_mul_f64_e32 v[177:178], v[6:7], v[32:33]
	v_mul_f64_e32 v[32:33], v[8:9], v[32:33]
	v_fma_f64 v[181:182], v[4:5], v[26:27], v[181:182]
	v_fma_f64 v[185:186], v[2:3], v[26:27], -v[28:29]
	ds_load_b128 v[2:5], v1 offset:1808
	scratch_load_b128 v[26:29], off, off offset:976
	v_add_f64_e32 v[173:174], v[173:174], v[183:184]
	v_add_f64_e32 v[175:176], v[175:176], v[179:180]
	v_fma_f64 v[177:178], v[8:9], v[30:31], v[177:178]
	v_fma_f64 v[30:31], v[6:7], v[30:31], -v[32:33]
	ds_load_b128 v[6:9], v1 offset:1824
	s_wait_loadcnt_dscnt 0x801
	v_mul_f64_e32 v[179:180], v[2:3], v[40:41]
	v_mul_f64_e32 v[40:41], v[4:5], v[40:41]
	v_add_f64_e32 v[32:33], v[173:174], v[185:186]
	v_add_f64_e32 v[173:174], v[175:176], v[181:182]
	s_wait_loadcnt_dscnt 0x700
	v_mul_f64_e32 v[175:176], v[6:7], v[171:172]
	v_mul_f64_e32 v[171:172], v[8:9], v[171:172]
	v_fma_f64 v[179:180], v[4:5], v[38:39], v[179:180]
	v_fma_f64 v[38:39], v[2:3], v[38:39], -v[40:41]
	ds_load_b128 v[2:5], v1 offset:1840
	v_add_f64_e32 v[30:31], v[32:33], v[30:31]
	v_add_f64_e32 v[32:33], v[173:174], v[177:178]
	v_fma_f64 v[173:174], v[8:9], v[169:170], v[175:176]
	v_fma_f64 v[169:170], v[6:7], v[169:170], -v[171:172]
	ds_load_b128 v[6:9], v1 offset:1856
	s_wait_loadcnt_dscnt 0x500
	v_mul_f64_e32 v[175:176], v[6:7], v[167:168]
	v_mul_f64_e32 v[167:168], v[8:9], v[167:168]
	v_add_f64_e32 v[38:39], v[30:31], v[38:39]
	v_add_f64_e32 v[171:172], v[32:33], v[179:180]
	scratch_load_b128 v[30:33], off, off offset:704
	v_mul_f64_e32 v[40:41], v[2:3], v[36:37]
	v_mul_f64_e32 v[36:37], v[4:5], v[36:37]
	s_delay_alu instid0(VALU_DEP_2) | instskip(NEXT) | instid1(VALU_DEP_2)
	v_fma_f64 v[40:41], v[4:5], v[34:35], v[40:41]
	v_fma_f64 v[34:35], v[2:3], v[34:35], -v[36:37]
	v_add_f64_e32 v[36:37], v[38:39], v[169:170]
	v_add_f64_e32 v[38:39], v[171:172], v[173:174]
	ds_load_b128 v[2:5], v1 offset:1872
	v_fma_f64 v[171:172], v[8:9], v[165:166], v[175:176]
	v_fma_f64 v[165:166], v[6:7], v[165:166], -v[167:168]
	ds_load_b128 v[6:9], v1 offset:1888
	s_wait_loadcnt_dscnt 0x501
	v_mul_f64_e32 v[169:170], v[2:3], v[12:13]
	v_mul_f64_e32 v[12:13], v[4:5], v[12:13]
	v_add_f64_e32 v[34:35], v[36:37], v[34:35]
	v_add_f64_e32 v[36:37], v[38:39], v[40:41]
	s_wait_loadcnt_dscnt 0x400
	v_mul_f64_e32 v[38:39], v[6:7], v[16:17]
	v_mul_f64_e32 v[16:17], v[8:9], v[16:17]
	v_fma_f64 v[40:41], v[4:5], v[10:11], v[169:170]
	v_fma_f64 v[10:11], v[2:3], v[10:11], -v[12:13]
	ds_load_b128 v[2:5], v1 offset:1904
	v_add_f64_e32 v[12:13], v[34:35], v[165:166]
	v_add_f64_e32 v[34:35], v[36:37], v[171:172]
	v_fma_f64 v[38:39], v[8:9], v[14:15], v[38:39]
	v_fma_f64 v[14:15], v[6:7], v[14:15], -v[16:17]
	ds_load_b128 v[6:9], v1 offset:1920
	s_wait_loadcnt_dscnt 0x301
	v_mul_f64_e32 v[36:37], v[2:3], v[20:21]
	v_mul_f64_e32 v[20:21], v[4:5], v[20:21]
	s_wait_loadcnt_dscnt 0x200
	v_mul_f64_e32 v[16:17], v[6:7], v[24:25]
	v_mul_f64_e32 v[24:25], v[8:9], v[24:25]
	v_add_f64_e32 v[10:11], v[12:13], v[10:11]
	v_add_f64_e32 v[12:13], v[34:35], v[40:41]
	v_fma_f64 v[34:35], v[4:5], v[18:19], v[36:37]
	v_fma_f64 v[18:19], v[2:3], v[18:19], -v[20:21]
	ds_load_b128 v[2:5], v1 offset:1936
	v_fma_f64 v[8:9], v[8:9], v[22:23], v[16:17]
	v_fma_f64 v[6:7], v[6:7], v[22:23], -v[24:25]
	s_wait_loadcnt_dscnt 0x100
	v_mul_f64_e32 v[20:21], v[4:5], v[28:29]
	v_add_f64_e32 v[10:11], v[10:11], v[14:15]
	v_add_f64_e32 v[12:13], v[12:13], v[38:39]
	v_mul_f64_e32 v[14:15], v[2:3], v[28:29]
	s_delay_alu instid0(VALU_DEP_4) | instskip(NEXT) | instid1(VALU_DEP_4)
	v_fma_f64 v[2:3], v[2:3], v[26:27], -v[20:21]
	v_add_f64_e32 v[10:11], v[10:11], v[18:19]
	s_delay_alu instid0(VALU_DEP_4) | instskip(NEXT) | instid1(VALU_DEP_4)
	v_add_f64_e32 v[12:13], v[12:13], v[34:35]
	v_fma_f64 v[4:5], v[4:5], v[26:27], v[14:15]
	s_delay_alu instid0(VALU_DEP_3) | instskip(NEXT) | instid1(VALU_DEP_3)
	v_add_f64_e32 v[6:7], v[10:11], v[6:7]
	v_add_f64_e32 v[8:9], v[12:13], v[8:9]
	s_delay_alu instid0(VALU_DEP_2) | instskip(NEXT) | instid1(VALU_DEP_2)
	v_add_f64_e32 v[2:3], v[6:7], v[2:3]
	v_add_f64_e32 v[4:5], v[8:9], v[4:5]
	s_wait_loadcnt 0x0
	s_delay_alu instid0(VALU_DEP_2) | instskip(NEXT) | instid1(VALU_DEP_2)
	v_add_f64_e64 v[2:3], v[30:31], -v[2:3]
	v_add_f64_e64 v[4:5], v[32:33], -v[4:5]
	scratch_store_b128 off, v[2:5], off offset:704
	v_cmpx_lt_u32_e32 42, v0
	s_cbranch_execz .LBB60_307
; %bb.306:
	scratch_load_b128 v[5:8], off, s30
	v_dual_mov_b32 v2, v1 :: v_dual_mov_b32 v3, v1
	v_mov_b32_e32 v4, v1
	scratch_store_b128 off, v[1:4], off offset:688
	s_wait_loadcnt 0x0
	ds_store_b128 v164, v[5:8]
.LBB60_307:
	s_wait_alu 0xfffe
	s_or_b32 exec_lo, exec_lo, s0
	s_wait_storecnt_dscnt 0x0
	s_barrier_signal -1
	s_barrier_wait -1
	global_inv scope:SCOPE_SE
	s_clause 0x7
	scratch_load_b128 v[2:5], off, off offset:704
	scratch_load_b128 v[6:9], off, off offset:720
	;; [unrolled: 1-line block ×8, first 2 shown]
	ds_load_b128 v[34:37], v1 offset:1664
	ds_load_b128 v[165:168], v1 offset:1680
	s_clause 0x1
	scratch_load_b128 v[38:41], off, off offset:832
	scratch_load_b128 v[169:172], off, off offset:848
	s_mov_b32 s0, exec_lo
	s_wait_loadcnt_dscnt 0x901
	v_mul_f64_e32 v[173:174], v[36:37], v[4:5]
	v_mul_f64_e32 v[4:5], v[34:35], v[4:5]
	s_wait_loadcnt_dscnt 0x800
	v_mul_f64_e32 v[175:176], v[165:166], v[8:9]
	v_mul_f64_e32 v[8:9], v[167:168], v[8:9]
	s_delay_alu instid0(VALU_DEP_4) | instskip(NEXT) | instid1(VALU_DEP_4)
	v_fma_f64 v[173:174], v[34:35], v[2:3], -v[173:174]
	v_fma_f64 v[177:178], v[36:37], v[2:3], v[4:5]
	scratch_load_b128 v[34:37], off, off offset:864
	ds_load_b128 v[2:5], v1 offset:1696
	v_fma_f64 v[175:176], v[167:168], v[6:7], v[175:176]
	v_fma_f64 v[181:182], v[165:166], v[6:7], -v[8:9]
	ds_load_b128 v[6:9], v1 offset:1712
	scratch_load_b128 v[165:168], off, off offset:880
	s_wait_loadcnt_dscnt 0x901
	v_mul_f64_e32 v[179:180], v[2:3], v[12:13]
	v_mul_f64_e32 v[12:13], v[4:5], v[12:13]
	s_wait_loadcnt_dscnt 0x800
	v_mul_f64_e32 v[183:184], v[6:7], v[16:17]
	v_mul_f64_e32 v[16:17], v[8:9], v[16:17]
	v_add_f64_e32 v[173:174], 0, v[173:174]
	v_add_f64_e32 v[177:178], 0, v[177:178]
	v_fma_f64 v[179:180], v[4:5], v[10:11], v[179:180]
	v_fma_f64 v[185:186], v[2:3], v[10:11], -v[12:13]
	ds_load_b128 v[2:5], v1 offset:1728
	scratch_load_b128 v[10:13], off, off offset:896
	v_add_f64_e32 v[173:174], v[173:174], v[181:182]
	v_add_f64_e32 v[175:176], v[177:178], v[175:176]
	v_fma_f64 v[181:182], v[8:9], v[14:15], v[183:184]
	v_fma_f64 v[183:184], v[6:7], v[14:15], -v[16:17]
	ds_load_b128 v[6:9], v1 offset:1744
	scratch_load_b128 v[14:17], off, off offset:912
	s_wait_loadcnt_dscnt 0x901
	v_mul_f64_e32 v[177:178], v[2:3], v[20:21]
	v_mul_f64_e32 v[20:21], v[4:5], v[20:21]
	v_add_f64_e32 v[173:174], v[173:174], v[185:186]
	v_add_f64_e32 v[175:176], v[175:176], v[179:180]
	s_wait_loadcnt_dscnt 0x800
	v_mul_f64_e32 v[179:180], v[6:7], v[24:25]
	v_mul_f64_e32 v[24:25], v[8:9], v[24:25]
	v_fma_f64 v[177:178], v[4:5], v[18:19], v[177:178]
	v_fma_f64 v[185:186], v[2:3], v[18:19], -v[20:21]
	ds_load_b128 v[2:5], v1 offset:1760
	scratch_load_b128 v[18:21], off, off offset:928
	v_add_f64_e32 v[173:174], v[173:174], v[183:184]
	v_add_f64_e32 v[175:176], v[175:176], v[181:182]
	v_fma_f64 v[179:180], v[8:9], v[22:23], v[179:180]
	v_fma_f64 v[183:184], v[6:7], v[22:23], -v[24:25]
	ds_load_b128 v[6:9], v1 offset:1776
	s_wait_loadcnt_dscnt 0x801
	v_mul_f64_e32 v[181:182], v[2:3], v[28:29]
	v_mul_f64_e32 v[28:29], v[4:5], v[28:29]
	scratch_load_b128 v[22:25], off, off offset:944
	v_add_f64_e32 v[173:174], v[173:174], v[185:186]
	v_add_f64_e32 v[175:176], v[175:176], v[177:178]
	s_wait_loadcnt_dscnt 0x800
	v_mul_f64_e32 v[177:178], v[6:7], v[32:33]
	v_mul_f64_e32 v[32:33], v[8:9], v[32:33]
	v_fma_f64 v[181:182], v[4:5], v[26:27], v[181:182]
	v_fma_f64 v[185:186], v[2:3], v[26:27], -v[28:29]
	ds_load_b128 v[2:5], v1 offset:1792
	scratch_load_b128 v[26:29], off, off offset:960
	v_add_f64_e32 v[173:174], v[173:174], v[183:184]
	v_add_f64_e32 v[175:176], v[175:176], v[179:180]
	v_fma_f64 v[177:178], v[8:9], v[30:31], v[177:178]
	v_fma_f64 v[183:184], v[6:7], v[30:31], -v[32:33]
	ds_load_b128 v[6:9], v1 offset:1808
	s_wait_loadcnt_dscnt 0x801
	v_mul_f64_e32 v[179:180], v[2:3], v[40:41]
	v_mul_f64_e32 v[40:41], v[4:5], v[40:41]
	scratch_load_b128 v[30:33], off, off offset:976
	v_add_f64_e32 v[173:174], v[173:174], v[185:186]
	v_add_f64_e32 v[175:176], v[175:176], v[181:182]
	v_fma_f64 v[179:180], v[4:5], v[38:39], v[179:180]
	v_fma_f64 v[38:39], v[2:3], v[38:39], -v[40:41]
	ds_load_b128 v[2:5], v1 offset:1824
	v_add_f64_e32 v[40:41], v[173:174], v[183:184]
	v_add_f64_e32 v[173:174], v[175:176], v[177:178]
	s_wait_loadcnt_dscnt 0x700
	v_mul_f64_e32 v[175:176], v[2:3], v[36:37]
	v_mul_f64_e32 v[36:37], v[4:5], v[36:37]
	s_delay_alu instid0(VALU_DEP_4) | instskip(NEXT) | instid1(VALU_DEP_4)
	v_add_f64_e32 v[38:39], v[40:41], v[38:39]
	v_add_f64_e32 v[40:41], v[173:174], v[179:180]
	s_delay_alu instid0(VALU_DEP_4) | instskip(NEXT) | instid1(VALU_DEP_4)
	v_fma_f64 v[173:174], v[4:5], v[34:35], v[175:176]
	v_fma_f64 v[175:176], v[2:3], v[34:35], -v[36:37]
	scratch_load_b128 v[34:37], off, off offset:688
	v_mul_f64_e32 v[181:182], v[6:7], v[171:172]
	v_mul_f64_e32 v[171:172], v[8:9], v[171:172]
	ds_load_b128 v[2:5], v1 offset:1856
	v_fma_f64 v[177:178], v[8:9], v[169:170], v[181:182]
	v_fma_f64 v[169:170], v[6:7], v[169:170], -v[171:172]
	ds_load_b128 v[6:9], v1 offset:1840
	s_wait_loadcnt_dscnt 0x700
	v_mul_f64_e32 v[171:172], v[6:7], v[167:168]
	v_mul_f64_e32 v[167:168], v[8:9], v[167:168]
	v_add_f64_e32 v[40:41], v[40:41], v[177:178]
	v_add_f64_e32 v[38:39], v[38:39], v[169:170]
	s_wait_loadcnt 0x6
	v_mul_f64_e32 v[169:170], v[2:3], v[12:13]
	v_mul_f64_e32 v[12:13], v[4:5], v[12:13]
	v_fma_f64 v[171:172], v[8:9], v[165:166], v[171:172]
	v_fma_f64 v[165:166], v[6:7], v[165:166], -v[167:168]
	ds_load_b128 v[6:9], v1 offset:1872
	v_add_f64_e32 v[40:41], v[40:41], v[173:174]
	v_add_f64_e32 v[38:39], v[38:39], v[175:176]
	v_fma_f64 v[169:170], v[4:5], v[10:11], v[169:170]
	v_fma_f64 v[10:11], v[2:3], v[10:11], -v[12:13]
	ds_load_b128 v[2:5], v1 offset:1888
	s_wait_loadcnt_dscnt 0x501
	v_mul_f64_e32 v[167:168], v[6:7], v[16:17]
	v_mul_f64_e32 v[16:17], v[8:9], v[16:17]
	v_add_f64_e32 v[12:13], v[38:39], v[165:166]
	v_add_f64_e32 v[38:39], v[40:41], v[171:172]
	s_wait_loadcnt_dscnt 0x400
	v_mul_f64_e32 v[40:41], v[2:3], v[20:21]
	v_mul_f64_e32 v[20:21], v[4:5], v[20:21]
	v_fma_f64 v[165:166], v[8:9], v[14:15], v[167:168]
	v_fma_f64 v[14:15], v[6:7], v[14:15], -v[16:17]
	ds_load_b128 v[6:9], v1 offset:1904
	v_add_f64_e32 v[10:11], v[12:13], v[10:11]
	v_add_f64_e32 v[12:13], v[38:39], v[169:170]
	v_fma_f64 v[38:39], v[4:5], v[18:19], v[40:41]
	v_fma_f64 v[18:19], v[2:3], v[18:19], -v[20:21]
	ds_load_b128 v[2:5], v1 offset:1920
	s_wait_loadcnt_dscnt 0x301
	v_mul_f64_e32 v[16:17], v[6:7], v[24:25]
	v_mul_f64_e32 v[24:25], v[8:9], v[24:25]
	s_wait_loadcnt_dscnt 0x200
	v_mul_f64_e32 v[20:21], v[4:5], v[28:29]
	v_add_f64_e32 v[10:11], v[10:11], v[14:15]
	v_add_f64_e32 v[12:13], v[12:13], v[165:166]
	v_mul_f64_e32 v[14:15], v[2:3], v[28:29]
	v_fma_f64 v[16:17], v[8:9], v[22:23], v[16:17]
	v_fma_f64 v[22:23], v[6:7], v[22:23], -v[24:25]
	ds_load_b128 v[6:9], v1 offset:1936
	v_fma_f64 v[1:2], v[2:3], v[26:27], -v[20:21]
	s_wait_loadcnt_dscnt 0x100
	v_mul_f64_e32 v[24:25], v[8:9], v[32:33]
	v_add_f64_e32 v[10:11], v[10:11], v[18:19]
	v_add_f64_e32 v[12:13], v[12:13], v[38:39]
	v_mul_f64_e32 v[18:19], v[6:7], v[32:33]
	v_fma_f64 v[4:5], v[4:5], v[26:27], v[14:15]
	v_fma_f64 v[6:7], v[6:7], v[30:31], -v[24:25]
	v_add_f64_e32 v[10:11], v[10:11], v[22:23]
	v_add_f64_e32 v[12:13], v[12:13], v[16:17]
	v_fma_f64 v[8:9], v[8:9], v[30:31], v[18:19]
	s_delay_alu instid0(VALU_DEP_3) | instskip(NEXT) | instid1(VALU_DEP_3)
	v_add_f64_e32 v[1:2], v[10:11], v[1:2]
	v_add_f64_e32 v[3:4], v[12:13], v[4:5]
	s_delay_alu instid0(VALU_DEP_2) | instskip(NEXT) | instid1(VALU_DEP_2)
	v_add_f64_e32 v[1:2], v[1:2], v[6:7]
	v_add_f64_e32 v[3:4], v[3:4], v[8:9]
	s_wait_loadcnt 0x0
	s_delay_alu instid0(VALU_DEP_2) | instskip(NEXT) | instid1(VALU_DEP_2)
	v_add_f64_e64 v[1:2], v[34:35], -v[1:2]
	v_add_f64_e64 v[3:4], v[36:37], -v[3:4]
	scratch_store_b128 off, v[1:4], off offset:688
	v_cmpx_lt_u32_e32 41, v0
	s_cbranch_execz .LBB60_309
; %bb.308:
	scratch_load_b128 v[1:4], off, s29
	v_mov_b32_e32 v5, 0
	s_delay_alu instid0(VALU_DEP_1)
	v_dual_mov_b32 v6, v5 :: v_dual_mov_b32 v7, v5
	v_mov_b32_e32 v8, v5
	scratch_store_b128 off, v[5:8], off offset:672
	s_wait_loadcnt 0x0
	ds_store_b128 v164, v[1:4]
.LBB60_309:
	s_wait_alu 0xfffe
	s_or_b32 exec_lo, exec_lo, s0
	s_wait_storecnt_dscnt 0x0
	s_barrier_signal -1
	s_barrier_wait -1
	global_inv scope:SCOPE_SE
	s_clause 0x7
	scratch_load_b128 v[2:5], off, off offset:688
	scratch_load_b128 v[6:9], off, off offset:704
	;; [unrolled: 1-line block ×8, first 2 shown]
	v_mov_b32_e32 v1, 0
	s_clause 0x1
	scratch_load_b128 v[38:41], off, off offset:816
	scratch_load_b128 v[169:172], off, off offset:832
	s_mov_b32 s0, exec_lo
	ds_load_b128 v[34:37], v1 offset:1648
	ds_load_b128 v[165:168], v1 offset:1664
	s_wait_loadcnt_dscnt 0x901
	v_mul_f64_e32 v[173:174], v[36:37], v[4:5]
	v_mul_f64_e32 v[4:5], v[34:35], v[4:5]
	s_wait_loadcnt_dscnt 0x800
	v_mul_f64_e32 v[175:176], v[165:166], v[8:9]
	v_mul_f64_e32 v[8:9], v[167:168], v[8:9]
	s_delay_alu instid0(VALU_DEP_4) | instskip(NEXT) | instid1(VALU_DEP_4)
	v_fma_f64 v[173:174], v[34:35], v[2:3], -v[173:174]
	v_fma_f64 v[177:178], v[36:37], v[2:3], v[4:5]
	ds_load_b128 v[2:5], v1 offset:1680
	scratch_load_b128 v[34:37], off, off offset:848
	v_fma_f64 v[175:176], v[167:168], v[6:7], v[175:176]
	v_fma_f64 v[181:182], v[165:166], v[6:7], -v[8:9]
	ds_load_b128 v[6:9], v1 offset:1696
	scratch_load_b128 v[165:168], off, off offset:864
	s_wait_loadcnt_dscnt 0x901
	v_mul_f64_e32 v[179:180], v[2:3], v[12:13]
	v_mul_f64_e32 v[12:13], v[4:5], v[12:13]
	s_wait_loadcnt_dscnt 0x800
	v_mul_f64_e32 v[183:184], v[6:7], v[16:17]
	v_mul_f64_e32 v[16:17], v[8:9], v[16:17]
	v_add_f64_e32 v[173:174], 0, v[173:174]
	v_add_f64_e32 v[177:178], 0, v[177:178]
	v_fma_f64 v[179:180], v[4:5], v[10:11], v[179:180]
	v_fma_f64 v[185:186], v[2:3], v[10:11], -v[12:13]
	ds_load_b128 v[2:5], v1 offset:1712
	scratch_load_b128 v[10:13], off, off offset:880
	v_add_f64_e32 v[173:174], v[173:174], v[181:182]
	v_add_f64_e32 v[175:176], v[177:178], v[175:176]
	v_fma_f64 v[181:182], v[8:9], v[14:15], v[183:184]
	v_fma_f64 v[183:184], v[6:7], v[14:15], -v[16:17]
	ds_load_b128 v[6:9], v1 offset:1728
	scratch_load_b128 v[14:17], off, off offset:896
	s_wait_loadcnt_dscnt 0x901
	v_mul_f64_e32 v[177:178], v[2:3], v[20:21]
	v_mul_f64_e32 v[20:21], v[4:5], v[20:21]
	v_add_f64_e32 v[173:174], v[173:174], v[185:186]
	v_add_f64_e32 v[175:176], v[175:176], v[179:180]
	s_wait_loadcnt_dscnt 0x800
	v_mul_f64_e32 v[179:180], v[6:7], v[24:25]
	v_mul_f64_e32 v[24:25], v[8:9], v[24:25]
	v_fma_f64 v[177:178], v[4:5], v[18:19], v[177:178]
	v_fma_f64 v[185:186], v[2:3], v[18:19], -v[20:21]
	ds_load_b128 v[2:5], v1 offset:1744
	scratch_load_b128 v[18:21], off, off offset:912
	v_add_f64_e32 v[173:174], v[173:174], v[183:184]
	v_add_f64_e32 v[175:176], v[175:176], v[181:182]
	v_fma_f64 v[179:180], v[8:9], v[22:23], v[179:180]
	v_fma_f64 v[183:184], v[6:7], v[22:23], -v[24:25]
	ds_load_b128 v[6:9], v1 offset:1760
	s_wait_loadcnt_dscnt 0x801
	v_mul_f64_e32 v[181:182], v[2:3], v[28:29]
	v_mul_f64_e32 v[28:29], v[4:5], v[28:29]
	scratch_load_b128 v[22:25], off, off offset:928
	v_add_f64_e32 v[173:174], v[173:174], v[185:186]
	v_add_f64_e32 v[175:176], v[175:176], v[177:178]
	s_wait_loadcnt_dscnt 0x800
	v_mul_f64_e32 v[177:178], v[6:7], v[32:33]
	v_mul_f64_e32 v[32:33], v[8:9], v[32:33]
	v_fma_f64 v[181:182], v[4:5], v[26:27], v[181:182]
	v_fma_f64 v[185:186], v[2:3], v[26:27], -v[28:29]
	ds_load_b128 v[2:5], v1 offset:1776
	scratch_load_b128 v[26:29], off, off offset:944
	v_add_f64_e32 v[173:174], v[173:174], v[183:184]
	v_add_f64_e32 v[175:176], v[175:176], v[179:180]
	v_fma_f64 v[177:178], v[8:9], v[30:31], v[177:178]
	v_fma_f64 v[183:184], v[6:7], v[30:31], -v[32:33]
	ds_load_b128 v[6:9], v1 offset:1792
	s_wait_loadcnt_dscnt 0x801
	v_mul_f64_e32 v[179:180], v[2:3], v[40:41]
	v_mul_f64_e32 v[40:41], v[4:5], v[40:41]
	scratch_load_b128 v[30:33], off, off offset:960
	v_add_f64_e32 v[173:174], v[173:174], v[185:186]
	v_add_f64_e32 v[175:176], v[175:176], v[181:182]
	s_wait_loadcnt_dscnt 0x800
	v_mul_f64_e32 v[181:182], v[6:7], v[171:172]
	v_mul_f64_e32 v[171:172], v[8:9], v[171:172]
	v_fma_f64 v[179:180], v[4:5], v[38:39], v[179:180]
	v_fma_f64 v[185:186], v[2:3], v[38:39], -v[40:41]
	ds_load_b128 v[2:5], v1 offset:1808
	scratch_load_b128 v[38:41], off, off offset:976
	v_add_f64_e32 v[173:174], v[173:174], v[183:184]
	v_add_f64_e32 v[175:176], v[175:176], v[177:178]
	v_fma_f64 v[181:182], v[8:9], v[169:170], v[181:182]
	v_fma_f64 v[169:170], v[6:7], v[169:170], -v[171:172]
	ds_load_b128 v[6:9], v1 offset:1824
	s_wait_loadcnt_dscnt 0x801
	v_mul_f64_e32 v[177:178], v[2:3], v[36:37]
	v_mul_f64_e32 v[36:37], v[4:5], v[36:37]
	v_add_f64_e32 v[171:172], v[173:174], v[185:186]
	v_add_f64_e32 v[173:174], v[175:176], v[179:180]
	s_wait_loadcnt_dscnt 0x700
	v_mul_f64_e32 v[175:176], v[6:7], v[167:168]
	v_mul_f64_e32 v[167:168], v[8:9], v[167:168]
	v_fma_f64 v[177:178], v[4:5], v[34:35], v[177:178]
	v_fma_f64 v[34:35], v[2:3], v[34:35], -v[36:37]
	ds_load_b128 v[2:5], v1 offset:1840
	v_add_f64_e32 v[36:37], v[171:172], v[169:170]
	v_add_f64_e32 v[169:170], v[173:174], v[181:182]
	v_fma_f64 v[173:174], v[8:9], v[165:166], v[175:176]
	v_fma_f64 v[165:166], v[6:7], v[165:166], -v[167:168]
	ds_load_b128 v[6:9], v1 offset:1856
	s_wait_loadcnt_dscnt 0x500
	v_mul_f64_e32 v[175:176], v[6:7], v[16:17]
	v_mul_f64_e32 v[16:17], v[8:9], v[16:17]
	v_add_f64_e32 v[167:168], v[36:37], v[34:35]
	v_add_f64_e32 v[169:170], v[169:170], v[177:178]
	scratch_load_b128 v[34:37], off, off offset:672
	v_mul_f64_e32 v[171:172], v[2:3], v[12:13]
	v_mul_f64_e32 v[12:13], v[4:5], v[12:13]
	s_delay_alu instid0(VALU_DEP_2) | instskip(NEXT) | instid1(VALU_DEP_2)
	v_fma_f64 v[171:172], v[4:5], v[10:11], v[171:172]
	v_fma_f64 v[10:11], v[2:3], v[10:11], -v[12:13]
	v_add_f64_e32 v[12:13], v[167:168], v[165:166]
	v_add_f64_e32 v[165:166], v[169:170], v[173:174]
	ds_load_b128 v[2:5], v1 offset:1872
	v_fma_f64 v[169:170], v[8:9], v[14:15], v[175:176]
	v_fma_f64 v[14:15], v[6:7], v[14:15], -v[16:17]
	ds_load_b128 v[6:9], v1 offset:1888
	s_wait_loadcnt_dscnt 0x501
	v_mul_f64_e32 v[167:168], v[2:3], v[20:21]
	v_mul_f64_e32 v[20:21], v[4:5], v[20:21]
	s_wait_loadcnt_dscnt 0x400
	v_mul_f64_e32 v[16:17], v[6:7], v[24:25]
	v_mul_f64_e32 v[24:25], v[8:9], v[24:25]
	v_add_f64_e32 v[10:11], v[12:13], v[10:11]
	v_add_f64_e32 v[12:13], v[165:166], v[171:172]
	v_fma_f64 v[165:166], v[4:5], v[18:19], v[167:168]
	v_fma_f64 v[18:19], v[2:3], v[18:19], -v[20:21]
	ds_load_b128 v[2:5], v1 offset:1904
	v_fma_f64 v[16:17], v[8:9], v[22:23], v[16:17]
	v_fma_f64 v[22:23], v[6:7], v[22:23], -v[24:25]
	ds_load_b128 v[6:9], v1 offset:1920
	v_add_f64_e32 v[10:11], v[10:11], v[14:15]
	v_add_f64_e32 v[12:13], v[12:13], v[169:170]
	s_wait_loadcnt_dscnt 0x301
	v_mul_f64_e32 v[14:15], v[2:3], v[28:29]
	v_mul_f64_e32 v[20:21], v[4:5], v[28:29]
	s_wait_loadcnt_dscnt 0x200
	v_mul_f64_e32 v[24:25], v[8:9], v[32:33]
	v_add_f64_e32 v[10:11], v[10:11], v[18:19]
	v_add_f64_e32 v[12:13], v[12:13], v[165:166]
	v_mul_f64_e32 v[18:19], v[6:7], v[32:33]
	v_fma_f64 v[14:15], v[4:5], v[26:27], v[14:15]
	v_fma_f64 v[20:21], v[2:3], v[26:27], -v[20:21]
	ds_load_b128 v[2:5], v1 offset:1936
	v_fma_f64 v[6:7], v[6:7], v[30:31], -v[24:25]
	v_add_f64_e32 v[10:11], v[10:11], v[22:23]
	v_add_f64_e32 v[12:13], v[12:13], v[16:17]
	s_wait_loadcnt_dscnt 0x100
	v_mul_f64_e32 v[16:17], v[2:3], v[40:41]
	v_mul_f64_e32 v[22:23], v[4:5], v[40:41]
	v_fma_f64 v[8:9], v[8:9], v[30:31], v[18:19]
	v_add_f64_e32 v[10:11], v[10:11], v[20:21]
	v_add_f64_e32 v[12:13], v[12:13], v[14:15]
	v_fma_f64 v[4:5], v[4:5], v[38:39], v[16:17]
	v_fma_f64 v[2:3], v[2:3], v[38:39], -v[22:23]
	s_delay_alu instid0(VALU_DEP_4) | instskip(NEXT) | instid1(VALU_DEP_4)
	v_add_f64_e32 v[6:7], v[10:11], v[6:7]
	v_add_f64_e32 v[8:9], v[12:13], v[8:9]
	s_delay_alu instid0(VALU_DEP_2) | instskip(NEXT) | instid1(VALU_DEP_2)
	v_add_f64_e32 v[2:3], v[6:7], v[2:3]
	v_add_f64_e32 v[4:5], v[8:9], v[4:5]
	s_wait_loadcnt 0x0
	s_delay_alu instid0(VALU_DEP_2) | instskip(NEXT) | instid1(VALU_DEP_2)
	v_add_f64_e64 v[2:3], v[34:35], -v[2:3]
	v_add_f64_e64 v[4:5], v[36:37], -v[4:5]
	scratch_store_b128 off, v[2:5], off offset:672
	v_cmpx_lt_u32_e32 40, v0
	s_cbranch_execz .LBB60_311
; %bb.310:
	scratch_load_b128 v[5:8], off, s31
	v_dual_mov_b32 v2, v1 :: v_dual_mov_b32 v3, v1
	v_mov_b32_e32 v4, v1
	scratch_store_b128 off, v[1:4], off offset:656
	s_wait_loadcnt 0x0
	ds_store_b128 v164, v[5:8]
.LBB60_311:
	s_wait_alu 0xfffe
	s_or_b32 exec_lo, exec_lo, s0
	s_wait_storecnt_dscnt 0x0
	s_barrier_signal -1
	s_barrier_wait -1
	global_inv scope:SCOPE_SE
	s_clause 0x7
	scratch_load_b128 v[2:5], off, off offset:672
	scratch_load_b128 v[6:9], off, off offset:688
	;; [unrolled: 1-line block ×8, first 2 shown]
	ds_load_b128 v[34:37], v1 offset:1632
	ds_load_b128 v[165:168], v1 offset:1648
	s_clause 0x1
	scratch_load_b128 v[38:41], off, off offset:800
	scratch_load_b128 v[169:172], off, off offset:816
	s_mov_b32 s0, exec_lo
	s_wait_loadcnt_dscnt 0x901
	v_mul_f64_e32 v[173:174], v[36:37], v[4:5]
	v_mul_f64_e32 v[4:5], v[34:35], v[4:5]
	s_wait_loadcnt_dscnt 0x800
	v_mul_f64_e32 v[175:176], v[165:166], v[8:9]
	v_mul_f64_e32 v[8:9], v[167:168], v[8:9]
	s_delay_alu instid0(VALU_DEP_4) | instskip(NEXT) | instid1(VALU_DEP_4)
	v_fma_f64 v[173:174], v[34:35], v[2:3], -v[173:174]
	v_fma_f64 v[177:178], v[36:37], v[2:3], v[4:5]
	ds_load_b128 v[2:5], v1 offset:1664
	scratch_load_b128 v[34:37], off, off offset:832
	v_fma_f64 v[175:176], v[167:168], v[6:7], v[175:176]
	v_fma_f64 v[181:182], v[165:166], v[6:7], -v[8:9]
	ds_load_b128 v[6:9], v1 offset:1680
	scratch_load_b128 v[165:168], off, off offset:848
	s_wait_loadcnt_dscnt 0x901
	v_mul_f64_e32 v[179:180], v[2:3], v[12:13]
	v_mul_f64_e32 v[12:13], v[4:5], v[12:13]
	s_wait_loadcnt_dscnt 0x800
	v_mul_f64_e32 v[183:184], v[6:7], v[16:17]
	v_mul_f64_e32 v[16:17], v[8:9], v[16:17]
	v_add_f64_e32 v[173:174], 0, v[173:174]
	v_add_f64_e32 v[177:178], 0, v[177:178]
	v_fma_f64 v[179:180], v[4:5], v[10:11], v[179:180]
	v_fma_f64 v[185:186], v[2:3], v[10:11], -v[12:13]
	scratch_load_b128 v[10:13], off, off offset:864
	ds_load_b128 v[2:5], v1 offset:1696
	v_add_f64_e32 v[173:174], v[173:174], v[181:182]
	v_add_f64_e32 v[175:176], v[177:178], v[175:176]
	v_fma_f64 v[181:182], v[8:9], v[14:15], v[183:184]
	v_fma_f64 v[183:184], v[6:7], v[14:15], -v[16:17]
	ds_load_b128 v[6:9], v1 offset:1712
	scratch_load_b128 v[14:17], off, off offset:880
	s_wait_loadcnt_dscnt 0x901
	v_mul_f64_e32 v[177:178], v[2:3], v[20:21]
	v_mul_f64_e32 v[20:21], v[4:5], v[20:21]
	v_add_f64_e32 v[173:174], v[173:174], v[185:186]
	v_add_f64_e32 v[175:176], v[175:176], v[179:180]
	s_wait_loadcnt_dscnt 0x800
	v_mul_f64_e32 v[179:180], v[6:7], v[24:25]
	v_mul_f64_e32 v[24:25], v[8:9], v[24:25]
	v_fma_f64 v[177:178], v[4:5], v[18:19], v[177:178]
	v_fma_f64 v[185:186], v[2:3], v[18:19], -v[20:21]
	ds_load_b128 v[2:5], v1 offset:1728
	scratch_load_b128 v[18:21], off, off offset:896
	v_add_f64_e32 v[173:174], v[173:174], v[183:184]
	v_add_f64_e32 v[175:176], v[175:176], v[181:182]
	v_fma_f64 v[179:180], v[8:9], v[22:23], v[179:180]
	v_fma_f64 v[183:184], v[6:7], v[22:23], -v[24:25]
	ds_load_b128 v[6:9], v1 offset:1744
	s_wait_loadcnt_dscnt 0x801
	v_mul_f64_e32 v[181:182], v[2:3], v[28:29]
	v_mul_f64_e32 v[28:29], v[4:5], v[28:29]
	scratch_load_b128 v[22:25], off, off offset:912
	v_add_f64_e32 v[173:174], v[173:174], v[185:186]
	v_add_f64_e32 v[175:176], v[175:176], v[177:178]
	s_wait_loadcnt_dscnt 0x800
	v_mul_f64_e32 v[177:178], v[6:7], v[32:33]
	v_mul_f64_e32 v[32:33], v[8:9], v[32:33]
	v_fma_f64 v[181:182], v[4:5], v[26:27], v[181:182]
	v_fma_f64 v[185:186], v[2:3], v[26:27], -v[28:29]
	ds_load_b128 v[2:5], v1 offset:1760
	scratch_load_b128 v[26:29], off, off offset:928
	v_add_f64_e32 v[173:174], v[173:174], v[183:184]
	v_add_f64_e32 v[175:176], v[175:176], v[179:180]
	v_fma_f64 v[177:178], v[8:9], v[30:31], v[177:178]
	v_fma_f64 v[183:184], v[6:7], v[30:31], -v[32:33]
	ds_load_b128 v[6:9], v1 offset:1776
	s_wait_loadcnt_dscnt 0x801
	v_mul_f64_e32 v[179:180], v[2:3], v[40:41]
	v_mul_f64_e32 v[40:41], v[4:5], v[40:41]
	scratch_load_b128 v[30:33], off, off offset:944
	v_add_f64_e32 v[173:174], v[173:174], v[185:186]
	v_add_f64_e32 v[175:176], v[175:176], v[181:182]
	s_wait_loadcnt_dscnt 0x800
	v_mul_f64_e32 v[181:182], v[6:7], v[171:172]
	v_mul_f64_e32 v[171:172], v[8:9], v[171:172]
	v_fma_f64 v[179:180], v[4:5], v[38:39], v[179:180]
	v_fma_f64 v[185:186], v[2:3], v[38:39], -v[40:41]
	ds_load_b128 v[2:5], v1 offset:1792
	scratch_load_b128 v[38:41], off, off offset:960
	v_add_f64_e32 v[173:174], v[173:174], v[183:184]
	v_add_f64_e32 v[175:176], v[175:176], v[177:178]
	v_fma_f64 v[181:182], v[8:9], v[169:170], v[181:182]
	v_fma_f64 v[183:184], v[6:7], v[169:170], -v[171:172]
	ds_load_b128 v[6:9], v1 offset:1808
	scratch_load_b128 v[169:172], off, off offset:976
	s_wait_loadcnt_dscnt 0x901
	v_mul_f64_e32 v[177:178], v[2:3], v[36:37]
	v_mul_f64_e32 v[36:37], v[4:5], v[36:37]
	v_add_f64_e32 v[173:174], v[173:174], v[185:186]
	v_add_f64_e32 v[175:176], v[175:176], v[179:180]
	s_delay_alu instid0(VALU_DEP_4) | instskip(NEXT) | instid1(VALU_DEP_4)
	v_fma_f64 v[177:178], v[4:5], v[34:35], v[177:178]
	v_fma_f64 v[34:35], v[2:3], v[34:35], -v[36:37]
	ds_load_b128 v[2:5], v1 offset:1824
	v_add_f64_e32 v[36:37], v[173:174], v[183:184]
	v_add_f64_e32 v[173:174], v[175:176], v[181:182]
	s_wait_loadcnt_dscnt 0x700
	v_mul_f64_e32 v[175:176], v[2:3], v[12:13]
	v_mul_f64_e32 v[12:13], v[4:5], v[12:13]
	s_delay_alu instid0(VALU_DEP_4) | instskip(NEXT) | instid1(VALU_DEP_4)
	v_add_f64_e32 v[34:35], v[36:37], v[34:35]
	v_add_f64_e32 v[36:37], v[173:174], v[177:178]
	s_delay_alu instid0(VALU_DEP_4) | instskip(NEXT) | instid1(VALU_DEP_4)
	v_fma_f64 v[173:174], v[4:5], v[10:11], v[175:176]
	v_fma_f64 v[175:176], v[2:3], v[10:11], -v[12:13]
	scratch_load_b128 v[10:13], off, off offset:656
	v_mul_f64_e32 v[179:180], v[6:7], v[167:168]
	v_mul_f64_e32 v[167:168], v[8:9], v[167:168]
	ds_load_b128 v[2:5], v1 offset:1856
	v_fma_f64 v[179:180], v[8:9], v[165:166], v[179:180]
	v_fma_f64 v[165:166], v[6:7], v[165:166], -v[167:168]
	ds_load_b128 v[6:9], v1 offset:1840
	s_wait_loadcnt_dscnt 0x700
	v_mul_f64_e32 v[167:168], v[6:7], v[16:17]
	v_mul_f64_e32 v[16:17], v[8:9], v[16:17]
	v_add_f64_e32 v[36:37], v[36:37], v[179:180]
	v_add_f64_e32 v[34:35], v[34:35], v[165:166]
	s_wait_loadcnt 0x6
	v_mul_f64_e32 v[165:166], v[2:3], v[20:21]
	v_mul_f64_e32 v[20:21], v[4:5], v[20:21]
	v_fma_f64 v[167:168], v[8:9], v[14:15], v[167:168]
	v_fma_f64 v[14:15], v[6:7], v[14:15], -v[16:17]
	ds_load_b128 v[6:9], v1 offset:1872
	v_add_f64_e32 v[16:17], v[34:35], v[175:176]
	v_add_f64_e32 v[34:35], v[36:37], v[173:174]
	v_fma_f64 v[165:166], v[4:5], v[18:19], v[165:166]
	v_fma_f64 v[18:19], v[2:3], v[18:19], -v[20:21]
	ds_load_b128 v[2:5], v1 offset:1888
	s_wait_loadcnt_dscnt 0x501
	v_mul_f64_e32 v[36:37], v[6:7], v[24:25]
	v_mul_f64_e32 v[24:25], v[8:9], v[24:25]
	s_wait_loadcnt_dscnt 0x400
	v_mul_f64_e32 v[20:21], v[2:3], v[28:29]
	v_mul_f64_e32 v[28:29], v[4:5], v[28:29]
	v_add_f64_e32 v[14:15], v[16:17], v[14:15]
	v_add_f64_e32 v[16:17], v[34:35], v[167:168]
	v_fma_f64 v[34:35], v[8:9], v[22:23], v[36:37]
	v_fma_f64 v[22:23], v[6:7], v[22:23], -v[24:25]
	ds_load_b128 v[6:9], v1 offset:1904
	v_fma_f64 v[20:21], v[4:5], v[26:27], v[20:21]
	v_fma_f64 v[26:27], v[2:3], v[26:27], -v[28:29]
	ds_load_b128 v[2:5], v1 offset:1920
	s_wait_loadcnt_dscnt 0x301
	v_mul_f64_e32 v[24:25], v[8:9], v[32:33]
	v_add_f64_e32 v[14:15], v[14:15], v[18:19]
	v_add_f64_e32 v[16:17], v[16:17], v[165:166]
	v_mul_f64_e32 v[18:19], v[6:7], v[32:33]
	s_wait_loadcnt_dscnt 0x200
	v_mul_f64_e32 v[28:29], v[4:5], v[40:41]
	v_fma_f64 v[24:25], v[6:7], v[30:31], -v[24:25]
	v_add_f64_e32 v[14:15], v[14:15], v[22:23]
	v_add_f64_e32 v[16:17], v[16:17], v[34:35]
	v_mul_f64_e32 v[22:23], v[2:3], v[40:41]
	v_fma_f64 v[18:19], v[8:9], v[30:31], v[18:19]
	ds_load_b128 v[6:9], v1 offset:1936
	v_fma_f64 v[1:2], v[2:3], v[38:39], -v[28:29]
	v_add_f64_e32 v[14:15], v[14:15], v[26:27]
	v_add_f64_e32 v[16:17], v[16:17], v[20:21]
	s_wait_loadcnt_dscnt 0x100
	v_mul_f64_e32 v[20:21], v[6:7], v[171:172]
	v_mul_f64_e32 v[26:27], v[8:9], v[171:172]
	v_fma_f64 v[4:5], v[4:5], v[38:39], v[22:23]
	v_add_f64_e32 v[14:15], v[14:15], v[24:25]
	v_add_f64_e32 v[16:17], v[16:17], v[18:19]
	v_fma_f64 v[8:9], v[8:9], v[169:170], v[20:21]
	v_fma_f64 v[6:7], v[6:7], v[169:170], -v[26:27]
	s_delay_alu instid0(VALU_DEP_4) | instskip(NEXT) | instid1(VALU_DEP_4)
	v_add_f64_e32 v[1:2], v[14:15], v[1:2]
	v_add_f64_e32 v[3:4], v[16:17], v[4:5]
	s_delay_alu instid0(VALU_DEP_2) | instskip(NEXT) | instid1(VALU_DEP_2)
	v_add_f64_e32 v[1:2], v[1:2], v[6:7]
	v_add_f64_e32 v[3:4], v[3:4], v[8:9]
	s_wait_loadcnt 0x0
	s_delay_alu instid0(VALU_DEP_2) | instskip(NEXT) | instid1(VALU_DEP_2)
	v_add_f64_e64 v[1:2], v[10:11], -v[1:2]
	v_add_f64_e64 v[3:4], v[12:13], -v[3:4]
	scratch_store_b128 off, v[1:4], off offset:656
	v_cmpx_lt_u32_e32 39, v0
	s_cbranch_execz .LBB60_313
; %bb.312:
	scratch_load_b128 v[1:4], off, s33
	v_mov_b32_e32 v5, 0
	s_delay_alu instid0(VALU_DEP_1)
	v_dual_mov_b32 v6, v5 :: v_dual_mov_b32 v7, v5
	v_mov_b32_e32 v8, v5
	scratch_store_b128 off, v[5:8], off offset:640
	s_wait_loadcnt 0x0
	ds_store_b128 v164, v[1:4]
.LBB60_313:
	s_wait_alu 0xfffe
	s_or_b32 exec_lo, exec_lo, s0
	s_wait_storecnt_dscnt 0x0
	s_barrier_signal -1
	s_barrier_wait -1
	global_inv scope:SCOPE_SE
	s_clause 0x7
	scratch_load_b128 v[2:5], off, off offset:656
	scratch_load_b128 v[6:9], off, off offset:672
	;; [unrolled: 1-line block ×8, first 2 shown]
	v_mov_b32_e32 v1, 0
	s_clause 0x1
	scratch_load_b128 v[38:41], off, off offset:784
	scratch_load_b128 v[169:172], off, off offset:800
	s_mov_b32 s0, exec_lo
	ds_load_b128 v[34:37], v1 offset:1616
	ds_load_b128 v[165:168], v1 offset:1632
	s_wait_loadcnt_dscnt 0x901
	v_mul_f64_e32 v[173:174], v[36:37], v[4:5]
	v_mul_f64_e32 v[4:5], v[34:35], v[4:5]
	s_wait_loadcnt_dscnt 0x800
	v_mul_f64_e32 v[175:176], v[165:166], v[8:9]
	v_mul_f64_e32 v[8:9], v[167:168], v[8:9]
	s_delay_alu instid0(VALU_DEP_4) | instskip(NEXT) | instid1(VALU_DEP_4)
	v_fma_f64 v[173:174], v[34:35], v[2:3], -v[173:174]
	v_fma_f64 v[177:178], v[36:37], v[2:3], v[4:5]
	ds_load_b128 v[2:5], v1 offset:1648
	scratch_load_b128 v[34:37], off, off offset:816
	v_fma_f64 v[175:176], v[167:168], v[6:7], v[175:176]
	v_fma_f64 v[181:182], v[165:166], v[6:7], -v[8:9]
	ds_load_b128 v[6:9], v1 offset:1664
	scratch_load_b128 v[165:168], off, off offset:832
	s_wait_loadcnt_dscnt 0x901
	v_mul_f64_e32 v[179:180], v[2:3], v[12:13]
	v_mul_f64_e32 v[12:13], v[4:5], v[12:13]
	s_wait_loadcnt_dscnt 0x800
	v_mul_f64_e32 v[183:184], v[6:7], v[16:17]
	v_mul_f64_e32 v[16:17], v[8:9], v[16:17]
	v_add_f64_e32 v[173:174], 0, v[173:174]
	v_add_f64_e32 v[177:178], 0, v[177:178]
	v_fma_f64 v[179:180], v[4:5], v[10:11], v[179:180]
	v_fma_f64 v[185:186], v[2:3], v[10:11], -v[12:13]
	ds_load_b128 v[2:5], v1 offset:1680
	scratch_load_b128 v[10:13], off, off offset:848
	v_add_f64_e32 v[173:174], v[173:174], v[181:182]
	v_add_f64_e32 v[175:176], v[177:178], v[175:176]
	v_fma_f64 v[181:182], v[8:9], v[14:15], v[183:184]
	v_fma_f64 v[183:184], v[6:7], v[14:15], -v[16:17]
	ds_load_b128 v[6:9], v1 offset:1696
	scratch_load_b128 v[14:17], off, off offset:864
	s_wait_loadcnt_dscnt 0x901
	v_mul_f64_e32 v[177:178], v[2:3], v[20:21]
	v_mul_f64_e32 v[20:21], v[4:5], v[20:21]
	v_add_f64_e32 v[173:174], v[173:174], v[185:186]
	v_add_f64_e32 v[175:176], v[175:176], v[179:180]
	s_wait_loadcnt_dscnt 0x800
	v_mul_f64_e32 v[179:180], v[6:7], v[24:25]
	v_mul_f64_e32 v[24:25], v[8:9], v[24:25]
	v_fma_f64 v[177:178], v[4:5], v[18:19], v[177:178]
	v_fma_f64 v[185:186], v[2:3], v[18:19], -v[20:21]
	ds_load_b128 v[2:5], v1 offset:1712
	scratch_load_b128 v[18:21], off, off offset:880
	v_add_f64_e32 v[173:174], v[173:174], v[183:184]
	v_add_f64_e32 v[175:176], v[175:176], v[181:182]
	v_fma_f64 v[179:180], v[8:9], v[22:23], v[179:180]
	v_fma_f64 v[183:184], v[6:7], v[22:23], -v[24:25]
	ds_load_b128 v[6:9], v1 offset:1728
	s_wait_loadcnt_dscnt 0x801
	v_mul_f64_e32 v[181:182], v[2:3], v[28:29]
	v_mul_f64_e32 v[28:29], v[4:5], v[28:29]
	scratch_load_b128 v[22:25], off, off offset:896
	v_add_f64_e32 v[173:174], v[173:174], v[185:186]
	v_add_f64_e32 v[175:176], v[175:176], v[177:178]
	s_wait_loadcnt_dscnt 0x800
	v_mul_f64_e32 v[177:178], v[6:7], v[32:33]
	v_mul_f64_e32 v[32:33], v[8:9], v[32:33]
	v_fma_f64 v[181:182], v[4:5], v[26:27], v[181:182]
	v_fma_f64 v[185:186], v[2:3], v[26:27], -v[28:29]
	ds_load_b128 v[2:5], v1 offset:1744
	scratch_load_b128 v[26:29], off, off offset:912
	v_add_f64_e32 v[173:174], v[173:174], v[183:184]
	v_add_f64_e32 v[175:176], v[175:176], v[179:180]
	v_fma_f64 v[177:178], v[8:9], v[30:31], v[177:178]
	v_fma_f64 v[183:184], v[6:7], v[30:31], -v[32:33]
	ds_load_b128 v[6:9], v1 offset:1760
	s_wait_loadcnt_dscnt 0x801
	v_mul_f64_e32 v[179:180], v[2:3], v[40:41]
	v_mul_f64_e32 v[40:41], v[4:5], v[40:41]
	scratch_load_b128 v[30:33], off, off offset:928
	v_add_f64_e32 v[173:174], v[173:174], v[185:186]
	v_add_f64_e32 v[175:176], v[175:176], v[181:182]
	s_wait_loadcnt_dscnt 0x800
	v_mul_f64_e32 v[181:182], v[6:7], v[171:172]
	v_mul_f64_e32 v[171:172], v[8:9], v[171:172]
	v_fma_f64 v[179:180], v[4:5], v[38:39], v[179:180]
	v_fma_f64 v[185:186], v[2:3], v[38:39], -v[40:41]
	ds_load_b128 v[2:5], v1 offset:1776
	scratch_load_b128 v[38:41], off, off offset:944
	v_add_f64_e32 v[173:174], v[173:174], v[183:184]
	v_add_f64_e32 v[175:176], v[175:176], v[177:178]
	v_fma_f64 v[181:182], v[8:9], v[169:170], v[181:182]
	v_fma_f64 v[183:184], v[6:7], v[169:170], -v[171:172]
	ds_load_b128 v[6:9], v1 offset:1792
	scratch_load_b128 v[169:172], off, off offset:960
	s_wait_loadcnt_dscnt 0x901
	v_mul_f64_e32 v[177:178], v[2:3], v[36:37]
	v_mul_f64_e32 v[36:37], v[4:5], v[36:37]
	v_add_f64_e32 v[173:174], v[173:174], v[185:186]
	v_add_f64_e32 v[175:176], v[175:176], v[179:180]
	s_wait_loadcnt_dscnt 0x800
	v_mul_f64_e32 v[179:180], v[6:7], v[167:168]
	v_mul_f64_e32 v[167:168], v[8:9], v[167:168]
	v_fma_f64 v[177:178], v[4:5], v[34:35], v[177:178]
	v_fma_f64 v[185:186], v[2:3], v[34:35], -v[36:37]
	ds_load_b128 v[2:5], v1 offset:1808
	scratch_load_b128 v[34:37], off, off offset:976
	v_add_f64_e32 v[173:174], v[173:174], v[183:184]
	v_add_f64_e32 v[175:176], v[175:176], v[181:182]
	v_fma_f64 v[179:180], v[8:9], v[165:166], v[179:180]
	v_fma_f64 v[165:166], v[6:7], v[165:166], -v[167:168]
	ds_load_b128 v[6:9], v1 offset:1824
	s_wait_loadcnt_dscnt 0x801
	v_mul_f64_e32 v[181:182], v[2:3], v[12:13]
	v_mul_f64_e32 v[12:13], v[4:5], v[12:13]
	v_add_f64_e32 v[167:168], v[173:174], v[185:186]
	v_add_f64_e32 v[173:174], v[175:176], v[177:178]
	s_wait_loadcnt_dscnt 0x700
	v_mul_f64_e32 v[175:176], v[6:7], v[16:17]
	v_mul_f64_e32 v[16:17], v[8:9], v[16:17]
	v_fma_f64 v[177:178], v[4:5], v[10:11], v[181:182]
	v_fma_f64 v[10:11], v[2:3], v[10:11], -v[12:13]
	ds_load_b128 v[2:5], v1 offset:1840
	v_add_f64_e32 v[12:13], v[167:168], v[165:166]
	v_add_f64_e32 v[165:166], v[173:174], v[179:180]
	v_fma_f64 v[173:174], v[8:9], v[14:15], v[175:176]
	v_fma_f64 v[14:15], v[6:7], v[14:15], -v[16:17]
	ds_load_b128 v[6:9], v1 offset:1856
	s_wait_loadcnt_dscnt 0x500
	v_mul_f64_e32 v[175:176], v[6:7], v[24:25]
	v_mul_f64_e32 v[24:25], v[8:9], v[24:25]
	v_add_f64_e32 v[16:17], v[12:13], v[10:11]
	v_add_f64_e32 v[165:166], v[165:166], v[177:178]
	scratch_load_b128 v[10:13], off, off offset:640
	v_mul_f64_e32 v[167:168], v[2:3], v[20:21]
	v_mul_f64_e32 v[20:21], v[4:5], v[20:21]
	v_add_f64_e32 v[14:15], v[16:17], v[14:15]
	v_add_f64_e32 v[16:17], v[165:166], v[173:174]
	v_fma_f64 v[165:166], v[8:9], v[22:23], v[175:176]
	v_fma_f64 v[167:168], v[4:5], v[18:19], v[167:168]
	v_fma_f64 v[18:19], v[2:3], v[18:19], -v[20:21]
	ds_load_b128 v[2:5], v1 offset:1872
	v_fma_f64 v[22:23], v[6:7], v[22:23], -v[24:25]
	ds_load_b128 v[6:9], v1 offset:1888
	s_wait_loadcnt_dscnt 0x501
	v_mul_f64_e32 v[20:21], v[2:3], v[28:29]
	v_mul_f64_e32 v[28:29], v[4:5], v[28:29]
	s_wait_loadcnt_dscnt 0x400
	v_mul_f64_e32 v[24:25], v[8:9], v[32:33]
	v_add_f64_e32 v[16:17], v[16:17], v[167:168]
	v_add_f64_e32 v[14:15], v[14:15], v[18:19]
	v_mul_f64_e32 v[18:19], v[6:7], v[32:33]
	v_fma_f64 v[20:21], v[4:5], v[26:27], v[20:21]
	v_fma_f64 v[26:27], v[2:3], v[26:27], -v[28:29]
	ds_load_b128 v[2:5], v1 offset:1904
	v_fma_f64 v[24:25], v[6:7], v[30:31], -v[24:25]
	v_add_f64_e32 v[16:17], v[16:17], v[165:166]
	v_add_f64_e32 v[14:15], v[14:15], v[22:23]
	v_fma_f64 v[18:19], v[8:9], v[30:31], v[18:19]
	ds_load_b128 v[6:9], v1 offset:1920
	s_wait_loadcnt_dscnt 0x301
	v_mul_f64_e32 v[22:23], v[2:3], v[40:41]
	v_mul_f64_e32 v[28:29], v[4:5], v[40:41]
	v_add_f64_e32 v[16:17], v[16:17], v[20:21]
	v_add_f64_e32 v[14:15], v[14:15], v[26:27]
	s_wait_loadcnt_dscnt 0x200
	v_mul_f64_e32 v[20:21], v[6:7], v[171:172]
	v_mul_f64_e32 v[26:27], v[8:9], v[171:172]
	v_fma_f64 v[22:23], v[4:5], v[38:39], v[22:23]
	v_fma_f64 v[28:29], v[2:3], v[38:39], -v[28:29]
	ds_load_b128 v[2:5], v1 offset:1936
	v_add_f64_e32 v[16:17], v[16:17], v[18:19]
	v_add_f64_e32 v[14:15], v[14:15], v[24:25]
	s_wait_loadcnt_dscnt 0x100
	v_mul_f64_e32 v[18:19], v[2:3], v[36:37]
	v_mul_f64_e32 v[24:25], v[4:5], v[36:37]
	v_fma_f64 v[8:9], v[8:9], v[169:170], v[20:21]
	v_fma_f64 v[6:7], v[6:7], v[169:170], -v[26:27]
	v_add_f64_e32 v[16:17], v[16:17], v[22:23]
	v_add_f64_e32 v[14:15], v[14:15], v[28:29]
	v_fma_f64 v[4:5], v[4:5], v[34:35], v[18:19]
	v_fma_f64 v[2:3], v[2:3], v[34:35], -v[24:25]
	s_delay_alu instid0(VALU_DEP_4) | instskip(NEXT) | instid1(VALU_DEP_4)
	v_add_f64_e32 v[8:9], v[16:17], v[8:9]
	v_add_f64_e32 v[6:7], v[14:15], v[6:7]
	s_delay_alu instid0(VALU_DEP_2) | instskip(NEXT) | instid1(VALU_DEP_2)
	v_add_f64_e32 v[4:5], v[8:9], v[4:5]
	v_add_f64_e32 v[2:3], v[6:7], v[2:3]
	s_wait_loadcnt 0x0
	s_delay_alu instid0(VALU_DEP_2) | instskip(NEXT) | instid1(VALU_DEP_2)
	v_add_f64_e64 v[4:5], v[12:13], -v[4:5]
	v_add_f64_e64 v[2:3], v[10:11], -v[2:3]
	scratch_store_b128 off, v[2:5], off offset:640
	v_cmpx_lt_u32_e32 38, v0
	s_cbranch_execz .LBB60_315
; %bb.314:
	scratch_load_b128 v[5:8], off, s34
	v_dual_mov_b32 v2, v1 :: v_dual_mov_b32 v3, v1
	v_mov_b32_e32 v4, v1
	scratch_store_b128 off, v[1:4], off offset:624
	s_wait_loadcnt 0x0
	ds_store_b128 v164, v[5:8]
.LBB60_315:
	s_wait_alu 0xfffe
	s_or_b32 exec_lo, exec_lo, s0
	s_wait_storecnt_dscnt 0x0
	s_barrier_signal -1
	s_barrier_wait -1
	global_inv scope:SCOPE_SE
	s_clause 0x7
	scratch_load_b128 v[2:5], off, off offset:640
	scratch_load_b128 v[6:9], off, off offset:656
	;; [unrolled: 1-line block ×8, first 2 shown]
	ds_load_b128 v[34:37], v1 offset:1600
	ds_load_b128 v[165:168], v1 offset:1616
	s_clause 0x1
	scratch_load_b128 v[38:41], off, off offset:768
	scratch_load_b128 v[169:172], off, off offset:784
	s_mov_b32 s0, exec_lo
	s_wait_loadcnt_dscnt 0x901
	v_mul_f64_e32 v[173:174], v[36:37], v[4:5]
	v_mul_f64_e32 v[4:5], v[34:35], v[4:5]
	s_wait_loadcnt_dscnt 0x800
	v_mul_f64_e32 v[175:176], v[165:166], v[8:9]
	v_mul_f64_e32 v[8:9], v[167:168], v[8:9]
	s_delay_alu instid0(VALU_DEP_4) | instskip(NEXT) | instid1(VALU_DEP_4)
	v_fma_f64 v[173:174], v[34:35], v[2:3], -v[173:174]
	v_fma_f64 v[177:178], v[36:37], v[2:3], v[4:5]
	ds_load_b128 v[2:5], v1 offset:1632
	scratch_load_b128 v[34:37], off, off offset:800
	v_fma_f64 v[175:176], v[167:168], v[6:7], v[175:176]
	v_fma_f64 v[181:182], v[165:166], v[6:7], -v[8:9]
	ds_load_b128 v[6:9], v1 offset:1648
	scratch_load_b128 v[165:168], off, off offset:816
	s_wait_loadcnt_dscnt 0x901
	v_mul_f64_e32 v[179:180], v[2:3], v[12:13]
	v_mul_f64_e32 v[12:13], v[4:5], v[12:13]
	s_wait_loadcnt_dscnt 0x800
	v_mul_f64_e32 v[183:184], v[6:7], v[16:17]
	v_mul_f64_e32 v[16:17], v[8:9], v[16:17]
	v_add_f64_e32 v[173:174], 0, v[173:174]
	v_add_f64_e32 v[177:178], 0, v[177:178]
	v_fma_f64 v[179:180], v[4:5], v[10:11], v[179:180]
	v_fma_f64 v[185:186], v[2:3], v[10:11], -v[12:13]
	ds_load_b128 v[2:5], v1 offset:1664
	scratch_load_b128 v[10:13], off, off offset:832
	v_add_f64_e32 v[173:174], v[173:174], v[181:182]
	v_add_f64_e32 v[175:176], v[177:178], v[175:176]
	v_fma_f64 v[181:182], v[8:9], v[14:15], v[183:184]
	v_fma_f64 v[183:184], v[6:7], v[14:15], -v[16:17]
	ds_load_b128 v[6:9], v1 offset:1680
	scratch_load_b128 v[14:17], off, off offset:848
	s_wait_loadcnt_dscnt 0x901
	v_mul_f64_e32 v[177:178], v[2:3], v[20:21]
	v_mul_f64_e32 v[20:21], v[4:5], v[20:21]
	v_add_f64_e32 v[173:174], v[173:174], v[185:186]
	v_add_f64_e32 v[175:176], v[175:176], v[179:180]
	s_wait_loadcnt_dscnt 0x800
	v_mul_f64_e32 v[179:180], v[6:7], v[24:25]
	v_mul_f64_e32 v[24:25], v[8:9], v[24:25]
	v_fma_f64 v[177:178], v[4:5], v[18:19], v[177:178]
	v_fma_f64 v[185:186], v[2:3], v[18:19], -v[20:21]
	ds_load_b128 v[2:5], v1 offset:1696
	scratch_load_b128 v[18:21], off, off offset:864
	v_add_f64_e32 v[173:174], v[173:174], v[183:184]
	v_add_f64_e32 v[175:176], v[175:176], v[181:182]
	v_fma_f64 v[179:180], v[8:9], v[22:23], v[179:180]
	v_fma_f64 v[183:184], v[6:7], v[22:23], -v[24:25]
	ds_load_b128 v[6:9], v1 offset:1712
	s_wait_loadcnt_dscnt 0x801
	v_mul_f64_e32 v[181:182], v[2:3], v[28:29]
	v_mul_f64_e32 v[28:29], v[4:5], v[28:29]
	scratch_load_b128 v[22:25], off, off offset:880
	v_add_f64_e32 v[173:174], v[173:174], v[185:186]
	v_add_f64_e32 v[175:176], v[175:176], v[177:178]
	s_wait_loadcnt_dscnt 0x800
	v_mul_f64_e32 v[177:178], v[6:7], v[32:33]
	v_mul_f64_e32 v[32:33], v[8:9], v[32:33]
	v_fma_f64 v[181:182], v[4:5], v[26:27], v[181:182]
	v_fma_f64 v[185:186], v[2:3], v[26:27], -v[28:29]
	ds_load_b128 v[2:5], v1 offset:1728
	scratch_load_b128 v[26:29], off, off offset:896
	v_add_f64_e32 v[173:174], v[173:174], v[183:184]
	v_add_f64_e32 v[175:176], v[175:176], v[179:180]
	v_fma_f64 v[177:178], v[8:9], v[30:31], v[177:178]
	v_fma_f64 v[183:184], v[6:7], v[30:31], -v[32:33]
	ds_load_b128 v[6:9], v1 offset:1744
	s_wait_loadcnt_dscnt 0x801
	v_mul_f64_e32 v[179:180], v[2:3], v[40:41]
	v_mul_f64_e32 v[40:41], v[4:5], v[40:41]
	scratch_load_b128 v[30:33], off, off offset:912
	v_add_f64_e32 v[173:174], v[173:174], v[185:186]
	v_add_f64_e32 v[175:176], v[175:176], v[181:182]
	s_wait_loadcnt_dscnt 0x800
	v_mul_f64_e32 v[181:182], v[6:7], v[171:172]
	v_mul_f64_e32 v[171:172], v[8:9], v[171:172]
	v_fma_f64 v[179:180], v[4:5], v[38:39], v[179:180]
	v_fma_f64 v[185:186], v[2:3], v[38:39], -v[40:41]
	ds_load_b128 v[2:5], v1 offset:1760
	scratch_load_b128 v[38:41], off, off offset:928
	v_add_f64_e32 v[173:174], v[173:174], v[183:184]
	v_add_f64_e32 v[175:176], v[175:176], v[177:178]
	v_fma_f64 v[181:182], v[8:9], v[169:170], v[181:182]
	v_fma_f64 v[183:184], v[6:7], v[169:170], -v[171:172]
	ds_load_b128 v[6:9], v1 offset:1776
	scratch_load_b128 v[169:172], off, off offset:944
	s_wait_loadcnt_dscnt 0x901
	v_mul_f64_e32 v[177:178], v[2:3], v[36:37]
	v_mul_f64_e32 v[36:37], v[4:5], v[36:37]
	v_add_f64_e32 v[173:174], v[173:174], v[185:186]
	v_add_f64_e32 v[175:176], v[175:176], v[179:180]
	s_wait_loadcnt_dscnt 0x800
	v_mul_f64_e32 v[179:180], v[6:7], v[167:168]
	v_mul_f64_e32 v[167:168], v[8:9], v[167:168]
	v_fma_f64 v[177:178], v[4:5], v[34:35], v[177:178]
	v_fma_f64 v[185:186], v[2:3], v[34:35], -v[36:37]
	ds_load_b128 v[2:5], v1 offset:1792
	scratch_load_b128 v[34:37], off, off offset:960
	v_add_f64_e32 v[173:174], v[173:174], v[183:184]
	v_add_f64_e32 v[175:176], v[175:176], v[181:182]
	v_fma_f64 v[179:180], v[8:9], v[165:166], v[179:180]
	v_fma_f64 v[183:184], v[6:7], v[165:166], -v[167:168]
	ds_load_b128 v[6:9], v1 offset:1808
	s_wait_loadcnt_dscnt 0x801
	v_mul_f64_e32 v[181:182], v[2:3], v[12:13]
	v_mul_f64_e32 v[12:13], v[4:5], v[12:13]
	scratch_load_b128 v[165:168], off, off offset:976
	v_add_f64_e32 v[173:174], v[173:174], v[185:186]
	v_add_f64_e32 v[175:176], v[175:176], v[177:178]
	s_wait_loadcnt_dscnt 0x800
	v_mul_f64_e32 v[177:178], v[6:7], v[16:17]
	v_mul_f64_e32 v[16:17], v[8:9], v[16:17]
	v_fma_f64 v[181:182], v[4:5], v[10:11], v[181:182]
	v_fma_f64 v[10:11], v[2:3], v[10:11], -v[12:13]
	ds_load_b128 v[2:5], v1 offset:1824
	v_add_f64_e32 v[12:13], v[173:174], v[183:184]
	v_add_f64_e32 v[173:174], v[175:176], v[179:180]
	v_fma_f64 v[177:178], v[8:9], v[14:15], v[177:178]
	v_fma_f64 v[14:15], v[6:7], v[14:15], -v[16:17]
	ds_load_b128 v[6:9], v1 offset:1840
	s_wait_loadcnt_dscnt 0x701
	v_mul_f64_e32 v[175:176], v[2:3], v[20:21]
	v_mul_f64_e32 v[20:21], v[4:5], v[20:21]
	v_add_f64_e32 v[10:11], v[12:13], v[10:11]
	v_add_f64_e32 v[12:13], v[173:174], v[181:182]
	s_delay_alu instid0(VALU_DEP_4) | instskip(NEXT) | instid1(VALU_DEP_4)
	v_fma_f64 v[173:174], v[4:5], v[18:19], v[175:176]
	v_fma_f64 v[18:19], v[2:3], v[18:19], -v[20:21]
	ds_load_b128 v[2:5], v1 offset:1856
	v_add_f64_e32 v[14:15], v[10:11], v[14:15]
	v_add_f64_e32 v[20:21], v[12:13], v[177:178]
	scratch_load_b128 v[10:13], off, off offset:624
	s_wait_loadcnt_dscnt 0x701
	v_mul_f64_e32 v[16:17], v[6:7], v[24:25]
	v_mul_f64_e32 v[24:25], v[8:9], v[24:25]
	v_add_f64_e32 v[14:15], v[14:15], v[18:19]
	v_add_f64_e32 v[18:19], v[20:21], v[173:174]
	s_delay_alu instid0(VALU_DEP_4) | instskip(NEXT) | instid1(VALU_DEP_4)
	v_fma_f64 v[16:17], v[8:9], v[22:23], v[16:17]
	v_fma_f64 v[22:23], v[6:7], v[22:23], -v[24:25]
	ds_load_b128 v[6:9], v1 offset:1872
	s_wait_loadcnt_dscnt 0x601
	v_mul_f64_e32 v[175:176], v[2:3], v[28:29]
	v_mul_f64_e32 v[28:29], v[4:5], v[28:29]
	s_wait_loadcnt_dscnt 0x500
	v_mul_f64_e32 v[20:21], v[6:7], v[32:33]
	v_mul_f64_e32 v[24:25], v[8:9], v[32:33]
	v_add_f64_e32 v[16:17], v[18:19], v[16:17]
	v_add_f64_e32 v[14:15], v[14:15], v[22:23]
	v_fma_f64 v[32:33], v[4:5], v[26:27], v[175:176]
	v_fma_f64 v[26:27], v[2:3], v[26:27], -v[28:29]
	ds_load_b128 v[2:5], v1 offset:1888
	v_fma_f64 v[20:21], v[8:9], v[30:31], v[20:21]
	v_fma_f64 v[24:25], v[6:7], v[30:31], -v[24:25]
	ds_load_b128 v[6:9], v1 offset:1904
	s_wait_loadcnt_dscnt 0x401
	v_mul_f64_e32 v[18:19], v[2:3], v[40:41]
	v_mul_f64_e32 v[22:23], v[4:5], v[40:41]
	v_add_f64_e32 v[16:17], v[16:17], v[32:33]
	v_add_f64_e32 v[14:15], v[14:15], v[26:27]
	s_wait_loadcnt_dscnt 0x300
	v_mul_f64_e32 v[26:27], v[6:7], v[171:172]
	v_mul_f64_e32 v[28:29], v[8:9], v[171:172]
	v_fma_f64 v[18:19], v[4:5], v[38:39], v[18:19]
	v_fma_f64 v[22:23], v[2:3], v[38:39], -v[22:23]
	ds_load_b128 v[2:5], v1 offset:1920
	v_add_f64_e32 v[16:17], v[16:17], v[20:21]
	v_add_f64_e32 v[14:15], v[14:15], v[24:25]
	v_fma_f64 v[26:27], v[8:9], v[169:170], v[26:27]
	v_fma_f64 v[28:29], v[6:7], v[169:170], -v[28:29]
	ds_load_b128 v[6:9], v1 offset:1936
	s_wait_loadcnt_dscnt 0x201
	v_mul_f64_e32 v[20:21], v[2:3], v[36:37]
	v_mul_f64_e32 v[24:25], v[4:5], v[36:37]
	v_add_f64_e32 v[16:17], v[16:17], v[18:19]
	v_add_f64_e32 v[14:15], v[14:15], v[22:23]
	s_wait_loadcnt_dscnt 0x100
	v_mul_f64_e32 v[18:19], v[6:7], v[167:168]
	v_mul_f64_e32 v[22:23], v[8:9], v[167:168]
	v_fma_f64 v[4:5], v[4:5], v[34:35], v[20:21]
	v_fma_f64 v[1:2], v[2:3], v[34:35], -v[24:25]
	v_add_f64_e32 v[16:17], v[16:17], v[26:27]
	v_add_f64_e32 v[14:15], v[14:15], v[28:29]
	v_fma_f64 v[8:9], v[8:9], v[165:166], v[18:19]
	v_fma_f64 v[6:7], v[6:7], v[165:166], -v[22:23]
	s_delay_alu instid0(VALU_DEP_4) | instskip(NEXT) | instid1(VALU_DEP_4)
	v_add_f64_e32 v[3:4], v[16:17], v[4:5]
	v_add_f64_e32 v[1:2], v[14:15], v[1:2]
	s_delay_alu instid0(VALU_DEP_2) | instskip(NEXT) | instid1(VALU_DEP_2)
	v_add_f64_e32 v[3:4], v[3:4], v[8:9]
	v_add_f64_e32 v[1:2], v[1:2], v[6:7]
	s_wait_loadcnt 0x0
	s_delay_alu instid0(VALU_DEP_2) | instskip(NEXT) | instid1(VALU_DEP_2)
	v_add_f64_e64 v[3:4], v[12:13], -v[3:4]
	v_add_f64_e64 v[1:2], v[10:11], -v[1:2]
	scratch_store_b128 off, v[1:4], off offset:624
	v_cmpx_lt_u32_e32 37, v0
	s_cbranch_execz .LBB60_317
; %bb.316:
	scratch_load_b128 v[1:4], off, s35
	v_mov_b32_e32 v5, 0
	s_delay_alu instid0(VALU_DEP_1)
	v_dual_mov_b32 v6, v5 :: v_dual_mov_b32 v7, v5
	v_mov_b32_e32 v8, v5
	scratch_store_b128 off, v[5:8], off offset:608
	s_wait_loadcnt 0x0
	ds_store_b128 v164, v[1:4]
.LBB60_317:
	s_wait_alu 0xfffe
	s_or_b32 exec_lo, exec_lo, s0
	s_wait_storecnt_dscnt 0x0
	s_barrier_signal -1
	s_barrier_wait -1
	global_inv scope:SCOPE_SE
	s_clause 0x7
	scratch_load_b128 v[2:5], off, off offset:624
	scratch_load_b128 v[6:9], off, off offset:640
	;; [unrolled: 1-line block ×8, first 2 shown]
	v_mov_b32_e32 v1, 0
	s_clause 0x1
	scratch_load_b128 v[38:41], off, off offset:752
	scratch_load_b128 v[169:172], off, off offset:768
	s_mov_b32 s0, exec_lo
	ds_load_b128 v[34:37], v1 offset:1584
	ds_load_b128 v[165:168], v1 offset:1600
	s_wait_loadcnt_dscnt 0x901
	v_mul_f64_e32 v[173:174], v[36:37], v[4:5]
	v_mul_f64_e32 v[4:5], v[34:35], v[4:5]
	s_wait_loadcnt_dscnt 0x800
	v_mul_f64_e32 v[175:176], v[165:166], v[8:9]
	v_mul_f64_e32 v[8:9], v[167:168], v[8:9]
	s_delay_alu instid0(VALU_DEP_4) | instskip(NEXT) | instid1(VALU_DEP_4)
	v_fma_f64 v[173:174], v[34:35], v[2:3], -v[173:174]
	v_fma_f64 v[177:178], v[36:37], v[2:3], v[4:5]
	ds_load_b128 v[2:5], v1 offset:1616
	scratch_load_b128 v[34:37], off, off offset:784
	v_fma_f64 v[175:176], v[167:168], v[6:7], v[175:176]
	v_fma_f64 v[181:182], v[165:166], v[6:7], -v[8:9]
	ds_load_b128 v[6:9], v1 offset:1632
	scratch_load_b128 v[165:168], off, off offset:800
	s_wait_loadcnt_dscnt 0x901
	v_mul_f64_e32 v[179:180], v[2:3], v[12:13]
	v_mul_f64_e32 v[12:13], v[4:5], v[12:13]
	s_wait_loadcnt_dscnt 0x800
	v_mul_f64_e32 v[183:184], v[6:7], v[16:17]
	v_mul_f64_e32 v[16:17], v[8:9], v[16:17]
	v_add_f64_e32 v[173:174], 0, v[173:174]
	v_add_f64_e32 v[177:178], 0, v[177:178]
	v_fma_f64 v[179:180], v[4:5], v[10:11], v[179:180]
	v_fma_f64 v[185:186], v[2:3], v[10:11], -v[12:13]
	ds_load_b128 v[2:5], v1 offset:1648
	scratch_load_b128 v[10:13], off, off offset:816
	v_add_f64_e32 v[173:174], v[173:174], v[181:182]
	v_add_f64_e32 v[175:176], v[177:178], v[175:176]
	v_fma_f64 v[181:182], v[8:9], v[14:15], v[183:184]
	v_fma_f64 v[183:184], v[6:7], v[14:15], -v[16:17]
	ds_load_b128 v[6:9], v1 offset:1664
	scratch_load_b128 v[14:17], off, off offset:832
	s_wait_loadcnt_dscnt 0x901
	v_mul_f64_e32 v[177:178], v[2:3], v[20:21]
	v_mul_f64_e32 v[20:21], v[4:5], v[20:21]
	v_add_f64_e32 v[173:174], v[173:174], v[185:186]
	v_add_f64_e32 v[175:176], v[175:176], v[179:180]
	s_wait_loadcnt_dscnt 0x800
	v_mul_f64_e32 v[179:180], v[6:7], v[24:25]
	v_mul_f64_e32 v[24:25], v[8:9], v[24:25]
	v_fma_f64 v[177:178], v[4:5], v[18:19], v[177:178]
	v_fma_f64 v[185:186], v[2:3], v[18:19], -v[20:21]
	ds_load_b128 v[2:5], v1 offset:1680
	scratch_load_b128 v[18:21], off, off offset:848
	v_add_f64_e32 v[173:174], v[173:174], v[183:184]
	v_add_f64_e32 v[175:176], v[175:176], v[181:182]
	v_fma_f64 v[179:180], v[8:9], v[22:23], v[179:180]
	v_fma_f64 v[183:184], v[6:7], v[22:23], -v[24:25]
	ds_load_b128 v[6:9], v1 offset:1696
	s_wait_loadcnt_dscnt 0x801
	v_mul_f64_e32 v[181:182], v[2:3], v[28:29]
	v_mul_f64_e32 v[28:29], v[4:5], v[28:29]
	scratch_load_b128 v[22:25], off, off offset:864
	v_add_f64_e32 v[173:174], v[173:174], v[185:186]
	v_add_f64_e32 v[175:176], v[175:176], v[177:178]
	s_wait_loadcnt_dscnt 0x800
	v_mul_f64_e32 v[177:178], v[6:7], v[32:33]
	v_mul_f64_e32 v[32:33], v[8:9], v[32:33]
	v_fma_f64 v[181:182], v[4:5], v[26:27], v[181:182]
	v_fma_f64 v[185:186], v[2:3], v[26:27], -v[28:29]
	ds_load_b128 v[2:5], v1 offset:1712
	scratch_load_b128 v[26:29], off, off offset:880
	v_add_f64_e32 v[173:174], v[173:174], v[183:184]
	v_add_f64_e32 v[175:176], v[175:176], v[179:180]
	v_fma_f64 v[177:178], v[8:9], v[30:31], v[177:178]
	v_fma_f64 v[183:184], v[6:7], v[30:31], -v[32:33]
	ds_load_b128 v[6:9], v1 offset:1728
	s_wait_loadcnt_dscnt 0x801
	v_mul_f64_e32 v[179:180], v[2:3], v[40:41]
	v_mul_f64_e32 v[40:41], v[4:5], v[40:41]
	scratch_load_b128 v[30:33], off, off offset:896
	v_add_f64_e32 v[173:174], v[173:174], v[185:186]
	v_add_f64_e32 v[175:176], v[175:176], v[181:182]
	s_wait_loadcnt_dscnt 0x800
	v_mul_f64_e32 v[181:182], v[6:7], v[171:172]
	v_mul_f64_e32 v[171:172], v[8:9], v[171:172]
	v_fma_f64 v[179:180], v[4:5], v[38:39], v[179:180]
	v_fma_f64 v[185:186], v[2:3], v[38:39], -v[40:41]
	ds_load_b128 v[2:5], v1 offset:1744
	scratch_load_b128 v[38:41], off, off offset:912
	v_add_f64_e32 v[173:174], v[173:174], v[183:184]
	v_add_f64_e32 v[175:176], v[175:176], v[177:178]
	v_fma_f64 v[181:182], v[8:9], v[169:170], v[181:182]
	v_fma_f64 v[183:184], v[6:7], v[169:170], -v[171:172]
	ds_load_b128 v[6:9], v1 offset:1760
	scratch_load_b128 v[169:172], off, off offset:928
	s_wait_loadcnt_dscnt 0x901
	v_mul_f64_e32 v[177:178], v[2:3], v[36:37]
	v_mul_f64_e32 v[36:37], v[4:5], v[36:37]
	v_add_f64_e32 v[173:174], v[173:174], v[185:186]
	v_add_f64_e32 v[175:176], v[175:176], v[179:180]
	s_wait_loadcnt_dscnt 0x800
	v_mul_f64_e32 v[179:180], v[6:7], v[167:168]
	v_mul_f64_e32 v[167:168], v[8:9], v[167:168]
	v_fma_f64 v[177:178], v[4:5], v[34:35], v[177:178]
	v_fma_f64 v[185:186], v[2:3], v[34:35], -v[36:37]
	ds_load_b128 v[2:5], v1 offset:1776
	scratch_load_b128 v[34:37], off, off offset:944
	v_add_f64_e32 v[173:174], v[173:174], v[183:184]
	v_add_f64_e32 v[175:176], v[175:176], v[181:182]
	v_fma_f64 v[179:180], v[8:9], v[165:166], v[179:180]
	v_fma_f64 v[183:184], v[6:7], v[165:166], -v[167:168]
	ds_load_b128 v[6:9], v1 offset:1792
	s_wait_loadcnt_dscnt 0x801
	v_mul_f64_e32 v[181:182], v[2:3], v[12:13]
	v_mul_f64_e32 v[12:13], v[4:5], v[12:13]
	scratch_load_b128 v[165:168], off, off offset:960
	v_add_f64_e32 v[173:174], v[173:174], v[185:186]
	v_add_f64_e32 v[175:176], v[175:176], v[177:178]
	s_wait_loadcnt_dscnt 0x800
	v_mul_f64_e32 v[177:178], v[6:7], v[16:17]
	v_mul_f64_e32 v[16:17], v[8:9], v[16:17]
	v_fma_f64 v[181:182], v[4:5], v[10:11], v[181:182]
	v_fma_f64 v[185:186], v[2:3], v[10:11], -v[12:13]
	ds_load_b128 v[2:5], v1 offset:1808
	scratch_load_b128 v[10:13], off, off offset:976
	v_add_f64_e32 v[173:174], v[173:174], v[183:184]
	v_add_f64_e32 v[175:176], v[175:176], v[179:180]
	v_fma_f64 v[177:178], v[8:9], v[14:15], v[177:178]
	v_fma_f64 v[14:15], v[6:7], v[14:15], -v[16:17]
	ds_load_b128 v[6:9], v1 offset:1824
	s_wait_loadcnt_dscnt 0x801
	v_mul_f64_e32 v[179:180], v[2:3], v[20:21]
	v_mul_f64_e32 v[20:21], v[4:5], v[20:21]
	v_add_f64_e32 v[16:17], v[173:174], v[185:186]
	v_add_f64_e32 v[173:174], v[175:176], v[181:182]
	s_wait_loadcnt_dscnt 0x700
	v_mul_f64_e32 v[175:176], v[6:7], v[24:25]
	v_mul_f64_e32 v[24:25], v[8:9], v[24:25]
	v_fma_f64 v[179:180], v[4:5], v[18:19], v[179:180]
	v_fma_f64 v[18:19], v[2:3], v[18:19], -v[20:21]
	ds_load_b128 v[2:5], v1 offset:1840
	v_add_f64_e32 v[14:15], v[16:17], v[14:15]
	v_add_f64_e32 v[16:17], v[173:174], v[177:178]
	v_fma_f64 v[173:174], v[8:9], v[22:23], v[175:176]
	v_fma_f64 v[22:23], v[6:7], v[22:23], -v[24:25]
	ds_load_b128 v[6:9], v1 offset:1856
	s_wait_loadcnt_dscnt 0x500
	v_mul_f64_e32 v[175:176], v[6:7], v[32:33]
	v_mul_f64_e32 v[32:33], v[8:9], v[32:33]
	v_add_f64_e32 v[18:19], v[14:15], v[18:19]
	v_add_f64_e32 v[24:25], v[16:17], v[179:180]
	scratch_load_b128 v[14:17], off, off offset:608
	v_mul_f64_e32 v[20:21], v[2:3], v[28:29]
	v_mul_f64_e32 v[28:29], v[4:5], v[28:29]
	v_add_f64_e32 v[18:19], v[18:19], v[22:23]
	v_add_f64_e32 v[22:23], v[24:25], v[173:174]
	s_delay_alu instid0(VALU_DEP_4) | instskip(NEXT) | instid1(VALU_DEP_4)
	v_fma_f64 v[20:21], v[4:5], v[26:27], v[20:21]
	v_fma_f64 v[26:27], v[2:3], v[26:27], -v[28:29]
	ds_load_b128 v[2:5], v1 offset:1872
	s_wait_loadcnt_dscnt 0x500
	v_mul_f64_e32 v[24:25], v[2:3], v[40:41]
	v_mul_f64_e32 v[28:29], v[4:5], v[40:41]
	v_fma_f64 v[40:41], v[8:9], v[30:31], v[175:176]
	v_fma_f64 v[30:31], v[6:7], v[30:31], -v[32:33]
	ds_load_b128 v[6:9], v1 offset:1888
	v_add_f64_e32 v[20:21], v[22:23], v[20:21]
	v_add_f64_e32 v[18:19], v[18:19], v[26:27]
	v_fma_f64 v[24:25], v[4:5], v[38:39], v[24:25]
	v_fma_f64 v[28:29], v[2:3], v[38:39], -v[28:29]
	ds_load_b128 v[2:5], v1 offset:1904
	s_wait_loadcnt_dscnt 0x401
	v_mul_f64_e32 v[22:23], v[6:7], v[171:172]
	v_mul_f64_e32 v[26:27], v[8:9], v[171:172]
	v_add_f64_e32 v[20:21], v[20:21], v[40:41]
	v_add_f64_e32 v[18:19], v[18:19], v[30:31]
	s_wait_loadcnt_dscnt 0x300
	v_mul_f64_e32 v[30:31], v[2:3], v[36:37]
	v_mul_f64_e32 v[32:33], v[4:5], v[36:37]
	v_fma_f64 v[22:23], v[8:9], v[169:170], v[22:23]
	v_fma_f64 v[26:27], v[6:7], v[169:170], -v[26:27]
	ds_load_b128 v[6:9], v1 offset:1920
	v_add_f64_e32 v[20:21], v[20:21], v[24:25]
	v_add_f64_e32 v[18:19], v[18:19], v[28:29]
	v_fma_f64 v[30:31], v[4:5], v[34:35], v[30:31]
	v_fma_f64 v[32:33], v[2:3], v[34:35], -v[32:33]
	ds_load_b128 v[2:5], v1 offset:1936
	s_wait_loadcnt_dscnt 0x201
	v_mul_f64_e32 v[24:25], v[6:7], v[167:168]
	v_mul_f64_e32 v[28:29], v[8:9], v[167:168]
	v_add_f64_e32 v[20:21], v[20:21], v[22:23]
	v_add_f64_e32 v[18:19], v[18:19], v[26:27]
	s_wait_loadcnt_dscnt 0x100
	v_mul_f64_e32 v[22:23], v[2:3], v[12:13]
	v_mul_f64_e32 v[12:13], v[4:5], v[12:13]
	v_fma_f64 v[8:9], v[8:9], v[165:166], v[24:25]
	v_fma_f64 v[6:7], v[6:7], v[165:166], -v[28:29]
	v_add_f64_e32 v[20:21], v[20:21], v[30:31]
	v_add_f64_e32 v[18:19], v[18:19], v[32:33]
	v_fma_f64 v[4:5], v[4:5], v[10:11], v[22:23]
	v_fma_f64 v[2:3], v[2:3], v[10:11], -v[12:13]
	s_delay_alu instid0(VALU_DEP_4) | instskip(NEXT) | instid1(VALU_DEP_4)
	v_add_f64_e32 v[8:9], v[20:21], v[8:9]
	v_add_f64_e32 v[6:7], v[18:19], v[6:7]
	s_delay_alu instid0(VALU_DEP_2) | instskip(NEXT) | instid1(VALU_DEP_2)
	v_add_f64_e32 v[4:5], v[8:9], v[4:5]
	v_add_f64_e32 v[2:3], v[6:7], v[2:3]
	s_wait_loadcnt 0x0
	s_delay_alu instid0(VALU_DEP_2) | instskip(NEXT) | instid1(VALU_DEP_2)
	v_add_f64_e64 v[4:5], v[16:17], -v[4:5]
	v_add_f64_e64 v[2:3], v[14:15], -v[2:3]
	scratch_store_b128 off, v[2:5], off offset:608
	v_cmpx_lt_u32_e32 36, v0
	s_cbranch_execz .LBB60_319
; %bb.318:
	scratch_load_b128 v[5:8], off, s37
	v_dual_mov_b32 v2, v1 :: v_dual_mov_b32 v3, v1
	v_mov_b32_e32 v4, v1
	scratch_store_b128 off, v[1:4], off offset:592
	s_wait_loadcnt 0x0
	ds_store_b128 v164, v[5:8]
.LBB60_319:
	s_wait_alu 0xfffe
	s_or_b32 exec_lo, exec_lo, s0
	s_wait_storecnt_dscnt 0x0
	s_barrier_signal -1
	s_barrier_wait -1
	global_inv scope:SCOPE_SE
	s_clause 0x7
	scratch_load_b128 v[2:5], off, off offset:608
	scratch_load_b128 v[6:9], off, off offset:624
	;; [unrolled: 1-line block ×8, first 2 shown]
	ds_load_b128 v[34:37], v1 offset:1568
	ds_load_b128 v[165:168], v1 offset:1584
	s_clause 0x1
	scratch_load_b128 v[38:41], off, off offset:736
	scratch_load_b128 v[169:172], off, off offset:752
	s_mov_b32 s0, exec_lo
	s_wait_loadcnt_dscnt 0x901
	v_mul_f64_e32 v[173:174], v[36:37], v[4:5]
	v_mul_f64_e32 v[4:5], v[34:35], v[4:5]
	s_wait_loadcnt_dscnt 0x800
	v_mul_f64_e32 v[175:176], v[165:166], v[8:9]
	v_mul_f64_e32 v[8:9], v[167:168], v[8:9]
	s_delay_alu instid0(VALU_DEP_4) | instskip(NEXT) | instid1(VALU_DEP_4)
	v_fma_f64 v[173:174], v[34:35], v[2:3], -v[173:174]
	v_fma_f64 v[177:178], v[36:37], v[2:3], v[4:5]
	ds_load_b128 v[2:5], v1 offset:1600
	scratch_load_b128 v[34:37], off, off offset:768
	v_fma_f64 v[175:176], v[167:168], v[6:7], v[175:176]
	v_fma_f64 v[181:182], v[165:166], v[6:7], -v[8:9]
	ds_load_b128 v[6:9], v1 offset:1616
	scratch_load_b128 v[165:168], off, off offset:784
	s_wait_loadcnt_dscnt 0x901
	v_mul_f64_e32 v[179:180], v[2:3], v[12:13]
	v_mul_f64_e32 v[12:13], v[4:5], v[12:13]
	s_wait_loadcnt_dscnt 0x800
	v_mul_f64_e32 v[183:184], v[6:7], v[16:17]
	v_mul_f64_e32 v[16:17], v[8:9], v[16:17]
	v_add_f64_e32 v[173:174], 0, v[173:174]
	v_add_f64_e32 v[177:178], 0, v[177:178]
	v_fma_f64 v[179:180], v[4:5], v[10:11], v[179:180]
	v_fma_f64 v[185:186], v[2:3], v[10:11], -v[12:13]
	ds_load_b128 v[2:5], v1 offset:1632
	scratch_load_b128 v[10:13], off, off offset:800
	v_add_f64_e32 v[173:174], v[173:174], v[181:182]
	v_add_f64_e32 v[175:176], v[177:178], v[175:176]
	v_fma_f64 v[181:182], v[8:9], v[14:15], v[183:184]
	v_fma_f64 v[183:184], v[6:7], v[14:15], -v[16:17]
	ds_load_b128 v[6:9], v1 offset:1648
	scratch_load_b128 v[14:17], off, off offset:816
	s_wait_loadcnt_dscnt 0x901
	v_mul_f64_e32 v[177:178], v[2:3], v[20:21]
	v_mul_f64_e32 v[20:21], v[4:5], v[20:21]
	v_add_f64_e32 v[173:174], v[173:174], v[185:186]
	v_add_f64_e32 v[175:176], v[175:176], v[179:180]
	s_wait_loadcnt_dscnt 0x800
	v_mul_f64_e32 v[179:180], v[6:7], v[24:25]
	v_mul_f64_e32 v[24:25], v[8:9], v[24:25]
	v_fma_f64 v[177:178], v[4:5], v[18:19], v[177:178]
	v_fma_f64 v[185:186], v[2:3], v[18:19], -v[20:21]
	ds_load_b128 v[2:5], v1 offset:1664
	scratch_load_b128 v[18:21], off, off offset:832
	v_add_f64_e32 v[173:174], v[173:174], v[183:184]
	v_add_f64_e32 v[175:176], v[175:176], v[181:182]
	v_fma_f64 v[179:180], v[8:9], v[22:23], v[179:180]
	v_fma_f64 v[183:184], v[6:7], v[22:23], -v[24:25]
	ds_load_b128 v[6:9], v1 offset:1680
	s_wait_loadcnt_dscnt 0x801
	v_mul_f64_e32 v[181:182], v[2:3], v[28:29]
	v_mul_f64_e32 v[28:29], v[4:5], v[28:29]
	scratch_load_b128 v[22:25], off, off offset:848
	v_add_f64_e32 v[173:174], v[173:174], v[185:186]
	v_add_f64_e32 v[175:176], v[175:176], v[177:178]
	s_wait_loadcnt_dscnt 0x800
	v_mul_f64_e32 v[177:178], v[6:7], v[32:33]
	v_mul_f64_e32 v[32:33], v[8:9], v[32:33]
	v_fma_f64 v[181:182], v[4:5], v[26:27], v[181:182]
	v_fma_f64 v[185:186], v[2:3], v[26:27], -v[28:29]
	ds_load_b128 v[2:5], v1 offset:1696
	scratch_load_b128 v[26:29], off, off offset:864
	v_add_f64_e32 v[173:174], v[173:174], v[183:184]
	v_add_f64_e32 v[175:176], v[175:176], v[179:180]
	v_fma_f64 v[177:178], v[8:9], v[30:31], v[177:178]
	v_fma_f64 v[183:184], v[6:7], v[30:31], -v[32:33]
	ds_load_b128 v[6:9], v1 offset:1712
	s_wait_loadcnt_dscnt 0x801
	v_mul_f64_e32 v[179:180], v[2:3], v[40:41]
	v_mul_f64_e32 v[40:41], v[4:5], v[40:41]
	scratch_load_b128 v[30:33], off, off offset:880
	v_add_f64_e32 v[173:174], v[173:174], v[185:186]
	v_add_f64_e32 v[175:176], v[175:176], v[181:182]
	s_wait_loadcnt_dscnt 0x800
	v_mul_f64_e32 v[181:182], v[6:7], v[171:172]
	v_mul_f64_e32 v[171:172], v[8:9], v[171:172]
	v_fma_f64 v[179:180], v[4:5], v[38:39], v[179:180]
	v_fma_f64 v[185:186], v[2:3], v[38:39], -v[40:41]
	ds_load_b128 v[2:5], v1 offset:1728
	scratch_load_b128 v[38:41], off, off offset:896
	v_add_f64_e32 v[173:174], v[173:174], v[183:184]
	v_add_f64_e32 v[175:176], v[175:176], v[177:178]
	v_fma_f64 v[181:182], v[8:9], v[169:170], v[181:182]
	v_fma_f64 v[183:184], v[6:7], v[169:170], -v[171:172]
	ds_load_b128 v[6:9], v1 offset:1744
	scratch_load_b128 v[169:172], off, off offset:912
	s_wait_loadcnt_dscnt 0x901
	v_mul_f64_e32 v[177:178], v[2:3], v[36:37]
	v_mul_f64_e32 v[36:37], v[4:5], v[36:37]
	v_add_f64_e32 v[173:174], v[173:174], v[185:186]
	v_add_f64_e32 v[175:176], v[175:176], v[179:180]
	s_wait_loadcnt_dscnt 0x800
	v_mul_f64_e32 v[179:180], v[6:7], v[167:168]
	v_mul_f64_e32 v[167:168], v[8:9], v[167:168]
	v_fma_f64 v[177:178], v[4:5], v[34:35], v[177:178]
	v_fma_f64 v[185:186], v[2:3], v[34:35], -v[36:37]
	ds_load_b128 v[2:5], v1 offset:1760
	scratch_load_b128 v[34:37], off, off offset:928
	v_add_f64_e32 v[173:174], v[173:174], v[183:184]
	v_add_f64_e32 v[175:176], v[175:176], v[181:182]
	v_fma_f64 v[179:180], v[8:9], v[165:166], v[179:180]
	v_fma_f64 v[183:184], v[6:7], v[165:166], -v[167:168]
	ds_load_b128 v[6:9], v1 offset:1776
	s_wait_loadcnt_dscnt 0x801
	v_mul_f64_e32 v[181:182], v[2:3], v[12:13]
	v_mul_f64_e32 v[12:13], v[4:5], v[12:13]
	scratch_load_b128 v[165:168], off, off offset:944
	v_add_f64_e32 v[173:174], v[173:174], v[185:186]
	v_add_f64_e32 v[175:176], v[175:176], v[177:178]
	s_wait_loadcnt_dscnt 0x800
	v_mul_f64_e32 v[177:178], v[6:7], v[16:17]
	v_mul_f64_e32 v[16:17], v[8:9], v[16:17]
	v_fma_f64 v[181:182], v[4:5], v[10:11], v[181:182]
	v_fma_f64 v[185:186], v[2:3], v[10:11], -v[12:13]
	ds_load_b128 v[2:5], v1 offset:1792
	scratch_load_b128 v[10:13], off, off offset:960
	v_add_f64_e32 v[173:174], v[173:174], v[183:184]
	v_add_f64_e32 v[175:176], v[175:176], v[179:180]
	v_fma_f64 v[177:178], v[8:9], v[14:15], v[177:178]
	v_fma_f64 v[183:184], v[6:7], v[14:15], -v[16:17]
	ds_load_b128 v[6:9], v1 offset:1808
	s_wait_loadcnt_dscnt 0x801
	v_mul_f64_e32 v[179:180], v[2:3], v[20:21]
	v_mul_f64_e32 v[20:21], v[4:5], v[20:21]
	scratch_load_b128 v[14:17], off, off offset:976
	v_add_f64_e32 v[173:174], v[173:174], v[185:186]
	v_add_f64_e32 v[175:176], v[175:176], v[181:182]
	s_wait_loadcnt_dscnt 0x800
	v_mul_f64_e32 v[181:182], v[6:7], v[24:25]
	v_mul_f64_e32 v[24:25], v[8:9], v[24:25]
	v_fma_f64 v[179:180], v[4:5], v[18:19], v[179:180]
	v_fma_f64 v[18:19], v[2:3], v[18:19], -v[20:21]
	ds_load_b128 v[2:5], v1 offset:1824
	v_add_f64_e32 v[20:21], v[173:174], v[183:184]
	v_add_f64_e32 v[173:174], v[175:176], v[177:178]
	v_fma_f64 v[177:178], v[8:9], v[22:23], v[181:182]
	v_fma_f64 v[22:23], v[6:7], v[22:23], -v[24:25]
	ds_load_b128 v[6:9], v1 offset:1840
	s_wait_loadcnt_dscnt 0x701
	v_mul_f64_e32 v[175:176], v[2:3], v[28:29]
	v_mul_f64_e32 v[28:29], v[4:5], v[28:29]
	v_add_f64_e32 v[18:19], v[20:21], v[18:19]
	v_add_f64_e32 v[20:21], v[173:174], v[179:180]
	s_delay_alu instid0(VALU_DEP_4) | instskip(NEXT) | instid1(VALU_DEP_4)
	v_fma_f64 v[173:174], v[4:5], v[26:27], v[175:176]
	v_fma_f64 v[26:27], v[2:3], v[26:27], -v[28:29]
	ds_load_b128 v[2:5], v1 offset:1856
	v_add_f64_e32 v[22:23], v[18:19], v[22:23]
	v_add_f64_e32 v[28:29], v[20:21], v[177:178]
	scratch_load_b128 v[18:21], off, off offset:592
	s_wait_loadcnt_dscnt 0x701
	v_mul_f64_e32 v[24:25], v[6:7], v[32:33]
	v_mul_f64_e32 v[32:33], v[8:9], v[32:33]
	v_add_f64_e32 v[22:23], v[22:23], v[26:27]
	v_add_f64_e32 v[26:27], v[28:29], v[173:174]
	s_delay_alu instid0(VALU_DEP_4) | instskip(NEXT) | instid1(VALU_DEP_4)
	v_fma_f64 v[24:25], v[8:9], v[30:31], v[24:25]
	v_fma_f64 v[30:31], v[6:7], v[30:31], -v[32:33]
	ds_load_b128 v[6:9], v1 offset:1872
	s_wait_loadcnt_dscnt 0x601
	v_mul_f64_e32 v[175:176], v[2:3], v[40:41]
	v_mul_f64_e32 v[40:41], v[4:5], v[40:41]
	s_wait_loadcnt_dscnt 0x500
	v_mul_f64_e32 v[28:29], v[6:7], v[171:172]
	v_mul_f64_e32 v[32:33], v[8:9], v[171:172]
	v_add_f64_e32 v[24:25], v[26:27], v[24:25]
	v_add_f64_e32 v[22:23], v[22:23], v[30:31]
	v_fma_f64 v[171:172], v[4:5], v[38:39], v[175:176]
	v_fma_f64 v[38:39], v[2:3], v[38:39], -v[40:41]
	ds_load_b128 v[2:5], v1 offset:1888
	v_fma_f64 v[28:29], v[8:9], v[169:170], v[28:29]
	v_fma_f64 v[32:33], v[6:7], v[169:170], -v[32:33]
	ds_load_b128 v[6:9], v1 offset:1904
	s_wait_loadcnt_dscnt 0x401
	v_mul_f64_e32 v[26:27], v[2:3], v[36:37]
	v_mul_f64_e32 v[30:31], v[4:5], v[36:37]
	v_add_f64_e32 v[24:25], v[24:25], v[171:172]
	v_add_f64_e32 v[22:23], v[22:23], v[38:39]
	s_wait_loadcnt_dscnt 0x300
	v_mul_f64_e32 v[36:37], v[6:7], v[167:168]
	v_mul_f64_e32 v[38:39], v[8:9], v[167:168]
	v_fma_f64 v[26:27], v[4:5], v[34:35], v[26:27]
	v_fma_f64 v[30:31], v[2:3], v[34:35], -v[30:31]
	ds_load_b128 v[2:5], v1 offset:1920
	v_add_f64_e32 v[24:25], v[24:25], v[28:29]
	v_add_f64_e32 v[22:23], v[22:23], v[32:33]
	v_fma_f64 v[32:33], v[8:9], v[165:166], v[36:37]
	v_fma_f64 v[34:35], v[6:7], v[165:166], -v[38:39]
	ds_load_b128 v[6:9], v1 offset:1936
	s_wait_loadcnt_dscnt 0x201
	v_mul_f64_e32 v[28:29], v[2:3], v[12:13]
	v_mul_f64_e32 v[12:13], v[4:5], v[12:13]
	v_add_f64_e32 v[24:25], v[24:25], v[26:27]
	v_add_f64_e32 v[22:23], v[22:23], v[30:31]
	s_wait_loadcnt_dscnt 0x100
	v_mul_f64_e32 v[26:27], v[6:7], v[16:17]
	v_mul_f64_e32 v[16:17], v[8:9], v[16:17]
	v_fma_f64 v[4:5], v[4:5], v[10:11], v[28:29]
	v_fma_f64 v[1:2], v[2:3], v[10:11], -v[12:13]
	v_add_f64_e32 v[12:13], v[24:25], v[32:33]
	v_add_f64_e32 v[10:11], v[22:23], v[34:35]
	v_fma_f64 v[8:9], v[8:9], v[14:15], v[26:27]
	v_fma_f64 v[6:7], v[6:7], v[14:15], -v[16:17]
	s_delay_alu instid0(VALU_DEP_4) | instskip(NEXT) | instid1(VALU_DEP_4)
	v_add_f64_e32 v[3:4], v[12:13], v[4:5]
	v_add_f64_e32 v[1:2], v[10:11], v[1:2]
	s_delay_alu instid0(VALU_DEP_2) | instskip(NEXT) | instid1(VALU_DEP_2)
	v_add_f64_e32 v[3:4], v[3:4], v[8:9]
	v_add_f64_e32 v[1:2], v[1:2], v[6:7]
	s_wait_loadcnt 0x0
	s_delay_alu instid0(VALU_DEP_2) | instskip(NEXT) | instid1(VALU_DEP_2)
	v_add_f64_e64 v[3:4], v[20:21], -v[3:4]
	v_add_f64_e64 v[1:2], v[18:19], -v[1:2]
	scratch_store_b128 off, v[1:4], off offset:592
	v_cmpx_lt_u32_e32 35, v0
	s_cbranch_execz .LBB60_321
; %bb.320:
	scratch_load_b128 v[1:4], off, s36
	v_mov_b32_e32 v5, 0
	s_delay_alu instid0(VALU_DEP_1)
	v_dual_mov_b32 v6, v5 :: v_dual_mov_b32 v7, v5
	v_mov_b32_e32 v8, v5
	scratch_store_b128 off, v[5:8], off offset:576
	s_wait_loadcnt 0x0
	ds_store_b128 v164, v[1:4]
.LBB60_321:
	s_wait_alu 0xfffe
	s_or_b32 exec_lo, exec_lo, s0
	s_wait_storecnt_dscnt 0x0
	s_barrier_signal -1
	s_barrier_wait -1
	global_inv scope:SCOPE_SE
	s_clause 0x7
	scratch_load_b128 v[2:5], off, off offset:592
	scratch_load_b128 v[6:9], off, off offset:608
	;; [unrolled: 1-line block ×8, first 2 shown]
	v_mov_b32_e32 v1, 0
	s_clause 0x1
	scratch_load_b128 v[38:41], off, off offset:720
	scratch_load_b128 v[169:172], off, off offset:736
	s_mov_b32 s0, exec_lo
	ds_load_b128 v[34:37], v1 offset:1552
	ds_load_b128 v[165:168], v1 offset:1568
	s_wait_loadcnt_dscnt 0x901
	v_mul_f64_e32 v[173:174], v[36:37], v[4:5]
	v_mul_f64_e32 v[4:5], v[34:35], v[4:5]
	s_wait_loadcnt_dscnt 0x800
	v_mul_f64_e32 v[175:176], v[165:166], v[8:9]
	v_mul_f64_e32 v[8:9], v[167:168], v[8:9]
	s_delay_alu instid0(VALU_DEP_4) | instskip(NEXT) | instid1(VALU_DEP_4)
	v_fma_f64 v[173:174], v[34:35], v[2:3], -v[173:174]
	v_fma_f64 v[177:178], v[36:37], v[2:3], v[4:5]
	ds_load_b128 v[2:5], v1 offset:1584
	scratch_load_b128 v[34:37], off, off offset:752
	v_fma_f64 v[175:176], v[167:168], v[6:7], v[175:176]
	v_fma_f64 v[181:182], v[165:166], v[6:7], -v[8:9]
	ds_load_b128 v[6:9], v1 offset:1600
	scratch_load_b128 v[165:168], off, off offset:768
	s_wait_loadcnt_dscnt 0x901
	v_mul_f64_e32 v[179:180], v[2:3], v[12:13]
	v_mul_f64_e32 v[12:13], v[4:5], v[12:13]
	s_wait_loadcnt_dscnt 0x800
	v_mul_f64_e32 v[183:184], v[6:7], v[16:17]
	v_mul_f64_e32 v[16:17], v[8:9], v[16:17]
	v_add_f64_e32 v[173:174], 0, v[173:174]
	v_add_f64_e32 v[177:178], 0, v[177:178]
	v_fma_f64 v[179:180], v[4:5], v[10:11], v[179:180]
	v_fma_f64 v[185:186], v[2:3], v[10:11], -v[12:13]
	ds_load_b128 v[2:5], v1 offset:1616
	scratch_load_b128 v[10:13], off, off offset:784
	v_add_f64_e32 v[173:174], v[173:174], v[181:182]
	v_add_f64_e32 v[175:176], v[177:178], v[175:176]
	v_fma_f64 v[181:182], v[8:9], v[14:15], v[183:184]
	v_fma_f64 v[183:184], v[6:7], v[14:15], -v[16:17]
	ds_load_b128 v[6:9], v1 offset:1632
	scratch_load_b128 v[14:17], off, off offset:800
	s_wait_loadcnt_dscnt 0x901
	v_mul_f64_e32 v[177:178], v[2:3], v[20:21]
	v_mul_f64_e32 v[20:21], v[4:5], v[20:21]
	v_add_f64_e32 v[173:174], v[173:174], v[185:186]
	v_add_f64_e32 v[175:176], v[175:176], v[179:180]
	s_wait_loadcnt_dscnt 0x800
	v_mul_f64_e32 v[179:180], v[6:7], v[24:25]
	v_mul_f64_e32 v[24:25], v[8:9], v[24:25]
	v_fma_f64 v[177:178], v[4:5], v[18:19], v[177:178]
	v_fma_f64 v[185:186], v[2:3], v[18:19], -v[20:21]
	ds_load_b128 v[2:5], v1 offset:1648
	scratch_load_b128 v[18:21], off, off offset:816
	v_add_f64_e32 v[173:174], v[173:174], v[183:184]
	v_add_f64_e32 v[175:176], v[175:176], v[181:182]
	v_fma_f64 v[179:180], v[8:9], v[22:23], v[179:180]
	v_fma_f64 v[183:184], v[6:7], v[22:23], -v[24:25]
	ds_load_b128 v[6:9], v1 offset:1664
	s_wait_loadcnt_dscnt 0x801
	v_mul_f64_e32 v[181:182], v[2:3], v[28:29]
	v_mul_f64_e32 v[28:29], v[4:5], v[28:29]
	scratch_load_b128 v[22:25], off, off offset:832
	v_add_f64_e32 v[173:174], v[173:174], v[185:186]
	v_add_f64_e32 v[175:176], v[175:176], v[177:178]
	s_wait_loadcnt_dscnt 0x800
	v_mul_f64_e32 v[177:178], v[6:7], v[32:33]
	v_mul_f64_e32 v[32:33], v[8:9], v[32:33]
	v_fma_f64 v[181:182], v[4:5], v[26:27], v[181:182]
	v_fma_f64 v[185:186], v[2:3], v[26:27], -v[28:29]
	ds_load_b128 v[2:5], v1 offset:1680
	scratch_load_b128 v[26:29], off, off offset:848
	v_add_f64_e32 v[173:174], v[173:174], v[183:184]
	v_add_f64_e32 v[175:176], v[175:176], v[179:180]
	v_fma_f64 v[177:178], v[8:9], v[30:31], v[177:178]
	v_fma_f64 v[183:184], v[6:7], v[30:31], -v[32:33]
	ds_load_b128 v[6:9], v1 offset:1696
	s_wait_loadcnt_dscnt 0x801
	v_mul_f64_e32 v[179:180], v[2:3], v[40:41]
	v_mul_f64_e32 v[40:41], v[4:5], v[40:41]
	scratch_load_b128 v[30:33], off, off offset:864
	v_add_f64_e32 v[173:174], v[173:174], v[185:186]
	v_add_f64_e32 v[175:176], v[175:176], v[181:182]
	s_wait_loadcnt_dscnt 0x800
	v_mul_f64_e32 v[181:182], v[6:7], v[171:172]
	v_mul_f64_e32 v[171:172], v[8:9], v[171:172]
	v_fma_f64 v[179:180], v[4:5], v[38:39], v[179:180]
	v_fma_f64 v[185:186], v[2:3], v[38:39], -v[40:41]
	ds_load_b128 v[2:5], v1 offset:1712
	scratch_load_b128 v[38:41], off, off offset:880
	v_add_f64_e32 v[173:174], v[173:174], v[183:184]
	v_add_f64_e32 v[175:176], v[175:176], v[177:178]
	v_fma_f64 v[181:182], v[8:9], v[169:170], v[181:182]
	v_fma_f64 v[183:184], v[6:7], v[169:170], -v[171:172]
	ds_load_b128 v[6:9], v1 offset:1728
	scratch_load_b128 v[169:172], off, off offset:896
	s_wait_loadcnt_dscnt 0x901
	v_mul_f64_e32 v[177:178], v[2:3], v[36:37]
	v_mul_f64_e32 v[36:37], v[4:5], v[36:37]
	v_add_f64_e32 v[173:174], v[173:174], v[185:186]
	v_add_f64_e32 v[175:176], v[175:176], v[179:180]
	s_wait_loadcnt_dscnt 0x800
	v_mul_f64_e32 v[179:180], v[6:7], v[167:168]
	v_mul_f64_e32 v[167:168], v[8:9], v[167:168]
	v_fma_f64 v[177:178], v[4:5], v[34:35], v[177:178]
	v_fma_f64 v[185:186], v[2:3], v[34:35], -v[36:37]
	ds_load_b128 v[2:5], v1 offset:1744
	scratch_load_b128 v[34:37], off, off offset:912
	v_add_f64_e32 v[173:174], v[173:174], v[183:184]
	v_add_f64_e32 v[175:176], v[175:176], v[181:182]
	v_fma_f64 v[179:180], v[8:9], v[165:166], v[179:180]
	v_fma_f64 v[183:184], v[6:7], v[165:166], -v[167:168]
	ds_load_b128 v[6:9], v1 offset:1760
	s_wait_loadcnt_dscnt 0x801
	v_mul_f64_e32 v[181:182], v[2:3], v[12:13]
	v_mul_f64_e32 v[12:13], v[4:5], v[12:13]
	scratch_load_b128 v[165:168], off, off offset:928
	v_add_f64_e32 v[173:174], v[173:174], v[185:186]
	v_add_f64_e32 v[175:176], v[175:176], v[177:178]
	s_wait_loadcnt_dscnt 0x800
	v_mul_f64_e32 v[177:178], v[6:7], v[16:17]
	v_mul_f64_e32 v[16:17], v[8:9], v[16:17]
	v_fma_f64 v[181:182], v[4:5], v[10:11], v[181:182]
	v_fma_f64 v[185:186], v[2:3], v[10:11], -v[12:13]
	ds_load_b128 v[2:5], v1 offset:1776
	scratch_load_b128 v[10:13], off, off offset:944
	v_add_f64_e32 v[173:174], v[173:174], v[183:184]
	v_add_f64_e32 v[175:176], v[175:176], v[179:180]
	v_fma_f64 v[177:178], v[8:9], v[14:15], v[177:178]
	v_fma_f64 v[183:184], v[6:7], v[14:15], -v[16:17]
	ds_load_b128 v[6:9], v1 offset:1792
	s_wait_loadcnt_dscnt 0x801
	v_mul_f64_e32 v[179:180], v[2:3], v[20:21]
	v_mul_f64_e32 v[20:21], v[4:5], v[20:21]
	scratch_load_b128 v[14:17], off, off offset:960
	v_add_f64_e32 v[173:174], v[173:174], v[185:186]
	v_add_f64_e32 v[175:176], v[175:176], v[181:182]
	s_wait_loadcnt_dscnt 0x800
	v_mul_f64_e32 v[181:182], v[6:7], v[24:25]
	v_mul_f64_e32 v[24:25], v[8:9], v[24:25]
	v_fma_f64 v[179:180], v[4:5], v[18:19], v[179:180]
	v_fma_f64 v[185:186], v[2:3], v[18:19], -v[20:21]
	ds_load_b128 v[2:5], v1 offset:1808
	scratch_load_b128 v[18:21], off, off offset:976
	v_add_f64_e32 v[173:174], v[173:174], v[183:184]
	v_add_f64_e32 v[175:176], v[175:176], v[177:178]
	v_fma_f64 v[181:182], v[8:9], v[22:23], v[181:182]
	v_fma_f64 v[22:23], v[6:7], v[22:23], -v[24:25]
	ds_load_b128 v[6:9], v1 offset:1824
	s_wait_loadcnt_dscnt 0x801
	v_mul_f64_e32 v[177:178], v[2:3], v[28:29]
	v_mul_f64_e32 v[28:29], v[4:5], v[28:29]
	v_add_f64_e32 v[24:25], v[173:174], v[185:186]
	v_add_f64_e32 v[173:174], v[175:176], v[179:180]
	s_wait_loadcnt_dscnt 0x700
	v_mul_f64_e32 v[175:176], v[6:7], v[32:33]
	v_mul_f64_e32 v[32:33], v[8:9], v[32:33]
	v_fma_f64 v[177:178], v[4:5], v[26:27], v[177:178]
	v_fma_f64 v[26:27], v[2:3], v[26:27], -v[28:29]
	ds_load_b128 v[2:5], v1 offset:1840
	v_add_f64_e32 v[22:23], v[24:25], v[22:23]
	v_add_f64_e32 v[24:25], v[173:174], v[181:182]
	v_fma_f64 v[173:174], v[8:9], v[30:31], v[175:176]
	v_fma_f64 v[30:31], v[6:7], v[30:31], -v[32:33]
	ds_load_b128 v[6:9], v1 offset:1856
	s_wait_loadcnt_dscnt 0x500
	v_mul_f64_e32 v[175:176], v[6:7], v[171:172]
	v_mul_f64_e32 v[171:172], v[8:9], v[171:172]
	v_add_f64_e32 v[26:27], v[22:23], v[26:27]
	v_add_f64_e32 v[32:33], v[24:25], v[177:178]
	scratch_load_b128 v[22:25], off, off offset:576
	v_mul_f64_e32 v[28:29], v[2:3], v[40:41]
	v_mul_f64_e32 v[40:41], v[4:5], v[40:41]
	v_add_f64_e32 v[26:27], v[26:27], v[30:31]
	v_add_f64_e32 v[30:31], v[32:33], v[173:174]
	s_delay_alu instid0(VALU_DEP_4) | instskip(NEXT) | instid1(VALU_DEP_4)
	v_fma_f64 v[28:29], v[4:5], v[38:39], v[28:29]
	v_fma_f64 v[38:39], v[2:3], v[38:39], -v[40:41]
	ds_load_b128 v[2:5], v1 offset:1872
	v_fma_f64 v[40:41], v[8:9], v[169:170], v[175:176]
	v_fma_f64 v[169:170], v[6:7], v[169:170], -v[171:172]
	ds_load_b128 v[6:9], v1 offset:1888
	s_wait_loadcnt_dscnt 0x501
	v_mul_f64_e32 v[32:33], v[2:3], v[36:37]
	v_mul_f64_e32 v[36:37], v[4:5], v[36:37]
	v_add_f64_e32 v[28:29], v[30:31], v[28:29]
	v_add_f64_e32 v[26:27], v[26:27], v[38:39]
	s_wait_loadcnt_dscnt 0x400
	v_mul_f64_e32 v[30:31], v[6:7], v[167:168]
	v_mul_f64_e32 v[38:39], v[8:9], v[167:168]
	v_fma_f64 v[32:33], v[4:5], v[34:35], v[32:33]
	v_fma_f64 v[34:35], v[2:3], v[34:35], -v[36:37]
	ds_load_b128 v[2:5], v1 offset:1904
	v_add_f64_e32 v[28:29], v[28:29], v[40:41]
	v_add_f64_e32 v[26:27], v[26:27], v[169:170]
	v_fma_f64 v[30:31], v[8:9], v[165:166], v[30:31]
	v_fma_f64 v[38:39], v[6:7], v[165:166], -v[38:39]
	ds_load_b128 v[6:9], v1 offset:1920
	s_wait_loadcnt_dscnt 0x301
	v_mul_f64_e32 v[36:37], v[2:3], v[12:13]
	v_mul_f64_e32 v[12:13], v[4:5], v[12:13]
	v_add_f64_e32 v[28:29], v[28:29], v[32:33]
	v_add_f64_e32 v[26:27], v[26:27], v[34:35]
	s_wait_loadcnt_dscnt 0x200
	v_mul_f64_e32 v[32:33], v[6:7], v[16:17]
	v_mul_f64_e32 v[16:17], v[8:9], v[16:17]
	v_fma_f64 v[34:35], v[4:5], v[10:11], v[36:37]
	v_fma_f64 v[10:11], v[2:3], v[10:11], -v[12:13]
	ds_load_b128 v[2:5], v1 offset:1936
	v_add_f64_e32 v[12:13], v[26:27], v[38:39]
	v_add_f64_e32 v[26:27], v[28:29], v[30:31]
	s_wait_loadcnt_dscnt 0x100
	v_mul_f64_e32 v[28:29], v[2:3], v[20:21]
	v_mul_f64_e32 v[20:21], v[4:5], v[20:21]
	v_fma_f64 v[8:9], v[8:9], v[14:15], v[32:33]
	v_fma_f64 v[6:7], v[6:7], v[14:15], -v[16:17]
	v_add_f64_e32 v[10:11], v[12:13], v[10:11]
	v_add_f64_e32 v[12:13], v[26:27], v[34:35]
	v_fma_f64 v[4:5], v[4:5], v[18:19], v[28:29]
	v_fma_f64 v[2:3], v[2:3], v[18:19], -v[20:21]
	s_delay_alu instid0(VALU_DEP_4) | instskip(NEXT) | instid1(VALU_DEP_4)
	v_add_f64_e32 v[6:7], v[10:11], v[6:7]
	v_add_f64_e32 v[8:9], v[12:13], v[8:9]
	s_delay_alu instid0(VALU_DEP_2) | instskip(NEXT) | instid1(VALU_DEP_2)
	v_add_f64_e32 v[2:3], v[6:7], v[2:3]
	v_add_f64_e32 v[4:5], v[8:9], v[4:5]
	s_wait_loadcnt 0x0
	s_delay_alu instid0(VALU_DEP_2) | instskip(NEXT) | instid1(VALU_DEP_2)
	v_add_f64_e64 v[2:3], v[22:23], -v[2:3]
	v_add_f64_e64 v[4:5], v[24:25], -v[4:5]
	scratch_store_b128 off, v[2:5], off offset:576
	v_cmpx_lt_u32_e32 34, v0
	s_cbranch_execz .LBB60_323
; %bb.322:
	scratch_load_b128 v[5:8], off, s38
	v_dual_mov_b32 v2, v1 :: v_dual_mov_b32 v3, v1
	v_mov_b32_e32 v4, v1
	scratch_store_b128 off, v[1:4], off offset:560
	s_wait_loadcnt 0x0
	ds_store_b128 v164, v[5:8]
.LBB60_323:
	s_wait_alu 0xfffe
	s_or_b32 exec_lo, exec_lo, s0
	s_wait_storecnt_dscnt 0x0
	s_barrier_signal -1
	s_barrier_wait -1
	global_inv scope:SCOPE_SE
	s_clause 0x7
	scratch_load_b128 v[2:5], off, off offset:576
	scratch_load_b128 v[6:9], off, off offset:592
	;; [unrolled: 1-line block ×8, first 2 shown]
	ds_load_b128 v[34:37], v1 offset:1536
	ds_load_b128 v[165:168], v1 offset:1552
	s_clause 0x1
	scratch_load_b128 v[38:41], off, off offset:704
	scratch_load_b128 v[169:172], off, off offset:720
	s_mov_b32 s0, exec_lo
	s_wait_loadcnt_dscnt 0x901
	v_mul_f64_e32 v[173:174], v[36:37], v[4:5]
	v_mul_f64_e32 v[4:5], v[34:35], v[4:5]
	s_wait_loadcnt_dscnt 0x800
	v_mul_f64_e32 v[175:176], v[165:166], v[8:9]
	v_mul_f64_e32 v[8:9], v[167:168], v[8:9]
	s_delay_alu instid0(VALU_DEP_4) | instskip(NEXT) | instid1(VALU_DEP_4)
	v_fma_f64 v[173:174], v[34:35], v[2:3], -v[173:174]
	v_fma_f64 v[177:178], v[36:37], v[2:3], v[4:5]
	ds_load_b128 v[2:5], v1 offset:1568
	scratch_load_b128 v[34:37], off, off offset:736
	v_fma_f64 v[175:176], v[167:168], v[6:7], v[175:176]
	v_fma_f64 v[181:182], v[165:166], v[6:7], -v[8:9]
	ds_load_b128 v[6:9], v1 offset:1584
	scratch_load_b128 v[165:168], off, off offset:752
	s_wait_loadcnt_dscnt 0x901
	v_mul_f64_e32 v[179:180], v[2:3], v[12:13]
	v_mul_f64_e32 v[12:13], v[4:5], v[12:13]
	s_wait_loadcnt_dscnt 0x800
	v_mul_f64_e32 v[183:184], v[6:7], v[16:17]
	v_mul_f64_e32 v[16:17], v[8:9], v[16:17]
	v_add_f64_e32 v[173:174], 0, v[173:174]
	v_add_f64_e32 v[177:178], 0, v[177:178]
	v_fma_f64 v[179:180], v[4:5], v[10:11], v[179:180]
	v_fma_f64 v[185:186], v[2:3], v[10:11], -v[12:13]
	ds_load_b128 v[2:5], v1 offset:1600
	scratch_load_b128 v[10:13], off, off offset:768
	v_add_f64_e32 v[173:174], v[173:174], v[181:182]
	v_add_f64_e32 v[175:176], v[177:178], v[175:176]
	v_fma_f64 v[181:182], v[8:9], v[14:15], v[183:184]
	v_fma_f64 v[183:184], v[6:7], v[14:15], -v[16:17]
	ds_load_b128 v[6:9], v1 offset:1616
	scratch_load_b128 v[14:17], off, off offset:784
	s_wait_loadcnt_dscnt 0x901
	v_mul_f64_e32 v[177:178], v[2:3], v[20:21]
	v_mul_f64_e32 v[20:21], v[4:5], v[20:21]
	v_add_f64_e32 v[173:174], v[173:174], v[185:186]
	v_add_f64_e32 v[175:176], v[175:176], v[179:180]
	s_wait_loadcnt_dscnt 0x800
	v_mul_f64_e32 v[179:180], v[6:7], v[24:25]
	v_mul_f64_e32 v[24:25], v[8:9], v[24:25]
	v_fma_f64 v[177:178], v[4:5], v[18:19], v[177:178]
	v_fma_f64 v[185:186], v[2:3], v[18:19], -v[20:21]
	ds_load_b128 v[2:5], v1 offset:1632
	scratch_load_b128 v[18:21], off, off offset:800
	v_add_f64_e32 v[173:174], v[173:174], v[183:184]
	v_add_f64_e32 v[175:176], v[175:176], v[181:182]
	v_fma_f64 v[179:180], v[8:9], v[22:23], v[179:180]
	v_fma_f64 v[183:184], v[6:7], v[22:23], -v[24:25]
	ds_load_b128 v[6:9], v1 offset:1648
	s_wait_loadcnt_dscnt 0x801
	v_mul_f64_e32 v[181:182], v[2:3], v[28:29]
	v_mul_f64_e32 v[28:29], v[4:5], v[28:29]
	scratch_load_b128 v[22:25], off, off offset:816
	v_add_f64_e32 v[173:174], v[173:174], v[185:186]
	v_add_f64_e32 v[175:176], v[175:176], v[177:178]
	s_wait_loadcnt_dscnt 0x800
	v_mul_f64_e32 v[177:178], v[6:7], v[32:33]
	v_mul_f64_e32 v[32:33], v[8:9], v[32:33]
	v_fma_f64 v[181:182], v[4:5], v[26:27], v[181:182]
	v_fma_f64 v[185:186], v[2:3], v[26:27], -v[28:29]
	ds_load_b128 v[2:5], v1 offset:1664
	scratch_load_b128 v[26:29], off, off offset:832
	v_add_f64_e32 v[173:174], v[173:174], v[183:184]
	v_add_f64_e32 v[175:176], v[175:176], v[179:180]
	v_fma_f64 v[177:178], v[8:9], v[30:31], v[177:178]
	v_fma_f64 v[183:184], v[6:7], v[30:31], -v[32:33]
	ds_load_b128 v[6:9], v1 offset:1680
	s_wait_loadcnt_dscnt 0x801
	v_mul_f64_e32 v[179:180], v[2:3], v[40:41]
	v_mul_f64_e32 v[40:41], v[4:5], v[40:41]
	scratch_load_b128 v[30:33], off, off offset:848
	v_add_f64_e32 v[173:174], v[173:174], v[185:186]
	v_add_f64_e32 v[175:176], v[175:176], v[181:182]
	s_wait_loadcnt_dscnt 0x800
	v_mul_f64_e32 v[181:182], v[6:7], v[171:172]
	v_mul_f64_e32 v[171:172], v[8:9], v[171:172]
	v_fma_f64 v[179:180], v[4:5], v[38:39], v[179:180]
	v_fma_f64 v[185:186], v[2:3], v[38:39], -v[40:41]
	ds_load_b128 v[2:5], v1 offset:1696
	scratch_load_b128 v[38:41], off, off offset:864
	v_add_f64_e32 v[173:174], v[173:174], v[183:184]
	v_add_f64_e32 v[175:176], v[175:176], v[177:178]
	v_fma_f64 v[181:182], v[8:9], v[169:170], v[181:182]
	v_fma_f64 v[183:184], v[6:7], v[169:170], -v[171:172]
	ds_load_b128 v[6:9], v1 offset:1712
	scratch_load_b128 v[169:172], off, off offset:880
	s_wait_loadcnt_dscnt 0x901
	v_mul_f64_e32 v[177:178], v[2:3], v[36:37]
	v_mul_f64_e32 v[36:37], v[4:5], v[36:37]
	v_add_f64_e32 v[173:174], v[173:174], v[185:186]
	v_add_f64_e32 v[175:176], v[175:176], v[179:180]
	s_wait_loadcnt_dscnt 0x800
	v_mul_f64_e32 v[179:180], v[6:7], v[167:168]
	v_mul_f64_e32 v[167:168], v[8:9], v[167:168]
	v_fma_f64 v[177:178], v[4:5], v[34:35], v[177:178]
	v_fma_f64 v[185:186], v[2:3], v[34:35], -v[36:37]
	ds_load_b128 v[2:5], v1 offset:1728
	scratch_load_b128 v[34:37], off, off offset:896
	v_add_f64_e32 v[173:174], v[173:174], v[183:184]
	v_add_f64_e32 v[175:176], v[175:176], v[181:182]
	v_fma_f64 v[179:180], v[8:9], v[165:166], v[179:180]
	v_fma_f64 v[183:184], v[6:7], v[165:166], -v[167:168]
	ds_load_b128 v[6:9], v1 offset:1744
	s_wait_loadcnt_dscnt 0x801
	v_mul_f64_e32 v[181:182], v[2:3], v[12:13]
	v_mul_f64_e32 v[12:13], v[4:5], v[12:13]
	scratch_load_b128 v[165:168], off, off offset:912
	v_add_f64_e32 v[173:174], v[173:174], v[185:186]
	v_add_f64_e32 v[175:176], v[175:176], v[177:178]
	s_wait_loadcnt_dscnt 0x800
	v_mul_f64_e32 v[177:178], v[6:7], v[16:17]
	v_mul_f64_e32 v[16:17], v[8:9], v[16:17]
	v_fma_f64 v[181:182], v[4:5], v[10:11], v[181:182]
	v_fma_f64 v[185:186], v[2:3], v[10:11], -v[12:13]
	ds_load_b128 v[2:5], v1 offset:1760
	scratch_load_b128 v[10:13], off, off offset:928
	v_add_f64_e32 v[173:174], v[173:174], v[183:184]
	v_add_f64_e32 v[175:176], v[175:176], v[179:180]
	v_fma_f64 v[177:178], v[8:9], v[14:15], v[177:178]
	v_fma_f64 v[183:184], v[6:7], v[14:15], -v[16:17]
	ds_load_b128 v[6:9], v1 offset:1776
	s_wait_loadcnt_dscnt 0x801
	v_mul_f64_e32 v[179:180], v[2:3], v[20:21]
	v_mul_f64_e32 v[20:21], v[4:5], v[20:21]
	scratch_load_b128 v[14:17], off, off offset:944
	v_add_f64_e32 v[173:174], v[173:174], v[185:186]
	v_add_f64_e32 v[175:176], v[175:176], v[181:182]
	s_wait_loadcnt_dscnt 0x800
	v_mul_f64_e32 v[181:182], v[6:7], v[24:25]
	v_mul_f64_e32 v[24:25], v[8:9], v[24:25]
	v_fma_f64 v[179:180], v[4:5], v[18:19], v[179:180]
	v_fma_f64 v[185:186], v[2:3], v[18:19], -v[20:21]
	ds_load_b128 v[2:5], v1 offset:1792
	scratch_load_b128 v[18:21], off, off offset:960
	v_add_f64_e32 v[173:174], v[173:174], v[183:184]
	v_add_f64_e32 v[175:176], v[175:176], v[177:178]
	v_fma_f64 v[181:182], v[8:9], v[22:23], v[181:182]
	v_fma_f64 v[183:184], v[6:7], v[22:23], -v[24:25]
	ds_load_b128 v[6:9], v1 offset:1808
	s_wait_loadcnt_dscnt 0x801
	v_mul_f64_e32 v[177:178], v[2:3], v[28:29]
	v_mul_f64_e32 v[28:29], v[4:5], v[28:29]
	scratch_load_b128 v[22:25], off, off offset:976
	v_add_f64_e32 v[173:174], v[173:174], v[185:186]
	v_add_f64_e32 v[175:176], v[175:176], v[179:180]
	s_wait_loadcnt_dscnt 0x800
	v_mul_f64_e32 v[179:180], v[6:7], v[32:33]
	v_mul_f64_e32 v[32:33], v[8:9], v[32:33]
	v_fma_f64 v[177:178], v[4:5], v[26:27], v[177:178]
	v_fma_f64 v[26:27], v[2:3], v[26:27], -v[28:29]
	ds_load_b128 v[2:5], v1 offset:1824
	v_add_f64_e32 v[28:29], v[173:174], v[183:184]
	v_add_f64_e32 v[173:174], v[175:176], v[181:182]
	v_fma_f64 v[179:180], v[8:9], v[30:31], v[179:180]
	v_fma_f64 v[30:31], v[6:7], v[30:31], -v[32:33]
	ds_load_b128 v[6:9], v1 offset:1840
	s_wait_loadcnt_dscnt 0x701
	v_mul_f64_e32 v[175:176], v[2:3], v[40:41]
	v_mul_f64_e32 v[40:41], v[4:5], v[40:41]
	v_add_f64_e32 v[26:27], v[28:29], v[26:27]
	v_add_f64_e32 v[28:29], v[173:174], v[177:178]
	s_delay_alu instid0(VALU_DEP_4) | instskip(NEXT) | instid1(VALU_DEP_4)
	v_fma_f64 v[173:174], v[4:5], v[38:39], v[175:176]
	v_fma_f64 v[38:39], v[2:3], v[38:39], -v[40:41]
	ds_load_b128 v[2:5], v1 offset:1856
	v_add_f64_e32 v[30:31], v[26:27], v[30:31]
	v_add_f64_e32 v[40:41], v[28:29], v[179:180]
	scratch_load_b128 v[26:29], off, off offset:560
	s_wait_loadcnt_dscnt 0x701
	v_mul_f64_e32 v[32:33], v[6:7], v[171:172]
	v_mul_f64_e32 v[171:172], v[8:9], v[171:172]
	v_add_f64_e32 v[30:31], v[30:31], v[38:39]
	v_add_f64_e32 v[38:39], v[40:41], v[173:174]
	s_delay_alu instid0(VALU_DEP_4) | instskip(NEXT) | instid1(VALU_DEP_4)
	v_fma_f64 v[32:33], v[8:9], v[169:170], v[32:33]
	v_fma_f64 v[169:170], v[6:7], v[169:170], -v[171:172]
	ds_load_b128 v[6:9], v1 offset:1872
	s_wait_loadcnt_dscnt 0x601
	v_mul_f64_e32 v[175:176], v[2:3], v[36:37]
	v_mul_f64_e32 v[36:37], v[4:5], v[36:37]
	s_wait_loadcnt_dscnt 0x500
	v_mul_f64_e32 v[40:41], v[6:7], v[167:168]
	v_mul_f64_e32 v[167:168], v[8:9], v[167:168]
	v_add_f64_e32 v[32:33], v[38:39], v[32:33]
	v_add_f64_e32 v[30:31], v[30:31], v[169:170]
	v_fma_f64 v[171:172], v[4:5], v[34:35], v[175:176]
	v_fma_f64 v[34:35], v[2:3], v[34:35], -v[36:37]
	ds_load_b128 v[2:5], v1 offset:1888
	v_fma_f64 v[38:39], v[8:9], v[165:166], v[40:41]
	v_fma_f64 v[40:41], v[6:7], v[165:166], -v[167:168]
	ds_load_b128 v[6:9], v1 offset:1904
	s_wait_loadcnt_dscnt 0x401
	v_mul_f64_e32 v[36:37], v[2:3], v[12:13]
	v_mul_f64_e32 v[12:13], v[4:5], v[12:13]
	v_add_f64_e32 v[32:33], v[32:33], v[171:172]
	v_add_f64_e32 v[30:31], v[30:31], v[34:35]
	s_wait_loadcnt_dscnt 0x300
	v_mul_f64_e32 v[34:35], v[6:7], v[16:17]
	v_mul_f64_e32 v[16:17], v[8:9], v[16:17]
	v_fma_f64 v[36:37], v[4:5], v[10:11], v[36:37]
	v_fma_f64 v[10:11], v[2:3], v[10:11], -v[12:13]
	ds_load_b128 v[2:5], v1 offset:1920
	v_add_f64_e32 v[12:13], v[30:31], v[40:41]
	v_add_f64_e32 v[30:31], v[32:33], v[38:39]
	v_fma_f64 v[34:35], v[8:9], v[14:15], v[34:35]
	v_fma_f64 v[14:15], v[6:7], v[14:15], -v[16:17]
	ds_load_b128 v[6:9], v1 offset:1936
	s_wait_loadcnt_dscnt 0x201
	v_mul_f64_e32 v[32:33], v[2:3], v[20:21]
	v_mul_f64_e32 v[20:21], v[4:5], v[20:21]
	s_wait_loadcnt_dscnt 0x100
	v_mul_f64_e32 v[16:17], v[6:7], v[24:25]
	v_mul_f64_e32 v[24:25], v[8:9], v[24:25]
	v_add_f64_e32 v[10:11], v[12:13], v[10:11]
	v_add_f64_e32 v[12:13], v[30:31], v[36:37]
	v_fma_f64 v[4:5], v[4:5], v[18:19], v[32:33]
	v_fma_f64 v[1:2], v[2:3], v[18:19], -v[20:21]
	v_fma_f64 v[8:9], v[8:9], v[22:23], v[16:17]
	v_fma_f64 v[6:7], v[6:7], v[22:23], -v[24:25]
	v_add_f64_e32 v[10:11], v[10:11], v[14:15]
	v_add_f64_e32 v[12:13], v[12:13], v[34:35]
	s_delay_alu instid0(VALU_DEP_2) | instskip(NEXT) | instid1(VALU_DEP_2)
	v_add_f64_e32 v[1:2], v[10:11], v[1:2]
	v_add_f64_e32 v[3:4], v[12:13], v[4:5]
	s_delay_alu instid0(VALU_DEP_2) | instskip(NEXT) | instid1(VALU_DEP_2)
	v_add_f64_e32 v[1:2], v[1:2], v[6:7]
	v_add_f64_e32 v[3:4], v[3:4], v[8:9]
	s_wait_loadcnt 0x0
	s_delay_alu instid0(VALU_DEP_2) | instskip(NEXT) | instid1(VALU_DEP_2)
	v_add_f64_e64 v[1:2], v[26:27], -v[1:2]
	v_add_f64_e64 v[3:4], v[28:29], -v[3:4]
	scratch_store_b128 off, v[1:4], off offset:560
	v_cmpx_lt_u32_e32 33, v0
	s_cbranch_execz .LBB60_325
; %bb.324:
	scratch_load_b128 v[1:4], off, s39
	v_mov_b32_e32 v5, 0
	s_delay_alu instid0(VALU_DEP_1)
	v_dual_mov_b32 v6, v5 :: v_dual_mov_b32 v7, v5
	v_mov_b32_e32 v8, v5
	scratch_store_b128 off, v[5:8], off offset:544
	s_wait_loadcnt 0x0
	ds_store_b128 v164, v[1:4]
.LBB60_325:
	s_wait_alu 0xfffe
	s_or_b32 exec_lo, exec_lo, s0
	s_wait_storecnt_dscnt 0x0
	s_barrier_signal -1
	s_barrier_wait -1
	global_inv scope:SCOPE_SE
	s_clause 0x7
	scratch_load_b128 v[2:5], off, off offset:560
	scratch_load_b128 v[6:9], off, off offset:576
	;; [unrolled: 1-line block ×8, first 2 shown]
	v_mov_b32_e32 v1, 0
	s_clause 0x1
	scratch_load_b128 v[38:41], off, off offset:688
	scratch_load_b128 v[169:172], off, off offset:704
	s_mov_b32 s0, exec_lo
	ds_load_b128 v[34:37], v1 offset:1520
	ds_load_b128 v[165:168], v1 offset:1536
	s_wait_loadcnt_dscnt 0x901
	v_mul_f64_e32 v[173:174], v[36:37], v[4:5]
	v_mul_f64_e32 v[4:5], v[34:35], v[4:5]
	s_wait_loadcnt_dscnt 0x800
	v_mul_f64_e32 v[175:176], v[165:166], v[8:9]
	v_mul_f64_e32 v[8:9], v[167:168], v[8:9]
	s_delay_alu instid0(VALU_DEP_4) | instskip(NEXT) | instid1(VALU_DEP_4)
	v_fma_f64 v[173:174], v[34:35], v[2:3], -v[173:174]
	v_fma_f64 v[177:178], v[36:37], v[2:3], v[4:5]
	ds_load_b128 v[2:5], v1 offset:1552
	scratch_load_b128 v[34:37], off, off offset:720
	v_fma_f64 v[175:176], v[167:168], v[6:7], v[175:176]
	v_fma_f64 v[181:182], v[165:166], v[6:7], -v[8:9]
	ds_load_b128 v[6:9], v1 offset:1568
	scratch_load_b128 v[165:168], off, off offset:736
	s_wait_loadcnt_dscnt 0x901
	v_mul_f64_e32 v[179:180], v[2:3], v[12:13]
	v_mul_f64_e32 v[12:13], v[4:5], v[12:13]
	s_wait_loadcnt_dscnt 0x800
	v_mul_f64_e32 v[183:184], v[6:7], v[16:17]
	v_mul_f64_e32 v[16:17], v[8:9], v[16:17]
	v_add_f64_e32 v[173:174], 0, v[173:174]
	v_add_f64_e32 v[177:178], 0, v[177:178]
	v_fma_f64 v[179:180], v[4:5], v[10:11], v[179:180]
	v_fma_f64 v[185:186], v[2:3], v[10:11], -v[12:13]
	ds_load_b128 v[2:5], v1 offset:1584
	scratch_load_b128 v[10:13], off, off offset:752
	v_add_f64_e32 v[173:174], v[173:174], v[181:182]
	v_add_f64_e32 v[175:176], v[177:178], v[175:176]
	v_fma_f64 v[181:182], v[8:9], v[14:15], v[183:184]
	v_fma_f64 v[183:184], v[6:7], v[14:15], -v[16:17]
	ds_load_b128 v[6:9], v1 offset:1600
	scratch_load_b128 v[14:17], off, off offset:768
	s_wait_loadcnt_dscnt 0x901
	v_mul_f64_e32 v[177:178], v[2:3], v[20:21]
	v_mul_f64_e32 v[20:21], v[4:5], v[20:21]
	v_add_f64_e32 v[173:174], v[173:174], v[185:186]
	v_add_f64_e32 v[175:176], v[175:176], v[179:180]
	s_wait_loadcnt_dscnt 0x800
	v_mul_f64_e32 v[179:180], v[6:7], v[24:25]
	v_mul_f64_e32 v[24:25], v[8:9], v[24:25]
	v_fma_f64 v[177:178], v[4:5], v[18:19], v[177:178]
	v_fma_f64 v[185:186], v[2:3], v[18:19], -v[20:21]
	ds_load_b128 v[2:5], v1 offset:1616
	scratch_load_b128 v[18:21], off, off offset:784
	v_add_f64_e32 v[173:174], v[173:174], v[183:184]
	v_add_f64_e32 v[175:176], v[175:176], v[181:182]
	v_fma_f64 v[179:180], v[8:9], v[22:23], v[179:180]
	v_fma_f64 v[183:184], v[6:7], v[22:23], -v[24:25]
	ds_load_b128 v[6:9], v1 offset:1632
	s_wait_loadcnt_dscnt 0x801
	v_mul_f64_e32 v[181:182], v[2:3], v[28:29]
	v_mul_f64_e32 v[28:29], v[4:5], v[28:29]
	scratch_load_b128 v[22:25], off, off offset:800
	v_add_f64_e32 v[173:174], v[173:174], v[185:186]
	v_add_f64_e32 v[175:176], v[175:176], v[177:178]
	s_wait_loadcnt_dscnt 0x800
	v_mul_f64_e32 v[177:178], v[6:7], v[32:33]
	v_mul_f64_e32 v[32:33], v[8:9], v[32:33]
	v_fma_f64 v[181:182], v[4:5], v[26:27], v[181:182]
	v_fma_f64 v[185:186], v[2:3], v[26:27], -v[28:29]
	ds_load_b128 v[2:5], v1 offset:1648
	scratch_load_b128 v[26:29], off, off offset:816
	v_add_f64_e32 v[173:174], v[173:174], v[183:184]
	v_add_f64_e32 v[175:176], v[175:176], v[179:180]
	v_fma_f64 v[177:178], v[8:9], v[30:31], v[177:178]
	v_fma_f64 v[183:184], v[6:7], v[30:31], -v[32:33]
	ds_load_b128 v[6:9], v1 offset:1664
	s_wait_loadcnt_dscnt 0x801
	v_mul_f64_e32 v[179:180], v[2:3], v[40:41]
	v_mul_f64_e32 v[40:41], v[4:5], v[40:41]
	scratch_load_b128 v[30:33], off, off offset:832
	v_add_f64_e32 v[173:174], v[173:174], v[185:186]
	v_add_f64_e32 v[175:176], v[175:176], v[181:182]
	s_wait_loadcnt_dscnt 0x800
	v_mul_f64_e32 v[181:182], v[6:7], v[171:172]
	v_mul_f64_e32 v[171:172], v[8:9], v[171:172]
	v_fma_f64 v[179:180], v[4:5], v[38:39], v[179:180]
	v_fma_f64 v[185:186], v[2:3], v[38:39], -v[40:41]
	ds_load_b128 v[2:5], v1 offset:1680
	scratch_load_b128 v[38:41], off, off offset:848
	v_add_f64_e32 v[173:174], v[173:174], v[183:184]
	v_add_f64_e32 v[175:176], v[175:176], v[177:178]
	v_fma_f64 v[181:182], v[8:9], v[169:170], v[181:182]
	v_fma_f64 v[183:184], v[6:7], v[169:170], -v[171:172]
	ds_load_b128 v[6:9], v1 offset:1696
	scratch_load_b128 v[169:172], off, off offset:864
	s_wait_loadcnt_dscnt 0x901
	v_mul_f64_e32 v[177:178], v[2:3], v[36:37]
	v_mul_f64_e32 v[36:37], v[4:5], v[36:37]
	v_add_f64_e32 v[173:174], v[173:174], v[185:186]
	v_add_f64_e32 v[175:176], v[175:176], v[179:180]
	s_wait_loadcnt_dscnt 0x800
	v_mul_f64_e32 v[179:180], v[6:7], v[167:168]
	v_mul_f64_e32 v[167:168], v[8:9], v[167:168]
	v_fma_f64 v[177:178], v[4:5], v[34:35], v[177:178]
	v_fma_f64 v[185:186], v[2:3], v[34:35], -v[36:37]
	ds_load_b128 v[2:5], v1 offset:1712
	scratch_load_b128 v[34:37], off, off offset:880
	v_add_f64_e32 v[173:174], v[173:174], v[183:184]
	v_add_f64_e32 v[175:176], v[175:176], v[181:182]
	v_fma_f64 v[179:180], v[8:9], v[165:166], v[179:180]
	v_fma_f64 v[183:184], v[6:7], v[165:166], -v[167:168]
	ds_load_b128 v[6:9], v1 offset:1728
	s_wait_loadcnt_dscnt 0x801
	v_mul_f64_e32 v[181:182], v[2:3], v[12:13]
	v_mul_f64_e32 v[12:13], v[4:5], v[12:13]
	scratch_load_b128 v[165:168], off, off offset:896
	v_add_f64_e32 v[173:174], v[173:174], v[185:186]
	v_add_f64_e32 v[175:176], v[175:176], v[177:178]
	s_wait_loadcnt_dscnt 0x800
	v_mul_f64_e32 v[177:178], v[6:7], v[16:17]
	v_mul_f64_e32 v[16:17], v[8:9], v[16:17]
	v_fma_f64 v[181:182], v[4:5], v[10:11], v[181:182]
	v_fma_f64 v[185:186], v[2:3], v[10:11], -v[12:13]
	ds_load_b128 v[2:5], v1 offset:1744
	scratch_load_b128 v[10:13], off, off offset:912
	v_add_f64_e32 v[173:174], v[173:174], v[183:184]
	v_add_f64_e32 v[175:176], v[175:176], v[179:180]
	v_fma_f64 v[177:178], v[8:9], v[14:15], v[177:178]
	v_fma_f64 v[183:184], v[6:7], v[14:15], -v[16:17]
	ds_load_b128 v[6:9], v1 offset:1760
	s_wait_loadcnt_dscnt 0x801
	v_mul_f64_e32 v[179:180], v[2:3], v[20:21]
	v_mul_f64_e32 v[20:21], v[4:5], v[20:21]
	scratch_load_b128 v[14:17], off, off offset:928
	;; [unrolled: 18-line block ×3, first 2 shown]
	v_add_f64_e32 v[173:174], v[173:174], v[185:186]
	v_add_f64_e32 v[175:176], v[175:176], v[179:180]
	s_wait_loadcnt_dscnt 0x800
	v_mul_f64_e32 v[179:180], v[6:7], v[32:33]
	v_mul_f64_e32 v[32:33], v[8:9], v[32:33]
	v_fma_f64 v[177:178], v[4:5], v[26:27], v[177:178]
	v_fma_f64 v[185:186], v[2:3], v[26:27], -v[28:29]
	ds_load_b128 v[2:5], v1 offset:1808
	scratch_load_b128 v[26:29], off, off offset:976
	v_add_f64_e32 v[173:174], v[173:174], v[183:184]
	v_add_f64_e32 v[175:176], v[175:176], v[181:182]
	v_fma_f64 v[179:180], v[8:9], v[30:31], v[179:180]
	v_fma_f64 v[30:31], v[6:7], v[30:31], -v[32:33]
	ds_load_b128 v[6:9], v1 offset:1824
	s_wait_loadcnt_dscnt 0x801
	v_mul_f64_e32 v[181:182], v[2:3], v[40:41]
	v_mul_f64_e32 v[40:41], v[4:5], v[40:41]
	v_add_f64_e32 v[32:33], v[173:174], v[185:186]
	v_add_f64_e32 v[173:174], v[175:176], v[177:178]
	s_wait_loadcnt_dscnt 0x700
	v_mul_f64_e32 v[175:176], v[6:7], v[171:172]
	v_mul_f64_e32 v[171:172], v[8:9], v[171:172]
	v_fma_f64 v[177:178], v[4:5], v[38:39], v[181:182]
	v_fma_f64 v[38:39], v[2:3], v[38:39], -v[40:41]
	ds_load_b128 v[2:5], v1 offset:1840
	v_add_f64_e32 v[30:31], v[32:33], v[30:31]
	v_add_f64_e32 v[32:33], v[173:174], v[179:180]
	v_fma_f64 v[173:174], v[8:9], v[169:170], v[175:176]
	v_fma_f64 v[169:170], v[6:7], v[169:170], -v[171:172]
	ds_load_b128 v[6:9], v1 offset:1856
	s_wait_loadcnt_dscnt 0x500
	v_mul_f64_e32 v[175:176], v[6:7], v[167:168]
	v_mul_f64_e32 v[167:168], v[8:9], v[167:168]
	v_add_f64_e32 v[38:39], v[30:31], v[38:39]
	v_add_f64_e32 v[171:172], v[32:33], v[177:178]
	scratch_load_b128 v[30:33], off, off offset:544
	v_mul_f64_e32 v[40:41], v[2:3], v[36:37]
	v_mul_f64_e32 v[36:37], v[4:5], v[36:37]
	s_delay_alu instid0(VALU_DEP_2) | instskip(NEXT) | instid1(VALU_DEP_2)
	v_fma_f64 v[40:41], v[4:5], v[34:35], v[40:41]
	v_fma_f64 v[34:35], v[2:3], v[34:35], -v[36:37]
	v_add_f64_e32 v[36:37], v[38:39], v[169:170]
	v_add_f64_e32 v[38:39], v[171:172], v[173:174]
	ds_load_b128 v[2:5], v1 offset:1872
	v_fma_f64 v[171:172], v[8:9], v[165:166], v[175:176]
	v_fma_f64 v[165:166], v[6:7], v[165:166], -v[167:168]
	ds_load_b128 v[6:9], v1 offset:1888
	s_wait_loadcnt_dscnt 0x501
	v_mul_f64_e32 v[169:170], v[2:3], v[12:13]
	v_mul_f64_e32 v[12:13], v[4:5], v[12:13]
	v_add_f64_e32 v[34:35], v[36:37], v[34:35]
	v_add_f64_e32 v[36:37], v[38:39], v[40:41]
	s_wait_loadcnt_dscnt 0x400
	v_mul_f64_e32 v[38:39], v[6:7], v[16:17]
	v_mul_f64_e32 v[16:17], v[8:9], v[16:17]
	v_fma_f64 v[40:41], v[4:5], v[10:11], v[169:170]
	v_fma_f64 v[10:11], v[2:3], v[10:11], -v[12:13]
	ds_load_b128 v[2:5], v1 offset:1904
	v_add_f64_e32 v[12:13], v[34:35], v[165:166]
	v_add_f64_e32 v[34:35], v[36:37], v[171:172]
	v_fma_f64 v[38:39], v[8:9], v[14:15], v[38:39]
	v_fma_f64 v[14:15], v[6:7], v[14:15], -v[16:17]
	ds_load_b128 v[6:9], v1 offset:1920
	s_wait_loadcnt_dscnt 0x301
	v_mul_f64_e32 v[36:37], v[2:3], v[20:21]
	v_mul_f64_e32 v[20:21], v[4:5], v[20:21]
	s_wait_loadcnt_dscnt 0x200
	v_mul_f64_e32 v[16:17], v[6:7], v[24:25]
	v_mul_f64_e32 v[24:25], v[8:9], v[24:25]
	v_add_f64_e32 v[10:11], v[12:13], v[10:11]
	v_add_f64_e32 v[12:13], v[34:35], v[40:41]
	v_fma_f64 v[34:35], v[4:5], v[18:19], v[36:37]
	v_fma_f64 v[18:19], v[2:3], v[18:19], -v[20:21]
	ds_load_b128 v[2:5], v1 offset:1936
	v_fma_f64 v[8:9], v[8:9], v[22:23], v[16:17]
	v_fma_f64 v[6:7], v[6:7], v[22:23], -v[24:25]
	s_wait_loadcnt_dscnt 0x100
	v_mul_f64_e32 v[20:21], v[4:5], v[28:29]
	v_add_f64_e32 v[10:11], v[10:11], v[14:15]
	v_add_f64_e32 v[12:13], v[12:13], v[38:39]
	v_mul_f64_e32 v[14:15], v[2:3], v[28:29]
	s_delay_alu instid0(VALU_DEP_4) | instskip(NEXT) | instid1(VALU_DEP_4)
	v_fma_f64 v[2:3], v[2:3], v[26:27], -v[20:21]
	v_add_f64_e32 v[10:11], v[10:11], v[18:19]
	s_delay_alu instid0(VALU_DEP_4) | instskip(NEXT) | instid1(VALU_DEP_4)
	v_add_f64_e32 v[12:13], v[12:13], v[34:35]
	v_fma_f64 v[4:5], v[4:5], v[26:27], v[14:15]
	s_delay_alu instid0(VALU_DEP_3) | instskip(NEXT) | instid1(VALU_DEP_3)
	v_add_f64_e32 v[6:7], v[10:11], v[6:7]
	v_add_f64_e32 v[8:9], v[12:13], v[8:9]
	s_delay_alu instid0(VALU_DEP_2) | instskip(NEXT) | instid1(VALU_DEP_2)
	v_add_f64_e32 v[2:3], v[6:7], v[2:3]
	v_add_f64_e32 v[4:5], v[8:9], v[4:5]
	s_wait_loadcnt 0x0
	s_delay_alu instid0(VALU_DEP_2) | instskip(NEXT) | instid1(VALU_DEP_2)
	v_add_f64_e64 v[2:3], v[30:31], -v[2:3]
	v_add_f64_e64 v[4:5], v[32:33], -v[4:5]
	scratch_store_b128 off, v[2:5], off offset:544
	v_cmpx_lt_u32_e32 32, v0
	s_cbranch_execz .LBB60_327
; %bb.326:
	scratch_load_b128 v[5:8], off, s40
	v_dual_mov_b32 v2, v1 :: v_dual_mov_b32 v3, v1
	v_mov_b32_e32 v4, v1
	scratch_store_b128 off, v[1:4], off offset:528
	s_wait_loadcnt 0x0
	ds_store_b128 v164, v[5:8]
.LBB60_327:
	s_wait_alu 0xfffe
	s_or_b32 exec_lo, exec_lo, s0
	s_wait_storecnt_dscnt 0x0
	s_barrier_signal -1
	s_barrier_wait -1
	global_inv scope:SCOPE_SE
	s_clause 0x7
	scratch_load_b128 v[2:5], off, off offset:544
	scratch_load_b128 v[6:9], off, off offset:560
	scratch_load_b128 v[10:13], off, off offset:576
	scratch_load_b128 v[14:17], off, off offset:592
	scratch_load_b128 v[18:21], off, off offset:608
	scratch_load_b128 v[22:25], off, off offset:624
	scratch_load_b128 v[26:29], off, off offset:640
	scratch_load_b128 v[30:33], off, off offset:656
	ds_load_b128 v[34:37], v1 offset:1504
	ds_load_b128 v[165:168], v1 offset:1520
	s_clause 0x1
	scratch_load_b128 v[38:41], off, off offset:672
	scratch_load_b128 v[169:172], off, off offset:688
	s_mov_b32 s0, exec_lo
	s_wait_loadcnt_dscnt 0x901
	v_mul_f64_e32 v[173:174], v[36:37], v[4:5]
	v_mul_f64_e32 v[4:5], v[34:35], v[4:5]
	s_wait_loadcnt_dscnt 0x800
	v_mul_f64_e32 v[175:176], v[165:166], v[8:9]
	v_mul_f64_e32 v[8:9], v[167:168], v[8:9]
	s_delay_alu instid0(VALU_DEP_4) | instskip(NEXT) | instid1(VALU_DEP_4)
	v_fma_f64 v[173:174], v[34:35], v[2:3], -v[173:174]
	v_fma_f64 v[177:178], v[36:37], v[2:3], v[4:5]
	scratch_load_b128 v[34:37], off, off offset:704
	ds_load_b128 v[2:5], v1 offset:1536
	v_fma_f64 v[175:176], v[167:168], v[6:7], v[175:176]
	v_fma_f64 v[181:182], v[165:166], v[6:7], -v[8:9]
	ds_load_b128 v[6:9], v1 offset:1552
	scratch_load_b128 v[165:168], off, off offset:720
	s_wait_loadcnt_dscnt 0x901
	v_mul_f64_e32 v[179:180], v[2:3], v[12:13]
	v_mul_f64_e32 v[12:13], v[4:5], v[12:13]
	s_wait_loadcnt_dscnt 0x800
	v_mul_f64_e32 v[183:184], v[6:7], v[16:17]
	v_mul_f64_e32 v[16:17], v[8:9], v[16:17]
	v_add_f64_e32 v[173:174], 0, v[173:174]
	v_add_f64_e32 v[177:178], 0, v[177:178]
	v_fma_f64 v[179:180], v[4:5], v[10:11], v[179:180]
	v_fma_f64 v[185:186], v[2:3], v[10:11], -v[12:13]
	ds_load_b128 v[2:5], v1 offset:1568
	scratch_load_b128 v[10:13], off, off offset:736
	v_add_f64_e32 v[173:174], v[173:174], v[181:182]
	v_add_f64_e32 v[175:176], v[177:178], v[175:176]
	v_fma_f64 v[181:182], v[8:9], v[14:15], v[183:184]
	v_fma_f64 v[183:184], v[6:7], v[14:15], -v[16:17]
	ds_load_b128 v[6:9], v1 offset:1584
	scratch_load_b128 v[14:17], off, off offset:752
	s_wait_loadcnt_dscnt 0x901
	v_mul_f64_e32 v[177:178], v[2:3], v[20:21]
	v_mul_f64_e32 v[20:21], v[4:5], v[20:21]
	v_add_f64_e32 v[173:174], v[173:174], v[185:186]
	v_add_f64_e32 v[175:176], v[175:176], v[179:180]
	s_wait_loadcnt_dscnt 0x800
	v_mul_f64_e32 v[179:180], v[6:7], v[24:25]
	v_mul_f64_e32 v[24:25], v[8:9], v[24:25]
	v_fma_f64 v[177:178], v[4:5], v[18:19], v[177:178]
	v_fma_f64 v[185:186], v[2:3], v[18:19], -v[20:21]
	ds_load_b128 v[2:5], v1 offset:1600
	scratch_load_b128 v[18:21], off, off offset:768
	v_add_f64_e32 v[173:174], v[173:174], v[183:184]
	v_add_f64_e32 v[175:176], v[175:176], v[181:182]
	v_fma_f64 v[179:180], v[8:9], v[22:23], v[179:180]
	v_fma_f64 v[183:184], v[6:7], v[22:23], -v[24:25]
	ds_load_b128 v[6:9], v1 offset:1616
	s_wait_loadcnt_dscnt 0x801
	v_mul_f64_e32 v[181:182], v[2:3], v[28:29]
	v_mul_f64_e32 v[28:29], v[4:5], v[28:29]
	scratch_load_b128 v[22:25], off, off offset:784
	v_add_f64_e32 v[173:174], v[173:174], v[185:186]
	v_add_f64_e32 v[175:176], v[175:176], v[177:178]
	s_wait_loadcnt_dscnt 0x800
	v_mul_f64_e32 v[177:178], v[6:7], v[32:33]
	v_mul_f64_e32 v[32:33], v[8:9], v[32:33]
	v_fma_f64 v[181:182], v[4:5], v[26:27], v[181:182]
	v_fma_f64 v[185:186], v[2:3], v[26:27], -v[28:29]
	ds_load_b128 v[2:5], v1 offset:1632
	scratch_load_b128 v[26:29], off, off offset:800
	v_add_f64_e32 v[173:174], v[173:174], v[183:184]
	v_add_f64_e32 v[175:176], v[175:176], v[179:180]
	v_fma_f64 v[177:178], v[8:9], v[30:31], v[177:178]
	v_fma_f64 v[183:184], v[6:7], v[30:31], -v[32:33]
	ds_load_b128 v[6:9], v1 offset:1648
	s_wait_loadcnt_dscnt 0x801
	v_mul_f64_e32 v[179:180], v[2:3], v[40:41]
	v_mul_f64_e32 v[40:41], v[4:5], v[40:41]
	scratch_load_b128 v[30:33], off, off offset:816
	v_add_f64_e32 v[173:174], v[173:174], v[185:186]
	v_add_f64_e32 v[175:176], v[175:176], v[181:182]
	s_wait_loadcnt_dscnt 0x800
	v_mul_f64_e32 v[181:182], v[6:7], v[171:172]
	v_mul_f64_e32 v[171:172], v[8:9], v[171:172]
	v_fma_f64 v[179:180], v[4:5], v[38:39], v[179:180]
	v_fma_f64 v[185:186], v[2:3], v[38:39], -v[40:41]
	ds_load_b128 v[2:5], v1 offset:1664
	scratch_load_b128 v[38:41], off, off offset:832
	v_add_f64_e32 v[173:174], v[173:174], v[183:184]
	v_add_f64_e32 v[175:176], v[175:176], v[177:178]
	v_fma_f64 v[181:182], v[8:9], v[169:170], v[181:182]
	v_fma_f64 v[183:184], v[6:7], v[169:170], -v[171:172]
	ds_load_b128 v[6:9], v1 offset:1680
	scratch_load_b128 v[169:172], off, off offset:848
	s_wait_loadcnt_dscnt 0x901
	v_mul_f64_e32 v[177:178], v[2:3], v[36:37]
	v_mul_f64_e32 v[36:37], v[4:5], v[36:37]
	v_add_f64_e32 v[173:174], v[173:174], v[185:186]
	v_add_f64_e32 v[175:176], v[175:176], v[179:180]
	s_wait_loadcnt_dscnt 0x800
	v_mul_f64_e32 v[179:180], v[6:7], v[167:168]
	v_mul_f64_e32 v[167:168], v[8:9], v[167:168]
	v_fma_f64 v[177:178], v[4:5], v[34:35], v[177:178]
	v_fma_f64 v[185:186], v[2:3], v[34:35], -v[36:37]
	scratch_load_b128 v[34:37], off, off offset:864
	ds_load_b128 v[2:5], v1 offset:1696
	v_add_f64_e32 v[173:174], v[173:174], v[183:184]
	v_add_f64_e32 v[175:176], v[175:176], v[181:182]
	v_fma_f64 v[179:180], v[8:9], v[165:166], v[179:180]
	v_fma_f64 v[183:184], v[6:7], v[165:166], -v[167:168]
	ds_load_b128 v[6:9], v1 offset:1712
	s_wait_loadcnt_dscnt 0x801
	v_mul_f64_e32 v[181:182], v[2:3], v[12:13]
	v_mul_f64_e32 v[12:13], v[4:5], v[12:13]
	scratch_load_b128 v[165:168], off, off offset:880
	v_add_f64_e32 v[173:174], v[173:174], v[185:186]
	v_add_f64_e32 v[175:176], v[175:176], v[177:178]
	s_wait_loadcnt_dscnt 0x800
	v_mul_f64_e32 v[177:178], v[6:7], v[16:17]
	v_mul_f64_e32 v[16:17], v[8:9], v[16:17]
	v_fma_f64 v[181:182], v[4:5], v[10:11], v[181:182]
	v_fma_f64 v[185:186], v[2:3], v[10:11], -v[12:13]
	ds_load_b128 v[2:5], v1 offset:1728
	scratch_load_b128 v[10:13], off, off offset:896
	v_add_f64_e32 v[173:174], v[173:174], v[183:184]
	v_add_f64_e32 v[175:176], v[175:176], v[179:180]
	v_fma_f64 v[177:178], v[8:9], v[14:15], v[177:178]
	v_fma_f64 v[183:184], v[6:7], v[14:15], -v[16:17]
	ds_load_b128 v[6:9], v1 offset:1744
	s_wait_loadcnt_dscnt 0x801
	v_mul_f64_e32 v[179:180], v[2:3], v[20:21]
	v_mul_f64_e32 v[20:21], v[4:5], v[20:21]
	scratch_load_b128 v[14:17], off, off offset:912
	v_add_f64_e32 v[173:174], v[173:174], v[185:186]
	v_add_f64_e32 v[175:176], v[175:176], v[181:182]
	s_wait_loadcnt_dscnt 0x800
	v_mul_f64_e32 v[181:182], v[6:7], v[24:25]
	v_mul_f64_e32 v[24:25], v[8:9], v[24:25]
	v_fma_f64 v[179:180], v[4:5], v[18:19], v[179:180]
	v_fma_f64 v[185:186], v[2:3], v[18:19], -v[20:21]
	ds_load_b128 v[2:5], v1 offset:1760
	scratch_load_b128 v[18:21], off, off offset:928
	;; [unrolled: 18-line block ×3, first 2 shown]
	v_add_f64_e32 v[173:174], v[173:174], v[183:184]
	v_add_f64_e32 v[175:176], v[175:176], v[181:182]
	v_fma_f64 v[179:180], v[8:9], v[30:31], v[179:180]
	v_fma_f64 v[183:184], v[6:7], v[30:31], -v[32:33]
	ds_load_b128 v[6:9], v1 offset:1808
	s_wait_loadcnt_dscnt 0x801
	v_mul_f64_e32 v[181:182], v[2:3], v[40:41]
	v_mul_f64_e32 v[40:41], v[4:5], v[40:41]
	scratch_load_b128 v[30:33], off, off offset:976
	v_add_f64_e32 v[173:174], v[173:174], v[185:186]
	v_add_f64_e32 v[175:176], v[175:176], v[177:178]
	v_fma_f64 v[181:182], v[4:5], v[38:39], v[181:182]
	v_fma_f64 v[38:39], v[2:3], v[38:39], -v[40:41]
	ds_load_b128 v[2:5], v1 offset:1824
	v_add_f64_e32 v[40:41], v[173:174], v[183:184]
	v_add_f64_e32 v[173:174], v[175:176], v[179:180]
	s_wait_loadcnt_dscnt 0x700
	v_mul_f64_e32 v[175:176], v[2:3], v[36:37]
	v_mul_f64_e32 v[36:37], v[4:5], v[36:37]
	s_delay_alu instid0(VALU_DEP_4) | instskip(NEXT) | instid1(VALU_DEP_4)
	v_add_f64_e32 v[38:39], v[40:41], v[38:39]
	v_add_f64_e32 v[40:41], v[173:174], v[181:182]
	s_delay_alu instid0(VALU_DEP_4) | instskip(NEXT) | instid1(VALU_DEP_4)
	v_fma_f64 v[173:174], v[4:5], v[34:35], v[175:176]
	v_fma_f64 v[175:176], v[2:3], v[34:35], -v[36:37]
	scratch_load_b128 v[34:37], off, off offset:528
	v_mul_f64_e32 v[177:178], v[6:7], v[171:172]
	v_mul_f64_e32 v[171:172], v[8:9], v[171:172]
	ds_load_b128 v[2:5], v1 offset:1856
	v_fma_f64 v[177:178], v[8:9], v[169:170], v[177:178]
	v_fma_f64 v[169:170], v[6:7], v[169:170], -v[171:172]
	ds_load_b128 v[6:9], v1 offset:1840
	s_wait_loadcnt_dscnt 0x700
	v_mul_f64_e32 v[171:172], v[6:7], v[167:168]
	v_mul_f64_e32 v[167:168], v[8:9], v[167:168]
	v_add_f64_e32 v[40:41], v[40:41], v[177:178]
	v_add_f64_e32 v[38:39], v[38:39], v[169:170]
	s_wait_loadcnt 0x6
	v_mul_f64_e32 v[169:170], v[2:3], v[12:13]
	v_mul_f64_e32 v[12:13], v[4:5], v[12:13]
	v_fma_f64 v[171:172], v[8:9], v[165:166], v[171:172]
	v_fma_f64 v[165:166], v[6:7], v[165:166], -v[167:168]
	ds_load_b128 v[6:9], v1 offset:1872
	v_add_f64_e32 v[40:41], v[40:41], v[173:174]
	v_add_f64_e32 v[38:39], v[38:39], v[175:176]
	v_fma_f64 v[169:170], v[4:5], v[10:11], v[169:170]
	v_fma_f64 v[10:11], v[2:3], v[10:11], -v[12:13]
	ds_load_b128 v[2:5], v1 offset:1888
	s_wait_loadcnt_dscnt 0x501
	v_mul_f64_e32 v[167:168], v[6:7], v[16:17]
	v_mul_f64_e32 v[16:17], v[8:9], v[16:17]
	v_add_f64_e32 v[12:13], v[38:39], v[165:166]
	v_add_f64_e32 v[38:39], v[40:41], v[171:172]
	s_wait_loadcnt_dscnt 0x400
	v_mul_f64_e32 v[40:41], v[2:3], v[20:21]
	v_mul_f64_e32 v[20:21], v[4:5], v[20:21]
	v_fma_f64 v[165:166], v[8:9], v[14:15], v[167:168]
	v_fma_f64 v[14:15], v[6:7], v[14:15], -v[16:17]
	ds_load_b128 v[6:9], v1 offset:1904
	v_add_f64_e32 v[10:11], v[12:13], v[10:11]
	v_add_f64_e32 v[12:13], v[38:39], v[169:170]
	v_fma_f64 v[38:39], v[4:5], v[18:19], v[40:41]
	v_fma_f64 v[18:19], v[2:3], v[18:19], -v[20:21]
	ds_load_b128 v[2:5], v1 offset:1920
	s_wait_loadcnt_dscnt 0x301
	v_mul_f64_e32 v[16:17], v[6:7], v[24:25]
	v_mul_f64_e32 v[24:25], v[8:9], v[24:25]
	s_wait_loadcnt_dscnt 0x200
	v_mul_f64_e32 v[20:21], v[4:5], v[28:29]
	v_add_f64_e32 v[10:11], v[10:11], v[14:15]
	v_add_f64_e32 v[12:13], v[12:13], v[165:166]
	v_mul_f64_e32 v[14:15], v[2:3], v[28:29]
	v_fma_f64 v[16:17], v[8:9], v[22:23], v[16:17]
	v_fma_f64 v[22:23], v[6:7], v[22:23], -v[24:25]
	ds_load_b128 v[6:9], v1 offset:1936
	v_fma_f64 v[1:2], v[2:3], v[26:27], -v[20:21]
	s_wait_loadcnt_dscnt 0x100
	v_mul_f64_e32 v[24:25], v[8:9], v[32:33]
	v_add_f64_e32 v[10:11], v[10:11], v[18:19]
	v_add_f64_e32 v[12:13], v[12:13], v[38:39]
	v_mul_f64_e32 v[18:19], v[6:7], v[32:33]
	v_fma_f64 v[4:5], v[4:5], v[26:27], v[14:15]
	v_fma_f64 v[6:7], v[6:7], v[30:31], -v[24:25]
	v_add_f64_e32 v[10:11], v[10:11], v[22:23]
	v_add_f64_e32 v[12:13], v[12:13], v[16:17]
	v_fma_f64 v[8:9], v[8:9], v[30:31], v[18:19]
	s_delay_alu instid0(VALU_DEP_3) | instskip(NEXT) | instid1(VALU_DEP_3)
	v_add_f64_e32 v[1:2], v[10:11], v[1:2]
	v_add_f64_e32 v[3:4], v[12:13], v[4:5]
	s_delay_alu instid0(VALU_DEP_2) | instskip(NEXT) | instid1(VALU_DEP_2)
	v_add_f64_e32 v[1:2], v[1:2], v[6:7]
	v_add_f64_e32 v[3:4], v[3:4], v[8:9]
	s_wait_loadcnt 0x0
	s_delay_alu instid0(VALU_DEP_2) | instskip(NEXT) | instid1(VALU_DEP_2)
	v_add_f64_e64 v[1:2], v[34:35], -v[1:2]
	v_add_f64_e64 v[3:4], v[36:37], -v[3:4]
	scratch_store_b128 off, v[1:4], off offset:528
	v_cmpx_lt_u32_e32 31, v0
	s_cbranch_execz .LBB60_329
; %bb.328:
	scratch_load_b128 v[1:4], off, s41
	v_mov_b32_e32 v5, 0
	s_delay_alu instid0(VALU_DEP_1)
	v_dual_mov_b32 v6, v5 :: v_dual_mov_b32 v7, v5
	v_mov_b32_e32 v8, v5
	scratch_store_b128 off, v[5:8], off offset:512
	s_wait_loadcnt 0x0
	ds_store_b128 v164, v[1:4]
.LBB60_329:
	s_wait_alu 0xfffe
	s_or_b32 exec_lo, exec_lo, s0
	s_wait_storecnt_dscnt 0x0
	s_barrier_signal -1
	s_barrier_wait -1
	global_inv scope:SCOPE_SE
	s_clause 0x7
	scratch_load_b128 v[2:5], off, off offset:528
	scratch_load_b128 v[6:9], off, off offset:544
	scratch_load_b128 v[10:13], off, off offset:560
	scratch_load_b128 v[14:17], off, off offset:576
	scratch_load_b128 v[18:21], off, off offset:592
	scratch_load_b128 v[22:25], off, off offset:608
	scratch_load_b128 v[26:29], off, off offset:624
	scratch_load_b128 v[30:33], off, off offset:640
	v_mov_b32_e32 v1, 0
	s_clause 0x1
	scratch_load_b128 v[38:41], off, off offset:656
	scratch_load_b128 v[169:172], off, off offset:672
	s_mov_b32 s0, exec_lo
	ds_load_b128 v[34:37], v1 offset:1488
	ds_load_b128 v[165:168], v1 offset:1504
	s_wait_loadcnt_dscnt 0x901
	v_mul_f64_e32 v[173:174], v[36:37], v[4:5]
	v_mul_f64_e32 v[4:5], v[34:35], v[4:5]
	s_wait_loadcnt_dscnt 0x800
	v_mul_f64_e32 v[175:176], v[165:166], v[8:9]
	v_mul_f64_e32 v[8:9], v[167:168], v[8:9]
	s_delay_alu instid0(VALU_DEP_4) | instskip(NEXT) | instid1(VALU_DEP_4)
	v_fma_f64 v[173:174], v[34:35], v[2:3], -v[173:174]
	v_fma_f64 v[177:178], v[36:37], v[2:3], v[4:5]
	ds_load_b128 v[2:5], v1 offset:1520
	scratch_load_b128 v[34:37], off, off offset:688
	v_fma_f64 v[175:176], v[167:168], v[6:7], v[175:176]
	v_fma_f64 v[181:182], v[165:166], v[6:7], -v[8:9]
	ds_load_b128 v[6:9], v1 offset:1536
	scratch_load_b128 v[165:168], off, off offset:704
	s_wait_loadcnt_dscnt 0x901
	v_mul_f64_e32 v[179:180], v[2:3], v[12:13]
	v_mul_f64_e32 v[12:13], v[4:5], v[12:13]
	s_wait_loadcnt_dscnt 0x800
	v_mul_f64_e32 v[183:184], v[6:7], v[16:17]
	v_mul_f64_e32 v[16:17], v[8:9], v[16:17]
	v_add_f64_e32 v[173:174], 0, v[173:174]
	v_add_f64_e32 v[177:178], 0, v[177:178]
	v_fma_f64 v[179:180], v[4:5], v[10:11], v[179:180]
	v_fma_f64 v[185:186], v[2:3], v[10:11], -v[12:13]
	ds_load_b128 v[2:5], v1 offset:1552
	scratch_load_b128 v[10:13], off, off offset:720
	v_add_f64_e32 v[173:174], v[173:174], v[181:182]
	v_add_f64_e32 v[175:176], v[177:178], v[175:176]
	v_fma_f64 v[181:182], v[8:9], v[14:15], v[183:184]
	v_fma_f64 v[183:184], v[6:7], v[14:15], -v[16:17]
	ds_load_b128 v[6:9], v1 offset:1568
	scratch_load_b128 v[14:17], off, off offset:736
	s_wait_loadcnt_dscnt 0x901
	v_mul_f64_e32 v[177:178], v[2:3], v[20:21]
	v_mul_f64_e32 v[20:21], v[4:5], v[20:21]
	v_add_f64_e32 v[173:174], v[173:174], v[185:186]
	v_add_f64_e32 v[175:176], v[175:176], v[179:180]
	s_wait_loadcnt_dscnt 0x800
	v_mul_f64_e32 v[179:180], v[6:7], v[24:25]
	v_mul_f64_e32 v[24:25], v[8:9], v[24:25]
	v_fma_f64 v[177:178], v[4:5], v[18:19], v[177:178]
	v_fma_f64 v[185:186], v[2:3], v[18:19], -v[20:21]
	ds_load_b128 v[2:5], v1 offset:1584
	scratch_load_b128 v[18:21], off, off offset:752
	v_add_f64_e32 v[173:174], v[173:174], v[183:184]
	v_add_f64_e32 v[175:176], v[175:176], v[181:182]
	v_fma_f64 v[179:180], v[8:9], v[22:23], v[179:180]
	v_fma_f64 v[183:184], v[6:7], v[22:23], -v[24:25]
	ds_load_b128 v[6:9], v1 offset:1600
	s_wait_loadcnt_dscnt 0x801
	v_mul_f64_e32 v[181:182], v[2:3], v[28:29]
	v_mul_f64_e32 v[28:29], v[4:5], v[28:29]
	scratch_load_b128 v[22:25], off, off offset:768
	v_add_f64_e32 v[173:174], v[173:174], v[185:186]
	v_add_f64_e32 v[175:176], v[175:176], v[177:178]
	s_wait_loadcnt_dscnt 0x800
	v_mul_f64_e32 v[177:178], v[6:7], v[32:33]
	v_mul_f64_e32 v[32:33], v[8:9], v[32:33]
	v_fma_f64 v[181:182], v[4:5], v[26:27], v[181:182]
	v_fma_f64 v[185:186], v[2:3], v[26:27], -v[28:29]
	ds_load_b128 v[2:5], v1 offset:1616
	scratch_load_b128 v[26:29], off, off offset:784
	v_add_f64_e32 v[173:174], v[173:174], v[183:184]
	v_add_f64_e32 v[175:176], v[175:176], v[179:180]
	v_fma_f64 v[177:178], v[8:9], v[30:31], v[177:178]
	v_fma_f64 v[183:184], v[6:7], v[30:31], -v[32:33]
	ds_load_b128 v[6:9], v1 offset:1632
	s_wait_loadcnt_dscnt 0x801
	v_mul_f64_e32 v[179:180], v[2:3], v[40:41]
	v_mul_f64_e32 v[40:41], v[4:5], v[40:41]
	scratch_load_b128 v[30:33], off, off offset:800
	v_add_f64_e32 v[173:174], v[173:174], v[185:186]
	v_add_f64_e32 v[175:176], v[175:176], v[181:182]
	s_wait_loadcnt_dscnt 0x800
	v_mul_f64_e32 v[181:182], v[6:7], v[171:172]
	v_mul_f64_e32 v[171:172], v[8:9], v[171:172]
	v_fma_f64 v[179:180], v[4:5], v[38:39], v[179:180]
	v_fma_f64 v[185:186], v[2:3], v[38:39], -v[40:41]
	ds_load_b128 v[2:5], v1 offset:1648
	scratch_load_b128 v[38:41], off, off offset:816
	v_add_f64_e32 v[173:174], v[173:174], v[183:184]
	v_add_f64_e32 v[175:176], v[175:176], v[177:178]
	v_fma_f64 v[181:182], v[8:9], v[169:170], v[181:182]
	v_fma_f64 v[183:184], v[6:7], v[169:170], -v[171:172]
	ds_load_b128 v[6:9], v1 offset:1664
	scratch_load_b128 v[169:172], off, off offset:832
	s_wait_loadcnt_dscnt 0x901
	v_mul_f64_e32 v[177:178], v[2:3], v[36:37]
	v_mul_f64_e32 v[36:37], v[4:5], v[36:37]
	v_add_f64_e32 v[173:174], v[173:174], v[185:186]
	v_add_f64_e32 v[175:176], v[175:176], v[179:180]
	s_wait_loadcnt_dscnt 0x800
	v_mul_f64_e32 v[179:180], v[6:7], v[167:168]
	v_mul_f64_e32 v[167:168], v[8:9], v[167:168]
	v_fma_f64 v[177:178], v[4:5], v[34:35], v[177:178]
	v_fma_f64 v[185:186], v[2:3], v[34:35], -v[36:37]
	ds_load_b128 v[2:5], v1 offset:1680
	scratch_load_b128 v[34:37], off, off offset:848
	v_add_f64_e32 v[173:174], v[173:174], v[183:184]
	v_add_f64_e32 v[175:176], v[175:176], v[181:182]
	v_fma_f64 v[179:180], v[8:9], v[165:166], v[179:180]
	v_fma_f64 v[183:184], v[6:7], v[165:166], -v[167:168]
	ds_load_b128 v[6:9], v1 offset:1696
	s_wait_loadcnt_dscnt 0x801
	v_mul_f64_e32 v[181:182], v[2:3], v[12:13]
	v_mul_f64_e32 v[12:13], v[4:5], v[12:13]
	scratch_load_b128 v[165:168], off, off offset:864
	v_add_f64_e32 v[173:174], v[173:174], v[185:186]
	v_add_f64_e32 v[175:176], v[175:176], v[177:178]
	s_wait_loadcnt_dscnt 0x800
	v_mul_f64_e32 v[177:178], v[6:7], v[16:17]
	v_mul_f64_e32 v[16:17], v[8:9], v[16:17]
	v_fma_f64 v[181:182], v[4:5], v[10:11], v[181:182]
	v_fma_f64 v[185:186], v[2:3], v[10:11], -v[12:13]
	ds_load_b128 v[2:5], v1 offset:1712
	scratch_load_b128 v[10:13], off, off offset:880
	v_add_f64_e32 v[173:174], v[173:174], v[183:184]
	v_add_f64_e32 v[175:176], v[175:176], v[179:180]
	v_fma_f64 v[177:178], v[8:9], v[14:15], v[177:178]
	v_fma_f64 v[183:184], v[6:7], v[14:15], -v[16:17]
	ds_load_b128 v[6:9], v1 offset:1728
	s_wait_loadcnt_dscnt 0x801
	v_mul_f64_e32 v[179:180], v[2:3], v[20:21]
	v_mul_f64_e32 v[20:21], v[4:5], v[20:21]
	scratch_load_b128 v[14:17], off, off offset:896
	;; [unrolled: 18-line block ×4, first 2 shown]
	v_add_f64_e32 v[173:174], v[173:174], v[185:186]
	v_add_f64_e32 v[175:176], v[175:176], v[177:178]
	s_wait_loadcnt_dscnt 0x800
	v_mul_f64_e32 v[177:178], v[6:7], v[171:172]
	v_mul_f64_e32 v[171:172], v[8:9], v[171:172]
	v_fma_f64 v[181:182], v[4:5], v[38:39], v[181:182]
	v_fma_f64 v[185:186], v[2:3], v[38:39], -v[40:41]
	ds_load_b128 v[2:5], v1 offset:1808
	scratch_load_b128 v[38:41], off, off offset:976
	v_add_f64_e32 v[173:174], v[173:174], v[183:184]
	v_add_f64_e32 v[175:176], v[175:176], v[179:180]
	v_fma_f64 v[177:178], v[8:9], v[169:170], v[177:178]
	v_fma_f64 v[169:170], v[6:7], v[169:170], -v[171:172]
	ds_load_b128 v[6:9], v1 offset:1824
	s_wait_loadcnt_dscnt 0x801
	v_mul_f64_e32 v[179:180], v[2:3], v[36:37]
	v_mul_f64_e32 v[36:37], v[4:5], v[36:37]
	v_add_f64_e32 v[171:172], v[173:174], v[185:186]
	v_add_f64_e32 v[173:174], v[175:176], v[181:182]
	s_wait_loadcnt_dscnt 0x700
	v_mul_f64_e32 v[175:176], v[6:7], v[167:168]
	v_mul_f64_e32 v[167:168], v[8:9], v[167:168]
	v_fma_f64 v[179:180], v[4:5], v[34:35], v[179:180]
	v_fma_f64 v[34:35], v[2:3], v[34:35], -v[36:37]
	ds_load_b128 v[2:5], v1 offset:1840
	v_add_f64_e32 v[36:37], v[171:172], v[169:170]
	v_add_f64_e32 v[169:170], v[173:174], v[177:178]
	v_fma_f64 v[173:174], v[8:9], v[165:166], v[175:176]
	v_fma_f64 v[165:166], v[6:7], v[165:166], -v[167:168]
	ds_load_b128 v[6:9], v1 offset:1856
	s_wait_loadcnt_dscnt 0x500
	v_mul_f64_e32 v[175:176], v[6:7], v[16:17]
	v_mul_f64_e32 v[16:17], v[8:9], v[16:17]
	v_add_f64_e32 v[167:168], v[36:37], v[34:35]
	v_add_f64_e32 v[169:170], v[169:170], v[179:180]
	scratch_load_b128 v[34:37], off, off offset:512
	v_mul_f64_e32 v[171:172], v[2:3], v[12:13]
	v_mul_f64_e32 v[12:13], v[4:5], v[12:13]
	s_delay_alu instid0(VALU_DEP_2) | instskip(NEXT) | instid1(VALU_DEP_2)
	v_fma_f64 v[171:172], v[4:5], v[10:11], v[171:172]
	v_fma_f64 v[10:11], v[2:3], v[10:11], -v[12:13]
	v_add_f64_e32 v[12:13], v[167:168], v[165:166]
	v_add_f64_e32 v[165:166], v[169:170], v[173:174]
	ds_load_b128 v[2:5], v1 offset:1872
	v_fma_f64 v[169:170], v[8:9], v[14:15], v[175:176]
	v_fma_f64 v[14:15], v[6:7], v[14:15], -v[16:17]
	ds_load_b128 v[6:9], v1 offset:1888
	s_wait_loadcnt_dscnt 0x501
	v_mul_f64_e32 v[167:168], v[2:3], v[20:21]
	v_mul_f64_e32 v[20:21], v[4:5], v[20:21]
	s_wait_loadcnt_dscnt 0x400
	v_mul_f64_e32 v[16:17], v[6:7], v[24:25]
	v_mul_f64_e32 v[24:25], v[8:9], v[24:25]
	v_add_f64_e32 v[10:11], v[12:13], v[10:11]
	v_add_f64_e32 v[12:13], v[165:166], v[171:172]
	v_fma_f64 v[165:166], v[4:5], v[18:19], v[167:168]
	v_fma_f64 v[18:19], v[2:3], v[18:19], -v[20:21]
	ds_load_b128 v[2:5], v1 offset:1904
	v_fma_f64 v[16:17], v[8:9], v[22:23], v[16:17]
	v_fma_f64 v[22:23], v[6:7], v[22:23], -v[24:25]
	ds_load_b128 v[6:9], v1 offset:1920
	v_add_f64_e32 v[10:11], v[10:11], v[14:15]
	v_add_f64_e32 v[12:13], v[12:13], v[169:170]
	s_wait_loadcnt_dscnt 0x301
	v_mul_f64_e32 v[14:15], v[2:3], v[28:29]
	v_mul_f64_e32 v[20:21], v[4:5], v[28:29]
	s_wait_loadcnt_dscnt 0x200
	v_mul_f64_e32 v[24:25], v[8:9], v[32:33]
	v_add_f64_e32 v[10:11], v[10:11], v[18:19]
	v_add_f64_e32 v[12:13], v[12:13], v[165:166]
	v_mul_f64_e32 v[18:19], v[6:7], v[32:33]
	v_fma_f64 v[14:15], v[4:5], v[26:27], v[14:15]
	v_fma_f64 v[20:21], v[2:3], v[26:27], -v[20:21]
	ds_load_b128 v[2:5], v1 offset:1936
	v_fma_f64 v[6:7], v[6:7], v[30:31], -v[24:25]
	v_add_f64_e32 v[10:11], v[10:11], v[22:23]
	v_add_f64_e32 v[12:13], v[12:13], v[16:17]
	s_wait_loadcnt_dscnt 0x100
	v_mul_f64_e32 v[16:17], v[2:3], v[40:41]
	v_mul_f64_e32 v[22:23], v[4:5], v[40:41]
	v_fma_f64 v[8:9], v[8:9], v[30:31], v[18:19]
	v_add_f64_e32 v[10:11], v[10:11], v[20:21]
	v_add_f64_e32 v[12:13], v[12:13], v[14:15]
	v_fma_f64 v[4:5], v[4:5], v[38:39], v[16:17]
	v_fma_f64 v[2:3], v[2:3], v[38:39], -v[22:23]
	s_delay_alu instid0(VALU_DEP_4) | instskip(NEXT) | instid1(VALU_DEP_4)
	v_add_f64_e32 v[6:7], v[10:11], v[6:7]
	v_add_f64_e32 v[8:9], v[12:13], v[8:9]
	s_delay_alu instid0(VALU_DEP_2) | instskip(NEXT) | instid1(VALU_DEP_2)
	v_add_f64_e32 v[2:3], v[6:7], v[2:3]
	v_add_f64_e32 v[4:5], v[8:9], v[4:5]
	s_wait_loadcnt 0x0
	s_delay_alu instid0(VALU_DEP_2) | instskip(NEXT) | instid1(VALU_DEP_2)
	v_add_f64_e64 v[2:3], v[34:35], -v[2:3]
	v_add_f64_e64 v[4:5], v[36:37], -v[4:5]
	scratch_store_b128 off, v[2:5], off offset:512
	v_cmpx_lt_u32_e32 30, v0
	s_cbranch_execz .LBB60_331
; %bb.330:
	scratch_load_b128 v[5:8], off, s42
	v_dual_mov_b32 v2, v1 :: v_dual_mov_b32 v3, v1
	v_mov_b32_e32 v4, v1
	scratch_store_b128 off, v[1:4], off offset:496
	s_wait_loadcnt 0x0
	ds_store_b128 v164, v[5:8]
.LBB60_331:
	s_wait_alu 0xfffe
	s_or_b32 exec_lo, exec_lo, s0
	s_wait_storecnt_dscnt 0x0
	s_barrier_signal -1
	s_barrier_wait -1
	global_inv scope:SCOPE_SE
	s_clause 0x7
	scratch_load_b128 v[2:5], off, off offset:512
	scratch_load_b128 v[6:9], off, off offset:528
	;; [unrolled: 1-line block ×8, first 2 shown]
	ds_load_b128 v[34:37], v1 offset:1472
	ds_load_b128 v[165:168], v1 offset:1488
	s_clause 0x1
	scratch_load_b128 v[38:41], off, off offset:640
	scratch_load_b128 v[169:172], off, off offset:656
	s_mov_b32 s0, exec_lo
	s_wait_loadcnt_dscnt 0x901
	v_mul_f64_e32 v[173:174], v[36:37], v[4:5]
	v_mul_f64_e32 v[4:5], v[34:35], v[4:5]
	s_wait_loadcnt_dscnt 0x800
	v_mul_f64_e32 v[175:176], v[165:166], v[8:9]
	v_mul_f64_e32 v[8:9], v[167:168], v[8:9]
	s_delay_alu instid0(VALU_DEP_4) | instskip(NEXT) | instid1(VALU_DEP_4)
	v_fma_f64 v[173:174], v[34:35], v[2:3], -v[173:174]
	v_fma_f64 v[177:178], v[36:37], v[2:3], v[4:5]
	ds_load_b128 v[2:5], v1 offset:1504
	scratch_load_b128 v[34:37], off, off offset:672
	v_fma_f64 v[175:176], v[167:168], v[6:7], v[175:176]
	v_fma_f64 v[181:182], v[165:166], v[6:7], -v[8:9]
	ds_load_b128 v[6:9], v1 offset:1520
	scratch_load_b128 v[165:168], off, off offset:688
	s_wait_loadcnt_dscnt 0x901
	v_mul_f64_e32 v[179:180], v[2:3], v[12:13]
	v_mul_f64_e32 v[12:13], v[4:5], v[12:13]
	s_wait_loadcnt_dscnt 0x800
	v_mul_f64_e32 v[183:184], v[6:7], v[16:17]
	v_mul_f64_e32 v[16:17], v[8:9], v[16:17]
	v_add_f64_e32 v[173:174], 0, v[173:174]
	v_add_f64_e32 v[177:178], 0, v[177:178]
	v_fma_f64 v[179:180], v[4:5], v[10:11], v[179:180]
	v_fma_f64 v[185:186], v[2:3], v[10:11], -v[12:13]
	scratch_load_b128 v[10:13], off, off offset:704
	ds_load_b128 v[2:5], v1 offset:1536
	v_add_f64_e32 v[173:174], v[173:174], v[181:182]
	v_add_f64_e32 v[175:176], v[177:178], v[175:176]
	v_fma_f64 v[181:182], v[8:9], v[14:15], v[183:184]
	v_fma_f64 v[183:184], v[6:7], v[14:15], -v[16:17]
	ds_load_b128 v[6:9], v1 offset:1552
	scratch_load_b128 v[14:17], off, off offset:720
	s_wait_loadcnt_dscnt 0x901
	v_mul_f64_e32 v[177:178], v[2:3], v[20:21]
	v_mul_f64_e32 v[20:21], v[4:5], v[20:21]
	v_add_f64_e32 v[173:174], v[173:174], v[185:186]
	v_add_f64_e32 v[175:176], v[175:176], v[179:180]
	s_wait_loadcnt_dscnt 0x800
	v_mul_f64_e32 v[179:180], v[6:7], v[24:25]
	v_mul_f64_e32 v[24:25], v[8:9], v[24:25]
	v_fma_f64 v[177:178], v[4:5], v[18:19], v[177:178]
	v_fma_f64 v[185:186], v[2:3], v[18:19], -v[20:21]
	ds_load_b128 v[2:5], v1 offset:1568
	scratch_load_b128 v[18:21], off, off offset:736
	v_add_f64_e32 v[173:174], v[173:174], v[183:184]
	v_add_f64_e32 v[175:176], v[175:176], v[181:182]
	v_fma_f64 v[179:180], v[8:9], v[22:23], v[179:180]
	v_fma_f64 v[183:184], v[6:7], v[22:23], -v[24:25]
	ds_load_b128 v[6:9], v1 offset:1584
	s_wait_loadcnt_dscnt 0x801
	v_mul_f64_e32 v[181:182], v[2:3], v[28:29]
	v_mul_f64_e32 v[28:29], v[4:5], v[28:29]
	scratch_load_b128 v[22:25], off, off offset:752
	v_add_f64_e32 v[173:174], v[173:174], v[185:186]
	v_add_f64_e32 v[175:176], v[175:176], v[177:178]
	s_wait_loadcnt_dscnt 0x800
	v_mul_f64_e32 v[177:178], v[6:7], v[32:33]
	v_mul_f64_e32 v[32:33], v[8:9], v[32:33]
	v_fma_f64 v[181:182], v[4:5], v[26:27], v[181:182]
	v_fma_f64 v[185:186], v[2:3], v[26:27], -v[28:29]
	ds_load_b128 v[2:5], v1 offset:1600
	scratch_load_b128 v[26:29], off, off offset:768
	v_add_f64_e32 v[173:174], v[173:174], v[183:184]
	v_add_f64_e32 v[175:176], v[175:176], v[179:180]
	v_fma_f64 v[177:178], v[8:9], v[30:31], v[177:178]
	v_fma_f64 v[183:184], v[6:7], v[30:31], -v[32:33]
	ds_load_b128 v[6:9], v1 offset:1616
	s_wait_loadcnt_dscnt 0x801
	v_mul_f64_e32 v[179:180], v[2:3], v[40:41]
	v_mul_f64_e32 v[40:41], v[4:5], v[40:41]
	scratch_load_b128 v[30:33], off, off offset:784
	v_add_f64_e32 v[173:174], v[173:174], v[185:186]
	v_add_f64_e32 v[175:176], v[175:176], v[181:182]
	s_wait_loadcnt_dscnt 0x800
	v_mul_f64_e32 v[181:182], v[6:7], v[171:172]
	v_mul_f64_e32 v[171:172], v[8:9], v[171:172]
	v_fma_f64 v[179:180], v[4:5], v[38:39], v[179:180]
	v_fma_f64 v[185:186], v[2:3], v[38:39], -v[40:41]
	ds_load_b128 v[2:5], v1 offset:1632
	scratch_load_b128 v[38:41], off, off offset:800
	v_add_f64_e32 v[173:174], v[173:174], v[183:184]
	v_add_f64_e32 v[175:176], v[175:176], v[177:178]
	v_fma_f64 v[181:182], v[8:9], v[169:170], v[181:182]
	v_fma_f64 v[183:184], v[6:7], v[169:170], -v[171:172]
	ds_load_b128 v[6:9], v1 offset:1648
	scratch_load_b128 v[169:172], off, off offset:816
	s_wait_loadcnt_dscnt 0x901
	v_mul_f64_e32 v[177:178], v[2:3], v[36:37]
	v_mul_f64_e32 v[36:37], v[4:5], v[36:37]
	v_add_f64_e32 v[173:174], v[173:174], v[185:186]
	v_add_f64_e32 v[175:176], v[175:176], v[179:180]
	s_wait_loadcnt_dscnt 0x800
	v_mul_f64_e32 v[179:180], v[6:7], v[167:168]
	v_mul_f64_e32 v[167:168], v[8:9], v[167:168]
	v_fma_f64 v[177:178], v[4:5], v[34:35], v[177:178]
	v_fma_f64 v[185:186], v[2:3], v[34:35], -v[36:37]
	ds_load_b128 v[2:5], v1 offset:1664
	scratch_load_b128 v[34:37], off, off offset:832
	v_add_f64_e32 v[173:174], v[173:174], v[183:184]
	v_add_f64_e32 v[175:176], v[175:176], v[181:182]
	v_fma_f64 v[179:180], v[8:9], v[165:166], v[179:180]
	v_fma_f64 v[183:184], v[6:7], v[165:166], -v[167:168]
	ds_load_b128 v[6:9], v1 offset:1680
	s_wait_loadcnt_dscnt 0x801
	v_mul_f64_e32 v[181:182], v[2:3], v[12:13]
	v_mul_f64_e32 v[12:13], v[4:5], v[12:13]
	scratch_load_b128 v[165:168], off, off offset:848
	v_add_f64_e32 v[173:174], v[173:174], v[185:186]
	v_add_f64_e32 v[175:176], v[175:176], v[177:178]
	s_wait_loadcnt_dscnt 0x800
	v_mul_f64_e32 v[177:178], v[6:7], v[16:17]
	v_mul_f64_e32 v[16:17], v[8:9], v[16:17]
	v_fma_f64 v[181:182], v[4:5], v[10:11], v[181:182]
	v_fma_f64 v[185:186], v[2:3], v[10:11], -v[12:13]
	scratch_load_b128 v[10:13], off, off offset:864
	ds_load_b128 v[2:5], v1 offset:1696
	v_add_f64_e32 v[173:174], v[173:174], v[183:184]
	v_add_f64_e32 v[175:176], v[175:176], v[179:180]
	v_fma_f64 v[177:178], v[8:9], v[14:15], v[177:178]
	v_fma_f64 v[183:184], v[6:7], v[14:15], -v[16:17]
	ds_load_b128 v[6:9], v1 offset:1712
	s_wait_loadcnt_dscnt 0x801
	v_mul_f64_e32 v[179:180], v[2:3], v[20:21]
	v_mul_f64_e32 v[20:21], v[4:5], v[20:21]
	scratch_load_b128 v[14:17], off, off offset:880
	v_add_f64_e32 v[173:174], v[173:174], v[185:186]
	v_add_f64_e32 v[175:176], v[175:176], v[181:182]
	s_wait_loadcnt_dscnt 0x800
	v_mul_f64_e32 v[181:182], v[6:7], v[24:25]
	v_mul_f64_e32 v[24:25], v[8:9], v[24:25]
	v_fma_f64 v[179:180], v[4:5], v[18:19], v[179:180]
	v_fma_f64 v[185:186], v[2:3], v[18:19], -v[20:21]
	ds_load_b128 v[2:5], v1 offset:1728
	scratch_load_b128 v[18:21], off, off offset:896
	v_add_f64_e32 v[173:174], v[173:174], v[183:184]
	v_add_f64_e32 v[175:176], v[175:176], v[177:178]
	v_fma_f64 v[181:182], v[8:9], v[22:23], v[181:182]
	v_fma_f64 v[183:184], v[6:7], v[22:23], -v[24:25]
	ds_load_b128 v[6:9], v1 offset:1744
	s_wait_loadcnt_dscnt 0x801
	v_mul_f64_e32 v[177:178], v[2:3], v[28:29]
	v_mul_f64_e32 v[28:29], v[4:5], v[28:29]
	scratch_load_b128 v[22:25], off, off offset:912
	v_add_f64_e32 v[173:174], v[173:174], v[185:186]
	v_add_f64_e32 v[175:176], v[175:176], v[179:180]
	s_wait_loadcnt_dscnt 0x800
	v_mul_f64_e32 v[179:180], v[6:7], v[32:33]
	v_mul_f64_e32 v[32:33], v[8:9], v[32:33]
	v_fma_f64 v[177:178], v[4:5], v[26:27], v[177:178]
	v_fma_f64 v[185:186], v[2:3], v[26:27], -v[28:29]
	ds_load_b128 v[2:5], v1 offset:1760
	scratch_load_b128 v[26:29], off, off offset:928
	;; [unrolled: 18-line block ×3, first 2 shown]
	v_add_f64_e32 v[173:174], v[173:174], v[183:184]
	v_add_f64_e32 v[175:176], v[175:176], v[179:180]
	v_fma_f64 v[177:178], v[8:9], v[169:170], v[177:178]
	v_fma_f64 v[183:184], v[6:7], v[169:170], -v[171:172]
	ds_load_b128 v[6:9], v1 offset:1808
	s_wait_loadcnt_dscnt 0x801
	v_mul_f64_e32 v[179:180], v[2:3], v[36:37]
	v_mul_f64_e32 v[36:37], v[4:5], v[36:37]
	scratch_load_b128 v[169:172], off, off offset:976
	v_add_f64_e32 v[173:174], v[173:174], v[185:186]
	v_add_f64_e32 v[175:176], v[175:176], v[181:182]
	v_fma_f64 v[179:180], v[4:5], v[34:35], v[179:180]
	v_fma_f64 v[34:35], v[2:3], v[34:35], -v[36:37]
	ds_load_b128 v[2:5], v1 offset:1824
	v_add_f64_e32 v[36:37], v[173:174], v[183:184]
	v_add_f64_e32 v[173:174], v[175:176], v[177:178]
	s_wait_loadcnt_dscnt 0x700
	v_mul_f64_e32 v[175:176], v[2:3], v[12:13]
	v_mul_f64_e32 v[12:13], v[4:5], v[12:13]
	s_delay_alu instid0(VALU_DEP_4) | instskip(NEXT) | instid1(VALU_DEP_4)
	v_add_f64_e32 v[34:35], v[36:37], v[34:35]
	v_add_f64_e32 v[36:37], v[173:174], v[179:180]
	s_delay_alu instid0(VALU_DEP_4) | instskip(NEXT) | instid1(VALU_DEP_4)
	v_fma_f64 v[173:174], v[4:5], v[10:11], v[175:176]
	v_fma_f64 v[175:176], v[2:3], v[10:11], -v[12:13]
	scratch_load_b128 v[10:13], off, off offset:496
	v_mul_f64_e32 v[181:182], v[6:7], v[167:168]
	v_mul_f64_e32 v[167:168], v[8:9], v[167:168]
	ds_load_b128 v[2:5], v1 offset:1856
	v_fma_f64 v[177:178], v[8:9], v[165:166], v[181:182]
	v_fma_f64 v[165:166], v[6:7], v[165:166], -v[167:168]
	ds_load_b128 v[6:9], v1 offset:1840
	s_wait_loadcnt_dscnt 0x700
	v_mul_f64_e32 v[167:168], v[6:7], v[16:17]
	v_mul_f64_e32 v[16:17], v[8:9], v[16:17]
	v_add_f64_e32 v[36:37], v[36:37], v[177:178]
	v_add_f64_e32 v[34:35], v[34:35], v[165:166]
	s_wait_loadcnt 0x6
	v_mul_f64_e32 v[165:166], v[2:3], v[20:21]
	v_mul_f64_e32 v[20:21], v[4:5], v[20:21]
	v_fma_f64 v[167:168], v[8:9], v[14:15], v[167:168]
	v_fma_f64 v[14:15], v[6:7], v[14:15], -v[16:17]
	ds_load_b128 v[6:9], v1 offset:1872
	v_add_f64_e32 v[16:17], v[34:35], v[175:176]
	v_add_f64_e32 v[34:35], v[36:37], v[173:174]
	v_fma_f64 v[165:166], v[4:5], v[18:19], v[165:166]
	v_fma_f64 v[18:19], v[2:3], v[18:19], -v[20:21]
	ds_load_b128 v[2:5], v1 offset:1888
	s_wait_loadcnt_dscnt 0x501
	v_mul_f64_e32 v[36:37], v[6:7], v[24:25]
	v_mul_f64_e32 v[24:25], v[8:9], v[24:25]
	s_wait_loadcnt_dscnt 0x400
	v_mul_f64_e32 v[20:21], v[2:3], v[28:29]
	v_mul_f64_e32 v[28:29], v[4:5], v[28:29]
	v_add_f64_e32 v[14:15], v[16:17], v[14:15]
	v_add_f64_e32 v[16:17], v[34:35], v[167:168]
	v_fma_f64 v[34:35], v[8:9], v[22:23], v[36:37]
	v_fma_f64 v[22:23], v[6:7], v[22:23], -v[24:25]
	ds_load_b128 v[6:9], v1 offset:1904
	v_fma_f64 v[20:21], v[4:5], v[26:27], v[20:21]
	v_fma_f64 v[26:27], v[2:3], v[26:27], -v[28:29]
	ds_load_b128 v[2:5], v1 offset:1920
	s_wait_loadcnt_dscnt 0x301
	v_mul_f64_e32 v[24:25], v[8:9], v[32:33]
	v_add_f64_e32 v[14:15], v[14:15], v[18:19]
	v_add_f64_e32 v[16:17], v[16:17], v[165:166]
	v_mul_f64_e32 v[18:19], v[6:7], v[32:33]
	s_wait_loadcnt_dscnt 0x200
	v_mul_f64_e32 v[28:29], v[4:5], v[40:41]
	v_fma_f64 v[24:25], v[6:7], v[30:31], -v[24:25]
	v_add_f64_e32 v[14:15], v[14:15], v[22:23]
	v_add_f64_e32 v[16:17], v[16:17], v[34:35]
	v_mul_f64_e32 v[22:23], v[2:3], v[40:41]
	v_fma_f64 v[18:19], v[8:9], v[30:31], v[18:19]
	ds_load_b128 v[6:9], v1 offset:1936
	v_fma_f64 v[1:2], v[2:3], v[38:39], -v[28:29]
	v_add_f64_e32 v[14:15], v[14:15], v[26:27]
	v_add_f64_e32 v[16:17], v[16:17], v[20:21]
	s_wait_loadcnt_dscnt 0x100
	v_mul_f64_e32 v[20:21], v[6:7], v[171:172]
	v_mul_f64_e32 v[26:27], v[8:9], v[171:172]
	v_fma_f64 v[4:5], v[4:5], v[38:39], v[22:23]
	v_add_f64_e32 v[14:15], v[14:15], v[24:25]
	v_add_f64_e32 v[16:17], v[16:17], v[18:19]
	v_fma_f64 v[8:9], v[8:9], v[169:170], v[20:21]
	v_fma_f64 v[6:7], v[6:7], v[169:170], -v[26:27]
	s_delay_alu instid0(VALU_DEP_4) | instskip(NEXT) | instid1(VALU_DEP_4)
	v_add_f64_e32 v[1:2], v[14:15], v[1:2]
	v_add_f64_e32 v[3:4], v[16:17], v[4:5]
	s_delay_alu instid0(VALU_DEP_2) | instskip(NEXT) | instid1(VALU_DEP_2)
	v_add_f64_e32 v[1:2], v[1:2], v[6:7]
	v_add_f64_e32 v[3:4], v[3:4], v[8:9]
	s_wait_loadcnt 0x0
	s_delay_alu instid0(VALU_DEP_2) | instskip(NEXT) | instid1(VALU_DEP_2)
	v_add_f64_e64 v[1:2], v[10:11], -v[1:2]
	v_add_f64_e64 v[3:4], v[12:13], -v[3:4]
	scratch_store_b128 off, v[1:4], off offset:496
	v_cmpx_lt_u32_e32 29, v0
	s_cbranch_execz .LBB60_333
; %bb.332:
	scratch_load_b128 v[1:4], off, s43
	v_mov_b32_e32 v5, 0
	s_delay_alu instid0(VALU_DEP_1)
	v_dual_mov_b32 v6, v5 :: v_dual_mov_b32 v7, v5
	v_mov_b32_e32 v8, v5
	scratch_store_b128 off, v[5:8], off offset:480
	s_wait_loadcnt 0x0
	ds_store_b128 v164, v[1:4]
.LBB60_333:
	s_wait_alu 0xfffe
	s_or_b32 exec_lo, exec_lo, s0
	s_wait_storecnt_dscnt 0x0
	s_barrier_signal -1
	s_barrier_wait -1
	global_inv scope:SCOPE_SE
	s_clause 0x7
	scratch_load_b128 v[2:5], off, off offset:496
	scratch_load_b128 v[6:9], off, off offset:512
	;; [unrolled: 1-line block ×8, first 2 shown]
	v_mov_b32_e32 v1, 0
	s_clause 0x1
	scratch_load_b128 v[38:41], off, off offset:624
	scratch_load_b128 v[169:172], off, off offset:640
	s_mov_b32 s0, exec_lo
	ds_load_b128 v[34:37], v1 offset:1456
	ds_load_b128 v[165:168], v1 offset:1472
	s_wait_loadcnt_dscnt 0x901
	v_mul_f64_e32 v[173:174], v[36:37], v[4:5]
	v_mul_f64_e32 v[4:5], v[34:35], v[4:5]
	s_wait_loadcnt_dscnt 0x800
	v_mul_f64_e32 v[175:176], v[165:166], v[8:9]
	v_mul_f64_e32 v[8:9], v[167:168], v[8:9]
	s_delay_alu instid0(VALU_DEP_4) | instskip(NEXT) | instid1(VALU_DEP_4)
	v_fma_f64 v[173:174], v[34:35], v[2:3], -v[173:174]
	v_fma_f64 v[177:178], v[36:37], v[2:3], v[4:5]
	ds_load_b128 v[2:5], v1 offset:1488
	scratch_load_b128 v[34:37], off, off offset:656
	v_fma_f64 v[175:176], v[167:168], v[6:7], v[175:176]
	v_fma_f64 v[181:182], v[165:166], v[6:7], -v[8:9]
	ds_load_b128 v[6:9], v1 offset:1504
	scratch_load_b128 v[165:168], off, off offset:672
	s_wait_loadcnt_dscnt 0x901
	v_mul_f64_e32 v[179:180], v[2:3], v[12:13]
	v_mul_f64_e32 v[12:13], v[4:5], v[12:13]
	s_wait_loadcnt_dscnt 0x800
	v_mul_f64_e32 v[183:184], v[6:7], v[16:17]
	v_mul_f64_e32 v[16:17], v[8:9], v[16:17]
	v_add_f64_e32 v[173:174], 0, v[173:174]
	v_add_f64_e32 v[177:178], 0, v[177:178]
	v_fma_f64 v[179:180], v[4:5], v[10:11], v[179:180]
	v_fma_f64 v[185:186], v[2:3], v[10:11], -v[12:13]
	ds_load_b128 v[2:5], v1 offset:1520
	scratch_load_b128 v[10:13], off, off offset:688
	v_add_f64_e32 v[173:174], v[173:174], v[181:182]
	v_add_f64_e32 v[175:176], v[177:178], v[175:176]
	v_fma_f64 v[181:182], v[8:9], v[14:15], v[183:184]
	v_fma_f64 v[183:184], v[6:7], v[14:15], -v[16:17]
	ds_load_b128 v[6:9], v1 offset:1536
	scratch_load_b128 v[14:17], off, off offset:704
	s_wait_loadcnt_dscnt 0x901
	v_mul_f64_e32 v[177:178], v[2:3], v[20:21]
	v_mul_f64_e32 v[20:21], v[4:5], v[20:21]
	v_add_f64_e32 v[173:174], v[173:174], v[185:186]
	v_add_f64_e32 v[175:176], v[175:176], v[179:180]
	s_wait_loadcnt_dscnt 0x800
	v_mul_f64_e32 v[179:180], v[6:7], v[24:25]
	v_mul_f64_e32 v[24:25], v[8:9], v[24:25]
	v_fma_f64 v[177:178], v[4:5], v[18:19], v[177:178]
	v_fma_f64 v[185:186], v[2:3], v[18:19], -v[20:21]
	ds_load_b128 v[2:5], v1 offset:1552
	scratch_load_b128 v[18:21], off, off offset:720
	v_add_f64_e32 v[173:174], v[173:174], v[183:184]
	v_add_f64_e32 v[175:176], v[175:176], v[181:182]
	v_fma_f64 v[179:180], v[8:9], v[22:23], v[179:180]
	v_fma_f64 v[183:184], v[6:7], v[22:23], -v[24:25]
	ds_load_b128 v[6:9], v1 offset:1568
	s_wait_loadcnt_dscnt 0x801
	v_mul_f64_e32 v[181:182], v[2:3], v[28:29]
	v_mul_f64_e32 v[28:29], v[4:5], v[28:29]
	scratch_load_b128 v[22:25], off, off offset:736
	v_add_f64_e32 v[173:174], v[173:174], v[185:186]
	v_add_f64_e32 v[175:176], v[175:176], v[177:178]
	s_wait_loadcnt_dscnt 0x800
	v_mul_f64_e32 v[177:178], v[6:7], v[32:33]
	v_mul_f64_e32 v[32:33], v[8:9], v[32:33]
	v_fma_f64 v[181:182], v[4:5], v[26:27], v[181:182]
	v_fma_f64 v[185:186], v[2:3], v[26:27], -v[28:29]
	ds_load_b128 v[2:5], v1 offset:1584
	scratch_load_b128 v[26:29], off, off offset:752
	v_add_f64_e32 v[173:174], v[173:174], v[183:184]
	v_add_f64_e32 v[175:176], v[175:176], v[179:180]
	v_fma_f64 v[177:178], v[8:9], v[30:31], v[177:178]
	v_fma_f64 v[183:184], v[6:7], v[30:31], -v[32:33]
	ds_load_b128 v[6:9], v1 offset:1600
	s_wait_loadcnt_dscnt 0x801
	v_mul_f64_e32 v[179:180], v[2:3], v[40:41]
	v_mul_f64_e32 v[40:41], v[4:5], v[40:41]
	scratch_load_b128 v[30:33], off, off offset:768
	v_add_f64_e32 v[173:174], v[173:174], v[185:186]
	v_add_f64_e32 v[175:176], v[175:176], v[181:182]
	s_wait_loadcnt_dscnt 0x800
	v_mul_f64_e32 v[181:182], v[6:7], v[171:172]
	v_mul_f64_e32 v[171:172], v[8:9], v[171:172]
	v_fma_f64 v[179:180], v[4:5], v[38:39], v[179:180]
	v_fma_f64 v[185:186], v[2:3], v[38:39], -v[40:41]
	ds_load_b128 v[2:5], v1 offset:1616
	scratch_load_b128 v[38:41], off, off offset:784
	v_add_f64_e32 v[173:174], v[173:174], v[183:184]
	v_add_f64_e32 v[175:176], v[175:176], v[177:178]
	v_fma_f64 v[181:182], v[8:9], v[169:170], v[181:182]
	v_fma_f64 v[183:184], v[6:7], v[169:170], -v[171:172]
	ds_load_b128 v[6:9], v1 offset:1632
	scratch_load_b128 v[169:172], off, off offset:800
	s_wait_loadcnt_dscnt 0x901
	v_mul_f64_e32 v[177:178], v[2:3], v[36:37]
	v_mul_f64_e32 v[36:37], v[4:5], v[36:37]
	v_add_f64_e32 v[173:174], v[173:174], v[185:186]
	v_add_f64_e32 v[175:176], v[175:176], v[179:180]
	s_wait_loadcnt_dscnt 0x800
	v_mul_f64_e32 v[179:180], v[6:7], v[167:168]
	v_mul_f64_e32 v[167:168], v[8:9], v[167:168]
	v_fma_f64 v[177:178], v[4:5], v[34:35], v[177:178]
	v_fma_f64 v[185:186], v[2:3], v[34:35], -v[36:37]
	ds_load_b128 v[2:5], v1 offset:1648
	scratch_load_b128 v[34:37], off, off offset:816
	v_add_f64_e32 v[173:174], v[173:174], v[183:184]
	v_add_f64_e32 v[175:176], v[175:176], v[181:182]
	v_fma_f64 v[179:180], v[8:9], v[165:166], v[179:180]
	v_fma_f64 v[183:184], v[6:7], v[165:166], -v[167:168]
	ds_load_b128 v[6:9], v1 offset:1664
	s_wait_loadcnt_dscnt 0x801
	v_mul_f64_e32 v[181:182], v[2:3], v[12:13]
	v_mul_f64_e32 v[12:13], v[4:5], v[12:13]
	scratch_load_b128 v[165:168], off, off offset:832
	v_add_f64_e32 v[173:174], v[173:174], v[185:186]
	v_add_f64_e32 v[175:176], v[175:176], v[177:178]
	s_wait_loadcnt_dscnt 0x800
	v_mul_f64_e32 v[177:178], v[6:7], v[16:17]
	v_mul_f64_e32 v[16:17], v[8:9], v[16:17]
	v_fma_f64 v[181:182], v[4:5], v[10:11], v[181:182]
	v_fma_f64 v[185:186], v[2:3], v[10:11], -v[12:13]
	ds_load_b128 v[2:5], v1 offset:1680
	scratch_load_b128 v[10:13], off, off offset:848
	v_add_f64_e32 v[173:174], v[173:174], v[183:184]
	v_add_f64_e32 v[175:176], v[175:176], v[179:180]
	v_fma_f64 v[177:178], v[8:9], v[14:15], v[177:178]
	v_fma_f64 v[183:184], v[6:7], v[14:15], -v[16:17]
	ds_load_b128 v[6:9], v1 offset:1696
	s_wait_loadcnt_dscnt 0x801
	v_mul_f64_e32 v[179:180], v[2:3], v[20:21]
	v_mul_f64_e32 v[20:21], v[4:5], v[20:21]
	scratch_load_b128 v[14:17], off, off offset:864
	;; [unrolled: 18-line block ×5, first 2 shown]
	v_add_f64_e32 v[173:174], v[173:174], v[185:186]
	v_add_f64_e32 v[175:176], v[175:176], v[181:182]
	s_wait_loadcnt_dscnt 0x800
	v_mul_f64_e32 v[181:182], v[6:7], v[167:168]
	v_mul_f64_e32 v[167:168], v[8:9], v[167:168]
	v_fma_f64 v[179:180], v[4:5], v[34:35], v[179:180]
	v_fma_f64 v[185:186], v[2:3], v[34:35], -v[36:37]
	ds_load_b128 v[2:5], v1 offset:1808
	scratch_load_b128 v[34:37], off, off offset:976
	v_add_f64_e32 v[173:174], v[173:174], v[183:184]
	v_add_f64_e32 v[175:176], v[175:176], v[177:178]
	v_fma_f64 v[181:182], v[8:9], v[165:166], v[181:182]
	v_fma_f64 v[165:166], v[6:7], v[165:166], -v[167:168]
	ds_load_b128 v[6:9], v1 offset:1824
	s_wait_loadcnt_dscnt 0x801
	v_mul_f64_e32 v[177:178], v[2:3], v[12:13]
	v_mul_f64_e32 v[12:13], v[4:5], v[12:13]
	v_add_f64_e32 v[167:168], v[173:174], v[185:186]
	v_add_f64_e32 v[173:174], v[175:176], v[179:180]
	s_wait_loadcnt_dscnt 0x700
	v_mul_f64_e32 v[175:176], v[6:7], v[16:17]
	v_mul_f64_e32 v[16:17], v[8:9], v[16:17]
	v_fma_f64 v[177:178], v[4:5], v[10:11], v[177:178]
	v_fma_f64 v[10:11], v[2:3], v[10:11], -v[12:13]
	ds_load_b128 v[2:5], v1 offset:1840
	v_add_f64_e32 v[12:13], v[167:168], v[165:166]
	v_add_f64_e32 v[165:166], v[173:174], v[181:182]
	v_fma_f64 v[173:174], v[8:9], v[14:15], v[175:176]
	v_fma_f64 v[14:15], v[6:7], v[14:15], -v[16:17]
	ds_load_b128 v[6:9], v1 offset:1856
	s_wait_loadcnt_dscnt 0x500
	v_mul_f64_e32 v[175:176], v[6:7], v[24:25]
	v_mul_f64_e32 v[24:25], v[8:9], v[24:25]
	v_add_f64_e32 v[16:17], v[12:13], v[10:11]
	v_add_f64_e32 v[165:166], v[165:166], v[177:178]
	scratch_load_b128 v[10:13], off, off offset:480
	v_mul_f64_e32 v[167:168], v[2:3], v[20:21]
	v_mul_f64_e32 v[20:21], v[4:5], v[20:21]
	v_add_f64_e32 v[14:15], v[16:17], v[14:15]
	v_add_f64_e32 v[16:17], v[165:166], v[173:174]
	v_fma_f64 v[165:166], v[8:9], v[22:23], v[175:176]
	v_fma_f64 v[167:168], v[4:5], v[18:19], v[167:168]
	v_fma_f64 v[18:19], v[2:3], v[18:19], -v[20:21]
	ds_load_b128 v[2:5], v1 offset:1872
	v_fma_f64 v[22:23], v[6:7], v[22:23], -v[24:25]
	ds_load_b128 v[6:9], v1 offset:1888
	s_wait_loadcnt_dscnt 0x501
	v_mul_f64_e32 v[20:21], v[2:3], v[28:29]
	v_mul_f64_e32 v[28:29], v[4:5], v[28:29]
	s_wait_loadcnt_dscnt 0x400
	v_mul_f64_e32 v[24:25], v[8:9], v[32:33]
	v_add_f64_e32 v[16:17], v[16:17], v[167:168]
	v_add_f64_e32 v[14:15], v[14:15], v[18:19]
	v_mul_f64_e32 v[18:19], v[6:7], v[32:33]
	v_fma_f64 v[20:21], v[4:5], v[26:27], v[20:21]
	v_fma_f64 v[26:27], v[2:3], v[26:27], -v[28:29]
	ds_load_b128 v[2:5], v1 offset:1904
	v_fma_f64 v[24:25], v[6:7], v[30:31], -v[24:25]
	v_add_f64_e32 v[16:17], v[16:17], v[165:166]
	v_add_f64_e32 v[14:15], v[14:15], v[22:23]
	v_fma_f64 v[18:19], v[8:9], v[30:31], v[18:19]
	ds_load_b128 v[6:9], v1 offset:1920
	s_wait_loadcnt_dscnt 0x301
	v_mul_f64_e32 v[22:23], v[2:3], v[40:41]
	v_mul_f64_e32 v[28:29], v[4:5], v[40:41]
	v_add_f64_e32 v[16:17], v[16:17], v[20:21]
	v_add_f64_e32 v[14:15], v[14:15], v[26:27]
	s_wait_loadcnt_dscnt 0x200
	v_mul_f64_e32 v[20:21], v[6:7], v[171:172]
	v_mul_f64_e32 v[26:27], v[8:9], v[171:172]
	v_fma_f64 v[22:23], v[4:5], v[38:39], v[22:23]
	v_fma_f64 v[28:29], v[2:3], v[38:39], -v[28:29]
	ds_load_b128 v[2:5], v1 offset:1936
	v_add_f64_e32 v[16:17], v[16:17], v[18:19]
	v_add_f64_e32 v[14:15], v[14:15], v[24:25]
	s_wait_loadcnt_dscnt 0x100
	v_mul_f64_e32 v[18:19], v[2:3], v[36:37]
	v_mul_f64_e32 v[24:25], v[4:5], v[36:37]
	v_fma_f64 v[8:9], v[8:9], v[169:170], v[20:21]
	v_fma_f64 v[6:7], v[6:7], v[169:170], -v[26:27]
	v_add_f64_e32 v[16:17], v[16:17], v[22:23]
	v_add_f64_e32 v[14:15], v[14:15], v[28:29]
	v_fma_f64 v[4:5], v[4:5], v[34:35], v[18:19]
	v_fma_f64 v[2:3], v[2:3], v[34:35], -v[24:25]
	s_delay_alu instid0(VALU_DEP_4) | instskip(NEXT) | instid1(VALU_DEP_4)
	v_add_f64_e32 v[8:9], v[16:17], v[8:9]
	v_add_f64_e32 v[6:7], v[14:15], v[6:7]
	s_delay_alu instid0(VALU_DEP_2) | instskip(NEXT) | instid1(VALU_DEP_2)
	v_add_f64_e32 v[4:5], v[8:9], v[4:5]
	v_add_f64_e32 v[2:3], v[6:7], v[2:3]
	s_wait_loadcnt 0x0
	s_delay_alu instid0(VALU_DEP_2) | instskip(NEXT) | instid1(VALU_DEP_2)
	v_add_f64_e64 v[4:5], v[12:13], -v[4:5]
	v_add_f64_e64 v[2:3], v[10:11], -v[2:3]
	scratch_store_b128 off, v[2:5], off offset:480
	v_cmpx_lt_u32_e32 28, v0
	s_cbranch_execz .LBB60_335
; %bb.334:
	scratch_load_b128 v[5:8], off, s44
	v_dual_mov_b32 v2, v1 :: v_dual_mov_b32 v3, v1
	v_mov_b32_e32 v4, v1
	scratch_store_b128 off, v[1:4], off offset:464
	s_wait_loadcnt 0x0
	ds_store_b128 v164, v[5:8]
.LBB60_335:
	s_wait_alu 0xfffe
	s_or_b32 exec_lo, exec_lo, s0
	s_wait_storecnt_dscnt 0x0
	s_barrier_signal -1
	s_barrier_wait -1
	global_inv scope:SCOPE_SE
	s_clause 0x7
	scratch_load_b128 v[2:5], off, off offset:480
	scratch_load_b128 v[6:9], off, off offset:496
	;; [unrolled: 1-line block ×8, first 2 shown]
	ds_load_b128 v[34:37], v1 offset:1440
	ds_load_b128 v[165:168], v1 offset:1456
	s_clause 0x1
	scratch_load_b128 v[38:41], off, off offset:608
	scratch_load_b128 v[169:172], off, off offset:624
	s_mov_b32 s0, exec_lo
	s_wait_loadcnt_dscnt 0x901
	v_mul_f64_e32 v[173:174], v[36:37], v[4:5]
	v_mul_f64_e32 v[4:5], v[34:35], v[4:5]
	s_wait_loadcnt_dscnt 0x800
	v_mul_f64_e32 v[175:176], v[165:166], v[8:9]
	v_mul_f64_e32 v[8:9], v[167:168], v[8:9]
	s_delay_alu instid0(VALU_DEP_4) | instskip(NEXT) | instid1(VALU_DEP_4)
	v_fma_f64 v[173:174], v[34:35], v[2:3], -v[173:174]
	v_fma_f64 v[177:178], v[36:37], v[2:3], v[4:5]
	ds_load_b128 v[2:5], v1 offset:1472
	scratch_load_b128 v[34:37], off, off offset:640
	v_fma_f64 v[175:176], v[167:168], v[6:7], v[175:176]
	v_fma_f64 v[181:182], v[165:166], v[6:7], -v[8:9]
	ds_load_b128 v[6:9], v1 offset:1488
	scratch_load_b128 v[165:168], off, off offset:656
	s_wait_loadcnt_dscnt 0x901
	v_mul_f64_e32 v[179:180], v[2:3], v[12:13]
	v_mul_f64_e32 v[12:13], v[4:5], v[12:13]
	s_wait_loadcnt_dscnt 0x800
	v_mul_f64_e32 v[183:184], v[6:7], v[16:17]
	v_mul_f64_e32 v[16:17], v[8:9], v[16:17]
	v_add_f64_e32 v[173:174], 0, v[173:174]
	v_add_f64_e32 v[177:178], 0, v[177:178]
	v_fma_f64 v[179:180], v[4:5], v[10:11], v[179:180]
	v_fma_f64 v[185:186], v[2:3], v[10:11], -v[12:13]
	ds_load_b128 v[2:5], v1 offset:1504
	scratch_load_b128 v[10:13], off, off offset:672
	v_add_f64_e32 v[173:174], v[173:174], v[181:182]
	v_add_f64_e32 v[175:176], v[177:178], v[175:176]
	v_fma_f64 v[181:182], v[8:9], v[14:15], v[183:184]
	v_fma_f64 v[183:184], v[6:7], v[14:15], -v[16:17]
	ds_load_b128 v[6:9], v1 offset:1520
	scratch_load_b128 v[14:17], off, off offset:688
	s_wait_loadcnt_dscnt 0x901
	v_mul_f64_e32 v[177:178], v[2:3], v[20:21]
	v_mul_f64_e32 v[20:21], v[4:5], v[20:21]
	v_add_f64_e32 v[173:174], v[173:174], v[185:186]
	v_add_f64_e32 v[175:176], v[175:176], v[179:180]
	s_wait_loadcnt_dscnt 0x800
	v_mul_f64_e32 v[179:180], v[6:7], v[24:25]
	v_mul_f64_e32 v[24:25], v[8:9], v[24:25]
	v_fma_f64 v[177:178], v[4:5], v[18:19], v[177:178]
	v_fma_f64 v[185:186], v[2:3], v[18:19], -v[20:21]
	ds_load_b128 v[2:5], v1 offset:1536
	scratch_load_b128 v[18:21], off, off offset:704
	v_add_f64_e32 v[173:174], v[173:174], v[183:184]
	v_add_f64_e32 v[175:176], v[175:176], v[181:182]
	v_fma_f64 v[179:180], v[8:9], v[22:23], v[179:180]
	v_fma_f64 v[183:184], v[6:7], v[22:23], -v[24:25]
	ds_load_b128 v[6:9], v1 offset:1552
	s_wait_loadcnt_dscnt 0x801
	v_mul_f64_e32 v[181:182], v[2:3], v[28:29]
	v_mul_f64_e32 v[28:29], v[4:5], v[28:29]
	scratch_load_b128 v[22:25], off, off offset:720
	v_add_f64_e32 v[173:174], v[173:174], v[185:186]
	v_add_f64_e32 v[175:176], v[175:176], v[177:178]
	s_wait_loadcnt_dscnt 0x800
	v_mul_f64_e32 v[177:178], v[6:7], v[32:33]
	v_mul_f64_e32 v[32:33], v[8:9], v[32:33]
	v_fma_f64 v[181:182], v[4:5], v[26:27], v[181:182]
	v_fma_f64 v[185:186], v[2:3], v[26:27], -v[28:29]
	ds_load_b128 v[2:5], v1 offset:1568
	scratch_load_b128 v[26:29], off, off offset:736
	v_add_f64_e32 v[173:174], v[173:174], v[183:184]
	v_add_f64_e32 v[175:176], v[175:176], v[179:180]
	v_fma_f64 v[177:178], v[8:9], v[30:31], v[177:178]
	v_fma_f64 v[183:184], v[6:7], v[30:31], -v[32:33]
	ds_load_b128 v[6:9], v1 offset:1584
	s_wait_loadcnt_dscnt 0x801
	v_mul_f64_e32 v[179:180], v[2:3], v[40:41]
	v_mul_f64_e32 v[40:41], v[4:5], v[40:41]
	scratch_load_b128 v[30:33], off, off offset:752
	v_add_f64_e32 v[173:174], v[173:174], v[185:186]
	v_add_f64_e32 v[175:176], v[175:176], v[181:182]
	s_wait_loadcnt_dscnt 0x800
	v_mul_f64_e32 v[181:182], v[6:7], v[171:172]
	v_mul_f64_e32 v[171:172], v[8:9], v[171:172]
	v_fma_f64 v[179:180], v[4:5], v[38:39], v[179:180]
	v_fma_f64 v[185:186], v[2:3], v[38:39], -v[40:41]
	ds_load_b128 v[2:5], v1 offset:1600
	scratch_load_b128 v[38:41], off, off offset:768
	v_add_f64_e32 v[173:174], v[173:174], v[183:184]
	v_add_f64_e32 v[175:176], v[175:176], v[177:178]
	v_fma_f64 v[181:182], v[8:9], v[169:170], v[181:182]
	v_fma_f64 v[183:184], v[6:7], v[169:170], -v[171:172]
	ds_load_b128 v[6:9], v1 offset:1616
	scratch_load_b128 v[169:172], off, off offset:784
	s_wait_loadcnt_dscnt 0x901
	v_mul_f64_e32 v[177:178], v[2:3], v[36:37]
	v_mul_f64_e32 v[36:37], v[4:5], v[36:37]
	v_add_f64_e32 v[173:174], v[173:174], v[185:186]
	v_add_f64_e32 v[175:176], v[175:176], v[179:180]
	s_wait_loadcnt_dscnt 0x800
	v_mul_f64_e32 v[179:180], v[6:7], v[167:168]
	v_mul_f64_e32 v[167:168], v[8:9], v[167:168]
	v_fma_f64 v[177:178], v[4:5], v[34:35], v[177:178]
	v_fma_f64 v[185:186], v[2:3], v[34:35], -v[36:37]
	ds_load_b128 v[2:5], v1 offset:1632
	scratch_load_b128 v[34:37], off, off offset:800
	v_add_f64_e32 v[173:174], v[173:174], v[183:184]
	v_add_f64_e32 v[175:176], v[175:176], v[181:182]
	v_fma_f64 v[179:180], v[8:9], v[165:166], v[179:180]
	v_fma_f64 v[183:184], v[6:7], v[165:166], -v[167:168]
	ds_load_b128 v[6:9], v1 offset:1648
	s_wait_loadcnt_dscnt 0x801
	v_mul_f64_e32 v[181:182], v[2:3], v[12:13]
	v_mul_f64_e32 v[12:13], v[4:5], v[12:13]
	scratch_load_b128 v[165:168], off, off offset:816
	v_add_f64_e32 v[173:174], v[173:174], v[185:186]
	v_add_f64_e32 v[175:176], v[175:176], v[177:178]
	s_wait_loadcnt_dscnt 0x800
	v_mul_f64_e32 v[177:178], v[6:7], v[16:17]
	v_mul_f64_e32 v[16:17], v[8:9], v[16:17]
	v_fma_f64 v[181:182], v[4:5], v[10:11], v[181:182]
	v_fma_f64 v[185:186], v[2:3], v[10:11], -v[12:13]
	ds_load_b128 v[2:5], v1 offset:1664
	scratch_load_b128 v[10:13], off, off offset:832
	v_add_f64_e32 v[173:174], v[173:174], v[183:184]
	v_add_f64_e32 v[175:176], v[175:176], v[179:180]
	v_fma_f64 v[177:178], v[8:9], v[14:15], v[177:178]
	v_fma_f64 v[183:184], v[6:7], v[14:15], -v[16:17]
	ds_load_b128 v[6:9], v1 offset:1680
	s_wait_loadcnt_dscnt 0x801
	v_mul_f64_e32 v[179:180], v[2:3], v[20:21]
	v_mul_f64_e32 v[20:21], v[4:5], v[20:21]
	scratch_load_b128 v[14:17], off, off offset:848
	;; [unrolled: 18-line block ×6, first 2 shown]
	v_add_f64_e32 v[173:174], v[173:174], v[185:186]
	v_add_f64_e32 v[175:176], v[175:176], v[179:180]
	s_wait_loadcnt_dscnt 0x800
	v_mul_f64_e32 v[179:180], v[6:7], v[16:17]
	v_mul_f64_e32 v[16:17], v[8:9], v[16:17]
	v_fma_f64 v[177:178], v[4:5], v[10:11], v[177:178]
	v_fma_f64 v[10:11], v[2:3], v[10:11], -v[12:13]
	ds_load_b128 v[2:5], v1 offset:1824
	v_add_f64_e32 v[12:13], v[173:174], v[183:184]
	v_add_f64_e32 v[173:174], v[175:176], v[181:182]
	v_fma_f64 v[179:180], v[8:9], v[14:15], v[179:180]
	v_fma_f64 v[14:15], v[6:7], v[14:15], -v[16:17]
	ds_load_b128 v[6:9], v1 offset:1840
	s_wait_loadcnt_dscnt 0x701
	v_mul_f64_e32 v[175:176], v[2:3], v[20:21]
	v_mul_f64_e32 v[20:21], v[4:5], v[20:21]
	v_add_f64_e32 v[10:11], v[12:13], v[10:11]
	v_add_f64_e32 v[12:13], v[173:174], v[177:178]
	s_delay_alu instid0(VALU_DEP_4) | instskip(NEXT) | instid1(VALU_DEP_4)
	v_fma_f64 v[173:174], v[4:5], v[18:19], v[175:176]
	v_fma_f64 v[18:19], v[2:3], v[18:19], -v[20:21]
	ds_load_b128 v[2:5], v1 offset:1856
	v_add_f64_e32 v[14:15], v[10:11], v[14:15]
	v_add_f64_e32 v[20:21], v[12:13], v[179:180]
	scratch_load_b128 v[10:13], off, off offset:464
	s_wait_loadcnt_dscnt 0x701
	v_mul_f64_e32 v[16:17], v[6:7], v[24:25]
	v_mul_f64_e32 v[24:25], v[8:9], v[24:25]
	v_add_f64_e32 v[14:15], v[14:15], v[18:19]
	v_add_f64_e32 v[18:19], v[20:21], v[173:174]
	s_delay_alu instid0(VALU_DEP_4) | instskip(NEXT) | instid1(VALU_DEP_4)
	v_fma_f64 v[16:17], v[8:9], v[22:23], v[16:17]
	v_fma_f64 v[22:23], v[6:7], v[22:23], -v[24:25]
	ds_load_b128 v[6:9], v1 offset:1872
	s_wait_loadcnt_dscnt 0x601
	v_mul_f64_e32 v[175:176], v[2:3], v[28:29]
	v_mul_f64_e32 v[28:29], v[4:5], v[28:29]
	s_wait_loadcnt_dscnt 0x500
	v_mul_f64_e32 v[20:21], v[6:7], v[32:33]
	v_mul_f64_e32 v[24:25], v[8:9], v[32:33]
	v_add_f64_e32 v[16:17], v[18:19], v[16:17]
	v_add_f64_e32 v[14:15], v[14:15], v[22:23]
	v_fma_f64 v[32:33], v[4:5], v[26:27], v[175:176]
	v_fma_f64 v[26:27], v[2:3], v[26:27], -v[28:29]
	ds_load_b128 v[2:5], v1 offset:1888
	v_fma_f64 v[20:21], v[8:9], v[30:31], v[20:21]
	v_fma_f64 v[24:25], v[6:7], v[30:31], -v[24:25]
	ds_load_b128 v[6:9], v1 offset:1904
	s_wait_loadcnt_dscnt 0x401
	v_mul_f64_e32 v[18:19], v[2:3], v[40:41]
	v_mul_f64_e32 v[22:23], v[4:5], v[40:41]
	v_add_f64_e32 v[16:17], v[16:17], v[32:33]
	v_add_f64_e32 v[14:15], v[14:15], v[26:27]
	s_wait_loadcnt_dscnt 0x300
	v_mul_f64_e32 v[26:27], v[6:7], v[171:172]
	v_mul_f64_e32 v[28:29], v[8:9], v[171:172]
	v_fma_f64 v[18:19], v[4:5], v[38:39], v[18:19]
	v_fma_f64 v[22:23], v[2:3], v[38:39], -v[22:23]
	ds_load_b128 v[2:5], v1 offset:1920
	v_add_f64_e32 v[16:17], v[16:17], v[20:21]
	v_add_f64_e32 v[14:15], v[14:15], v[24:25]
	v_fma_f64 v[26:27], v[8:9], v[169:170], v[26:27]
	v_fma_f64 v[28:29], v[6:7], v[169:170], -v[28:29]
	ds_load_b128 v[6:9], v1 offset:1936
	s_wait_loadcnt_dscnt 0x201
	v_mul_f64_e32 v[20:21], v[2:3], v[36:37]
	v_mul_f64_e32 v[24:25], v[4:5], v[36:37]
	v_add_f64_e32 v[16:17], v[16:17], v[18:19]
	v_add_f64_e32 v[14:15], v[14:15], v[22:23]
	s_wait_loadcnt_dscnt 0x100
	v_mul_f64_e32 v[18:19], v[6:7], v[167:168]
	v_mul_f64_e32 v[22:23], v[8:9], v[167:168]
	v_fma_f64 v[4:5], v[4:5], v[34:35], v[20:21]
	v_fma_f64 v[1:2], v[2:3], v[34:35], -v[24:25]
	v_add_f64_e32 v[16:17], v[16:17], v[26:27]
	v_add_f64_e32 v[14:15], v[14:15], v[28:29]
	v_fma_f64 v[8:9], v[8:9], v[165:166], v[18:19]
	v_fma_f64 v[6:7], v[6:7], v[165:166], -v[22:23]
	s_delay_alu instid0(VALU_DEP_4) | instskip(NEXT) | instid1(VALU_DEP_4)
	v_add_f64_e32 v[3:4], v[16:17], v[4:5]
	v_add_f64_e32 v[1:2], v[14:15], v[1:2]
	s_delay_alu instid0(VALU_DEP_2) | instskip(NEXT) | instid1(VALU_DEP_2)
	v_add_f64_e32 v[3:4], v[3:4], v[8:9]
	v_add_f64_e32 v[1:2], v[1:2], v[6:7]
	s_wait_loadcnt 0x0
	s_delay_alu instid0(VALU_DEP_2) | instskip(NEXT) | instid1(VALU_DEP_2)
	v_add_f64_e64 v[3:4], v[12:13], -v[3:4]
	v_add_f64_e64 v[1:2], v[10:11], -v[1:2]
	scratch_store_b128 off, v[1:4], off offset:464
	v_cmpx_lt_u32_e32 27, v0
	s_cbranch_execz .LBB60_337
; %bb.336:
	scratch_load_b128 v[1:4], off, s45
	v_mov_b32_e32 v5, 0
	s_delay_alu instid0(VALU_DEP_1)
	v_dual_mov_b32 v6, v5 :: v_dual_mov_b32 v7, v5
	v_mov_b32_e32 v8, v5
	scratch_store_b128 off, v[5:8], off offset:448
	s_wait_loadcnt 0x0
	ds_store_b128 v164, v[1:4]
.LBB60_337:
	s_wait_alu 0xfffe
	s_or_b32 exec_lo, exec_lo, s0
	s_wait_storecnt_dscnt 0x0
	s_barrier_signal -1
	s_barrier_wait -1
	global_inv scope:SCOPE_SE
	s_clause 0x7
	scratch_load_b128 v[2:5], off, off offset:464
	scratch_load_b128 v[6:9], off, off offset:480
	;; [unrolled: 1-line block ×8, first 2 shown]
	v_mov_b32_e32 v1, 0
	s_clause 0x1
	scratch_load_b128 v[38:41], off, off offset:592
	scratch_load_b128 v[169:172], off, off offset:608
	s_mov_b32 s0, exec_lo
	ds_load_b128 v[34:37], v1 offset:1424
	ds_load_b128 v[165:168], v1 offset:1440
	s_wait_loadcnt_dscnt 0x901
	v_mul_f64_e32 v[173:174], v[36:37], v[4:5]
	v_mul_f64_e32 v[4:5], v[34:35], v[4:5]
	s_wait_loadcnt_dscnt 0x800
	v_mul_f64_e32 v[175:176], v[165:166], v[8:9]
	v_mul_f64_e32 v[8:9], v[167:168], v[8:9]
	s_delay_alu instid0(VALU_DEP_4) | instskip(NEXT) | instid1(VALU_DEP_4)
	v_fma_f64 v[173:174], v[34:35], v[2:3], -v[173:174]
	v_fma_f64 v[177:178], v[36:37], v[2:3], v[4:5]
	ds_load_b128 v[2:5], v1 offset:1456
	scratch_load_b128 v[34:37], off, off offset:624
	v_fma_f64 v[175:176], v[167:168], v[6:7], v[175:176]
	v_fma_f64 v[181:182], v[165:166], v[6:7], -v[8:9]
	ds_load_b128 v[6:9], v1 offset:1472
	scratch_load_b128 v[165:168], off, off offset:640
	s_wait_loadcnt_dscnt 0x901
	v_mul_f64_e32 v[179:180], v[2:3], v[12:13]
	v_mul_f64_e32 v[12:13], v[4:5], v[12:13]
	s_wait_loadcnt_dscnt 0x800
	v_mul_f64_e32 v[183:184], v[6:7], v[16:17]
	v_mul_f64_e32 v[16:17], v[8:9], v[16:17]
	v_add_f64_e32 v[173:174], 0, v[173:174]
	v_add_f64_e32 v[177:178], 0, v[177:178]
	v_fma_f64 v[179:180], v[4:5], v[10:11], v[179:180]
	v_fma_f64 v[185:186], v[2:3], v[10:11], -v[12:13]
	ds_load_b128 v[2:5], v1 offset:1488
	scratch_load_b128 v[10:13], off, off offset:656
	v_add_f64_e32 v[173:174], v[173:174], v[181:182]
	v_add_f64_e32 v[175:176], v[177:178], v[175:176]
	v_fma_f64 v[181:182], v[8:9], v[14:15], v[183:184]
	v_fma_f64 v[183:184], v[6:7], v[14:15], -v[16:17]
	ds_load_b128 v[6:9], v1 offset:1504
	scratch_load_b128 v[14:17], off, off offset:672
	s_wait_loadcnt_dscnt 0x901
	v_mul_f64_e32 v[177:178], v[2:3], v[20:21]
	v_mul_f64_e32 v[20:21], v[4:5], v[20:21]
	v_add_f64_e32 v[173:174], v[173:174], v[185:186]
	v_add_f64_e32 v[175:176], v[175:176], v[179:180]
	s_wait_loadcnt_dscnt 0x800
	v_mul_f64_e32 v[179:180], v[6:7], v[24:25]
	v_mul_f64_e32 v[24:25], v[8:9], v[24:25]
	v_fma_f64 v[177:178], v[4:5], v[18:19], v[177:178]
	v_fma_f64 v[185:186], v[2:3], v[18:19], -v[20:21]
	ds_load_b128 v[2:5], v1 offset:1520
	scratch_load_b128 v[18:21], off, off offset:688
	v_add_f64_e32 v[173:174], v[173:174], v[183:184]
	v_add_f64_e32 v[175:176], v[175:176], v[181:182]
	v_fma_f64 v[179:180], v[8:9], v[22:23], v[179:180]
	v_fma_f64 v[183:184], v[6:7], v[22:23], -v[24:25]
	ds_load_b128 v[6:9], v1 offset:1536
	s_wait_loadcnt_dscnt 0x801
	v_mul_f64_e32 v[181:182], v[2:3], v[28:29]
	v_mul_f64_e32 v[28:29], v[4:5], v[28:29]
	scratch_load_b128 v[22:25], off, off offset:704
	v_add_f64_e32 v[173:174], v[173:174], v[185:186]
	v_add_f64_e32 v[175:176], v[175:176], v[177:178]
	s_wait_loadcnt_dscnt 0x800
	v_mul_f64_e32 v[177:178], v[6:7], v[32:33]
	v_mul_f64_e32 v[32:33], v[8:9], v[32:33]
	v_fma_f64 v[181:182], v[4:5], v[26:27], v[181:182]
	v_fma_f64 v[185:186], v[2:3], v[26:27], -v[28:29]
	ds_load_b128 v[2:5], v1 offset:1552
	scratch_load_b128 v[26:29], off, off offset:720
	v_add_f64_e32 v[173:174], v[173:174], v[183:184]
	v_add_f64_e32 v[175:176], v[175:176], v[179:180]
	v_fma_f64 v[177:178], v[8:9], v[30:31], v[177:178]
	v_fma_f64 v[183:184], v[6:7], v[30:31], -v[32:33]
	ds_load_b128 v[6:9], v1 offset:1568
	s_wait_loadcnt_dscnt 0x801
	v_mul_f64_e32 v[179:180], v[2:3], v[40:41]
	v_mul_f64_e32 v[40:41], v[4:5], v[40:41]
	scratch_load_b128 v[30:33], off, off offset:736
	v_add_f64_e32 v[173:174], v[173:174], v[185:186]
	v_add_f64_e32 v[175:176], v[175:176], v[181:182]
	s_wait_loadcnt_dscnt 0x800
	v_mul_f64_e32 v[181:182], v[6:7], v[171:172]
	v_mul_f64_e32 v[171:172], v[8:9], v[171:172]
	v_fma_f64 v[179:180], v[4:5], v[38:39], v[179:180]
	v_fma_f64 v[185:186], v[2:3], v[38:39], -v[40:41]
	ds_load_b128 v[2:5], v1 offset:1584
	scratch_load_b128 v[38:41], off, off offset:752
	v_add_f64_e32 v[173:174], v[173:174], v[183:184]
	v_add_f64_e32 v[175:176], v[175:176], v[177:178]
	v_fma_f64 v[181:182], v[8:9], v[169:170], v[181:182]
	v_fma_f64 v[183:184], v[6:7], v[169:170], -v[171:172]
	ds_load_b128 v[6:9], v1 offset:1600
	scratch_load_b128 v[169:172], off, off offset:768
	s_wait_loadcnt_dscnt 0x901
	v_mul_f64_e32 v[177:178], v[2:3], v[36:37]
	v_mul_f64_e32 v[36:37], v[4:5], v[36:37]
	v_add_f64_e32 v[173:174], v[173:174], v[185:186]
	v_add_f64_e32 v[175:176], v[175:176], v[179:180]
	s_wait_loadcnt_dscnt 0x800
	v_mul_f64_e32 v[179:180], v[6:7], v[167:168]
	v_mul_f64_e32 v[167:168], v[8:9], v[167:168]
	v_fma_f64 v[177:178], v[4:5], v[34:35], v[177:178]
	v_fma_f64 v[185:186], v[2:3], v[34:35], -v[36:37]
	ds_load_b128 v[2:5], v1 offset:1616
	scratch_load_b128 v[34:37], off, off offset:784
	v_add_f64_e32 v[173:174], v[173:174], v[183:184]
	v_add_f64_e32 v[175:176], v[175:176], v[181:182]
	v_fma_f64 v[179:180], v[8:9], v[165:166], v[179:180]
	v_fma_f64 v[183:184], v[6:7], v[165:166], -v[167:168]
	ds_load_b128 v[6:9], v1 offset:1632
	s_wait_loadcnt_dscnt 0x801
	v_mul_f64_e32 v[181:182], v[2:3], v[12:13]
	v_mul_f64_e32 v[12:13], v[4:5], v[12:13]
	scratch_load_b128 v[165:168], off, off offset:800
	v_add_f64_e32 v[173:174], v[173:174], v[185:186]
	v_add_f64_e32 v[175:176], v[175:176], v[177:178]
	s_wait_loadcnt_dscnt 0x800
	v_mul_f64_e32 v[177:178], v[6:7], v[16:17]
	v_mul_f64_e32 v[16:17], v[8:9], v[16:17]
	v_fma_f64 v[181:182], v[4:5], v[10:11], v[181:182]
	v_fma_f64 v[185:186], v[2:3], v[10:11], -v[12:13]
	ds_load_b128 v[2:5], v1 offset:1648
	scratch_load_b128 v[10:13], off, off offset:816
	v_add_f64_e32 v[173:174], v[173:174], v[183:184]
	v_add_f64_e32 v[175:176], v[175:176], v[179:180]
	v_fma_f64 v[177:178], v[8:9], v[14:15], v[177:178]
	v_fma_f64 v[183:184], v[6:7], v[14:15], -v[16:17]
	ds_load_b128 v[6:9], v1 offset:1664
	s_wait_loadcnt_dscnt 0x801
	v_mul_f64_e32 v[179:180], v[2:3], v[20:21]
	v_mul_f64_e32 v[20:21], v[4:5], v[20:21]
	scratch_load_b128 v[14:17], off, off offset:832
	;; [unrolled: 18-line block ×6, first 2 shown]
	v_add_f64_e32 v[173:174], v[173:174], v[185:186]
	v_add_f64_e32 v[175:176], v[175:176], v[179:180]
	s_wait_loadcnt_dscnt 0x800
	v_mul_f64_e32 v[179:180], v[6:7], v[16:17]
	v_mul_f64_e32 v[16:17], v[8:9], v[16:17]
	v_fma_f64 v[177:178], v[4:5], v[10:11], v[177:178]
	v_fma_f64 v[185:186], v[2:3], v[10:11], -v[12:13]
	ds_load_b128 v[2:5], v1 offset:1808
	scratch_load_b128 v[10:13], off, off offset:976
	v_add_f64_e32 v[173:174], v[173:174], v[183:184]
	v_add_f64_e32 v[175:176], v[175:176], v[181:182]
	v_fma_f64 v[179:180], v[8:9], v[14:15], v[179:180]
	v_fma_f64 v[14:15], v[6:7], v[14:15], -v[16:17]
	ds_load_b128 v[6:9], v1 offset:1824
	s_wait_loadcnt_dscnt 0x801
	v_mul_f64_e32 v[181:182], v[2:3], v[20:21]
	v_mul_f64_e32 v[20:21], v[4:5], v[20:21]
	v_add_f64_e32 v[16:17], v[173:174], v[185:186]
	v_add_f64_e32 v[173:174], v[175:176], v[177:178]
	s_wait_loadcnt_dscnt 0x700
	v_mul_f64_e32 v[175:176], v[6:7], v[24:25]
	v_mul_f64_e32 v[24:25], v[8:9], v[24:25]
	v_fma_f64 v[177:178], v[4:5], v[18:19], v[181:182]
	v_fma_f64 v[18:19], v[2:3], v[18:19], -v[20:21]
	ds_load_b128 v[2:5], v1 offset:1840
	v_add_f64_e32 v[14:15], v[16:17], v[14:15]
	v_add_f64_e32 v[16:17], v[173:174], v[179:180]
	v_fma_f64 v[173:174], v[8:9], v[22:23], v[175:176]
	v_fma_f64 v[22:23], v[6:7], v[22:23], -v[24:25]
	ds_load_b128 v[6:9], v1 offset:1856
	s_wait_loadcnt_dscnt 0x500
	v_mul_f64_e32 v[175:176], v[6:7], v[32:33]
	v_mul_f64_e32 v[32:33], v[8:9], v[32:33]
	v_add_f64_e32 v[18:19], v[14:15], v[18:19]
	v_add_f64_e32 v[24:25], v[16:17], v[177:178]
	scratch_load_b128 v[14:17], off, off offset:448
	v_mul_f64_e32 v[20:21], v[2:3], v[28:29]
	v_mul_f64_e32 v[28:29], v[4:5], v[28:29]
	v_add_f64_e32 v[18:19], v[18:19], v[22:23]
	v_add_f64_e32 v[22:23], v[24:25], v[173:174]
	s_delay_alu instid0(VALU_DEP_4) | instskip(NEXT) | instid1(VALU_DEP_4)
	v_fma_f64 v[20:21], v[4:5], v[26:27], v[20:21]
	v_fma_f64 v[26:27], v[2:3], v[26:27], -v[28:29]
	ds_load_b128 v[2:5], v1 offset:1872
	s_wait_loadcnt_dscnt 0x500
	v_mul_f64_e32 v[24:25], v[2:3], v[40:41]
	v_mul_f64_e32 v[28:29], v[4:5], v[40:41]
	v_fma_f64 v[40:41], v[8:9], v[30:31], v[175:176]
	v_fma_f64 v[30:31], v[6:7], v[30:31], -v[32:33]
	ds_load_b128 v[6:9], v1 offset:1888
	v_add_f64_e32 v[20:21], v[22:23], v[20:21]
	v_add_f64_e32 v[18:19], v[18:19], v[26:27]
	v_fma_f64 v[24:25], v[4:5], v[38:39], v[24:25]
	v_fma_f64 v[28:29], v[2:3], v[38:39], -v[28:29]
	ds_load_b128 v[2:5], v1 offset:1904
	s_wait_loadcnt_dscnt 0x401
	v_mul_f64_e32 v[22:23], v[6:7], v[171:172]
	v_mul_f64_e32 v[26:27], v[8:9], v[171:172]
	v_add_f64_e32 v[20:21], v[20:21], v[40:41]
	v_add_f64_e32 v[18:19], v[18:19], v[30:31]
	s_wait_loadcnt_dscnt 0x300
	v_mul_f64_e32 v[30:31], v[2:3], v[36:37]
	v_mul_f64_e32 v[32:33], v[4:5], v[36:37]
	v_fma_f64 v[22:23], v[8:9], v[169:170], v[22:23]
	v_fma_f64 v[26:27], v[6:7], v[169:170], -v[26:27]
	ds_load_b128 v[6:9], v1 offset:1920
	v_add_f64_e32 v[20:21], v[20:21], v[24:25]
	v_add_f64_e32 v[18:19], v[18:19], v[28:29]
	v_fma_f64 v[30:31], v[4:5], v[34:35], v[30:31]
	v_fma_f64 v[32:33], v[2:3], v[34:35], -v[32:33]
	ds_load_b128 v[2:5], v1 offset:1936
	s_wait_loadcnt_dscnt 0x201
	v_mul_f64_e32 v[24:25], v[6:7], v[167:168]
	v_mul_f64_e32 v[28:29], v[8:9], v[167:168]
	v_add_f64_e32 v[20:21], v[20:21], v[22:23]
	v_add_f64_e32 v[18:19], v[18:19], v[26:27]
	s_wait_loadcnt_dscnt 0x100
	v_mul_f64_e32 v[22:23], v[2:3], v[12:13]
	v_mul_f64_e32 v[12:13], v[4:5], v[12:13]
	v_fma_f64 v[8:9], v[8:9], v[165:166], v[24:25]
	v_fma_f64 v[6:7], v[6:7], v[165:166], -v[28:29]
	v_add_f64_e32 v[20:21], v[20:21], v[30:31]
	v_add_f64_e32 v[18:19], v[18:19], v[32:33]
	v_fma_f64 v[4:5], v[4:5], v[10:11], v[22:23]
	v_fma_f64 v[2:3], v[2:3], v[10:11], -v[12:13]
	s_delay_alu instid0(VALU_DEP_4) | instskip(NEXT) | instid1(VALU_DEP_4)
	v_add_f64_e32 v[8:9], v[20:21], v[8:9]
	v_add_f64_e32 v[6:7], v[18:19], v[6:7]
	s_delay_alu instid0(VALU_DEP_2) | instskip(NEXT) | instid1(VALU_DEP_2)
	v_add_f64_e32 v[4:5], v[8:9], v[4:5]
	v_add_f64_e32 v[2:3], v[6:7], v[2:3]
	s_wait_loadcnt 0x0
	s_delay_alu instid0(VALU_DEP_2) | instskip(NEXT) | instid1(VALU_DEP_2)
	v_add_f64_e64 v[4:5], v[16:17], -v[4:5]
	v_add_f64_e64 v[2:3], v[14:15], -v[2:3]
	scratch_store_b128 off, v[2:5], off offset:448
	v_cmpx_lt_u32_e32 26, v0
	s_cbranch_execz .LBB60_339
; %bb.338:
	scratch_load_b128 v[5:8], off, s46
	v_dual_mov_b32 v2, v1 :: v_dual_mov_b32 v3, v1
	v_mov_b32_e32 v4, v1
	scratch_store_b128 off, v[1:4], off offset:432
	s_wait_loadcnt 0x0
	ds_store_b128 v164, v[5:8]
.LBB60_339:
	s_wait_alu 0xfffe
	s_or_b32 exec_lo, exec_lo, s0
	s_wait_storecnt_dscnt 0x0
	s_barrier_signal -1
	s_barrier_wait -1
	global_inv scope:SCOPE_SE
	s_clause 0x7
	scratch_load_b128 v[2:5], off, off offset:448
	scratch_load_b128 v[6:9], off, off offset:464
	;; [unrolled: 1-line block ×8, first 2 shown]
	ds_load_b128 v[38:41], v1 offset:1408
	ds_load_b128 v[165:168], v1 offset:1424
	s_clause 0x1
	scratch_load_b128 v[34:37], off, off offset:576
	scratch_load_b128 v[169:172], off, off offset:592
	s_mov_b32 s0, exec_lo
	s_wait_loadcnt_dscnt 0x901
	v_mul_f64_e32 v[173:174], v[40:41], v[4:5]
	v_mul_f64_e32 v[4:5], v[38:39], v[4:5]
	s_wait_loadcnt_dscnt 0x800
	v_mul_f64_e32 v[175:176], v[165:166], v[8:9]
	v_mul_f64_e32 v[8:9], v[167:168], v[8:9]
	s_delay_alu instid0(VALU_DEP_4) | instskip(NEXT) | instid1(VALU_DEP_4)
	v_fma_f64 v[173:174], v[38:39], v[2:3], -v[173:174]
	v_fma_f64 v[177:178], v[40:41], v[2:3], v[4:5]
	ds_load_b128 v[2:5], v1 offset:1440
	scratch_load_b128 v[38:41], off, off offset:608
	v_fma_f64 v[175:176], v[167:168], v[6:7], v[175:176]
	v_fma_f64 v[181:182], v[165:166], v[6:7], -v[8:9]
	ds_load_b128 v[6:9], v1 offset:1456
	scratch_load_b128 v[165:168], off, off offset:624
	s_wait_loadcnt_dscnt 0x901
	v_mul_f64_e32 v[179:180], v[2:3], v[12:13]
	v_mul_f64_e32 v[12:13], v[4:5], v[12:13]
	s_wait_loadcnt_dscnt 0x800
	v_mul_f64_e32 v[183:184], v[6:7], v[16:17]
	v_mul_f64_e32 v[16:17], v[8:9], v[16:17]
	v_add_f64_e32 v[173:174], 0, v[173:174]
	v_add_f64_e32 v[177:178], 0, v[177:178]
	v_fma_f64 v[179:180], v[4:5], v[10:11], v[179:180]
	v_fma_f64 v[185:186], v[2:3], v[10:11], -v[12:13]
	ds_load_b128 v[2:5], v1 offset:1472
	scratch_load_b128 v[10:13], off, off offset:640
	v_add_f64_e32 v[173:174], v[173:174], v[181:182]
	v_add_f64_e32 v[175:176], v[177:178], v[175:176]
	v_fma_f64 v[181:182], v[8:9], v[14:15], v[183:184]
	v_fma_f64 v[183:184], v[6:7], v[14:15], -v[16:17]
	ds_load_b128 v[6:9], v1 offset:1488
	scratch_load_b128 v[14:17], off, off offset:656
	s_wait_loadcnt_dscnt 0x901
	v_mul_f64_e32 v[177:178], v[2:3], v[20:21]
	v_mul_f64_e32 v[20:21], v[4:5], v[20:21]
	v_add_f64_e32 v[173:174], v[173:174], v[185:186]
	v_add_f64_e32 v[175:176], v[175:176], v[179:180]
	s_wait_loadcnt_dscnt 0x800
	v_mul_f64_e32 v[179:180], v[6:7], v[24:25]
	v_mul_f64_e32 v[24:25], v[8:9], v[24:25]
	v_fma_f64 v[177:178], v[4:5], v[18:19], v[177:178]
	v_fma_f64 v[185:186], v[2:3], v[18:19], -v[20:21]
	ds_load_b128 v[2:5], v1 offset:1504
	scratch_load_b128 v[18:21], off, off offset:672
	v_add_f64_e32 v[173:174], v[173:174], v[183:184]
	v_add_f64_e32 v[175:176], v[175:176], v[181:182]
	v_fma_f64 v[179:180], v[8:9], v[22:23], v[179:180]
	v_fma_f64 v[183:184], v[6:7], v[22:23], -v[24:25]
	ds_load_b128 v[6:9], v1 offset:1520
	s_wait_loadcnt_dscnt 0x801
	v_mul_f64_e32 v[181:182], v[2:3], v[28:29]
	v_mul_f64_e32 v[28:29], v[4:5], v[28:29]
	scratch_load_b128 v[22:25], off, off offset:688
	v_add_f64_e32 v[173:174], v[173:174], v[185:186]
	v_add_f64_e32 v[175:176], v[175:176], v[177:178]
	s_wait_loadcnt_dscnt 0x800
	v_mul_f64_e32 v[177:178], v[6:7], v[32:33]
	v_mul_f64_e32 v[32:33], v[8:9], v[32:33]
	v_fma_f64 v[181:182], v[4:5], v[26:27], v[181:182]
	v_fma_f64 v[185:186], v[2:3], v[26:27], -v[28:29]
	ds_load_b128 v[2:5], v1 offset:1536
	scratch_load_b128 v[26:29], off, off offset:704
	v_add_f64_e32 v[173:174], v[173:174], v[183:184]
	v_add_f64_e32 v[175:176], v[175:176], v[179:180]
	v_fma_f64 v[177:178], v[8:9], v[30:31], v[177:178]
	v_fma_f64 v[183:184], v[6:7], v[30:31], -v[32:33]
	ds_load_b128 v[6:9], v1 offset:1552
	s_wait_loadcnt_dscnt 0x801
	v_mul_f64_e32 v[179:180], v[2:3], v[36:37]
	v_mul_f64_e32 v[36:37], v[4:5], v[36:37]
	scratch_load_b128 v[30:33], off, off offset:720
	v_add_f64_e32 v[173:174], v[173:174], v[185:186]
	v_add_f64_e32 v[175:176], v[175:176], v[181:182]
	s_wait_loadcnt_dscnt 0x800
	v_mul_f64_e32 v[181:182], v[6:7], v[171:172]
	v_mul_f64_e32 v[171:172], v[8:9], v[171:172]
	v_fma_f64 v[179:180], v[4:5], v[34:35], v[179:180]
	v_fma_f64 v[185:186], v[2:3], v[34:35], -v[36:37]
	ds_load_b128 v[2:5], v1 offset:1568
	scratch_load_b128 v[34:37], off, off offset:736
	v_add_f64_e32 v[173:174], v[173:174], v[183:184]
	v_add_f64_e32 v[175:176], v[175:176], v[177:178]
	v_fma_f64 v[181:182], v[8:9], v[169:170], v[181:182]
	v_fma_f64 v[183:184], v[6:7], v[169:170], -v[171:172]
	ds_load_b128 v[6:9], v1 offset:1584
	scratch_load_b128 v[169:172], off, off offset:752
	s_wait_loadcnt_dscnt 0x901
	v_mul_f64_e32 v[177:178], v[2:3], v[40:41]
	v_mul_f64_e32 v[40:41], v[4:5], v[40:41]
	v_add_f64_e32 v[173:174], v[173:174], v[185:186]
	v_add_f64_e32 v[175:176], v[175:176], v[179:180]
	s_wait_loadcnt_dscnt 0x800
	v_mul_f64_e32 v[179:180], v[6:7], v[167:168]
	v_mul_f64_e32 v[167:168], v[8:9], v[167:168]
	v_fma_f64 v[177:178], v[4:5], v[38:39], v[177:178]
	v_fma_f64 v[185:186], v[2:3], v[38:39], -v[40:41]
	ds_load_b128 v[2:5], v1 offset:1600
	scratch_load_b128 v[38:41], off, off offset:768
	v_add_f64_e32 v[173:174], v[173:174], v[183:184]
	v_add_f64_e32 v[175:176], v[175:176], v[181:182]
	v_fma_f64 v[179:180], v[8:9], v[165:166], v[179:180]
	v_fma_f64 v[183:184], v[6:7], v[165:166], -v[167:168]
	ds_load_b128 v[6:9], v1 offset:1616
	s_wait_loadcnt_dscnt 0x801
	v_mul_f64_e32 v[181:182], v[2:3], v[12:13]
	v_mul_f64_e32 v[12:13], v[4:5], v[12:13]
	scratch_load_b128 v[165:168], off, off offset:784
	v_add_f64_e32 v[173:174], v[173:174], v[185:186]
	v_add_f64_e32 v[175:176], v[175:176], v[177:178]
	s_wait_loadcnt_dscnt 0x800
	v_mul_f64_e32 v[177:178], v[6:7], v[16:17]
	v_mul_f64_e32 v[16:17], v[8:9], v[16:17]
	v_fma_f64 v[181:182], v[4:5], v[10:11], v[181:182]
	v_fma_f64 v[185:186], v[2:3], v[10:11], -v[12:13]
	ds_load_b128 v[2:5], v1 offset:1632
	scratch_load_b128 v[10:13], off, off offset:800
	v_add_f64_e32 v[173:174], v[173:174], v[183:184]
	v_add_f64_e32 v[175:176], v[175:176], v[179:180]
	v_fma_f64 v[177:178], v[8:9], v[14:15], v[177:178]
	v_fma_f64 v[183:184], v[6:7], v[14:15], -v[16:17]
	ds_load_b128 v[6:9], v1 offset:1648
	s_wait_loadcnt_dscnt 0x801
	v_mul_f64_e32 v[179:180], v[2:3], v[20:21]
	v_mul_f64_e32 v[20:21], v[4:5], v[20:21]
	scratch_load_b128 v[14:17], off, off offset:816
	;; [unrolled: 18-line block ×7, first 2 shown]
	v_add_f64_e32 v[173:174], v[173:174], v[185:186]
	v_add_f64_e32 v[175:176], v[175:176], v[177:178]
	s_wait_loadcnt_dscnt 0x800
	v_mul_f64_e32 v[177:178], v[6:7], v[24:25]
	v_mul_f64_e32 v[24:25], v[8:9], v[24:25]
	v_fma_f64 v[181:182], v[4:5], v[18:19], v[181:182]
	v_fma_f64 v[18:19], v[2:3], v[18:19], -v[20:21]
	ds_load_b128 v[2:5], v1 offset:1824
	v_add_f64_e32 v[20:21], v[173:174], v[183:184]
	v_add_f64_e32 v[173:174], v[175:176], v[179:180]
	v_fma_f64 v[177:178], v[8:9], v[22:23], v[177:178]
	v_fma_f64 v[22:23], v[6:7], v[22:23], -v[24:25]
	ds_load_b128 v[6:9], v1 offset:1840
	s_wait_loadcnt_dscnt 0x701
	v_mul_f64_e32 v[175:176], v[2:3], v[28:29]
	v_mul_f64_e32 v[28:29], v[4:5], v[28:29]
	v_add_f64_e32 v[18:19], v[20:21], v[18:19]
	v_add_f64_e32 v[20:21], v[173:174], v[181:182]
	s_delay_alu instid0(VALU_DEP_4) | instskip(NEXT) | instid1(VALU_DEP_4)
	v_fma_f64 v[173:174], v[4:5], v[26:27], v[175:176]
	v_fma_f64 v[26:27], v[2:3], v[26:27], -v[28:29]
	ds_load_b128 v[2:5], v1 offset:1856
	v_add_f64_e32 v[22:23], v[18:19], v[22:23]
	v_add_f64_e32 v[28:29], v[20:21], v[177:178]
	scratch_load_b128 v[18:21], off, off offset:432
	s_wait_loadcnt_dscnt 0x701
	v_mul_f64_e32 v[24:25], v[6:7], v[32:33]
	v_mul_f64_e32 v[32:33], v[8:9], v[32:33]
	v_add_f64_e32 v[22:23], v[22:23], v[26:27]
	v_add_f64_e32 v[26:27], v[28:29], v[173:174]
	s_delay_alu instid0(VALU_DEP_4) | instskip(NEXT) | instid1(VALU_DEP_4)
	v_fma_f64 v[24:25], v[8:9], v[30:31], v[24:25]
	v_fma_f64 v[30:31], v[6:7], v[30:31], -v[32:33]
	ds_load_b128 v[6:9], v1 offset:1872
	s_wait_loadcnt_dscnt 0x601
	v_mul_f64_e32 v[175:176], v[2:3], v[36:37]
	v_mul_f64_e32 v[36:37], v[4:5], v[36:37]
	s_wait_loadcnt_dscnt 0x500
	v_mul_f64_e32 v[28:29], v[6:7], v[171:172]
	v_mul_f64_e32 v[32:33], v[8:9], v[171:172]
	v_add_f64_e32 v[24:25], v[26:27], v[24:25]
	v_add_f64_e32 v[22:23], v[22:23], v[30:31]
	v_fma_f64 v[171:172], v[4:5], v[34:35], v[175:176]
	v_fma_f64 v[34:35], v[2:3], v[34:35], -v[36:37]
	ds_load_b128 v[2:5], v1 offset:1888
	v_fma_f64 v[28:29], v[8:9], v[169:170], v[28:29]
	v_fma_f64 v[32:33], v[6:7], v[169:170], -v[32:33]
	ds_load_b128 v[6:9], v1 offset:1904
	s_wait_loadcnt_dscnt 0x401
	v_mul_f64_e32 v[26:27], v[2:3], v[40:41]
	v_mul_f64_e32 v[30:31], v[4:5], v[40:41]
	v_add_f64_e32 v[24:25], v[24:25], v[171:172]
	v_add_f64_e32 v[22:23], v[22:23], v[34:35]
	s_wait_loadcnt_dscnt 0x300
	v_mul_f64_e32 v[34:35], v[6:7], v[167:168]
	v_mul_f64_e32 v[36:37], v[8:9], v[167:168]
	v_fma_f64 v[26:27], v[4:5], v[38:39], v[26:27]
	v_fma_f64 v[30:31], v[2:3], v[38:39], -v[30:31]
	ds_load_b128 v[2:5], v1 offset:1920
	v_add_f64_e32 v[24:25], v[24:25], v[28:29]
	v_add_f64_e32 v[22:23], v[22:23], v[32:33]
	v_fma_f64 v[32:33], v[8:9], v[165:166], v[34:35]
	v_fma_f64 v[34:35], v[6:7], v[165:166], -v[36:37]
	ds_load_b128 v[6:9], v1 offset:1936
	s_wait_loadcnt_dscnt 0x201
	v_mul_f64_e32 v[28:29], v[2:3], v[12:13]
	v_mul_f64_e32 v[12:13], v[4:5], v[12:13]
	v_add_f64_e32 v[24:25], v[24:25], v[26:27]
	v_add_f64_e32 v[22:23], v[22:23], v[30:31]
	s_wait_loadcnt_dscnt 0x100
	v_mul_f64_e32 v[26:27], v[6:7], v[16:17]
	v_mul_f64_e32 v[16:17], v[8:9], v[16:17]
	v_fma_f64 v[4:5], v[4:5], v[10:11], v[28:29]
	v_fma_f64 v[1:2], v[2:3], v[10:11], -v[12:13]
	v_add_f64_e32 v[12:13], v[24:25], v[32:33]
	v_add_f64_e32 v[10:11], v[22:23], v[34:35]
	v_fma_f64 v[8:9], v[8:9], v[14:15], v[26:27]
	v_fma_f64 v[6:7], v[6:7], v[14:15], -v[16:17]
	s_delay_alu instid0(VALU_DEP_4) | instskip(NEXT) | instid1(VALU_DEP_4)
	v_add_f64_e32 v[3:4], v[12:13], v[4:5]
	v_add_f64_e32 v[1:2], v[10:11], v[1:2]
	s_delay_alu instid0(VALU_DEP_2) | instskip(NEXT) | instid1(VALU_DEP_2)
	v_add_f64_e32 v[3:4], v[3:4], v[8:9]
	v_add_f64_e32 v[1:2], v[1:2], v[6:7]
	s_wait_loadcnt 0x0
	s_delay_alu instid0(VALU_DEP_2) | instskip(NEXT) | instid1(VALU_DEP_2)
	v_add_f64_e64 v[3:4], v[20:21], -v[3:4]
	v_add_f64_e64 v[1:2], v[18:19], -v[1:2]
	scratch_store_b128 off, v[1:4], off offset:432
	v_cmpx_lt_u32_e32 25, v0
	s_cbranch_execz .LBB60_341
; %bb.340:
	scratch_load_b128 v[1:4], off, s47
	v_mov_b32_e32 v5, 0
	s_delay_alu instid0(VALU_DEP_1)
	v_dual_mov_b32 v6, v5 :: v_dual_mov_b32 v7, v5
	v_mov_b32_e32 v8, v5
	scratch_store_b128 off, v[5:8], off offset:416
	s_wait_loadcnt 0x0
	ds_store_b128 v164, v[1:4]
.LBB60_341:
	s_wait_alu 0xfffe
	s_or_b32 exec_lo, exec_lo, s0
	s_wait_storecnt_dscnt 0x0
	s_barrier_signal -1
	s_barrier_wait -1
	global_inv scope:SCOPE_SE
	s_clause 0x7
	scratch_load_b128 v[2:5], off, off offset:432
	scratch_load_b128 v[6:9], off, off offset:448
	;; [unrolled: 1-line block ×8, first 2 shown]
	v_mov_b32_e32 v1, 0
	s_clause 0x1
	scratch_load_b128 v[34:37], off, off offset:560
	scratch_load_b128 v[169:172], off, off offset:576
	s_mov_b32 s0, exec_lo
	ds_load_b128 v[38:41], v1 offset:1392
	ds_load_b128 v[165:168], v1 offset:1408
	s_wait_loadcnt_dscnt 0x901
	v_mul_f64_e32 v[173:174], v[40:41], v[4:5]
	v_mul_f64_e32 v[4:5], v[38:39], v[4:5]
	s_wait_loadcnt_dscnt 0x800
	v_mul_f64_e32 v[175:176], v[165:166], v[8:9]
	v_mul_f64_e32 v[8:9], v[167:168], v[8:9]
	s_delay_alu instid0(VALU_DEP_4) | instskip(NEXT) | instid1(VALU_DEP_4)
	v_fma_f64 v[173:174], v[38:39], v[2:3], -v[173:174]
	v_fma_f64 v[177:178], v[40:41], v[2:3], v[4:5]
	ds_load_b128 v[2:5], v1 offset:1424
	scratch_load_b128 v[38:41], off, off offset:592
	v_fma_f64 v[175:176], v[167:168], v[6:7], v[175:176]
	v_fma_f64 v[181:182], v[165:166], v[6:7], -v[8:9]
	ds_load_b128 v[6:9], v1 offset:1440
	scratch_load_b128 v[165:168], off, off offset:608
	s_wait_loadcnt_dscnt 0x901
	v_mul_f64_e32 v[179:180], v[2:3], v[12:13]
	v_mul_f64_e32 v[12:13], v[4:5], v[12:13]
	s_wait_loadcnt_dscnt 0x800
	v_mul_f64_e32 v[183:184], v[6:7], v[16:17]
	v_mul_f64_e32 v[16:17], v[8:9], v[16:17]
	v_add_f64_e32 v[173:174], 0, v[173:174]
	v_add_f64_e32 v[177:178], 0, v[177:178]
	v_fma_f64 v[179:180], v[4:5], v[10:11], v[179:180]
	v_fma_f64 v[185:186], v[2:3], v[10:11], -v[12:13]
	ds_load_b128 v[2:5], v1 offset:1456
	scratch_load_b128 v[10:13], off, off offset:624
	v_add_f64_e32 v[173:174], v[173:174], v[181:182]
	v_add_f64_e32 v[175:176], v[177:178], v[175:176]
	v_fma_f64 v[181:182], v[8:9], v[14:15], v[183:184]
	v_fma_f64 v[183:184], v[6:7], v[14:15], -v[16:17]
	ds_load_b128 v[6:9], v1 offset:1472
	scratch_load_b128 v[14:17], off, off offset:640
	s_wait_loadcnt_dscnt 0x901
	v_mul_f64_e32 v[177:178], v[2:3], v[20:21]
	v_mul_f64_e32 v[20:21], v[4:5], v[20:21]
	v_add_f64_e32 v[173:174], v[173:174], v[185:186]
	v_add_f64_e32 v[175:176], v[175:176], v[179:180]
	s_wait_loadcnt_dscnt 0x800
	v_mul_f64_e32 v[179:180], v[6:7], v[24:25]
	v_mul_f64_e32 v[24:25], v[8:9], v[24:25]
	v_fma_f64 v[177:178], v[4:5], v[18:19], v[177:178]
	v_fma_f64 v[185:186], v[2:3], v[18:19], -v[20:21]
	ds_load_b128 v[2:5], v1 offset:1488
	scratch_load_b128 v[18:21], off, off offset:656
	v_add_f64_e32 v[173:174], v[173:174], v[183:184]
	v_add_f64_e32 v[175:176], v[175:176], v[181:182]
	v_fma_f64 v[179:180], v[8:9], v[22:23], v[179:180]
	v_fma_f64 v[183:184], v[6:7], v[22:23], -v[24:25]
	ds_load_b128 v[6:9], v1 offset:1504
	s_wait_loadcnt_dscnt 0x801
	v_mul_f64_e32 v[181:182], v[2:3], v[28:29]
	v_mul_f64_e32 v[28:29], v[4:5], v[28:29]
	scratch_load_b128 v[22:25], off, off offset:672
	v_add_f64_e32 v[173:174], v[173:174], v[185:186]
	v_add_f64_e32 v[175:176], v[175:176], v[177:178]
	s_wait_loadcnt_dscnt 0x800
	v_mul_f64_e32 v[177:178], v[6:7], v[32:33]
	v_mul_f64_e32 v[32:33], v[8:9], v[32:33]
	v_fma_f64 v[181:182], v[4:5], v[26:27], v[181:182]
	v_fma_f64 v[185:186], v[2:3], v[26:27], -v[28:29]
	ds_load_b128 v[2:5], v1 offset:1520
	scratch_load_b128 v[26:29], off, off offset:688
	v_add_f64_e32 v[173:174], v[173:174], v[183:184]
	v_add_f64_e32 v[175:176], v[175:176], v[179:180]
	v_fma_f64 v[177:178], v[8:9], v[30:31], v[177:178]
	v_fma_f64 v[183:184], v[6:7], v[30:31], -v[32:33]
	ds_load_b128 v[6:9], v1 offset:1536
	s_wait_loadcnt_dscnt 0x801
	v_mul_f64_e32 v[179:180], v[2:3], v[36:37]
	v_mul_f64_e32 v[36:37], v[4:5], v[36:37]
	scratch_load_b128 v[30:33], off, off offset:704
	v_add_f64_e32 v[173:174], v[173:174], v[185:186]
	v_add_f64_e32 v[175:176], v[175:176], v[181:182]
	s_wait_loadcnt_dscnt 0x800
	v_mul_f64_e32 v[181:182], v[6:7], v[171:172]
	v_mul_f64_e32 v[171:172], v[8:9], v[171:172]
	v_fma_f64 v[179:180], v[4:5], v[34:35], v[179:180]
	v_fma_f64 v[185:186], v[2:3], v[34:35], -v[36:37]
	ds_load_b128 v[2:5], v1 offset:1552
	scratch_load_b128 v[34:37], off, off offset:720
	v_add_f64_e32 v[173:174], v[173:174], v[183:184]
	v_add_f64_e32 v[175:176], v[175:176], v[177:178]
	v_fma_f64 v[181:182], v[8:9], v[169:170], v[181:182]
	v_fma_f64 v[183:184], v[6:7], v[169:170], -v[171:172]
	ds_load_b128 v[6:9], v1 offset:1568
	scratch_load_b128 v[169:172], off, off offset:736
	s_wait_loadcnt_dscnt 0x901
	v_mul_f64_e32 v[177:178], v[2:3], v[40:41]
	v_mul_f64_e32 v[40:41], v[4:5], v[40:41]
	v_add_f64_e32 v[173:174], v[173:174], v[185:186]
	v_add_f64_e32 v[175:176], v[175:176], v[179:180]
	s_wait_loadcnt_dscnt 0x800
	v_mul_f64_e32 v[179:180], v[6:7], v[167:168]
	v_mul_f64_e32 v[167:168], v[8:9], v[167:168]
	v_fma_f64 v[177:178], v[4:5], v[38:39], v[177:178]
	v_fma_f64 v[185:186], v[2:3], v[38:39], -v[40:41]
	ds_load_b128 v[2:5], v1 offset:1584
	scratch_load_b128 v[38:41], off, off offset:752
	v_add_f64_e32 v[173:174], v[173:174], v[183:184]
	v_add_f64_e32 v[175:176], v[175:176], v[181:182]
	v_fma_f64 v[179:180], v[8:9], v[165:166], v[179:180]
	v_fma_f64 v[183:184], v[6:7], v[165:166], -v[167:168]
	ds_load_b128 v[6:9], v1 offset:1600
	s_wait_loadcnt_dscnt 0x801
	v_mul_f64_e32 v[181:182], v[2:3], v[12:13]
	v_mul_f64_e32 v[12:13], v[4:5], v[12:13]
	scratch_load_b128 v[165:168], off, off offset:768
	v_add_f64_e32 v[173:174], v[173:174], v[185:186]
	v_add_f64_e32 v[175:176], v[175:176], v[177:178]
	s_wait_loadcnt_dscnt 0x800
	v_mul_f64_e32 v[177:178], v[6:7], v[16:17]
	v_mul_f64_e32 v[16:17], v[8:9], v[16:17]
	v_fma_f64 v[181:182], v[4:5], v[10:11], v[181:182]
	v_fma_f64 v[185:186], v[2:3], v[10:11], -v[12:13]
	ds_load_b128 v[2:5], v1 offset:1616
	scratch_load_b128 v[10:13], off, off offset:784
	v_add_f64_e32 v[173:174], v[173:174], v[183:184]
	v_add_f64_e32 v[175:176], v[175:176], v[179:180]
	v_fma_f64 v[177:178], v[8:9], v[14:15], v[177:178]
	v_fma_f64 v[183:184], v[6:7], v[14:15], -v[16:17]
	ds_load_b128 v[6:9], v1 offset:1632
	s_wait_loadcnt_dscnt 0x801
	v_mul_f64_e32 v[179:180], v[2:3], v[20:21]
	v_mul_f64_e32 v[20:21], v[4:5], v[20:21]
	scratch_load_b128 v[14:17], off, off offset:800
	;; [unrolled: 18-line block ×7, first 2 shown]
	v_add_f64_e32 v[173:174], v[173:174], v[185:186]
	v_add_f64_e32 v[175:176], v[175:176], v[177:178]
	s_wait_loadcnt_dscnt 0x800
	v_mul_f64_e32 v[177:178], v[6:7], v[24:25]
	v_mul_f64_e32 v[24:25], v[8:9], v[24:25]
	v_fma_f64 v[181:182], v[4:5], v[18:19], v[181:182]
	v_fma_f64 v[185:186], v[2:3], v[18:19], -v[20:21]
	ds_load_b128 v[2:5], v1 offset:1808
	scratch_load_b128 v[18:21], off, off offset:976
	v_add_f64_e32 v[173:174], v[173:174], v[183:184]
	v_add_f64_e32 v[175:176], v[175:176], v[179:180]
	v_fma_f64 v[177:178], v[8:9], v[22:23], v[177:178]
	v_fma_f64 v[22:23], v[6:7], v[22:23], -v[24:25]
	ds_load_b128 v[6:9], v1 offset:1824
	s_wait_loadcnt_dscnt 0x801
	v_mul_f64_e32 v[179:180], v[2:3], v[28:29]
	v_mul_f64_e32 v[28:29], v[4:5], v[28:29]
	v_add_f64_e32 v[24:25], v[173:174], v[185:186]
	v_add_f64_e32 v[173:174], v[175:176], v[181:182]
	s_wait_loadcnt_dscnt 0x700
	v_mul_f64_e32 v[175:176], v[6:7], v[32:33]
	v_mul_f64_e32 v[32:33], v[8:9], v[32:33]
	v_fma_f64 v[179:180], v[4:5], v[26:27], v[179:180]
	v_fma_f64 v[26:27], v[2:3], v[26:27], -v[28:29]
	ds_load_b128 v[2:5], v1 offset:1840
	v_add_f64_e32 v[22:23], v[24:25], v[22:23]
	v_add_f64_e32 v[24:25], v[173:174], v[177:178]
	v_fma_f64 v[173:174], v[8:9], v[30:31], v[175:176]
	v_fma_f64 v[30:31], v[6:7], v[30:31], -v[32:33]
	ds_load_b128 v[6:9], v1 offset:1856
	s_wait_loadcnt_dscnt 0x500
	v_mul_f64_e32 v[175:176], v[6:7], v[171:172]
	v_mul_f64_e32 v[171:172], v[8:9], v[171:172]
	v_add_f64_e32 v[26:27], v[22:23], v[26:27]
	v_add_f64_e32 v[32:33], v[24:25], v[179:180]
	scratch_load_b128 v[22:25], off, off offset:416
	v_mul_f64_e32 v[28:29], v[2:3], v[36:37]
	v_mul_f64_e32 v[36:37], v[4:5], v[36:37]
	v_add_f64_e32 v[26:27], v[26:27], v[30:31]
	v_add_f64_e32 v[30:31], v[32:33], v[173:174]
	s_delay_alu instid0(VALU_DEP_4) | instskip(NEXT) | instid1(VALU_DEP_4)
	v_fma_f64 v[28:29], v[4:5], v[34:35], v[28:29]
	v_fma_f64 v[34:35], v[2:3], v[34:35], -v[36:37]
	ds_load_b128 v[2:5], v1 offset:1872
	s_wait_loadcnt_dscnt 0x500
	v_mul_f64_e32 v[32:33], v[2:3], v[40:41]
	v_mul_f64_e32 v[36:37], v[4:5], v[40:41]
	v_fma_f64 v[40:41], v[8:9], v[169:170], v[175:176]
	v_fma_f64 v[169:170], v[6:7], v[169:170], -v[171:172]
	ds_load_b128 v[6:9], v1 offset:1888
	v_add_f64_e32 v[28:29], v[30:31], v[28:29]
	v_add_f64_e32 v[26:27], v[26:27], v[34:35]
	v_fma_f64 v[32:33], v[4:5], v[38:39], v[32:33]
	v_fma_f64 v[36:37], v[2:3], v[38:39], -v[36:37]
	ds_load_b128 v[2:5], v1 offset:1904
	s_wait_loadcnt_dscnt 0x401
	v_mul_f64_e32 v[30:31], v[6:7], v[167:168]
	v_mul_f64_e32 v[34:35], v[8:9], v[167:168]
	v_add_f64_e32 v[28:29], v[28:29], v[40:41]
	v_add_f64_e32 v[26:27], v[26:27], v[169:170]
	s_wait_loadcnt_dscnt 0x300
	v_mul_f64_e32 v[38:39], v[2:3], v[12:13]
	v_mul_f64_e32 v[12:13], v[4:5], v[12:13]
	v_fma_f64 v[30:31], v[8:9], v[165:166], v[30:31]
	v_fma_f64 v[34:35], v[6:7], v[165:166], -v[34:35]
	ds_load_b128 v[6:9], v1 offset:1920
	v_add_f64_e32 v[28:29], v[28:29], v[32:33]
	v_add_f64_e32 v[26:27], v[26:27], v[36:37]
	v_fma_f64 v[36:37], v[4:5], v[10:11], v[38:39]
	v_fma_f64 v[10:11], v[2:3], v[10:11], -v[12:13]
	ds_load_b128 v[2:5], v1 offset:1936
	s_wait_loadcnt_dscnt 0x201
	v_mul_f64_e32 v[32:33], v[6:7], v[16:17]
	v_mul_f64_e32 v[16:17], v[8:9], v[16:17]
	v_add_f64_e32 v[12:13], v[26:27], v[34:35]
	v_add_f64_e32 v[26:27], v[28:29], v[30:31]
	s_wait_loadcnt_dscnt 0x100
	v_mul_f64_e32 v[28:29], v[2:3], v[20:21]
	v_mul_f64_e32 v[20:21], v[4:5], v[20:21]
	v_fma_f64 v[8:9], v[8:9], v[14:15], v[32:33]
	v_fma_f64 v[6:7], v[6:7], v[14:15], -v[16:17]
	v_add_f64_e32 v[10:11], v[12:13], v[10:11]
	v_add_f64_e32 v[12:13], v[26:27], v[36:37]
	v_fma_f64 v[4:5], v[4:5], v[18:19], v[28:29]
	v_fma_f64 v[2:3], v[2:3], v[18:19], -v[20:21]
	s_delay_alu instid0(VALU_DEP_4) | instskip(NEXT) | instid1(VALU_DEP_4)
	v_add_f64_e32 v[6:7], v[10:11], v[6:7]
	v_add_f64_e32 v[8:9], v[12:13], v[8:9]
	s_delay_alu instid0(VALU_DEP_2) | instskip(NEXT) | instid1(VALU_DEP_2)
	v_add_f64_e32 v[2:3], v[6:7], v[2:3]
	v_add_f64_e32 v[4:5], v[8:9], v[4:5]
	s_wait_loadcnt 0x0
	s_delay_alu instid0(VALU_DEP_2) | instskip(NEXT) | instid1(VALU_DEP_2)
	v_add_f64_e64 v[2:3], v[22:23], -v[2:3]
	v_add_f64_e64 v[4:5], v[24:25], -v[4:5]
	scratch_store_b128 off, v[2:5], off offset:416
	v_cmpx_lt_u32_e32 24, v0
	s_cbranch_execz .LBB60_343
; %bb.342:
	scratch_load_b128 v[5:8], off, s49
	v_dual_mov_b32 v2, v1 :: v_dual_mov_b32 v3, v1
	v_mov_b32_e32 v4, v1
	scratch_store_b128 off, v[1:4], off offset:400
	s_wait_loadcnt 0x0
	ds_store_b128 v164, v[5:8]
.LBB60_343:
	s_wait_alu 0xfffe
	s_or_b32 exec_lo, exec_lo, s0
	s_wait_storecnt_dscnt 0x0
	s_barrier_signal -1
	s_barrier_wait -1
	global_inv scope:SCOPE_SE
	s_clause 0x7
	scratch_load_b128 v[2:5], off, off offset:416
	scratch_load_b128 v[6:9], off, off offset:432
	;; [unrolled: 1-line block ×8, first 2 shown]
	ds_load_b128 v[38:41], v1 offset:1376
	ds_load_b128 v[165:168], v1 offset:1392
	s_clause 0x1
	scratch_load_b128 v[34:37], off, off offset:544
	scratch_load_b128 v[169:172], off, off offset:560
	s_mov_b32 s0, exec_lo
	s_wait_loadcnt_dscnt 0x901
	v_mul_f64_e32 v[173:174], v[40:41], v[4:5]
	v_mul_f64_e32 v[4:5], v[38:39], v[4:5]
	s_wait_loadcnt_dscnt 0x800
	v_mul_f64_e32 v[175:176], v[165:166], v[8:9]
	v_mul_f64_e32 v[8:9], v[167:168], v[8:9]
	s_delay_alu instid0(VALU_DEP_4) | instskip(NEXT) | instid1(VALU_DEP_4)
	v_fma_f64 v[173:174], v[38:39], v[2:3], -v[173:174]
	v_fma_f64 v[177:178], v[40:41], v[2:3], v[4:5]
	ds_load_b128 v[2:5], v1 offset:1408
	scratch_load_b128 v[38:41], off, off offset:576
	v_fma_f64 v[175:176], v[167:168], v[6:7], v[175:176]
	v_fma_f64 v[181:182], v[165:166], v[6:7], -v[8:9]
	ds_load_b128 v[6:9], v1 offset:1424
	scratch_load_b128 v[165:168], off, off offset:592
	s_wait_loadcnt_dscnt 0x901
	v_mul_f64_e32 v[179:180], v[2:3], v[12:13]
	v_mul_f64_e32 v[12:13], v[4:5], v[12:13]
	s_wait_loadcnt_dscnt 0x800
	v_mul_f64_e32 v[183:184], v[6:7], v[16:17]
	v_mul_f64_e32 v[16:17], v[8:9], v[16:17]
	v_add_f64_e32 v[173:174], 0, v[173:174]
	v_add_f64_e32 v[177:178], 0, v[177:178]
	v_fma_f64 v[179:180], v[4:5], v[10:11], v[179:180]
	v_fma_f64 v[185:186], v[2:3], v[10:11], -v[12:13]
	ds_load_b128 v[2:5], v1 offset:1440
	scratch_load_b128 v[10:13], off, off offset:608
	v_add_f64_e32 v[173:174], v[173:174], v[181:182]
	v_add_f64_e32 v[175:176], v[177:178], v[175:176]
	v_fma_f64 v[181:182], v[8:9], v[14:15], v[183:184]
	v_fma_f64 v[183:184], v[6:7], v[14:15], -v[16:17]
	ds_load_b128 v[6:9], v1 offset:1456
	scratch_load_b128 v[14:17], off, off offset:624
	s_wait_loadcnt_dscnt 0x901
	v_mul_f64_e32 v[177:178], v[2:3], v[20:21]
	v_mul_f64_e32 v[20:21], v[4:5], v[20:21]
	v_add_f64_e32 v[173:174], v[173:174], v[185:186]
	v_add_f64_e32 v[175:176], v[175:176], v[179:180]
	s_wait_loadcnt_dscnt 0x800
	v_mul_f64_e32 v[179:180], v[6:7], v[24:25]
	v_mul_f64_e32 v[24:25], v[8:9], v[24:25]
	v_fma_f64 v[177:178], v[4:5], v[18:19], v[177:178]
	v_fma_f64 v[185:186], v[2:3], v[18:19], -v[20:21]
	ds_load_b128 v[2:5], v1 offset:1472
	scratch_load_b128 v[18:21], off, off offset:640
	v_add_f64_e32 v[173:174], v[173:174], v[183:184]
	v_add_f64_e32 v[175:176], v[175:176], v[181:182]
	v_fma_f64 v[179:180], v[8:9], v[22:23], v[179:180]
	v_fma_f64 v[183:184], v[6:7], v[22:23], -v[24:25]
	ds_load_b128 v[6:9], v1 offset:1488
	s_wait_loadcnt_dscnt 0x801
	v_mul_f64_e32 v[181:182], v[2:3], v[28:29]
	v_mul_f64_e32 v[28:29], v[4:5], v[28:29]
	scratch_load_b128 v[22:25], off, off offset:656
	v_add_f64_e32 v[173:174], v[173:174], v[185:186]
	v_add_f64_e32 v[175:176], v[175:176], v[177:178]
	s_wait_loadcnt_dscnt 0x800
	v_mul_f64_e32 v[177:178], v[6:7], v[32:33]
	v_mul_f64_e32 v[32:33], v[8:9], v[32:33]
	v_fma_f64 v[181:182], v[4:5], v[26:27], v[181:182]
	v_fma_f64 v[185:186], v[2:3], v[26:27], -v[28:29]
	ds_load_b128 v[2:5], v1 offset:1504
	scratch_load_b128 v[26:29], off, off offset:672
	v_add_f64_e32 v[173:174], v[173:174], v[183:184]
	v_add_f64_e32 v[175:176], v[175:176], v[179:180]
	v_fma_f64 v[177:178], v[8:9], v[30:31], v[177:178]
	v_fma_f64 v[183:184], v[6:7], v[30:31], -v[32:33]
	ds_load_b128 v[6:9], v1 offset:1520
	s_wait_loadcnt_dscnt 0x801
	v_mul_f64_e32 v[179:180], v[2:3], v[36:37]
	v_mul_f64_e32 v[36:37], v[4:5], v[36:37]
	scratch_load_b128 v[30:33], off, off offset:688
	v_add_f64_e32 v[173:174], v[173:174], v[185:186]
	v_add_f64_e32 v[175:176], v[175:176], v[181:182]
	s_wait_loadcnt_dscnt 0x800
	v_mul_f64_e32 v[181:182], v[6:7], v[171:172]
	v_mul_f64_e32 v[171:172], v[8:9], v[171:172]
	v_fma_f64 v[179:180], v[4:5], v[34:35], v[179:180]
	v_fma_f64 v[185:186], v[2:3], v[34:35], -v[36:37]
	ds_load_b128 v[2:5], v1 offset:1536
	scratch_load_b128 v[34:37], off, off offset:704
	v_add_f64_e32 v[173:174], v[173:174], v[183:184]
	v_add_f64_e32 v[175:176], v[175:176], v[177:178]
	v_fma_f64 v[181:182], v[8:9], v[169:170], v[181:182]
	v_fma_f64 v[183:184], v[6:7], v[169:170], -v[171:172]
	ds_load_b128 v[6:9], v1 offset:1552
	scratch_load_b128 v[169:172], off, off offset:720
	s_wait_loadcnt_dscnt 0x901
	v_mul_f64_e32 v[177:178], v[2:3], v[40:41]
	v_mul_f64_e32 v[40:41], v[4:5], v[40:41]
	v_add_f64_e32 v[173:174], v[173:174], v[185:186]
	v_add_f64_e32 v[175:176], v[175:176], v[179:180]
	s_wait_loadcnt_dscnt 0x800
	v_mul_f64_e32 v[179:180], v[6:7], v[167:168]
	v_mul_f64_e32 v[167:168], v[8:9], v[167:168]
	v_fma_f64 v[177:178], v[4:5], v[38:39], v[177:178]
	v_fma_f64 v[185:186], v[2:3], v[38:39], -v[40:41]
	ds_load_b128 v[2:5], v1 offset:1568
	scratch_load_b128 v[38:41], off, off offset:736
	v_add_f64_e32 v[173:174], v[173:174], v[183:184]
	v_add_f64_e32 v[175:176], v[175:176], v[181:182]
	v_fma_f64 v[179:180], v[8:9], v[165:166], v[179:180]
	v_fma_f64 v[183:184], v[6:7], v[165:166], -v[167:168]
	ds_load_b128 v[6:9], v1 offset:1584
	s_wait_loadcnt_dscnt 0x801
	v_mul_f64_e32 v[181:182], v[2:3], v[12:13]
	v_mul_f64_e32 v[12:13], v[4:5], v[12:13]
	scratch_load_b128 v[165:168], off, off offset:752
	v_add_f64_e32 v[173:174], v[173:174], v[185:186]
	v_add_f64_e32 v[175:176], v[175:176], v[177:178]
	s_wait_loadcnt_dscnt 0x800
	v_mul_f64_e32 v[177:178], v[6:7], v[16:17]
	v_mul_f64_e32 v[16:17], v[8:9], v[16:17]
	v_fma_f64 v[181:182], v[4:5], v[10:11], v[181:182]
	v_fma_f64 v[185:186], v[2:3], v[10:11], -v[12:13]
	ds_load_b128 v[2:5], v1 offset:1600
	scratch_load_b128 v[10:13], off, off offset:768
	v_add_f64_e32 v[173:174], v[173:174], v[183:184]
	v_add_f64_e32 v[175:176], v[175:176], v[179:180]
	v_fma_f64 v[177:178], v[8:9], v[14:15], v[177:178]
	v_fma_f64 v[183:184], v[6:7], v[14:15], -v[16:17]
	ds_load_b128 v[6:9], v1 offset:1616
	s_wait_loadcnt_dscnt 0x801
	v_mul_f64_e32 v[179:180], v[2:3], v[20:21]
	v_mul_f64_e32 v[20:21], v[4:5], v[20:21]
	scratch_load_b128 v[14:17], off, off offset:784
	;; [unrolled: 18-line block ×8, first 2 shown]
	v_add_f64_e32 v[173:174], v[173:174], v[185:186]
	v_add_f64_e32 v[175:176], v[175:176], v[181:182]
	s_wait_loadcnt_dscnt 0x800
	v_mul_f64_e32 v[181:182], v[6:7], v[32:33]
	v_mul_f64_e32 v[32:33], v[8:9], v[32:33]
	v_fma_f64 v[179:180], v[4:5], v[26:27], v[179:180]
	v_fma_f64 v[26:27], v[2:3], v[26:27], -v[28:29]
	ds_load_b128 v[2:5], v1 offset:1824
	v_add_f64_e32 v[28:29], v[173:174], v[183:184]
	v_add_f64_e32 v[173:174], v[175:176], v[177:178]
	v_fma_f64 v[177:178], v[8:9], v[30:31], v[181:182]
	v_fma_f64 v[30:31], v[6:7], v[30:31], -v[32:33]
	ds_load_b128 v[6:9], v1 offset:1840
	s_wait_loadcnt_dscnt 0x701
	v_mul_f64_e32 v[175:176], v[2:3], v[36:37]
	v_mul_f64_e32 v[36:37], v[4:5], v[36:37]
	v_add_f64_e32 v[26:27], v[28:29], v[26:27]
	v_add_f64_e32 v[28:29], v[173:174], v[179:180]
	s_delay_alu instid0(VALU_DEP_4) | instskip(NEXT) | instid1(VALU_DEP_4)
	v_fma_f64 v[173:174], v[4:5], v[34:35], v[175:176]
	v_fma_f64 v[34:35], v[2:3], v[34:35], -v[36:37]
	ds_load_b128 v[2:5], v1 offset:1856
	v_add_f64_e32 v[30:31], v[26:27], v[30:31]
	v_add_f64_e32 v[36:37], v[28:29], v[177:178]
	scratch_load_b128 v[26:29], off, off offset:400
	s_wait_loadcnt_dscnt 0x701
	v_mul_f64_e32 v[32:33], v[6:7], v[171:172]
	v_mul_f64_e32 v[171:172], v[8:9], v[171:172]
	v_add_f64_e32 v[30:31], v[30:31], v[34:35]
	v_add_f64_e32 v[34:35], v[36:37], v[173:174]
	s_delay_alu instid0(VALU_DEP_4) | instskip(NEXT) | instid1(VALU_DEP_4)
	v_fma_f64 v[32:33], v[8:9], v[169:170], v[32:33]
	v_fma_f64 v[169:170], v[6:7], v[169:170], -v[171:172]
	ds_load_b128 v[6:9], v1 offset:1872
	s_wait_loadcnt_dscnt 0x601
	v_mul_f64_e32 v[175:176], v[2:3], v[40:41]
	v_mul_f64_e32 v[40:41], v[4:5], v[40:41]
	s_wait_loadcnt_dscnt 0x500
	v_mul_f64_e32 v[36:37], v[6:7], v[167:168]
	v_mul_f64_e32 v[167:168], v[8:9], v[167:168]
	v_add_f64_e32 v[32:33], v[34:35], v[32:33]
	v_add_f64_e32 v[30:31], v[30:31], v[169:170]
	v_fma_f64 v[171:172], v[4:5], v[38:39], v[175:176]
	v_fma_f64 v[38:39], v[2:3], v[38:39], -v[40:41]
	ds_load_b128 v[2:5], v1 offset:1888
	v_fma_f64 v[36:37], v[8:9], v[165:166], v[36:37]
	v_fma_f64 v[40:41], v[6:7], v[165:166], -v[167:168]
	ds_load_b128 v[6:9], v1 offset:1904
	s_wait_loadcnt_dscnt 0x401
	v_mul_f64_e32 v[34:35], v[2:3], v[12:13]
	v_mul_f64_e32 v[12:13], v[4:5], v[12:13]
	v_add_f64_e32 v[32:33], v[32:33], v[171:172]
	v_add_f64_e32 v[30:31], v[30:31], v[38:39]
	s_wait_loadcnt_dscnt 0x300
	v_mul_f64_e32 v[38:39], v[6:7], v[16:17]
	v_mul_f64_e32 v[16:17], v[8:9], v[16:17]
	v_fma_f64 v[34:35], v[4:5], v[10:11], v[34:35]
	v_fma_f64 v[10:11], v[2:3], v[10:11], -v[12:13]
	ds_load_b128 v[2:5], v1 offset:1920
	v_add_f64_e32 v[12:13], v[30:31], v[40:41]
	v_add_f64_e32 v[30:31], v[32:33], v[36:37]
	v_fma_f64 v[36:37], v[8:9], v[14:15], v[38:39]
	v_fma_f64 v[14:15], v[6:7], v[14:15], -v[16:17]
	ds_load_b128 v[6:9], v1 offset:1936
	s_wait_loadcnt_dscnt 0x201
	v_mul_f64_e32 v[32:33], v[2:3], v[20:21]
	v_mul_f64_e32 v[20:21], v[4:5], v[20:21]
	s_wait_loadcnt_dscnt 0x100
	v_mul_f64_e32 v[16:17], v[6:7], v[24:25]
	v_mul_f64_e32 v[24:25], v[8:9], v[24:25]
	v_add_f64_e32 v[10:11], v[12:13], v[10:11]
	v_add_f64_e32 v[12:13], v[30:31], v[34:35]
	v_fma_f64 v[4:5], v[4:5], v[18:19], v[32:33]
	v_fma_f64 v[1:2], v[2:3], v[18:19], -v[20:21]
	v_fma_f64 v[8:9], v[8:9], v[22:23], v[16:17]
	v_fma_f64 v[6:7], v[6:7], v[22:23], -v[24:25]
	v_add_f64_e32 v[10:11], v[10:11], v[14:15]
	v_add_f64_e32 v[12:13], v[12:13], v[36:37]
	s_delay_alu instid0(VALU_DEP_2) | instskip(NEXT) | instid1(VALU_DEP_2)
	v_add_f64_e32 v[1:2], v[10:11], v[1:2]
	v_add_f64_e32 v[3:4], v[12:13], v[4:5]
	s_delay_alu instid0(VALU_DEP_2) | instskip(NEXT) | instid1(VALU_DEP_2)
	v_add_f64_e32 v[1:2], v[1:2], v[6:7]
	v_add_f64_e32 v[3:4], v[3:4], v[8:9]
	s_wait_loadcnt 0x0
	s_delay_alu instid0(VALU_DEP_2) | instskip(NEXT) | instid1(VALU_DEP_2)
	v_add_f64_e64 v[1:2], v[26:27], -v[1:2]
	v_add_f64_e64 v[3:4], v[28:29], -v[3:4]
	scratch_store_b128 off, v[1:4], off offset:400
	v_cmpx_lt_u32_e32 23, v0
	s_cbranch_execz .LBB60_345
; %bb.344:
	scratch_load_b128 v[1:4], off, s48
	v_mov_b32_e32 v5, 0
	s_delay_alu instid0(VALU_DEP_1)
	v_dual_mov_b32 v6, v5 :: v_dual_mov_b32 v7, v5
	v_mov_b32_e32 v8, v5
	scratch_store_b128 off, v[5:8], off offset:384
	s_wait_loadcnt 0x0
	ds_store_b128 v164, v[1:4]
.LBB60_345:
	s_wait_alu 0xfffe
	s_or_b32 exec_lo, exec_lo, s0
	s_wait_storecnt_dscnt 0x0
	s_barrier_signal -1
	s_barrier_wait -1
	global_inv scope:SCOPE_SE
	s_clause 0x7
	scratch_load_b128 v[2:5], off, off offset:400
	scratch_load_b128 v[6:9], off, off offset:416
	;; [unrolled: 1-line block ×8, first 2 shown]
	v_mov_b32_e32 v1, 0
	s_clause 0x1
	scratch_load_b128 v[34:37], off, off offset:528
	scratch_load_b128 v[169:172], off, off offset:544
	s_mov_b32 s0, exec_lo
	ds_load_b128 v[38:41], v1 offset:1360
	ds_load_b128 v[165:168], v1 offset:1376
	s_wait_loadcnt_dscnt 0x901
	v_mul_f64_e32 v[173:174], v[40:41], v[4:5]
	v_mul_f64_e32 v[4:5], v[38:39], v[4:5]
	s_wait_loadcnt_dscnt 0x800
	v_mul_f64_e32 v[175:176], v[165:166], v[8:9]
	v_mul_f64_e32 v[8:9], v[167:168], v[8:9]
	s_delay_alu instid0(VALU_DEP_4) | instskip(NEXT) | instid1(VALU_DEP_4)
	v_fma_f64 v[173:174], v[38:39], v[2:3], -v[173:174]
	v_fma_f64 v[177:178], v[40:41], v[2:3], v[4:5]
	ds_load_b128 v[2:5], v1 offset:1392
	scratch_load_b128 v[38:41], off, off offset:560
	v_fma_f64 v[175:176], v[167:168], v[6:7], v[175:176]
	v_fma_f64 v[181:182], v[165:166], v[6:7], -v[8:9]
	ds_load_b128 v[6:9], v1 offset:1408
	scratch_load_b128 v[165:168], off, off offset:576
	s_wait_loadcnt_dscnt 0x901
	v_mul_f64_e32 v[179:180], v[2:3], v[12:13]
	v_mul_f64_e32 v[12:13], v[4:5], v[12:13]
	s_wait_loadcnt_dscnt 0x800
	v_mul_f64_e32 v[183:184], v[6:7], v[16:17]
	v_mul_f64_e32 v[16:17], v[8:9], v[16:17]
	v_add_f64_e32 v[173:174], 0, v[173:174]
	v_add_f64_e32 v[177:178], 0, v[177:178]
	v_fma_f64 v[179:180], v[4:5], v[10:11], v[179:180]
	v_fma_f64 v[185:186], v[2:3], v[10:11], -v[12:13]
	ds_load_b128 v[2:5], v1 offset:1424
	scratch_load_b128 v[10:13], off, off offset:592
	v_add_f64_e32 v[173:174], v[173:174], v[181:182]
	v_add_f64_e32 v[175:176], v[177:178], v[175:176]
	v_fma_f64 v[181:182], v[8:9], v[14:15], v[183:184]
	v_fma_f64 v[183:184], v[6:7], v[14:15], -v[16:17]
	ds_load_b128 v[6:9], v1 offset:1440
	scratch_load_b128 v[14:17], off, off offset:608
	s_wait_loadcnt_dscnt 0x901
	v_mul_f64_e32 v[177:178], v[2:3], v[20:21]
	v_mul_f64_e32 v[20:21], v[4:5], v[20:21]
	v_add_f64_e32 v[173:174], v[173:174], v[185:186]
	v_add_f64_e32 v[175:176], v[175:176], v[179:180]
	s_wait_loadcnt_dscnt 0x800
	v_mul_f64_e32 v[179:180], v[6:7], v[24:25]
	v_mul_f64_e32 v[24:25], v[8:9], v[24:25]
	v_fma_f64 v[177:178], v[4:5], v[18:19], v[177:178]
	v_fma_f64 v[185:186], v[2:3], v[18:19], -v[20:21]
	ds_load_b128 v[2:5], v1 offset:1456
	scratch_load_b128 v[18:21], off, off offset:624
	v_add_f64_e32 v[173:174], v[173:174], v[183:184]
	v_add_f64_e32 v[175:176], v[175:176], v[181:182]
	v_fma_f64 v[179:180], v[8:9], v[22:23], v[179:180]
	v_fma_f64 v[183:184], v[6:7], v[22:23], -v[24:25]
	ds_load_b128 v[6:9], v1 offset:1472
	s_wait_loadcnt_dscnt 0x801
	v_mul_f64_e32 v[181:182], v[2:3], v[28:29]
	v_mul_f64_e32 v[28:29], v[4:5], v[28:29]
	scratch_load_b128 v[22:25], off, off offset:640
	v_add_f64_e32 v[173:174], v[173:174], v[185:186]
	v_add_f64_e32 v[175:176], v[175:176], v[177:178]
	s_wait_loadcnt_dscnt 0x800
	v_mul_f64_e32 v[177:178], v[6:7], v[32:33]
	v_mul_f64_e32 v[32:33], v[8:9], v[32:33]
	v_fma_f64 v[181:182], v[4:5], v[26:27], v[181:182]
	v_fma_f64 v[185:186], v[2:3], v[26:27], -v[28:29]
	ds_load_b128 v[2:5], v1 offset:1488
	scratch_load_b128 v[26:29], off, off offset:656
	v_add_f64_e32 v[173:174], v[173:174], v[183:184]
	v_add_f64_e32 v[175:176], v[175:176], v[179:180]
	v_fma_f64 v[177:178], v[8:9], v[30:31], v[177:178]
	v_fma_f64 v[183:184], v[6:7], v[30:31], -v[32:33]
	ds_load_b128 v[6:9], v1 offset:1504
	s_wait_loadcnt_dscnt 0x801
	v_mul_f64_e32 v[179:180], v[2:3], v[36:37]
	v_mul_f64_e32 v[36:37], v[4:5], v[36:37]
	scratch_load_b128 v[30:33], off, off offset:672
	v_add_f64_e32 v[173:174], v[173:174], v[185:186]
	v_add_f64_e32 v[175:176], v[175:176], v[181:182]
	s_wait_loadcnt_dscnt 0x800
	v_mul_f64_e32 v[181:182], v[6:7], v[171:172]
	v_mul_f64_e32 v[171:172], v[8:9], v[171:172]
	v_fma_f64 v[179:180], v[4:5], v[34:35], v[179:180]
	v_fma_f64 v[185:186], v[2:3], v[34:35], -v[36:37]
	ds_load_b128 v[2:5], v1 offset:1520
	scratch_load_b128 v[34:37], off, off offset:688
	v_add_f64_e32 v[173:174], v[173:174], v[183:184]
	v_add_f64_e32 v[175:176], v[175:176], v[177:178]
	v_fma_f64 v[181:182], v[8:9], v[169:170], v[181:182]
	v_fma_f64 v[183:184], v[6:7], v[169:170], -v[171:172]
	ds_load_b128 v[6:9], v1 offset:1536
	scratch_load_b128 v[169:172], off, off offset:704
	s_wait_loadcnt_dscnt 0x901
	v_mul_f64_e32 v[177:178], v[2:3], v[40:41]
	v_mul_f64_e32 v[40:41], v[4:5], v[40:41]
	v_add_f64_e32 v[173:174], v[173:174], v[185:186]
	v_add_f64_e32 v[175:176], v[175:176], v[179:180]
	s_wait_loadcnt_dscnt 0x800
	v_mul_f64_e32 v[179:180], v[6:7], v[167:168]
	v_mul_f64_e32 v[167:168], v[8:9], v[167:168]
	v_fma_f64 v[177:178], v[4:5], v[38:39], v[177:178]
	v_fma_f64 v[185:186], v[2:3], v[38:39], -v[40:41]
	ds_load_b128 v[2:5], v1 offset:1552
	scratch_load_b128 v[38:41], off, off offset:720
	v_add_f64_e32 v[173:174], v[173:174], v[183:184]
	v_add_f64_e32 v[175:176], v[175:176], v[181:182]
	v_fma_f64 v[179:180], v[8:9], v[165:166], v[179:180]
	v_fma_f64 v[183:184], v[6:7], v[165:166], -v[167:168]
	ds_load_b128 v[6:9], v1 offset:1568
	s_wait_loadcnt_dscnt 0x801
	v_mul_f64_e32 v[181:182], v[2:3], v[12:13]
	v_mul_f64_e32 v[12:13], v[4:5], v[12:13]
	scratch_load_b128 v[165:168], off, off offset:736
	v_add_f64_e32 v[173:174], v[173:174], v[185:186]
	v_add_f64_e32 v[175:176], v[175:176], v[177:178]
	s_wait_loadcnt_dscnt 0x800
	v_mul_f64_e32 v[177:178], v[6:7], v[16:17]
	v_mul_f64_e32 v[16:17], v[8:9], v[16:17]
	v_fma_f64 v[181:182], v[4:5], v[10:11], v[181:182]
	v_fma_f64 v[185:186], v[2:3], v[10:11], -v[12:13]
	ds_load_b128 v[2:5], v1 offset:1584
	scratch_load_b128 v[10:13], off, off offset:752
	v_add_f64_e32 v[173:174], v[173:174], v[183:184]
	v_add_f64_e32 v[175:176], v[175:176], v[179:180]
	v_fma_f64 v[177:178], v[8:9], v[14:15], v[177:178]
	v_fma_f64 v[183:184], v[6:7], v[14:15], -v[16:17]
	ds_load_b128 v[6:9], v1 offset:1600
	s_wait_loadcnt_dscnt 0x801
	v_mul_f64_e32 v[179:180], v[2:3], v[20:21]
	v_mul_f64_e32 v[20:21], v[4:5], v[20:21]
	scratch_load_b128 v[14:17], off, off offset:768
	v_add_f64_e32 v[173:174], v[173:174], v[185:186]
	v_add_f64_e32 v[175:176], v[175:176], v[181:182]
	s_wait_loadcnt_dscnt 0x800
	v_mul_f64_e32 v[181:182], v[6:7], v[24:25]
	v_mul_f64_e32 v[24:25], v[8:9], v[24:25]
	v_fma_f64 v[179:180], v[4:5], v[18:19], v[179:180]
	v_fma_f64 v[185:186], v[2:3], v[18:19], -v[20:21]
	ds_load_b128 v[2:5], v1 offset:1616
	scratch_load_b128 v[18:21], off, off offset:784
	v_add_f64_e32 v[173:174], v[173:174], v[183:184]
	v_add_f64_e32 v[175:176], v[175:176], v[177:178]
	v_fma_f64 v[181:182], v[8:9], v[22:23], v[181:182]
	v_fma_f64 v[183:184], v[6:7], v[22:23], -v[24:25]
	ds_load_b128 v[6:9], v1 offset:1632
	s_wait_loadcnt_dscnt 0x801
	v_mul_f64_e32 v[177:178], v[2:3], v[28:29]
	v_mul_f64_e32 v[28:29], v[4:5], v[28:29]
	scratch_load_b128 v[22:25], off, off offset:800
	v_add_f64_e32 v[173:174], v[173:174], v[185:186]
	v_add_f64_e32 v[175:176], v[175:176], v[179:180]
	s_wait_loadcnt_dscnt 0x800
	v_mul_f64_e32 v[179:180], v[6:7], v[32:33]
	v_mul_f64_e32 v[32:33], v[8:9], v[32:33]
	v_fma_f64 v[177:178], v[4:5], v[26:27], v[177:178]
	v_fma_f64 v[185:186], v[2:3], v[26:27], -v[28:29]
	ds_load_b128 v[2:5], v1 offset:1648
	scratch_load_b128 v[26:29], off, off offset:816
	v_add_f64_e32 v[173:174], v[173:174], v[183:184]
	v_add_f64_e32 v[175:176], v[175:176], v[181:182]
	v_fma_f64 v[179:180], v[8:9], v[30:31], v[179:180]
	v_fma_f64 v[183:184], v[6:7], v[30:31], -v[32:33]
	ds_load_b128 v[6:9], v1 offset:1664
	s_wait_loadcnt_dscnt 0x801
	v_mul_f64_e32 v[181:182], v[2:3], v[36:37]
	v_mul_f64_e32 v[36:37], v[4:5], v[36:37]
	scratch_load_b128 v[30:33], off, off offset:832
	v_add_f64_e32 v[173:174], v[173:174], v[185:186]
	v_add_f64_e32 v[175:176], v[175:176], v[177:178]
	s_wait_loadcnt_dscnt 0x800
	v_mul_f64_e32 v[177:178], v[6:7], v[171:172]
	v_mul_f64_e32 v[171:172], v[8:9], v[171:172]
	v_fma_f64 v[181:182], v[4:5], v[34:35], v[181:182]
	v_fma_f64 v[185:186], v[2:3], v[34:35], -v[36:37]
	ds_load_b128 v[2:5], v1 offset:1680
	scratch_load_b128 v[34:37], off, off offset:848
	v_add_f64_e32 v[173:174], v[173:174], v[183:184]
	v_add_f64_e32 v[175:176], v[175:176], v[179:180]
	v_fma_f64 v[177:178], v[8:9], v[169:170], v[177:178]
	v_fma_f64 v[183:184], v[6:7], v[169:170], -v[171:172]
	ds_load_b128 v[6:9], v1 offset:1696
	s_wait_loadcnt_dscnt 0x801
	v_mul_f64_e32 v[179:180], v[2:3], v[40:41]
	v_mul_f64_e32 v[40:41], v[4:5], v[40:41]
	scratch_load_b128 v[169:172], off, off offset:864
	v_add_f64_e32 v[173:174], v[173:174], v[185:186]
	v_add_f64_e32 v[175:176], v[175:176], v[181:182]
	s_wait_loadcnt_dscnt 0x800
	v_mul_f64_e32 v[181:182], v[6:7], v[167:168]
	v_mul_f64_e32 v[167:168], v[8:9], v[167:168]
	v_fma_f64 v[179:180], v[4:5], v[38:39], v[179:180]
	v_fma_f64 v[185:186], v[2:3], v[38:39], -v[40:41]
	ds_load_b128 v[2:5], v1 offset:1712
	scratch_load_b128 v[38:41], off, off offset:880
	v_add_f64_e32 v[173:174], v[173:174], v[183:184]
	v_add_f64_e32 v[175:176], v[175:176], v[177:178]
	v_fma_f64 v[181:182], v[8:9], v[165:166], v[181:182]
	v_fma_f64 v[183:184], v[6:7], v[165:166], -v[167:168]
	ds_load_b128 v[6:9], v1 offset:1728
	s_wait_loadcnt_dscnt 0x801
	v_mul_f64_e32 v[177:178], v[2:3], v[12:13]
	v_mul_f64_e32 v[12:13], v[4:5], v[12:13]
	scratch_load_b128 v[165:168], off, off offset:896
	v_add_f64_e32 v[173:174], v[173:174], v[185:186]
	v_add_f64_e32 v[175:176], v[175:176], v[179:180]
	s_wait_loadcnt_dscnt 0x800
	v_mul_f64_e32 v[179:180], v[6:7], v[16:17]
	v_mul_f64_e32 v[16:17], v[8:9], v[16:17]
	v_fma_f64 v[177:178], v[4:5], v[10:11], v[177:178]
	v_fma_f64 v[185:186], v[2:3], v[10:11], -v[12:13]
	ds_load_b128 v[2:5], v1 offset:1744
	scratch_load_b128 v[10:13], off, off offset:912
	v_add_f64_e32 v[173:174], v[173:174], v[183:184]
	v_add_f64_e32 v[175:176], v[175:176], v[181:182]
	v_fma_f64 v[179:180], v[8:9], v[14:15], v[179:180]
	v_fma_f64 v[183:184], v[6:7], v[14:15], -v[16:17]
	ds_load_b128 v[6:9], v1 offset:1760
	s_wait_loadcnt_dscnt 0x801
	v_mul_f64_e32 v[181:182], v[2:3], v[20:21]
	v_mul_f64_e32 v[20:21], v[4:5], v[20:21]
	scratch_load_b128 v[14:17], off, off offset:928
	v_add_f64_e32 v[173:174], v[173:174], v[185:186]
	v_add_f64_e32 v[175:176], v[175:176], v[177:178]
	s_wait_loadcnt_dscnt 0x800
	v_mul_f64_e32 v[177:178], v[6:7], v[24:25]
	v_mul_f64_e32 v[24:25], v[8:9], v[24:25]
	v_fma_f64 v[181:182], v[4:5], v[18:19], v[181:182]
	v_fma_f64 v[185:186], v[2:3], v[18:19], -v[20:21]
	ds_load_b128 v[2:5], v1 offset:1776
	scratch_load_b128 v[18:21], off, off offset:944
	v_add_f64_e32 v[173:174], v[173:174], v[183:184]
	v_add_f64_e32 v[175:176], v[175:176], v[179:180]
	v_fma_f64 v[177:178], v[8:9], v[22:23], v[177:178]
	v_fma_f64 v[183:184], v[6:7], v[22:23], -v[24:25]
	ds_load_b128 v[6:9], v1 offset:1792
	s_wait_loadcnt_dscnt 0x801
	v_mul_f64_e32 v[179:180], v[2:3], v[28:29]
	v_mul_f64_e32 v[28:29], v[4:5], v[28:29]
	scratch_load_b128 v[22:25], off, off offset:960
	v_add_f64_e32 v[173:174], v[173:174], v[185:186]
	v_add_f64_e32 v[175:176], v[175:176], v[181:182]
	s_wait_loadcnt_dscnt 0x800
	v_mul_f64_e32 v[181:182], v[6:7], v[32:33]
	v_mul_f64_e32 v[32:33], v[8:9], v[32:33]
	v_fma_f64 v[179:180], v[4:5], v[26:27], v[179:180]
	v_fma_f64 v[185:186], v[2:3], v[26:27], -v[28:29]
	ds_load_b128 v[2:5], v1 offset:1808
	scratch_load_b128 v[26:29], off, off offset:976
	v_add_f64_e32 v[173:174], v[173:174], v[183:184]
	v_add_f64_e32 v[175:176], v[175:176], v[177:178]
	v_fma_f64 v[181:182], v[8:9], v[30:31], v[181:182]
	v_fma_f64 v[30:31], v[6:7], v[30:31], -v[32:33]
	ds_load_b128 v[6:9], v1 offset:1824
	s_wait_loadcnt_dscnt 0x801
	v_mul_f64_e32 v[177:178], v[2:3], v[36:37]
	v_mul_f64_e32 v[36:37], v[4:5], v[36:37]
	v_add_f64_e32 v[32:33], v[173:174], v[185:186]
	v_add_f64_e32 v[173:174], v[175:176], v[179:180]
	s_wait_loadcnt_dscnt 0x700
	v_mul_f64_e32 v[175:176], v[6:7], v[171:172]
	v_mul_f64_e32 v[171:172], v[8:9], v[171:172]
	v_fma_f64 v[177:178], v[4:5], v[34:35], v[177:178]
	v_fma_f64 v[34:35], v[2:3], v[34:35], -v[36:37]
	ds_load_b128 v[2:5], v1 offset:1840
	v_add_f64_e32 v[30:31], v[32:33], v[30:31]
	v_add_f64_e32 v[32:33], v[173:174], v[181:182]
	v_fma_f64 v[173:174], v[8:9], v[169:170], v[175:176]
	v_fma_f64 v[169:170], v[6:7], v[169:170], -v[171:172]
	ds_load_b128 v[6:9], v1 offset:1856
	s_wait_loadcnt_dscnt 0x500
	v_mul_f64_e32 v[175:176], v[6:7], v[167:168]
	v_mul_f64_e32 v[167:168], v[8:9], v[167:168]
	v_add_f64_e32 v[34:35], v[30:31], v[34:35]
	v_add_f64_e32 v[171:172], v[32:33], v[177:178]
	scratch_load_b128 v[30:33], off, off offset:384
	v_mul_f64_e32 v[36:37], v[2:3], v[40:41]
	v_mul_f64_e32 v[40:41], v[4:5], v[40:41]
	v_add_f64_e32 v[34:35], v[34:35], v[169:170]
	s_delay_alu instid0(VALU_DEP_3) | instskip(NEXT) | instid1(VALU_DEP_3)
	v_fma_f64 v[36:37], v[4:5], v[38:39], v[36:37]
	v_fma_f64 v[38:39], v[2:3], v[38:39], -v[40:41]
	v_add_f64_e32 v[40:41], v[171:172], v[173:174]
	ds_load_b128 v[2:5], v1 offset:1872
	v_fma_f64 v[171:172], v[8:9], v[165:166], v[175:176]
	v_fma_f64 v[165:166], v[6:7], v[165:166], -v[167:168]
	ds_load_b128 v[6:9], v1 offset:1888
	s_wait_loadcnt_dscnt 0x501
	v_mul_f64_e32 v[169:170], v[2:3], v[12:13]
	v_mul_f64_e32 v[12:13], v[4:5], v[12:13]
	v_add_f64_e32 v[34:35], v[34:35], v[38:39]
	v_add_f64_e32 v[36:37], v[40:41], v[36:37]
	s_wait_loadcnt_dscnt 0x400
	v_mul_f64_e32 v[38:39], v[6:7], v[16:17]
	v_mul_f64_e32 v[16:17], v[8:9], v[16:17]
	v_fma_f64 v[40:41], v[4:5], v[10:11], v[169:170]
	v_fma_f64 v[10:11], v[2:3], v[10:11], -v[12:13]
	ds_load_b128 v[2:5], v1 offset:1904
	v_add_f64_e32 v[12:13], v[34:35], v[165:166]
	v_add_f64_e32 v[34:35], v[36:37], v[171:172]
	v_fma_f64 v[38:39], v[8:9], v[14:15], v[38:39]
	v_fma_f64 v[14:15], v[6:7], v[14:15], -v[16:17]
	ds_load_b128 v[6:9], v1 offset:1920
	s_wait_loadcnt_dscnt 0x301
	v_mul_f64_e32 v[36:37], v[2:3], v[20:21]
	v_mul_f64_e32 v[20:21], v[4:5], v[20:21]
	s_wait_loadcnt_dscnt 0x200
	v_mul_f64_e32 v[16:17], v[6:7], v[24:25]
	v_mul_f64_e32 v[24:25], v[8:9], v[24:25]
	v_add_f64_e32 v[10:11], v[12:13], v[10:11]
	v_add_f64_e32 v[12:13], v[34:35], v[40:41]
	v_fma_f64 v[34:35], v[4:5], v[18:19], v[36:37]
	v_fma_f64 v[18:19], v[2:3], v[18:19], -v[20:21]
	ds_load_b128 v[2:5], v1 offset:1936
	v_fma_f64 v[8:9], v[8:9], v[22:23], v[16:17]
	v_fma_f64 v[6:7], v[6:7], v[22:23], -v[24:25]
	s_wait_loadcnt_dscnt 0x100
	v_mul_f64_e32 v[20:21], v[4:5], v[28:29]
	v_add_f64_e32 v[10:11], v[10:11], v[14:15]
	v_add_f64_e32 v[12:13], v[12:13], v[38:39]
	v_mul_f64_e32 v[14:15], v[2:3], v[28:29]
	s_delay_alu instid0(VALU_DEP_4) | instskip(NEXT) | instid1(VALU_DEP_4)
	v_fma_f64 v[2:3], v[2:3], v[26:27], -v[20:21]
	v_add_f64_e32 v[10:11], v[10:11], v[18:19]
	s_delay_alu instid0(VALU_DEP_4) | instskip(NEXT) | instid1(VALU_DEP_4)
	v_add_f64_e32 v[12:13], v[12:13], v[34:35]
	v_fma_f64 v[4:5], v[4:5], v[26:27], v[14:15]
	s_delay_alu instid0(VALU_DEP_3) | instskip(NEXT) | instid1(VALU_DEP_3)
	v_add_f64_e32 v[6:7], v[10:11], v[6:7]
	v_add_f64_e32 v[8:9], v[12:13], v[8:9]
	s_delay_alu instid0(VALU_DEP_2) | instskip(NEXT) | instid1(VALU_DEP_2)
	v_add_f64_e32 v[2:3], v[6:7], v[2:3]
	v_add_f64_e32 v[4:5], v[8:9], v[4:5]
	s_wait_loadcnt 0x0
	s_delay_alu instid0(VALU_DEP_2) | instskip(NEXT) | instid1(VALU_DEP_2)
	v_add_f64_e64 v[2:3], v[30:31], -v[2:3]
	v_add_f64_e64 v[4:5], v[32:33], -v[4:5]
	scratch_store_b128 off, v[2:5], off offset:384
	v_cmpx_lt_u32_e32 22, v0
	s_cbranch_execz .LBB60_347
; %bb.346:
	scratch_load_b128 v[5:8], off, s50
	v_dual_mov_b32 v2, v1 :: v_dual_mov_b32 v3, v1
	v_mov_b32_e32 v4, v1
	scratch_store_b128 off, v[1:4], off offset:368
	s_wait_loadcnt 0x0
	ds_store_b128 v164, v[5:8]
.LBB60_347:
	s_wait_alu 0xfffe
	s_or_b32 exec_lo, exec_lo, s0
	s_wait_storecnt_dscnt 0x0
	s_barrier_signal -1
	s_barrier_wait -1
	global_inv scope:SCOPE_SE
	s_clause 0x7
	scratch_load_b128 v[2:5], off, off offset:384
	scratch_load_b128 v[6:9], off, off offset:400
	;; [unrolled: 1-line block ×8, first 2 shown]
	ds_load_b128 v[38:41], v1 offset:1344
	ds_load_b128 v[165:168], v1 offset:1360
	s_clause 0x1
	scratch_load_b128 v[34:37], off, off offset:512
	scratch_load_b128 v[169:172], off, off offset:528
	s_mov_b32 s0, exec_lo
	s_wait_loadcnt_dscnt 0x901
	v_mul_f64_e32 v[173:174], v[40:41], v[4:5]
	v_mul_f64_e32 v[4:5], v[38:39], v[4:5]
	s_wait_loadcnt_dscnt 0x800
	v_mul_f64_e32 v[175:176], v[165:166], v[8:9]
	v_mul_f64_e32 v[8:9], v[167:168], v[8:9]
	s_delay_alu instid0(VALU_DEP_4) | instskip(NEXT) | instid1(VALU_DEP_4)
	v_fma_f64 v[173:174], v[38:39], v[2:3], -v[173:174]
	v_fma_f64 v[177:178], v[40:41], v[2:3], v[4:5]
	ds_load_b128 v[2:5], v1 offset:1376
	scratch_load_b128 v[38:41], off, off offset:544
	v_fma_f64 v[175:176], v[167:168], v[6:7], v[175:176]
	v_fma_f64 v[181:182], v[165:166], v[6:7], -v[8:9]
	ds_load_b128 v[6:9], v1 offset:1392
	scratch_load_b128 v[165:168], off, off offset:560
	s_wait_loadcnt_dscnt 0x901
	v_mul_f64_e32 v[179:180], v[2:3], v[12:13]
	v_mul_f64_e32 v[12:13], v[4:5], v[12:13]
	s_wait_loadcnt_dscnt 0x800
	v_mul_f64_e32 v[183:184], v[6:7], v[16:17]
	v_mul_f64_e32 v[16:17], v[8:9], v[16:17]
	v_add_f64_e32 v[173:174], 0, v[173:174]
	v_add_f64_e32 v[177:178], 0, v[177:178]
	v_fma_f64 v[179:180], v[4:5], v[10:11], v[179:180]
	v_fma_f64 v[185:186], v[2:3], v[10:11], -v[12:13]
	ds_load_b128 v[2:5], v1 offset:1408
	scratch_load_b128 v[10:13], off, off offset:576
	v_add_f64_e32 v[173:174], v[173:174], v[181:182]
	v_add_f64_e32 v[175:176], v[177:178], v[175:176]
	v_fma_f64 v[181:182], v[8:9], v[14:15], v[183:184]
	v_fma_f64 v[183:184], v[6:7], v[14:15], -v[16:17]
	ds_load_b128 v[6:9], v1 offset:1424
	scratch_load_b128 v[14:17], off, off offset:592
	s_wait_loadcnt_dscnt 0x901
	v_mul_f64_e32 v[177:178], v[2:3], v[20:21]
	v_mul_f64_e32 v[20:21], v[4:5], v[20:21]
	v_add_f64_e32 v[173:174], v[173:174], v[185:186]
	v_add_f64_e32 v[175:176], v[175:176], v[179:180]
	s_wait_loadcnt_dscnt 0x800
	v_mul_f64_e32 v[179:180], v[6:7], v[24:25]
	v_mul_f64_e32 v[24:25], v[8:9], v[24:25]
	v_fma_f64 v[177:178], v[4:5], v[18:19], v[177:178]
	v_fma_f64 v[185:186], v[2:3], v[18:19], -v[20:21]
	ds_load_b128 v[2:5], v1 offset:1440
	scratch_load_b128 v[18:21], off, off offset:608
	v_add_f64_e32 v[173:174], v[173:174], v[183:184]
	v_add_f64_e32 v[175:176], v[175:176], v[181:182]
	v_fma_f64 v[179:180], v[8:9], v[22:23], v[179:180]
	v_fma_f64 v[183:184], v[6:7], v[22:23], -v[24:25]
	ds_load_b128 v[6:9], v1 offset:1456
	s_wait_loadcnt_dscnt 0x801
	v_mul_f64_e32 v[181:182], v[2:3], v[28:29]
	v_mul_f64_e32 v[28:29], v[4:5], v[28:29]
	scratch_load_b128 v[22:25], off, off offset:624
	v_add_f64_e32 v[173:174], v[173:174], v[185:186]
	v_add_f64_e32 v[175:176], v[175:176], v[177:178]
	s_wait_loadcnt_dscnt 0x800
	v_mul_f64_e32 v[177:178], v[6:7], v[32:33]
	v_mul_f64_e32 v[32:33], v[8:9], v[32:33]
	v_fma_f64 v[181:182], v[4:5], v[26:27], v[181:182]
	v_fma_f64 v[185:186], v[2:3], v[26:27], -v[28:29]
	ds_load_b128 v[2:5], v1 offset:1472
	scratch_load_b128 v[26:29], off, off offset:640
	v_add_f64_e32 v[173:174], v[173:174], v[183:184]
	v_add_f64_e32 v[175:176], v[175:176], v[179:180]
	v_fma_f64 v[177:178], v[8:9], v[30:31], v[177:178]
	v_fma_f64 v[183:184], v[6:7], v[30:31], -v[32:33]
	ds_load_b128 v[6:9], v1 offset:1488
	s_wait_loadcnt_dscnt 0x801
	v_mul_f64_e32 v[179:180], v[2:3], v[36:37]
	v_mul_f64_e32 v[36:37], v[4:5], v[36:37]
	scratch_load_b128 v[30:33], off, off offset:656
	v_add_f64_e32 v[173:174], v[173:174], v[185:186]
	v_add_f64_e32 v[175:176], v[175:176], v[181:182]
	s_wait_loadcnt_dscnt 0x800
	v_mul_f64_e32 v[181:182], v[6:7], v[171:172]
	v_mul_f64_e32 v[171:172], v[8:9], v[171:172]
	v_fma_f64 v[179:180], v[4:5], v[34:35], v[179:180]
	v_fma_f64 v[185:186], v[2:3], v[34:35], -v[36:37]
	ds_load_b128 v[2:5], v1 offset:1504
	scratch_load_b128 v[34:37], off, off offset:672
	v_add_f64_e32 v[173:174], v[173:174], v[183:184]
	v_add_f64_e32 v[175:176], v[175:176], v[177:178]
	v_fma_f64 v[181:182], v[8:9], v[169:170], v[181:182]
	v_fma_f64 v[183:184], v[6:7], v[169:170], -v[171:172]
	ds_load_b128 v[6:9], v1 offset:1520
	scratch_load_b128 v[169:172], off, off offset:688
	s_wait_loadcnt_dscnt 0x901
	v_mul_f64_e32 v[177:178], v[2:3], v[40:41]
	v_mul_f64_e32 v[40:41], v[4:5], v[40:41]
	v_add_f64_e32 v[173:174], v[173:174], v[185:186]
	v_add_f64_e32 v[175:176], v[175:176], v[179:180]
	s_wait_loadcnt_dscnt 0x800
	v_mul_f64_e32 v[179:180], v[6:7], v[167:168]
	v_mul_f64_e32 v[167:168], v[8:9], v[167:168]
	v_fma_f64 v[177:178], v[4:5], v[38:39], v[177:178]
	v_fma_f64 v[185:186], v[2:3], v[38:39], -v[40:41]
	ds_load_b128 v[2:5], v1 offset:1536
	scratch_load_b128 v[38:41], off, off offset:704
	v_add_f64_e32 v[173:174], v[173:174], v[183:184]
	v_add_f64_e32 v[175:176], v[175:176], v[181:182]
	v_fma_f64 v[179:180], v[8:9], v[165:166], v[179:180]
	v_fma_f64 v[183:184], v[6:7], v[165:166], -v[167:168]
	ds_load_b128 v[6:9], v1 offset:1552
	s_wait_loadcnt_dscnt 0x801
	v_mul_f64_e32 v[181:182], v[2:3], v[12:13]
	v_mul_f64_e32 v[12:13], v[4:5], v[12:13]
	scratch_load_b128 v[165:168], off, off offset:720
	v_add_f64_e32 v[173:174], v[173:174], v[185:186]
	v_add_f64_e32 v[175:176], v[175:176], v[177:178]
	s_wait_loadcnt_dscnt 0x800
	v_mul_f64_e32 v[177:178], v[6:7], v[16:17]
	v_mul_f64_e32 v[16:17], v[8:9], v[16:17]
	v_fma_f64 v[181:182], v[4:5], v[10:11], v[181:182]
	v_fma_f64 v[185:186], v[2:3], v[10:11], -v[12:13]
	ds_load_b128 v[2:5], v1 offset:1568
	scratch_load_b128 v[10:13], off, off offset:736
	v_add_f64_e32 v[173:174], v[173:174], v[183:184]
	v_add_f64_e32 v[175:176], v[175:176], v[179:180]
	v_fma_f64 v[177:178], v[8:9], v[14:15], v[177:178]
	v_fma_f64 v[183:184], v[6:7], v[14:15], -v[16:17]
	ds_load_b128 v[6:9], v1 offset:1584
	s_wait_loadcnt_dscnt 0x801
	v_mul_f64_e32 v[179:180], v[2:3], v[20:21]
	v_mul_f64_e32 v[20:21], v[4:5], v[20:21]
	scratch_load_b128 v[14:17], off, off offset:752
	;; [unrolled: 18-line block ×9, first 2 shown]
	v_add_f64_e32 v[173:174], v[173:174], v[185:186]
	v_add_f64_e32 v[175:176], v[175:176], v[179:180]
	s_wait_loadcnt_dscnt 0x800
	v_mul_f64_e32 v[179:180], v[6:7], v[171:172]
	v_mul_f64_e32 v[171:172], v[8:9], v[171:172]
	v_fma_f64 v[177:178], v[4:5], v[34:35], v[177:178]
	v_fma_f64 v[34:35], v[2:3], v[34:35], -v[36:37]
	ds_load_b128 v[2:5], v1 offset:1824
	v_add_f64_e32 v[36:37], v[173:174], v[183:184]
	v_add_f64_e32 v[173:174], v[175:176], v[181:182]
	v_fma_f64 v[179:180], v[8:9], v[169:170], v[179:180]
	v_fma_f64 v[169:170], v[6:7], v[169:170], -v[171:172]
	ds_load_b128 v[6:9], v1 offset:1840
	s_wait_loadcnt_dscnt 0x701
	v_mul_f64_e32 v[175:176], v[2:3], v[40:41]
	v_mul_f64_e32 v[40:41], v[4:5], v[40:41]
	v_add_f64_e32 v[34:35], v[36:37], v[34:35]
	v_add_f64_e32 v[36:37], v[173:174], v[177:178]
	s_delay_alu instid0(VALU_DEP_4) | instskip(NEXT) | instid1(VALU_DEP_4)
	v_fma_f64 v[173:174], v[4:5], v[38:39], v[175:176]
	v_fma_f64 v[38:39], v[2:3], v[38:39], -v[40:41]
	ds_load_b128 v[2:5], v1 offset:1856
	v_add_f64_e32 v[40:41], v[34:35], v[169:170]
	v_add_f64_e32 v[169:170], v[36:37], v[179:180]
	scratch_load_b128 v[34:37], off, off offset:368
	s_wait_loadcnt_dscnt 0x701
	v_mul_f64_e32 v[171:172], v[6:7], v[167:168]
	v_mul_f64_e32 v[167:168], v[8:9], v[167:168]
	v_add_f64_e32 v[38:39], v[40:41], v[38:39]
	v_add_f64_e32 v[40:41], v[169:170], v[173:174]
	s_delay_alu instid0(VALU_DEP_4) | instskip(NEXT) | instid1(VALU_DEP_4)
	v_fma_f64 v[171:172], v[8:9], v[165:166], v[171:172]
	v_fma_f64 v[165:166], v[6:7], v[165:166], -v[167:168]
	ds_load_b128 v[6:9], v1 offset:1872
	s_wait_loadcnt_dscnt 0x601
	v_mul_f64_e32 v[175:176], v[2:3], v[12:13]
	v_mul_f64_e32 v[12:13], v[4:5], v[12:13]
	s_wait_loadcnt_dscnt 0x500
	v_mul_f64_e32 v[167:168], v[6:7], v[16:17]
	v_mul_f64_e32 v[16:17], v[8:9], v[16:17]
	s_delay_alu instid0(VALU_DEP_4) | instskip(NEXT) | instid1(VALU_DEP_4)
	v_fma_f64 v[169:170], v[4:5], v[10:11], v[175:176]
	v_fma_f64 v[10:11], v[2:3], v[10:11], -v[12:13]
	v_add_f64_e32 v[12:13], v[38:39], v[165:166]
	v_add_f64_e32 v[38:39], v[40:41], v[171:172]
	ds_load_b128 v[2:5], v1 offset:1888
	v_fma_f64 v[165:166], v[8:9], v[14:15], v[167:168]
	v_fma_f64 v[14:15], v[6:7], v[14:15], -v[16:17]
	ds_load_b128 v[6:9], v1 offset:1904
	s_wait_loadcnt_dscnt 0x401
	v_mul_f64_e32 v[40:41], v[2:3], v[20:21]
	v_mul_f64_e32 v[20:21], v[4:5], v[20:21]
	v_add_f64_e32 v[10:11], v[12:13], v[10:11]
	v_add_f64_e32 v[12:13], v[38:39], v[169:170]
	s_wait_loadcnt_dscnt 0x300
	v_mul_f64_e32 v[16:17], v[6:7], v[24:25]
	v_mul_f64_e32 v[24:25], v[8:9], v[24:25]
	v_fma_f64 v[38:39], v[4:5], v[18:19], v[40:41]
	v_fma_f64 v[18:19], v[2:3], v[18:19], -v[20:21]
	ds_load_b128 v[2:5], v1 offset:1920
	v_add_f64_e32 v[10:11], v[10:11], v[14:15]
	v_add_f64_e32 v[12:13], v[12:13], v[165:166]
	v_fma_f64 v[16:17], v[8:9], v[22:23], v[16:17]
	v_fma_f64 v[22:23], v[6:7], v[22:23], -v[24:25]
	ds_load_b128 v[6:9], v1 offset:1936
	s_wait_loadcnt_dscnt 0x201
	v_mul_f64_e32 v[14:15], v[2:3], v[28:29]
	v_mul_f64_e32 v[20:21], v[4:5], v[28:29]
	s_wait_loadcnt_dscnt 0x100
	v_mul_f64_e32 v[24:25], v[8:9], v[32:33]
	v_add_f64_e32 v[10:11], v[10:11], v[18:19]
	v_add_f64_e32 v[12:13], v[12:13], v[38:39]
	v_mul_f64_e32 v[18:19], v[6:7], v[32:33]
	v_fma_f64 v[4:5], v[4:5], v[26:27], v[14:15]
	v_fma_f64 v[1:2], v[2:3], v[26:27], -v[20:21]
	v_fma_f64 v[6:7], v[6:7], v[30:31], -v[24:25]
	v_add_f64_e32 v[10:11], v[10:11], v[22:23]
	v_add_f64_e32 v[12:13], v[12:13], v[16:17]
	v_fma_f64 v[8:9], v[8:9], v[30:31], v[18:19]
	s_delay_alu instid0(VALU_DEP_3) | instskip(NEXT) | instid1(VALU_DEP_3)
	v_add_f64_e32 v[1:2], v[10:11], v[1:2]
	v_add_f64_e32 v[3:4], v[12:13], v[4:5]
	s_delay_alu instid0(VALU_DEP_2) | instskip(NEXT) | instid1(VALU_DEP_2)
	v_add_f64_e32 v[1:2], v[1:2], v[6:7]
	v_add_f64_e32 v[3:4], v[3:4], v[8:9]
	s_wait_loadcnt 0x0
	s_delay_alu instid0(VALU_DEP_2) | instskip(NEXT) | instid1(VALU_DEP_2)
	v_add_f64_e64 v[1:2], v[34:35], -v[1:2]
	v_add_f64_e64 v[3:4], v[36:37], -v[3:4]
	scratch_store_b128 off, v[1:4], off offset:368
	v_cmpx_lt_u32_e32 21, v0
	s_cbranch_execz .LBB60_349
; %bb.348:
	scratch_load_b128 v[1:4], off, s54
	v_mov_b32_e32 v5, 0
	s_delay_alu instid0(VALU_DEP_1)
	v_dual_mov_b32 v6, v5 :: v_dual_mov_b32 v7, v5
	v_mov_b32_e32 v8, v5
	scratch_store_b128 off, v[5:8], off offset:352
	s_wait_loadcnt 0x0
	ds_store_b128 v164, v[1:4]
.LBB60_349:
	s_wait_alu 0xfffe
	s_or_b32 exec_lo, exec_lo, s0
	s_wait_storecnt_dscnt 0x0
	s_barrier_signal -1
	s_barrier_wait -1
	global_inv scope:SCOPE_SE
	s_clause 0x7
	scratch_load_b128 v[2:5], off, off offset:368
	scratch_load_b128 v[6:9], off, off offset:384
	;; [unrolled: 1-line block ×8, first 2 shown]
	v_mov_b32_e32 v1, 0
	s_clause 0x1
	scratch_load_b128 v[34:37], off, off offset:496
	scratch_load_b128 v[169:172], off, off offset:512
	s_mov_b32 s0, exec_lo
	ds_load_b128 v[38:41], v1 offset:1328
	ds_load_b128 v[165:168], v1 offset:1344
	s_wait_loadcnt_dscnt 0x901
	v_mul_f64_e32 v[173:174], v[40:41], v[4:5]
	v_mul_f64_e32 v[4:5], v[38:39], v[4:5]
	s_wait_loadcnt_dscnt 0x800
	v_mul_f64_e32 v[175:176], v[165:166], v[8:9]
	v_mul_f64_e32 v[8:9], v[167:168], v[8:9]
	s_delay_alu instid0(VALU_DEP_4) | instskip(NEXT) | instid1(VALU_DEP_4)
	v_fma_f64 v[173:174], v[38:39], v[2:3], -v[173:174]
	v_fma_f64 v[177:178], v[40:41], v[2:3], v[4:5]
	ds_load_b128 v[2:5], v1 offset:1360
	scratch_load_b128 v[38:41], off, off offset:528
	v_fma_f64 v[175:176], v[167:168], v[6:7], v[175:176]
	v_fma_f64 v[181:182], v[165:166], v[6:7], -v[8:9]
	ds_load_b128 v[6:9], v1 offset:1376
	scratch_load_b128 v[165:168], off, off offset:544
	s_wait_loadcnt_dscnt 0x901
	v_mul_f64_e32 v[179:180], v[2:3], v[12:13]
	v_mul_f64_e32 v[12:13], v[4:5], v[12:13]
	s_wait_loadcnt_dscnt 0x800
	v_mul_f64_e32 v[183:184], v[6:7], v[16:17]
	v_mul_f64_e32 v[16:17], v[8:9], v[16:17]
	v_add_f64_e32 v[173:174], 0, v[173:174]
	v_add_f64_e32 v[177:178], 0, v[177:178]
	v_fma_f64 v[179:180], v[4:5], v[10:11], v[179:180]
	v_fma_f64 v[185:186], v[2:3], v[10:11], -v[12:13]
	ds_load_b128 v[2:5], v1 offset:1392
	scratch_load_b128 v[10:13], off, off offset:560
	v_add_f64_e32 v[173:174], v[173:174], v[181:182]
	v_add_f64_e32 v[175:176], v[177:178], v[175:176]
	v_fma_f64 v[181:182], v[8:9], v[14:15], v[183:184]
	v_fma_f64 v[183:184], v[6:7], v[14:15], -v[16:17]
	ds_load_b128 v[6:9], v1 offset:1408
	scratch_load_b128 v[14:17], off, off offset:576
	s_wait_loadcnt_dscnt 0x901
	v_mul_f64_e32 v[177:178], v[2:3], v[20:21]
	v_mul_f64_e32 v[20:21], v[4:5], v[20:21]
	v_add_f64_e32 v[173:174], v[173:174], v[185:186]
	v_add_f64_e32 v[175:176], v[175:176], v[179:180]
	s_wait_loadcnt_dscnt 0x800
	v_mul_f64_e32 v[179:180], v[6:7], v[24:25]
	v_mul_f64_e32 v[24:25], v[8:9], v[24:25]
	v_fma_f64 v[177:178], v[4:5], v[18:19], v[177:178]
	v_fma_f64 v[185:186], v[2:3], v[18:19], -v[20:21]
	ds_load_b128 v[2:5], v1 offset:1424
	scratch_load_b128 v[18:21], off, off offset:592
	v_add_f64_e32 v[173:174], v[173:174], v[183:184]
	v_add_f64_e32 v[175:176], v[175:176], v[181:182]
	v_fma_f64 v[179:180], v[8:9], v[22:23], v[179:180]
	v_fma_f64 v[183:184], v[6:7], v[22:23], -v[24:25]
	ds_load_b128 v[6:9], v1 offset:1440
	s_wait_loadcnt_dscnt 0x801
	v_mul_f64_e32 v[181:182], v[2:3], v[28:29]
	v_mul_f64_e32 v[28:29], v[4:5], v[28:29]
	scratch_load_b128 v[22:25], off, off offset:608
	v_add_f64_e32 v[173:174], v[173:174], v[185:186]
	v_add_f64_e32 v[175:176], v[175:176], v[177:178]
	s_wait_loadcnt_dscnt 0x800
	v_mul_f64_e32 v[177:178], v[6:7], v[32:33]
	v_mul_f64_e32 v[32:33], v[8:9], v[32:33]
	v_fma_f64 v[181:182], v[4:5], v[26:27], v[181:182]
	v_fma_f64 v[185:186], v[2:3], v[26:27], -v[28:29]
	ds_load_b128 v[2:5], v1 offset:1456
	scratch_load_b128 v[26:29], off, off offset:624
	v_add_f64_e32 v[173:174], v[173:174], v[183:184]
	v_add_f64_e32 v[175:176], v[175:176], v[179:180]
	v_fma_f64 v[177:178], v[8:9], v[30:31], v[177:178]
	v_fma_f64 v[183:184], v[6:7], v[30:31], -v[32:33]
	ds_load_b128 v[6:9], v1 offset:1472
	s_wait_loadcnt_dscnt 0x801
	v_mul_f64_e32 v[179:180], v[2:3], v[36:37]
	v_mul_f64_e32 v[36:37], v[4:5], v[36:37]
	scratch_load_b128 v[30:33], off, off offset:640
	v_add_f64_e32 v[173:174], v[173:174], v[185:186]
	v_add_f64_e32 v[175:176], v[175:176], v[181:182]
	s_wait_loadcnt_dscnt 0x800
	v_mul_f64_e32 v[181:182], v[6:7], v[171:172]
	v_mul_f64_e32 v[171:172], v[8:9], v[171:172]
	v_fma_f64 v[179:180], v[4:5], v[34:35], v[179:180]
	v_fma_f64 v[185:186], v[2:3], v[34:35], -v[36:37]
	ds_load_b128 v[2:5], v1 offset:1488
	scratch_load_b128 v[34:37], off, off offset:656
	v_add_f64_e32 v[173:174], v[173:174], v[183:184]
	v_add_f64_e32 v[175:176], v[175:176], v[177:178]
	v_fma_f64 v[181:182], v[8:9], v[169:170], v[181:182]
	v_fma_f64 v[183:184], v[6:7], v[169:170], -v[171:172]
	ds_load_b128 v[6:9], v1 offset:1504
	scratch_load_b128 v[169:172], off, off offset:672
	s_wait_loadcnt_dscnt 0x901
	v_mul_f64_e32 v[177:178], v[2:3], v[40:41]
	v_mul_f64_e32 v[40:41], v[4:5], v[40:41]
	v_add_f64_e32 v[173:174], v[173:174], v[185:186]
	v_add_f64_e32 v[175:176], v[175:176], v[179:180]
	s_wait_loadcnt_dscnt 0x800
	v_mul_f64_e32 v[179:180], v[6:7], v[167:168]
	v_mul_f64_e32 v[167:168], v[8:9], v[167:168]
	v_fma_f64 v[177:178], v[4:5], v[38:39], v[177:178]
	v_fma_f64 v[185:186], v[2:3], v[38:39], -v[40:41]
	ds_load_b128 v[2:5], v1 offset:1520
	scratch_load_b128 v[38:41], off, off offset:688
	v_add_f64_e32 v[173:174], v[173:174], v[183:184]
	v_add_f64_e32 v[175:176], v[175:176], v[181:182]
	v_fma_f64 v[179:180], v[8:9], v[165:166], v[179:180]
	v_fma_f64 v[183:184], v[6:7], v[165:166], -v[167:168]
	ds_load_b128 v[6:9], v1 offset:1536
	s_wait_loadcnt_dscnt 0x801
	v_mul_f64_e32 v[181:182], v[2:3], v[12:13]
	v_mul_f64_e32 v[12:13], v[4:5], v[12:13]
	scratch_load_b128 v[165:168], off, off offset:704
	v_add_f64_e32 v[173:174], v[173:174], v[185:186]
	v_add_f64_e32 v[175:176], v[175:176], v[177:178]
	s_wait_loadcnt_dscnt 0x800
	v_mul_f64_e32 v[177:178], v[6:7], v[16:17]
	v_mul_f64_e32 v[16:17], v[8:9], v[16:17]
	v_fma_f64 v[181:182], v[4:5], v[10:11], v[181:182]
	v_fma_f64 v[185:186], v[2:3], v[10:11], -v[12:13]
	ds_load_b128 v[2:5], v1 offset:1552
	scratch_load_b128 v[10:13], off, off offset:720
	v_add_f64_e32 v[173:174], v[173:174], v[183:184]
	v_add_f64_e32 v[175:176], v[175:176], v[179:180]
	v_fma_f64 v[177:178], v[8:9], v[14:15], v[177:178]
	v_fma_f64 v[183:184], v[6:7], v[14:15], -v[16:17]
	ds_load_b128 v[6:9], v1 offset:1568
	s_wait_loadcnt_dscnt 0x801
	v_mul_f64_e32 v[179:180], v[2:3], v[20:21]
	v_mul_f64_e32 v[20:21], v[4:5], v[20:21]
	scratch_load_b128 v[14:17], off, off offset:736
	;; [unrolled: 18-line block ×9, first 2 shown]
	v_add_f64_e32 v[173:174], v[173:174], v[185:186]
	v_add_f64_e32 v[175:176], v[175:176], v[179:180]
	s_wait_loadcnt_dscnt 0x800
	v_mul_f64_e32 v[179:180], v[6:7], v[171:172]
	v_mul_f64_e32 v[171:172], v[8:9], v[171:172]
	v_fma_f64 v[177:178], v[4:5], v[34:35], v[177:178]
	v_fma_f64 v[185:186], v[2:3], v[34:35], -v[36:37]
	ds_load_b128 v[2:5], v1 offset:1808
	scratch_load_b128 v[34:37], off, off offset:976
	v_add_f64_e32 v[173:174], v[173:174], v[183:184]
	v_add_f64_e32 v[175:176], v[175:176], v[181:182]
	v_fma_f64 v[179:180], v[8:9], v[169:170], v[179:180]
	v_fma_f64 v[169:170], v[6:7], v[169:170], -v[171:172]
	ds_load_b128 v[6:9], v1 offset:1824
	s_wait_loadcnt_dscnt 0x801
	v_mul_f64_e32 v[181:182], v[2:3], v[40:41]
	v_mul_f64_e32 v[40:41], v[4:5], v[40:41]
	v_add_f64_e32 v[171:172], v[173:174], v[185:186]
	v_add_f64_e32 v[173:174], v[175:176], v[177:178]
	s_wait_loadcnt_dscnt 0x700
	v_mul_f64_e32 v[175:176], v[6:7], v[167:168]
	v_mul_f64_e32 v[167:168], v[8:9], v[167:168]
	v_fma_f64 v[177:178], v[4:5], v[38:39], v[181:182]
	v_fma_f64 v[38:39], v[2:3], v[38:39], -v[40:41]
	ds_load_b128 v[2:5], v1 offset:1840
	v_add_f64_e32 v[40:41], v[171:172], v[169:170]
	v_add_f64_e32 v[169:170], v[173:174], v[179:180]
	v_fma_f64 v[173:174], v[8:9], v[165:166], v[175:176]
	v_fma_f64 v[165:166], v[6:7], v[165:166], -v[167:168]
	ds_load_b128 v[6:9], v1 offset:1856
	s_wait_loadcnt_dscnt 0x500
	v_mul_f64_e32 v[175:176], v[6:7], v[16:17]
	v_mul_f64_e32 v[16:17], v[8:9], v[16:17]
	v_add_f64_e32 v[167:168], v[40:41], v[38:39]
	v_add_f64_e32 v[169:170], v[169:170], v[177:178]
	scratch_load_b128 v[38:41], off, off offset:352
	v_mul_f64_e32 v[171:172], v[2:3], v[12:13]
	v_mul_f64_e32 v[12:13], v[4:5], v[12:13]
	s_delay_alu instid0(VALU_DEP_2) | instskip(NEXT) | instid1(VALU_DEP_2)
	v_fma_f64 v[171:172], v[4:5], v[10:11], v[171:172]
	v_fma_f64 v[10:11], v[2:3], v[10:11], -v[12:13]
	v_add_f64_e32 v[12:13], v[167:168], v[165:166]
	v_add_f64_e32 v[165:166], v[169:170], v[173:174]
	ds_load_b128 v[2:5], v1 offset:1872
	v_fma_f64 v[169:170], v[8:9], v[14:15], v[175:176]
	v_fma_f64 v[14:15], v[6:7], v[14:15], -v[16:17]
	ds_load_b128 v[6:9], v1 offset:1888
	s_wait_loadcnt_dscnt 0x501
	v_mul_f64_e32 v[167:168], v[2:3], v[20:21]
	v_mul_f64_e32 v[20:21], v[4:5], v[20:21]
	s_wait_loadcnt_dscnt 0x400
	v_mul_f64_e32 v[16:17], v[6:7], v[24:25]
	v_mul_f64_e32 v[24:25], v[8:9], v[24:25]
	v_add_f64_e32 v[10:11], v[12:13], v[10:11]
	v_add_f64_e32 v[12:13], v[165:166], v[171:172]
	v_fma_f64 v[165:166], v[4:5], v[18:19], v[167:168]
	v_fma_f64 v[18:19], v[2:3], v[18:19], -v[20:21]
	ds_load_b128 v[2:5], v1 offset:1904
	v_fma_f64 v[16:17], v[8:9], v[22:23], v[16:17]
	v_fma_f64 v[22:23], v[6:7], v[22:23], -v[24:25]
	ds_load_b128 v[6:9], v1 offset:1920
	v_add_f64_e32 v[10:11], v[10:11], v[14:15]
	v_add_f64_e32 v[12:13], v[12:13], v[169:170]
	s_wait_loadcnt_dscnt 0x301
	v_mul_f64_e32 v[14:15], v[2:3], v[28:29]
	v_mul_f64_e32 v[20:21], v[4:5], v[28:29]
	s_wait_loadcnt_dscnt 0x200
	v_mul_f64_e32 v[24:25], v[8:9], v[32:33]
	v_add_f64_e32 v[10:11], v[10:11], v[18:19]
	v_add_f64_e32 v[12:13], v[12:13], v[165:166]
	v_mul_f64_e32 v[18:19], v[6:7], v[32:33]
	v_fma_f64 v[14:15], v[4:5], v[26:27], v[14:15]
	v_fma_f64 v[20:21], v[2:3], v[26:27], -v[20:21]
	ds_load_b128 v[2:5], v1 offset:1936
	v_fma_f64 v[6:7], v[6:7], v[30:31], -v[24:25]
	v_add_f64_e32 v[10:11], v[10:11], v[22:23]
	v_add_f64_e32 v[12:13], v[12:13], v[16:17]
	s_wait_loadcnt_dscnt 0x100
	v_mul_f64_e32 v[16:17], v[2:3], v[36:37]
	v_mul_f64_e32 v[22:23], v[4:5], v[36:37]
	v_fma_f64 v[8:9], v[8:9], v[30:31], v[18:19]
	v_add_f64_e32 v[10:11], v[10:11], v[20:21]
	v_add_f64_e32 v[12:13], v[12:13], v[14:15]
	v_fma_f64 v[4:5], v[4:5], v[34:35], v[16:17]
	v_fma_f64 v[2:3], v[2:3], v[34:35], -v[22:23]
	s_delay_alu instid0(VALU_DEP_4) | instskip(NEXT) | instid1(VALU_DEP_4)
	v_add_f64_e32 v[6:7], v[10:11], v[6:7]
	v_add_f64_e32 v[8:9], v[12:13], v[8:9]
	s_delay_alu instid0(VALU_DEP_2) | instskip(NEXT) | instid1(VALU_DEP_2)
	v_add_f64_e32 v[2:3], v[6:7], v[2:3]
	v_add_f64_e32 v[4:5], v[8:9], v[4:5]
	s_wait_loadcnt 0x0
	s_delay_alu instid0(VALU_DEP_2) | instskip(NEXT) | instid1(VALU_DEP_2)
	v_add_f64_e64 v[2:3], v[38:39], -v[2:3]
	v_add_f64_e64 v[4:5], v[40:41], -v[4:5]
	scratch_store_b128 off, v[2:5], off offset:352
	v_cmpx_lt_u32_e32 20, v0
	s_cbranch_execz .LBB60_351
; %bb.350:
	scratch_load_b128 v[5:8], off, s56
	v_dual_mov_b32 v2, v1 :: v_dual_mov_b32 v3, v1
	v_mov_b32_e32 v4, v1
	scratch_store_b128 off, v[1:4], off offset:336
	s_wait_loadcnt 0x0
	ds_store_b128 v164, v[5:8]
.LBB60_351:
	s_wait_alu 0xfffe
	s_or_b32 exec_lo, exec_lo, s0
	s_wait_storecnt_dscnt 0x0
	s_barrier_signal -1
	s_barrier_wait -1
	global_inv scope:SCOPE_SE
	s_clause 0x7
	scratch_load_b128 v[2:5], off, off offset:352
	scratch_load_b128 v[6:9], off, off offset:368
	;; [unrolled: 1-line block ×8, first 2 shown]
	ds_load_b128 v[38:41], v1 offset:1312
	ds_load_b128 v[165:168], v1 offset:1328
	s_clause 0x1
	scratch_load_b128 v[34:37], off, off offset:480
	scratch_load_b128 v[169:172], off, off offset:496
	s_mov_b32 s0, exec_lo
	s_wait_loadcnt_dscnt 0x901
	v_mul_f64_e32 v[173:174], v[40:41], v[4:5]
	v_mul_f64_e32 v[4:5], v[38:39], v[4:5]
	s_wait_loadcnt_dscnt 0x800
	v_mul_f64_e32 v[175:176], v[165:166], v[8:9]
	v_mul_f64_e32 v[8:9], v[167:168], v[8:9]
	s_delay_alu instid0(VALU_DEP_4) | instskip(NEXT) | instid1(VALU_DEP_4)
	v_fma_f64 v[173:174], v[38:39], v[2:3], -v[173:174]
	v_fma_f64 v[177:178], v[40:41], v[2:3], v[4:5]
	ds_load_b128 v[2:5], v1 offset:1344
	scratch_load_b128 v[38:41], off, off offset:512
	v_fma_f64 v[175:176], v[167:168], v[6:7], v[175:176]
	v_fma_f64 v[181:182], v[165:166], v[6:7], -v[8:9]
	ds_load_b128 v[6:9], v1 offset:1360
	scratch_load_b128 v[165:168], off, off offset:528
	s_wait_loadcnt_dscnt 0x901
	v_mul_f64_e32 v[179:180], v[2:3], v[12:13]
	v_mul_f64_e32 v[12:13], v[4:5], v[12:13]
	s_wait_loadcnt_dscnt 0x800
	v_mul_f64_e32 v[183:184], v[6:7], v[16:17]
	v_mul_f64_e32 v[16:17], v[8:9], v[16:17]
	v_add_f64_e32 v[173:174], 0, v[173:174]
	v_add_f64_e32 v[177:178], 0, v[177:178]
	v_fma_f64 v[179:180], v[4:5], v[10:11], v[179:180]
	v_fma_f64 v[185:186], v[2:3], v[10:11], -v[12:13]
	ds_load_b128 v[2:5], v1 offset:1376
	scratch_load_b128 v[10:13], off, off offset:544
	v_add_f64_e32 v[173:174], v[173:174], v[181:182]
	v_add_f64_e32 v[175:176], v[177:178], v[175:176]
	v_fma_f64 v[181:182], v[8:9], v[14:15], v[183:184]
	v_fma_f64 v[183:184], v[6:7], v[14:15], -v[16:17]
	ds_load_b128 v[6:9], v1 offset:1392
	scratch_load_b128 v[14:17], off, off offset:560
	s_wait_loadcnt_dscnt 0x901
	v_mul_f64_e32 v[177:178], v[2:3], v[20:21]
	v_mul_f64_e32 v[20:21], v[4:5], v[20:21]
	v_add_f64_e32 v[173:174], v[173:174], v[185:186]
	v_add_f64_e32 v[175:176], v[175:176], v[179:180]
	s_wait_loadcnt_dscnt 0x800
	v_mul_f64_e32 v[179:180], v[6:7], v[24:25]
	v_mul_f64_e32 v[24:25], v[8:9], v[24:25]
	v_fma_f64 v[177:178], v[4:5], v[18:19], v[177:178]
	v_fma_f64 v[185:186], v[2:3], v[18:19], -v[20:21]
	ds_load_b128 v[2:5], v1 offset:1408
	scratch_load_b128 v[18:21], off, off offset:576
	v_add_f64_e32 v[173:174], v[173:174], v[183:184]
	v_add_f64_e32 v[175:176], v[175:176], v[181:182]
	v_fma_f64 v[179:180], v[8:9], v[22:23], v[179:180]
	v_fma_f64 v[183:184], v[6:7], v[22:23], -v[24:25]
	ds_load_b128 v[6:9], v1 offset:1424
	s_wait_loadcnt_dscnt 0x801
	v_mul_f64_e32 v[181:182], v[2:3], v[28:29]
	v_mul_f64_e32 v[28:29], v[4:5], v[28:29]
	scratch_load_b128 v[22:25], off, off offset:592
	v_add_f64_e32 v[173:174], v[173:174], v[185:186]
	v_add_f64_e32 v[175:176], v[175:176], v[177:178]
	s_wait_loadcnt_dscnt 0x800
	v_mul_f64_e32 v[177:178], v[6:7], v[32:33]
	v_mul_f64_e32 v[32:33], v[8:9], v[32:33]
	v_fma_f64 v[181:182], v[4:5], v[26:27], v[181:182]
	v_fma_f64 v[185:186], v[2:3], v[26:27], -v[28:29]
	ds_load_b128 v[2:5], v1 offset:1440
	scratch_load_b128 v[26:29], off, off offset:608
	v_add_f64_e32 v[173:174], v[173:174], v[183:184]
	v_add_f64_e32 v[175:176], v[175:176], v[179:180]
	v_fma_f64 v[177:178], v[8:9], v[30:31], v[177:178]
	v_fma_f64 v[183:184], v[6:7], v[30:31], -v[32:33]
	ds_load_b128 v[6:9], v1 offset:1456
	s_wait_loadcnt_dscnt 0x801
	v_mul_f64_e32 v[179:180], v[2:3], v[36:37]
	v_mul_f64_e32 v[36:37], v[4:5], v[36:37]
	scratch_load_b128 v[30:33], off, off offset:624
	v_add_f64_e32 v[173:174], v[173:174], v[185:186]
	v_add_f64_e32 v[175:176], v[175:176], v[181:182]
	s_wait_loadcnt_dscnt 0x800
	v_mul_f64_e32 v[181:182], v[6:7], v[171:172]
	v_mul_f64_e32 v[171:172], v[8:9], v[171:172]
	v_fma_f64 v[179:180], v[4:5], v[34:35], v[179:180]
	v_fma_f64 v[185:186], v[2:3], v[34:35], -v[36:37]
	ds_load_b128 v[2:5], v1 offset:1472
	scratch_load_b128 v[34:37], off, off offset:640
	v_add_f64_e32 v[173:174], v[173:174], v[183:184]
	v_add_f64_e32 v[175:176], v[175:176], v[177:178]
	v_fma_f64 v[181:182], v[8:9], v[169:170], v[181:182]
	v_fma_f64 v[183:184], v[6:7], v[169:170], -v[171:172]
	ds_load_b128 v[6:9], v1 offset:1488
	scratch_load_b128 v[169:172], off, off offset:656
	s_wait_loadcnt_dscnt 0x901
	v_mul_f64_e32 v[177:178], v[2:3], v[40:41]
	v_mul_f64_e32 v[40:41], v[4:5], v[40:41]
	v_add_f64_e32 v[173:174], v[173:174], v[185:186]
	v_add_f64_e32 v[175:176], v[175:176], v[179:180]
	s_wait_loadcnt_dscnt 0x800
	v_mul_f64_e32 v[179:180], v[6:7], v[167:168]
	v_mul_f64_e32 v[167:168], v[8:9], v[167:168]
	v_fma_f64 v[177:178], v[4:5], v[38:39], v[177:178]
	v_fma_f64 v[185:186], v[2:3], v[38:39], -v[40:41]
	ds_load_b128 v[2:5], v1 offset:1504
	scratch_load_b128 v[38:41], off, off offset:672
	v_add_f64_e32 v[173:174], v[173:174], v[183:184]
	v_add_f64_e32 v[175:176], v[175:176], v[181:182]
	v_fma_f64 v[179:180], v[8:9], v[165:166], v[179:180]
	v_fma_f64 v[183:184], v[6:7], v[165:166], -v[167:168]
	ds_load_b128 v[6:9], v1 offset:1520
	s_wait_loadcnt_dscnt 0x801
	v_mul_f64_e32 v[181:182], v[2:3], v[12:13]
	v_mul_f64_e32 v[12:13], v[4:5], v[12:13]
	scratch_load_b128 v[165:168], off, off offset:688
	v_add_f64_e32 v[173:174], v[173:174], v[185:186]
	v_add_f64_e32 v[175:176], v[175:176], v[177:178]
	s_wait_loadcnt_dscnt 0x800
	v_mul_f64_e32 v[177:178], v[6:7], v[16:17]
	v_mul_f64_e32 v[16:17], v[8:9], v[16:17]
	v_fma_f64 v[181:182], v[4:5], v[10:11], v[181:182]
	v_fma_f64 v[185:186], v[2:3], v[10:11], -v[12:13]
	scratch_load_b128 v[10:13], off, off offset:704
	ds_load_b128 v[2:5], v1 offset:1536
	v_add_f64_e32 v[173:174], v[173:174], v[183:184]
	v_add_f64_e32 v[175:176], v[175:176], v[179:180]
	v_fma_f64 v[177:178], v[8:9], v[14:15], v[177:178]
	v_fma_f64 v[183:184], v[6:7], v[14:15], -v[16:17]
	ds_load_b128 v[6:9], v1 offset:1552
	s_wait_loadcnt_dscnt 0x801
	v_mul_f64_e32 v[179:180], v[2:3], v[20:21]
	v_mul_f64_e32 v[20:21], v[4:5], v[20:21]
	scratch_load_b128 v[14:17], off, off offset:720
	v_add_f64_e32 v[173:174], v[173:174], v[185:186]
	v_add_f64_e32 v[175:176], v[175:176], v[181:182]
	s_wait_loadcnt_dscnt 0x800
	v_mul_f64_e32 v[181:182], v[6:7], v[24:25]
	v_mul_f64_e32 v[24:25], v[8:9], v[24:25]
	v_fma_f64 v[179:180], v[4:5], v[18:19], v[179:180]
	v_fma_f64 v[185:186], v[2:3], v[18:19], -v[20:21]
	ds_load_b128 v[2:5], v1 offset:1568
	scratch_load_b128 v[18:21], off, off offset:736
	v_add_f64_e32 v[173:174], v[173:174], v[183:184]
	v_add_f64_e32 v[175:176], v[175:176], v[177:178]
	v_fma_f64 v[181:182], v[8:9], v[22:23], v[181:182]
	v_fma_f64 v[183:184], v[6:7], v[22:23], -v[24:25]
	ds_load_b128 v[6:9], v1 offset:1584
	s_wait_loadcnt_dscnt 0x801
	v_mul_f64_e32 v[177:178], v[2:3], v[28:29]
	v_mul_f64_e32 v[28:29], v[4:5], v[28:29]
	scratch_load_b128 v[22:25], off, off offset:752
	v_add_f64_e32 v[173:174], v[173:174], v[185:186]
	v_add_f64_e32 v[175:176], v[175:176], v[179:180]
	s_wait_loadcnt_dscnt 0x800
	v_mul_f64_e32 v[179:180], v[6:7], v[32:33]
	v_mul_f64_e32 v[32:33], v[8:9], v[32:33]
	v_fma_f64 v[177:178], v[4:5], v[26:27], v[177:178]
	v_fma_f64 v[185:186], v[2:3], v[26:27], -v[28:29]
	ds_load_b128 v[2:5], v1 offset:1600
	scratch_load_b128 v[26:29], off, off offset:768
	v_add_f64_e32 v[173:174], v[173:174], v[183:184]
	v_add_f64_e32 v[175:176], v[175:176], v[181:182]
	v_fma_f64 v[179:180], v[8:9], v[30:31], v[179:180]
	v_fma_f64 v[183:184], v[6:7], v[30:31], -v[32:33]
	ds_load_b128 v[6:9], v1 offset:1616
	s_wait_loadcnt_dscnt 0x801
	v_mul_f64_e32 v[181:182], v[2:3], v[36:37]
	v_mul_f64_e32 v[36:37], v[4:5], v[36:37]
	scratch_load_b128 v[30:33], off, off offset:784
	v_add_f64_e32 v[173:174], v[173:174], v[185:186]
	v_add_f64_e32 v[175:176], v[175:176], v[177:178]
	s_wait_loadcnt_dscnt 0x800
	v_mul_f64_e32 v[177:178], v[6:7], v[171:172]
	v_mul_f64_e32 v[171:172], v[8:9], v[171:172]
	v_fma_f64 v[181:182], v[4:5], v[34:35], v[181:182]
	v_fma_f64 v[185:186], v[2:3], v[34:35], -v[36:37]
	ds_load_b128 v[2:5], v1 offset:1632
	scratch_load_b128 v[34:37], off, off offset:800
	v_add_f64_e32 v[173:174], v[173:174], v[183:184]
	v_add_f64_e32 v[175:176], v[175:176], v[179:180]
	v_fma_f64 v[177:178], v[8:9], v[169:170], v[177:178]
	v_fma_f64 v[183:184], v[6:7], v[169:170], -v[171:172]
	ds_load_b128 v[6:9], v1 offset:1648
	s_wait_loadcnt_dscnt 0x801
	v_mul_f64_e32 v[179:180], v[2:3], v[40:41]
	v_mul_f64_e32 v[40:41], v[4:5], v[40:41]
	scratch_load_b128 v[169:172], off, off offset:816
	v_add_f64_e32 v[173:174], v[173:174], v[185:186]
	v_add_f64_e32 v[175:176], v[175:176], v[181:182]
	s_wait_loadcnt_dscnt 0x800
	v_mul_f64_e32 v[181:182], v[6:7], v[167:168]
	v_mul_f64_e32 v[167:168], v[8:9], v[167:168]
	v_fma_f64 v[179:180], v[4:5], v[38:39], v[179:180]
	v_fma_f64 v[185:186], v[2:3], v[38:39], -v[40:41]
	ds_load_b128 v[2:5], v1 offset:1664
	scratch_load_b128 v[38:41], off, off offset:832
	v_add_f64_e32 v[173:174], v[173:174], v[183:184]
	v_add_f64_e32 v[175:176], v[175:176], v[177:178]
	v_fma_f64 v[181:182], v[8:9], v[165:166], v[181:182]
	v_fma_f64 v[183:184], v[6:7], v[165:166], -v[167:168]
	ds_load_b128 v[6:9], v1 offset:1680
	s_wait_loadcnt_dscnt 0x801
	v_mul_f64_e32 v[177:178], v[2:3], v[12:13]
	v_mul_f64_e32 v[12:13], v[4:5], v[12:13]
	scratch_load_b128 v[165:168], off, off offset:848
	v_add_f64_e32 v[173:174], v[173:174], v[185:186]
	v_add_f64_e32 v[175:176], v[175:176], v[179:180]
	s_wait_loadcnt_dscnt 0x800
	v_mul_f64_e32 v[179:180], v[6:7], v[16:17]
	v_mul_f64_e32 v[16:17], v[8:9], v[16:17]
	v_fma_f64 v[177:178], v[4:5], v[10:11], v[177:178]
	v_fma_f64 v[185:186], v[2:3], v[10:11], -v[12:13]
	scratch_load_b128 v[10:13], off, off offset:864
	ds_load_b128 v[2:5], v1 offset:1696
	v_add_f64_e32 v[173:174], v[173:174], v[183:184]
	v_add_f64_e32 v[175:176], v[175:176], v[181:182]
	v_fma_f64 v[179:180], v[8:9], v[14:15], v[179:180]
	v_fma_f64 v[183:184], v[6:7], v[14:15], -v[16:17]
	ds_load_b128 v[6:9], v1 offset:1712
	s_wait_loadcnt_dscnt 0x801
	v_mul_f64_e32 v[181:182], v[2:3], v[20:21]
	v_mul_f64_e32 v[20:21], v[4:5], v[20:21]
	scratch_load_b128 v[14:17], off, off offset:880
	v_add_f64_e32 v[173:174], v[173:174], v[185:186]
	v_add_f64_e32 v[175:176], v[175:176], v[177:178]
	s_wait_loadcnt_dscnt 0x800
	v_mul_f64_e32 v[177:178], v[6:7], v[24:25]
	v_mul_f64_e32 v[24:25], v[8:9], v[24:25]
	v_fma_f64 v[181:182], v[4:5], v[18:19], v[181:182]
	v_fma_f64 v[185:186], v[2:3], v[18:19], -v[20:21]
	ds_load_b128 v[2:5], v1 offset:1728
	scratch_load_b128 v[18:21], off, off offset:896
	v_add_f64_e32 v[173:174], v[173:174], v[183:184]
	v_add_f64_e32 v[175:176], v[175:176], v[179:180]
	v_fma_f64 v[177:178], v[8:9], v[22:23], v[177:178]
	v_fma_f64 v[183:184], v[6:7], v[22:23], -v[24:25]
	ds_load_b128 v[6:9], v1 offset:1744
	s_wait_loadcnt_dscnt 0x801
	v_mul_f64_e32 v[179:180], v[2:3], v[28:29]
	v_mul_f64_e32 v[28:29], v[4:5], v[28:29]
	scratch_load_b128 v[22:25], off, off offset:912
	v_add_f64_e32 v[173:174], v[173:174], v[185:186]
	v_add_f64_e32 v[175:176], v[175:176], v[181:182]
	s_wait_loadcnt_dscnt 0x800
	v_mul_f64_e32 v[181:182], v[6:7], v[32:33]
	v_mul_f64_e32 v[32:33], v[8:9], v[32:33]
	v_fma_f64 v[179:180], v[4:5], v[26:27], v[179:180]
	v_fma_f64 v[185:186], v[2:3], v[26:27], -v[28:29]
	ds_load_b128 v[2:5], v1 offset:1760
	scratch_load_b128 v[26:29], off, off offset:928
	;; [unrolled: 18-line block ×3, first 2 shown]
	v_add_f64_e32 v[173:174], v[173:174], v[183:184]
	v_add_f64_e32 v[175:176], v[175:176], v[181:182]
	v_fma_f64 v[179:180], v[8:9], v[169:170], v[179:180]
	v_fma_f64 v[183:184], v[6:7], v[169:170], -v[171:172]
	ds_load_b128 v[6:9], v1 offset:1808
	s_wait_loadcnt_dscnt 0x801
	v_mul_f64_e32 v[181:182], v[2:3], v[40:41]
	v_mul_f64_e32 v[40:41], v[4:5], v[40:41]
	scratch_load_b128 v[169:172], off, off offset:976
	v_add_f64_e32 v[173:174], v[173:174], v[185:186]
	v_add_f64_e32 v[175:176], v[175:176], v[177:178]
	v_fma_f64 v[181:182], v[4:5], v[38:39], v[181:182]
	v_fma_f64 v[38:39], v[2:3], v[38:39], -v[40:41]
	ds_load_b128 v[2:5], v1 offset:1824
	v_add_f64_e32 v[40:41], v[173:174], v[183:184]
	v_add_f64_e32 v[173:174], v[175:176], v[179:180]
	s_wait_loadcnt_dscnt 0x700
	v_mul_f64_e32 v[175:176], v[2:3], v[12:13]
	v_mul_f64_e32 v[12:13], v[4:5], v[12:13]
	s_delay_alu instid0(VALU_DEP_4) | instskip(NEXT) | instid1(VALU_DEP_4)
	v_add_f64_e32 v[38:39], v[40:41], v[38:39]
	v_add_f64_e32 v[40:41], v[173:174], v[181:182]
	s_delay_alu instid0(VALU_DEP_4) | instskip(NEXT) | instid1(VALU_DEP_4)
	v_fma_f64 v[173:174], v[4:5], v[10:11], v[175:176]
	v_fma_f64 v[175:176], v[2:3], v[10:11], -v[12:13]
	scratch_load_b128 v[10:13], off, off offset:336
	v_mul_f64_e32 v[177:178], v[6:7], v[167:168]
	v_mul_f64_e32 v[167:168], v[8:9], v[167:168]
	ds_load_b128 v[2:5], v1 offset:1856
	v_fma_f64 v[177:178], v[8:9], v[165:166], v[177:178]
	v_fma_f64 v[165:166], v[6:7], v[165:166], -v[167:168]
	ds_load_b128 v[6:9], v1 offset:1840
	s_wait_loadcnt_dscnt 0x700
	v_mul_f64_e32 v[167:168], v[6:7], v[16:17]
	v_mul_f64_e32 v[16:17], v[8:9], v[16:17]
	v_add_f64_e32 v[40:41], v[40:41], v[177:178]
	v_add_f64_e32 v[38:39], v[38:39], v[165:166]
	s_wait_loadcnt 0x6
	v_mul_f64_e32 v[165:166], v[2:3], v[20:21]
	v_mul_f64_e32 v[20:21], v[4:5], v[20:21]
	v_fma_f64 v[167:168], v[8:9], v[14:15], v[167:168]
	v_fma_f64 v[14:15], v[6:7], v[14:15], -v[16:17]
	ds_load_b128 v[6:9], v1 offset:1872
	v_add_f64_e32 v[16:17], v[38:39], v[175:176]
	v_add_f64_e32 v[38:39], v[40:41], v[173:174]
	v_fma_f64 v[165:166], v[4:5], v[18:19], v[165:166]
	v_fma_f64 v[18:19], v[2:3], v[18:19], -v[20:21]
	ds_load_b128 v[2:5], v1 offset:1888
	s_wait_loadcnt_dscnt 0x501
	v_mul_f64_e32 v[40:41], v[6:7], v[24:25]
	v_mul_f64_e32 v[24:25], v[8:9], v[24:25]
	s_wait_loadcnt_dscnt 0x400
	v_mul_f64_e32 v[20:21], v[2:3], v[28:29]
	v_mul_f64_e32 v[28:29], v[4:5], v[28:29]
	v_add_f64_e32 v[14:15], v[16:17], v[14:15]
	v_add_f64_e32 v[16:17], v[38:39], v[167:168]
	v_fma_f64 v[38:39], v[8:9], v[22:23], v[40:41]
	v_fma_f64 v[22:23], v[6:7], v[22:23], -v[24:25]
	ds_load_b128 v[6:9], v1 offset:1904
	v_fma_f64 v[20:21], v[4:5], v[26:27], v[20:21]
	v_fma_f64 v[26:27], v[2:3], v[26:27], -v[28:29]
	ds_load_b128 v[2:5], v1 offset:1920
	s_wait_loadcnt_dscnt 0x301
	v_mul_f64_e32 v[24:25], v[8:9], v[32:33]
	v_add_f64_e32 v[14:15], v[14:15], v[18:19]
	v_add_f64_e32 v[16:17], v[16:17], v[165:166]
	v_mul_f64_e32 v[18:19], v[6:7], v[32:33]
	s_wait_loadcnt_dscnt 0x200
	v_mul_f64_e32 v[28:29], v[4:5], v[36:37]
	v_fma_f64 v[24:25], v[6:7], v[30:31], -v[24:25]
	v_add_f64_e32 v[14:15], v[14:15], v[22:23]
	v_add_f64_e32 v[16:17], v[16:17], v[38:39]
	v_mul_f64_e32 v[22:23], v[2:3], v[36:37]
	v_fma_f64 v[18:19], v[8:9], v[30:31], v[18:19]
	ds_load_b128 v[6:9], v1 offset:1936
	v_fma_f64 v[1:2], v[2:3], v[34:35], -v[28:29]
	v_add_f64_e32 v[14:15], v[14:15], v[26:27]
	v_add_f64_e32 v[16:17], v[16:17], v[20:21]
	s_wait_loadcnt_dscnt 0x100
	v_mul_f64_e32 v[20:21], v[6:7], v[171:172]
	v_mul_f64_e32 v[26:27], v[8:9], v[171:172]
	v_fma_f64 v[4:5], v[4:5], v[34:35], v[22:23]
	v_add_f64_e32 v[14:15], v[14:15], v[24:25]
	v_add_f64_e32 v[16:17], v[16:17], v[18:19]
	v_fma_f64 v[8:9], v[8:9], v[169:170], v[20:21]
	v_fma_f64 v[6:7], v[6:7], v[169:170], -v[26:27]
	s_delay_alu instid0(VALU_DEP_4) | instskip(NEXT) | instid1(VALU_DEP_4)
	v_add_f64_e32 v[1:2], v[14:15], v[1:2]
	v_add_f64_e32 v[3:4], v[16:17], v[4:5]
	s_delay_alu instid0(VALU_DEP_2) | instskip(NEXT) | instid1(VALU_DEP_2)
	v_add_f64_e32 v[1:2], v[1:2], v[6:7]
	v_add_f64_e32 v[3:4], v[3:4], v[8:9]
	s_wait_loadcnt 0x0
	s_delay_alu instid0(VALU_DEP_2) | instskip(NEXT) | instid1(VALU_DEP_2)
	v_add_f64_e64 v[1:2], v[10:11], -v[1:2]
	v_add_f64_e64 v[3:4], v[12:13], -v[3:4]
	scratch_store_b128 off, v[1:4], off offset:336
	v_cmpx_lt_u32_e32 19, v0
	s_cbranch_execz .LBB60_353
; %bb.352:
	scratch_load_b128 v[1:4], off, s57
	v_mov_b32_e32 v5, 0
	s_delay_alu instid0(VALU_DEP_1)
	v_dual_mov_b32 v6, v5 :: v_dual_mov_b32 v7, v5
	v_mov_b32_e32 v8, v5
	scratch_store_b128 off, v[5:8], off offset:320
	s_wait_loadcnt 0x0
	ds_store_b128 v164, v[1:4]
.LBB60_353:
	s_wait_alu 0xfffe
	s_or_b32 exec_lo, exec_lo, s0
	s_wait_storecnt_dscnt 0x0
	s_barrier_signal -1
	s_barrier_wait -1
	global_inv scope:SCOPE_SE
	s_clause 0x7
	scratch_load_b128 v[2:5], off, off offset:336
	scratch_load_b128 v[6:9], off, off offset:352
	;; [unrolled: 1-line block ×8, first 2 shown]
	v_mov_b32_e32 v1, 0
	s_clause 0x1
	scratch_load_b128 v[34:37], off, off offset:464
	scratch_load_b128 v[169:172], off, off offset:480
	s_mov_b32 s0, exec_lo
	ds_load_b128 v[38:41], v1 offset:1296
	ds_load_b128 v[165:168], v1 offset:1312
	s_wait_loadcnt_dscnt 0x901
	v_mul_f64_e32 v[173:174], v[40:41], v[4:5]
	v_mul_f64_e32 v[4:5], v[38:39], v[4:5]
	s_wait_loadcnt_dscnt 0x800
	v_mul_f64_e32 v[175:176], v[165:166], v[8:9]
	v_mul_f64_e32 v[8:9], v[167:168], v[8:9]
	s_delay_alu instid0(VALU_DEP_4) | instskip(NEXT) | instid1(VALU_DEP_4)
	v_fma_f64 v[173:174], v[38:39], v[2:3], -v[173:174]
	v_fma_f64 v[177:178], v[40:41], v[2:3], v[4:5]
	ds_load_b128 v[2:5], v1 offset:1328
	scratch_load_b128 v[38:41], off, off offset:496
	v_fma_f64 v[175:176], v[167:168], v[6:7], v[175:176]
	v_fma_f64 v[181:182], v[165:166], v[6:7], -v[8:9]
	ds_load_b128 v[6:9], v1 offset:1344
	scratch_load_b128 v[165:168], off, off offset:512
	s_wait_loadcnt_dscnt 0x901
	v_mul_f64_e32 v[179:180], v[2:3], v[12:13]
	v_mul_f64_e32 v[12:13], v[4:5], v[12:13]
	s_wait_loadcnt_dscnt 0x800
	v_mul_f64_e32 v[183:184], v[6:7], v[16:17]
	v_mul_f64_e32 v[16:17], v[8:9], v[16:17]
	v_add_f64_e32 v[173:174], 0, v[173:174]
	v_add_f64_e32 v[177:178], 0, v[177:178]
	v_fma_f64 v[179:180], v[4:5], v[10:11], v[179:180]
	v_fma_f64 v[185:186], v[2:3], v[10:11], -v[12:13]
	ds_load_b128 v[2:5], v1 offset:1360
	scratch_load_b128 v[10:13], off, off offset:528
	v_add_f64_e32 v[173:174], v[173:174], v[181:182]
	v_add_f64_e32 v[175:176], v[177:178], v[175:176]
	v_fma_f64 v[181:182], v[8:9], v[14:15], v[183:184]
	v_fma_f64 v[183:184], v[6:7], v[14:15], -v[16:17]
	ds_load_b128 v[6:9], v1 offset:1376
	scratch_load_b128 v[14:17], off, off offset:544
	s_wait_loadcnt_dscnt 0x901
	v_mul_f64_e32 v[177:178], v[2:3], v[20:21]
	v_mul_f64_e32 v[20:21], v[4:5], v[20:21]
	v_add_f64_e32 v[173:174], v[173:174], v[185:186]
	v_add_f64_e32 v[175:176], v[175:176], v[179:180]
	s_wait_loadcnt_dscnt 0x800
	v_mul_f64_e32 v[179:180], v[6:7], v[24:25]
	v_mul_f64_e32 v[24:25], v[8:9], v[24:25]
	v_fma_f64 v[177:178], v[4:5], v[18:19], v[177:178]
	v_fma_f64 v[185:186], v[2:3], v[18:19], -v[20:21]
	ds_load_b128 v[2:5], v1 offset:1392
	scratch_load_b128 v[18:21], off, off offset:560
	v_add_f64_e32 v[173:174], v[173:174], v[183:184]
	v_add_f64_e32 v[175:176], v[175:176], v[181:182]
	v_fma_f64 v[179:180], v[8:9], v[22:23], v[179:180]
	v_fma_f64 v[183:184], v[6:7], v[22:23], -v[24:25]
	ds_load_b128 v[6:9], v1 offset:1408
	s_wait_loadcnt_dscnt 0x801
	v_mul_f64_e32 v[181:182], v[2:3], v[28:29]
	v_mul_f64_e32 v[28:29], v[4:5], v[28:29]
	scratch_load_b128 v[22:25], off, off offset:576
	v_add_f64_e32 v[173:174], v[173:174], v[185:186]
	v_add_f64_e32 v[175:176], v[175:176], v[177:178]
	s_wait_loadcnt_dscnt 0x800
	v_mul_f64_e32 v[177:178], v[6:7], v[32:33]
	v_mul_f64_e32 v[32:33], v[8:9], v[32:33]
	v_fma_f64 v[181:182], v[4:5], v[26:27], v[181:182]
	v_fma_f64 v[185:186], v[2:3], v[26:27], -v[28:29]
	ds_load_b128 v[2:5], v1 offset:1424
	scratch_load_b128 v[26:29], off, off offset:592
	v_add_f64_e32 v[173:174], v[173:174], v[183:184]
	v_add_f64_e32 v[175:176], v[175:176], v[179:180]
	v_fma_f64 v[177:178], v[8:9], v[30:31], v[177:178]
	v_fma_f64 v[183:184], v[6:7], v[30:31], -v[32:33]
	ds_load_b128 v[6:9], v1 offset:1440
	s_wait_loadcnt_dscnt 0x801
	v_mul_f64_e32 v[179:180], v[2:3], v[36:37]
	v_mul_f64_e32 v[36:37], v[4:5], v[36:37]
	scratch_load_b128 v[30:33], off, off offset:608
	v_add_f64_e32 v[173:174], v[173:174], v[185:186]
	v_add_f64_e32 v[175:176], v[175:176], v[181:182]
	s_wait_loadcnt_dscnt 0x800
	v_mul_f64_e32 v[181:182], v[6:7], v[171:172]
	v_mul_f64_e32 v[171:172], v[8:9], v[171:172]
	v_fma_f64 v[179:180], v[4:5], v[34:35], v[179:180]
	v_fma_f64 v[185:186], v[2:3], v[34:35], -v[36:37]
	ds_load_b128 v[2:5], v1 offset:1456
	scratch_load_b128 v[34:37], off, off offset:624
	v_add_f64_e32 v[173:174], v[173:174], v[183:184]
	v_add_f64_e32 v[175:176], v[175:176], v[177:178]
	v_fma_f64 v[181:182], v[8:9], v[169:170], v[181:182]
	v_fma_f64 v[183:184], v[6:7], v[169:170], -v[171:172]
	ds_load_b128 v[6:9], v1 offset:1472
	scratch_load_b128 v[169:172], off, off offset:640
	s_wait_loadcnt_dscnt 0x901
	v_mul_f64_e32 v[177:178], v[2:3], v[40:41]
	v_mul_f64_e32 v[40:41], v[4:5], v[40:41]
	v_add_f64_e32 v[173:174], v[173:174], v[185:186]
	v_add_f64_e32 v[175:176], v[175:176], v[179:180]
	s_wait_loadcnt_dscnt 0x800
	v_mul_f64_e32 v[179:180], v[6:7], v[167:168]
	v_mul_f64_e32 v[167:168], v[8:9], v[167:168]
	v_fma_f64 v[177:178], v[4:5], v[38:39], v[177:178]
	v_fma_f64 v[185:186], v[2:3], v[38:39], -v[40:41]
	ds_load_b128 v[2:5], v1 offset:1488
	scratch_load_b128 v[38:41], off, off offset:656
	v_add_f64_e32 v[173:174], v[173:174], v[183:184]
	v_add_f64_e32 v[175:176], v[175:176], v[181:182]
	v_fma_f64 v[179:180], v[8:9], v[165:166], v[179:180]
	v_fma_f64 v[183:184], v[6:7], v[165:166], -v[167:168]
	ds_load_b128 v[6:9], v1 offset:1504
	s_wait_loadcnt_dscnt 0x801
	v_mul_f64_e32 v[181:182], v[2:3], v[12:13]
	v_mul_f64_e32 v[12:13], v[4:5], v[12:13]
	scratch_load_b128 v[165:168], off, off offset:672
	v_add_f64_e32 v[173:174], v[173:174], v[185:186]
	v_add_f64_e32 v[175:176], v[175:176], v[177:178]
	s_wait_loadcnt_dscnt 0x800
	v_mul_f64_e32 v[177:178], v[6:7], v[16:17]
	v_mul_f64_e32 v[16:17], v[8:9], v[16:17]
	v_fma_f64 v[181:182], v[4:5], v[10:11], v[181:182]
	v_fma_f64 v[185:186], v[2:3], v[10:11], -v[12:13]
	ds_load_b128 v[2:5], v1 offset:1520
	scratch_load_b128 v[10:13], off, off offset:688
	v_add_f64_e32 v[173:174], v[173:174], v[183:184]
	v_add_f64_e32 v[175:176], v[175:176], v[179:180]
	v_fma_f64 v[177:178], v[8:9], v[14:15], v[177:178]
	v_fma_f64 v[183:184], v[6:7], v[14:15], -v[16:17]
	ds_load_b128 v[6:9], v1 offset:1536
	s_wait_loadcnt_dscnt 0x801
	v_mul_f64_e32 v[179:180], v[2:3], v[20:21]
	v_mul_f64_e32 v[20:21], v[4:5], v[20:21]
	scratch_load_b128 v[14:17], off, off offset:704
	;; [unrolled: 18-line block ×10, first 2 shown]
	v_add_f64_e32 v[173:174], v[173:174], v[185:186]
	v_add_f64_e32 v[175:176], v[175:176], v[177:178]
	s_wait_loadcnt_dscnt 0x800
	v_mul_f64_e32 v[177:178], v[6:7], v[167:168]
	v_mul_f64_e32 v[167:168], v[8:9], v[167:168]
	v_fma_f64 v[181:182], v[4:5], v[38:39], v[181:182]
	v_fma_f64 v[185:186], v[2:3], v[38:39], -v[40:41]
	ds_load_b128 v[2:5], v1 offset:1808
	scratch_load_b128 v[38:41], off, off offset:976
	v_add_f64_e32 v[173:174], v[173:174], v[183:184]
	v_add_f64_e32 v[175:176], v[175:176], v[179:180]
	v_fma_f64 v[177:178], v[8:9], v[165:166], v[177:178]
	v_fma_f64 v[165:166], v[6:7], v[165:166], -v[167:168]
	ds_load_b128 v[6:9], v1 offset:1824
	s_wait_loadcnt_dscnt 0x801
	v_mul_f64_e32 v[179:180], v[2:3], v[12:13]
	v_mul_f64_e32 v[12:13], v[4:5], v[12:13]
	v_add_f64_e32 v[167:168], v[173:174], v[185:186]
	v_add_f64_e32 v[173:174], v[175:176], v[181:182]
	s_wait_loadcnt_dscnt 0x700
	v_mul_f64_e32 v[175:176], v[6:7], v[16:17]
	v_mul_f64_e32 v[16:17], v[8:9], v[16:17]
	v_fma_f64 v[179:180], v[4:5], v[10:11], v[179:180]
	v_fma_f64 v[10:11], v[2:3], v[10:11], -v[12:13]
	ds_load_b128 v[2:5], v1 offset:1840
	v_add_f64_e32 v[12:13], v[167:168], v[165:166]
	v_add_f64_e32 v[165:166], v[173:174], v[177:178]
	v_fma_f64 v[173:174], v[8:9], v[14:15], v[175:176]
	v_fma_f64 v[14:15], v[6:7], v[14:15], -v[16:17]
	ds_load_b128 v[6:9], v1 offset:1856
	s_wait_loadcnt_dscnt 0x500
	v_mul_f64_e32 v[175:176], v[6:7], v[24:25]
	v_mul_f64_e32 v[24:25], v[8:9], v[24:25]
	v_add_f64_e32 v[16:17], v[12:13], v[10:11]
	v_add_f64_e32 v[165:166], v[165:166], v[179:180]
	scratch_load_b128 v[10:13], off, off offset:320
	v_mul_f64_e32 v[167:168], v[2:3], v[20:21]
	v_mul_f64_e32 v[20:21], v[4:5], v[20:21]
	v_add_f64_e32 v[14:15], v[16:17], v[14:15]
	v_add_f64_e32 v[16:17], v[165:166], v[173:174]
	v_fma_f64 v[165:166], v[8:9], v[22:23], v[175:176]
	v_fma_f64 v[167:168], v[4:5], v[18:19], v[167:168]
	v_fma_f64 v[18:19], v[2:3], v[18:19], -v[20:21]
	ds_load_b128 v[2:5], v1 offset:1872
	v_fma_f64 v[22:23], v[6:7], v[22:23], -v[24:25]
	ds_load_b128 v[6:9], v1 offset:1888
	s_wait_loadcnt_dscnt 0x501
	v_mul_f64_e32 v[20:21], v[2:3], v[28:29]
	v_mul_f64_e32 v[28:29], v[4:5], v[28:29]
	s_wait_loadcnt_dscnt 0x400
	v_mul_f64_e32 v[24:25], v[8:9], v[32:33]
	v_add_f64_e32 v[16:17], v[16:17], v[167:168]
	v_add_f64_e32 v[14:15], v[14:15], v[18:19]
	v_mul_f64_e32 v[18:19], v[6:7], v[32:33]
	v_fma_f64 v[20:21], v[4:5], v[26:27], v[20:21]
	v_fma_f64 v[26:27], v[2:3], v[26:27], -v[28:29]
	ds_load_b128 v[2:5], v1 offset:1904
	v_fma_f64 v[24:25], v[6:7], v[30:31], -v[24:25]
	v_add_f64_e32 v[16:17], v[16:17], v[165:166]
	v_add_f64_e32 v[14:15], v[14:15], v[22:23]
	v_fma_f64 v[18:19], v[8:9], v[30:31], v[18:19]
	ds_load_b128 v[6:9], v1 offset:1920
	s_wait_loadcnt_dscnt 0x301
	v_mul_f64_e32 v[22:23], v[2:3], v[36:37]
	v_mul_f64_e32 v[28:29], v[4:5], v[36:37]
	v_add_f64_e32 v[16:17], v[16:17], v[20:21]
	v_add_f64_e32 v[14:15], v[14:15], v[26:27]
	s_wait_loadcnt_dscnt 0x200
	v_mul_f64_e32 v[20:21], v[6:7], v[171:172]
	v_mul_f64_e32 v[26:27], v[8:9], v[171:172]
	v_fma_f64 v[22:23], v[4:5], v[34:35], v[22:23]
	v_fma_f64 v[28:29], v[2:3], v[34:35], -v[28:29]
	ds_load_b128 v[2:5], v1 offset:1936
	v_add_f64_e32 v[16:17], v[16:17], v[18:19]
	v_add_f64_e32 v[14:15], v[14:15], v[24:25]
	s_wait_loadcnt_dscnt 0x100
	v_mul_f64_e32 v[18:19], v[2:3], v[40:41]
	v_mul_f64_e32 v[24:25], v[4:5], v[40:41]
	v_fma_f64 v[8:9], v[8:9], v[169:170], v[20:21]
	v_fma_f64 v[6:7], v[6:7], v[169:170], -v[26:27]
	v_add_f64_e32 v[16:17], v[16:17], v[22:23]
	v_add_f64_e32 v[14:15], v[14:15], v[28:29]
	v_fma_f64 v[4:5], v[4:5], v[38:39], v[18:19]
	v_fma_f64 v[2:3], v[2:3], v[38:39], -v[24:25]
	s_delay_alu instid0(VALU_DEP_4) | instskip(NEXT) | instid1(VALU_DEP_4)
	v_add_f64_e32 v[8:9], v[16:17], v[8:9]
	v_add_f64_e32 v[6:7], v[14:15], v[6:7]
	s_delay_alu instid0(VALU_DEP_2) | instskip(NEXT) | instid1(VALU_DEP_2)
	v_add_f64_e32 v[4:5], v[8:9], v[4:5]
	v_add_f64_e32 v[2:3], v[6:7], v[2:3]
	s_wait_loadcnt 0x0
	s_delay_alu instid0(VALU_DEP_2) | instskip(NEXT) | instid1(VALU_DEP_2)
	v_add_f64_e64 v[4:5], v[12:13], -v[4:5]
	v_add_f64_e64 v[2:3], v[10:11], -v[2:3]
	scratch_store_b128 off, v[2:5], off offset:320
	v_cmpx_lt_u32_e32 18, v0
	s_cbranch_execz .LBB60_355
; %bb.354:
	scratch_load_b128 v[5:8], off, s58
	v_dual_mov_b32 v2, v1 :: v_dual_mov_b32 v3, v1
	v_mov_b32_e32 v4, v1
	scratch_store_b128 off, v[1:4], off offset:304
	s_wait_loadcnt 0x0
	ds_store_b128 v164, v[5:8]
.LBB60_355:
	s_wait_alu 0xfffe
	s_or_b32 exec_lo, exec_lo, s0
	s_wait_storecnt_dscnt 0x0
	s_barrier_signal -1
	s_barrier_wait -1
	global_inv scope:SCOPE_SE
	s_clause 0x7
	scratch_load_b128 v[2:5], off, off offset:320
	scratch_load_b128 v[6:9], off, off offset:336
	;; [unrolled: 1-line block ×8, first 2 shown]
	ds_load_b128 v[38:41], v1 offset:1280
	ds_load_b128 v[165:168], v1 offset:1296
	s_clause 0x1
	scratch_load_b128 v[34:37], off, off offset:448
	scratch_load_b128 v[169:172], off, off offset:464
	s_mov_b32 s0, exec_lo
	s_wait_loadcnt_dscnt 0x901
	v_mul_f64_e32 v[173:174], v[40:41], v[4:5]
	v_mul_f64_e32 v[4:5], v[38:39], v[4:5]
	s_wait_loadcnt_dscnt 0x800
	v_mul_f64_e32 v[175:176], v[165:166], v[8:9]
	v_mul_f64_e32 v[8:9], v[167:168], v[8:9]
	s_delay_alu instid0(VALU_DEP_4) | instskip(NEXT) | instid1(VALU_DEP_4)
	v_fma_f64 v[173:174], v[38:39], v[2:3], -v[173:174]
	v_fma_f64 v[177:178], v[40:41], v[2:3], v[4:5]
	ds_load_b128 v[2:5], v1 offset:1312
	scratch_load_b128 v[38:41], off, off offset:480
	v_fma_f64 v[175:176], v[167:168], v[6:7], v[175:176]
	v_fma_f64 v[181:182], v[165:166], v[6:7], -v[8:9]
	ds_load_b128 v[6:9], v1 offset:1328
	scratch_load_b128 v[165:168], off, off offset:496
	s_wait_loadcnt_dscnt 0x901
	v_mul_f64_e32 v[179:180], v[2:3], v[12:13]
	v_mul_f64_e32 v[12:13], v[4:5], v[12:13]
	s_wait_loadcnt_dscnt 0x800
	v_mul_f64_e32 v[183:184], v[6:7], v[16:17]
	v_mul_f64_e32 v[16:17], v[8:9], v[16:17]
	v_add_f64_e32 v[173:174], 0, v[173:174]
	v_add_f64_e32 v[177:178], 0, v[177:178]
	v_fma_f64 v[179:180], v[4:5], v[10:11], v[179:180]
	v_fma_f64 v[185:186], v[2:3], v[10:11], -v[12:13]
	ds_load_b128 v[2:5], v1 offset:1344
	scratch_load_b128 v[10:13], off, off offset:512
	v_add_f64_e32 v[173:174], v[173:174], v[181:182]
	v_add_f64_e32 v[175:176], v[177:178], v[175:176]
	v_fma_f64 v[181:182], v[8:9], v[14:15], v[183:184]
	v_fma_f64 v[183:184], v[6:7], v[14:15], -v[16:17]
	ds_load_b128 v[6:9], v1 offset:1360
	scratch_load_b128 v[14:17], off, off offset:528
	s_wait_loadcnt_dscnt 0x901
	v_mul_f64_e32 v[177:178], v[2:3], v[20:21]
	v_mul_f64_e32 v[20:21], v[4:5], v[20:21]
	v_add_f64_e32 v[173:174], v[173:174], v[185:186]
	v_add_f64_e32 v[175:176], v[175:176], v[179:180]
	s_wait_loadcnt_dscnt 0x800
	v_mul_f64_e32 v[179:180], v[6:7], v[24:25]
	v_mul_f64_e32 v[24:25], v[8:9], v[24:25]
	v_fma_f64 v[177:178], v[4:5], v[18:19], v[177:178]
	v_fma_f64 v[185:186], v[2:3], v[18:19], -v[20:21]
	ds_load_b128 v[2:5], v1 offset:1376
	scratch_load_b128 v[18:21], off, off offset:544
	v_add_f64_e32 v[173:174], v[173:174], v[183:184]
	v_add_f64_e32 v[175:176], v[175:176], v[181:182]
	v_fma_f64 v[179:180], v[8:9], v[22:23], v[179:180]
	v_fma_f64 v[183:184], v[6:7], v[22:23], -v[24:25]
	ds_load_b128 v[6:9], v1 offset:1392
	s_wait_loadcnt_dscnt 0x801
	v_mul_f64_e32 v[181:182], v[2:3], v[28:29]
	v_mul_f64_e32 v[28:29], v[4:5], v[28:29]
	scratch_load_b128 v[22:25], off, off offset:560
	v_add_f64_e32 v[173:174], v[173:174], v[185:186]
	v_add_f64_e32 v[175:176], v[175:176], v[177:178]
	s_wait_loadcnt_dscnt 0x800
	v_mul_f64_e32 v[177:178], v[6:7], v[32:33]
	v_mul_f64_e32 v[32:33], v[8:9], v[32:33]
	v_fma_f64 v[181:182], v[4:5], v[26:27], v[181:182]
	v_fma_f64 v[185:186], v[2:3], v[26:27], -v[28:29]
	ds_load_b128 v[2:5], v1 offset:1408
	scratch_load_b128 v[26:29], off, off offset:576
	v_add_f64_e32 v[173:174], v[173:174], v[183:184]
	v_add_f64_e32 v[175:176], v[175:176], v[179:180]
	v_fma_f64 v[177:178], v[8:9], v[30:31], v[177:178]
	v_fma_f64 v[183:184], v[6:7], v[30:31], -v[32:33]
	ds_load_b128 v[6:9], v1 offset:1424
	s_wait_loadcnt_dscnt 0x801
	v_mul_f64_e32 v[179:180], v[2:3], v[36:37]
	v_mul_f64_e32 v[36:37], v[4:5], v[36:37]
	scratch_load_b128 v[30:33], off, off offset:592
	v_add_f64_e32 v[173:174], v[173:174], v[185:186]
	v_add_f64_e32 v[175:176], v[175:176], v[181:182]
	s_wait_loadcnt_dscnt 0x800
	v_mul_f64_e32 v[181:182], v[6:7], v[171:172]
	v_mul_f64_e32 v[171:172], v[8:9], v[171:172]
	v_fma_f64 v[179:180], v[4:5], v[34:35], v[179:180]
	v_fma_f64 v[185:186], v[2:3], v[34:35], -v[36:37]
	ds_load_b128 v[2:5], v1 offset:1440
	scratch_load_b128 v[34:37], off, off offset:608
	v_add_f64_e32 v[173:174], v[173:174], v[183:184]
	v_add_f64_e32 v[175:176], v[175:176], v[177:178]
	v_fma_f64 v[181:182], v[8:9], v[169:170], v[181:182]
	v_fma_f64 v[183:184], v[6:7], v[169:170], -v[171:172]
	ds_load_b128 v[6:9], v1 offset:1456
	scratch_load_b128 v[169:172], off, off offset:624
	s_wait_loadcnt_dscnt 0x901
	v_mul_f64_e32 v[177:178], v[2:3], v[40:41]
	v_mul_f64_e32 v[40:41], v[4:5], v[40:41]
	v_add_f64_e32 v[173:174], v[173:174], v[185:186]
	v_add_f64_e32 v[175:176], v[175:176], v[179:180]
	s_wait_loadcnt_dscnt 0x800
	v_mul_f64_e32 v[179:180], v[6:7], v[167:168]
	v_mul_f64_e32 v[167:168], v[8:9], v[167:168]
	v_fma_f64 v[177:178], v[4:5], v[38:39], v[177:178]
	v_fma_f64 v[185:186], v[2:3], v[38:39], -v[40:41]
	ds_load_b128 v[2:5], v1 offset:1472
	scratch_load_b128 v[38:41], off, off offset:640
	v_add_f64_e32 v[173:174], v[173:174], v[183:184]
	v_add_f64_e32 v[175:176], v[175:176], v[181:182]
	v_fma_f64 v[179:180], v[8:9], v[165:166], v[179:180]
	v_fma_f64 v[183:184], v[6:7], v[165:166], -v[167:168]
	ds_load_b128 v[6:9], v1 offset:1488
	s_wait_loadcnt_dscnt 0x801
	v_mul_f64_e32 v[181:182], v[2:3], v[12:13]
	v_mul_f64_e32 v[12:13], v[4:5], v[12:13]
	scratch_load_b128 v[165:168], off, off offset:656
	v_add_f64_e32 v[173:174], v[173:174], v[185:186]
	v_add_f64_e32 v[175:176], v[175:176], v[177:178]
	s_wait_loadcnt_dscnt 0x800
	v_mul_f64_e32 v[177:178], v[6:7], v[16:17]
	v_mul_f64_e32 v[16:17], v[8:9], v[16:17]
	v_fma_f64 v[181:182], v[4:5], v[10:11], v[181:182]
	v_fma_f64 v[185:186], v[2:3], v[10:11], -v[12:13]
	ds_load_b128 v[2:5], v1 offset:1504
	scratch_load_b128 v[10:13], off, off offset:672
	v_add_f64_e32 v[173:174], v[173:174], v[183:184]
	v_add_f64_e32 v[175:176], v[175:176], v[179:180]
	v_fma_f64 v[177:178], v[8:9], v[14:15], v[177:178]
	v_fma_f64 v[183:184], v[6:7], v[14:15], -v[16:17]
	ds_load_b128 v[6:9], v1 offset:1520
	s_wait_loadcnt_dscnt 0x801
	v_mul_f64_e32 v[179:180], v[2:3], v[20:21]
	v_mul_f64_e32 v[20:21], v[4:5], v[20:21]
	scratch_load_b128 v[14:17], off, off offset:688
	v_add_f64_e32 v[173:174], v[173:174], v[185:186]
	v_add_f64_e32 v[175:176], v[175:176], v[181:182]
	s_wait_loadcnt_dscnt 0x800
	v_mul_f64_e32 v[181:182], v[6:7], v[24:25]
	v_mul_f64_e32 v[24:25], v[8:9], v[24:25]
	v_fma_f64 v[179:180], v[4:5], v[18:19], v[179:180]
	v_fma_f64 v[185:186], v[2:3], v[18:19], -v[20:21]
	ds_load_b128 v[2:5], v1 offset:1536
	scratch_load_b128 v[18:21], off, off offset:704
	v_add_f64_e32 v[173:174], v[173:174], v[183:184]
	v_add_f64_e32 v[175:176], v[175:176], v[177:178]
	v_fma_f64 v[181:182], v[8:9], v[22:23], v[181:182]
	v_fma_f64 v[183:184], v[6:7], v[22:23], -v[24:25]
	ds_load_b128 v[6:9], v1 offset:1552
	s_wait_loadcnt_dscnt 0x801
	v_mul_f64_e32 v[177:178], v[2:3], v[28:29]
	v_mul_f64_e32 v[28:29], v[4:5], v[28:29]
	scratch_load_b128 v[22:25], off, off offset:720
	v_add_f64_e32 v[173:174], v[173:174], v[185:186]
	v_add_f64_e32 v[175:176], v[175:176], v[179:180]
	s_wait_loadcnt_dscnt 0x800
	v_mul_f64_e32 v[179:180], v[6:7], v[32:33]
	v_mul_f64_e32 v[32:33], v[8:9], v[32:33]
	v_fma_f64 v[177:178], v[4:5], v[26:27], v[177:178]
	v_fma_f64 v[185:186], v[2:3], v[26:27], -v[28:29]
	ds_load_b128 v[2:5], v1 offset:1568
	scratch_load_b128 v[26:29], off, off offset:736
	v_add_f64_e32 v[173:174], v[173:174], v[183:184]
	v_add_f64_e32 v[175:176], v[175:176], v[181:182]
	v_fma_f64 v[179:180], v[8:9], v[30:31], v[179:180]
	v_fma_f64 v[183:184], v[6:7], v[30:31], -v[32:33]
	ds_load_b128 v[6:9], v1 offset:1584
	s_wait_loadcnt_dscnt 0x801
	v_mul_f64_e32 v[181:182], v[2:3], v[36:37]
	v_mul_f64_e32 v[36:37], v[4:5], v[36:37]
	scratch_load_b128 v[30:33], off, off offset:752
	v_add_f64_e32 v[173:174], v[173:174], v[185:186]
	v_add_f64_e32 v[175:176], v[175:176], v[177:178]
	s_wait_loadcnt_dscnt 0x800
	v_mul_f64_e32 v[177:178], v[6:7], v[171:172]
	v_mul_f64_e32 v[171:172], v[8:9], v[171:172]
	v_fma_f64 v[181:182], v[4:5], v[34:35], v[181:182]
	v_fma_f64 v[185:186], v[2:3], v[34:35], -v[36:37]
	ds_load_b128 v[2:5], v1 offset:1600
	scratch_load_b128 v[34:37], off, off offset:768
	v_add_f64_e32 v[173:174], v[173:174], v[183:184]
	v_add_f64_e32 v[175:176], v[175:176], v[179:180]
	v_fma_f64 v[177:178], v[8:9], v[169:170], v[177:178]
	v_fma_f64 v[183:184], v[6:7], v[169:170], -v[171:172]
	ds_load_b128 v[6:9], v1 offset:1616
	s_wait_loadcnt_dscnt 0x801
	v_mul_f64_e32 v[179:180], v[2:3], v[40:41]
	v_mul_f64_e32 v[40:41], v[4:5], v[40:41]
	scratch_load_b128 v[169:172], off, off offset:784
	v_add_f64_e32 v[173:174], v[173:174], v[185:186]
	v_add_f64_e32 v[175:176], v[175:176], v[181:182]
	s_wait_loadcnt_dscnt 0x800
	v_mul_f64_e32 v[181:182], v[6:7], v[167:168]
	v_mul_f64_e32 v[167:168], v[8:9], v[167:168]
	v_fma_f64 v[179:180], v[4:5], v[38:39], v[179:180]
	v_fma_f64 v[185:186], v[2:3], v[38:39], -v[40:41]
	ds_load_b128 v[2:5], v1 offset:1632
	scratch_load_b128 v[38:41], off, off offset:800
	v_add_f64_e32 v[173:174], v[173:174], v[183:184]
	v_add_f64_e32 v[175:176], v[175:176], v[177:178]
	v_fma_f64 v[181:182], v[8:9], v[165:166], v[181:182]
	v_fma_f64 v[183:184], v[6:7], v[165:166], -v[167:168]
	ds_load_b128 v[6:9], v1 offset:1648
	s_wait_loadcnt_dscnt 0x801
	v_mul_f64_e32 v[177:178], v[2:3], v[12:13]
	v_mul_f64_e32 v[12:13], v[4:5], v[12:13]
	scratch_load_b128 v[165:168], off, off offset:816
	v_add_f64_e32 v[173:174], v[173:174], v[185:186]
	v_add_f64_e32 v[175:176], v[175:176], v[179:180]
	s_wait_loadcnt_dscnt 0x800
	v_mul_f64_e32 v[179:180], v[6:7], v[16:17]
	v_mul_f64_e32 v[16:17], v[8:9], v[16:17]
	v_fma_f64 v[177:178], v[4:5], v[10:11], v[177:178]
	v_fma_f64 v[185:186], v[2:3], v[10:11], -v[12:13]
	ds_load_b128 v[2:5], v1 offset:1664
	scratch_load_b128 v[10:13], off, off offset:832
	v_add_f64_e32 v[173:174], v[173:174], v[183:184]
	v_add_f64_e32 v[175:176], v[175:176], v[181:182]
	v_fma_f64 v[179:180], v[8:9], v[14:15], v[179:180]
	v_fma_f64 v[183:184], v[6:7], v[14:15], -v[16:17]
	ds_load_b128 v[6:9], v1 offset:1680
	s_wait_loadcnt_dscnt 0x801
	v_mul_f64_e32 v[181:182], v[2:3], v[20:21]
	v_mul_f64_e32 v[20:21], v[4:5], v[20:21]
	scratch_load_b128 v[14:17], off, off offset:848
	v_add_f64_e32 v[173:174], v[173:174], v[185:186]
	v_add_f64_e32 v[175:176], v[175:176], v[177:178]
	s_wait_loadcnt_dscnt 0x800
	v_mul_f64_e32 v[177:178], v[6:7], v[24:25]
	v_mul_f64_e32 v[24:25], v[8:9], v[24:25]
	v_fma_f64 v[181:182], v[4:5], v[18:19], v[181:182]
	v_fma_f64 v[185:186], v[2:3], v[18:19], -v[20:21]
	ds_load_b128 v[2:5], v1 offset:1696
	scratch_load_b128 v[18:21], off, off offset:864
	v_add_f64_e32 v[173:174], v[173:174], v[183:184]
	v_add_f64_e32 v[175:176], v[175:176], v[179:180]
	v_fma_f64 v[177:178], v[8:9], v[22:23], v[177:178]
	v_fma_f64 v[183:184], v[6:7], v[22:23], -v[24:25]
	ds_load_b128 v[6:9], v1 offset:1712
	s_wait_loadcnt_dscnt 0x801
	v_mul_f64_e32 v[179:180], v[2:3], v[28:29]
	v_mul_f64_e32 v[28:29], v[4:5], v[28:29]
	scratch_load_b128 v[22:25], off, off offset:880
	v_add_f64_e32 v[173:174], v[173:174], v[185:186]
	v_add_f64_e32 v[175:176], v[175:176], v[181:182]
	s_wait_loadcnt_dscnt 0x800
	v_mul_f64_e32 v[181:182], v[6:7], v[32:33]
	v_mul_f64_e32 v[32:33], v[8:9], v[32:33]
	v_fma_f64 v[179:180], v[4:5], v[26:27], v[179:180]
	v_fma_f64 v[185:186], v[2:3], v[26:27], -v[28:29]
	ds_load_b128 v[2:5], v1 offset:1728
	scratch_load_b128 v[26:29], off, off offset:896
	v_add_f64_e32 v[173:174], v[173:174], v[183:184]
	v_add_f64_e32 v[175:176], v[175:176], v[177:178]
	v_fma_f64 v[181:182], v[8:9], v[30:31], v[181:182]
	v_fma_f64 v[183:184], v[6:7], v[30:31], -v[32:33]
	ds_load_b128 v[6:9], v1 offset:1744
	s_wait_loadcnt_dscnt 0x801
	v_mul_f64_e32 v[177:178], v[2:3], v[36:37]
	v_mul_f64_e32 v[36:37], v[4:5], v[36:37]
	scratch_load_b128 v[30:33], off, off offset:912
	v_add_f64_e32 v[173:174], v[173:174], v[185:186]
	v_add_f64_e32 v[175:176], v[175:176], v[179:180]
	s_wait_loadcnt_dscnt 0x800
	v_mul_f64_e32 v[179:180], v[6:7], v[171:172]
	v_mul_f64_e32 v[171:172], v[8:9], v[171:172]
	v_fma_f64 v[177:178], v[4:5], v[34:35], v[177:178]
	v_fma_f64 v[185:186], v[2:3], v[34:35], -v[36:37]
	ds_load_b128 v[2:5], v1 offset:1760
	scratch_load_b128 v[34:37], off, off offset:928
	v_add_f64_e32 v[173:174], v[173:174], v[183:184]
	v_add_f64_e32 v[175:176], v[175:176], v[181:182]
	v_fma_f64 v[179:180], v[8:9], v[169:170], v[179:180]
	v_fma_f64 v[183:184], v[6:7], v[169:170], -v[171:172]
	ds_load_b128 v[6:9], v1 offset:1776
	s_wait_loadcnt_dscnt 0x801
	v_mul_f64_e32 v[181:182], v[2:3], v[40:41]
	v_mul_f64_e32 v[40:41], v[4:5], v[40:41]
	scratch_load_b128 v[169:172], off, off offset:944
	v_add_f64_e32 v[173:174], v[173:174], v[185:186]
	v_add_f64_e32 v[175:176], v[175:176], v[177:178]
	s_wait_loadcnt_dscnt 0x800
	v_mul_f64_e32 v[177:178], v[6:7], v[167:168]
	v_mul_f64_e32 v[167:168], v[8:9], v[167:168]
	v_fma_f64 v[181:182], v[4:5], v[38:39], v[181:182]
	v_fma_f64 v[185:186], v[2:3], v[38:39], -v[40:41]
	ds_load_b128 v[2:5], v1 offset:1792
	scratch_load_b128 v[38:41], off, off offset:960
	v_add_f64_e32 v[173:174], v[173:174], v[183:184]
	v_add_f64_e32 v[175:176], v[175:176], v[179:180]
	v_fma_f64 v[177:178], v[8:9], v[165:166], v[177:178]
	v_fma_f64 v[183:184], v[6:7], v[165:166], -v[167:168]
	ds_load_b128 v[6:9], v1 offset:1808
	s_wait_loadcnt_dscnt 0x801
	v_mul_f64_e32 v[179:180], v[2:3], v[12:13]
	v_mul_f64_e32 v[12:13], v[4:5], v[12:13]
	scratch_load_b128 v[165:168], off, off offset:976
	v_add_f64_e32 v[173:174], v[173:174], v[185:186]
	v_add_f64_e32 v[175:176], v[175:176], v[181:182]
	s_wait_loadcnt_dscnt 0x800
	v_mul_f64_e32 v[181:182], v[6:7], v[16:17]
	v_mul_f64_e32 v[16:17], v[8:9], v[16:17]
	v_fma_f64 v[179:180], v[4:5], v[10:11], v[179:180]
	v_fma_f64 v[10:11], v[2:3], v[10:11], -v[12:13]
	ds_load_b128 v[2:5], v1 offset:1824
	v_add_f64_e32 v[12:13], v[173:174], v[183:184]
	v_add_f64_e32 v[173:174], v[175:176], v[177:178]
	v_fma_f64 v[177:178], v[8:9], v[14:15], v[181:182]
	v_fma_f64 v[14:15], v[6:7], v[14:15], -v[16:17]
	ds_load_b128 v[6:9], v1 offset:1840
	s_wait_loadcnt_dscnt 0x701
	v_mul_f64_e32 v[175:176], v[2:3], v[20:21]
	v_mul_f64_e32 v[20:21], v[4:5], v[20:21]
	v_add_f64_e32 v[10:11], v[12:13], v[10:11]
	v_add_f64_e32 v[12:13], v[173:174], v[179:180]
	s_delay_alu instid0(VALU_DEP_4) | instskip(NEXT) | instid1(VALU_DEP_4)
	v_fma_f64 v[173:174], v[4:5], v[18:19], v[175:176]
	v_fma_f64 v[18:19], v[2:3], v[18:19], -v[20:21]
	ds_load_b128 v[2:5], v1 offset:1856
	v_add_f64_e32 v[14:15], v[10:11], v[14:15]
	v_add_f64_e32 v[20:21], v[12:13], v[177:178]
	scratch_load_b128 v[10:13], off, off offset:304
	s_wait_loadcnt_dscnt 0x701
	v_mul_f64_e32 v[16:17], v[6:7], v[24:25]
	v_mul_f64_e32 v[24:25], v[8:9], v[24:25]
	v_add_f64_e32 v[14:15], v[14:15], v[18:19]
	v_add_f64_e32 v[18:19], v[20:21], v[173:174]
	s_delay_alu instid0(VALU_DEP_4) | instskip(NEXT) | instid1(VALU_DEP_4)
	v_fma_f64 v[16:17], v[8:9], v[22:23], v[16:17]
	v_fma_f64 v[22:23], v[6:7], v[22:23], -v[24:25]
	ds_load_b128 v[6:9], v1 offset:1872
	s_wait_loadcnt_dscnt 0x601
	v_mul_f64_e32 v[175:176], v[2:3], v[28:29]
	v_mul_f64_e32 v[28:29], v[4:5], v[28:29]
	s_wait_loadcnt_dscnt 0x500
	v_mul_f64_e32 v[20:21], v[6:7], v[32:33]
	v_mul_f64_e32 v[24:25], v[8:9], v[32:33]
	v_add_f64_e32 v[16:17], v[18:19], v[16:17]
	v_add_f64_e32 v[14:15], v[14:15], v[22:23]
	v_fma_f64 v[32:33], v[4:5], v[26:27], v[175:176]
	v_fma_f64 v[26:27], v[2:3], v[26:27], -v[28:29]
	ds_load_b128 v[2:5], v1 offset:1888
	v_fma_f64 v[20:21], v[8:9], v[30:31], v[20:21]
	v_fma_f64 v[24:25], v[6:7], v[30:31], -v[24:25]
	ds_load_b128 v[6:9], v1 offset:1904
	s_wait_loadcnt_dscnt 0x401
	v_mul_f64_e32 v[18:19], v[2:3], v[36:37]
	v_mul_f64_e32 v[22:23], v[4:5], v[36:37]
	v_add_f64_e32 v[16:17], v[16:17], v[32:33]
	v_add_f64_e32 v[14:15], v[14:15], v[26:27]
	s_wait_loadcnt_dscnt 0x300
	v_mul_f64_e32 v[26:27], v[6:7], v[171:172]
	v_mul_f64_e32 v[28:29], v[8:9], v[171:172]
	v_fma_f64 v[18:19], v[4:5], v[34:35], v[18:19]
	v_fma_f64 v[22:23], v[2:3], v[34:35], -v[22:23]
	ds_load_b128 v[2:5], v1 offset:1920
	v_add_f64_e32 v[16:17], v[16:17], v[20:21]
	v_add_f64_e32 v[14:15], v[14:15], v[24:25]
	v_fma_f64 v[26:27], v[8:9], v[169:170], v[26:27]
	v_fma_f64 v[28:29], v[6:7], v[169:170], -v[28:29]
	ds_load_b128 v[6:9], v1 offset:1936
	s_wait_loadcnt_dscnt 0x201
	v_mul_f64_e32 v[20:21], v[2:3], v[40:41]
	v_mul_f64_e32 v[24:25], v[4:5], v[40:41]
	v_add_f64_e32 v[16:17], v[16:17], v[18:19]
	v_add_f64_e32 v[14:15], v[14:15], v[22:23]
	s_wait_loadcnt_dscnt 0x100
	v_mul_f64_e32 v[18:19], v[6:7], v[167:168]
	v_mul_f64_e32 v[22:23], v[8:9], v[167:168]
	v_fma_f64 v[4:5], v[4:5], v[38:39], v[20:21]
	v_fma_f64 v[1:2], v[2:3], v[38:39], -v[24:25]
	v_add_f64_e32 v[16:17], v[16:17], v[26:27]
	v_add_f64_e32 v[14:15], v[14:15], v[28:29]
	v_fma_f64 v[8:9], v[8:9], v[165:166], v[18:19]
	v_fma_f64 v[6:7], v[6:7], v[165:166], -v[22:23]
	s_delay_alu instid0(VALU_DEP_4) | instskip(NEXT) | instid1(VALU_DEP_4)
	v_add_f64_e32 v[3:4], v[16:17], v[4:5]
	v_add_f64_e32 v[1:2], v[14:15], v[1:2]
	s_delay_alu instid0(VALU_DEP_2) | instskip(NEXT) | instid1(VALU_DEP_2)
	v_add_f64_e32 v[3:4], v[3:4], v[8:9]
	v_add_f64_e32 v[1:2], v[1:2], v[6:7]
	s_wait_loadcnt 0x0
	s_delay_alu instid0(VALU_DEP_2) | instskip(NEXT) | instid1(VALU_DEP_2)
	v_add_f64_e64 v[3:4], v[12:13], -v[3:4]
	v_add_f64_e64 v[1:2], v[10:11], -v[1:2]
	scratch_store_b128 off, v[1:4], off offset:304
	v_cmpx_lt_u32_e32 17, v0
	s_cbranch_execz .LBB60_357
; %bb.356:
	scratch_load_b128 v[1:4], off, s59
	v_mov_b32_e32 v5, 0
	s_delay_alu instid0(VALU_DEP_1)
	v_dual_mov_b32 v6, v5 :: v_dual_mov_b32 v7, v5
	v_mov_b32_e32 v8, v5
	scratch_store_b128 off, v[5:8], off offset:288
	s_wait_loadcnt 0x0
	ds_store_b128 v164, v[1:4]
.LBB60_357:
	s_wait_alu 0xfffe
	s_or_b32 exec_lo, exec_lo, s0
	s_wait_storecnt_dscnt 0x0
	s_barrier_signal -1
	s_barrier_wait -1
	global_inv scope:SCOPE_SE
	s_clause 0x7
	scratch_load_b128 v[2:5], off, off offset:304
	scratch_load_b128 v[6:9], off, off offset:320
	;; [unrolled: 1-line block ×8, first 2 shown]
	v_mov_b32_e32 v1, 0
	s_clause 0x1
	scratch_load_b128 v[34:37], off, off offset:432
	scratch_load_b128 v[169:172], off, off offset:448
	s_mov_b32 s0, exec_lo
	ds_load_b128 v[38:41], v1 offset:1264
	ds_load_b128 v[165:168], v1 offset:1280
	s_wait_loadcnt_dscnt 0x901
	v_mul_f64_e32 v[173:174], v[40:41], v[4:5]
	v_mul_f64_e32 v[4:5], v[38:39], v[4:5]
	s_wait_loadcnt_dscnt 0x800
	v_mul_f64_e32 v[175:176], v[165:166], v[8:9]
	v_mul_f64_e32 v[8:9], v[167:168], v[8:9]
	s_delay_alu instid0(VALU_DEP_4) | instskip(NEXT) | instid1(VALU_DEP_4)
	v_fma_f64 v[173:174], v[38:39], v[2:3], -v[173:174]
	v_fma_f64 v[177:178], v[40:41], v[2:3], v[4:5]
	ds_load_b128 v[2:5], v1 offset:1296
	scratch_load_b128 v[38:41], off, off offset:464
	v_fma_f64 v[175:176], v[167:168], v[6:7], v[175:176]
	v_fma_f64 v[181:182], v[165:166], v[6:7], -v[8:9]
	ds_load_b128 v[6:9], v1 offset:1312
	scratch_load_b128 v[165:168], off, off offset:480
	s_wait_loadcnt_dscnt 0x901
	v_mul_f64_e32 v[179:180], v[2:3], v[12:13]
	v_mul_f64_e32 v[12:13], v[4:5], v[12:13]
	s_wait_loadcnt_dscnt 0x800
	v_mul_f64_e32 v[183:184], v[6:7], v[16:17]
	v_mul_f64_e32 v[16:17], v[8:9], v[16:17]
	v_add_f64_e32 v[173:174], 0, v[173:174]
	v_add_f64_e32 v[177:178], 0, v[177:178]
	v_fma_f64 v[179:180], v[4:5], v[10:11], v[179:180]
	v_fma_f64 v[185:186], v[2:3], v[10:11], -v[12:13]
	ds_load_b128 v[2:5], v1 offset:1328
	scratch_load_b128 v[10:13], off, off offset:496
	v_add_f64_e32 v[173:174], v[173:174], v[181:182]
	v_add_f64_e32 v[175:176], v[177:178], v[175:176]
	v_fma_f64 v[181:182], v[8:9], v[14:15], v[183:184]
	v_fma_f64 v[183:184], v[6:7], v[14:15], -v[16:17]
	ds_load_b128 v[6:9], v1 offset:1344
	scratch_load_b128 v[14:17], off, off offset:512
	s_wait_loadcnt_dscnt 0x901
	v_mul_f64_e32 v[177:178], v[2:3], v[20:21]
	v_mul_f64_e32 v[20:21], v[4:5], v[20:21]
	v_add_f64_e32 v[173:174], v[173:174], v[185:186]
	v_add_f64_e32 v[175:176], v[175:176], v[179:180]
	s_wait_loadcnt_dscnt 0x800
	v_mul_f64_e32 v[179:180], v[6:7], v[24:25]
	v_mul_f64_e32 v[24:25], v[8:9], v[24:25]
	v_fma_f64 v[177:178], v[4:5], v[18:19], v[177:178]
	v_fma_f64 v[185:186], v[2:3], v[18:19], -v[20:21]
	ds_load_b128 v[2:5], v1 offset:1360
	scratch_load_b128 v[18:21], off, off offset:528
	v_add_f64_e32 v[173:174], v[173:174], v[183:184]
	v_add_f64_e32 v[175:176], v[175:176], v[181:182]
	v_fma_f64 v[179:180], v[8:9], v[22:23], v[179:180]
	v_fma_f64 v[183:184], v[6:7], v[22:23], -v[24:25]
	ds_load_b128 v[6:9], v1 offset:1376
	s_wait_loadcnt_dscnt 0x801
	v_mul_f64_e32 v[181:182], v[2:3], v[28:29]
	v_mul_f64_e32 v[28:29], v[4:5], v[28:29]
	scratch_load_b128 v[22:25], off, off offset:544
	v_add_f64_e32 v[173:174], v[173:174], v[185:186]
	v_add_f64_e32 v[175:176], v[175:176], v[177:178]
	s_wait_loadcnt_dscnt 0x800
	v_mul_f64_e32 v[177:178], v[6:7], v[32:33]
	v_mul_f64_e32 v[32:33], v[8:9], v[32:33]
	v_fma_f64 v[181:182], v[4:5], v[26:27], v[181:182]
	v_fma_f64 v[185:186], v[2:3], v[26:27], -v[28:29]
	ds_load_b128 v[2:5], v1 offset:1392
	scratch_load_b128 v[26:29], off, off offset:560
	v_add_f64_e32 v[173:174], v[173:174], v[183:184]
	v_add_f64_e32 v[175:176], v[175:176], v[179:180]
	v_fma_f64 v[177:178], v[8:9], v[30:31], v[177:178]
	v_fma_f64 v[183:184], v[6:7], v[30:31], -v[32:33]
	ds_load_b128 v[6:9], v1 offset:1408
	s_wait_loadcnt_dscnt 0x801
	v_mul_f64_e32 v[179:180], v[2:3], v[36:37]
	v_mul_f64_e32 v[36:37], v[4:5], v[36:37]
	scratch_load_b128 v[30:33], off, off offset:576
	v_add_f64_e32 v[173:174], v[173:174], v[185:186]
	v_add_f64_e32 v[175:176], v[175:176], v[181:182]
	s_wait_loadcnt_dscnt 0x800
	v_mul_f64_e32 v[181:182], v[6:7], v[171:172]
	v_mul_f64_e32 v[171:172], v[8:9], v[171:172]
	v_fma_f64 v[179:180], v[4:5], v[34:35], v[179:180]
	v_fma_f64 v[185:186], v[2:3], v[34:35], -v[36:37]
	ds_load_b128 v[2:5], v1 offset:1424
	scratch_load_b128 v[34:37], off, off offset:592
	v_add_f64_e32 v[173:174], v[173:174], v[183:184]
	v_add_f64_e32 v[175:176], v[175:176], v[177:178]
	v_fma_f64 v[181:182], v[8:9], v[169:170], v[181:182]
	v_fma_f64 v[183:184], v[6:7], v[169:170], -v[171:172]
	ds_load_b128 v[6:9], v1 offset:1440
	scratch_load_b128 v[169:172], off, off offset:608
	s_wait_loadcnt_dscnt 0x901
	v_mul_f64_e32 v[177:178], v[2:3], v[40:41]
	v_mul_f64_e32 v[40:41], v[4:5], v[40:41]
	v_add_f64_e32 v[173:174], v[173:174], v[185:186]
	v_add_f64_e32 v[175:176], v[175:176], v[179:180]
	s_wait_loadcnt_dscnt 0x800
	v_mul_f64_e32 v[179:180], v[6:7], v[167:168]
	v_mul_f64_e32 v[167:168], v[8:9], v[167:168]
	v_fma_f64 v[177:178], v[4:5], v[38:39], v[177:178]
	v_fma_f64 v[185:186], v[2:3], v[38:39], -v[40:41]
	ds_load_b128 v[2:5], v1 offset:1456
	scratch_load_b128 v[38:41], off, off offset:624
	v_add_f64_e32 v[173:174], v[173:174], v[183:184]
	v_add_f64_e32 v[175:176], v[175:176], v[181:182]
	v_fma_f64 v[179:180], v[8:9], v[165:166], v[179:180]
	v_fma_f64 v[183:184], v[6:7], v[165:166], -v[167:168]
	ds_load_b128 v[6:9], v1 offset:1472
	s_wait_loadcnt_dscnt 0x801
	v_mul_f64_e32 v[181:182], v[2:3], v[12:13]
	v_mul_f64_e32 v[12:13], v[4:5], v[12:13]
	scratch_load_b128 v[165:168], off, off offset:640
	v_add_f64_e32 v[173:174], v[173:174], v[185:186]
	v_add_f64_e32 v[175:176], v[175:176], v[177:178]
	s_wait_loadcnt_dscnt 0x800
	v_mul_f64_e32 v[177:178], v[6:7], v[16:17]
	v_mul_f64_e32 v[16:17], v[8:9], v[16:17]
	v_fma_f64 v[181:182], v[4:5], v[10:11], v[181:182]
	v_fma_f64 v[185:186], v[2:3], v[10:11], -v[12:13]
	ds_load_b128 v[2:5], v1 offset:1488
	scratch_load_b128 v[10:13], off, off offset:656
	v_add_f64_e32 v[173:174], v[173:174], v[183:184]
	v_add_f64_e32 v[175:176], v[175:176], v[179:180]
	v_fma_f64 v[177:178], v[8:9], v[14:15], v[177:178]
	v_fma_f64 v[183:184], v[6:7], v[14:15], -v[16:17]
	ds_load_b128 v[6:9], v1 offset:1504
	s_wait_loadcnt_dscnt 0x801
	v_mul_f64_e32 v[179:180], v[2:3], v[20:21]
	v_mul_f64_e32 v[20:21], v[4:5], v[20:21]
	scratch_load_b128 v[14:17], off, off offset:672
	;; [unrolled: 18-line block ×11, first 2 shown]
	v_add_f64_e32 v[173:174], v[173:174], v[185:186]
	v_add_f64_e32 v[175:176], v[175:176], v[181:182]
	s_wait_loadcnt_dscnt 0x800
	v_mul_f64_e32 v[181:182], v[6:7], v[16:17]
	v_mul_f64_e32 v[16:17], v[8:9], v[16:17]
	v_fma_f64 v[179:180], v[4:5], v[10:11], v[179:180]
	v_fma_f64 v[185:186], v[2:3], v[10:11], -v[12:13]
	ds_load_b128 v[2:5], v1 offset:1808
	scratch_load_b128 v[10:13], off, off offset:976
	v_add_f64_e32 v[173:174], v[173:174], v[183:184]
	v_add_f64_e32 v[175:176], v[175:176], v[177:178]
	v_fma_f64 v[181:182], v[8:9], v[14:15], v[181:182]
	v_fma_f64 v[14:15], v[6:7], v[14:15], -v[16:17]
	ds_load_b128 v[6:9], v1 offset:1824
	s_wait_loadcnt_dscnt 0x801
	v_mul_f64_e32 v[177:178], v[2:3], v[20:21]
	v_mul_f64_e32 v[20:21], v[4:5], v[20:21]
	v_add_f64_e32 v[16:17], v[173:174], v[185:186]
	v_add_f64_e32 v[173:174], v[175:176], v[179:180]
	s_wait_loadcnt_dscnt 0x700
	v_mul_f64_e32 v[175:176], v[6:7], v[24:25]
	v_mul_f64_e32 v[24:25], v[8:9], v[24:25]
	v_fma_f64 v[177:178], v[4:5], v[18:19], v[177:178]
	v_fma_f64 v[18:19], v[2:3], v[18:19], -v[20:21]
	ds_load_b128 v[2:5], v1 offset:1840
	v_add_f64_e32 v[14:15], v[16:17], v[14:15]
	v_add_f64_e32 v[16:17], v[173:174], v[181:182]
	v_fma_f64 v[173:174], v[8:9], v[22:23], v[175:176]
	v_fma_f64 v[22:23], v[6:7], v[22:23], -v[24:25]
	ds_load_b128 v[6:9], v1 offset:1856
	s_wait_loadcnt_dscnt 0x500
	v_mul_f64_e32 v[175:176], v[6:7], v[32:33]
	v_mul_f64_e32 v[32:33], v[8:9], v[32:33]
	v_add_f64_e32 v[18:19], v[14:15], v[18:19]
	v_add_f64_e32 v[24:25], v[16:17], v[177:178]
	scratch_load_b128 v[14:17], off, off offset:288
	v_mul_f64_e32 v[20:21], v[2:3], v[28:29]
	v_mul_f64_e32 v[28:29], v[4:5], v[28:29]
	v_add_f64_e32 v[18:19], v[18:19], v[22:23]
	v_add_f64_e32 v[22:23], v[24:25], v[173:174]
	s_delay_alu instid0(VALU_DEP_4) | instskip(NEXT) | instid1(VALU_DEP_4)
	v_fma_f64 v[20:21], v[4:5], v[26:27], v[20:21]
	v_fma_f64 v[26:27], v[2:3], v[26:27], -v[28:29]
	ds_load_b128 v[2:5], v1 offset:1872
	s_wait_loadcnt_dscnt 0x500
	v_mul_f64_e32 v[24:25], v[2:3], v[36:37]
	v_mul_f64_e32 v[28:29], v[4:5], v[36:37]
	v_fma_f64 v[36:37], v[8:9], v[30:31], v[175:176]
	v_fma_f64 v[30:31], v[6:7], v[30:31], -v[32:33]
	ds_load_b128 v[6:9], v1 offset:1888
	v_add_f64_e32 v[20:21], v[22:23], v[20:21]
	v_add_f64_e32 v[18:19], v[18:19], v[26:27]
	v_fma_f64 v[24:25], v[4:5], v[34:35], v[24:25]
	v_fma_f64 v[28:29], v[2:3], v[34:35], -v[28:29]
	ds_load_b128 v[2:5], v1 offset:1904
	s_wait_loadcnt_dscnt 0x401
	v_mul_f64_e32 v[22:23], v[6:7], v[171:172]
	v_mul_f64_e32 v[26:27], v[8:9], v[171:172]
	v_add_f64_e32 v[20:21], v[20:21], v[36:37]
	v_add_f64_e32 v[18:19], v[18:19], v[30:31]
	s_wait_loadcnt_dscnt 0x300
	v_mul_f64_e32 v[30:31], v[2:3], v[40:41]
	v_mul_f64_e32 v[32:33], v[4:5], v[40:41]
	v_fma_f64 v[22:23], v[8:9], v[169:170], v[22:23]
	v_fma_f64 v[26:27], v[6:7], v[169:170], -v[26:27]
	ds_load_b128 v[6:9], v1 offset:1920
	v_add_f64_e32 v[20:21], v[20:21], v[24:25]
	v_add_f64_e32 v[18:19], v[18:19], v[28:29]
	v_fma_f64 v[30:31], v[4:5], v[38:39], v[30:31]
	v_fma_f64 v[32:33], v[2:3], v[38:39], -v[32:33]
	ds_load_b128 v[2:5], v1 offset:1936
	s_wait_loadcnt_dscnt 0x201
	v_mul_f64_e32 v[24:25], v[6:7], v[167:168]
	v_mul_f64_e32 v[28:29], v[8:9], v[167:168]
	v_add_f64_e32 v[20:21], v[20:21], v[22:23]
	v_add_f64_e32 v[18:19], v[18:19], v[26:27]
	s_wait_loadcnt_dscnt 0x100
	v_mul_f64_e32 v[22:23], v[2:3], v[12:13]
	v_mul_f64_e32 v[12:13], v[4:5], v[12:13]
	v_fma_f64 v[8:9], v[8:9], v[165:166], v[24:25]
	v_fma_f64 v[6:7], v[6:7], v[165:166], -v[28:29]
	v_add_f64_e32 v[20:21], v[20:21], v[30:31]
	v_add_f64_e32 v[18:19], v[18:19], v[32:33]
	v_fma_f64 v[4:5], v[4:5], v[10:11], v[22:23]
	v_fma_f64 v[2:3], v[2:3], v[10:11], -v[12:13]
	s_delay_alu instid0(VALU_DEP_4) | instskip(NEXT) | instid1(VALU_DEP_4)
	v_add_f64_e32 v[8:9], v[20:21], v[8:9]
	v_add_f64_e32 v[6:7], v[18:19], v[6:7]
	s_delay_alu instid0(VALU_DEP_2) | instskip(NEXT) | instid1(VALU_DEP_2)
	v_add_f64_e32 v[4:5], v[8:9], v[4:5]
	v_add_f64_e32 v[2:3], v[6:7], v[2:3]
	s_wait_loadcnt 0x0
	s_delay_alu instid0(VALU_DEP_2) | instskip(NEXT) | instid1(VALU_DEP_2)
	v_add_f64_e64 v[4:5], v[16:17], -v[4:5]
	v_add_f64_e64 v[2:3], v[14:15], -v[2:3]
	scratch_store_b128 off, v[2:5], off offset:288
	v_cmpx_lt_u32_e32 16, v0
	s_cbranch_execz .LBB60_359
; %bb.358:
	scratch_load_b128 v[5:8], off, s60
	v_dual_mov_b32 v2, v1 :: v_dual_mov_b32 v3, v1
	v_mov_b32_e32 v4, v1
	scratch_store_b128 off, v[1:4], off offset:272
	s_wait_loadcnt 0x0
	ds_store_b128 v164, v[5:8]
.LBB60_359:
	s_wait_alu 0xfffe
	s_or_b32 exec_lo, exec_lo, s0
	s_wait_storecnt_dscnt 0x0
	s_barrier_signal -1
	s_barrier_wait -1
	global_inv scope:SCOPE_SE
	s_clause 0x7
	scratch_load_b128 v[2:5], off, off offset:288
	scratch_load_b128 v[6:9], off, off offset:304
	;; [unrolled: 1-line block ×8, first 2 shown]
	ds_load_b128 v[38:41], v1 offset:1248
	ds_load_b128 v[165:168], v1 offset:1264
	s_clause 0x1
	scratch_load_b128 v[34:37], off, off offset:416
	scratch_load_b128 v[169:172], off, off offset:432
	s_mov_b32 s0, exec_lo
	s_wait_loadcnt_dscnt 0x901
	v_mul_f64_e32 v[173:174], v[40:41], v[4:5]
	v_mul_f64_e32 v[4:5], v[38:39], v[4:5]
	s_wait_loadcnt_dscnt 0x800
	v_mul_f64_e32 v[175:176], v[165:166], v[8:9]
	v_mul_f64_e32 v[8:9], v[167:168], v[8:9]
	s_delay_alu instid0(VALU_DEP_4) | instskip(NEXT) | instid1(VALU_DEP_4)
	v_fma_f64 v[173:174], v[38:39], v[2:3], -v[173:174]
	v_fma_f64 v[177:178], v[40:41], v[2:3], v[4:5]
	ds_load_b128 v[2:5], v1 offset:1280
	scratch_load_b128 v[38:41], off, off offset:448
	v_fma_f64 v[175:176], v[167:168], v[6:7], v[175:176]
	v_fma_f64 v[181:182], v[165:166], v[6:7], -v[8:9]
	ds_load_b128 v[6:9], v1 offset:1296
	scratch_load_b128 v[165:168], off, off offset:464
	s_wait_loadcnt_dscnt 0x901
	v_mul_f64_e32 v[179:180], v[2:3], v[12:13]
	v_mul_f64_e32 v[12:13], v[4:5], v[12:13]
	s_wait_loadcnt_dscnt 0x800
	v_mul_f64_e32 v[183:184], v[6:7], v[16:17]
	v_mul_f64_e32 v[16:17], v[8:9], v[16:17]
	v_add_f64_e32 v[173:174], 0, v[173:174]
	v_add_f64_e32 v[177:178], 0, v[177:178]
	v_fma_f64 v[179:180], v[4:5], v[10:11], v[179:180]
	v_fma_f64 v[185:186], v[2:3], v[10:11], -v[12:13]
	ds_load_b128 v[2:5], v1 offset:1312
	scratch_load_b128 v[10:13], off, off offset:480
	v_add_f64_e32 v[173:174], v[173:174], v[181:182]
	v_add_f64_e32 v[175:176], v[177:178], v[175:176]
	v_fma_f64 v[181:182], v[8:9], v[14:15], v[183:184]
	v_fma_f64 v[183:184], v[6:7], v[14:15], -v[16:17]
	ds_load_b128 v[6:9], v1 offset:1328
	scratch_load_b128 v[14:17], off, off offset:496
	s_wait_loadcnt_dscnt 0x901
	v_mul_f64_e32 v[177:178], v[2:3], v[20:21]
	v_mul_f64_e32 v[20:21], v[4:5], v[20:21]
	v_add_f64_e32 v[173:174], v[173:174], v[185:186]
	v_add_f64_e32 v[175:176], v[175:176], v[179:180]
	s_wait_loadcnt_dscnt 0x800
	v_mul_f64_e32 v[179:180], v[6:7], v[24:25]
	v_mul_f64_e32 v[24:25], v[8:9], v[24:25]
	v_fma_f64 v[177:178], v[4:5], v[18:19], v[177:178]
	v_fma_f64 v[185:186], v[2:3], v[18:19], -v[20:21]
	ds_load_b128 v[2:5], v1 offset:1344
	scratch_load_b128 v[18:21], off, off offset:512
	v_add_f64_e32 v[173:174], v[173:174], v[183:184]
	v_add_f64_e32 v[175:176], v[175:176], v[181:182]
	v_fma_f64 v[179:180], v[8:9], v[22:23], v[179:180]
	v_fma_f64 v[183:184], v[6:7], v[22:23], -v[24:25]
	ds_load_b128 v[6:9], v1 offset:1360
	s_wait_loadcnt_dscnt 0x801
	v_mul_f64_e32 v[181:182], v[2:3], v[28:29]
	v_mul_f64_e32 v[28:29], v[4:5], v[28:29]
	scratch_load_b128 v[22:25], off, off offset:528
	v_add_f64_e32 v[173:174], v[173:174], v[185:186]
	v_add_f64_e32 v[175:176], v[175:176], v[177:178]
	s_wait_loadcnt_dscnt 0x800
	v_mul_f64_e32 v[177:178], v[6:7], v[32:33]
	v_mul_f64_e32 v[32:33], v[8:9], v[32:33]
	v_fma_f64 v[181:182], v[4:5], v[26:27], v[181:182]
	v_fma_f64 v[185:186], v[2:3], v[26:27], -v[28:29]
	ds_load_b128 v[2:5], v1 offset:1376
	scratch_load_b128 v[26:29], off, off offset:544
	v_add_f64_e32 v[173:174], v[173:174], v[183:184]
	v_add_f64_e32 v[175:176], v[175:176], v[179:180]
	v_fma_f64 v[177:178], v[8:9], v[30:31], v[177:178]
	v_fma_f64 v[183:184], v[6:7], v[30:31], -v[32:33]
	ds_load_b128 v[6:9], v1 offset:1392
	s_wait_loadcnt_dscnt 0x801
	v_mul_f64_e32 v[179:180], v[2:3], v[36:37]
	v_mul_f64_e32 v[36:37], v[4:5], v[36:37]
	scratch_load_b128 v[30:33], off, off offset:560
	v_add_f64_e32 v[173:174], v[173:174], v[185:186]
	v_add_f64_e32 v[175:176], v[175:176], v[181:182]
	s_wait_loadcnt_dscnt 0x800
	v_mul_f64_e32 v[181:182], v[6:7], v[171:172]
	v_mul_f64_e32 v[171:172], v[8:9], v[171:172]
	v_fma_f64 v[179:180], v[4:5], v[34:35], v[179:180]
	v_fma_f64 v[185:186], v[2:3], v[34:35], -v[36:37]
	ds_load_b128 v[2:5], v1 offset:1408
	scratch_load_b128 v[34:37], off, off offset:576
	v_add_f64_e32 v[173:174], v[173:174], v[183:184]
	v_add_f64_e32 v[175:176], v[175:176], v[177:178]
	v_fma_f64 v[181:182], v[8:9], v[169:170], v[181:182]
	v_fma_f64 v[183:184], v[6:7], v[169:170], -v[171:172]
	ds_load_b128 v[6:9], v1 offset:1424
	scratch_load_b128 v[169:172], off, off offset:592
	s_wait_loadcnt_dscnt 0x901
	v_mul_f64_e32 v[177:178], v[2:3], v[40:41]
	v_mul_f64_e32 v[40:41], v[4:5], v[40:41]
	v_add_f64_e32 v[173:174], v[173:174], v[185:186]
	v_add_f64_e32 v[175:176], v[175:176], v[179:180]
	s_wait_loadcnt_dscnt 0x800
	v_mul_f64_e32 v[179:180], v[6:7], v[167:168]
	v_mul_f64_e32 v[167:168], v[8:9], v[167:168]
	v_fma_f64 v[177:178], v[4:5], v[38:39], v[177:178]
	v_fma_f64 v[185:186], v[2:3], v[38:39], -v[40:41]
	ds_load_b128 v[2:5], v1 offset:1440
	scratch_load_b128 v[38:41], off, off offset:608
	v_add_f64_e32 v[173:174], v[173:174], v[183:184]
	v_add_f64_e32 v[175:176], v[175:176], v[181:182]
	v_fma_f64 v[179:180], v[8:9], v[165:166], v[179:180]
	v_fma_f64 v[183:184], v[6:7], v[165:166], -v[167:168]
	ds_load_b128 v[6:9], v1 offset:1456
	s_wait_loadcnt_dscnt 0x801
	v_mul_f64_e32 v[181:182], v[2:3], v[12:13]
	v_mul_f64_e32 v[12:13], v[4:5], v[12:13]
	scratch_load_b128 v[165:168], off, off offset:624
	v_add_f64_e32 v[173:174], v[173:174], v[185:186]
	v_add_f64_e32 v[175:176], v[175:176], v[177:178]
	s_wait_loadcnt_dscnt 0x800
	v_mul_f64_e32 v[177:178], v[6:7], v[16:17]
	v_mul_f64_e32 v[16:17], v[8:9], v[16:17]
	v_fma_f64 v[181:182], v[4:5], v[10:11], v[181:182]
	v_fma_f64 v[185:186], v[2:3], v[10:11], -v[12:13]
	ds_load_b128 v[2:5], v1 offset:1472
	scratch_load_b128 v[10:13], off, off offset:640
	v_add_f64_e32 v[173:174], v[173:174], v[183:184]
	v_add_f64_e32 v[175:176], v[175:176], v[179:180]
	v_fma_f64 v[177:178], v[8:9], v[14:15], v[177:178]
	v_fma_f64 v[183:184], v[6:7], v[14:15], -v[16:17]
	ds_load_b128 v[6:9], v1 offset:1488
	s_wait_loadcnt_dscnt 0x801
	v_mul_f64_e32 v[179:180], v[2:3], v[20:21]
	v_mul_f64_e32 v[20:21], v[4:5], v[20:21]
	scratch_load_b128 v[14:17], off, off offset:656
	v_add_f64_e32 v[173:174], v[173:174], v[185:186]
	v_add_f64_e32 v[175:176], v[175:176], v[181:182]
	s_wait_loadcnt_dscnt 0x800
	v_mul_f64_e32 v[181:182], v[6:7], v[24:25]
	v_mul_f64_e32 v[24:25], v[8:9], v[24:25]
	v_fma_f64 v[179:180], v[4:5], v[18:19], v[179:180]
	v_fma_f64 v[185:186], v[2:3], v[18:19], -v[20:21]
	ds_load_b128 v[2:5], v1 offset:1504
	scratch_load_b128 v[18:21], off, off offset:672
	v_add_f64_e32 v[173:174], v[173:174], v[183:184]
	v_add_f64_e32 v[175:176], v[175:176], v[177:178]
	v_fma_f64 v[181:182], v[8:9], v[22:23], v[181:182]
	v_fma_f64 v[183:184], v[6:7], v[22:23], -v[24:25]
	ds_load_b128 v[6:9], v1 offset:1520
	s_wait_loadcnt_dscnt 0x801
	v_mul_f64_e32 v[177:178], v[2:3], v[28:29]
	v_mul_f64_e32 v[28:29], v[4:5], v[28:29]
	scratch_load_b128 v[22:25], off, off offset:688
	v_add_f64_e32 v[173:174], v[173:174], v[185:186]
	v_add_f64_e32 v[175:176], v[175:176], v[179:180]
	s_wait_loadcnt_dscnt 0x800
	v_mul_f64_e32 v[179:180], v[6:7], v[32:33]
	v_mul_f64_e32 v[32:33], v[8:9], v[32:33]
	v_fma_f64 v[177:178], v[4:5], v[26:27], v[177:178]
	v_fma_f64 v[185:186], v[2:3], v[26:27], -v[28:29]
	ds_load_b128 v[2:5], v1 offset:1536
	scratch_load_b128 v[26:29], off, off offset:704
	v_add_f64_e32 v[173:174], v[173:174], v[183:184]
	v_add_f64_e32 v[175:176], v[175:176], v[181:182]
	v_fma_f64 v[179:180], v[8:9], v[30:31], v[179:180]
	v_fma_f64 v[183:184], v[6:7], v[30:31], -v[32:33]
	ds_load_b128 v[6:9], v1 offset:1552
	s_wait_loadcnt_dscnt 0x801
	v_mul_f64_e32 v[181:182], v[2:3], v[36:37]
	v_mul_f64_e32 v[36:37], v[4:5], v[36:37]
	scratch_load_b128 v[30:33], off, off offset:720
	v_add_f64_e32 v[173:174], v[173:174], v[185:186]
	v_add_f64_e32 v[175:176], v[175:176], v[177:178]
	s_wait_loadcnt_dscnt 0x800
	v_mul_f64_e32 v[177:178], v[6:7], v[171:172]
	v_mul_f64_e32 v[171:172], v[8:9], v[171:172]
	v_fma_f64 v[181:182], v[4:5], v[34:35], v[181:182]
	v_fma_f64 v[185:186], v[2:3], v[34:35], -v[36:37]
	ds_load_b128 v[2:5], v1 offset:1568
	scratch_load_b128 v[34:37], off, off offset:736
	v_add_f64_e32 v[173:174], v[173:174], v[183:184]
	v_add_f64_e32 v[175:176], v[175:176], v[179:180]
	v_fma_f64 v[177:178], v[8:9], v[169:170], v[177:178]
	v_fma_f64 v[183:184], v[6:7], v[169:170], -v[171:172]
	ds_load_b128 v[6:9], v1 offset:1584
	s_wait_loadcnt_dscnt 0x801
	v_mul_f64_e32 v[179:180], v[2:3], v[40:41]
	v_mul_f64_e32 v[40:41], v[4:5], v[40:41]
	scratch_load_b128 v[169:172], off, off offset:752
	v_add_f64_e32 v[173:174], v[173:174], v[185:186]
	v_add_f64_e32 v[175:176], v[175:176], v[181:182]
	s_wait_loadcnt_dscnt 0x800
	v_mul_f64_e32 v[181:182], v[6:7], v[167:168]
	v_mul_f64_e32 v[167:168], v[8:9], v[167:168]
	v_fma_f64 v[179:180], v[4:5], v[38:39], v[179:180]
	v_fma_f64 v[185:186], v[2:3], v[38:39], -v[40:41]
	ds_load_b128 v[2:5], v1 offset:1600
	scratch_load_b128 v[38:41], off, off offset:768
	v_add_f64_e32 v[173:174], v[173:174], v[183:184]
	v_add_f64_e32 v[175:176], v[175:176], v[177:178]
	v_fma_f64 v[181:182], v[8:9], v[165:166], v[181:182]
	v_fma_f64 v[183:184], v[6:7], v[165:166], -v[167:168]
	ds_load_b128 v[6:9], v1 offset:1616
	s_wait_loadcnt_dscnt 0x801
	v_mul_f64_e32 v[177:178], v[2:3], v[12:13]
	v_mul_f64_e32 v[12:13], v[4:5], v[12:13]
	scratch_load_b128 v[165:168], off, off offset:784
	v_add_f64_e32 v[173:174], v[173:174], v[185:186]
	v_add_f64_e32 v[175:176], v[175:176], v[179:180]
	s_wait_loadcnt_dscnt 0x800
	v_mul_f64_e32 v[179:180], v[6:7], v[16:17]
	v_mul_f64_e32 v[16:17], v[8:9], v[16:17]
	v_fma_f64 v[177:178], v[4:5], v[10:11], v[177:178]
	v_fma_f64 v[185:186], v[2:3], v[10:11], -v[12:13]
	ds_load_b128 v[2:5], v1 offset:1632
	scratch_load_b128 v[10:13], off, off offset:800
	v_add_f64_e32 v[173:174], v[173:174], v[183:184]
	v_add_f64_e32 v[175:176], v[175:176], v[181:182]
	v_fma_f64 v[179:180], v[8:9], v[14:15], v[179:180]
	v_fma_f64 v[183:184], v[6:7], v[14:15], -v[16:17]
	ds_load_b128 v[6:9], v1 offset:1648
	s_wait_loadcnt_dscnt 0x801
	v_mul_f64_e32 v[181:182], v[2:3], v[20:21]
	v_mul_f64_e32 v[20:21], v[4:5], v[20:21]
	scratch_load_b128 v[14:17], off, off offset:816
	v_add_f64_e32 v[173:174], v[173:174], v[185:186]
	v_add_f64_e32 v[175:176], v[175:176], v[177:178]
	s_wait_loadcnt_dscnt 0x800
	v_mul_f64_e32 v[177:178], v[6:7], v[24:25]
	v_mul_f64_e32 v[24:25], v[8:9], v[24:25]
	v_fma_f64 v[181:182], v[4:5], v[18:19], v[181:182]
	v_fma_f64 v[185:186], v[2:3], v[18:19], -v[20:21]
	ds_load_b128 v[2:5], v1 offset:1664
	scratch_load_b128 v[18:21], off, off offset:832
	v_add_f64_e32 v[173:174], v[173:174], v[183:184]
	v_add_f64_e32 v[175:176], v[175:176], v[179:180]
	v_fma_f64 v[177:178], v[8:9], v[22:23], v[177:178]
	v_fma_f64 v[183:184], v[6:7], v[22:23], -v[24:25]
	ds_load_b128 v[6:9], v1 offset:1680
	s_wait_loadcnt_dscnt 0x801
	v_mul_f64_e32 v[179:180], v[2:3], v[28:29]
	v_mul_f64_e32 v[28:29], v[4:5], v[28:29]
	scratch_load_b128 v[22:25], off, off offset:848
	v_add_f64_e32 v[173:174], v[173:174], v[185:186]
	v_add_f64_e32 v[175:176], v[175:176], v[181:182]
	s_wait_loadcnt_dscnt 0x800
	v_mul_f64_e32 v[181:182], v[6:7], v[32:33]
	v_mul_f64_e32 v[32:33], v[8:9], v[32:33]
	v_fma_f64 v[179:180], v[4:5], v[26:27], v[179:180]
	v_fma_f64 v[185:186], v[2:3], v[26:27], -v[28:29]
	ds_load_b128 v[2:5], v1 offset:1696
	scratch_load_b128 v[26:29], off, off offset:864
	v_add_f64_e32 v[173:174], v[173:174], v[183:184]
	v_add_f64_e32 v[175:176], v[175:176], v[177:178]
	v_fma_f64 v[181:182], v[8:9], v[30:31], v[181:182]
	v_fma_f64 v[183:184], v[6:7], v[30:31], -v[32:33]
	ds_load_b128 v[6:9], v1 offset:1712
	s_wait_loadcnt_dscnt 0x801
	v_mul_f64_e32 v[177:178], v[2:3], v[36:37]
	v_mul_f64_e32 v[36:37], v[4:5], v[36:37]
	scratch_load_b128 v[30:33], off, off offset:880
	v_add_f64_e32 v[173:174], v[173:174], v[185:186]
	v_add_f64_e32 v[175:176], v[175:176], v[179:180]
	s_wait_loadcnt_dscnt 0x800
	v_mul_f64_e32 v[179:180], v[6:7], v[171:172]
	v_mul_f64_e32 v[171:172], v[8:9], v[171:172]
	v_fma_f64 v[177:178], v[4:5], v[34:35], v[177:178]
	v_fma_f64 v[185:186], v[2:3], v[34:35], -v[36:37]
	ds_load_b128 v[2:5], v1 offset:1728
	scratch_load_b128 v[34:37], off, off offset:896
	v_add_f64_e32 v[173:174], v[173:174], v[183:184]
	v_add_f64_e32 v[175:176], v[175:176], v[181:182]
	v_fma_f64 v[179:180], v[8:9], v[169:170], v[179:180]
	v_fma_f64 v[183:184], v[6:7], v[169:170], -v[171:172]
	ds_load_b128 v[6:9], v1 offset:1744
	s_wait_loadcnt_dscnt 0x801
	v_mul_f64_e32 v[181:182], v[2:3], v[40:41]
	v_mul_f64_e32 v[40:41], v[4:5], v[40:41]
	scratch_load_b128 v[169:172], off, off offset:912
	v_add_f64_e32 v[173:174], v[173:174], v[185:186]
	v_add_f64_e32 v[175:176], v[175:176], v[177:178]
	s_wait_loadcnt_dscnt 0x800
	v_mul_f64_e32 v[177:178], v[6:7], v[167:168]
	v_mul_f64_e32 v[167:168], v[8:9], v[167:168]
	v_fma_f64 v[181:182], v[4:5], v[38:39], v[181:182]
	v_fma_f64 v[185:186], v[2:3], v[38:39], -v[40:41]
	ds_load_b128 v[2:5], v1 offset:1760
	scratch_load_b128 v[38:41], off, off offset:928
	v_add_f64_e32 v[173:174], v[173:174], v[183:184]
	v_add_f64_e32 v[175:176], v[175:176], v[179:180]
	v_fma_f64 v[177:178], v[8:9], v[165:166], v[177:178]
	v_fma_f64 v[183:184], v[6:7], v[165:166], -v[167:168]
	ds_load_b128 v[6:9], v1 offset:1776
	s_wait_loadcnt_dscnt 0x801
	v_mul_f64_e32 v[179:180], v[2:3], v[12:13]
	v_mul_f64_e32 v[12:13], v[4:5], v[12:13]
	scratch_load_b128 v[165:168], off, off offset:944
	v_add_f64_e32 v[173:174], v[173:174], v[185:186]
	v_add_f64_e32 v[175:176], v[175:176], v[181:182]
	s_wait_loadcnt_dscnt 0x800
	v_mul_f64_e32 v[181:182], v[6:7], v[16:17]
	v_mul_f64_e32 v[16:17], v[8:9], v[16:17]
	v_fma_f64 v[179:180], v[4:5], v[10:11], v[179:180]
	v_fma_f64 v[185:186], v[2:3], v[10:11], -v[12:13]
	ds_load_b128 v[2:5], v1 offset:1792
	scratch_load_b128 v[10:13], off, off offset:960
	v_add_f64_e32 v[173:174], v[173:174], v[183:184]
	v_add_f64_e32 v[175:176], v[175:176], v[177:178]
	v_fma_f64 v[181:182], v[8:9], v[14:15], v[181:182]
	v_fma_f64 v[183:184], v[6:7], v[14:15], -v[16:17]
	ds_load_b128 v[6:9], v1 offset:1808
	s_wait_loadcnt_dscnt 0x801
	v_mul_f64_e32 v[177:178], v[2:3], v[20:21]
	v_mul_f64_e32 v[20:21], v[4:5], v[20:21]
	scratch_load_b128 v[14:17], off, off offset:976
	v_add_f64_e32 v[173:174], v[173:174], v[185:186]
	v_add_f64_e32 v[175:176], v[175:176], v[179:180]
	s_wait_loadcnt_dscnt 0x800
	v_mul_f64_e32 v[179:180], v[6:7], v[24:25]
	v_mul_f64_e32 v[24:25], v[8:9], v[24:25]
	v_fma_f64 v[177:178], v[4:5], v[18:19], v[177:178]
	v_fma_f64 v[18:19], v[2:3], v[18:19], -v[20:21]
	ds_load_b128 v[2:5], v1 offset:1824
	v_add_f64_e32 v[20:21], v[173:174], v[183:184]
	v_add_f64_e32 v[173:174], v[175:176], v[181:182]
	v_fma_f64 v[179:180], v[8:9], v[22:23], v[179:180]
	v_fma_f64 v[22:23], v[6:7], v[22:23], -v[24:25]
	ds_load_b128 v[6:9], v1 offset:1840
	s_wait_loadcnt_dscnt 0x701
	v_mul_f64_e32 v[175:176], v[2:3], v[28:29]
	v_mul_f64_e32 v[28:29], v[4:5], v[28:29]
	v_add_f64_e32 v[18:19], v[20:21], v[18:19]
	v_add_f64_e32 v[20:21], v[173:174], v[177:178]
	s_delay_alu instid0(VALU_DEP_4) | instskip(NEXT) | instid1(VALU_DEP_4)
	v_fma_f64 v[173:174], v[4:5], v[26:27], v[175:176]
	v_fma_f64 v[26:27], v[2:3], v[26:27], -v[28:29]
	ds_load_b128 v[2:5], v1 offset:1856
	v_add_f64_e32 v[22:23], v[18:19], v[22:23]
	v_add_f64_e32 v[28:29], v[20:21], v[179:180]
	scratch_load_b128 v[18:21], off, off offset:272
	s_wait_loadcnt_dscnt 0x701
	v_mul_f64_e32 v[24:25], v[6:7], v[32:33]
	v_mul_f64_e32 v[32:33], v[8:9], v[32:33]
	v_add_f64_e32 v[22:23], v[22:23], v[26:27]
	v_add_f64_e32 v[26:27], v[28:29], v[173:174]
	s_delay_alu instid0(VALU_DEP_4) | instskip(NEXT) | instid1(VALU_DEP_4)
	v_fma_f64 v[24:25], v[8:9], v[30:31], v[24:25]
	v_fma_f64 v[30:31], v[6:7], v[30:31], -v[32:33]
	ds_load_b128 v[6:9], v1 offset:1872
	s_wait_loadcnt_dscnt 0x601
	v_mul_f64_e32 v[175:176], v[2:3], v[36:37]
	v_mul_f64_e32 v[36:37], v[4:5], v[36:37]
	s_wait_loadcnt_dscnt 0x500
	v_mul_f64_e32 v[28:29], v[6:7], v[171:172]
	v_mul_f64_e32 v[32:33], v[8:9], v[171:172]
	v_add_f64_e32 v[24:25], v[26:27], v[24:25]
	v_add_f64_e32 v[22:23], v[22:23], v[30:31]
	v_fma_f64 v[171:172], v[4:5], v[34:35], v[175:176]
	v_fma_f64 v[34:35], v[2:3], v[34:35], -v[36:37]
	ds_load_b128 v[2:5], v1 offset:1888
	v_fma_f64 v[28:29], v[8:9], v[169:170], v[28:29]
	v_fma_f64 v[32:33], v[6:7], v[169:170], -v[32:33]
	ds_load_b128 v[6:9], v1 offset:1904
	s_wait_loadcnt_dscnt 0x401
	v_mul_f64_e32 v[26:27], v[2:3], v[40:41]
	v_mul_f64_e32 v[30:31], v[4:5], v[40:41]
	v_add_f64_e32 v[24:25], v[24:25], v[171:172]
	v_add_f64_e32 v[22:23], v[22:23], v[34:35]
	s_wait_loadcnt_dscnt 0x300
	v_mul_f64_e32 v[34:35], v[6:7], v[167:168]
	v_mul_f64_e32 v[36:37], v[8:9], v[167:168]
	v_fma_f64 v[26:27], v[4:5], v[38:39], v[26:27]
	v_fma_f64 v[30:31], v[2:3], v[38:39], -v[30:31]
	ds_load_b128 v[2:5], v1 offset:1920
	v_add_f64_e32 v[24:25], v[24:25], v[28:29]
	v_add_f64_e32 v[22:23], v[22:23], v[32:33]
	v_fma_f64 v[32:33], v[8:9], v[165:166], v[34:35]
	v_fma_f64 v[34:35], v[6:7], v[165:166], -v[36:37]
	ds_load_b128 v[6:9], v1 offset:1936
	s_wait_loadcnt_dscnt 0x201
	v_mul_f64_e32 v[28:29], v[2:3], v[12:13]
	v_mul_f64_e32 v[12:13], v[4:5], v[12:13]
	v_add_f64_e32 v[24:25], v[24:25], v[26:27]
	v_add_f64_e32 v[22:23], v[22:23], v[30:31]
	s_wait_loadcnt_dscnt 0x100
	v_mul_f64_e32 v[26:27], v[6:7], v[16:17]
	v_mul_f64_e32 v[16:17], v[8:9], v[16:17]
	v_fma_f64 v[4:5], v[4:5], v[10:11], v[28:29]
	v_fma_f64 v[1:2], v[2:3], v[10:11], -v[12:13]
	v_add_f64_e32 v[12:13], v[24:25], v[32:33]
	v_add_f64_e32 v[10:11], v[22:23], v[34:35]
	v_fma_f64 v[8:9], v[8:9], v[14:15], v[26:27]
	v_fma_f64 v[6:7], v[6:7], v[14:15], -v[16:17]
	s_delay_alu instid0(VALU_DEP_4) | instskip(NEXT) | instid1(VALU_DEP_4)
	v_add_f64_e32 v[3:4], v[12:13], v[4:5]
	v_add_f64_e32 v[1:2], v[10:11], v[1:2]
	s_delay_alu instid0(VALU_DEP_2) | instskip(NEXT) | instid1(VALU_DEP_2)
	v_add_f64_e32 v[3:4], v[3:4], v[8:9]
	v_add_f64_e32 v[1:2], v[1:2], v[6:7]
	s_wait_loadcnt 0x0
	s_delay_alu instid0(VALU_DEP_2) | instskip(NEXT) | instid1(VALU_DEP_2)
	v_add_f64_e64 v[3:4], v[20:21], -v[3:4]
	v_add_f64_e64 v[1:2], v[18:19], -v[1:2]
	scratch_store_b128 off, v[1:4], off offset:272
	v_cmpx_lt_u32_e32 15, v0
	s_cbranch_execz .LBB60_361
; %bb.360:
	scratch_load_b128 v[1:4], off, s61
	v_mov_b32_e32 v5, 0
	s_delay_alu instid0(VALU_DEP_1)
	v_dual_mov_b32 v6, v5 :: v_dual_mov_b32 v7, v5
	v_mov_b32_e32 v8, v5
	scratch_store_b128 off, v[5:8], off offset:256
	s_wait_loadcnt 0x0
	ds_store_b128 v164, v[1:4]
.LBB60_361:
	s_wait_alu 0xfffe
	s_or_b32 exec_lo, exec_lo, s0
	s_wait_storecnt_dscnt 0x0
	s_barrier_signal -1
	s_barrier_wait -1
	global_inv scope:SCOPE_SE
	s_clause 0x7
	scratch_load_b128 v[2:5], off, off offset:272
	scratch_load_b128 v[6:9], off, off offset:288
	;; [unrolled: 1-line block ×8, first 2 shown]
	v_mov_b32_e32 v1, 0
	s_clause 0x1
	scratch_load_b128 v[34:37], off, off offset:400
	scratch_load_b128 v[169:172], off, off offset:416
	s_mov_b32 s0, exec_lo
	ds_load_b128 v[38:41], v1 offset:1232
	ds_load_b128 v[165:168], v1 offset:1248
	s_wait_loadcnt_dscnt 0x901
	v_mul_f64_e32 v[173:174], v[40:41], v[4:5]
	v_mul_f64_e32 v[4:5], v[38:39], v[4:5]
	s_wait_loadcnt_dscnt 0x800
	v_mul_f64_e32 v[175:176], v[165:166], v[8:9]
	v_mul_f64_e32 v[8:9], v[167:168], v[8:9]
	s_delay_alu instid0(VALU_DEP_4) | instskip(NEXT) | instid1(VALU_DEP_4)
	v_fma_f64 v[173:174], v[38:39], v[2:3], -v[173:174]
	v_fma_f64 v[177:178], v[40:41], v[2:3], v[4:5]
	ds_load_b128 v[2:5], v1 offset:1264
	scratch_load_b128 v[38:41], off, off offset:432
	v_fma_f64 v[175:176], v[167:168], v[6:7], v[175:176]
	v_fma_f64 v[181:182], v[165:166], v[6:7], -v[8:9]
	ds_load_b128 v[6:9], v1 offset:1280
	scratch_load_b128 v[165:168], off, off offset:448
	s_wait_loadcnt_dscnt 0x901
	v_mul_f64_e32 v[179:180], v[2:3], v[12:13]
	v_mul_f64_e32 v[12:13], v[4:5], v[12:13]
	s_wait_loadcnt_dscnt 0x800
	v_mul_f64_e32 v[183:184], v[6:7], v[16:17]
	v_mul_f64_e32 v[16:17], v[8:9], v[16:17]
	v_add_f64_e32 v[173:174], 0, v[173:174]
	v_add_f64_e32 v[177:178], 0, v[177:178]
	v_fma_f64 v[179:180], v[4:5], v[10:11], v[179:180]
	v_fma_f64 v[185:186], v[2:3], v[10:11], -v[12:13]
	ds_load_b128 v[2:5], v1 offset:1296
	scratch_load_b128 v[10:13], off, off offset:464
	v_add_f64_e32 v[173:174], v[173:174], v[181:182]
	v_add_f64_e32 v[175:176], v[177:178], v[175:176]
	v_fma_f64 v[181:182], v[8:9], v[14:15], v[183:184]
	v_fma_f64 v[183:184], v[6:7], v[14:15], -v[16:17]
	ds_load_b128 v[6:9], v1 offset:1312
	scratch_load_b128 v[14:17], off, off offset:480
	s_wait_loadcnt_dscnt 0x901
	v_mul_f64_e32 v[177:178], v[2:3], v[20:21]
	v_mul_f64_e32 v[20:21], v[4:5], v[20:21]
	v_add_f64_e32 v[173:174], v[173:174], v[185:186]
	v_add_f64_e32 v[175:176], v[175:176], v[179:180]
	s_wait_loadcnt_dscnt 0x800
	v_mul_f64_e32 v[179:180], v[6:7], v[24:25]
	v_mul_f64_e32 v[24:25], v[8:9], v[24:25]
	v_fma_f64 v[177:178], v[4:5], v[18:19], v[177:178]
	v_fma_f64 v[185:186], v[2:3], v[18:19], -v[20:21]
	ds_load_b128 v[2:5], v1 offset:1328
	scratch_load_b128 v[18:21], off, off offset:496
	v_add_f64_e32 v[173:174], v[173:174], v[183:184]
	v_add_f64_e32 v[175:176], v[175:176], v[181:182]
	v_fma_f64 v[179:180], v[8:9], v[22:23], v[179:180]
	v_fma_f64 v[183:184], v[6:7], v[22:23], -v[24:25]
	ds_load_b128 v[6:9], v1 offset:1344
	s_wait_loadcnt_dscnt 0x801
	v_mul_f64_e32 v[181:182], v[2:3], v[28:29]
	v_mul_f64_e32 v[28:29], v[4:5], v[28:29]
	scratch_load_b128 v[22:25], off, off offset:512
	v_add_f64_e32 v[173:174], v[173:174], v[185:186]
	v_add_f64_e32 v[175:176], v[175:176], v[177:178]
	s_wait_loadcnt_dscnt 0x800
	v_mul_f64_e32 v[177:178], v[6:7], v[32:33]
	v_mul_f64_e32 v[32:33], v[8:9], v[32:33]
	v_fma_f64 v[181:182], v[4:5], v[26:27], v[181:182]
	v_fma_f64 v[185:186], v[2:3], v[26:27], -v[28:29]
	ds_load_b128 v[2:5], v1 offset:1360
	scratch_load_b128 v[26:29], off, off offset:528
	v_add_f64_e32 v[173:174], v[173:174], v[183:184]
	v_add_f64_e32 v[175:176], v[175:176], v[179:180]
	v_fma_f64 v[177:178], v[8:9], v[30:31], v[177:178]
	v_fma_f64 v[183:184], v[6:7], v[30:31], -v[32:33]
	ds_load_b128 v[6:9], v1 offset:1376
	s_wait_loadcnt_dscnt 0x801
	v_mul_f64_e32 v[179:180], v[2:3], v[36:37]
	v_mul_f64_e32 v[36:37], v[4:5], v[36:37]
	scratch_load_b128 v[30:33], off, off offset:544
	v_add_f64_e32 v[173:174], v[173:174], v[185:186]
	v_add_f64_e32 v[175:176], v[175:176], v[181:182]
	s_wait_loadcnt_dscnt 0x800
	v_mul_f64_e32 v[181:182], v[6:7], v[171:172]
	v_mul_f64_e32 v[171:172], v[8:9], v[171:172]
	v_fma_f64 v[179:180], v[4:5], v[34:35], v[179:180]
	v_fma_f64 v[185:186], v[2:3], v[34:35], -v[36:37]
	ds_load_b128 v[2:5], v1 offset:1392
	scratch_load_b128 v[34:37], off, off offset:560
	v_add_f64_e32 v[173:174], v[173:174], v[183:184]
	v_add_f64_e32 v[175:176], v[175:176], v[177:178]
	v_fma_f64 v[181:182], v[8:9], v[169:170], v[181:182]
	v_fma_f64 v[183:184], v[6:7], v[169:170], -v[171:172]
	ds_load_b128 v[6:9], v1 offset:1408
	scratch_load_b128 v[169:172], off, off offset:576
	s_wait_loadcnt_dscnt 0x901
	v_mul_f64_e32 v[177:178], v[2:3], v[40:41]
	v_mul_f64_e32 v[40:41], v[4:5], v[40:41]
	v_add_f64_e32 v[173:174], v[173:174], v[185:186]
	v_add_f64_e32 v[175:176], v[175:176], v[179:180]
	s_wait_loadcnt_dscnt 0x800
	v_mul_f64_e32 v[179:180], v[6:7], v[167:168]
	v_mul_f64_e32 v[167:168], v[8:9], v[167:168]
	v_fma_f64 v[177:178], v[4:5], v[38:39], v[177:178]
	v_fma_f64 v[185:186], v[2:3], v[38:39], -v[40:41]
	ds_load_b128 v[2:5], v1 offset:1424
	scratch_load_b128 v[38:41], off, off offset:592
	v_add_f64_e32 v[173:174], v[173:174], v[183:184]
	v_add_f64_e32 v[175:176], v[175:176], v[181:182]
	v_fma_f64 v[179:180], v[8:9], v[165:166], v[179:180]
	v_fma_f64 v[183:184], v[6:7], v[165:166], -v[167:168]
	ds_load_b128 v[6:9], v1 offset:1440
	s_wait_loadcnt_dscnt 0x801
	v_mul_f64_e32 v[181:182], v[2:3], v[12:13]
	v_mul_f64_e32 v[12:13], v[4:5], v[12:13]
	scratch_load_b128 v[165:168], off, off offset:608
	v_add_f64_e32 v[173:174], v[173:174], v[185:186]
	v_add_f64_e32 v[175:176], v[175:176], v[177:178]
	s_wait_loadcnt_dscnt 0x800
	v_mul_f64_e32 v[177:178], v[6:7], v[16:17]
	v_mul_f64_e32 v[16:17], v[8:9], v[16:17]
	v_fma_f64 v[181:182], v[4:5], v[10:11], v[181:182]
	v_fma_f64 v[185:186], v[2:3], v[10:11], -v[12:13]
	ds_load_b128 v[2:5], v1 offset:1456
	scratch_load_b128 v[10:13], off, off offset:624
	v_add_f64_e32 v[173:174], v[173:174], v[183:184]
	v_add_f64_e32 v[175:176], v[175:176], v[179:180]
	v_fma_f64 v[177:178], v[8:9], v[14:15], v[177:178]
	v_fma_f64 v[183:184], v[6:7], v[14:15], -v[16:17]
	ds_load_b128 v[6:9], v1 offset:1472
	s_wait_loadcnt_dscnt 0x801
	v_mul_f64_e32 v[179:180], v[2:3], v[20:21]
	v_mul_f64_e32 v[20:21], v[4:5], v[20:21]
	scratch_load_b128 v[14:17], off, off offset:640
	;; [unrolled: 18-line block ×12, first 2 shown]
	v_add_f64_e32 v[173:174], v[173:174], v[185:186]
	v_add_f64_e32 v[175:176], v[175:176], v[179:180]
	s_wait_loadcnt_dscnt 0x800
	v_mul_f64_e32 v[179:180], v[6:7], v[24:25]
	v_mul_f64_e32 v[24:25], v[8:9], v[24:25]
	v_fma_f64 v[177:178], v[4:5], v[18:19], v[177:178]
	v_fma_f64 v[185:186], v[2:3], v[18:19], -v[20:21]
	ds_load_b128 v[2:5], v1 offset:1808
	scratch_load_b128 v[18:21], off, off offset:976
	v_add_f64_e32 v[173:174], v[173:174], v[183:184]
	v_add_f64_e32 v[175:176], v[175:176], v[181:182]
	v_fma_f64 v[179:180], v[8:9], v[22:23], v[179:180]
	v_fma_f64 v[22:23], v[6:7], v[22:23], -v[24:25]
	ds_load_b128 v[6:9], v1 offset:1824
	s_wait_loadcnt_dscnt 0x801
	v_mul_f64_e32 v[181:182], v[2:3], v[28:29]
	v_mul_f64_e32 v[28:29], v[4:5], v[28:29]
	v_add_f64_e32 v[24:25], v[173:174], v[185:186]
	v_add_f64_e32 v[173:174], v[175:176], v[177:178]
	s_wait_loadcnt_dscnt 0x700
	v_mul_f64_e32 v[175:176], v[6:7], v[32:33]
	v_mul_f64_e32 v[32:33], v[8:9], v[32:33]
	v_fma_f64 v[177:178], v[4:5], v[26:27], v[181:182]
	v_fma_f64 v[26:27], v[2:3], v[26:27], -v[28:29]
	ds_load_b128 v[2:5], v1 offset:1840
	v_add_f64_e32 v[22:23], v[24:25], v[22:23]
	v_add_f64_e32 v[24:25], v[173:174], v[179:180]
	v_fma_f64 v[173:174], v[8:9], v[30:31], v[175:176]
	v_fma_f64 v[30:31], v[6:7], v[30:31], -v[32:33]
	ds_load_b128 v[6:9], v1 offset:1856
	s_wait_loadcnt_dscnt 0x500
	v_mul_f64_e32 v[175:176], v[6:7], v[171:172]
	v_mul_f64_e32 v[171:172], v[8:9], v[171:172]
	v_add_f64_e32 v[26:27], v[22:23], v[26:27]
	v_add_f64_e32 v[32:33], v[24:25], v[177:178]
	scratch_load_b128 v[22:25], off, off offset:256
	v_mul_f64_e32 v[28:29], v[2:3], v[36:37]
	v_mul_f64_e32 v[36:37], v[4:5], v[36:37]
	v_add_f64_e32 v[26:27], v[26:27], v[30:31]
	v_add_f64_e32 v[30:31], v[32:33], v[173:174]
	s_delay_alu instid0(VALU_DEP_4) | instskip(NEXT) | instid1(VALU_DEP_4)
	v_fma_f64 v[28:29], v[4:5], v[34:35], v[28:29]
	v_fma_f64 v[34:35], v[2:3], v[34:35], -v[36:37]
	ds_load_b128 v[2:5], v1 offset:1872
	s_wait_loadcnt_dscnt 0x500
	v_mul_f64_e32 v[32:33], v[2:3], v[40:41]
	v_mul_f64_e32 v[36:37], v[4:5], v[40:41]
	v_fma_f64 v[40:41], v[8:9], v[169:170], v[175:176]
	v_fma_f64 v[169:170], v[6:7], v[169:170], -v[171:172]
	ds_load_b128 v[6:9], v1 offset:1888
	v_add_f64_e32 v[28:29], v[30:31], v[28:29]
	v_add_f64_e32 v[26:27], v[26:27], v[34:35]
	v_fma_f64 v[32:33], v[4:5], v[38:39], v[32:33]
	v_fma_f64 v[36:37], v[2:3], v[38:39], -v[36:37]
	ds_load_b128 v[2:5], v1 offset:1904
	s_wait_loadcnt_dscnt 0x401
	v_mul_f64_e32 v[30:31], v[6:7], v[167:168]
	v_mul_f64_e32 v[34:35], v[8:9], v[167:168]
	v_add_f64_e32 v[28:29], v[28:29], v[40:41]
	v_add_f64_e32 v[26:27], v[26:27], v[169:170]
	s_wait_loadcnt_dscnt 0x300
	v_mul_f64_e32 v[38:39], v[2:3], v[12:13]
	v_mul_f64_e32 v[12:13], v[4:5], v[12:13]
	v_fma_f64 v[30:31], v[8:9], v[165:166], v[30:31]
	v_fma_f64 v[34:35], v[6:7], v[165:166], -v[34:35]
	ds_load_b128 v[6:9], v1 offset:1920
	v_add_f64_e32 v[28:29], v[28:29], v[32:33]
	v_add_f64_e32 v[26:27], v[26:27], v[36:37]
	v_fma_f64 v[36:37], v[4:5], v[10:11], v[38:39]
	v_fma_f64 v[10:11], v[2:3], v[10:11], -v[12:13]
	ds_load_b128 v[2:5], v1 offset:1936
	s_wait_loadcnt_dscnt 0x201
	v_mul_f64_e32 v[32:33], v[6:7], v[16:17]
	v_mul_f64_e32 v[16:17], v[8:9], v[16:17]
	v_add_f64_e32 v[12:13], v[26:27], v[34:35]
	v_add_f64_e32 v[26:27], v[28:29], v[30:31]
	s_wait_loadcnt_dscnt 0x100
	v_mul_f64_e32 v[28:29], v[2:3], v[20:21]
	v_mul_f64_e32 v[20:21], v[4:5], v[20:21]
	v_fma_f64 v[8:9], v[8:9], v[14:15], v[32:33]
	v_fma_f64 v[6:7], v[6:7], v[14:15], -v[16:17]
	v_add_f64_e32 v[10:11], v[12:13], v[10:11]
	v_add_f64_e32 v[12:13], v[26:27], v[36:37]
	v_fma_f64 v[4:5], v[4:5], v[18:19], v[28:29]
	v_fma_f64 v[2:3], v[2:3], v[18:19], -v[20:21]
	s_delay_alu instid0(VALU_DEP_4) | instskip(NEXT) | instid1(VALU_DEP_4)
	v_add_f64_e32 v[6:7], v[10:11], v[6:7]
	v_add_f64_e32 v[8:9], v[12:13], v[8:9]
	s_delay_alu instid0(VALU_DEP_2) | instskip(NEXT) | instid1(VALU_DEP_2)
	v_add_f64_e32 v[2:3], v[6:7], v[2:3]
	v_add_f64_e32 v[4:5], v[8:9], v[4:5]
	s_wait_loadcnt 0x0
	s_delay_alu instid0(VALU_DEP_2) | instskip(NEXT) | instid1(VALU_DEP_2)
	v_add_f64_e64 v[2:3], v[22:23], -v[2:3]
	v_add_f64_e64 v[4:5], v[24:25], -v[4:5]
	scratch_store_b128 off, v[2:5], off offset:256
	v_cmpx_lt_u32_e32 14, v0
	s_cbranch_execz .LBB60_363
; %bb.362:
	scratch_load_b128 v[5:8], off, s62
	v_dual_mov_b32 v2, v1 :: v_dual_mov_b32 v3, v1
	v_mov_b32_e32 v4, v1
	scratch_store_b128 off, v[1:4], off offset:240
	s_wait_loadcnt 0x0
	ds_store_b128 v164, v[5:8]
.LBB60_363:
	s_wait_alu 0xfffe
	s_or_b32 exec_lo, exec_lo, s0
	s_wait_storecnt_dscnt 0x0
	s_barrier_signal -1
	s_barrier_wait -1
	global_inv scope:SCOPE_SE
	s_clause 0x7
	scratch_load_b128 v[2:5], off, off offset:256
	scratch_load_b128 v[6:9], off, off offset:272
	scratch_load_b128 v[10:13], off, off offset:288
	scratch_load_b128 v[14:17], off, off offset:304
	scratch_load_b128 v[18:21], off, off offset:320
	scratch_load_b128 v[22:25], off, off offset:336
	scratch_load_b128 v[26:29], off, off offset:352
	scratch_load_b128 v[30:33], off, off offset:368
	ds_load_b128 v[38:41], v1 offset:1216
	ds_load_b128 v[165:168], v1 offset:1232
	s_clause 0x1
	scratch_load_b128 v[34:37], off, off offset:384
	scratch_load_b128 v[169:172], off, off offset:400
	s_mov_b32 s0, exec_lo
	s_wait_loadcnt_dscnt 0x901
	v_mul_f64_e32 v[173:174], v[40:41], v[4:5]
	v_mul_f64_e32 v[4:5], v[38:39], v[4:5]
	s_wait_loadcnt_dscnt 0x800
	v_mul_f64_e32 v[175:176], v[165:166], v[8:9]
	v_mul_f64_e32 v[8:9], v[167:168], v[8:9]
	s_delay_alu instid0(VALU_DEP_4) | instskip(NEXT) | instid1(VALU_DEP_4)
	v_fma_f64 v[173:174], v[38:39], v[2:3], -v[173:174]
	v_fma_f64 v[177:178], v[40:41], v[2:3], v[4:5]
	ds_load_b128 v[2:5], v1 offset:1248
	scratch_load_b128 v[38:41], off, off offset:416
	v_fma_f64 v[175:176], v[167:168], v[6:7], v[175:176]
	v_fma_f64 v[181:182], v[165:166], v[6:7], -v[8:9]
	ds_load_b128 v[6:9], v1 offset:1264
	scratch_load_b128 v[165:168], off, off offset:432
	s_wait_loadcnt_dscnt 0x901
	v_mul_f64_e32 v[179:180], v[2:3], v[12:13]
	v_mul_f64_e32 v[12:13], v[4:5], v[12:13]
	s_wait_loadcnt_dscnt 0x800
	v_mul_f64_e32 v[183:184], v[6:7], v[16:17]
	v_mul_f64_e32 v[16:17], v[8:9], v[16:17]
	v_add_f64_e32 v[173:174], 0, v[173:174]
	v_add_f64_e32 v[177:178], 0, v[177:178]
	v_fma_f64 v[179:180], v[4:5], v[10:11], v[179:180]
	v_fma_f64 v[185:186], v[2:3], v[10:11], -v[12:13]
	ds_load_b128 v[2:5], v1 offset:1280
	scratch_load_b128 v[10:13], off, off offset:448
	v_add_f64_e32 v[173:174], v[173:174], v[181:182]
	v_add_f64_e32 v[175:176], v[177:178], v[175:176]
	v_fma_f64 v[181:182], v[8:9], v[14:15], v[183:184]
	v_fma_f64 v[183:184], v[6:7], v[14:15], -v[16:17]
	ds_load_b128 v[6:9], v1 offset:1296
	scratch_load_b128 v[14:17], off, off offset:464
	s_wait_loadcnt_dscnt 0x901
	v_mul_f64_e32 v[177:178], v[2:3], v[20:21]
	v_mul_f64_e32 v[20:21], v[4:5], v[20:21]
	v_add_f64_e32 v[173:174], v[173:174], v[185:186]
	v_add_f64_e32 v[175:176], v[175:176], v[179:180]
	s_wait_loadcnt_dscnt 0x800
	v_mul_f64_e32 v[179:180], v[6:7], v[24:25]
	v_mul_f64_e32 v[24:25], v[8:9], v[24:25]
	v_fma_f64 v[177:178], v[4:5], v[18:19], v[177:178]
	v_fma_f64 v[185:186], v[2:3], v[18:19], -v[20:21]
	ds_load_b128 v[2:5], v1 offset:1312
	scratch_load_b128 v[18:21], off, off offset:480
	v_add_f64_e32 v[173:174], v[173:174], v[183:184]
	v_add_f64_e32 v[175:176], v[175:176], v[181:182]
	v_fma_f64 v[179:180], v[8:9], v[22:23], v[179:180]
	v_fma_f64 v[183:184], v[6:7], v[22:23], -v[24:25]
	ds_load_b128 v[6:9], v1 offset:1328
	s_wait_loadcnt_dscnt 0x801
	v_mul_f64_e32 v[181:182], v[2:3], v[28:29]
	v_mul_f64_e32 v[28:29], v[4:5], v[28:29]
	scratch_load_b128 v[22:25], off, off offset:496
	v_add_f64_e32 v[173:174], v[173:174], v[185:186]
	v_add_f64_e32 v[175:176], v[175:176], v[177:178]
	s_wait_loadcnt_dscnt 0x800
	v_mul_f64_e32 v[177:178], v[6:7], v[32:33]
	v_mul_f64_e32 v[32:33], v[8:9], v[32:33]
	v_fma_f64 v[181:182], v[4:5], v[26:27], v[181:182]
	v_fma_f64 v[185:186], v[2:3], v[26:27], -v[28:29]
	ds_load_b128 v[2:5], v1 offset:1344
	scratch_load_b128 v[26:29], off, off offset:512
	v_add_f64_e32 v[173:174], v[173:174], v[183:184]
	v_add_f64_e32 v[175:176], v[175:176], v[179:180]
	v_fma_f64 v[177:178], v[8:9], v[30:31], v[177:178]
	v_fma_f64 v[183:184], v[6:7], v[30:31], -v[32:33]
	ds_load_b128 v[6:9], v1 offset:1360
	s_wait_loadcnt_dscnt 0x801
	v_mul_f64_e32 v[179:180], v[2:3], v[36:37]
	v_mul_f64_e32 v[36:37], v[4:5], v[36:37]
	scratch_load_b128 v[30:33], off, off offset:528
	v_add_f64_e32 v[173:174], v[173:174], v[185:186]
	v_add_f64_e32 v[175:176], v[175:176], v[181:182]
	s_wait_loadcnt_dscnt 0x800
	v_mul_f64_e32 v[181:182], v[6:7], v[171:172]
	v_mul_f64_e32 v[171:172], v[8:9], v[171:172]
	v_fma_f64 v[179:180], v[4:5], v[34:35], v[179:180]
	v_fma_f64 v[185:186], v[2:3], v[34:35], -v[36:37]
	ds_load_b128 v[2:5], v1 offset:1376
	scratch_load_b128 v[34:37], off, off offset:544
	v_add_f64_e32 v[173:174], v[173:174], v[183:184]
	v_add_f64_e32 v[175:176], v[175:176], v[177:178]
	v_fma_f64 v[181:182], v[8:9], v[169:170], v[181:182]
	v_fma_f64 v[183:184], v[6:7], v[169:170], -v[171:172]
	ds_load_b128 v[6:9], v1 offset:1392
	scratch_load_b128 v[169:172], off, off offset:560
	s_wait_loadcnt_dscnt 0x901
	v_mul_f64_e32 v[177:178], v[2:3], v[40:41]
	v_mul_f64_e32 v[40:41], v[4:5], v[40:41]
	v_add_f64_e32 v[173:174], v[173:174], v[185:186]
	v_add_f64_e32 v[175:176], v[175:176], v[179:180]
	s_wait_loadcnt_dscnt 0x800
	v_mul_f64_e32 v[179:180], v[6:7], v[167:168]
	v_mul_f64_e32 v[167:168], v[8:9], v[167:168]
	v_fma_f64 v[177:178], v[4:5], v[38:39], v[177:178]
	v_fma_f64 v[185:186], v[2:3], v[38:39], -v[40:41]
	ds_load_b128 v[2:5], v1 offset:1408
	scratch_load_b128 v[38:41], off, off offset:576
	v_add_f64_e32 v[173:174], v[173:174], v[183:184]
	v_add_f64_e32 v[175:176], v[175:176], v[181:182]
	v_fma_f64 v[179:180], v[8:9], v[165:166], v[179:180]
	v_fma_f64 v[183:184], v[6:7], v[165:166], -v[167:168]
	ds_load_b128 v[6:9], v1 offset:1424
	s_wait_loadcnt_dscnt 0x801
	v_mul_f64_e32 v[181:182], v[2:3], v[12:13]
	v_mul_f64_e32 v[12:13], v[4:5], v[12:13]
	scratch_load_b128 v[165:168], off, off offset:592
	v_add_f64_e32 v[173:174], v[173:174], v[185:186]
	v_add_f64_e32 v[175:176], v[175:176], v[177:178]
	s_wait_loadcnt_dscnt 0x800
	v_mul_f64_e32 v[177:178], v[6:7], v[16:17]
	v_mul_f64_e32 v[16:17], v[8:9], v[16:17]
	v_fma_f64 v[181:182], v[4:5], v[10:11], v[181:182]
	v_fma_f64 v[185:186], v[2:3], v[10:11], -v[12:13]
	ds_load_b128 v[2:5], v1 offset:1440
	scratch_load_b128 v[10:13], off, off offset:608
	v_add_f64_e32 v[173:174], v[173:174], v[183:184]
	v_add_f64_e32 v[175:176], v[175:176], v[179:180]
	v_fma_f64 v[177:178], v[8:9], v[14:15], v[177:178]
	v_fma_f64 v[183:184], v[6:7], v[14:15], -v[16:17]
	ds_load_b128 v[6:9], v1 offset:1456
	s_wait_loadcnt_dscnt 0x801
	v_mul_f64_e32 v[179:180], v[2:3], v[20:21]
	v_mul_f64_e32 v[20:21], v[4:5], v[20:21]
	scratch_load_b128 v[14:17], off, off offset:624
	;; [unrolled: 18-line block ×13, first 2 shown]
	v_add_f64_e32 v[173:174], v[173:174], v[185:186]
	v_add_f64_e32 v[175:176], v[175:176], v[177:178]
	s_wait_loadcnt_dscnt 0x800
	v_mul_f64_e32 v[177:178], v[6:7], v[32:33]
	v_mul_f64_e32 v[32:33], v[8:9], v[32:33]
	v_fma_f64 v[181:182], v[4:5], v[26:27], v[181:182]
	v_fma_f64 v[26:27], v[2:3], v[26:27], -v[28:29]
	ds_load_b128 v[2:5], v1 offset:1824
	v_add_f64_e32 v[28:29], v[173:174], v[183:184]
	v_add_f64_e32 v[173:174], v[175:176], v[179:180]
	v_fma_f64 v[177:178], v[8:9], v[30:31], v[177:178]
	v_fma_f64 v[30:31], v[6:7], v[30:31], -v[32:33]
	ds_load_b128 v[6:9], v1 offset:1840
	s_wait_loadcnt_dscnt 0x701
	v_mul_f64_e32 v[175:176], v[2:3], v[36:37]
	v_mul_f64_e32 v[36:37], v[4:5], v[36:37]
	v_add_f64_e32 v[26:27], v[28:29], v[26:27]
	v_add_f64_e32 v[28:29], v[173:174], v[181:182]
	s_delay_alu instid0(VALU_DEP_4) | instskip(NEXT) | instid1(VALU_DEP_4)
	v_fma_f64 v[173:174], v[4:5], v[34:35], v[175:176]
	v_fma_f64 v[34:35], v[2:3], v[34:35], -v[36:37]
	ds_load_b128 v[2:5], v1 offset:1856
	v_add_f64_e32 v[30:31], v[26:27], v[30:31]
	v_add_f64_e32 v[36:37], v[28:29], v[177:178]
	scratch_load_b128 v[26:29], off, off offset:240
	s_wait_loadcnt_dscnt 0x701
	v_mul_f64_e32 v[32:33], v[6:7], v[171:172]
	v_mul_f64_e32 v[171:172], v[8:9], v[171:172]
	v_add_f64_e32 v[30:31], v[30:31], v[34:35]
	v_add_f64_e32 v[34:35], v[36:37], v[173:174]
	s_delay_alu instid0(VALU_DEP_4) | instskip(NEXT) | instid1(VALU_DEP_4)
	v_fma_f64 v[32:33], v[8:9], v[169:170], v[32:33]
	v_fma_f64 v[169:170], v[6:7], v[169:170], -v[171:172]
	ds_load_b128 v[6:9], v1 offset:1872
	s_wait_loadcnt_dscnt 0x601
	v_mul_f64_e32 v[175:176], v[2:3], v[40:41]
	v_mul_f64_e32 v[40:41], v[4:5], v[40:41]
	s_wait_loadcnt_dscnt 0x500
	v_mul_f64_e32 v[36:37], v[6:7], v[167:168]
	v_mul_f64_e32 v[167:168], v[8:9], v[167:168]
	v_add_f64_e32 v[32:33], v[34:35], v[32:33]
	v_add_f64_e32 v[30:31], v[30:31], v[169:170]
	v_fma_f64 v[171:172], v[4:5], v[38:39], v[175:176]
	v_fma_f64 v[38:39], v[2:3], v[38:39], -v[40:41]
	ds_load_b128 v[2:5], v1 offset:1888
	v_fma_f64 v[36:37], v[8:9], v[165:166], v[36:37]
	v_fma_f64 v[40:41], v[6:7], v[165:166], -v[167:168]
	ds_load_b128 v[6:9], v1 offset:1904
	s_wait_loadcnt_dscnt 0x401
	v_mul_f64_e32 v[34:35], v[2:3], v[12:13]
	v_mul_f64_e32 v[12:13], v[4:5], v[12:13]
	v_add_f64_e32 v[32:33], v[32:33], v[171:172]
	v_add_f64_e32 v[30:31], v[30:31], v[38:39]
	s_wait_loadcnt_dscnt 0x300
	v_mul_f64_e32 v[38:39], v[6:7], v[16:17]
	v_mul_f64_e32 v[16:17], v[8:9], v[16:17]
	v_fma_f64 v[34:35], v[4:5], v[10:11], v[34:35]
	v_fma_f64 v[10:11], v[2:3], v[10:11], -v[12:13]
	ds_load_b128 v[2:5], v1 offset:1920
	v_add_f64_e32 v[12:13], v[30:31], v[40:41]
	v_add_f64_e32 v[30:31], v[32:33], v[36:37]
	v_fma_f64 v[36:37], v[8:9], v[14:15], v[38:39]
	v_fma_f64 v[14:15], v[6:7], v[14:15], -v[16:17]
	ds_load_b128 v[6:9], v1 offset:1936
	s_wait_loadcnt_dscnt 0x201
	v_mul_f64_e32 v[32:33], v[2:3], v[20:21]
	v_mul_f64_e32 v[20:21], v[4:5], v[20:21]
	s_wait_loadcnt_dscnt 0x100
	v_mul_f64_e32 v[16:17], v[6:7], v[24:25]
	v_mul_f64_e32 v[24:25], v[8:9], v[24:25]
	v_add_f64_e32 v[10:11], v[12:13], v[10:11]
	v_add_f64_e32 v[12:13], v[30:31], v[34:35]
	v_fma_f64 v[4:5], v[4:5], v[18:19], v[32:33]
	v_fma_f64 v[1:2], v[2:3], v[18:19], -v[20:21]
	v_fma_f64 v[8:9], v[8:9], v[22:23], v[16:17]
	v_fma_f64 v[6:7], v[6:7], v[22:23], -v[24:25]
	v_add_f64_e32 v[10:11], v[10:11], v[14:15]
	v_add_f64_e32 v[12:13], v[12:13], v[36:37]
	s_delay_alu instid0(VALU_DEP_2) | instskip(NEXT) | instid1(VALU_DEP_2)
	v_add_f64_e32 v[1:2], v[10:11], v[1:2]
	v_add_f64_e32 v[3:4], v[12:13], v[4:5]
	s_delay_alu instid0(VALU_DEP_2) | instskip(NEXT) | instid1(VALU_DEP_2)
	v_add_f64_e32 v[1:2], v[1:2], v[6:7]
	v_add_f64_e32 v[3:4], v[3:4], v[8:9]
	s_wait_loadcnt 0x0
	s_delay_alu instid0(VALU_DEP_2) | instskip(NEXT) | instid1(VALU_DEP_2)
	v_add_f64_e64 v[1:2], v[26:27], -v[1:2]
	v_add_f64_e64 v[3:4], v[28:29], -v[3:4]
	scratch_store_b128 off, v[1:4], off offset:240
	v_cmpx_lt_u32_e32 13, v0
	s_cbranch_execz .LBB60_365
; %bb.364:
	scratch_load_b128 v[1:4], off, s63
	v_mov_b32_e32 v5, 0
	s_delay_alu instid0(VALU_DEP_1)
	v_dual_mov_b32 v6, v5 :: v_dual_mov_b32 v7, v5
	v_mov_b32_e32 v8, v5
	scratch_store_b128 off, v[5:8], off offset:224
	s_wait_loadcnt 0x0
	ds_store_b128 v164, v[1:4]
.LBB60_365:
	s_wait_alu 0xfffe
	s_or_b32 exec_lo, exec_lo, s0
	s_wait_storecnt_dscnt 0x0
	s_barrier_signal -1
	s_barrier_wait -1
	global_inv scope:SCOPE_SE
	s_clause 0x7
	scratch_load_b128 v[2:5], off, off offset:240
	scratch_load_b128 v[6:9], off, off offset:256
	;; [unrolled: 1-line block ×8, first 2 shown]
	v_mov_b32_e32 v1, 0
	s_clause 0x1
	scratch_load_b128 v[34:37], off, off offset:368
	scratch_load_b128 v[169:172], off, off offset:384
	s_mov_b32 s0, exec_lo
	ds_load_b128 v[38:41], v1 offset:1200
	ds_load_b128 v[165:168], v1 offset:1216
	s_wait_loadcnt_dscnt 0x901
	v_mul_f64_e32 v[173:174], v[40:41], v[4:5]
	v_mul_f64_e32 v[4:5], v[38:39], v[4:5]
	s_wait_loadcnt_dscnt 0x800
	v_mul_f64_e32 v[175:176], v[165:166], v[8:9]
	v_mul_f64_e32 v[8:9], v[167:168], v[8:9]
	s_delay_alu instid0(VALU_DEP_4) | instskip(NEXT) | instid1(VALU_DEP_4)
	v_fma_f64 v[173:174], v[38:39], v[2:3], -v[173:174]
	v_fma_f64 v[177:178], v[40:41], v[2:3], v[4:5]
	ds_load_b128 v[2:5], v1 offset:1232
	scratch_load_b128 v[38:41], off, off offset:400
	v_fma_f64 v[175:176], v[167:168], v[6:7], v[175:176]
	v_fma_f64 v[181:182], v[165:166], v[6:7], -v[8:9]
	ds_load_b128 v[6:9], v1 offset:1248
	scratch_load_b128 v[165:168], off, off offset:416
	s_wait_loadcnt_dscnt 0x901
	v_mul_f64_e32 v[179:180], v[2:3], v[12:13]
	v_mul_f64_e32 v[12:13], v[4:5], v[12:13]
	s_wait_loadcnt_dscnt 0x800
	v_mul_f64_e32 v[183:184], v[6:7], v[16:17]
	v_mul_f64_e32 v[16:17], v[8:9], v[16:17]
	v_add_f64_e32 v[173:174], 0, v[173:174]
	v_add_f64_e32 v[177:178], 0, v[177:178]
	v_fma_f64 v[179:180], v[4:5], v[10:11], v[179:180]
	v_fma_f64 v[185:186], v[2:3], v[10:11], -v[12:13]
	ds_load_b128 v[2:5], v1 offset:1264
	scratch_load_b128 v[10:13], off, off offset:432
	v_add_f64_e32 v[173:174], v[173:174], v[181:182]
	v_add_f64_e32 v[175:176], v[177:178], v[175:176]
	v_fma_f64 v[181:182], v[8:9], v[14:15], v[183:184]
	v_fma_f64 v[183:184], v[6:7], v[14:15], -v[16:17]
	ds_load_b128 v[6:9], v1 offset:1280
	scratch_load_b128 v[14:17], off, off offset:448
	s_wait_loadcnt_dscnt 0x901
	v_mul_f64_e32 v[177:178], v[2:3], v[20:21]
	v_mul_f64_e32 v[20:21], v[4:5], v[20:21]
	v_add_f64_e32 v[173:174], v[173:174], v[185:186]
	v_add_f64_e32 v[175:176], v[175:176], v[179:180]
	s_wait_loadcnt_dscnt 0x800
	v_mul_f64_e32 v[179:180], v[6:7], v[24:25]
	v_mul_f64_e32 v[24:25], v[8:9], v[24:25]
	v_fma_f64 v[177:178], v[4:5], v[18:19], v[177:178]
	v_fma_f64 v[185:186], v[2:3], v[18:19], -v[20:21]
	ds_load_b128 v[2:5], v1 offset:1296
	scratch_load_b128 v[18:21], off, off offset:464
	v_add_f64_e32 v[173:174], v[173:174], v[183:184]
	v_add_f64_e32 v[175:176], v[175:176], v[181:182]
	v_fma_f64 v[179:180], v[8:9], v[22:23], v[179:180]
	v_fma_f64 v[183:184], v[6:7], v[22:23], -v[24:25]
	ds_load_b128 v[6:9], v1 offset:1312
	s_wait_loadcnt_dscnt 0x801
	v_mul_f64_e32 v[181:182], v[2:3], v[28:29]
	v_mul_f64_e32 v[28:29], v[4:5], v[28:29]
	scratch_load_b128 v[22:25], off, off offset:480
	v_add_f64_e32 v[173:174], v[173:174], v[185:186]
	v_add_f64_e32 v[175:176], v[175:176], v[177:178]
	s_wait_loadcnt_dscnt 0x800
	v_mul_f64_e32 v[177:178], v[6:7], v[32:33]
	v_mul_f64_e32 v[32:33], v[8:9], v[32:33]
	v_fma_f64 v[181:182], v[4:5], v[26:27], v[181:182]
	v_fma_f64 v[185:186], v[2:3], v[26:27], -v[28:29]
	ds_load_b128 v[2:5], v1 offset:1328
	scratch_load_b128 v[26:29], off, off offset:496
	v_add_f64_e32 v[173:174], v[173:174], v[183:184]
	v_add_f64_e32 v[175:176], v[175:176], v[179:180]
	v_fma_f64 v[177:178], v[8:9], v[30:31], v[177:178]
	v_fma_f64 v[183:184], v[6:7], v[30:31], -v[32:33]
	ds_load_b128 v[6:9], v1 offset:1344
	s_wait_loadcnt_dscnt 0x801
	v_mul_f64_e32 v[179:180], v[2:3], v[36:37]
	v_mul_f64_e32 v[36:37], v[4:5], v[36:37]
	scratch_load_b128 v[30:33], off, off offset:512
	v_add_f64_e32 v[173:174], v[173:174], v[185:186]
	v_add_f64_e32 v[175:176], v[175:176], v[181:182]
	s_wait_loadcnt_dscnt 0x800
	v_mul_f64_e32 v[181:182], v[6:7], v[171:172]
	v_mul_f64_e32 v[171:172], v[8:9], v[171:172]
	v_fma_f64 v[179:180], v[4:5], v[34:35], v[179:180]
	v_fma_f64 v[185:186], v[2:3], v[34:35], -v[36:37]
	ds_load_b128 v[2:5], v1 offset:1360
	scratch_load_b128 v[34:37], off, off offset:528
	v_add_f64_e32 v[173:174], v[173:174], v[183:184]
	v_add_f64_e32 v[175:176], v[175:176], v[177:178]
	v_fma_f64 v[181:182], v[8:9], v[169:170], v[181:182]
	v_fma_f64 v[183:184], v[6:7], v[169:170], -v[171:172]
	ds_load_b128 v[6:9], v1 offset:1376
	scratch_load_b128 v[169:172], off, off offset:544
	s_wait_loadcnt_dscnt 0x901
	v_mul_f64_e32 v[177:178], v[2:3], v[40:41]
	v_mul_f64_e32 v[40:41], v[4:5], v[40:41]
	v_add_f64_e32 v[173:174], v[173:174], v[185:186]
	v_add_f64_e32 v[175:176], v[175:176], v[179:180]
	s_wait_loadcnt_dscnt 0x800
	v_mul_f64_e32 v[179:180], v[6:7], v[167:168]
	v_mul_f64_e32 v[167:168], v[8:9], v[167:168]
	v_fma_f64 v[177:178], v[4:5], v[38:39], v[177:178]
	v_fma_f64 v[185:186], v[2:3], v[38:39], -v[40:41]
	ds_load_b128 v[2:5], v1 offset:1392
	scratch_load_b128 v[38:41], off, off offset:560
	v_add_f64_e32 v[173:174], v[173:174], v[183:184]
	v_add_f64_e32 v[175:176], v[175:176], v[181:182]
	v_fma_f64 v[179:180], v[8:9], v[165:166], v[179:180]
	v_fma_f64 v[183:184], v[6:7], v[165:166], -v[167:168]
	ds_load_b128 v[6:9], v1 offset:1408
	s_wait_loadcnt_dscnt 0x801
	v_mul_f64_e32 v[181:182], v[2:3], v[12:13]
	v_mul_f64_e32 v[12:13], v[4:5], v[12:13]
	scratch_load_b128 v[165:168], off, off offset:576
	v_add_f64_e32 v[173:174], v[173:174], v[185:186]
	v_add_f64_e32 v[175:176], v[175:176], v[177:178]
	s_wait_loadcnt_dscnt 0x800
	v_mul_f64_e32 v[177:178], v[6:7], v[16:17]
	v_mul_f64_e32 v[16:17], v[8:9], v[16:17]
	v_fma_f64 v[181:182], v[4:5], v[10:11], v[181:182]
	v_fma_f64 v[185:186], v[2:3], v[10:11], -v[12:13]
	ds_load_b128 v[2:5], v1 offset:1424
	scratch_load_b128 v[10:13], off, off offset:592
	v_add_f64_e32 v[173:174], v[173:174], v[183:184]
	v_add_f64_e32 v[175:176], v[175:176], v[179:180]
	v_fma_f64 v[177:178], v[8:9], v[14:15], v[177:178]
	v_fma_f64 v[183:184], v[6:7], v[14:15], -v[16:17]
	ds_load_b128 v[6:9], v1 offset:1440
	s_wait_loadcnt_dscnt 0x801
	v_mul_f64_e32 v[179:180], v[2:3], v[20:21]
	v_mul_f64_e32 v[20:21], v[4:5], v[20:21]
	scratch_load_b128 v[14:17], off, off offset:608
	;; [unrolled: 18-line block ×13, first 2 shown]
	v_add_f64_e32 v[173:174], v[173:174], v[185:186]
	v_add_f64_e32 v[175:176], v[175:176], v[177:178]
	s_wait_loadcnt_dscnt 0x800
	v_mul_f64_e32 v[177:178], v[6:7], v[32:33]
	v_mul_f64_e32 v[32:33], v[8:9], v[32:33]
	v_fma_f64 v[181:182], v[4:5], v[26:27], v[181:182]
	v_fma_f64 v[185:186], v[2:3], v[26:27], -v[28:29]
	ds_load_b128 v[2:5], v1 offset:1808
	scratch_load_b128 v[26:29], off, off offset:976
	v_add_f64_e32 v[173:174], v[173:174], v[183:184]
	v_add_f64_e32 v[175:176], v[175:176], v[179:180]
	v_fma_f64 v[177:178], v[8:9], v[30:31], v[177:178]
	v_fma_f64 v[30:31], v[6:7], v[30:31], -v[32:33]
	ds_load_b128 v[6:9], v1 offset:1824
	s_wait_loadcnt_dscnt 0x801
	v_mul_f64_e32 v[179:180], v[2:3], v[36:37]
	v_mul_f64_e32 v[36:37], v[4:5], v[36:37]
	v_add_f64_e32 v[32:33], v[173:174], v[185:186]
	v_add_f64_e32 v[173:174], v[175:176], v[181:182]
	s_wait_loadcnt_dscnt 0x700
	v_mul_f64_e32 v[175:176], v[6:7], v[171:172]
	v_mul_f64_e32 v[171:172], v[8:9], v[171:172]
	v_fma_f64 v[179:180], v[4:5], v[34:35], v[179:180]
	v_fma_f64 v[34:35], v[2:3], v[34:35], -v[36:37]
	ds_load_b128 v[2:5], v1 offset:1840
	v_add_f64_e32 v[30:31], v[32:33], v[30:31]
	v_add_f64_e32 v[32:33], v[173:174], v[177:178]
	v_fma_f64 v[173:174], v[8:9], v[169:170], v[175:176]
	v_fma_f64 v[169:170], v[6:7], v[169:170], -v[171:172]
	ds_load_b128 v[6:9], v1 offset:1856
	s_wait_loadcnt_dscnt 0x500
	v_mul_f64_e32 v[175:176], v[6:7], v[167:168]
	v_mul_f64_e32 v[167:168], v[8:9], v[167:168]
	v_add_f64_e32 v[34:35], v[30:31], v[34:35]
	v_add_f64_e32 v[171:172], v[32:33], v[179:180]
	scratch_load_b128 v[30:33], off, off offset:224
	v_mul_f64_e32 v[36:37], v[2:3], v[40:41]
	v_mul_f64_e32 v[40:41], v[4:5], v[40:41]
	v_add_f64_e32 v[34:35], v[34:35], v[169:170]
	s_delay_alu instid0(VALU_DEP_3) | instskip(NEXT) | instid1(VALU_DEP_3)
	v_fma_f64 v[36:37], v[4:5], v[38:39], v[36:37]
	v_fma_f64 v[38:39], v[2:3], v[38:39], -v[40:41]
	v_add_f64_e32 v[40:41], v[171:172], v[173:174]
	ds_load_b128 v[2:5], v1 offset:1872
	v_fma_f64 v[171:172], v[8:9], v[165:166], v[175:176]
	v_fma_f64 v[165:166], v[6:7], v[165:166], -v[167:168]
	ds_load_b128 v[6:9], v1 offset:1888
	s_wait_loadcnt_dscnt 0x501
	v_mul_f64_e32 v[169:170], v[2:3], v[12:13]
	v_mul_f64_e32 v[12:13], v[4:5], v[12:13]
	v_add_f64_e32 v[34:35], v[34:35], v[38:39]
	v_add_f64_e32 v[36:37], v[40:41], v[36:37]
	s_wait_loadcnt_dscnt 0x400
	v_mul_f64_e32 v[38:39], v[6:7], v[16:17]
	v_mul_f64_e32 v[16:17], v[8:9], v[16:17]
	v_fma_f64 v[40:41], v[4:5], v[10:11], v[169:170]
	v_fma_f64 v[10:11], v[2:3], v[10:11], -v[12:13]
	ds_load_b128 v[2:5], v1 offset:1904
	v_add_f64_e32 v[12:13], v[34:35], v[165:166]
	v_add_f64_e32 v[34:35], v[36:37], v[171:172]
	v_fma_f64 v[38:39], v[8:9], v[14:15], v[38:39]
	v_fma_f64 v[14:15], v[6:7], v[14:15], -v[16:17]
	ds_load_b128 v[6:9], v1 offset:1920
	s_wait_loadcnt_dscnt 0x301
	v_mul_f64_e32 v[36:37], v[2:3], v[20:21]
	v_mul_f64_e32 v[20:21], v[4:5], v[20:21]
	s_wait_loadcnt_dscnt 0x200
	v_mul_f64_e32 v[16:17], v[6:7], v[24:25]
	v_mul_f64_e32 v[24:25], v[8:9], v[24:25]
	v_add_f64_e32 v[10:11], v[12:13], v[10:11]
	v_add_f64_e32 v[12:13], v[34:35], v[40:41]
	v_fma_f64 v[34:35], v[4:5], v[18:19], v[36:37]
	v_fma_f64 v[18:19], v[2:3], v[18:19], -v[20:21]
	ds_load_b128 v[2:5], v1 offset:1936
	v_fma_f64 v[8:9], v[8:9], v[22:23], v[16:17]
	v_fma_f64 v[6:7], v[6:7], v[22:23], -v[24:25]
	s_wait_loadcnt_dscnt 0x100
	v_mul_f64_e32 v[20:21], v[4:5], v[28:29]
	v_add_f64_e32 v[10:11], v[10:11], v[14:15]
	v_add_f64_e32 v[12:13], v[12:13], v[38:39]
	v_mul_f64_e32 v[14:15], v[2:3], v[28:29]
	s_delay_alu instid0(VALU_DEP_4) | instskip(NEXT) | instid1(VALU_DEP_4)
	v_fma_f64 v[2:3], v[2:3], v[26:27], -v[20:21]
	v_add_f64_e32 v[10:11], v[10:11], v[18:19]
	s_delay_alu instid0(VALU_DEP_4) | instskip(NEXT) | instid1(VALU_DEP_4)
	v_add_f64_e32 v[12:13], v[12:13], v[34:35]
	v_fma_f64 v[4:5], v[4:5], v[26:27], v[14:15]
	s_delay_alu instid0(VALU_DEP_3) | instskip(NEXT) | instid1(VALU_DEP_3)
	v_add_f64_e32 v[6:7], v[10:11], v[6:7]
	v_add_f64_e32 v[8:9], v[12:13], v[8:9]
	s_delay_alu instid0(VALU_DEP_2) | instskip(NEXT) | instid1(VALU_DEP_2)
	v_add_f64_e32 v[2:3], v[6:7], v[2:3]
	v_add_f64_e32 v[4:5], v[8:9], v[4:5]
	s_wait_loadcnt 0x0
	s_delay_alu instid0(VALU_DEP_2) | instskip(NEXT) | instid1(VALU_DEP_2)
	v_add_f64_e64 v[2:3], v[30:31], -v[2:3]
	v_add_f64_e64 v[4:5], v[32:33], -v[4:5]
	scratch_store_b128 off, v[2:5], off offset:224
	v_cmpx_lt_u32_e32 12, v0
	s_cbranch_execz .LBB60_367
; %bb.366:
	scratch_load_b128 v[5:8], off, s64
	v_dual_mov_b32 v2, v1 :: v_dual_mov_b32 v3, v1
	v_mov_b32_e32 v4, v1
	scratch_store_b128 off, v[1:4], off offset:208
	s_wait_loadcnt 0x0
	ds_store_b128 v164, v[5:8]
.LBB60_367:
	s_wait_alu 0xfffe
	s_or_b32 exec_lo, exec_lo, s0
	s_wait_storecnt_dscnt 0x0
	s_barrier_signal -1
	s_barrier_wait -1
	global_inv scope:SCOPE_SE
	s_clause 0x7
	scratch_load_b128 v[2:5], off, off offset:224
	scratch_load_b128 v[6:9], off, off offset:240
	;; [unrolled: 1-line block ×8, first 2 shown]
	ds_load_b128 v[38:41], v1 offset:1184
	ds_load_b128 v[165:168], v1 offset:1200
	s_clause 0x1
	scratch_load_b128 v[34:37], off, off offset:352
	scratch_load_b128 v[169:172], off, off offset:368
	s_mov_b32 s0, exec_lo
	s_wait_loadcnt_dscnt 0x901
	v_mul_f64_e32 v[173:174], v[40:41], v[4:5]
	v_mul_f64_e32 v[4:5], v[38:39], v[4:5]
	s_wait_loadcnt_dscnt 0x800
	v_mul_f64_e32 v[175:176], v[165:166], v[8:9]
	v_mul_f64_e32 v[8:9], v[167:168], v[8:9]
	s_delay_alu instid0(VALU_DEP_4) | instskip(NEXT) | instid1(VALU_DEP_4)
	v_fma_f64 v[173:174], v[38:39], v[2:3], -v[173:174]
	v_fma_f64 v[177:178], v[40:41], v[2:3], v[4:5]
	ds_load_b128 v[2:5], v1 offset:1216
	scratch_load_b128 v[38:41], off, off offset:384
	v_fma_f64 v[175:176], v[167:168], v[6:7], v[175:176]
	v_fma_f64 v[181:182], v[165:166], v[6:7], -v[8:9]
	ds_load_b128 v[6:9], v1 offset:1232
	scratch_load_b128 v[165:168], off, off offset:400
	s_wait_loadcnt_dscnt 0x901
	v_mul_f64_e32 v[179:180], v[2:3], v[12:13]
	v_mul_f64_e32 v[12:13], v[4:5], v[12:13]
	s_wait_loadcnt_dscnt 0x800
	v_mul_f64_e32 v[183:184], v[6:7], v[16:17]
	v_mul_f64_e32 v[16:17], v[8:9], v[16:17]
	v_add_f64_e32 v[173:174], 0, v[173:174]
	v_add_f64_e32 v[177:178], 0, v[177:178]
	v_fma_f64 v[179:180], v[4:5], v[10:11], v[179:180]
	v_fma_f64 v[185:186], v[2:3], v[10:11], -v[12:13]
	ds_load_b128 v[2:5], v1 offset:1248
	scratch_load_b128 v[10:13], off, off offset:416
	v_add_f64_e32 v[173:174], v[173:174], v[181:182]
	v_add_f64_e32 v[175:176], v[177:178], v[175:176]
	v_fma_f64 v[181:182], v[8:9], v[14:15], v[183:184]
	v_fma_f64 v[183:184], v[6:7], v[14:15], -v[16:17]
	ds_load_b128 v[6:9], v1 offset:1264
	scratch_load_b128 v[14:17], off, off offset:432
	s_wait_loadcnt_dscnt 0x901
	v_mul_f64_e32 v[177:178], v[2:3], v[20:21]
	v_mul_f64_e32 v[20:21], v[4:5], v[20:21]
	v_add_f64_e32 v[173:174], v[173:174], v[185:186]
	v_add_f64_e32 v[175:176], v[175:176], v[179:180]
	s_wait_loadcnt_dscnt 0x800
	v_mul_f64_e32 v[179:180], v[6:7], v[24:25]
	v_mul_f64_e32 v[24:25], v[8:9], v[24:25]
	v_fma_f64 v[177:178], v[4:5], v[18:19], v[177:178]
	v_fma_f64 v[185:186], v[2:3], v[18:19], -v[20:21]
	ds_load_b128 v[2:5], v1 offset:1280
	scratch_load_b128 v[18:21], off, off offset:448
	v_add_f64_e32 v[173:174], v[173:174], v[183:184]
	v_add_f64_e32 v[175:176], v[175:176], v[181:182]
	v_fma_f64 v[179:180], v[8:9], v[22:23], v[179:180]
	v_fma_f64 v[183:184], v[6:7], v[22:23], -v[24:25]
	ds_load_b128 v[6:9], v1 offset:1296
	s_wait_loadcnt_dscnt 0x801
	v_mul_f64_e32 v[181:182], v[2:3], v[28:29]
	v_mul_f64_e32 v[28:29], v[4:5], v[28:29]
	scratch_load_b128 v[22:25], off, off offset:464
	v_add_f64_e32 v[173:174], v[173:174], v[185:186]
	v_add_f64_e32 v[175:176], v[175:176], v[177:178]
	s_wait_loadcnt_dscnt 0x800
	v_mul_f64_e32 v[177:178], v[6:7], v[32:33]
	v_mul_f64_e32 v[32:33], v[8:9], v[32:33]
	v_fma_f64 v[181:182], v[4:5], v[26:27], v[181:182]
	v_fma_f64 v[185:186], v[2:3], v[26:27], -v[28:29]
	ds_load_b128 v[2:5], v1 offset:1312
	scratch_load_b128 v[26:29], off, off offset:480
	v_add_f64_e32 v[173:174], v[173:174], v[183:184]
	v_add_f64_e32 v[175:176], v[175:176], v[179:180]
	v_fma_f64 v[177:178], v[8:9], v[30:31], v[177:178]
	v_fma_f64 v[183:184], v[6:7], v[30:31], -v[32:33]
	ds_load_b128 v[6:9], v1 offset:1328
	s_wait_loadcnt_dscnt 0x801
	v_mul_f64_e32 v[179:180], v[2:3], v[36:37]
	v_mul_f64_e32 v[36:37], v[4:5], v[36:37]
	scratch_load_b128 v[30:33], off, off offset:496
	v_add_f64_e32 v[173:174], v[173:174], v[185:186]
	v_add_f64_e32 v[175:176], v[175:176], v[181:182]
	s_wait_loadcnt_dscnt 0x800
	v_mul_f64_e32 v[181:182], v[6:7], v[171:172]
	v_mul_f64_e32 v[171:172], v[8:9], v[171:172]
	v_fma_f64 v[179:180], v[4:5], v[34:35], v[179:180]
	v_fma_f64 v[185:186], v[2:3], v[34:35], -v[36:37]
	ds_load_b128 v[2:5], v1 offset:1344
	scratch_load_b128 v[34:37], off, off offset:512
	v_add_f64_e32 v[173:174], v[173:174], v[183:184]
	v_add_f64_e32 v[175:176], v[175:176], v[177:178]
	v_fma_f64 v[181:182], v[8:9], v[169:170], v[181:182]
	v_fma_f64 v[183:184], v[6:7], v[169:170], -v[171:172]
	ds_load_b128 v[6:9], v1 offset:1360
	scratch_load_b128 v[169:172], off, off offset:528
	s_wait_loadcnt_dscnt 0x901
	v_mul_f64_e32 v[177:178], v[2:3], v[40:41]
	v_mul_f64_e32 v[40:41], v[4:5], v[40:41]
	v_add_f64_e32 v[173:174], v[173:174], v[185:186]
	v_add_f64_e32 v[175:176], v[175:176], v[179:180]
	s_wait_loadcnt_dscnt 0x800
	v_mul_f64_e32 v[179:180], v[6:7], v[167:168]
	v_mul_f64_e32 v[167:168], v[8:9], v[167:168]
	v_fma_f64 v[177:178], v[4:5], v[38:39], v[177:178]
	v_fma_f64 v[185:186], v[2:3], v[38:39], -v[40:41]
	ds_load_b128 v[2:5], v1 offset:1376
	scratch_load_b128 v[38:41], off, off offset:544
	v_add_f64_e32 v[173:174], v[173:174], v[183:184]
	v_add_f64_e32 v[175:176], v[175:176], v[181:182]
	v_fma_f64 v[179:180], v[8:9], v[165:166], v[179:180]
	v_fma_f64 v[183:184], v[6:7], v[165:166], -v[167:168]
	ds_load_b128 v[6:9], v1 offset:1392
	s_wait_loadcnt_dscnt 0x801
	v_mul_f64_e32 v[181:182], v[2:3], v[12:13]
	v_mul_f64_e32 v[12:13], v[4:5], v[12:13]
	scratch_load_b128 v[165:168], off, off offset:560
	v_add_f64_e32 v[173:174], v[173:174], v[185:186]
	v_add_f64_e32 v[175:176], v[175:176], v[177:178]
	s_wait_loadcnt_dscnt 0x800
	v_mul_f64_e32 v[177:178], v[6:7], v[16:17]
	v_mul_f64_e32 v[16:17], v[8:9], v[16:17]
	v_fma_f64 v[181:182], v[4:5], v[10:11], v[181:182]
	v_fma_f64 v[185:186], v[2:3], v[10:11], -v[12:13]
	ds_load_b128 v[2:5], v1 offset:1408
	scratch_load_b128 v[10:13], off, off offset:576
	v_add_f64_e32 v[173:174], v[173:174], v[183:184]
	v_add_f64_e32 v[175:176], v[175:176], v[179:180]
	v_fma_f64 v[177:178], v[8:9], v[14:15], v[177:178]
	v_fma_f64 v[183:184], v[6:7], v[14:15], -v[16:17]
	ds_load_b128 v[6:9], v1 offset:1424
	s_wait_loadcnt_dscnt 0x801
	v_mul_f64_e32 v[179:180], v[2:3], v[20:21]
	v_mul_f64_e32 v[20:21], v[4:5], v[20:21]
	scratch_load_b128 v[14:17], off, off offset:592
	;; [unrolled: 18-line block ×14, first 2 shown]
	v_add_f64_e32 v[173:174], v[173:174], v[185:186]
	v_add_f64_e32 v[175:176], v[175:176], v[181:182]
	s_wait_loadcnt_dscnt 0x800
	v_mul_f64_e32 v[181:182], v[6:7], v[171:172]
	v_mul_f64_e32 v[171:172], v[8:9], v[171:172]
	v_fma_f64 v[179:180], v[4:5], v[34:35], v[179:180]
	v_fma_f64 v[34:35], v[2:3], v[34:35], -v[36:37]
	ds_load_b128 v[2:5], v1 offset:1824
	v_add_f64_e32 v[36:37], v[173:174], v[183:184]
	v_add_f64_e32 v[173:174], v[175:176], v[177:178]
	v_fma_f64 v[177:178], v[8:9], v[169:170], v[181:182]
	v_fma_f64 v[169:170], v[6:7], v[169:170], -v[171:172]
	ds_load_b128 v[6:9], v1 offset:1840
	s_wait_loadcnt_dscnt 0x701
	v_mul_f64_e32 v[175:176], v[2:3], v[40:41]
	v_mul_f64_e32 v[40:41], v[4:5], v[40:41]
	v_add_f64_e32 v[34:35], v[36:37], v[34:35]
	v_add_f64_e32 v[36:37], v[173:174], v[179:180]
	s_delay_alu instid0(VALU_DEP_4) | instskip(NEXT) | instid1(VALU_DEP_4)
	v_fma_f64 v[173:174], v[4:5], v[38:39], v[175:176]
	v_fma_f64 v[38:39], v[2:3], v[38:39], -v[40:41]
	ds_load_b128 v[2:5], v1 offset:1856
	v_add_f64_e32 v[40:41], v[34:35], v[169:170]
	v_add_f64_e32 v[169:170], v[36:37], v[177:178]
	scratch_load_b128 v[34:37], off, off offset:208
	s_wait_loadcnt_dscnt 0x701
	v_mul_f64_e32 v[171:172], v[6:7], v[167:168]
	v_mul_f64_e32 v[167:168], v[8:9], v[167:168]
	v_add_f64_e32 v[38:39], v[40:41], v[38:39]
	v_add_f64_e32 v[40:41], v[169:170], v[173:174]
	s_delay_alu instid0(VALU_DEP_4) | instskip(NEXT) | instid1(VALU_DEP_4)
	v_fma_f64 v[171:172], v[8:9], v[165:166], v[171:172]
	v_fma_f64 v[165:166], v[6:7], v[165:166], -v[167:168]
	ds_load_b128 v[6:9], v1 offset:1872
	s_wait_loadcnt_dscnt 0x601
	v_mul_f64_e32 v[175:176], v[2:3], v[12:13]
	v_mul_f64_e32 v[12:13], v[4:5], v[12:13]
	s_wait_loadcnt_dscnt 0x500
	v_mul_f64_e32 v[167:168], v[6:7], v[16:17]
	v_mul_f64_e32 v[16:17], v[8:9], v[16:17]
	s_delay_alu instid0(VALU_DEP_4) | instskip(NEXT) | instid1(VALU_DEP_4)
	v_fma_f64 v[169:170], v[4:5], v[10:11], v[175:176]
	v_fma_f64 v[10:11], v[2:3], v[10:11], -v[12:13]
	v_add_f64_e32 v[12:13], v[38:39], v[165:166]
	v_add_f64_e32 v[38:39], v[40:41], v[171:172]
	ds_load_b128 v[2:5], v1 offset:1888
	v_fma_f64 v[165:166], v[8:9], v[14:15], v[167:168]
	v_fma_f64 v[14:15], v[6:7], v[14:15], -v[16:17]
	ds_load_b128 v[6:9], v1 offset:1904
	s_wait_loadcnt_dscnt 0x401
	v_mul_f64_e32 v[40:41], v[2:3], v[20:21]
	v_mul_f64_e32 v[20:21], v[4:5], v[20:21]
	v_add_f64_e32 v[10:11], v[12:13], v[10:11]
	v_add_f64_e32 v[12:13], v[38:39], v[169:170]
	s_wait_loadcnt_dscnt 0x300
	v_mul_f64_e32 v[16:17], v[6:7], v[24:25]
	v_mul_f64_e32 v[24:25], v[8:9], v[24:25]
	v_fma_f64 v[38:39], v[4:5], v[18:19], v[40:41]
	v_fma_f64 v[18:19], v[2:3], v[18:19], -v[20:21]
	ds_load_b128 v[2:5], v1 offset:1920
	v_add_f64_e32 v[10:11], v[10:11], v[14:15]
	v_add_f64_e32 v[12:13], v[12:13], v[165:166]
	v_fma_f64 v[16:17], v[8:9], v[22:23], v[16:17]
	v_fma_f64 v[22:23], v[6:7], v[22:23], -v[24:25]
	ds_load_b128 v[6:9], v1 offset:1936
	s_wait_loadcnt_dscnt 0x201
	v_mul_f64_e32 v[14:15], v[2:3], v[28:29]
	v_mul_f64_e32 v[20:21], v[4:5], v[28:29]
	s_wait_loadcnt_dscnt 0x100
	v_mul_f64_e32 v[24:25], v[8:9], v[32:33]
	v_add_f64_e32 v[10:11], v[10:11], v[18:19]
	v_add_f64_e32 v[12:13], v[12:13], v[38:39]
	v_mul_f64_e32 v[18:19], v[6:7], v[32:33]
	v_fma_f64 v[4:5], v[4:5], v[26:27], v[14:15]
	v_fma_f64 v[1:2], v[2:3], v[26:27], -v[20:21]
	v_fma_f64 v[6:7], v[6:7], v[30:31], -v[24:25]
	v_add_f64_e32 v[10:11], v[10:11], v[22:23]
	v_add_f64_e32 v[12:13], v[12:13], v[16:17]
	v_fma_f64 v[8:9], v[8:9], v[30:31], v[18:19]
	s_delay_alu instid0(VALU_DEP_3) | instskip(NEXT) | instid1(VALU_DEP_3)
	v_add_f64_e32 v[1:2], v[10:11], v[1:2]
	v_add_f64_e32 v[3:4], v[12:13], v[4:5]
	s_delay_alu instid0(VALU_DEP_2) | instskip(NEXT) | instid1(VALU_DEP_2)
	v_add_f64_e32 v[1:2], v[1:2], v[6:7]
	v_add_f64_e32 v[3:4], v[3:4], v[8:9]
	s_wait_loadcnt 0x0
	s_delay_alu instid0(VALU_DEP_2) | instskip(NEXT) | instid1(VALU_DEP_2)
	v_add_f64_e64 v[1:2], v[34:35], -v[1:2]
	v_add_f64_e64 v[3:4], v[36:37], -v[3:4]
	scratch_store_b128 off, v[1:4], off offset:208
	v_cmpx_lt_u32_e32 11, v0
	s_cbranch_execz .LBB60_369
; %bb.368:
	scratch_load_b128 v[1:4], off, s65
	v_mov_b32_e32 v5, 0
	s_delay_alu instid0(VALU_DEP_1)
	v_dual_mov_b32 v6, v5 :: v_dual_mov_b32 v7, v5
	v_mov_b32_e32 v8, v5
	scratch_store_b128 off, v[5:8], off offset:192
	s_wait_loadcnt 0x0
	ds_store_b128 v164, v[1:4]
.LBB60_369:
	s_wait_alu 0xfffe
	s_or_b32 exec_lo, exec_lo, s0
	s_wait_storecnt_dscnt 0x0
	s_barrier_signal -1
	s_barrier_wait -1
	global_inv scope:SCOPE_SE
	s_clause 0x7
	scratch_load_b128 v[2:5], off, off offset:208
	scratch_load_b128 v[6:9], off, off offset:224
	;; [unrolled: 1-line block ×8, first 2 shown]
	v_mov_b32_e32 v1, 0
	s_clause 0x1
	scratch_load_b128 v[34:37], off, off offset:336
	scratch_load_b128 v[169:172], off, off offset:352
	s_mov_b32 s0, exec_lo
	ds_load_b128 v[38:41], v1 offset:1168
	ds_load_b128 v[165:168], v1 offset:1184
	s_wait_loadcnt_dscnt 0x901
	v_mul_f64_e32 v[173:174], v[40:41], v[4:5]
	v_mul_f64_e32 v[4:5], v[38:39], v[4:5]
	s_wait_loadcnt_dscnt 0x800
	v_mul_f64_e32 v[175:176], v[165:166], v[8:9]
	v_mul_f64_e32 v[8:9], v[167:168], v[8:9]
	s_delay_alu instid0(VALU_DEP_4) | instskip(NEXT) | instid1(VALU_DEP_4)
	v_fma_f64 v[173:174], v[38:39], v[2:3], -v[173:174]
	v_fma_f64 v[177:178], v[40:41], v[2:3], v[4:5]
	ds_load_b128 v[2:5], v1 offset:1200
	scratch_load_b128 v[38:41], off, off offset:368
	v_fma_f64 v[175:176], v[167:168], v[6:7], v[175:176]
	v_fma_f64 v[181:182], v[165:166], v[6:7], -v[8:9]
	ds_load_b128 v[6:9], v1 offset:1216
	scratch_load_b128 v[165:168], off, off offset:384
	s_wait_loadcnt_dscnt 0x901
	v_mul_f64_e32 v[179:180], v[2:3], v[12:13]
	v_mul_f64_e32 v[12:13], v[4:5], v[12:13]
	s_wait_loadcnt_dscnt 0x800
	v_mul_f64_e32 v[183:184], v[6:7], v[16:17]
	v_mul_f64_e32 v[16:17], v[8:9], v[16:17]
	v_add_f64_e32 v[173:174], 0, v[173:174]
	v_add_f64_e32 v[177:178], 0, v[177:178]
	v_fma_f64 v[179:180], v[4:5], v[10:11], v[179:180]
	v_fma_f64 v[185:186], v[2:3], v[10:11], -v[12:13]
	ds_load_b128 v[2:5], v1 offset:1232
	scratch_load_b128 v[10:13], off, off offset:400
	v_add_f64_e32 v[173:174], v[173:174], v[181:182]
	v_add_f64_e32 v[175:176], v[177:178], v[175:176]
	v_fma_f64 v[181:182], v[8:9], v[14:15], v[183:184]
	v_fma_f64 v[183:184], v[6:7], v[14:15], -v[16:17]
	ds_load_b128 v[6:9], v1 offset:1248
	scratch_load_b128 v[14:17], off, off offset:416
	s_wait_loadcnt_dscnt 0x901
	v_mul_f64_e32 v[177:178], v[2:3], v[20:21]
	v_mul_f64_e32 v[20:21], v[4:5], v[20:21]
	v_add_f64_e32 v[173:174], v[173:174], v[185:186]
	v_add_f64_e32 v[175:176], v[175:176], v[179:180]
	s_wait_loadcnt_dscnt 0x800
	v_mul_f64_e32 v[179:180], v[6:7], v[24:25]
	v_mul_f64_e32 v[24:25], v[8:9], v[24:25]
	v_fma_f64 v[177:178], v[4:5], v[18:19], v[177:178]
	v_fma_f64 v[185:186], v[2:3], v[18:19], -v[20:21]
	ds_load_b128 v[2:5], v1 offset:1264
	scratch_load_b128 v[18:21], off, off offset:432
	v_add_f64_e32 v[173:174], v[173:174], v[183:184]
	v_add_f64_e32 v[175:176], v[175:176], v[181:182]
	v_fma_f64 v[179:180], v[8:9], v[22:23], v[179:180]
	v_fma_f64 v[183:184], v[6:7], v[22:23], -v[24:25]
	ds_load_b128 v[6:9], v1 offset:1280
	s_wait_loadcnt_dscnt 0x801
	v_mul_f64_e32 v[181:182], v[2:3], v[28:29]
	v_mul_f64_e32 v[28:29], v[4:5], v[28:29]
	scratch_load_b128 v[22:25], off, off offset:448
	v_add_f64_e32 v[173:174], v[173:174], v[185:186]
	v_add_f64_e32 v[175:176], v[175:176], v[177:178]
	s_wait_loadcnt_dscnt 0x800
	v_mul_f64_e32 v[177:178], v[6:7], v[32:33]
	v_mul_f64_e32 v[32:33], v[8:9], v[32:33]
	v_fma_f64 v[181:182], v[4:5], v[26:27], v[181:182]
	v_fma_f64 v[185:186], v[2:3], v[26:27], -v[28:29]
	ds_load_b128 v[2:5], v1 offset:1296
	scratch_load_b128 v[26:29], off, off offset:464
	v_add_f64_e32 v[173:174], v[173:174], v[183:184]
	v_add_f64_e32 v[175:176], v[175:176], v[179:180]
	v_fma_f64 v[177:178], v[8:9], v[30:31], v[177:178]
	v_fma_f64 v[183:184], v[6:7], v[30:31], -v[32:33]
	ds_load_b128 v[6:9], v1 offset:1312
	s_wait_loadcnt_dscnt 0x801
	v_mul_f64_e32 v[179:180], v[2:3], v[36:37]
	v_mul_f64_e32 v[36:37], v[4:5], v[36:37]
	scratch_load_b128 v[30:33], off, off offset:480
	v_add_f64_e32 v[173:174], v[173:174], v[185:186]
	v_add_f64_e32 v[175:176], v[175:176], v[181:182]
	s_wait_loadcnt_dscnt 0x800
	v_mul_f64_e32 v[181:182], v[6:7], v[171:172]
	v_mul_f64_e32 v[171:172], v[8:9], v[171:172]
	v_fma_f64 v[179:180], v[4:5], v[34:35], v[179:180]
	v_fma_f64 v[185:186], v[2:3], v[34:35], -v[36:37]
	ds_load_b128 v[2:5], v1 offset:1328
	scratch_load_b128 v[34:37], off, off offset:496
	v_add_f64_e32 v[173:174], v[173:174], v[183:184]
	v_add_f64_e32 v[175:176], v[175:176], v[177:178]
	v_fma_f64 v[181:182], v[8:9], v[169:170], v[181:182]
	v_fma_f64 v[183:184], v[6:7], v[169:170], -v[171:172]
	ds_load_b128 v[6:9], v1 offset:1344
	scratch_load_b128 v[169:172], off, off offset:512
	s_wait_loadcnt_dscnt 0x901
	v_mul_f64_e32 v[177:178], v[2:3], v[40:41]
	v_mul_f64_e32 v[40:41], v[4:5], v[40:41]
	v_add_f64_e32 v[173:174], v[173:174], v[185:186]
	v_add_f64_e32 v[175:176], v[175:176], v[179:180]
	s_wait_loadcnt_dscnt 0x800
	v_mul_f64_e32 v[179:180], v[6:7], v[167:168]
	v_mul_f64_e32 v[167:168], v[8:9], v[167:168]
	v_fma_f64 v[177:178], v[4:5], v[38:39], v[177:178]
	v_fma_f64 v[185:186], v[2:3], v[38:39], -v[40:41]
	ds_load_b128 v[2:5], v1 offset:1360
	scratch_load_b128 v[38:41], off, off offset:528
	v_add_f64_e32 v[173:174], v[173:174], v[183:184]
	v_add_f64_e32 v[175:176], v[175:176], v[181:182]
	v_fma_f64 v[179:180], v[8:9], v[165:166], v[179:180]
	v_fma_f64 v[183:184], v[6:7], v[165:166], -v[167:168]
	ds_load_b128 v[6:9], v1 offset:1376
	s_wait_loadcnt_dscnt 0x801
	v_mul_f64_e32 v[181:182], v[2:3], v[12:13]
	v_mul_f64_e32 v[12:13], v[4:5], v[12:13]
	scratch_load_b128 v[165:168], off, off offset:544
	v_add_f64_e32 v[173:174], v[173:174], v[185:186]
	v_add_f64_e32 v[175:176], v[175:176], v[177:178]
	s_wait_loadcnt_dscnt 0x800
	v_mul_f64_e32 v[177:178], v[6:7], v[16:17]
	v_mul_f64_e32 v[16:17], v[8:9], v[16:17]
	v_fma_f64 v[181:182], v[4:5], v[10:11], v[181:182]
	v_fma_f64 v[185:186], v[2:3], v[10:11], -v[12:13]
	ds_load_b128 v[2:5], v1 offset:1392
	scratch_load_b128 v[10:13], off, off offset:560
	v_add_f64_e32 v[173:174], v[173:174], v[183:184]
	v_add_f64_e32 v[175:176], v[175:176], v[179:180]
	v_fma_f64 v[177:178], v[8:9], v[14:15], v[177:178]
	v_fma_f64 v[183:184], v[6:7], v[14:15], -v[16:17]
	ds_load_b128 v[6:9], v1 offset:1408
	s_wait_loadcnt_dscnt 0x801
	v_mul_f64_e32 v[179:180], v[2:3], v[20:21]
	v_mul_f64_e32 v[20:21], v[4:5], v[20:21]
	scratch_load_b128 v[14:17], off, off offset:576
	;; [unrolled: 18-line block ×14, first 2 shown]
	v_add_f64_e32 v[173:174], v[173:174], v[185:186]
	v_add_f64_e32 v[175:176], v[175:176], v[181:182]
	s_wait_loadcnt_dscnt 0x800
	v_mul_f64_e32 v[181:182], v[6:7], v[171:172]
	v_mul_f64_e32 v[171:172], v[8:9], v[171:172]
	v_fma_f64 v[179:180], v[4:5], v[34:35], v[179:180]
	v_fma_f64 v[185:186], v[2:3], v[34:35], -v[36:37]
	ds_load_b128 v[2:5], v1 offset:1808
	scratch_load_b128 v[34:37], off, off offset:976
	v_add_f64_e32 v[173:174], v[173:174], v[183:184]
	v_add_f64_e32 v[175:176], v[175:176], v[177:178]
	v_fma_f64 v[181:182], v[8:9], v[169:170], v[181:182]
	v_fma_f64 v[169:170], v[6:7], v[169:170], -v[171:172]
	ds_load_b128 v[6:9], v1 offset:1824
	s_wait_loadcnt_dscnt 0x801
	v_mul_f64_e32 v[177:178], v[2:3], v[40:41]
	v_mul_f64_e32 v[40:41], v[4:5], v[40:41]
	v_add_f64_e32 v[171:172], v[173:174], v[185:186]
	v_add_f64_e32 v[173:174], v[175:176], v[179:180]
	s_wait_loadcnt_dscnt 0x700
	v_mul_f64_e32 v[175:176], v[6:7], v[167:168]
	v_mul_f64_e32 v[167:168], v[8:9], v[167:168]
	v_fma_f64 v[177:178], v[4:5], v[38:39], v[177:178]
	v_fma_f64 v[38:39], v[2:3], v[38:39], -v[40:41]
	ds_load_b128 v[2:5], v1 offset:1840
	v_add_f64_e32 v[40:41], v[171:172], v[169:170]
	v_add_f64_e32 v[169:170], v[173:174], v[181:182]
	v_fma_f64 v[173:174], v[8:9], v[165:166], v[175:176]
	v_fma_f64 v[165:166], v[6:7], v[165:166], -v[167:168]
	ds_load_b128 v[6:9], v1 offset:1856
	s_wait_loadcnt_dscnt 0x500
	v_mul_f64_e32 v[175:176], v[6:7], v[16:17]
	v_mul_f64_e32 v[16:17], v[8:9], v[16:17]
	v_add_f64_e32 v[167:168], v[40:41], v[38:39]
	v_add_f64_e32 v[169:170], v[169:170], v[177:178]
	scratch_load_b128 v[38:41], off, off offset:192
	v_mul_f64_e32 v[171:172], v[2:3], v[12:13]
	v_mul_f64_e32 v[12:13], v[4:5], v[12:13]
	s_delay_alu instid0(VALU_DEP_2) | instskip(NEXT) | instid1(VALU_DEP_2)
	v_fma_f64 v[171:172], v[4:5], v[10:11], v[171:172]
	v_fma_f64 v[10:11], v[2:3], v[10:11], -v[12:13]
	v_add_f64_e32 v[12:13], v[167:168], v[165:166]
	v_add_f64_e32 v[165:166], v[169:170], v[173:174]
	ds_load_b128 v[2:5], v1 offset:1872
	v_fma_f64 v[169:170], v[8:9], v[14:15], v[175:176]
	v_fma_f64 v[14:15], v[6:7], v[14:15], -v[16:17]
	ds_load_b128 v[6:9], v1 offset:1888
	s_wait_loadcnt_dscnt 0x501
	v_mul_f64_e32 v[167:168], v[2:3], v[20:21]
	v_mul_f64_e32 v[20:21], v[4:5], v[20:21]
	s_wait_loadcnt_dscnt 0x400
	v_mul_f64_e32 v[16:17], v[6:7], v[24:25]
	v_mul_f64_e32 v[24:25], v[8:9], v[24:25]
	v_add_f64_e32 v[10:11], v[12:13], v[10:11]
	v_add_f64_e32 v[12:13], v[165:166], v[171:172]
	v_fma_f64 v[165:166], v[4:5], v[18:19], v[167:168]
	v_fma_f64 v[18:19], v[2:3], v[18:19], -v[20:21]
	ds_load_b128 v[2:5], v1 offset:1904
	v_fma_f64 v[16:17], v[8:9], v[22:23], v[16:17]
	v_fma_f64 v[22:23], v[6:7], v[22:23], -v[24:25]
	ds_load_b128 v[6:9], v1 offset:1920
	v_add_f64_e32 v[10:11], v[10:11], v[14:15]
	v_add_f64_e32 v[12:13], v[12:13], v[169:170]
	s_wait_loadcnt_dscnt 0x301
	v_mul_f64_e32 v[14:15], v[2:3], v[28:29]
	v_mul_f64_e32 v[20:21], v[4:5], v[28:29]
	s_wait_loadcnt_dscnt 0x200
	v_mul_f64_e32 v[24:25], v[8:9], v[32:33]
	v_add_f64_e32 v[10:11], v[10:11], v[18:19]
	v_add_f64_e32 v[12:13], v[12:13], v[165:166]
	v_mul_f64_e32 v[18:19], v[6:7], v[32:33]
	v_fma_f64 v[14:15], v[4:5], v[26:27], v[14:15]
	v_fma_f64 v[20:21], v[2:3], v[26:27], -v[20:21]
	ds_load_b128 v[2:5], v1 offset:1936
	v_fma_f64 v[6:7], v[6:7], v[30:31], -v[24:25]
	v_add_f64_e32 v[10:11], v[10:11], v[22:23]
	v_add_f64_e32 v[12:13], v[12:13], v[16:17]
	s_wait_loadcnt_dscnt 0x100
	v_mul_f64_e32 v[16:17], v[2:3], v[36:37]
	v_mul_f64_e32 v[22:23], v[4:5], v[36:37]
	v_fma_f64 v[8:9], v[8:9], v[30:31], v[18:19]
	v_add_f64_e32 v[10:11], v[10:11], v[20:21]
	v_add_f64_e32 v[12:13], v[12:13], v[14:15]
	v_fma_f64 v[4:5], v[4:5], v[34:35], v[16:17]
	v_fma_f64 v[2:3], v[2:3], v[34:35], -v[22:23]
	s_delay_alu instid0(VALU_DEP_4) | instskip(NEXT) | instid1(VALU_DEP_4)
	v_add_f64_e32 v[6:7], v[10:11], v[6:7]
	v_add_f64_e32 v[8:9], v[12:13], v[8:9]
	s_delay_alu instid0(VALU_DEP_2) | instskip(NEXT) | instid1(VALU_DEP_2)
	v_add_f64_e32 v[2:3], v[6:7], v[2:3]
	v_add_f64_e32 v[4:5], v[8:9], v[4:5]
	s_wait_loadcnt 0x0
	s_delay_alu instid0(VALU_DEP_2) | instskip(NEXT) | instid1(VALU_DEP_2)
	v_add_f64_e64 v[2:3], v[38:39], -v[2:3]
	v_add_f64_e64 v[4:5], v[40:41], -v[4:5]
	scratch_store_b128 off, v[2:5], off offset:192
	v_cmpx_lt_u32_e32 10, v0
	s_cbranch_execz .LBB60_371
; %bb.370:
	scratch_load_b128 v[5:8], off, s66
	v_dual_mov_b32 v2, v1 :: v_dual_mov_b32 v3, v1
	v_mov_b32_e32 v4, v1
	scratch_store_b128 off, v[1:4], off offset:176
	s_wait_loadcnt 0x0
	ds_store_b128 v164, v[5:8]
.LBB60_371:
	s_wait_alu 0xfffe
	s_or_b32 exec_lo, exec_lo, s0
	s_wait_storecnt_dscnt 0x0
	s_barrier_signal -1
	s_barrier_wait -1
	global_inv scope:SCOPE_SE
	s_clause 0x7
	scratch_load_b128 v[2:5], off, off offset:192
	scratch_load_b128 v[6:9], off, off offset:208
	;; [unrolled: 1-line block ×8, first 2 shown]
	ds_load_b128 v[38:41], v1 offset:1152
	ds_load_b128 v[165:168], v1 offset:1168
	s_clause 0x1
	scratch_load_b128 v[34:37], off, off offset:320
	scratch_load_b128 v[169:172], off, off offset:336
	s_mov_b32 s0, exec_lo
	s_wait_loadcnt_dscnt 0x901
	v_mul_f64_e32 v[173:174], v[40:41], v[4:5]
	v_mul_f64_e32 v[4:5], v[38:39], v[4:5]
	s_wait_loadcnt_dscnt 0x800
	v_mul_f64_e32 v[175:176], v[165:166], v[8:9]
	v_mul_f64_e32 v[8:9], v[167:168], v[8:9]
	s_delay_alu instid0(VALU_DEP_4) | instskip(NEXT) | instid1(VALU_DEP_4)
	v_fma_f64 v[173:174], v[38:39], v[2:3], -v[173:174]
	v_fma_f64 v[177:178], v[40:41], v[2:3], v[4:5]
	ds_load_b128 v[2:5], v1 offset:1184
	scratch_load_b128 v[38:41], off, off offset:352
	v_fma_f64 v[175:176], v[167:168], v[6:7], v[175:176]
	v_fma_f64 v[181:182], v[165:166], v[6:7], -v[8:9]
	ds_load_b128 v[6:9], v1 offset:1200
	scratch_load_b128 v[165:168], off, off offset:368
	s_wait_loadcnt_dscnt 0x901
	v_mul_f64_e32 v[179:180], v[2:3], v[12:13]
	v_mul_f64_e32 v[12:13], v[4:5], v[12:13]
	s_wait_loadcnt_dscnt 0x800
	v_mul_f64_e32 v[183:184], v[6:7], v[16:17]
	v_mul_f64_e32 v[16:17], v[8:9], v[16:17]
	v_add_f64_e32 v[173:174], 0, v[173:174]
	v_add_f64_e32 v[177:178], 0, v[177:178]
	v_fma_f64 v[179:180], v[4:5], v[10:11], v[179:180]
	v_fma_f64 v[185:186], v[2:3], v[10:11], -v[12:13]
	ds_load_b128 v[2:5], v1 offset:1216
	scratch_load_b128 v[10:13], off, off offset:384
	v_add_f64_e32 v[173:174], v[173:174], v[181:182]
	v_add_f64_e32 v[175:176], v[177:178], v[175:176]
	v_fma_f64 v[181:182], v[8:9], v[14:15], v[183:184]
	v_fma_f64 v[183:184], v[6:7], v[14:15], -v[16:17]
	ds_load_b128 v[6:9], v1 offset:1232
	scratch_load_b128 v[14:17], off, off offset:400
	s_wait_loadcnt_dscnt 0x901
	v_mul_f64_e32 v[177:178], v[2:3], v[20:21]
	v_mul_f64_e32 v[20:21], v[4:5], v[20:21]
	v_add_f64_e32 v[173:174], v[173:174], v[185:186]
	v_add_f64_e32 v[175:176], v[175:176], v[179:180]
	s_wait_loadcnt_dscnt 0x800
	v_mul_f64_e32 v[179:180], v[6:7], v[24:25]
	v_mul_f64_e32 v[24:25], v[8:9], v[24:25]
	v_fma_f64 v[177:178], v[4:5], v[18:19], v[177:178]
	v_fma_f64 v[185:186], v[2:3], v[18:19], -v[20:21]
	ds_load_b128 v[2:5], v1 offset:1248
	scratch_load_b128 v[18:21], off, off offset:416
	v_add_f64_e32 v[173:174], v[173:174], v[183:184]
	v_add_f64_e32 v[175:176], v[175:176], v[181:182]
	v_fma_f64 v[179:180], v[8:9], v[22:23], v[179:180]
	v_fma_f64 v[183:184], v[6:7], v[22:23], -v[24:25]
	ds_load_b128 v[6:9], v1 offset:1264
	s_wait_loadcnt_dscnt 0x801
	v_mul_f64_e32 v[181:182], v[2:3], v[28:29]
	v_mul_f64_e32 v[28:29], v[4:5], v[28:29]
	scratch_load_b128 v[22:25], off, off offset:432
	v_add_f64_e32 v[173:174], v[173:174], v[185:186]
	v_add_f64_e32 v[175:176], v[175:176], v[177:178]
	s_wait_loadcnt_dscnt 0x800
	v_mul_f64_e32 v[177:178], v[6:7], v[32:33]
	v_mul_f64_e32 v[32:33], v[8:9], v[32:33]
	v_fma_f64 v[181:182], v[4:5], v[26:27], v[181:182]
	v_fma_f64 v[185:186], v[2:3], v[26:27], -v[28:29]
	ds_load_b128 v[2:5], v1 offset:1280
	scratch_load_b128 v[26:29], off, off offset:448
	v_add_f64_e32 v[173:174], v[173:174], v[183:184]
	v_add_f64_e32 v[175:176], v[175:176], v[179:180]
	v_fma_f64 v[177:178], v[8:9], v[30:31], v[177:178]
	v_fma_f64 v[183:184], v[6:7], v[30:31], -v[32:33]
	ds_load_b128 v[6:9], v1 offset:1296
	s_wait_loadcnt_dscnt 0x801
	v_mul_f64_e32 v[179:180], v[2:3], v[36:37]
	v_mul_f64_e32 v[36:37], v[4:5], v[36:37]
	scratch_load_b128 v[30:33], off, off offset:464
	v_add_f64_e32 v[173:174], v[173:174], v[185:186]
	v_add_f64_e32 v[175:176], v[175:176], v[181:182]
	s_wait_loadcnt_dscnt 0x800
	v_mul_f64_e32 v[181:182], v[6:7], v[171:172]
	v_mul_f64_e32 v[171:172], v[8:9], v[171:172]
	v_fma_f64 v[179:180], v[4:5], v[34:35], v[179:180]
	v_fma_f64 v[185:186], v[2:3], v[34:35], -v[36:37]
	ds_load_b128 v[2:5], v1 offset:1312
	scratch_load_b128 v[34:37], off, off offset:480
	v_add_f64_e32 v[173:174], v[173:174], v[183:184]
	v_add_f64_e32 v[175:176], v[175:176], v[177:178]
	v_fma_f64 v[181:182], v[8:9], v[169:170], v[181:182]
	v_fma_f64 v[183:184], v[6:7], v[169:170], -v[171:172]
	ds_load_b128 v[6:9], v1 offset:1328
	scratch_load_b128 v[169:172], off, off offset:496
	s_wait_loadcnt_dscnt 0x901
	v_mul_f64_e32 v[177:178], v[2:3], v[40:41]
	v_mul_f64_e32 v[40:41], v[4:5], v[40:41]
	v_add_f64_e32 v[173:174], v[173:174], v[185:186]
	v_add_f64_e32 v[175:176], v[175:176], v[179:180]
	s_wait_loadcnt_dscnt 0x800
	v_mul_f64_e32 v[179:180], v[6:7], v[167:168]
	v_mul_f64_e32 v[167:168], v[8:9], v[167:168]
	v_fma_f64 v[177:178], v[4:5], v[38:39], v[177:178]
	v_fma_f64 v[185:186], v[2:3], v[38:39], -v[40:41]
	ds_load_b128 v[2:5], v1 offset:1344
	scratch_load_b128 v[38:41], off, off offset:512
	v_add_f64_e32 v[173:174], v[173:174], v[183:184]
	v_add_f64_e32 v[175:176], v[175:176], v[181:182]
	v_fma_f64 v[179:180], v[8:9], v[165:166], v[179:180]
	v_fma_f64 v[183:184], v[6:7], v[165:166], -v[167:168]
	ds_load_b128 v[6:9], v1 offset:1360
	s_wait_loadcnt_dscnt 0x801
	v_mul_f64_e32 v[181:182], v[2:3], v[12:13]
	v_mul_f64_e32 v[12:13], v[4:5], v[12:13]
	scratch_load_b128 v[165:168], off, off offset:528
	v_add_f64_e32 v[173:174], v[173:174], v[185:186]
	v_add_f64_e32 v[175:176], v[175:176], v[177:178]
	s_wait_loadcnt_dscnt 0x800
	v_mul_f64_e32 v[177:178], v[6:7], v[16:17]
	v_mul_f64_e32 v[16:17], v[8:9], v[16:17]
	v_fma_f64 v[181:182], v[4:5], v[10:11], v[181:182]
	v_fma_f64 v[185:186], v[2:3], v[10:11], -v[12:13]
	ds_load_b128 v[2:5], v1 offset:1376
	scratch_load_b128 v[10:13], off, off offset:544
	v_add_f64_e32 v[173:174], v[173:174], v[183:184]
	v_add_f64_e32 v[175:176], v[175:176], v[179:180]
	v_fma_f64 v[177:178], v[8:9], v[14:15], v[177:178]
	v_fma_f64 v[183:184], v[6:7], v[14:15], -v[16:17]
	ds_load_b128 v[6:9], v1 offset:1392
	s_wait_loadcnt_dscnt 0x801
	v_mul_f64_e32 v[179:180], v[2:3], v[20:21]
	v_mul_f64_e32 v[20:21], v[4:5], v[20:21]
	scratch_load_b128 v[14:17], off, off offset:560
	;; [unrolled: 18-line block ×6, first 2 shown]
	v_add_f64_e32 v[173:174], v[173:174], v[185:186]
	v_add_f64_e32 v[175:176], v[175:176], v[179:180]
	s_wait_loadcnt_dscnt 0x800
	v_mul_f64_e32 v[179:180], v[6:7], v[16:17]
	v_mul_f64_e32 v[16:17], v[8:9], v[16:17]
	v_fma_f64 v[177:178], v[4:5], v[10:11], v[177:178]
	v_fma_f64 v[185:186], v[2:3], v[10:11], -v[12:13]
	scratch_load_b128 v[10:13], off, off offset:704
	ds_load_b128 v[2:5], v1 offset:1536
	v_add_f64_e32 v[173:174], v[173:174], v[183:184]
	v_add_f64_e32 v[175:176], v[175:176], v[181:182]
	v_fma_f64 v[179:180], v[8:9], v[14:15], v[179:180]
	v_fma_f64 v[183:184], v[6:7], v[14:15], -v[16:17]
	ds_load_b128 v[6:9], v1 offset:1552
	s_wait_loadcnt_dscnt 0x801
	v_mul_f64_e32 v[181:182], v[2:3], v[20:21]
	v_mul_f64_e32 v[20:21], v[4:5], v[20:21]
	scratch_load_b128 v[14:17], off, off offset:720
	v_add_f64_e32 v[173:174], v[173:174], v[185:186]
	v_add_f64_e32 v[175:176], v[175:176], v[177:178]
	s_wait_loadcnt_dscnt 0x800
	v_mul_f64_e32 v[177:178], v[6:7], v[24:25]
	v_mul_f64_e32 v[24:25], v[8:9], v[24:25]
	v_fma_f64 v[181:182], v[4:5], v[18:19], v[181:182]
	v_fma_f64 v[185:186], v[2:3], v[18:19], -v[20:21]
	ds_load_b128 v[2:5], v1 offset:1568
	scratch_load_b128 v[18:21], off, off offset:736
	v_add_f64_e32 v[173:174], v[173:174], v[183:184]
	v_add_f64_e32 v[175:176], v[175:176], v[179:180]
	v_fma_f64 v[177:178], v[8:9], v[22:23], v[177:178]
	v_fma_f64 v[183:184], v[6:7], v[22:23], -v[24:25]
	ds_load_b128 v[6:9], v1 offset:1584
	s_wait_loadcnt_dscnt 0x801
	v_mul_f64_e32 v[179:180], v[2:3], v[28:29]
	v_mul_f64_e32 v[28:29], v[4:5], v[28:29]
	scratch_load_b128 v[22:25], off, off offset:752
	v_add_f64_e32 v[173:174], v[173:174], v[185:186]
	v_add_f64_e32 v[175:176], v[175:176], v[181:182]
	s_wait_loadcnt_dscnt 0x800
	v_mul_f64_e32 v[181:182], v[6:7], v[32:33]
	v_mul_f64_e32 v[32:33], v[8:9], v[32:33]
	v_fma_f64 v[179:180], v[4:5], v[26:27], v[179:180]
	v_fma_f64 v[185:186], v[2:3], v[26:27], -v[28:29]
	ds_load_b128 v[2:5], v1 offset:1600
	scratch_load_b128 v[26:29], off, off offset:768
	;; [unrolled: 18-line block ×4, first 2 shown]
	v_add_f64_e32 v[173:174], v[173:174], v[183:184]
	v_add_f64_e32 v[175:176], v[175:176], v[179:180]
	v_fma_f64 v[177:178], v[8:9], v[165:166], v[177:178]
	v_fma_f64 v[183:184], v[6:7], v[165:166], -v[167:168]
	ds_load_b128 v[6:9], v1 offset:1680
	s_wait_loadcnt_dscnt 0x801
	v_mul_f64_e32 v[179:180], v[2:3], v[12:13]
	v_mul_f64_e32 v[12:13], v[4:5], v[12:13]
	scratch_load_b128 v[165:168], off, off offset:848
	v_add_f64_e32 v[173:174], v[173:174], v[185:186]
	v_add_f64_e32 v[175:176], v[175:176], v[181:182]
	s_wait_loadcnt_dscnt 0x800
	v_mul_f64_e32 v[181:182], v[6:7], v[16:17]
	v_mul_f64_e32 v[16:17], v[8:9], v[16:17]
	v_fma_f64 v[179:180], v[4:5], v[10:11], v[179:180]
	v_fma_f64 v[185:186], v[2:3], v[10:11], -v[12:13]
	scratch_load_b128 v[10:13], off, off offset:864
	ds_load_b128 v[2:5], v1 offset:1696
	v_add_f64_e32 v[173:174], v[173:174], v[183:184]
	v_add_f64_e32 v[175:176], v[175:176], v[177:178]
	v_fma_f64 v[181:182], v[8:9], v[14:15], v[181:182]
	v_fma_f64 v[183:184], v[6:7], v[14:15], -v[16:17]
	ds_load_b128 v[6:9], v1 offset:1712
	s_wait_loadcnt_dscnt 0x801
	v_mul_f64_e32 v[177:178], v[2:3], v[20:21]
	v_mul_f64_e32 v[20:21], v[4:5], v[20:21]
	scratch_load_b128 v[14:17], off, off offset:880
	v_add_f64_e32 v[173:174], v[173:174], v[185:186]
	v_add_f64_e32 v[175:176], v[175:176], v[179:180]
	s_wait_loadcnt_dscnt 0x800
	v_mul_f64_e32 v[179:180], v[6:7], v[24:25]
	v_mul_f64_e32 v[24:25], v[8:9], v[24:25]
	v_fma_f64 v[177:178], v[4:5], v[18:19], v[177:178]
	v_fma_f64 v[185:186], v[2:3], v[18:19], -v[20:21]
	ds_load_b128 v[2:5], v1 offset:1728
	scratch_load_b128 v[18:21], off, off offset:896
	v_add_f64_e32 v[173:174], v[173:174], v[183:184]
	v_add_f64_e32 v[175:176], v[175:176], v[181:182]
	v_fma_f64 v[179:180], v[8:9], v[22:23], v[179:180]
	v_fma_f64 v[183:184], v[6:7], v[22:23], -v[24:25]
	ds_load_b128 v[6:9], v1 offset:1744
	s_wait_loadcnt_dscnt 0x801
	v_mul_f64_e32 v[181:182], v[2:3], v[28:29]
	v_mul_f64_e32 v[28:29], v[4:5], v[28:29]
	scratch_load_b128 v[22:25], off, off offset:912
	v_add_f64_e32 v[173:174], v[173:174], v[185:186]
	v_add_f64_e32 v[175:176], v[175:176], v[177:178]
	s_wait_loadcnt_dscnt 0x800
	v_mul_f64_e32 v[177:178], v[6:7], v[32:33]
	v_mul_f64_e32 v[32:33], v[8:9], v[32:33]
	v_fma_f64 v[181:182], v[4:5], v[26:27], v[181:182]
	v_fma_f64 v[185:186], v[2:3], v[26:27], -v[28:29]
	ds_load_b128 v[2:5], v1 offset:1760
	scratch_load_b128 v[26:29], off, off offset:928
	;; [unrolled: 18-line block ×3, first 2 shown]
	v_add_f64_e32 v[173:174], v[173:174], v[183:184]
	v_add_f64_e32 v[175:176], v[175:176], v[177:178]
	v_fma_f64 v[181:182], v[8:9], v[169:170], v[181:182]
	v_fma_f64 v[183:184], v[6:7], v[169:170], -v[171:172]
	ds_load_b128 v[6:9], v1 offset:1808
	s_wait_loadcnt_dscnt 0x801
	v_mul_f64_e32 v[177:178], v[2:3], v[40:41]
	v_mul_f64_e32 v[40:41], v[4:5], v[40:41]
	scratch_load_b128 v[169:172], off, off offset:976
	v_add_f64_e32 v[173:174], v[173:174], v[185:186]
	v_add_f64_e32 v[175:176], v[175:176], v[179:180]
	v_fma_f64 v[177:178], v[4:5], v[38:39], v[177:178]
	v_fma_f64 v[38:39], v[2:3], v[38:39], -v[40:41]
	ds_load_b128 v[2:5], v1 offset:1824
	v_add_f64_e32 v[40:41], v[173:174], v[183:184]
	v_add_f64_e32 v[173:174], v[175:176], v[181:182]
	s_wait_loadcnt_dscnt 0x700
	v_mul_f64_e32 v[175:176], v[2:3], v[12:13]
	v_mul_f64_e32 v[12:13], v[4:5], v[12:13]
	s_delay_alu instid0(VALU_DEP_4) | instskip(NEXT) | instid1(VALU_DEP_4)
	v_add_f64_e32 v[38:39], v[40:41], v[38:39]
	v_add_f64_e32 v[40:41], v[173:174], v[177:178]
	s_delay_alu instid0(VALU_DEP_4) | instskip(NEXT) | instid1(VALU_DEP_4)
	v_fma_f64 v[173:174], v[4:5], v[10:11], v[175:176]
	v_fma_f64 v[175:176], v[2:3], v[10:11], -v[12:13]
	scratch_load_b128 v[10:13], off, off offset:176
	v_mul_f64_e32 v[179:180], v[6:7], v[167:168]
	v_mul_f64_e32 v[167:168], v[8:9], v[167:168]
	ds_load_b128 v[2:5], v1 offset:1856
	v_fma_f64 v[179:180], v[8:9], v[165:166], v[179:180]
	v_fma_f64 v[165:166], v[6:7], v[165:166], -v[167:168]
	ds_load_b128 v[6:9], v1 offset:1840
	s_wait_loadcnt_dscnt 0x700
	v_mul_f64_e32 v[167:168], v[6:7], v[16:17]
	v_mul_f64_e32 v[16:17], v[8:9], v[16:17]
	v_add_f64_e32 v[40:41], v[40:41], v[179:180]
	v_add_f64_e32 v[38:39], v[38:39], v[165:166]
	s_wait_loadcnt 0x6
	v_mul_f64_e32 v[165:166], v[2:3], v[20:21]
	v_mul_f64_e32 v[20:21], v[4:5], v[20:21]
	v_fma_f64 v[167:168], v[8:9], v[14:15], v[167:168]
	v_fma_f64 v[14:15], v[6:7], v[14:15], -v[16:17]
	ds_load_b128 v[6:9], v1 offset:1872
	v_add_f64_e32 v[16:17], v[38:39], v[175:176]
	v_add_f64_e32 v[38:39], v[40:41], v[173:174]
	v_fma_f64 v[165:166], v[4:5], v[18:19], v[165:166]
	v_fma_f64 v[18:19], v[2:3], v[18:19], -v[20:21]
	ds_load_b128 v[2:5], v1 offset:1888
	s_wait_loadcnt_dscnt 0x501
	v_mul_f64_e32 v[40:41], v[6:7], v[24:25]
	v_mul_f64_e32 v[24:25], v[8:9], v[24:25]
	s_wait_loadcnt_dscnt 0x400
	v_mul_f64_e32 v[20:21], v[2:3], v[28:29]
	v_mul_f64_e32 v[28:29], v[4:5], v[28:29]
	v_add_f64_e32 v[14:15], v[16:17], v[14:15]
	v_add_f64_e32 v[16:17], v[38:39], v[167:168]
	v_fma_f64 v[38:39], v[8:9], v[22:23], v[40:41]
	v_fma_f64 v[22:23], v[6:7], v[22:23], -v[24:25]
	ds_load_b128 v[6:9], v1 offset:1904
	v_fma_f64 v[20:21], v[4:5], v[26:27], v[20:21]
	v_fma_f64 v[26:27], v[2:3], v[26:27], -v[28:29]
	ds_load_b128 v[2:5], v1 offset:1920
	s_wait_loadcnt_dscnt 0x301
	v_mul_f64_e32 v[24:25], v[8:9], v[32:33]
	v_add_f64_e32 v[14:15], v[14:15], v[18:19]
	v_add_f64_e32 v[16:17], v[16:17], v[165:166]
	v_mul_f64_e32 v[18:19], v[6:7], v[32:33]
	s_wait_loadcnt_dscnt 0x200
	v_mul_f64_e32 v[28:29], v[4:5], v[36:37]
	v_fma_f64 v[24:25], v[6:7], v[30:31], -v[24:25]
	v_add_f64_e32 v[14:15], v[14:15], v[22:23]
	v_add_f64_e32 v[16:17], v[16:17], v[38:39]
	v_mul_f64_e32 v[22:23], v[2:3], v[36:37]
	v_fma_f64 v[18:19], v[8:9], v[30:31], v[18:19]
	ds_load_b128 v[6:9], v1 offset:1936
	v_fma_f64 v[1:2], v[2:3], v[34:35], -v[28:29]
	v_add_f64_e32 v[14:15], v[14:15], v[26:27]
	v_add_f64_e32 v[16:17], v[16:17], v[20:21]
	s_wait_loadcnt_dscnt 0x100
	v_mul_f64_e32 v[20:21], v[6:7], v[171:172]
	v_mul_f64_e32 v[26:27], v[8:9], v[171:172]
	v_fma_f64 v[4:5], v[4:5], v[34:35], v[22:23]
	v_add_f64_e32 v[14:15], v[14:15], v[24:25]
	v_add_f64_e32 v[16:17], v[16:17], v[18:19]
	v_fma_f64 v[8:9], v[8:9], v[169:170], v[20:21]
	v_fma_f64 v[6:7], v[6:7], v[169:170], -v[26:27]
	s_delay_alu instid0(VALU_DEP_4) | instskip(NEXT) | instid1(VALU_DEP_4)
	v_add_f64_e32 v[1:2], v[14:15], v[1:2]
	v_add_f64_e32 v[3:4], v[16:17], v[4:5]
	s_delay_alu instid0(VALU_DEP_2) | instskip(NEXT) | instid1(VALU_DEP_2)
	v_add_f64_e32 v[1:2], v[1:2], v[6:7]
	v_add_f64_e32 v[3:4], v[3:4], v[8:9]
	s_wait_loadcnt 0x0
	s_delay_alu instid0(VALU_DEP_2) | instskip(NEXT) | instid1(VALU_DEP_2)
	v_add_f64_e64 v[1:2], v[10:11], -v[1:2]
	v_add_f64_e64 v[3:4], v[12:13], -v[3:4]
	scratch_store_b128 off, v[1:4], off offset:176
	v_cmpx_lt_u32_e32 9, v0
	s_cbranch_execz .LBB60_373
; %bb.372:
	scratch_load_b128 v[1:4], off, s67
	v_mov_b32_e32 v5, 0
	s_delay_alu instid0(VALU_DEP_1)
	v_dual_mov_b32 v6, v5 :: v_dual_mov_b32 v7, v5
	v_mov_b32_e32 v8, v5
	scratch_store_b128 off, v[5:8], off offset:160
	s_wait_loadcnt 0x0
	ds_store_b128 v164, v[1:4]
.LBB60_373:
	s_wait_alu 0xfffe
	s_or_b32 exec_lo, exec_lo, s0
	s_wait_storecnt_dscnt 0x0
	s_barrier_signal -1
	s_barrier_wait -1
	global_inv scope:SCOPE_SE
	s_clause 0x7
	scratch_load_b128 v[2:5], off, off offset:176
	scratch_load_b128 v[6:9], off, off offset:192
	;; [unrolled: 1-line block ×8, first 2 shown]
	v_mov_b32_e32 v1, 0
	s_clause 0x1
	scratch_load_b128 v[34:37], off, off offset:304
	scratch_load_b128 v[169:172], off, off offset:320
	s_mov_b32 s0, exec_lo
	ds_load_b128 v[38:41], v1 offset:1136
	ds_load_b128 v[165:168], v1 offset:1152
	s_wait_loadcnt_dscnt 0x901
	v_mul_f64_e32 v[173:174], v[40:41], v[4:5]
	v_mul_f64_e32 v[4:5], v[38:39], v[4:5]
	s_wait_loadcnt_dscnt 0x800
	v_mul_f64_e32 v[175:176], v[165:166], v[8:9]
	v_mul_f64_e32 v[8:9], v[167:168], v[8:9]
	s_delay_alu instid0(VALU_DEP_4) | instskip(NEXT) | instid1(VALU_DEP_4)
	v_fma_f64 v[173:174], v[38:39], v[2:3], -v[173:174]
	v_fma_f64 v[177:178], v[40:41], v[2:3], v[4:5]
	ds_load_b128 v[2:5], v1 offset:1168
	scratch_load_b128 v[38:41], off, off offset:336
	v_fma_f64 v[175:176], v[167:168], v[6:7], v[175:176]
	v_fma_f64 v[181:182], v[165:166], v[6:7], -v[8:9]
	ds_load_b128 v[6:9], v1 offset:1184
	scratch_load_b128 v[165:168], off, off offset:352
	s_wait_loadcnt_dscnt 0x901
	v_mul_f64_e32 v[179:180], v[2:3], v[12:13]
	v_mul_f64_e32 v[12:13], v[4:5], v[12:13]
	s_wait_loadcnt_dscnt 0x800
	v_mul_f64_e32 v[183:184], v[6:7], v[16:17]
	v_mul_f64_e32 v[16:17], v[8:9], v[16:17]
	v_add_f64_e32 v[173:174], 0, v[173:174]
	v_add_f64_e32 v[177:178], 0, v[177:178]
	v_fma_f64 v[179:180], v[4:5], v[10:11], v[179:180]
	v_fma_f64 v[185:186], v[2:3], v[10:11], -v[12:13]
	ds_load_b128 v[2:5], v1 offset:1200
	scratch_load_b128 v[10:13], off, off offset:368
	v_add_f64_e32 v[173:174], v[173:174], v[181:182]
	v_add_f64_e32 v[175:176], v[177:178], v[175:176]
	v_fma_f64 v[181:182], v[8:9], v[14:15], v[183:184]
	v_fma_f64 v[183:184], v[6:7], v[14:15], -v[16:17]
	ds_load_b128 v[6:9], v1 offset:1216
	scratch_load_b128 v[14:17], off, off offset:384
	s_wait_loadcnt_dscnt 0x901
	v_mul_f64_e32 v[177:178], v[2:3], v[20:21]
	v_mul_f64_e32 v[20:21], v[4:5], v[20:21]
	v_add_f64_e32 v[173:174], v[173:174], v[185:186]
	v_add_f64_e32 v[175:176], v[175:176], v[179:180]
	s_wait_loadcnt_dscnt 0x800
	v_mul_f64_e32 v[179:180], v[6:7], v[24:25]
	v_mul_f64_e32 v[24:25], v[8:9], v[24:25]
	v_fma_f64 v[177:178], v[4:5], v[18:19], v[177:178]
	v_fma_f64 v[185:186], v[2:3], v[18:19], -v[20:21]
	ds_load_b128 v[2:5], v1 offset:1232
	scratch_load_b128 v[18:21], off, off offset:400
	v_add_f64_e32 v[173:174], v[173:174], v[183:184]
	v_add_f64_e32 v[175:176], v[175:176], v[181:182]
	v_fma_f64 v[179:180], v[8:9], v[22:23], v[179:180]
	v_fma_f64 v[183:184], v[6:7], v[22:23], -v[24:25]
	ds_load_b128 v[6:9], v1 offset:1248
	s_wait_loadcnt_dscnt 0x801
	v_mul_f64_e32 v[181:182], v[2:3], v[28:29]
	v_mul_f64_e32 v[28:29], v[4:5], v[28:29]
	scratch_load_b128 v[22:25], off, off offset:416
	v_add_f64_e32 v[173:174], v[173:174], v[185:186]
	v_add_f64_e32 v[175:176], v[175:176], v[177:178]
	s_wait_loadcnt_dscnt 0x800
	v_mul_f64_e32 v[177:178], v[6:7], v[32:33]
	v_mul_f64_e32 v[32:33], v[8:9], v[32:33]
	v_fma_f64 v[181:182], v[4:5], v[26:27], v[181:182]
	v_fma_f64 v[185:186], v[2:3], v[26:27], -v[28:29]
	ds_load_b128 v[2:5], v1 offset:1264
	scratch_load_b128 v[26:29], off, off offset:432
	v_add_f64_e32 v[173:174], v[173:174], v[183:184]
	v_add_f64_e32 v[175:176], v[175:176], v[179:180]
	v_fma_f64 v[177:178], v[8:9], v[30:31], v[177:178]
	v_fma_f64 v[183:184], v[6:7], v[30:31], -v[32:33]
	ds_load_b128 v[6:9], v1 offset:1280
	s_wait_loadcnt_dscnt 0x801
	v_mul_f64_e32 v[179:180], v[2:3], v[36:37]
	v_mul_f64_e32 v[36:37], v[4:5], v[36:37]
	scratch_load_b128 v[30:33], off, off offset:448
	v_add_f64_e32 v[173:174], v[173:174], v[185:186]
	v_add_f64_e32 v[175:176], v[175:176], v[181:182]
	s_wait_loadcnt_dscnt 0x800
	v_mul_f64_e32 v[181:182], v[6:7], v[171:172]
	v_mul_f64_e32 v[171:172], v[8:9], v[171:172]
	v_fma_f64 v[179:180], v[4:5], v[34:35], v[179:180]
	v_fma_f64 v[185:186], v[2:3], v[34:35], -v[36:37]
	ds_load_b128 v[2:5], v1 offset:1296
	scratch_load_b128 v[34:37], off, off offset:464
	v_add_f64_e32 v[173:174], v[173:174], v[183:184]
	v_add_f64_e32 v[175:176], v[175:176], v[177:178]
	v_fma_f64 v[181:182], v[8:9], v[169:170], v[181:182]
	v_fma_f64 v[183:184], v[6:7], v[169:170], -v[171:172]
	ds_load_b128 v[6:9], v1 offset:1312
	scratch_load_b128 v[169:172], off, off offset:480
	s_wait_loadcnt_dscnt 0x901
	v_mul_f64_e32 v[177:178], v[2:3], v[40:41]
	v_mul_f64_e32 v[40:41], v[4:5], v[40:41]
	v_add_f64_e32 v[173:174], v[173:174], v[185:186]
	v_add_f64_e32 v[175:176], v[175:176], v[179:180]
	s_wait_loadcnt_dscnt 0x800
	v_mul_f64_e32 v[179:180], v[6:7], v[167:168]
	v_mul_f64_e32 v[167:168], v[8:9], v[167:168]
	v_fma_f64 v[177:178], v[4:5], v[38:39], v[177:178]
	v_fma_f64 v[185:186], v[2:3], v[38:39], -v[40:41]
	ds_load_b128 v[2:5], v1 offset:1328
	scratch_load_b128 v[38:41], off, off offset:496
	v_add_f64_e32 v[173:174], v[173:174], v[183:184]
	v_add_f64_e32 v[175:176], v[175:176], v[181:182]
	v_fma_f64 v[179:180], v[8:9], v[165:166], v[179:180]
	v_fma_f64 v[183:184], v[6:7], v[165:166], -v[167:168]
	ds_load_b128 v[6:9], v1 offset:1344
	s_wait_loadcnt_dscnt 0x801
	v_mul_f64_e32 v[181:182], v[2:3], v[12:13]
	v_mul_f64_e32 v[12:13], v[4:5], v[12:13]
	scratch_load_b128 v[165:168], off, off offset:512
	v_add_f64_e32 v[173:174], v[173:174], v[185:186]
	v_add_f64_e32 v[175:176], v[175:176], v[177:178]
	s_wait_loadcnt_dscnt 0x800
	v_mul_f64_e32 v[177:178], v[6:7], v[16:17]
	v_mul_f64_e32 v[16:17], v[8:9], v[16:17]
	v_fma_f64 v[181:182], v[4:5], v[10:11], v[181:182]
	v_fma_f64 v[185:186], v[2:3], v[10:11], -v[12:13]
	ds_load_b128 v[2:5], v1 offset:1360
	scratch_load_b128 v[10:13], off, off offset:528
	v_add_f64_e32 v[173:174], v[173:174], v[183:184]
	v_add_f64_e32 v[175:176], v[175:176], v[179:180]
	v_fma_f64 v[177:178], v[8:9], v[14:15], v[177:178]
	v_fma_f64 v[183:184], v[6:7], v[14:15], -v[16:17]
	ds_load_b128 v[6:9], v1 offset:1376
	s_wait_loadcnt_dscnt 0x801
	v_mul_f64_e32 v[179:180], v[2:3], v[20:21]
	v_mul_f64_e32 v[20:21], v[4:5], v[20:21]
	scratch_load_b128 v[14:17], off, off offset:544
	;; [unrolled: 18-line block ×15, first 2 shown]
	v_add_f64_e32 v[173:174], v[173:174], v[185:186]
	v_add_f64_e32 v[175:176], v[175:176], v[179:180]
	s_wait_loadcnt_dscnt 0x800
	v_mul_f64_e32 v[179:180], v[6:7], v[167:168]
	v_mul_f64_e32 v[167:168], v[8:9], v[167:168]
	v_fma_f64 v[177:178], v[4:5], v[38:39], v[177:178]
	v_fma_f64 v[185:186], v[2:3], v[38:39], -v[40:41]
	ds_load_b128 v[2:5], v1 offset:1808
	scratch_load_b128 v[38:41], off, off offset:976
	v_add_f64_e32 v[173:174], v[173:174], v[183:184]
	v_add_f64_e32 v[175:176], v[175:176], v[181:182]
	v_fma_f64 v[179:180], v[8:9], v[165:166], v[179:180]
	v_fma_f64 v[165:166], v[6:7], v[165:166], -v[167:168]
	ds_load_b128 v[6:9], v1 offset:1824
	s_wait_loadcnt_dscnt 0x801
	v_mul_f64_e32 v[181:182], v[2:3], v[12:13]
	v_mul_f64_e32 v[12:13], v[4:5], v[12:13]
	v_add_f64_e32 v[167:168], v[173:174], v[185:186]
	v_add_f64_e32 v[173:174], v[175:176], v[177:178]
	s_wait_loadcnt_dscnt 0x700
	v_mul_f64_e32 v[175:176], v[6:7], v[16:17]
	v_mul_f64_e32 v[16:17], v[8:9], v[16:17]
	v_fma_f64 v[177:178], v[4:5], v[10:11], v[181:182]
	v_fma_f64 v[10:11], v[2:3], v[10:11], -v[12:13]
	ds_load_b128 v[2:5], v1 offset:1840
	v_add_f64_e32 v[12:13], v[167:168], v[165:166]
	v_add_f64_e32 v[165:166], v[173:174], v[179:180]
	v_fma_f64 v[173:174], v[8:9], v[14:15], v[175:176]
	v_fma_f64 v[14:15], v[6:7], v[14:15], -v[16:17]
	ds_load_b128 v[6:9], v1 offset:1856
	s_wait_loadcnt_dscnt 0x500
	v_mul_f64_e32 v[175:176], v[6:7], v[24:25]
	v_mul_f64_e32 v[24:25], v[8:9], v[24:25]
	v_add_f64_e32 v[16:17], v[12:13], v[10:11]
	v_add_f64_e32 v[165:166], v[165:166], v[177:178]
	scratch_load_b128 v[10:13], off, off offset:160
	v_mul_f64_e32 v[167:168], v[2:3], v[20:21]
	v_mul_f64_e32 v[20:21], v[4:5], v[20:21]
	v_add_f64_e32 v[14:15], v[16:17], v[14:15]
	v_add_f64_e32 v[16:17], v[165:166], v[173:174]
	v_fma_f64 v[165:166], v[8:9], v[22:23], v[175:176]
	v_fma_f64 v[167:168], v[4:5], v[18:19], v[167:168]
	v_fma_f64 v[18:19], v[2:3], v[18:19], -v[20:21]
	ds_load_b128 v[2:5], v1 offset:1872
	v_fma_f64 v[22:23], v[6:7], v[22:23], -v[24:25]
	ds_load_b128 v[6:9], v1 offset:1888
	s_wait_loadcnt_dscnt 0x501
	v_mul_f64_e32 v[20:21], v[2:3], v[28:29]
	v_mul_f64_e32 v[28:29], v[4:5], v[28:29]
	s_wait_loadcnt_dscnt 0x400
	v_mul_f64_e32 v[24:25], v[8:9], v[32:33]
	v_add_f64_e32 v[16:17], v[16:17], v[167:168]
	v_add_f64_e32 v[14:15], v[14:15], v[18:19]
	v_mul_f64_e32 v[18:19], v[6:7], v[32:33]
	v_fma_f64 v[20:21], v[4:5], v[26:27], v[20:21]
	v_fma_f64 v[26:27], v[2:3], v[26:27], -v[28:29]
	ds_load_b128 v[2:5], v1 offset:1904
	v_fma_f64 v[24:25], v[6:7], v[30:31], -v[24:25]
	v_add_f64_e32 v[16:17], v[16:17], v[165:166]
	v_add_f64_e32 v[14:15], v[14:15], v[22:23]
	v_fma_f64 v[18:19], v[8:9], v[30:31], v[18:19]
	ds_load_b128 v[6:9], v1 offset:1920
	s_wait_loadcnt_dscnt 0x301
	v_mul_f64_e32 v[22:23], v[2:3], v[36:37]
	v_mul_f64_e32 v[28:29], v[4:5], v[36:37]
	v_add_f64_e32 v[16:17], v[16:17], v[20:21]
	v_add_f64_e32 v[14:15], v[14:15], v[26:27]
	s_wait_loadcnt_dscnt 0x200
	v_mul_f64_e32 v[20:21], v[6:7], v[171:172]
	v_mul_f64_e32 v[26:27], v[8:9], v[171:172]
	v_fma_f64 v[22:23], v[4:5], v[34:35], v[22:23]
	v_fma_f64 v[28:29], v[2:3], v[34:35], -v[28:29]
	ds_load_b128 v[2:5], v1 offset:1936
	v_add_f64_e32 v[16:17], v[16:17], v[18:19]
	v_add_f64_e32 v[14:15], v[14:15], v[24:25]
	s_wait_loadcnt_dscnt 0x100
	v_mul_f64_e32 v[18:19], v[2:3], v[40:41]
	v_mul_f64_e32 v[24:25], v[4:5], v[40:41]
	v_fma_f64 v[8:9], v[8:9], v[169:170], v[20:21]
	v_fma_f64 v[6:7], v[6:7], v[169:170], -v[26:27]
	v_add_f64_e32 v[16:17], v[16:17], v[22:23]
	v_add_f64_e32 v[14:15], v[14:15], v[28:29]
	v_fma_f64 v[4:5], v[4:5], v[38:39], v[18:19]
	v_fma_f64 v[2:3], v[2:3], v[38:39], -v[24:25]
	s_delay_alu instid0(VALU_DEP_4) | instskip(NEXT) | instid1(VALU_DEP_4)
	v_add_f64_e32 v[8:9], v[16:17], v[8:9]
	v_add_f64_e32 v[6:7], v[14:15], v[6:7]
	s_delay_alu instid0(VALU_DEP_2) | instskip(NEXT) | instid1(VALU_DEP_2)
	v_add_f64_e32 v[4:5], v[8:9], v[4:5]
	v_add_f64_e32 v[2:3], v[6:7], v[2:3]
	s_wait_loadcnt 0x0
	s_delay_alu instid0(VALU_DEP_2) | instskip(NEXT) | instid1(VALU_DEP_2)
	v_add_f64_e64 v[4:5], v[12:13], -v[4:5]
	v_add_f64_e64 v[2:3], v[10:11], -v[2:3]
	scratch_store_b128 off, v[2:5], off offset:160
	v_cmpx_lt_u32_e32 8, v0
	s_cbranch_execz .LBB60_375
; %bb.374:
	scratch_load_b128 v[5:8], off, s68
	v_dual_mov_b32 v2, v1 :: v_dual_mov_b32 v3, v1
	v_mov_b32_e32 v4, v1
	scratch_store_b128 off, v[1:4], off offset:144
	s_wait_loadcnt 0x0
	ds_store_b128 v164, v[5:8]
.LBB60_375:
	s_wait_alu 0xfffe
	s_or_b32 exec_lo, exec_lo, s0
	s_wait_storecnt_dscnt 0x0
	s_barrier_signal -1
	s_barrier_wait -1
	global_inv scope:SCOPE_SE
	s_clause 0x7
	scratch_load_b128 v[2:5], off, off offset:160
	scratch_load_b128 v[6:9], off, off offset:176
	;; [unrolled: 1-line block ×8, first 2 shown]
	ds_load_b128 v[38:41], v1 offset:1120
	ds_load_b128 v[165:168], v1 offset:1136
	s_clause 0x1
	scratch_load_b128 v[34:37], off, off offset:288
	scratch_load_b128 v[169:172], off, off offset:304
	s_mov_b32 s0, exec_lo
	s_wait_loadcnt_dscnt 0x901
	v_mul_f64_e32 v[173:174], v[40:41], v[4:5]
	v_mul_f64_e32 v[4:5], v[38:39], v[4:5]
	s_wait_loadcnt_dscnt 0x800
	v_mul_f64_e32 v[175:176], v[165:166], v[8:9]
	v_mul_f64_e32 v[8:9], v[167:168], v[8:9]
	s_delay_alu instid0(VALU_DEP_4) | instskip(NEXT) | instid1(VALU_DEP_4)
	v_fma_f64 v[173:174], v[38:39], v[2:3], -v[173:174]
	v_fma_f64 v[177:178], v[40:41], v[2:3], v[4:5]
	ds_load_b128 v[2:5], v1 offset:1152
	scratch_load_b128 v[38:41], off, off offset:320
	v_fma_f64 v[175:176], v[167:168], v[6:7], v[175:176]
	v_fma_f64 v[181:182], v[165:166], v[6:7], -v[8:9]
	ds_load_b128 v[6:9], v1 offset:1168
	scratch_load_b128 v[165:168], off, off offset:336
	s_wait_loadcnt_dscnt 0x901
	v_mul_f64_e32 v[179:180], v[2:3], v[12:13]
	v_mul_f64_e32 v[12:13], v[4:5], v[12:13]
	s_wait_loadcnt_dscnt 0x800
	v_mul_f64_e32 v[183:184], v[6:7], v[16:17]
	v_mul_f64_e32 v[16:17], v[8:9], v[16:17]
	v_add_f64_e32 v[173:174], 0, v[173:174]
	v_add_f64_e32 v[177:178], 0, v[177:178]
	v_fma_f64 v[179:180], v[4:5], v[10:11], v[179:180]
	v_fma_f64 v[185:186], v[2:3], v[10:11], -v[12:13]
	ds_load_b128 v[2:5], v1 offset:1184
	scratch_load_b128 v[10:13], off, off offset:352
	v_add_f64_e32 v[173:174], v[173:174], v[181:182]
	v_add_f64_e32 v[175:176], v[177:178], v[175:176]
	v_fma_f64 v[181:182], v[8:9], v[14:15], v[183:184]
	v_fma_f64 v[183:184], v[6:7], v[14:15], -v[16:17]
	ds_load_b128 v[6:9], v1 offset:1200
	scratch_load_b128 v[14:17], off, off offset:368
	s_wait_loadcnt_dscnt 0x901
	v_mul_f64_e32 v[177:178], v[2:3], v[20:21]
	v_mul_f64_e32 v[20:21], v[4:5], v[20:21]
	v_add_f64_e32 v[173:174], v[173:174], v[185:186]
	v_add_f64_e32 v[175:176], v[175:176], v[179:180]
	s_wait_loadcnt_dscnt 0x800
	v_mul_f64_e32 v[179:180], v[6:7], v[24:25]
	v_mul_f64_e32 v[24:25], v[8:9], v[24:25]
	v_fma_f64 v[177:178], v[4:5], v[18:19], v[177:178]
	v_fma_f64 v[185:186], v[2:3], v[18:19], -v[20:21]
	ds_load_b128 v[2:5], v1 offset:1216
	scratch_load_b128 v[18:21], off, off offset:384
	v_add_f64_e32 v[173:174], v[173:174], v[183:184]
	v_add_f64_e32 v[175:176], v[175:176], v[181:182]
	v_fma_f64 v[179:180], v[8:9], v[22:23], v[179:180]
	v_fma_f64 v[183:184], v[6:7], v[22:23], -v[24:25]
	ds_load_b128 v[6:9], v1 offset:1232
	s_wait_loadcnt_dscnt 0x801
	v_mul_f64_e32 v[181:182], v[2:3], v[28:29]
	v_mul_f64_e32 v[28:29], v[4:5], v[28:29]
	scratch_load_b128 v[22:25], off, off offset:400
	v_add_f64_e32 v[173:174], v[173:174], v[185:186]
	v_add_f64_e32 v[175:176], v[175:176], v[177:178]
	s_wait_loadcnt_dscnt 0x800
	v_mul_f64_e32 v[177:178], v[6:7], v[32:33]
	v_mul_f64_e32 v[32:33], v[8:9], v[32:33]
	v_fma_f64 v[181:182], v[4:5], v[26:27], v[181:182]
	v_fma_f64 v[185:186], v[2:3], v[26:27], -v[28:29]
	ds_load_b128 v[2:5], v1 offset:1248
	scratch_load_b128 v[26:29], off, off offset:416
	v_add_f64_e32 v[173:174], v[173:174], v[183:184]
	v_add_f64_e32 v[175:176], v[175:176], v[179:180]
	v_fma_f64 v[177:178], v[8:9], v[30:31], v[177:178]
	v_fma_f64 v[183:184], v[6:7], v[30:31], -v[32:33]
	ds_load_b128 v[6:9], v1 offset:1264
	s_wait_loadcnt_dscnt 0x801
	v_mul_f64_e32 v[179:180], v[2:3], v[36:37]
	v_mul_f64_e32 v[36:37], v[4:5], v[36:37]
	scratch_load_b128 v[30:33], off, off offset:432
	v_add_f64_e32 v[173:174], v[173:174], v[185:186]
	v_add_f64_e32 v[175:176], v[175:176], v[181:182]
	s_wait_loadcnt_dscnt 0x800
	v_mul_f64_e32 v[181:182], v[6:7], v[171:172]
	v_mul_f64_e32 v[171:172], v[8:9], v[171:172]
	v_fma_f64 v[179:180], v[4:5], v[34:35], v[179:180]
	v_fma_f64 v[185:186], v[2:3], v[34:35], -v[36:37]
	ds_load_b128 v[2:5], v1 offset:1280
	scratch_load_b128 v[34:37], off, off offset:448
	v_add_f64_e32 v[173:174], v[173:174], v[183:184]
	v_add_f64_e32 v[175:176], v[175:176], v[177:178]
	v_fma_f64 v[181:182], v[8:9], v[169:170], v[181:182]
	v_fma_f64 v[183:184], v[6:7], v[169:170], -v[171:172]
	ds_load_b128 v[6:9], v1 offset:1296
	scratch_load_b128 v[169:172], off, off offset:464
	s_wait_loadcnt_dscnt 0x901
	v_mul_f64_e32 v[177:178], v[2:3], v[40:41]
	v_mul_f64_e32 v[40:41], v[4:5], v[40:41]
	v_add_f64_e32 v[173:174], v[173:174], v[185:186]
	v_add_f64_e32 v[175:176], v[175:176], v[179:180]
	s_wait_loadcnt_dscnt 0x800
	v_mul_f64_e32 v[179:180], v[6:7], v[167:168]
	v_mul_f64_e32 v[167:168], v[8:9], v[167:168]
	v_fma_f64 v[177:178], v[4:5], v[38:39], v[177:178]
	v_fma_f64 v[185:186], v[2:3], v[38:39], -v[40:41]
	ds_load_b128 v[2:5], v1 offset:1312
	scratch_load_b128 v[38:41], off, off offset:480
	v_add_f64_e32 v[173:174], v[173:174], v[183:184]
	v_add_f64_e32 v[175:176], v[175:176], v[181:182]
	v_fma_f64 v[179:180], v[8:9], v[165:166], v[179:180]
	v_fma_f64 v[183:184], v[6:7], v[165:166], -v[167:168]
	ds_load_b128 v[6:9], v1 offset:1328
	s_wait_loadcnt_dscnt 0x801
	v_mul_f64_e32 v[181:182], v[2:3], v[12:13]
	v_mul_f64_e32 v[12:13], v[4:5], v[12:13]
	scratch_load_b128 v[165:168], off, off offset:496
	v_add_f64_e32 v[173:174], v[173:174], v[185:186]
	v_add_f64_e32 v[175:176], v[175:176], v[177:178]
	s_wait_loadcnt_dscnt 0x800
	v_mul_f64_e32 v[177:178], v[6:7], v[16:17]
	v_mul_f64_e32 v[16:17], v[8:9], v[16:17]
	v_fma_f64 v[181:182], v[4:5], v[10:11], v[181:182]
	v_fma_f64 v[185:186], v[2:3], v[10:11], -v[12:13]
	ds_load_b128 v[2:5], v1 offset:1344
	scratch_load_b128 v[10:13], off, off offset:512
	v_add_f64_e32 v[173:174], v[173:174], v[183:184]
	v_add_f64_e32 v[175:176], v[175:176], v[179:180]
	v_fma_f64 v[177:178], v[8:9], v[14:15], v[177:178]
	v_fma_f64 v[183:184], v[6:7], v[14:15], -v[16:17]
	ds_load_b128 v[6:9], v1 offset:1360
	s_wait_loadcnt_dscnt 0x801
	v_mul_f64_e32 v[179:180], v[2:3], v[20:21]
	v_mul_f64_e32 v[20:21], v[4:5], v[20:21]
	scratch_load_b128 v[14:17], off, off offset:528
	;; [unrolled: 18-line block ×16, first 2 shown]
	v_add_f64_e32 v[173:174], v[173:174], v[185:186]
	v_add_f64_e32 v[175:176], v[175:176], v[177:178]
	s_wait_loadcnt_dscnt 0x800
	v_mul_f64_e32 v[177:178], v[6:7], v[16:17]
	v_mul_f64_e32 v[16:17], v[8:9], v[16:17]
	v_fma_f64 v[181:182], v[4:5], v[10:11], v[181:182]
	v_fma_f64 v[10:11], v[2:3], v[10:11], -v[12:13]
	ds_load_b128 v[2:5], v1 offset:1824
	v_add_f64_e32 v[12:13], v[173:174], v[183:184]
	v_add_f64_e32 v[173:174], v[175:176], v[179:180]
	v_fma_f64 v[177:178], v[8:9], v[14:15], v[177:178]
	v_fma_f64 v[14:15], v[6:7], v[14:15], -v[16:17]
	ds_load_b128 v[6:9], v1 offset:1840
	s_wait_loadcnt_dscnt 0x701
	v_mul_f64_e32 v[175:176], v[2:3], v[20:21]
	v_mul_f64_e32 v[20:21], v[4:5], v[20:21]
	v_add_f64_e32 v[10:11], v[12:13], v[10:11]
	v_add_f64_e32 v[12:13], v[173:174], v[181:182]
	s_delay_alu instid0(VALU_DEP_4) | instskip(NEXT) | instid1(VALU_DEP_4)
	v_fma_f64 v[173:174], v[4:5], v[18:19], v[175:176]
	v_fma_f64 v[18:19], v[2:3], v[18:19], -v[20:21]
	ds_load_b128 v[2:5], v1 offset:1856
	v_add_f64_e32 v[14:15], v[10:11], v[14:15]
	v_add_f64_e32 v[20:21], v[12:13], v[177:178]
	scratch_load_b128 v[10:13], off, off offset:144
	s_wait_loadcnt_dscnt 0x701
	v_mul_f64_e32 v[16:17], v[6:7], v[24:25]
	v_mul_f64_e32 v[24:25], v[8:9], v[24:25]
	v_add_f64_e32 v[14:15], v[14:15], v[18:19]
	v_add_f64_e32 v[18:19], v[20:21], v[173:174]
	s_delay_alu instid0(VALU_DEP_4) | instskip(NEXT) | instid1(VALU_DEP_4)
	v_fma_f64 v[16:17], v[8:9], v[22:23], v[16:17]
	v_fma_f64 v[22:23], v[6:7], v[22:23], -v[24:25]
	ds_load_b128 v[6:9], v1 offset:1872
	s_wait_loadcnt_dscnt 0x601
	v_mul_f64_e32 v[175:176], v[2:3], v[28:29]
	v_mul_f64_e32 v[28:29], v[4:5], v[28:29]
	s_wait_loadcnt_dscnt 0x500
	v_mul_f64_e32 v[20:21], v[6:7], v[32:33]
	v_mul_f64_e32 v[24:25], v[8:9], v[32:33]
	v_add_f64_e32 v[16:17], v[18:19], v[16:17]
	v_add_f64_e32 v[14:15], v[14:15], v[22:23]
	v_fma_f64 v[32:33], v[4:5], v[26:27], v[175:176]
	v_fma_f64 v[26:27], v[2:3], v[26:27], -v[28:29]
	ds_load_b128 v[2:5], v1 offset:1888
	v_fma_f64 v[20:21], v[8:9], v[30:31], v[20:21]
	v_fma_f64 v[24:25], v[6:7], v[30:31], -v[24:25]
	ds_load_b128 v[6:9], v1 offset:1904
	s_wait_loadcnt_dscnt 0x401
	v_mul_f64_e32 v[18:19], v[2:3], v[36:37]
	v_mul_f64_e32 v[22:23], v[4:5], v[36:37]
	v_add_f64_e32 v[16:17], v[16:17], v[32:33]
	v_add_f64_e32 v[14:15], v[14:15], v[26:27]
	s_wait_loadcnt_dscnt 0x300
	v_mul_f64_e32 v[26:27], v[6:7], v[171:172]
	v_mul_f64_e32 v[28:29], v[8:9], v[171:172]
	v_fma_f64 v[18:19], v[4:5], v[34:35], v[18:19]
	v_fma_f64 v[22:23], v[2:3], v[34:35], -v[22:23]
	ds_load_b128 v[2:5], v1 offset:1920
	v_add_f64_e32 v[16:17], v[16:17], v[20:21]
	v_add_f64_e32 v[14:15], v[14:15], v[24:25]
	v_fma_f64 v[26:27], v[8:9], v[169:170], v[26:27]
	v_fma_f64 v[28:29], v[6:7], v[169:170], -v[28:29]
	ds_load_b128 v[6:9], v1 offset:1936
	s_wait_loadcnt_dscnt 0x201
	v_mul_f64_e32 v[20:21], v[2:3], v[40:41]
	v_mul_f64_e32 v[24:25], v[4:5], v[40:41]
	v_add_f64_e32 v[16:17], v[16:17], v[18:19]
	v_add_f64_e32 v[14:15], v[14:15], v[22:23]
	s_wait_loadcnt_dscnt 0x100
	v_mul_f64_e32 v[18:19], v[6:7], v[167:168]
	v_mul_f64_e32 v[22:23], v[8:9], v[167:168]
	v_fma_f64 v[4:5], v[4:5], v[38:39], v[20:21]
	v_fma_f64 v[1:2], v[2:3], v[38:39], -v[24:25]
	v_add_f64_e32 v[16:17], v[16:17], v[26:27]
	v_add_f64_e32 v[14:15], v[14:15], v[28:29]
	v_fma_f64 v[8:9], v[8:9], v[165:166], v[18:19]
	v_fma_f64 v[6:7], v[6:7], v[165:166], -v[22:23]
	s_delay_alu instid0(VALU_DEP_4) | instskip(NEXT) | instid1(VALU_DEP_4)
	v_add_f64_e32 v[3:4], v[16:17], v[4:5]
	v_add_f64_e32 v[1:2], v[14:15], v[1:2]
	s_delay_alu instid0(VALU_DEP_2) | instskip(NEXT) | instid1(VALU_DEP_2)
	v_add_f64_e32 v[3:4], v[3:4], v[8:9]
	v_add_f64_e32 v[1:2], v[1:2], v[6:7]
	s_wait_loadcnt 0x0
	s_delay_alu instid0(VALU_DEP_2) | instskip(NEXT) | instid1(VALU_DEP_2)
	v_add_f64_e64 v[3:4], v[12:13], -v[3:4]
	v_add_f64_e64 v[1:2], v[10:11], -v[1:2]
	scratch_store_b128 off, v[1:4], off offset:144
	v_cmpx_lt_u32_e32 7, v0
	s_cbranch_execz .LBB60_377
; %bb.376:
	scratch_load_b128 v[1:4], off, s69
	v_mov_b32_e32 v5, 0
	s_delay_alu instid0(VALU_DEP_1)
	v_dual_mov_b32 v6, v5 :: v_dual_mov_b32 v7, v5
	v_mov_b32_e32 v8, v5
	scratch_store_b128 off, v[5:8], off offset:128
	s_wait_loadcnt 0x0
	ds_store_b128 v164, v[1:4]
.LBB60_377:
	s_wait_alu 0xfffe
	s_or_b32 exec_lo, exec_lo, s0
	s_wait_storecnt_dscnt 0x0
	s_barrier_signal -1
	s_barrier_wait -1
	global_inv scope:SCOPE_SE
	s_clause 0x7
	scratch_load_b128 v[2:5], off, off offset:144
	scratch_load_b128 v[6:9], off, off offset:160
	;; [unrolled: 1-line block ×8, first 2 shown]
	v_mov_b32_e32 v1, 0
	s_clause 0x1
	scratch_load_b128 v[34:37], off, off offset:272
	scratch_load_b128 v[169:172], off, off offset:288
	s_mov_b32 s0, exec_lo
	ds_load_b128 v[38:41], v1 offset:1104
	ds_load_b128 v[165:168], v1 offset:1120
	s_wait_loadcnt_dscnt 0x901
	v_mul_f64_e32 v[173:174], v[40:41], v[4:5]
	v_mul_f64_e32 v[4:5], v[38:39], v[4:5]
	s_wait_loadcnt_dscnt 0x800
	v_mul_f64_e32 v[175:176], v[165:166], v[8:9]
	v_mul_f64_e32 v[8:9], v[167:168], v[8:9]
	s_delay_alu instid0(VALU_DEP_4) | instskip(NEXT) | instid1(VALU_DEP_4)
	v_fma_f64 v[173:174], v[38:39], v[2:3], -v[173:174]
	v_fma_f64 v[177:178], v[40:41], v[2:3], v[4:5]
	ds_load_b128 v[2:5], v1 offset:1136
	scratch_load_b128 v[38:41], off, off offset:304
	v_fma_f64 v[175:176], v[167:168], v[6:7], v[175:176]
	v_fma_f64 v[181:182], v[165:166], v[6:7], -v[8:9]
	ds_load_b128 v[6:9], v1 offset:1152
	scratch_load_b128 v[165:168], off, off offset:320
	s_wait_loadcnt_dscnt 0x901
	v_mul_f64_e32 v[179:180], v[2:3], v[12:13]
	v_mul_f64_e32 v[12:13], v[4:5], v[12:13]
	s_wait_loadcnt_dscnt 0x800
	v_mul_f64_e32 v[183:184], v[6:7], v[16:17]
	v_mul_f64_e32 v[16:17], v[8:9], v[16:17]
	v_add_f64_e32 v[173:174], 0, v[173:174]
	v_add_f64_e32 v[177:178], 0, v[177:178]
	v_fma_f64 v[179:180], v[4:5], v[10:11], v[179:180]
	v_fma_f64 v[185:186], v[2:3], v[10:11], -v[12:13]
	ds_load_b128 v[2:5], v1 offset:1168
	scratch_load_b128 v[10:13], off, off offset:336
	v_add_f64_e32 v[173:174], v[173:174], v[181:182]
	v_add_f64_e32 v[175:176], v[177:178], v[175:176]
	v_fma_f64 v[181:182], v[8:9], v[14:15], v[183:184]
	v_fma_f64 v[183:184], v[6:7], v[14:15], -v[16:17]
	ds_load_b128 v[6:9], v1 offset:1184
	scratch_load_b128 v[14:17], off, off offset:352
	s_wait_loadcnt_dscnt 0x901
	v_mul_f64_e32 v[177:178], v[2:3], v[20:21]
	v_mul_f64_e32 v[20:21], v[4:5], v[20:21]
	v_add_f64_e32 v[173:174], v[173:174], v[185:186]
	v_add_f64_e32 v[175:176], v[175:176], v[179:180]
	s_wait_loadcnt_dscnt 0x800
	v_mul_f64_e32 v[179:180], v[6:7], v[24:25]
	v_mul_f64_e32 v[24:25], v[8:9], v[24:25]
	v_fma_f64 v[177:178], v[4:5], v[18:19], v[177:178]
	v_fma_f64 v[185:186], v[2:3], v[18:19], -v[20:21]
	ds_load_b128 v[2:5], v1 offset:1200
	scratch_load_b128 v[18:21], off, off offset:368
	v_add_f64_e32 v[173:174], v[173:174], v[183:184]
	v_add_f64_e32 v[175:176], v[175:176], v[181:182]
	v_fma_f64 v[179:180], v[8:9], v[22:23], v[179:180]
	v_fma_f64 v[183:184], v[6:7], v[22:23], -v[24:25]
	ds_load_b128 v[6:9], v1 offset:1216
	s_wait_loadcnt_dscnt 0x801
	v_mul_f64_e32 v[181:182], v[2:3], v[28:29]
	v_mul_f64_e32 v[28:29], v[4:5], v[28:29]
	scratch_load_b128 v[22:25], off, off offset:384
	v_add_f64_e32 v[173:174], v[173:174], v[185:186]
	v_add_f64_e32 v[175:176], v[175:176], v[177:178]
	s_wait_loadcnt_dscnt 0x800
	v_mul_f64_e32 v[177:178], v[6:7], v[32:33]
	v_mul_f64_e32 v[32:33], v[8:9], v[32:33]
	v_fma_f64 v[181:182], v[4:5], v[26:27], v[181:182]
	v_fma_f64 v[185:186], v[2:3], v[26:27], -v[28:29]
	ds_load_b128 v[2:5], v1 offset:1232
	scratch_load_b128 v[26:29], off, off offset:400
	v_add_f64_e32 v[173:174], v[173:174], v[183:184]
	v_add_f64_e32 v[175:176], v[175:176], v[179:180]
	v_fma_f64 v[177:178], v[8:9], v[30:31], v[177:178]
	v_fma_f64 v[183:184], v[6:7], v[30:31], -v[32:33]
	ds_load_b128 v[6:9], v1 offset:1248
	s_wait_loadcnt_dscnt 0x801
	v_mul_f64_e32 v[179:180], v[2:3], v[36:37]
	v_mul_f64_e32 v[36:37], v[4:5], v[36:37]
	scratch_load_b128 v[30:33], off, off offset:416
	v_add_f64_e32 v[173:174], v[173:174], v[185:186]
	v_add_f64_e32 v[175:176], v[175:176], v[181:182]
	s_wait_loadcnt_dscnt 0x800
	v_mul_f64_e32 v[181:182], v[6:7], v[171:172]
	v_mul_f64_e32 v[171:172], v[8:9], v[171:172]
	v_fma_f64 v[179:180], v[4:5], v[34:35], v[179:180]
	v_fma_f64 v[185:186], v[2:3], v[34:35], -v[36:37]
	ds_load_b128 v[2:5], v1 offset:1264
	scratch_load_b128 v[34:37], off, off offset:432
	v_add_f64_e32 v[173:174], v[173:174], v[183:184]
	v_add_f64_e32 v[175:176], v[175:176], v[177:178]
	v_fma_f64 v[181:182], v[8:9], v[169:170], v[181:182]
	v_fma_f64 v[183:184], v[6:7], v[169:170], -v[171:172]
	ds_load_b128 v[6:9], v1 offset:1280
	scratch_load_b128 v[169:172], off, off offset:448
	s_wait_loadcnt_dscnt 0x901
	v_mul_f64_e32 v[177:178], v[2:3], v[40:41]
	v_mul_f64_e32 v[40:41], v[4:5], v[40:41]
	v_add_f64_e32 v[173:174], v[173:174], v[185:186]
	v_add_f64_e32 v[175:176], v[175:176], v[179:180]
	s_wait_loadcnt_dscnt 0x800
	v_mul_f64_e32 v[179:180], v[6:7], v[167:168]
	v_mul_f64_e32 v[167:168], v[8:9], v[167:168]
	v_fma_f64 v[177:178], v[4:5], v[38:39], v[177:178]
	v_fma_f64 v[185:186], v[2:3], v[38:39], -v[40:41]
	ds_load_b128 v[2:5], v1 offset:1296
	scratch_load_b128 v[38:41], off, off offset:464
	v_add_f64_e32 v[173:174], v[173:174], v[183:184]
	v_add_f64_e32 v[175:176], v[175:176], v[181:182]
	v_fma_f64 v[179:180], v[8:9], v[165:166], v[179:180]
	v_fma_f64 v[183:184], v[6:7], v[165:166], -v[167:168]
	ds_load_b128 v[6:9], v1 offset:1312
	s_wait_loadcnt_dscnt 0x801
	v_mul_f64_e32 v[181:182], v[2:3], v[12:13]
	v_mul_f64_e32 v[12:13], v[4:5], v[12:13]
	scratch_load_b128 v[165:168], off, off offset:480
	v_add_f64_e32 v[173:174], v[173:174], v[185:186]
	v_add_f64_e32 v[175:176], v[175:176], v[177:178]
	s_wait_loadcnt_dscnt 0x800
	v_mul_f64_e32 v[177:178], v[6:7], v[16:17]
	v_mul_f64_e32 v[16:17], v[8:9], v[16:17]
	v_fma_f64 v[181:182], v[4:5], v[10:11], v[181:182]
	v_fma_f64 v[185:186], v[2:3], v[10:11], -v[12:13]
	ds_load_b128 v[2:5], v1 offset:1328
	scratch_load_b128 v[10:13], off, off offset:496
	v_add_f64_e32 v[173:174], v[173:174], v[183:184]
	v_add_f64_e32 v[175:176], v[175:176], v[179:180]
	v_fma_f64 v[177:178], v[8:9], v[14:15], v[177:178]
	v_fma_f64 v[183:184], v[6:7], v[14:15], -v[16:17]
	ds_load_b128 v[6:9], v1 offset:1344
	s_wait_loadcnt_dscnt 0x801
	v_mul_f64_e32 v[179:180], v[2:3], v[20:21]
	v_mul_f64_e32 v[20:21], v[4:5], v[20:21]
	scratch_load_b128 v[14:17], off, off offset:512
	;; [unrolled: 18-line block ×16, first 2 shown]
	v_add_f64_e32 v[173:174], v[173:174], v[185:186]
	v_add_f64_e32 v[175:176], v[175:176], v[177:178]
	s_wait_loadcnt_dscnt 0x800
	v_mul_f64_e32 v[177:178], v[6:7], v[16:17]
	v_mul_f64_e32 v[16:17], v[8:9], v[16:17]
	v_fma_f64 v[181:182], v[4:5], v[10:11], v[181:182]
	v_fma_f64 v[185:186], v[2:3], v[10:11], -v[12:13]
	ds_load_b128 v[2:5], v1 offset:1808
	scratch_load_b128 v[10:13], off, off offset:976
	v_add_f64_e32 v[173:174], v[173:174], v[183:184]
	v_add_f64_e32 v[175:176], v[175:176], v[179:180]
	v_fma_f64 v[177:178], v[8:9], v[14:15], v[177:178]
	v_fma_f64 v[14:15], v[6:7], v[14:15], -v[16:17]
	ds_load_b128 v[6:9], v1 offset:1824
	s_wait_loadcnt_dscnt 0x801
	v_mul_f64_e32 v[179:180], v[2:3], v[20:21]
	v_mul_f64_e32 v[20:21], v[4:5], v[20:21]
	v_add_f64_e32 v[16:17], v[173:174], v[185:186]
	v_add_f64_e32 v[173:174], v[175:176], v[181:182]
	s_wait_loadcnt_dscnt 0x700
	v_mul_f64_e32 v[175:176], v[6:7], v[24:25]
	v_mul_f64_e32 v[24:25], v[8:9], v[24:25]
	v_fma_f64 v[179:180], v[4:5], v[18:19], v[179:180]
	v_fma_f64 v[18:19], v[2:3], v[18:19], -v[20:21]
	ds_load_b128 v[2:5], v1 offset:1840
	v_add_f64_e32 v[14:15], v[16:17], v[14:15]
	v_add_f64_e32 v[16:17], v[173:174], v[177:178]
	v_fma_f64 v[173:174], v[8:9], v[22:23], v[175:176]
	v_fma_f64 v[22:23], v[6:7], v[22:23], -v[24:25]
	ds_load_b128 v[6:9], v1 offset:1856
	s_wait_loadcnt_dscnt 0x500
	v_mul_f64_e32 v[175:176], v[6:7], v[32:33]
	v_mul_f64_e32 v[32:33], v[8:9], v[32:33]
	v_add_f64_e32 v[18:19], v[14:15], v[18:19]
	v_add_f64_e32 v[24:25], v[16:17], v[179:180]
	scratch_load_b128 v[14:17], off, off offset:128
	v_mul_f64_e32 v[20:21], v[2:3], v[28:29]
	v_mul_f64_e32 v[28:29], v[4:5], v[28:29]
	v_add_f64_e32 v[18:19], v[18:19], v[22:23]
	v_add_f64_e32 v[22:23], v[24:25], v[173:174]
	s_delay_alu instid0(VALU_DEP_4) | instskip(NEXT) | instid1(VALU_DEP_4)
	v_fma_f64 v[20:21], v[4:5], v[26:27], v[20:21]
	v_fma_f64 v[26:27], v[2:3], v[26:27], -v[28:29]
	ds_load_b128 v[2:5], v1 offset:1872
	s_wait_loadcnt_dscnt 0x500
	v_mul_f64_e32 v[24:25], v[2:3], v[36:37]
	v_mul_f64_e32 v[28:29], v[4:5], v[36:37]
	v_fma_f64 v[36:37], v[8:9], v[30:31], v[175:176]
	v_fma_f64 v[30:31], v[6:7], v[30:31], -v[32:33]
	ds_load_b128 v[6:9], v1 offset:1888
	v_add_f64_e32 v[20:21], v[22:23], v[20:21]
	v_add_f64_e32 v[18:19], v[18:19], v[26:27]
	v_fma_f64 v[24:25], v[4:5], v[34:35], v[24:25]
	v_fma_f64 v[28:29], v[2:3], v[34:35], -v[28:29]
	ds_load_b128 v[2:5], v1 offset:1904
	s_wait_loadcnt_dscnt 0x401
	v_mul_f64_e32 v[22:23], v[6:7], v[171:172]
	v_mul_f64_e32 v[26:27], v[8:9], v[171:172]
	v_add_f64_e32 v[20:21], v[20:21], v[36:37]
	v_add_f64_e32 v[18:19], v[18:19], v[30:31]
	s_wait_loadcnt_dscnt 0x300
	v_mul_f64_e32 v[30:31], v[2:3], v[40:41]
	v_mul_f64_e32 v[32:33], v[4:5], v[40:41]
	v_fma_f64 v[22:23], v[8:9], v[169:170], v[22:23]
	v_fma_f64 v[26:27], v[6:7], v[169:170], -v[26:27]
	ds_load_b128 v[6:9], v1 offset:1920
	v_add_f64_e32 v[20:21], v[20:21], v[24:25]
	v_add_f64_e32 v[18:19], v[18:19], v[28:29]
	v_fma_f64 v[30:31], v[4:5], v[38:39], v[30:31]
	v_fma_f64 v[32:33], v[2:3], v[38:39], -v[32:33]
	ds_load_b128 v[2:5], v1 offset:1936
	s_wait_loadcnt_dscnt 0x201
	v_mul_f64_e32 v[24:25], v[6:7], v[167:168]
	v_mul_f64_e32 v[28:29], v[8:9], v[167:168]
	v_add_f64_e32 v[20:21], v[20:21], v[22:23]
	v_add_f64_e32 v[18:19], v[18:19], v[26:27]
	s_wait_loadcnt_dscnt 0x100
	v_mul_f64_e32 v[22:23], v[2:3], v[12:13]
	v_mul_f64_e32 v[12:13], v[4:5], v[12:13]
	v_fma_f64 v[8:9], v[8:9], v[165:166], v[24:25]
	v_fma_f64 v[6:7], v[6:7], v[165:166], -v[28:29]
	v_add_f64_e32 v[20:21], v[20:21], v[30:31]
	v_add_f64_e32 v[18:19], v[18:19], v[32:33]
	v_fma_f64 v[4:5], v[4:5], v[10:11], v[22:23]
	v_fma_f64 v[2:3], v[2:3], v[10:11], -v[12:13]
	s_delay_alu instid0(VALU_DEP_4) | instskip(NEXT) | instid1(VALU_DEP_4)
	v_add_f64_e32 v[8:9], v[20:21], v[8:9]
	v_add_f64_e32 v[6:7], v[18:19], v[6:7]
	s_delay_alu instid0(VALU_DEP_2) | instskip(NEXT) | instid1(VALU_DEP_2)
	v_add_f64_e32 v[4:5], v[8:9], v[4:5]
	v_add_f64_e32 v[2:3], v[6:7], v[2:3]
	s_wait_loadcnt 0x0
	s_delay_alu instid0(VALU_DEP_2) | instskip(NEXT) | instid1(VALU_DEP_2)
	v_add_f64_e64 v[4:5], v[16:17], -v[4:5]
	v_add_f64_e64 v[2:3], v[14:15], -v[2:3]
	scratch_store_b128 off, v[2:5], off offset:128
	v_cmpx_lt_u32_e32 6, v0
	s_cbranch_execz .LBB60_379
; %bb.378:
	scratch_load_b128 v[5:8], off, s70
	v_dual_mov_b32 v2, v1 :: v_dual_mov_b32 v3, v1
	v_mov_b32_e32 v4, v1
	scratch_store_b128 off, v[1:4], off offset:112
	s_wait_loadcnt 0x0
	ds_store_b128 v164, v[5:8]
.LBB60_379:
	s_wait_alu 0xfffe
	s_or_b32 exec_lo, exec_lo, s0
	s_wait_storecnt_dscnt 0x0
	s_barrier_signal -1
	s_barrier_wait -1
	global_inv scope:SCOPE_SE
	s_clause 0x7
	scratch_load_b128 v[2:5], off, off offset:128
	scratch_load_b128 v[6:9], off, off offset:144
	;; [unrolled: 1-line block ×8, first 2 shown]
	ds_load_b128 v[38:41], v1 offset:1088
	ds_load_b128 v[165:168], v1 offset:1104
	s_clause 0x1
	scratch_load_b128 v[34:37], off, off offset:256
	scratch_load_b128 v[169:172], off, off offset:272
	s_mov_b32 s0, exec_lo
	s_wait_loadcnt_dscnt 0x901
	v_mul_f64_e32 v[173:174], v[40:41], v[4:5]
	v_mul_f64_e32 v[4:5], v[38:39], v[4:5]
	s_wait_loadcnt_dscnt 0x800
	v_mul_f64_e32 v[175:176], v[165:166], v[8:9]
	v_mul_f64_e32 v[8:9], v[167:168], v[8:9]
	s_delay_alu instid0(VALU_DEP_4) | instskip(NEXT) | instid1(VALU_DEP_4)
	v_fma_f64 v[173:174], v[38:39], v[2:3], -v[173:174]
	v_fma_f64 v[177:178], v[40:41], v[2:3], v[4:5]
	ds_load_b128 v[2:5], v1 offset:1120
	scratch_load_b128 v[38:41], off, off offset:288
	v_fma_f64 v[175:176], v[167:168], v[6:7], v[175:176]
	v_fma_f64 v[181:182], v[165:166], v[6:7], -v[8:9]
	ds_load_b128 v[6:9], v1 offset:1136
	scratch_load_b128 v[165:168], off, off offset:304
	s_wait_loadcnt_dscnt 0x901
	v_mul_f64_e32 v[179:180], v[2:3], v[12:13]
	v_mul_f64_e32 v[12:13], v[4:5], v[12:13]
	s_wait_loadcnt_dscnt 0x800
	v_mul_f64_e32 v[183:184], v[6:7], v[16:17]
	v_mul_f64_e32 v[16:17], v[8:9], v[16:17]
	v_add_f64_e32 v[173:174], 0, v[173:174]
	v_add_f64_e32 v[177:178], 0, v[177:178]
	v_fma_f64 v[179:180], v[4:5], v[10:11], v[179:180]
	v_fma_f64 v[185:186], v[2:3], v[10:11], -v[12:13]
	ds_load_b128 v[2:5], v1 offset:1152
	scratch_load_b128 v[10:13], off, off offset:320
	v_add_f64_e32 v[173:174], v[173:174], v[181:182]
	v_add_f64_e32 v[175:176], v[177:178], v[175:176]
	v_fma_f64 v[181:182], v[8:9], v[14:15], v[183:184]
	v_fma_f64 v[183:184], v[6:7], v[14:15], -v[16:17]
	ds_load_b128 v[6:9], v1 offset:1168
	scratch_load_b128 v[14:17], off, off offset:336
	s_wait_loadcnt_dscnt 0x901
	v_mul_f64_e32 v[177:178], v[2:3], v[20:21]
	v_mul_f64_e32 v[20:21], v[4:5], v[20:21]
	v_add_f64_e32 v[173:174], v[173:174], v[185:186]
	v_add_f64_e32 v[175:176], v[175:176], v[179:180]
	s_wait_loadcnt_dscnt 0x800
	v_mul_f64_e32 v[179:180], v[6:7], v[24:25]
	v_mul_f64_e32 v[24:25], v[8:9], v[24:25]
	v_fma_f64 v[177:178], v[4:5], v[18:19], v[177:178]
	v_fma_f64 v[185:186], v[2:3], v[18:19], -v[20:21]
	ds_load_b128 v[2:5], v1 offset:1184
	scratch_load_b128 v[18:21], off, off offset:352
	v_add_f64_e32 v[173:174], v[173:174], v[183:184]
	v_add_f64_e32 v[175:176], v[175:176], v[181:182]
	v_fma_f64 v[179:180], v[8:9], v[22:23], v[179:180]
	v_fma_f64 v[183:184], v[6:7], v[22:23], -v[24:25]
	ds_load_b128 v[6:9], v1 offset:1200
	s_wait_loadcnt_dscnt 0x801
	v_mul_f64_e32 v[181:182], v[2:3], v[28:29]
	v_mul_f64_e32 v[28:29], v[4:5], v[28:29]
	scratch_load_b128 v[22:25], off, off offset:368
	v_add_f64_e32 v[173:174], v[173:174], v[185:186]
	v_add_f64_e32 v[175:176], v[175:176], v[177:178]
	s_wait_loadcnt_dscnt 0x800
	v_mul_f64_e32 v[177:178], v[6:7], v[32:33]
	v_mul_f64_e32 v[32:33], v[8:9], v[32:33]
	v_fma_f64 v[181:182], v[4:5], v[26:27], v[181:182]
	v_fma_f64 v[185:186], v[2:3], v[26:27], -v[28:29]
	ds_load_b128 v[2:5], v1 offset:1216
	scratch_load_b128 v[26:29], off, off offset:384
	v_add_f64_e32 v[173:174], v[173:174], v[183:184]
	v_add_f64_e32 v[175:176], v[175:176], v[179:180]
	v_fma_f64 v[177:178], v[8:9], v[30:31], v[177:178]
	v_fma_f64 v[183:184], v[6:7], v[30:31], -v[32:33]
	ds_load_b128 v[6:9], v1 offset:1232
	s_wait_loadcnt_dscnt 0x801
	v_mul_f64_e32 v[179:180], v[2:3], v[36:37]
	v_mul_f64_e32 v[36:37], v[4:5], v[36:37]
	scratch_load_b128 v[30:33], off, off offset:400
	v_add_f64_e32 v[173:174], v[173:174], v[185:186]
	v_add_f64_e32 v[175:176], v[175:176], v[181:182]
	s_wait_loadcnt_dscnt 0x800
	v_mul_f64_e32 v[181:182], v[6:7], v[171:172]
	v_mul_f64_e32 v[171:172], v[8:9], v[171:172]
	v_fma_f64 v[179:180], v[4:5], v[34:35], v[179:180]
	v_fma_f64 v[185:186], v[2:3], v[34:35], -v[36:37]
	ds_load_b128 v[2:5], v1 offset:1248
	scratch_load_b128 v[34:37], off, off offset:416
	v_add_f64_e32 v[173:174], v[173:174], v[183:184]
	v_add_f64_e32 v[175:176], v[175:176], v[177:178]
	v_fma_f64 v[181:182], v[8:9], v[169:170], v[181:182]
	v_fma_f64 v[183:184], v[6:7], v[169:170], -v[171:172]
	ds_load_b128 v[6:9], v1 offset:1264
	scratch_load_b128 v[169:172], off, off offset:432
	s_wait_loadcnt_dscnt 0x901
	v_mul_f64_e32 v[177:178], v[2:3], v[40:41]
	v_mul_f64_e32 v[40:41], v[4:5], v[40:41]
	v_add_f64_e32 v[173:174], v[173:174], v[185:186]
	v_add_f64_e32 v[175:176], v[175:176], v[179:180]
	s_wait_loadcnt_dscnt 0x800
	v_mul_f64_e32 v[179:180], v[6:7], v[167:168]
	v_mul_f64_e32 v[167:168], v[8:9], v[167:168]
	v_fma_f64 v[177:178], v[4:5], v[38:39], v[177:178]
	v_fma_f64 v[185:186], v[2:3], v[38:39], -v[40:41]
	ds_load_b128 v[2:5], v1 offset:1280
	scratch_load_b128 v[38:41], off, off offset:448
	v_add_f64_e32 v[173:174], v[173:174], v[183:184]
	v_add_f64_e32 v[175:176], v[175:176], v[181:182]
	v_fma_f64 v[179:180], v[8:9], v[165:166], v[179:180]
	v_fma_f64 v[183:184], v[6:7], v[165:166], -v[167:168]
	ds_load_b128 v[6:9], v1 offset:1296
	s_wait_loadcnt_dscnt 0x801
	v_mul_f64_e32 v[181:182], v[2:3], v[12:13]
	v_mul_f64_e32 v[12:13], v[4:5], v[12:13]
	scratch_load_b128 v[165:168], off, off offset:464
	v_add_f64_e32 v[173:174], v[173:174], v[185:186]
	v_add_f64_e32 v[175:176], v[175:176], v[177:178]
	s_wait_loadcnt_dscnt 0x800
	v_mul_f64_e32 v[177:178], v[6:7], v[16:17]
	v_mul_f64_e32 v[16:17], v[8:9], v[16:17]
	v_fma_f64 v[181:182], v[4:5], v[10:11], v[181:182]
	v_fma_f64 v[185:186], v[2:3], v[10:11], -v[12:13]
	ds_load_b128 v[2:5], v1 offset:1312
	scratch_load_b128 v[10:13], off, off offset:480
	v_add_f64_e32 v[173:174], v[173:174], v[183:184]
	v_add_f64_e32 v[175:176], v[175:176], v[179:180]
	v_fma_f64 v[177:178], v[8:9], v[14:15], v[177:178]
	v_fma_f64 v[183:184], v[6:7], v[14:15], -v[16:17]
	ds_load_b128 v[6:9], v1 offset:1328
	s_wait_loadcnt_dscnt 0x801
	v_mul_f64_e32 v[179:180], v[2:3], v[20:21]
	v_mul_f64_e32 v[20:21], v[4:5], v[20:21]
	scratch_load_b128 v[14:17], off, off offset:496
	;; [unrolled: 18-line block ×17, first 2 shown]
	v_add_f64_e32 v[173:174], v[173:174], v[185:186]
	v_add_f64_e32 v[175:176], v[175:176], v[181:182]
	s_wait_loadcnt_dscnt 0x800
	v_mul_f64_e32 v[181:182], v[6:7], v[24:25]
	v_mul_f64_e32 v[24:25], v[8:9], v[24:25]
	v_fma_f64 v[179:180], v[4:5], v[18:19], v[179:180]
	v_fma_f64 v[18:19], v[2:3], v[18:19], -v[20:21]
	ds_load_b128 v[2:5], v1 offset:1824
	v_add_f64_e32 v[20:21], v[173:174], v[183:184]
	v_add_f64_e32 v[173:174], v[175:176], v[177:178]
	v_fma_f64 v[177:178], v[8:9], v[22:23], v[181:182]
	v_fma_f64 v[22:23], v[6:7], v[22:23], -v[24:25]
	ds_load_b128 v[6:9], v1 offset:1840
	s_wait_loadcnt_dscnt 0x701
	v_mul_f64_e32 v[175:176], v[2:3], v[28:29]
	v_mul_f64_e32 v[28:29], v[4:5], v[28:29]
	v_add_f64_e32 v[18:19], v[20:21], v[18:19]
	v_add_f64_e32 v[20:21], v[173:174], v[179:180]
	s_delay_alu instid0(VALU_DEP_4) | instskip(NEXT) | instid1(VALU_DEP_4)
	v_fma_f64 v[173:174], v[4:5], v[26:27], v[175:176]
	v_fma_f64 v[26:27], v[2:3], v[26:27], -v[28:29]
	ds_load_b128 v[2:5], v1 offset:1856
	v_add_f64_e32 v[22:23], v[18:19], v[22:23]
	v_add_f64_e32 v[28:29], v[20:21], v[177:178]
	scratch_load_b128 v[18:21], off, off offset:112
	s_wait_loadcnt_dscnt 0x701
	v_mul_f64_e32 v[24:25], v[6:7], v[32:33]
	v_mul_f64_e32 v[32:33], v[8:9], v[32:33]
	v_add_f64_e32 v[22:23], v[22:23], v[26:27]
	v_add_f64_e32 v[26:27], v[28:29], v[173:174]
	s_delay_alu instid0(VALU_DEP_4) | instskip(NEXT) | instid1(VALU_DEP_4)
	v_fma_f64 v[24:25], v[8:9], v[30:31], v[24:25]
	v_fma_f64 v[30:31], v[6:7], v[30:31], -v[32:33]
	ds_load_b128 v[6:9], v1 offset:1872
	s_wait_loadcnt_dscnt 0x601
	v_mul_f64_e32 v[175:176], v[2:3], v[36:37]
	v_mul_f64_e32 v[36:37], v[4:5], v[36:37]
	s_wait_loadcnt_dscnt 0x500
	v_mul_f64_e32 v[28:29], v[6:7], v[171:172]
	v_mul_f64_e32 v[32:33], v[8:9], v[171:172]
	v_add_f64_e32 v[24:25], v[26:27], v[24:25]
	v_add_f64_e32 v[22:23], v[22:23], v[30:31]
	v_fma_f64 v[171:172], v[4:5], v[34:35], v[175:176]
	v_fma_f64 v[34:35], v[2:3], v[34:35], -v[36:37]
	ds_load_b128 v[2:5], v1 offset:1888
	v_fma_f64 v[28:29], v[8:9], v[169:170], v[28:29]
	v_fma_f64 v[32:33], v[6:7], v[169:170], -v[32:33]
	ds_load_b128 v[6:9], v1 offset:1904
	s_wait_loadcnt_dscnt 0x401
	v_mul_f64_e32 v[26:27], v[2:3], v[40:41]
	v_mul_f64_e32 v[30:31], v[4:5], v[40:41]
	v_add_f64_e32 v[24:25], v[24:25], v[171:172]
	v_add_f64_e32 v[22:23], v[22:23], v[34:35]
	s_wait_loadcnt_dscnt 0x300
	v_mul_f64_e32 v[34:35], v[6:7], v[167:168]
	v_mul_f64_e32 v[36:37], v[8:9], v[167:168]
	v_fma_f64 v[26:27], v[4:5], v[38:39], v[26:27]
	v_fma_f64 v[30:31], v[2:3], v[38:39], -v[30:31]
	ds_load_b128 v[2:5], v1 offset:1920
	v_add_f64_e32 v[24:25], v[24:25], v[28:29]
	v_add_f64_e32 v[22:23], v[22:23], v[32:33]
	v_fma_f64 v[32:33], v[8:9], v[165:166], v[34:35]
	v_fma_f64 v[34:35], v[6:7], v[165:166], -v[36:37]
	ds_load_b128 v[6:9], v1 offset:1936
	s_wait_loadcnt_dscnt 0x201
	v_mul_f64_e32 v[28:29], v[2:3], v[12:13]
	v_mul_f64_e32 v[12:13], v[4:5], v[12:13]
	v_add_f64_e32 v[24:25], v[24:25], v[26:27]
	v_add_f64_e32 v[22:23], v[22:23], v[30:31]
	s_wait_loadcnt_dscnt 0x100
	v_mul_f64_e32 v[26:27], v[6:7], v[16:17]
	v_mul_f64_e32 v[16:17], v[8:9], v[16:17]
	v_fma_f64 v[4:5], v[4:5], v[10:11], v[28:29]
	v_fma_f64 v[1:2], v[2:3], v[10:11], -v[12:13]
	v_add_f64_e32 v[12:13], v[24:25], v[32:33]
	v_add_f64_e32 v[10:11], v[22:23], v[34:35]
	v_fma_f64 v[8:9], v[8:9], v[14:15], v[26:27]
	v_fma_f64 v[6:7], v[6:7], v[14:15], -v[16:17]
	s_delay_alu instid0(VALU_DEP_4) | instskip(NEXT) | instid1(VALU_DEP_4)
	v_add_f64_e32 v[3:4], v[12:13], v[4:5]
	v_add_f64_e32 v[1:2], v[10:11], v[1:2]
	s_delay_alu instid0(VALU_DEP_2) | instskip(NEXT) | instid1(VALU_DEP_2)
	v_add_f64_e32 v[3:4], v[3:4], v[8:9]
	v_add_f64_e32 v[1:2], v[1:2], v[6:7]
	s_wait_loadcnt 0x0
	s_delay_alu instid0(VALU_DEP_2) | instskip(NEXT) | instid1(VALU_DEP_2)
	v_add_f64_e64 v[3:4], v[20:21], -v[3:4]
	v_add_f64_e64 v[1:2], v[18:19], -v[1:2]
	scratch_store_b128 off, v[1:4], off offset:112
	v_cmpx_lt_u32_e32 5, v0
	s_cbranch_execz .LBB60_381
; %bb.380:
	scratch_load_b128 v[1:4], off, s71
	v_mov_b32_e32 v5, 0
	s_delay_alu instid0(VALU_DEP_1)
	v_dual_mov_b32 v6, v5 :: v_dual_mov_b32 v7, v5
	v_mov_b32_e32 v8, v5
	scratch_store_b128 off, v[5:8], off offset:96
	s_wait_loadcnt 0x0
	ds_store_b128 v164, v[1:4]
.LBB60_381:
	s_wait_alu 0xfffe
	s_or_b32 exec_lo, exec_lo, s0
	s_wait_storecnt_dscnt 0x0
	s_barrier_signal -1
	s_barrier_wait -1
	global_inv scope:SCOPE_SE
	s_clause 0x7
	scratch_load_b128 v[2:5], off, off offset:112
	scratch_load_b128 v[6:9], off, off offset:128
	;; [unrolled: 1-line block ×8, first 2 shown]
	v_mov_b32_e32 v1, 0
	s_clause 0x1
	scratch_load_b128 v[34:37], off, off offset:240
	scratch_load_b128 v[169:172], off, off offset:256
	s_mov_b32 s0, exec_lo
	ds_load_b128 v[38:41], v1 offset:1072
	ds_load_b128 v[165:168], v1 offset:1088
	s_wait_loadcnt_dscnt 0x901
	v_mul_f64_e32 v[173:174], v[40:41], v[4:5]
	v_mul_f64_e32 v[4:5], v[38:39], v[4:5]
	s_wait_loadcnt_dscnt 0x800
	v_mul_f64_e32 v[175:176], v[165:166], v[8:9]
	v_mul_f64_e32 v[8:9], v[167:168], v[8:9]
	s_delay_alu instid0(VALU_DEP_4) | instskip(NEXT) | instid1(VALU_DEP_4)
	v_fma_f64 v[173:174], v[38:39], v[2:3], -v[173:174]
	v_fma_f64 v[177:178], v[40:41], v[2:3], v[4:5]
	ds_load_b128 v[2:5], v1 offset:1104
	scratch_load_b128 v[38:41], off, off offset:272
	v_fma_f64 v[175:176], v[167:168], v[6:7], v[175:176]
	v_fma_f64 v[181:182], v[165:166], v[6:7], -v[8:9]
	ds_load_b128 v[6:9], v1 offset:1120
	scratch_load_b128 v[165:168], off, off offset:288
	s_wait_loadcnt_dscnt 0x901
	v_mul_f64_e32 v[179:180], v[2:3], v[12:13]
	v_mul_f64_e32 v[12:13], v[4:5], v[12:13]
	s_wait_loadcnt_dscnt 0x800
	v_mul_f64_e32 v[183:184], v[6:7], v[16:17]
	v_mul_f64_e32 v[16:17], v[8:9], v[16:17]
	v_add_f64_e32 v[173:174], 0, v[173:174]
	v_add_f64_e32 v[177:178], 0, v[177:178]
	v_fma_f64 v[179:180], v[4:5], v[10:11], v[179:180]
	v_fma_f64 v[185:186], v[2:3], v[10:11], -v[12:13]
	ds_load_b128 v[2:5], v1 offset:1136
	scratch_load_b128 v[10:13], off, off offset:304
	v_add_f64_e32 v[173:174], v[173:174], v[181:182]
	v_add_f64_e32 v[175:176], v[177:178], v[175:176]
	v_fma_f64 v[181:182], v[8:9], v[14:15], v[183:184]
	v_fma_f64 v[183:184], v[6:7], v[14:15], -v[16:17]
	ds_load_b128 v[6:9], v1 offset:1152
	scratch_load_b128 v[14:17], off, off offset:320
	s_wait_loadcnt_dscnt 0x901
	v_mul_f64_e32 v[177:178], v[2:3], v[20:21]
	v_mul_f64_e32 v[20:21], v[4:5], v[20:21]
	v_add_f64_e32 v[173:174], v[173:174], v[185:186]
	v_add_f64_e32 v[175:176], v[175:176], v[179:180]
	s_wait_loadcnt_dscnt 0x800
	v_mul_f64_e32 v[179:180], v[6:7], v[24:25]
	v_mul_f64_e32 v[24:25], v[8:9], v[24:25]
	v_fma_f64 v[177:178], v[4:5], v[18:19], v[177:178]
	v_fma_f64 v[185:186], v[2:3], v[18:19], -v[20:21]
	ds_load_b128 v[2:5], v1 offset:1168
	scratch_load_b128 v[18:21], off, off offset:336
	v_add_f64_e32 v[173:174], v[173:174], v[183:184]
	v_add_f64_e32 v[175:176], v[175:176], v[181:182]
	v_fma_f64 v[179:180], v[8:9], v[22:23], v[179:180]
	v_fma_f64 v[183:184], v[6:7], v[22:23], -v[24:25]
	ds_load_b128 v[6:9], v1 offset:1184
	s_wait_loadcnt_dscnt 0x801
	v_mul_f64_e32 v[181:182], v[2:3], v[28:29]
	v_mul_f64_e32 v[28:29], v[4:5], v[28:29]
	scratch_load_b128 v[22:25], off, off offset:352
	v_add_f64_e32 v[173:174], v[173:174], v[185:186]
	v_add_f64_e32 v[175:176], v[175:176], v[177:178]
	s_wait_loadcnt_dscnt 0x800
	v_mul_f64_e32 v[177:178], v[6:7], v[32:33]
	v_mul_f64_e32 v[32:33], v[8:9], v[32:33]
	v_fma_f64 v[181:182], v[4:5], v[26:27], v[181:182]
	v_fma_f64 v[185:186], v[2:3], v[26:27], -v[28:29]
	ds_load_b128 v[2:5], v1 offset:1200
	scratch_load_b128 v[26:29], off, off offset:368
	v_add_f64_e32 v[173:174], v[173:174], v[183:184]
	v_add_f64_e32 v[175:176], v[175:176], v[179:180]
	v_fma_f64 v[177:178], v[8:9], v[30:31], v[177:178]
	v_fma_f64 v[183:184], v[6:7], v[30:31], -v[32:33]
	ds_load_b128 v[6:9], v1 offset:1216
	s_wait_loadcnt_dscnt 0x801
	v_mul_f64_e32 v[179:180], v[2:3], v[36:37]
	v_mul_f64_e32 v[36:37], v[4:5], v[36:37]
	scratch_load_b128 v[30:33], off, off offset:384
	v_add_f64_e32 v[173:174], v[173:174], v[185:186]
	v_add_f64_e32 v[175:176], v[175:176], v[181:182]
	s_wait_loadcnt_dscnt 0x800
	v_mul_f64_e32 v[181:182], v[6:7], v[171:172]
	v_mul_f64_e32 v[171:172], v[8:9], v[171:172]
	v_fma_f64 v[179:180], v[4:5], v[34:35], v[179:180]
	v_fma_f64 v[185:186], v[2:3], v[34:35], -v[36:37]
	ds_load_b128 v[2:5], v1 offset:1232
	scratch_load_b128 v[34:37], off, off offset:400
	v_add_f64_e32 v[173:174], v[173:174], v[183:184]
	v_add_f64_e32 v[175:176], v[175:176], v[177:178]
	v_fma_f64 v[181:182], v[8:9], v[169:170], v[181:182]
	v_fma_f64 v[183:184], v[6:7], v[169:170], -v[171:172]
	ds_load_b128 v[6:9], v1 offset:1248
	scratch_load_b128 v[169:172], off, off offset:416
	s_wait_loadcnt_dscnt 0x901
	v_mul_f64_e32 v[177:178], v[2:3], v[40:41]
	v_mul_f64_e32 v[40:41], v[4:5], v[40:41]
	v_add_f64_e32 v[173:174], v[173:174], v[185:186]
	v_add_f64_e32 v[175:176], v[175:176], v[179:180]
	s_wait_loadcnt_dscnt 0x800
	v_mul_f64_e32 v[179:180], v[6:7], v[167:168]
	v_mul_f64_e32 v[167:168], v[8:9], v[167:168]
	v_fma_f64 v[177:178], v[4:5], v[38:39], v[177:178]
	v_fma_f64 v[185:186], v[2:3], v[38:39], -v[40:41]
	ds_load_b128 v[2:5], v1 offset:1264
	scratch_load_b128 v[38:41], off, off offset:432
	v_add_f64_e32 v[173:174], v[173:174], v[183:184]
	v_add_f64_e32 v[175:176], v[175:176], v[181:182]
	v_fma_f64 v[179:180], v[8:9], v[165:166], v[179:180]
	v_fma_f64 v[183:184], v[6:7], v[165:166], -v[167:168]
	ds_load_b128 v[6:9], v1 offset:1280
	s_wait_loadcnt_dscnt 0x801
	v_mul_f64_e32 v[181:182], v[2:3], v[12:13]
	v_mul_f64_e32 v[12:13], v[4:5], v[12:13]
	scratch_load_b128 v[165:168], off, off offset:448
	v_add_f64_e32 v[173:174], v[173:174], v[185:186]
	v_add_f64_e32 v[175:176], v[175:176], v[177:178]
	s_wait_loadcnt_dscnt 0x800
	v_mul_f64_e32 v[177:178], v[6:7], v[16:17]
	v_mul_f64_e32 v[16:17], v[8:9], v[16:17]
	v_fma_f64 v[181:182], v[4:5], v[10:11], v[181:182]
	v_fma_f64 v[185:186], v[2:3], v[10:11], -v[12:13]
	ds_load_b128 v[2:5], v1 offset:1296
	scratch_load_b128 v[10:13], off, off offset:464
	v_add_f64_e32 v[173:174], v[173:174], v[183:184]
	v_add_f64_e32 v[175:176], v[175:176], v[179:180]
	v_fma_f64 v[177:178], v[8:9], v[14:15], v[177:178]
	v_fma_f64 v[183:184], v[6:7], v[14:15], -v[16:17]
	ds_load_b128 v[6:9], v1 offset:1312
	s_wait_loadcnt_dscnt 0x801
	v_mul_f64_e32 v[179:180], v[2:3], v[20:21]
	v_mul_f64_e32 v[20:21], v[4:5], v[20:21]
	scratch_load_b128 v[14:17], off, off offset:480
	;; [unrolled: 18-line block ×17, first 2 shown]
	v_add_f64_e32 v[173:174], v[173:174], v[185:186]
	v_add_f64_e32 v[175:176], v[175:176], v[181:182]
	s_wait_loadcnt_dscnt 0x800
	v_mul_f64_e32 v[181:182], v[6:7], v[24:25]
	v_mul_f64_e32 v[24:25], v[8:9], v[24:25]
	v_fma_f64 v[179:180], v[4:5], v[18:19], v[179:180]
	v_fma_f64 v[185:186], v[2:3], v[18:19], -v[20:21]
	ds_load_b128 v[2:5], v1 offset:1808
	scratch_load_b128 v[18:21], off, off offset:976
	v_add_f64_e32 v[173:174], v[173:174], v[183:184]
	v_add_f64_e32 v[175:176], v[175:176], v[177:178]
	v_fma_f64 v[181:182], v[8:9], v[22:23], v[181:182]
	v_fma_f64 v[22:23], v[6:7], v[22:23], -v[24:25]
	ds_load_b128 v[6:9], v1 offset:1824
	s_wait_loadcnt_dscnt 0x801
	v_mul_f64_e32 v[177:178], v[2:3], v[28:29]
	v_mul_f64_e32 v[28:29], v[4:5], v[28:29]
	v_add_f64_e32 v[24:25], v[173:174], v[185:186]
	v_add_f64_e32 v[173:174], v[175:176], v[179:180]
	s_wait_loadcnt_dscnt 0x700
	v_mul_f64_e32 v[175:176], v[6:7], v[32:33]
	v_mul_f64_e32 v[32:33], v[8:9], v[32:33]
	v_fma_f64 v[177:178], v[4:5], v[26:27], v[177:178]
	v_fma_f64 v[26:27], v[2:3], v[26:27], -v[28:29]
	ds_load_b128 v[2:5], v1 offset:1840
	v_add_f64_e32 v[22:23], v[24:25], v[22:23]
	v_add_f64_e32 v[24:25], v[173:174], v[181:182]
	v_fma_f64 v[173:174], v[8:9], v[30:31], v[175:176]
	v_fma_f64 v[30:31], v[6:7], v[30:31], -v[32:33]
	ds_load_b128 v[6:9], v1 offset:1856
	s_wait_loadcnt_dscnt 0x500
	v_mul_f64_e32 v[175:176], v[6:7], v[171:172]
	v_mul_f64_e32 v[171:172], v[8:9], v[171:172]
	v_add_f64_e32 v[26:27], v[22:23], v[26:27]
	v_add_f64_e32 v[32:33], v[24:25], v[177:178]
	scratch_load_b128 v[22:25], off, off offset:96
	v_mul_f64_e32 v[28:29], v[2:3], v[36:37]
	v_mul_f64_e32 v[36:37], v[4:5], v[36:37]
	v_add_f64_e32 v[26:27], v[26:27], v[30:31]
	v_add_f64_e32 v[30:31], v[32:33], v[173:174]
	s_delay_alu instid0(VALU_DEP_4) | instskip(NEXT) | instid1(VALU_DEP_4)
	v_fma_f64 v[28:29], v[4:5], v[34:35], v[28:29]
	v_fma_f64 v[34:35], v[2:3], v[34:35], -v[36:37]
	ds_load_b128 v[2:5], v1 offset:1872
	s_wait_loadcnt_dscnt 0x500
	v_mul_f64_e32 v[32:33], v[2:3], v[40:41]
	v_mul_f64_e32 v[36:37], v[4:5], v[40:41]
	v_fma_f64 v[40:41], v[8:9], v[169:170], v[175:176]
	v_fma_f64 v[169:170], v[6:7], v[169:170], -v[171:172]
	ds_load_b128 v[6:9], v1 offset:1888
	v_add_f64_e32 v[28:29], v[30:31], v[28:29]
	v_add_f64_e32 v[26:27], v[26:27], v[34:35]
	v_fma_f64 v[32:33], v[4:5], v[38:39], v[32:33]
	v_fma_f64 v[36:37], v[2:3], v[38:39], -v[36:37]
	ds_load_b128 v[2:5], v1 offset:1904
	s_wait_loadcnt_dscnt 0x401
	v_mul_f64_e32 v[30:31], v[6:7], v[167:168]
	v_mul_f64_e32 v[34:35], v[8:9], v[167:168]
	v_add_f64_e32 v[28:29], v[28:29], v[40:41]
	v_add_f64_e32 v[26:27], v[26:27], v[169:170]
	s_wait_loadcnt_dscnt 0x300
	v_mul_f64_e32 v[38:39], v[2:3], v[12:13]
	v_mul_f64_e32 v[12:13], v[4:5], v[12:13]
	v_fma_f64 v[30:31], v[8:9], v[165:166], v[30:31]
	v_fma_f64 v[34:35], v[6:7], v[165:166], -v[34:35]
	ds_load_b128 v[6:9], v1 offset:1920
	v_add_f64_e32 v[28:29], v[28:29], v[32:33]
	v_add_f64_e32 v[26:27], v[26:27], v[36:37]
	v_fma_f64 v[36:37], v[4:5], v[10:11], v[38:39]
	v_fma_f64 v[10:11], v[2:3], v[10:11], -v[12:13]
	ds_load_b128 v[2:5], v1 offset:1936
	s_wait_loadcnt_dscnt 0x201
	v_mul_f64_e32 v[32:33], v[6:7], v[16:17]
	v_mul_f64_e32 v[16:17], v[8:9], v[16:17]
	v_add_f64_e32 v[12:13], v[26:27], v[34:35]
	v_add_f64_e32 v[26:27], v[28:29], v[30:31]
	s_wait_loadcnt_dscnt 0x100
	v_mul_f64_e32 v[28:29], v[2:3], v[20:21]
	v_mul_f64_e32 v[20:21], v[4:5], v[20:21]
	v_fma_f64 v[8:9], v[8:9], v[14:15], v[32:33]
	v_fma_f64 v[6:7], v[6:7], v[14:15], -v[16:17]
	v_add_f64_e32 v[10:11], v[12:13], v[10:11]
	v_add_f64_e32 v[12:13], v[26:27], v[36:37]
	v_fma_f64 v[4:5], v[4:5], v[18:19], v[28:29]
	v_fma_f64 v[2:3], v[2:3], v[18:19], -v[20:21]
	s_delay_alu instid0(VALU_DEP_4) | instskip(NEXT) | instid1(VALU_DEP_4)
	v_add_f64_e32 v[6:7], v[10:11], v[6:7]
	v_add_f64_e32 v[8:9], v[12:13], v[8:9]
	s_delay_alu instid0(VALU_DEP_2) | instskip(NEXT) | instid1(VALU_DEP_2)
	v_add_f64_e32 v[2:3], v[6:7], v[2:3]
	v_add_f64_e32 v[4:5], v[8:9], v[4:5]
	s_wait_loadcnt 0x0
	s_delay_alu instid0(VALU_DEP_2) | instskip(NEXT) | instid1(VALU_DEP_2)
	v_add_f64_e64 v[2:3], v[22:23], -v[2:3]
	v_add_f64_e64 v[4:5], v[24:25], -v[4:5]
	scratch_store_b128 off, v[2:5], off offset:96
	v_cmpx_lt_u32_e32 4, v0
	s_cbranch_execz .LBB60_383
; %bb.382:
	scratch_load_b128 v[5:8], off, s51
	v_dual_mov_b32 v2, v1 :: v_dual_mov_b32 v3, v1
	v_mov_b32_e32 v4, v1
	scratch_store_b128 off, v[1:4], off offset:80
	s_wait_loadcnt 0x0
	ds_store_b128 v164, v[5:8]
.LBB60_383:
	s_wait_alu 0xfffe
	s_or_b32 exec_lo, exec_lo, s0
	s_wait_storecnt_dscnt 0x0
	s_barrier_signal -1
	s_barrier_wait -1
	global_inv scope:SCOPE_SE
	s_clause 0x7
	scratch_load_b128 v[2:5], off, off offset:96
	scratch_load_b128 v[6:9], off, off offset:112
	;; [unrolled: 1-line block ×8, first 2 shown]
	ds_load_b128 v[38:41], v1 offset:1056
	ds_load_b128 v[165:168], v1 offset:1072
	s_clause 0x1
	scratch_load_b128 v[34:37], off, off offset:224
	scratch_load_b128 v[169:172], off, off offset:240
	s_mov_b32 s0, exec_lo
	s_wait_loadcnt_dscnt 0x901
	v_mul_f64_e32 v[173:174], v[40:41], v[4:5]
	v_mul_f64_e32 v[4:5], v[38:39], v[4:5]
	s_wait_loadcnt_dscnt 0x800
	v_mul_f64_e32 v[175:176], v[165:166], v[8:9]
	v_mul_f64_e32 v[8:9], v[167:168], v[8:9]
	s_delay_alu instid0(VALU_DEP_4) | instskip(NEXT) | instid1(VALU_DEP_4)
	v_fma_f64 v[173:174], v[38:39], v[2:3], -v[173:174]
	v_fma_f64 v[177:178], v[40:41], v[2:3], v[4:5]
	ds_load_b128 v[2:5], v1 offset:1088
	scratch_load_b128 v[38:41], off, off offset:256
	v_fma_f64 v[175:176], v[167:168], v[6:7], v[175:176]
	v_fma_f64 v[181:182], v[165:166], v[6:7], -v[8:9]
	ds_load_b128 v[6:9], v1 offset:1104
	scratch_load_b128 v[165:168], off, off offset:272
	s_wait_loadcnt_dscnt 0x901
	v_mul_f64_e32 v[179:180], v[2:3], v[12:13]
	v_mul_f64_e32 v[12:13], v[4:5], v[12:13]
	s_wait_loadcnt_dscnt 0x800
	v_mul_f64_e32 v[183:184], v[6:7], v[16:17]
	v_mul_f64_e32 v[16:17], v[8:9], v[16:17]
	v_add_f64_e32 v[173:174], 0, v[173:174]
	v_add_f64_e32 v[177:178], 0, v[177:178]
	v_fma_f64 v[179:180], v[4:5], v[10:11], v[179:180]
	v_fma_f64 v[185:186], v[2:3], v[10:11], -v[12:13]
	ds_load_b128 v[2:5], v1 offset:1120
	scratch_load_b128 v[10:13], off, off offset:288
	v_add_f64_e32 v[173:174], v[173:174], v[181:182]
	v_add_f64_e32 v[175:176], v[177:178], v[175:176]
	v_fma_f64 v[181:182], v[8:9], v[14:15], v[183:184]
	v_fma_f64 v[183:184], v[6:7], v[14:15], -v[16:17]
	ds_load_b128 v[6:9], v1 offset:1136
	scratch_load_b128 v[14:17], off, off offset:304
	s_wait_loadcnt_dscnt 0x901
	v_mul_f64_e32 v[177:178], v[2:3], v[20:21]
	v_mul_f64_e32 v[20:21], v[4:5], v[20:21]
	v_add_f64_e32 v[173:174], v[173:174], v[185:186]
	v_add_f64_e32 v[175:176], v[175:176], v[179:180]
	s_wait_loadcnt_dscnt 0x800
	v_mul_f64_e32 v[179:180], v[6:7], v[24:25]
	v_mul_f64_e32 v[24:25], v[8:9], v[24:25]
	v_fma_f64 v[177:178], v[4:5], v[18:19], v[177:178]
	v_fma_f64 v[185:186], v[2:3], v[18:19], -v[20:21]
	ds_load_b128 v[2:5], v1 offset:1152
	scratch_load_b128 v[18:21], off, off offset:320
	v_add_f64_e32 v[173:174], v[173:174], v[183:184]
	v_add_f64_e32 v[175:176], v[175:176], v[181:182]
	v_fma_f64 v[179:180], v[8:9], v[22:23], v[179:180]
	v_fma_f64 v[183:184], v[6:7], v[22:23], -v[24:25]
	ds_load_b128 v[6:9], v1 offset:1168
	s_wait_loadcnt_dscnt 0x801
	v_mul_f64_e32 v[181:182], v[2:3], v[28:29]
	v_mul_f64_e32 v[28:29], v[4:5], v[28:29]
	scratch_load_b128 v[22:25], off, off offset:336
	v_add_f64_e32 v[173:174], v[173:174], v[185:186]
	v_add_f64_e32 v[175:176], v[175:176], v[177:178]
	s_wait_loadcnt_dscnt 0x800
	v_mul_f64_e32 v[177:178], v[6:7], v[32:33]
	v_mul_f64_e32 v[32:33], v[8:9], v[32:33]
	v_fma_f64 v[181:182], v[4:5], v[26:27], v[181:182]
	v_fma_f64 v[185:186], v[2:3], v[26:27], -v[28:29]
	ds_load_b128 v[2:5], v1 offset:1184
	scratch_load_b128 v[26:29], off, off offset:352
	v_add_f64_e32 v[173:174], v[173:174], v[183:184]
	v_add_f64_e32 v[175:176], v[175:176], v[179:180]
	v_fma_f64 v[177:178], v[8:9], v[30:31], v[177:178]
	v_fma_f64 v[183:184], v[6:7], v[30:31], -v[32:33]
	ds_load_b128 v[6:9], v1 offset:1200
	s_wait_loadcnt_dscnt 0x801
	v_mul_f64_e32 v[179:180], v[2:3], v[36:37]
	v_mul_f64_e32 v[36:37], v[4:5], v[36:37]
	scratch_load_b128 v[30:33], off, off offset:368
	v_add_f64_e32 v[173:174], v[173:174], v[185:186]
	v_add_f64_e32 v[175:176], v[175:176], v[181:182]
	s_wait_loadcnt_dscnt 0x800
	v_mul_f64_e32 v[181:182], v[6:7], v[171:172]
	v_mul_f64_e32 v[171:172], v[8:9], v[171:172]
	v_fma_f64 v[179:180], v[4:5], v[34:35], v[179:180]
	v_fma_f64 v[185:186], v[2:3], v[34:35], -v[36:37]
	ds_load_b128 v[2:5], v1 offset:1216
	scratch_load_b128 v[34:37], off, off offset:384
	v_add_f64_e32 v[173:174], v[173:174], v[183:184]
	v_add_f64_e32 v[175:176], v[175:176], v[177:178]
	v_fma_f64 v[181:182], v[8:9], v[169:170], v[181:182]
	v_fma_f64 v[183:184], v[6:7], v[169:170], -v[171:172]
	ds_load_b128 v[6:9], v1 offset:1232
	scratch_load_b128 v[169:172], off, off offset:400
	s_wait_loadcnt_dscnt 0x901
	v_mul_f64_e32 v[177:178], v[2:3], v[40:41]
	v_mul_f64_e32 v[40:41], v[4:5], v[40:41]
	v_add_f64_e32 v[173:174], v[173:174], v[185:186]
	v_add_f64_e32 v[175:176], v[175:176], v[179:180]
	s_wait_loadcnt_dscnt 0x800
	v_mul_f64_e32 v[179:180], v[6:7], v[167:168]
	v_mul_f64_e32 v[167:168], v[8:9], v[167:168]
	v_fma_f64 v[177:178], v[4:5], v[38:39], v[177:178]
	v_fma_f64 v[185:186], v[2:3], v[38:39], -v[40:41]
	ds_load_b128 v[2:5], v1 offset:1248
	scratch_load_b128 v[38:41], off, off offset:416
	v_add_f64_e32 v[173:174], v[173:174], v[183:184]
	v_add_f64_e32 v[175:176], v[175:176], v[181:182]
	v_fma_f64 v[179:180], v[8:9], v[165:166], v[179:180]
	v_fma_f64 v[183:184], v[6:7], v[165:166], -v[167:168]
	ds_load_b128 v[6:9], v1 offset:1264
	s_wait_loadcnt_dscnt 0x801
	v_mul_f64_e32 v[181:182], v[2:3], v[12:13]
	v_mul_f64_e32 v[12:13], v[4:5], v[12:13]
	scratch_load_b128 v[165:168], off, off offset:432
	v_add_f64_e32 v[173:174], v[173:174], v[185:186]
	v_add_f64_e32 v[175:176], v[175:176], v[177:178]
	s_wait_loadcnt_dscnt 0x800
	v_mul_f64_e32 v[177:178], v[6:7], v[16:17]
	v_mul_f64_e32 v[16:17], v[8:9], v[16:17]
	v_fma_f64 v[181:182], v[4:5], v[10:11], v[181:182]
	v_fma_f64 v[185:186], v[2:3], v[10:11], -v[12:13]
	ds_load_b128 v[2:5], v1 offset:1280
	scratch_load_b128 v[10:13], off, off offset:448
	v_add_f64_e32 v[173:174], v[173:174], v[183:184]
	v_add_f64_e32 v[175:176], v[175:176], v[179:180]
	v_fma_f64 v[177:178], v[8:9], v[14:15], v[177:178]
	v_fma_f64 v[183:184], v[6:7], v[14:15], -v[16:17]
	ds_load_b128 v[6:9], v1 offset:1296
	s_wait_loadcnt_dscnt 0x801
	v_mul_f64_e32 v[179:180], v[2:3], v[20:21]
	v_mul_f64_e32 v[20:21], v[4:5], v[20:21]
	scratch_load_b128 v[14:17], off, off offset:464
	;; [unrolled: 18-line block ×18, first 2 shown]
	v_add_f64_e32 v[173:174], v[173:174], v[185:186]
	v_add_f64_e32 v[175:176], v[175:176], v[179:180]
	s_wait_loadcnt_dscnt 0x800
	v_mul_f64_e32 v[179:180], v[6:7], v[32:33]
	v_mul_f64_e32 v[32:33], v[8:9], v[32:33]
	v_fma_f64 v[177:178], v[4:5], v[26:27], v[177:178]
	v_fma_f64 v[26:27], v[2:3], v[26:27], -v[28:29]
	ds_load_b128 v[2:5], v1 offset:1824
	v_add_f64_e32 v[28:29], v[173:174], v[183:184]
	v_add_f64_e32 v[173:174], v[175:176], v[181:182]
	v_fma_f64 v[179:180], v[8:9], v[30:31], v[179:180]
	v_fma_f64 v[30:31], v[6:7], v[30:31], -v[32:33]
	ds_load_b128 v[6:9], v1 offset:1840
	s_wait_loadcnt_dscnt 0x701
	v_mul_f64_e32 v[175:176], v[2:3], v[36:37]
	v_mul_f64_e32 v[36:37], v[4:5], v[36:37]
	v_add_f64_e32 v[26:27], v[28:29], v[26:27]
	v_add_f64_e32 v[28:29], v[173:174], v[177:178]
	s_delay_alu instid0(VALU_DEP_4) | instskip(NEXT) | instid1(VALU_DEP_4)
	v_fma_f64 v[173:174], v[4:5], v[34:35], v[175:176]
	v_fma_f64 v[34:35], v[2:3], v[34:35], -v[36:37]
	ds_load_b128 v[2:5], v1 offset:1856
	v_add_f64_e32 v[30:31], v[26:27], v[30:31]
	v_add_f64_e32 v[36:37], v[28:29], v[179:180]
	scratch_load_b128 v[26:29], off, off offset:80
	s_wait_loadcnt_dscnt 0x701
	v_mul_f64_e32 v[32:33], v[6:7], v[171:172]
	v_mul_f64_e32 v[171:172], v[8:9], v[171:172]
	v_add_f64_e32 v[30:31], v[30:31], v[34:35]
	v_add_f64_e32 v[34:35], v[36:37], v[173:174]
	s_delay_alu instid0(VALU_DEP_4) | instskip(NEXT) | instid1(VALU_DEP_4)
	v_fma_f64 v[32:33], v[8:9], v[169:170], v[32:33]
	v_fma_f64 v[169:170], v[6:7], v[169:170], -v[171:172]
	ds_load_b128 v[6:9], v1 offset:1872
	s_wait_loadcnt_dscnt 0x601
	v_mul_f64_e32 v[175:176], v[2:3], v[40:41]
	v_mul_f64_e32 v[40:41], v[4:5], v[40:41]
	s_wait_loadcnt_dscnt 0x500
	v_mul_f64_e32 v[36:37], v[6:7], v[167:168]
	v_mul_f64_e32 v[167:168], v[8:9], v[167:168]
	v_add_f64_e32 v[32:33], v[34:35], v[32:33]
	v_add_f64_e32 v[30:31], v[30:31], v[169:170]
	v_fma_f64 v[171:172], v[4:5], v[38:39], v[175:176]
	v_fma_f64 v[38:39], v[2:3], v[38:39], -v[40:41]
	ds_load_b128 v[2:5], v1 offset:1888
	v_fma_f64 v[36:37], v[8:9], v[165:166], v[36:37]
	v_fma_f64 v[40:41], v[6:7], v[165:166], -v[167:168]
	ds_load_b128 v[6:9], v1 offset:1904
	s_wait_loadcnt_dscnt 0x401
	v_mul_f64_e32 v[34:35], v[2:3], v[12:13]
	v_mul_f64_e32 v[12:13], v[4:5], v[12:13]
	v_add_f64_e32 v[32:33], v[32:33], v[171:172]
	v_add_f64_e32 v[30:31], v[30:31], v[38:39]
	s_wait_loadcnt_dscnt 0x300
	v_mul_f64_e32 v[38:39], v[6:7], v[16:17]
	v_mul_f64_e32 v[16:17], v[8:9], v[16:17]
	v_fma_f64 v[34:35], v[4:5], v[10:11], v[34:35]
	v_fma_f64 v[10:11], v[2:3], v[10:11], -v[12:13]
	ds_load_b128 v[2:5], v1 offset:1920
	v_add_f64_e32 v[12:13], v[30:31], v[40:41]
	v_add_f64_e32 v[30:31], v[32:33], v[36:37]
	v_fma_f64 v[36:37], v[8:9], v[14:15], v[38:39]
	v_fma_f64 v[14:15], v[6:7], v[14:15], -v[16:17]
	ds_load_b128 v[6:9], v1 offset:1936
	s_wait_loadcnt_dscnt 0x201
	v_mul_f64_e32 v[32:33], v[2:3], v[20:21]
	v_mul_f64_e32 v[20:21], v[4:5], v[20:21]
	s_wait_loadcnt_dscnt 0x100
	v_mul_f64_e32 v[16:17], v[6:7], v[24:25]
	v_mul_f64_e32 v[24:25], v[8:9], v[24:25]
	v_add_f64_e32 v[10:11], v[12:13], v[10:11]
	v_add_f64_e32 v[12:13], v[30:31], v[34:35]
	v_fma_f64 v[4:5], v[4:5], v[18:19], v[32:33]
	v_fma_f64 v[1:2], v[2:3], v[18:19], -v[20:21]
	v_fma_f64 v[8:9], v[8:9], v[22:23], v[16:17]
	v_fma_f64 v[6:7], v[6:7], v[22:23], -v[24:25]
	v_add_f64_e32 v[10:11], v[10:11], v[14:15]
	v_add_f64_e32 v[12:13], v[12:13], v[36:37]
	s_delay_alu instid0(VALU_DEP_2) | instskip(NEXT) | instid1(VALU_DEP_2)
	v_add_f64_e32 v[1:2], v[10:11], v[1:2]
	v_add_f64_e32 v[3:4], v[12:13], v[4:5]
	s_delay_alu instid0(VALU_DEP_2) | instskip(NEXT) | instid1(VALU_DEP_2)
	v_add_f64_e32 v[1:2], v[1:2], v[6:7]
	v_add_f64_e32 v[3:4], v[3:4], v[8:9]
	s_wait_loadcnt 0x0
	s_delay_alu instid0(VALU_DEP_2) | instskip(NEXT) | instid1(VALU_DEP_2)
	v_add_f64_e64 v[1:2], v[26:27], -v[1:2]
	v_add_f64_e64 v[3:4], v[28:29], -v[3:4]
	scratch_store_b128 off, v[1:4], off offset:80
	v_cmpx_lt_u32_e32 3, v0
	s_cbranch_execz .LBB60_385
; %bb.384:
	scratch_load_b128 v[1:4], off, s52
	v_mov_b32_e32 v5, 0
	s_delay_alu instid0(VALU_DEP_1)
	v_dual_mov_b32 v6, v5 :: v_dual_mov_b32 v7, v5
	v_mov_b32_e32 v8, v5
	scratch_store_b128 off, v[5:8], off offset:64
	s_wait_loadcnt 0x0
	ds_store_b128 v164, v[1:4]
.LBB60_385:
	s_wait_alu 0xfffe
	s_or_b32 exec_lo, exec_lo, s0
	s_wait_storecnt_dscnt 0x0
	s_barrier_signal -1
	s_barrier_wait -1
	global_inv scope:SCOPE_SE
	s_clause 0x7
	scratch_load_b128 v[2:5], off, off offset:80
	scratch_load_b128 v[6:9], off, off offset:96
	;; [unrolled: 1-line block ×8, first 2 shown]
	v_mov_b32_e32 v1, 0
	s_clause 0x1
	scratch_load_b128 v[34:37], off, off offset:208
	scratch_load_b128 v[169:172], off, off offset:224
	s_mov_b32 s0, exec_lo
	ds_load_b128 v[38:41], v1 offset:1040
	ds_load_b128 v[165:168], v1 offset:1056
	s_wait_loadcnt_dscnt 0x901
	v_mul_f64_e32 v[173:174], v[40:41], v[4:5]
	v_mul_f64_e32 v[4:5], v[38:39], v[4:5]
	s_wait_loadcnt_dscnt 0x800
	v_mul_f64_e32 v[175:176], v[165:166], v[8:9]
	v_mul_f64_e32 v[8:9], v[167:168], v[8:9]
	s_delay_alu instid0(VALU_DEP_4) | instskip(NEXT) | instid1(VALU_DEP_4)
	v_fma_f64 v[173:174], v[38:39], v[2:3], -v[173:174]
	v_fma_f64 v[177:178], v[40:41], v[2:3], v[4:5]
	ds_load_b128 v[2:5], v1 offset:1072
	scratch_load_b128 v[38:41], off, off offset:240
	v_fma_f64 v[175:176], v[167:168], v[6:7], v[175:176]
	v_fma_f64 v[181:182], v[165:166], v[6:7], -v[8:9]
	ds_load_b128 v[6:9], v1 offset:1088
	scratch_load_b128 v[165:168], off, off offset:256
	s_wait_loadcnt_dscnt 0x901
	v_mul_f64_e32 v[179:180], v[2:3], v[12:13]
	v_mul_f64_e32 v[12:13], v[4:5], v[12:13]
	s_wait_loadcnt_dscnt 0x800
	v_mul_f64_e32 v[183:184], v[6:7], v[16:17]
	v_mul_f64_e32 v[16:17], v[8:9], v[16:17]
	v_add_f64_e32 v[173:174], 0, v[173:174]
	v_add_f64_e32 v[177:178], 0, v[177:178]
	v_fma_f64 v[179:180], v[4:5], v[10:11], v[179:180]
	v_fma_f64 v[185:186], v[2:3], v[10:11], -v[12:13]
	ds_load_b128 v[2:5], v1 offset:1104
	scratch_load_b128 v[10:13], off, off offset:272
	v_add_f64_e32 v[173:174], v[173:174], v[181:182]
	v_add_f64_e32 v[175:176], v[177:178], v[175:176]
	v_fma_f64 v[181:182], v[8:9], v[14:15], v[183:184]
	v_fma_f64 v[183:184], v[6:7], v[14:15], -v[16:17]
	ds_load_b128 v[6:9], v1 offset:1120
	scratch_load_b128 v[14:17], off, off offset:288
	s_wait_loadcnt_dscnt 0x901
	v_mul_f64_e32 v[177:178], v[2:3], v[20:21]
	v_mul_f64_e32 v[20:21], v[4:5], v[20:21]
	v_add_f64_e32 v[173:174], v[173:174], v[185:186]
	v_add_f64_e32 v[175:176], v[175:176], v[179:180]
	s_wait_loadcnt_dscnt 0x800
	v_mul_f64_e32 v[179:180], v[6:7], v[24:25]
	v_mul_f64_e32 v[24:25], v[8:9], v[24:25]
	v_fma_f64 v[177:178], v[4:5], v[18:19], v[177:178]
	v_fma_f64 v[185:186], v[2:3], v[18:19], -v[20:21]
	ds_load_b128 v[2:5], v1 offset:1136
	scratch_load_b128 v[18:21], off, off offset:304
	v_add_f64_e32 v[173:174], v[173:174], v[183:184]
	v_add_f64_e32 v[175:176], v[175:176], v[181:182]
	v_fma_f64 v[179:180], v[8:9], v[22:23], v[179:180]
	v_fma_f64 v[183:184], v[6:7], v[22:23], -v[24:25]
	ds_load_b128 v[6:9], v1 offset:1152
	s_wait_loadcnt_dscnt 0x801
	v_mul_f64_e32 v[181:182], v[2:3], v[28:29]
	v_mul_f64_e32 v[28:29], v[4:5], v[28:29]
	scratch_load_b128 v[22:25], off, off offset:320
	v_add_f64_e32 v[173:174], v[173:174], v[185:186]
	v_add_f64_e32 v[175:176], v[175:176], v[177:178]
	s_wait_loadcnt_dscnt 0x800
	v_mul_f64_e32 v[177:178], v[6:7], v[32:33]
	v_mul_f64_e32 v[32:33], v[8:9], v[32:33]
	v_fma_f64 v[181:182], v[4:5], v[26:27], v[181:182]
	v_fma_f64 v[185:186], v[2:3], v[26:27], -v[28:29]
	ds_load_b128 v[2:5], v1 offset:1168
	scratch_load_b128 v[26:29], off, off offset:336
	v_add_f64_e32 v[173:174], v[173:174], v[183:184]
	v_add_f64_e32 v[175:176], v[175:176], v[179:180]
	v_fma_f64 v[177:178], v[8:9], v[30:31], v[177:178]
	v_fma_f64 v[183:184], v[6:7], v[30:31], -v[32:33]
	ds_load_b128 v[6:9], v1 offset:1184
	s_wait_loadcnt_dscnt 0x801
	v_mul_f64_e32 v[179:180], v[2:3], v[36:37]
	v_mul_f64_e32 v[36:37], v[4:5], v[36:37]
	scratch_load_b128 v[30:33], off, off offset:352
	v_add_f64_e32 v[173:174], v[173:174], v[185:186]
	v_add_f64_e32 v[175:176], v[175:176], v[181:182]
	s_wait_loadcnt_dscnt 0x800
	v_mul_f64_e32 v[181:182], v[6:7], v[171:172]
	v_mul_f64_e32 v[171:172], v[8:9], v[171:172]
	v_fma_f64 v[179:180], v[4:5], v[34:35], v[179:180]
	v_fma_f64 v[185:186], v[2:3], v[34:35], -v[36:37]
	ds_load_b128 v[2:5], v1 offset:1200
	scratch_load_b128 v[34:37], off, off offset:368
	v_add_f64_e32 v[173:174], v[173:174], v[183:184]
	v_add_f64_e32 v[175:176], v[175:176], v[177:178]
	v_fma_f64 v[181:182], v[8:9], v[169:170], v[181:182]
	v_fma_f64 v[183:184], v[6:7], v[169:170], -v[171:172]
	ds_load_b128 v[6:9], v1 offset:1216
	scratch_load_b128 v[169:172], off, off offset:384
	s_wait_loadcnt_dscnt 0x901
	v_mul_f64_e32 v[177:178], v[2:3], v[40:41]
	v_mul_f64_e32 v[40:41], v[4:5], v[40:41]
	v_add_f64_e32 v[173:174], v[173:174], v[185:186]
	v_add_f64_e32 v[175:176], v[175:176], v[179:180]
	s_wait_loadcnt_dscnt 0x800
	v_mul_f64_e32 v[179:180], v[6:7], v[167:168]
	v_mul_f64_e32 v[167:168], v[8:9], v[167:168]
	v_fma_f64 v[177:178], v[4:5], v[38:39], v[177:178]
	v_fma_f64 v[185:186], v[2:3], v[38:39], -v[40:41]
	ds_load_b128 v[2:5], v1 offset:1232
	scratch_load_b128 v[38:41], off, off offset:400
	v_add_f64_e32 v[173:174], v[173:174], v[183:184]
	v_add_f64_e32 v[175:176], v[175:176], v[181:182]
	v_fma_f64 v[179:180], v[8:9], v[165:166], v[179:180]
	v_fma_f64 v[183:184], v[6:7], v[165:166], -v[167:168]
	ds_load_b128 v[6:9], v1 offset:1248
	s_wait_loadcnt_dscnt 0x801
	v_mul_f64_e32 v[181:182], v[2:3], v[12:13]
	v_mul_f64_e32 v[12:13], v[4:5], v[12:13]
	scratch_load_b128 v[165:168], off, off offset:416
	v_add_f64_e32 v[173:174], v[173:174], v[185:186]
	v_add_f64_e32 v[175:176], v[175:176], v[177:178]
	s_wait_loadcnt_dscnt 0x800
	v_mul_f64_e32 v[177:178], v[6:7], v[16:17]
	v_mul_f64_e32 v[16:17], v[8:9], v[16:17]
	v_fma_f64 v[181:182], v[4:5], v[10:11], v[181:182]
	v_fma_f64 v[185:186], v[2:3], v[10:11], -v[12:13]
	ds_load_b128 v[2:5], v1 offset:1264
	scratch_load_b128 v[10:13], off, off offset:432
	v_add_f64_e32 v[173:174], v[173:174], v[183:184]
	v_add_f64_e32 v[175:176], v[175:176], v[179:180]
	v_fma_f64 v[177:178], v[8:9], v[14:15], v[177:178]
	v_fma_f64 v[183:184], v[6:7], v[14:15], -v[16:17]
	ds_load_b128 v[6:9], v1 offset:1280
	s_wait_loadcnt_dscnt 0x801
	v_mul_f64_e32 v[179:180], v[2:3], v[20:21]
	v_mul_f64_e32 v[20:21], v[4:5], v[20:21]
	scratch_load_b128 v[14:17], off, off offset:448
	;; [unrolled: 18-line block ×18, first 2 shown]
	v_add_f64_e32 v[173:174], v[173:174], v[185:186]
	v_add_f64_e32 v[175:176], v[175:176], v[179:180]
	s_wait_loadcnt_dscnt 0x800
	v_mul_f64_e32 v[179:180], v[6:7], v[32:33]
	v_mul_f64_e32 v[32:33], v[8:9], v[32:33]
	v_fma_f64 v[177:178], v[4:5], v[26:27], v[177:178]
	v_fma_f64 v[185:186], v[2:3], v[26:27], -v[28:29]
	ds_load_b128 v[2:5], v1 offset:1808
	scratch_load_b128 v[26:29], off, off offset:976
	v_add_f64_e32 v[173:174], v[173:174], v[183:184]
	v_add_f64_e32 v[175:176], v[175:176], v[181:182]
	v_fma_f64 v[179:180], v[8:9], v[30:31], v[179:180]
	v_fma_f64 v[30:31], v[6:7], v[30:31], -v[32:33]
	ds_load_b128 v[6:9], v1 offset:1824
	s_wait_loadcnt_dscnt 0x801
	v_mul_f64_e32 v[181:182], v[2:3], v[36:37]
	v_mul_f64_e32 v[36:37], v[4:5], v[36:37]
	v_add_f64_e32 v[32:33], v[173:174], v[185:186]
	v_add_f64_e32 v[173:174], v[175:176], v[177:178]
	s_wait_loadcnt_dscnt 0x700
	v_mul_f64_e32 v[175:176], v[6:7], v[171:172]
	v_mul_f64_e32 v[171:172], v[8:9], v[171:172]
	v_fma_f64 v[177:178], v[4:5], v[34:35], v[181:182]
	v_fma_f64 v[34:35], v[2:3], v[34:35], -v[36:37]
	ds_load_b128 v[2:5], v1 offset:1840
	v_add_f64_e32 v[30:31], v[32:33], v[30:31]
	v_add_f64_e32 v[32:33], v[173:174], v[179:180]
	v_fma_f64 v[173:174], v[8:9], v[169:170], v[175:176]
	v_fma_f64 v[169:170], v[6:7], v[169:170], -v[171:172]
	ds_load_b128 v[6:9], v1 offset:1856
	s_wait_loadcnt_dscnt 0x500
	v_mul_f64_e32 v[175:176], v[6:7], v[167:168]
	v_mul_f64_e32 v[167:168], v[8:9], v[167:168]
	v_add_f64_e32 v[34:35], v[30:31], v[34:35]
	v_add_f64_e32 v[171:172], v[32:33], v[177:178]
	scratch_load_b128 v[30:33], off, off offset:64
	v_mul_f64_e32 v[36:37], v[2:3], v[40:41]
	v_mul_f64_e32 v[40:41], v[4:5], v[40:41]
	v_add_f64_e32 v[34:35], v[34:35], v[169:170]
	s_delay_alu instid0(VALU_DEP_3) | instskip(NEXT) | instid1(VALU_DEP_3)
	v_fma_f64 v[36:37], v[4:5], v[38:39], v[36:37]
	v_fma_f64 v[38:39], v[2:3], v[38:39], -v[40:41]
	v_add_f64_e32 v[40:41], v[171:172], v[173:174]
	ds_load_b128 v[2:5], v1 offset:1872
	v_fma_f64 v[171:172], v[8:9], v[165:166], v[175:176]
	v_fma_f64 v[165:166], v[6:7], v[165:166], -v[167:168]
	ds_load_b128 v[6:9], v1 offset:1888
	s_wait_loadcnt_dscnt 0x501
	v_mul_f64_e32 v[169:170], v[2:3], v[12:13]
	v_mul_f64_e32 v[12:13], v[4:5], v[12:13]
	v_add_f64_e32 v[34:35], v[34:35], v[38:39]
	v_add_f64_e32 v[36:37], v[40:41], v[36:37]
	s_wait_loadcnt_dscnt 0x400
	v_mul_f64_e32 v[38:39], v[6:7], v[16:17]
	v_mul_f64_e32 v[16:17], v[8:9], v[16:17]
	v_fma_f64 v[40:41], v[4:5], v[10:11], v[169:170]
	v_fma_f64 v[10:11], v[2:3], v[10:11], -v[12:13]
	ds_load_b128 v[2:5], v1 offset:1904
	v_add_f64_e32 v[12:13], v[34:35], v[165:166]
	v_add_f64_e32 v[34:35], v[36:37], v[171:172]
	v_fma_f64 v[38:39], v[8:9], v[14:15], v[38:39]
	v_fma_f64 v[14:15], v[6:7], v[14:15], -v[16:17]
	ds_load_b128 v[6:9], v1 offset:1920
	s_wait_loadcnt_dscnt 0x301
	v_mul_f64_e32 v[36:37], v[2:3], v[20:21]
	v_mul_f64_e32 v[20:21], v[4:5], v[20:21]
	s_wait_loadcnt_dscnt 0x200
	v_mul_f64_e32 v[16:17], v[6:7], v[24:25]
	v_mul_f64_e32 v[24:25], v[8:9], v[24:25]
	v_add_f64_e32 v[10:11], v[12:13], v[10:11]
	v_add_f64_e32 v[12:13], v[34:35], v[40:41]
	v_fma_f64 v[34:35], v[4:5], v[18:19], v[36:37]
	v_fma_f64 v[18:19], v[2:3], v[18:19], -v[20:21]
	ds_load_b128 v[2:5], v1 offset:1936
	v_fma_f64 v[8:9], v[8:9], v[22:23], v[16:17]
	v_fma_f64 v[6:7], v[6:7], v[22:23], -v[24:25]
	s_wait_loadcnt_dscnt 0x100
	v_mul_f64_e32 v[20:21], v[4:5], v[28:29]
	v_add_f64_e32 v[10:11], v[10:11], v[14:15]
	v_add_f64_e32 v[12:13], v[12:13], v[38:39]
	v_mul_f64_e32 v[14:15], v[2:3], v[28:29]
	s_delay_alu instid0(VALU_DEP_4) | instskip(NEXT) | instid1(VALU_DEP_4)
	v_fma_f64 v[2:3], v[2:3], v[26:27], -v[20:21]
	v_add_f64_e32 v[10:11], v[10:11], v[18:19]
	s_delay_alu instid0(VALU_DEP_4) | instskip(NEXT) | instid1(VALU_DEP_4)
	v_add_f64_e32 v[12:13], v[12:13], v[34:35]
	v_fma_f64 v[4:5], v[4:5], v[26:27], v[14:15]
	s_delay_alu instid0(VALU_DEP_3) | instskip(NEXT) | instid1(VALU_DEP_3)
	v_add_f64_e32 v[6:7], v[10:11], v[6:7]
	v_add_f64_e32 v[8:9], v[12:13], v[8:9]
	s_delay_alu instid0(VALU_DEP_2) | instskip(NEXT) | instid1(VALU_DEP_2)
	v_add_f64_e32 v[2:3], v[6:7], v[2:3]
	v_add_f64_e32 v[4:5], v[8:9], v[4:5]
	s_wait_loadcnt 0x0
	s_delay_alu instid0(VALU_DEP_2) | instskip(NEXT) | instid1(VALU_DEP_2)
	v_add_f64_e64 v[2:3], v[30:31], -v[2:3]
	v_add_f64_e64 v[4:5], v[32:33], -v[4:5]
	scratch_store_b128 off, v[2:5], off offset:64
	v_cmpx_lt_u32_e32 2, v0
	s_cbranch_execz .LBB60_387
; %bb.386:
	scratch_load_b128 v[5:8], off, s53
	v_dual_mov_b32 v2, v1 :: v_dual_mov_b32 v3, v1
	v_mov_b32_e32 v4, v1
	scratch_store_b128 off, v[1:4], off offset:48
	s_wait_loadcnt 0x0
	ds_store_b128 v164, v[5:8]
.LBB60_387:
	s_wait_alu 0xfffe
	s_or_b32 exec_lo, exec_lo, s0
	s_wait_storecnt_dscnt 0x0
	s_barrier_signal -1
	s_barrier_wait -1
	global_inv scope:SCOPE_SE
	s_clause 0x7
	scratch_load_b128 v[2:5], off, off offset:64
	scratch_load_b128 v[6:9], off, off offset:80
	;; [unrolled: 1-line block ×8, first 2 shown]
	ds_load_b128 v[38:41], v1 offset:1024
	ds_load_b128 v[165:168], v1 offset:1040
	s_clause 0x1
	scratch_load_b128 v[34:37], off, off offset:192
	scratch_load_b128 v[169:172], off, off offset:208
	s_mov_b32 s0, exec_lo
	s_wait_loadcnt_dscnt 0x901
	v_mul_f64_e32 v[173:174], v[40:41], v[4:5]
	v_mul_f64_e32 v[4:5], v[38:39], v[4:5]
	s_wait_loadcnt_dscnt 0x800
	v_mul_f64_e32 v[175:176], v[165:166], v[8:9]
	v_mul_f64_e32 v[8:9], v[167:168], v[8:9]
	s_delay_alu instid0(VALU_DEP_4) | instskip(NEXT) | instid1(VALU_DEP_4)
	v_fma_f64 v[173:174], v[38:39], v[2:3], -v[173:174]
	v_fma_f64 v[177:178], v[40:41], v[2:3], v[4:5]
	ds_load_b128 v[2:5], v1 offset:1056
	scratch_load_b128 v[38:41], off, off offset:224
	v_fma_f64 v[175:176], v[167:168], v[6:7], v[175:176]
	v_fma_f64 v[181:182], v[165:166], v[6:7], -v[8:9]
	ds_load_b128 v[6:9], v1 offset:1072
	scratch_load_b128 v[165:168], off, off offset:240
	s_wait_loadcnt_dscnt 0x901
	v_mul_f64_e32 v[179:180], v[2:3], v[12:13]
	v_mul_f64_e32 v[12:13], v[4:5], v[12:13]
	s_wait_loadcnt_dscnt 0x800
	v_mul_f64_e32 v[183:184], v[6:7], v[16:17]
	v_mul_f64_e32 v[16:17], v[8:9], v[16:17]
	v_add_f64_e32 v[173:174], 0, v[173:174]
	v_add_f64_e32 v[177:178], 0, v[177:178]
	v_fma_f64 v[179:180], v[4:5], v[10:11], v[179:180]
	v_fma_f64 v[185:186], v[2:3], v[10:11], -v[12:13]
	ds_load_b128 v[2:5], v1 offset:1088
	scratch_load_b128 v[10:13], off, off offset:256
	v_add_f64_e32 v[173:174], v[173:174], v[181:182]
	v_add_f64_e32 v[175:176], v[177:178], v[175:176]
	v_fma_f64 v[181:182], v[8:9], v[14:15], v[183:184]
	v_fma_f64 v[183:184], v[6:7], v[14:15], -v[16:17]
	ds_load_b128 v[6:9], v1 offset:1104
	scratch_load_b128 v[14:17], off, off offset:272
	s_wait_loadcnt_dscnt 0x901
	v_mul_f64_e32 v[177:178], v[2:3], v[20:21]
	v_mul_f64_e32 v[20:21], v[4:5], v[20:21]
	v_add_f64_e32 v[173:174], v[173:174], v[185:186]
	v_add_f64_e32 v[175:176], v[175:176], v[179:180]
	s_wait_loadcnt_dscnt 0x800
	v_mul_f64_e32 v[179:180], v[6:7], v[24:25]
	v_mul_f64_e32 v[24:25], v[8:9], v[24:25]
	v_fma_f64 v[177:178], v[4:5], v[18:19], v[177:178]
	v_fma_f64 v[185:186], v[2:3], v[18:19], -v[20:21]
	ds_load_b128 v[2:5], v1 offset:1120
	scratch_load_b128 v[18:21], off, off offset:288
	v_add_f64_e32 v[173:174], v[173:174], v[183:184]
	v_add_f64_e32 v[175:176], v[175:176], v[181:182]
	v_fma_f64 v[179:180], v[8:9], v[22:23], v[179:180]
	v_fma_f64 v[183:184], v[6:7], v[22:23], -v[24:25]
	ds_load_b128 v[6:9], v1 offset:1136
	s_wait_loadcnt_dscnt 0x801
	v_mul_f64_e32 v[181:182], v[2:3], v[28:29]
	v_mul_f64_e32 v[28:29], v[4:5], v[28:29]
	scratch_load_b128 v[22:25], off, off offset:304
	v_add_f64_e32 v[173:174], v[173:174], v[185:186]
	v_add_f64_e32 v[175:176], v[175:176], v[177:178]
	s_wait_loadcnt_dscnt 0x800
	v_mul_f64_e32 v[177:178], v[6:7], v[32:33]
	v_mul_f64_e32 v[32:33], v[8:9], v[32:33]
	v_fma_f64 v[181:182], v[4:5], v[26:27], v[181:182]
	v_fma_f64 v[185:186], v[2:3], v[26:27], -v[28:29]
	ds_load_b128 v[2:5], v1 offset:1152
	scratch_load_b128 v[26:29], off, off offset:320
	v_add_f64_e32 v[173:174], v[173:174], v[183:184]
	v_add_f64_e32 v[175:176], v[175:176], v[179:180]
	v_fma_f64 v[177:178], v[8:9], v[30:31], v[177:178]
	v_fma_f64 v[183:184], v[6:7], v[30:31], -v[32:33]
	ds_load_b128 v[6:9], v1 offset:1168
	s_wait_loadcnt_dscnt 0x801
	v_mul_f64_e32 v[179:180], v[2:3], v[36:37]
	v_mul_f64_e32 v[36:37], v[4:5], v[36:37]
	scratch_load_b128 v[30:33], off, off offset:336
	v_add_f64_e32 v[173:174], v[173:174], v[185:186]
	v_add_f64_e32 v[175:176], v[175:176], v[181:182]
	s_wait_loadcnt_dscnt 0x800
	v_mul_f64_e32 v[181:182], v[6:7], v[171:172]
	v_mul_f64_e32 v[171:172], v[8:9], v[171:172]
	v_fma_f64 v[179:180], v[4:5], v[34:35], v[179:180]
	v_fma_f64 v[185:186], v[2:3], v[34:35], -v[36:37]
	ds_load_b128 v[2:5], v1 offset:1184
	scratch_load_b128 v[34:37], off, off offset:352
	v_add_f64_e32 v[173:174], v[173:174], v[183:184]
	v_add_f64_e32 v[175:176], v[175:176], v[177:178]
	v_fma_f64 v[181:182], v[8:9], v[169:170], v[181:182]
	v_fma_f64 v[183:184], v[6:7], v[169:170], -v[171:172]
	ds_load_b128 v[6:9], v1 offset:1200
	scratch_load_b128 v[169:172], off, off offset:368
	s_wait_loadcnt_dscnt 0x901
	v_mul_f64_e32 v[177:178], v[2:3], v[40:41]
	v_mul_f64_e32 v[40:41], v[4:5], v[40:41]
	v_add_f64_e32 v[173:174], v[173:174], v[185:186]
	v_add_f64_e32 v[175:176], v[175:176], v[179:180]
	s_wait_loadcnt_dscnt 0x800
	v_mul_f64_e32 v[179:180], v[6:7], v[167:168]
	v_mul_f64_e32 v[167:168], v[8:9], v[167:168]
	v_fma_f64 v[177:178], v[4:5], v[38:39], v[177:178]
	v_fma_f64 v[185:186], v[2:3], v[38:39], -v[40:41]
	ds_load_b128 v[2:5], v1 offset:1216
	scratch_load_b128 v[38:41], off, off offset:384
	v_add_f64_e32 v[173:174], v[173:174], v[183:184]
	v_add_f64_e32 v[175:176], v[175:176], v[181:182]
	v_fma_f64 v[179:180], v[8:9], v[165:166], v[179:180]
	v_fma_f64 v[183:184], v[6:7], v[165:166], -v[167:168]
	ds_load_b128 v[6:9], v1 offset:1232
	s_wait_loadcnt_dscnt 0x801
	v_mul_f64_e32 v[181:182], v[2:3], v[12:13]
	v_mul_f64_e32 v[12:13], v[4:5], v[12:13]
	scratch_load_b128 v[165:168], off, off offset:400
	v_add_f64_e32 v[173:174], v[173:174], v[185:186]
	v_add_f64_e32 v[175:176], v[175:176], v[177:178]
	s_wait_loadcnt_dscnt 0x800
	v_mul_f64_e32 v[177:178], v[6:7], v[16:17]
	v_mul_f64_e32 v[16:17], v[8:9], v[16:17]
	v_fma_f64 v[181:182], v[4:5], v[10:11], v[181:182]
	v_fma_f64 v[185:186], v[2:3], v[10:11], -v[12:13]
	ds_load_b128 v[2:5], v1 offset:1248
	scratch_load_b128 v[10:13], off, off offset:416
	v_add_f64_e32 v[173:174], v[173:174], v[183:184]
	v_add_f64_e32 v[175:176], v[175:176], v[179:180]
	v_fma_f64 v[177:178], v[8:9], v[14:15], v[177:178]
	v_fma_f64 v[183:184], v[6:7], v[14:15], -v[16:17]
	ds_load_b128 v[6:9], v1 offset:1264
	s_wait_loadcnt_dscnt 0x801
	v_mul_f64_e32 v[179:180], v[2:3], v[20:21]
	v_mul_f64_e32 v[20:21], v[4:5], v[20:21]
	scratch_load_b128 v[14:17], off, off offset:432
	;; [unrolled: 18-line block ×19, first 2 shown]
	v_add_f64_e32 v[173:174], v[173:174], v[185:186]
	v_add_f64_e32 v[175:176], v[175:176], v[177:178]
	s_wait_loadcnt_dscnt 0x800
	v_mul_f64_e32 v[177:178], v[6:7], v[171:172]
	v_mul_f64_e32 v[171:172], v[8:9], v[171:172]
	v_fma_f64 v[181:182], v[4:5], v[34:35], v[181:182]
	v_fma_f64 v[34:35], v[2:3], v[34:35], -v[36:37]
	ds_load_b128 v[2:5], v1 offset:1824
	v_add_f64_e32 v[36:37], v[173:174], v[183:184]
	v_add_f64_e32 v[173:174], v[175:176], v[179:180]
	v_fma_f64 v[177:178], v[8:9], v[169:170], v[177:178]
	v_fma_f64 v[169:170], v[6:7], v[169:170], -v[171:172]
	ds_load_b128 v[6:9], v1 offset:1840
	s_wait_loadcnt_dscnt 0x701
	v_mul_f64_e32 v[175:176], v[2:3], v[40:41]
	v_mul_f64_e32 v[40:41], v[4:5], v[40:41]
	v_add_f64_e32 v[34:35], v[36:37], v[34:35]
	v_add_f64_e32 v[36:37], v[173:174], v[181:182]
	s_delay_alu instid0(VALU_DEP_4) | instskip(NEXT) | instid1(VALU_DEP_4)
	v_fma_f64 v[173:174], v[4:5], v[38:39], v[175:176]
	v_fma_f64 v[38:39], v[2:3], v[38:39], -v[40:41]
	ds_load_b128 v[2:5], v1 offset:1856
	v_add_f64_e32 v[40:41], v[34:35], v[169:170]
	v_add_f64_e32 v[169:170], v[36:37], v[177:178]
	scratch_load_b128 v[34:37], off, off offset:48
	s_wait_loadcnt_dscnt 0x701
	v_mul_f64_e32 v[171:172], v[6:7], v[167:168]
	v_mul_f64_e32 v[167:168], v[8:9], v[167:168]
	v_add_f64_e32 v[38:39], v[40:41], v[38:39]
	v_add_f64_e32 v[40:41], v[169:170], v[173:174]
	s_delay_alu instid0(VALU_DEP_4) | instskip(NEXT) | instid1(VALU_DEP_4)
	v_fma_f64 v[171:172], v[8:9], v[165:166], v[171:172]
	v_fma_f64 v[165:166], v[6:7], v[165:166], -v[167:168]
	ds_load_b128 v[6:9], v1 offset:1872
	s_wait_loadcnt_dscnt 0x601
	v_mul_f64_e32 v[175:176], v[2:3], v[12:13]
	v_mul_f64_e32 v[12:13], v[4:5], v[12:13]
	s_wait_loadcnt_dscnt 0x500
	v_mul_f64_e32 v[167:168], v[6:7], v[16:17]
	v_mul_f64_e32 v[16:17], v[8:9], v[16:17]
	s_delay_alu instid0(VALU_DEP_4) | instskip(NEXT) | instid1(VALU_DEP_4)
	v_fma_f64 v[169:170], v[4:5], v[10:11], v[175:176]
	v_fma_f64 v[10:11], v[2:3], v[10:11], -v[12:13]
	v_add_f64_e32 v[12:13], v[38:39], v[165:166]
	v_add_f64_e32 v[38:39], v[40:41], v[171:172]
	ds_load_b128 v[2:5], v1 offset:1888
	v_fma_f64 v[165:166], v[8:9], v[14:15], v[167:168]
	v_fma_f64 v[14:15], v[6:7], v[14:15], -v[16:17]
	ds_load_b128 v[6:9], v1 offset:1904
	s_wait_loadcnt_dscnt 0x401
	v_mul_f64_e32 v[40:41], v[2:3], v[20:21]
	v_mul_f64_e32 v[20:21], v[4:5], v[20:21]
	v_add_f64_e32 v[10:11], v[12:13], v[10:11]
	v_add_f64_e32 v[12:13], v[38:39], v[169:170]
	s_wait_loadcnt_dscnt 0x300
	v_mul_f64_e32 v[16:17], v[6:7], v[24:25]
	v_mul_f64_e32 v[24:25], v[8:9], v[24:25]
	v_fma_f64 v[38:39], v[4:5], v[18:19], v[40:41]
	v_fma_f64 v[18:19], v[2:3], v[18:19], -v[20:21]
	ds_load_b128 v[2:5], v1 offset:1920
	v_add_f64_e32 v[10:11], v[10:11], v[14:15]
	v_add_f64_e32 v[12:13], v[12:13], v[165:166]
	v_fma_f64 v[16:17], v[8:9], v[22:23], v[16:17]
	v_fma_f64 v[22:23], v[6:7], v[22:23], -v[24:25]
	ds_load_b128 v[6:9], v1 offset:1936
	s_wait_loadcnt_dscnt 0x201
	v_mul_f64_e32 v[14:15], v[2:3], v[28:29]
	v_mul_f64_e32 v[20:21], v[4:5], v[28:29]
	s_wait_loadcnt_dscnt 0x100
	v_mul_f64_e32 v[24:25], v[8:9], v[32:33]
	v_add_f64_e32 v[10:11], v[10:11], v[18:19]
	v_add_f64_e32 v[12:13], v[12:13], v[38:39]
	v_mul_f64_e32 v[18:19], v[6:7], v[32:33]
	v_fma_f64 v[4:5], v[4:5], v[26:27], v[14:15]
	v_fma_f64 v[1:2], v[2:3], v[26:27], -v[20:21]
	v_fma_f64 v[6:7], v[6:7], v[30:31], -v[24:25]
	v_add_f64_e32 v[10:11], v[10:11], v[22:23]
	v_add_f64_e32 v[12:13], v[12:13], v[16:17]
	v_fma_f64 v[8:9], v[8:9], v[30:31], v[18:19]
	s_delay_alu instid0(VALU_DEP_3) | instskip(NEXT) | instid1(VALU_DEP_3)
	v_add_f64_e32 v[1:2], v[10:11], v[1:2]
	v_add_f64_e32 v[3:4], v[12:13], v[4:5]
	s_delay_alu instid0(VALU_DEP_2) | instskip(NEXT) | instid1(VALU_DEP_2)
	v_add_f64_e32 v[1:2], v[1:2], v[6:7]
	v_add_f64_e32 v[3:4], v[3:4], v[8:9]
	s_wait_loadcnt 0x0
	s_delay_alu instid0(VALU_DEP_2) | instskip(NEXT) | instid1(VALU_DEP_2)
	v_add_f64_e64 v[1:2], v[34:35], -v[1:2]
	v_add_f64_e64 v[3:4], v[36:37], -v[3:4]
	scratch_store_b128 off, v[1:4], off offset:48
	v_cmpx_lt_u32_e32 1, v0
	s_cbranch_execz .LBB60_389
; %bb.388:
	scratch_load_b128 v[1:4], off, s55
	v_mov_b32_e32 v5, 0
	s_delay_alu instid0(VALU_DEP_1)
	v_dual_mov_b32 v6, v5 :: v_dual_mov_b32 v7, v5
	v_mov_b32_e32 v8, v5
	scratch_store_b128 off, v[5:8], off offset:32
	s_wait_loadcnt 0x0
	ds_store_b128 v164, v[1:4]
.LBB60_389:
	s_wait_alu 0xfffe
	s_or_b32 exec_lo, exec_lo, s0
	s_wait_storecnt_dscnt 0x0
	s_barrier_signal -1
	s_barrier_wait -1
	global_inv scope:SCOPE_SE
	s_clause 0x7
	scratch_load_b128 v[2:5], off, off offset:48
	scratch_load_b128 v[6:9], off, off offset:64
	;; [unrolled: 1-line block ×8, first 2 shown]
	v_mov_b32_e32 v1, 0
	s_clause 0x1
	scratch_load_b128 v[34:37], off, off offset:176
	scratch_load_b128 v[169:172], off, off offset:192
	s_mov_b32 s0, exec_lo
	ds_load_b128 v[38:41], v1 offset:1008
	ds_load_b128 v[165:168], v1 offset:1024
	s_wait_loadcnt_dscnt 0x901
	v_mul_f64_e32 v[173:174], v[40:41], v[4:5]
	v_mul_f64_e32 v[4:5], v[38:39], v[4:5]
	s_wait_loadcnt_dscnt 0x800
	v_mul_f64_e32 v[175:176], v[165:166], v[8:9]
	v_mul_f64_e32 v[8:9], v[167:168], v[8:9]
	s_delay_alu instid0(VALU_DEP_4) | instskip(NEXT) | instid1(VALU_DEP_4)
	v_fma_f64 v[173:174], v[38:39], v[2:3], -v[173:174]
	v_fma_f64 v[177:178], v[40:41], v[2:3], v[4:5]
	ds_load_b128 v[2:5], v1 offset:1040
	scratch_load_b128 v[38:41], off, off offset:208
	v_fma_f64 v[175:176], v[167:168], v[6:7], v[175:176]
	v_fma_f64 v[181:182], v[165:166], v[6:7], -v[8:9]
	ds_load_b128 v[6:9], v1 offset:1056
	scratch_load_b128 v[165:168], off, off offset:224
	s_wait_loadcnt_dscnt 0x901
	v_mul_f64_e32 v[179:180], v[2:3], v[12:13]
	v_mul_f64_e32 v[12:13], v[4:5], v[12:13]
	s_wait_loadcnt_dscnt 0x800
	v_mul_f64_e32 v[183:184], v[6:7], v[16:17]
	v_mul_f64_e32 v[16:17], v[8:9], v[16:17]
	v_add_f64_e32 v[173:174], 0, v[173:174]
	v_add_f64_e32 v[177:178], 0, v[177:178]
	v_fma_f64 v[179:180], v[4:5], v[10:11], v[179:180]
	v_fma_f64 v[185:186], v[2:3], v[10:11], -v[12:13]
	ds_load_b128 v[2:5], v1 offset:1072
	scratch_load_b128 v[10:13], off, off offset:240
	v_add_f64_e32 v[173:174], v[173:174], v[181:182]
	v_add_f64_e32 v[175:176], v[177:178], v[175:176]
	v_fma_f64 v[181:182], v[8:9], v[14:15], v[183:184]
	v_fma_f64 v[183:184], v[6:7], v[14:15], -v[16:17]
	ds_load_b128 v[6:9], v1 offset:1088
	scratch_load_b128 v[14:17], off, off offset:256
	s_wait_loadcnt_dscnt 0x901
	v_mul_f64_e32 v[177:178], v[2:3], v[20:21]
	v_mul_f64_e32 v[20:21], v[4:5], v[20:21]
	v_add_f64_e32 v[173:174], v[173:174], v[185:186]
	v_add_f64_e32 v[175:176], v[175:176], v[179:180]
	s_wait_loadcnt_dscnt 0x800
	v_mul_f64_e32 v[179:180], v[6:7], v[24:25]
	v_mul_f64_e32 v[24:25], v[8:9], v[24:25]
	v_fma_f64 v[177:178], v[4:5], v[18:19], v[177:178]
	v_fma_f64 v[185:186], v[2:3], v[18:19], -v[20:21]
	ds_load_b128 v[2:5], v1 offset:1104
	scratch_load_b128 v[18:21], off, off offset:272
	v_add_f64_e32 v[173:174], v[173:174], v[183:184]
	v_add_f64_e32 v[175:176], v[175:176], v[181:182]
	v_fma_f64 v[179:180], v[8:9], v[22:23], v[179:180]
	v_fma_f64 v[183:184], v[6:7], v[22:23], -v[24:25]
	ds_load_b128 v[6:9], v1 offset:1120
	s_wait_loadcnt_dscnt 0x801
	v_mul_f64_e32 v[181:182], v[2:3], v[28:29]
	v_mul_f64_e32 v[28:29], v[4:5], v[28:29]
	scratch_load_b128 v[22:25], off, off offset:288
	v_add_f64_e32 v[173:174], v[173:174], v[185:186]
	v_add_f64_e32 v[175:176], v[175:176], v[177:178]
	s_wait_loadcnt_dscnt 0x800
	v_mul_f64_e32 v[177:178], v[6:7], v[32:33]
	v_mul_f64_e32 v[32:33], v[8:9], v[32:33]
	v_fma_f64 v[181:182], v[4:5], v[26:27], v[181:182]
	v_fma_f64 v[185:186], v[2:3], v[26:27], -v[28:29]
	ds_load_b128 v[2:5], v1 offset:1136
	scratch_load_b128 v[26:29], off, off offset:304
	v_add_f64_e32 v[173:174], v[173:174], v[183:184]
	v_add_f64_e32 v[175:176], v[175:176], v[179:180]
	v_fma_f64 v[177:178], v[8:9], v[30:31], v[177:178]
	v_fma_f64 v[183:184], v[6:7], v[30:31], -v[32:33]
	ds_load_b128 v[6:9], v1 offset:1152
	s_wait_loadcnt_dscnt 0x801
	v_mul_f64_e32 v[179:180], v[2:3], v[36:37]
	v_mul_f64_e32 v[36:37], v[4:5], v[36:37]
	scratch_load_b128 v[30:33], off, off offset:320
	v_add_f64_e32 v[173:174], v[173:174], v[185:186]
	v_add_f64_e32 v[175:176], v[175:176], v[181:182]
	s_wait_loadcnt_dscnt 0x800
	v_mul_f64_e32 v[181:182], v[6:7], v[171:172]
	v_mul_f64_e32 v[171:172], v[8:9], v[171:172]
	v_fma_f64 v[179:180], v[4:5], v[34:35], v[179:180]
	v_fma_f64 v[185:186], v[2:3], v[34:35], -v[36:37]
	ds_load_b128 v[2:5], v1 offset:1168
	scratch_load_b128 v[34:37], off, off offset:336
	v_add_f64_e32 v[173:174], v[173:174], v[183:184]
	v_add_f64_e32 v[175:176], v[175:176], v[177:178]
	v_fma_f64 v[181:182], v[8:9], v[169:170], v[181:182]
	v_fma_f64 v[183:184], v[6:7], v[169:170], -v[171:172]
	ds_load_b128 v[6:9], v1 offset:1184
	scratch_load_b128 v[169:172], off, off offset:352
	s_wait_loadcnt_dscnt 0x901
	v_mul_f64_e32 v[177:178], v[2:3], v[40:41]
	v_mul_f64_e32 v[40:41], v[4:5], v[40:41]
	v_add_f64_e32 v[173:174], v[173:174], v[185:186]
	v_add_f64_e32 v[175:176], v[175:176], v[179:180]
	s_wait_loadcnt_dscnt 0x800
	v_mul_f64_e32 v[179:180], v[6:7], v[167:168]
	v_mul_f64_e32 v[167:168], v[8:9], v[167:168]
	v_fma_f64 v[177:178], v[4:5], v[38:39], v[177:178]
	v_fma_f64 v[185:186], v[2:3], v[38:39], -v[40:41]
	ds_load_b128 v[2:5], v1 offset:1200
	scratch_load_b128 v[38:41], off, off offset:368
	v_add_f64_e32 v[173:174], v[173:174], v[183:184]
	v_add_f64_e32 v[175:176], v[175:176], v[181:182]
	v_fma_f64 v[179:180], v[8:9], v[165:166], v[179:180]
	v_fma_f64 v[183:184], v[6:7], v[165:166], -v[167:168]
	ds_load_b128 v[6:9], v1 offset:1216
	s_wait_loadcnt_dscnt 0x801
	v_mul_f64_e32 v[181:182], v[2:3], v[12:13]
	v_mul_f64_e32 v[12:13], v[4:5], v[12:13]
	scratch_load_b128 v[165:168], off, off offset:384
	v_add_f64_e32 v[173:174], v[173:174], v[185:186]
	v_add_f64_e32 v[175:176], v[175:176], v[177:178]
	s_wait_loadcnt_dscnt 0x800
	v_mul_f64_e32 v[177:178], v[6:7], v[16:17]
	v_mul_f64_e32 v[16:17], v[8:9], v[16:17]
	v_fma_f64 v[181:182], v[4:5], v[10:11], v[181:182]
	v_fma_f64 v[185:186], v[2:3], v[10:11], -v[12:13]
	ds_load_b128 v[2:5], v1 offset:1232
	scratch_load_b128 v[10:13], off, off offset:400
	v_add_f64_e32 v[173:174], v[173:174], v[183:184]
	v_add_f64_e32 v[175:176], v[175:176], v[179:180]
	v_fma_f64 v[177:178], v[8:9], v[14:15], v[177:178]
	v_fma_f64 v[183:184], v[6:7], v[14:15], -v[16:17]
	ds_load_b128 v[6:9], v1 offset:1248
	s_wait_loadcnt_dscnt 0x801
	v_mul_f64_e32 v[179:180], v[2:3], v[20:21]
	v_mul_f64_e32 v[20:21], v[4:5], v[20:21]
	scratch_load_b128 v[14:17], off, off offset:416
	;; [unrolled: 18-line block ×19, first 2 shown]
	v_add_f64_e32 v[173:174], v[173:174], v[185:186]
	v_add_f64_e32 v[175:176], v[175:176], v[177:178]
	s_wait_loadcnt_dscnt 0x800
	v_mul_f64_e32 v[177:178], v[6:7], v[171:172]
	v_mul_f64_e32 v[171:172], v[8:9], v[171:172]
	v_fma_f64 v[181:182], v[4:5], v[34:35], v[181:182]
	v_fma_f64 v[185:186], v[2:3], v[34:35], -v[36:37]
	ds_load_b128 v[2:5], v1 offset:1808
	scratch_load_b128 v[34:37], off, off offset:976
	v_add_f64_e32 v[173:174], v[173:174], v[183:184]
	v_add_f64_e32 v[175:176], v[175:176], v[179:180]
	v_fma_f64 v[177:178], v[8:9], v[169:170], v[177:178]
	v_fma_f64 v[169:170], v[6:7], v[169:170], -v[171:172]
	ds_load_b128 v[6:9], v1 offset:1824
	s_wait_loadcnt_dscnt 0x801
	v_mul_f64_e32 v[179:180], v[2:3], v[40:41]
	v_mul_f64_e32 v[40:41], v[4:5], v[40:41]
	v_add_f64_e32 v[171:172], v[173:174], v[185:186]
	v_add_f64_e32 v[173:174], v[175:176], v[181:182]
	s_wait_loadcnt_dscnt 0x700
	v_mul_f64_e32 v[175:176], v[6:7], v[167:168]
	v_mul_f64_e32 v[167:168], v[8:9], v[167:168]
	v_fma_f64 v[179:180], v[4:5], v[38:39], v[179:180]
	v_fma_f64 v[38:39], v[2:3], v[38:39], -v[40:41]
	ds_load_b128 v[2:5], v1 offset:1840
	v_add_f64_e32 v[40:41], v[171:172], v[169:170]
	v_add_f64_e32 v[169:170], v[173:174], v[177:178]
	v_fma_f64 v[173:174], v[8:9], v[165:166], v[175:176]
	v_fma_f64 v[165:166], v[6:7], v[165:166], -v[167:168]
	ds_load_b128 v[6:9], v1 offset:1856
	s_wait_loadcnt_dscnt 0x500
	v_mul_f64_e32 v[175:176], v[6:7], v[16:17]
	v_mul_f64_e32 v[16:17], v[8:9], v[16:17]
	v_add_f64_e32 v[167:168], v[40:41], v[38:39]
	v_add_f64_e32 v[169:170], v[169:170], v[179:180]
	scratch_load_b128 v[38:41], off, off offset:32
	v_mul_f64_e32 v[171:172], v[2:3], v[12:13]
	v_mul_f64_e32 v[12:13], v[4:5], v[12:13]
	s_delay_alu instid0(VALU_DEP_2) | instskip(NEXT) | instid1(VALU_DEP_2)
	v_fma_f64 v[171:172], v[4:5], v[10:11], v[171:172]
	v_fma_f64 v[10:11], v[2:3], v[10:11], -v[12:13]
	v_add_f64_e32 v[12:13], v[167:168], v[165:166]
	v_add_f64_e32 v[165:166], v[169:170], v[173:174]
	ds_load_b128 v[2:5], v1 offset:1872
	v_fma_f64 v[169:170], v[8:9], v[14:15], v[175:176]
	v_fma_f64 v[14:15], v[6:7], v[14:15], -v[16:17]
	ds_load_b128 v[6:9], v1 offset:1888
	s_wait_loadcnt_dscnt 0x501
	v_mul_f64_e32 v[167:168], v[2:3], v[20:21]
	v_mul_f64_e32 v[20:21], v[4:5], v[20:21]
	s_wait_loadcnt_dscnt 0x400
	v_mul_f64_e32 v[16:17], v[6:7], v[24:25]
	v_mul_f64_e32 v[24:25], v[8:9], v[24:25]
	v_add_f64_e32 v[10:11], v[12:13], v[10:11]
	v_add_f64_e32 v[12:13], v[165:166], v[171:172]
	v_fma_f64 v[165:166], v[4:5], v[18:19], v[167:168]
	v_fma_f64 v[18:19], v[2:3], v[18:19], -v[20:21]
	ds_load_b128 v[2:5], v1 offset:1904
	v_fma_f64 v[16:17], v[8:9], v[22:23], v[16:17]
	v_fma_f64 v[22:23], v[6:7], v[22:23], -v[24:25]
	ds_load_b128 v[6:9], v1 offset:1920
	v_add_f64_e32 v[10:11], v[10:11], v[14:15]
	v_add_f64_e32 v[12:13], v[12:13], v[169:170]
	s_wait_loadcnt_dscnt 0x301
	v_mul_f64_e32 v[14:15], v[2:3], v[28:29]
	v_mul_f64_e32 v[20:21], v[4:5], v[28:29]
	s_wait_loadcnt_dscnt 0x200
	v_mul_f64_e32 v[24:25], v[8:9], v[32:33]
	v_add_f64_e32 v[10:11], v[10:11], v[18:19]
	v_add_f64_e32 v[12:13], v[12:13], v[165:166]
	v_mul_f64_e32 v[18:19], v[6:7], v[32:33]
	v_fma_f64 v[14:15], v[4:5], v[26:27], v[14:15]
	v_fma_f64 v[20:21], v[2:3], v[26:27], -v[20:21]
	ds_load_b128 v[2:5], v1 offset:1936
	v_fma_f64 v[6:7], v[6:7], v[30:31], -v[24:25]
	v_add_f64_e32 v[10:11], v[10:11], v[22:23]
	v_add_f64_e32 v[12:13], v[12:13], v[16:17]
	s_wait_loadcnt_dscnt 0x100
	v_mul_f64_e32 v[16:17], v[2:3], v[36:37]
	v_mul_f64_e32 v[22:23], v[4:5], v[36:37]
	v_fma_f64 v[8:9], v[8:9], v[30:31], v[18:19]
	v_add_f64_e32 v[10:11], v[10:11], v[20:21]
	v_add_f64_e32 v[12:13], v[12:13], v[14:15]
	v_fma_f64 v[4:5], v[4:5], v[34:35], v[16:17]
	v_fma_f64 v[2:3], v[2:3], v[34:35], -v[22:23]
	s_delay_alu instid0(VALU_DEP_4) | instskip(NEXT) | instid1(VALU_DEP_4)
	v_add_f64_e32 v[6:7], v[10:11], v[6:7]
	v_add_f64_e32 v[8:9], v[12:13], v[8:9]
	s_delay_alu instid0(VALU_DEP_2) | instskip(NEXT) | instid1(VALU_DEP_2)
	v_add_f64_e32 v[2:3], v[6:7], v[2:3]
	v_add_f64_e32 v[4:5], v[8:9], v[4:5]
	s_wait_loadcnt 0x0
	s_delay_alu instid0(VALU_DEP_2) | instskip(NEXT) | instid1(VALU_DEP_2)
	v_add_f64_e64 v[2:3], v[38:39], -v[2:3]
	v_add_f64_e64 v[4:5], v[40:41], -v[4:5]
	scratch_store_b128 off, v[2:5], off offset:32
	v_cmpx_ne_u32_e32 0, v0
	s_cbranch_execz .LBB60_391
; %bb.390:
	scratch_load_b128 v[5:8], off, off offset:16
	v_dual_mov_b32 v2, v1 :: v_dual_mov_b32 v3, v1
	v_mov_b32_e32 v4, v1
	scratch_store_b128 off, v[1:4], off offset:16
	s_wait_loadcnt 0x0
	ds_store_b128 v164, v[5:8]
.LBB60_391:
	s_wait_alu 0xfffe
	s_or_b32 exec_lo, exec_lo, s0
	s_wait_storecnt_dscnt 0x0
	s_barrier_signal -1
	s_barrier_wait -1
	global_inv scope:SCOPE_SE
	s_clause 0x7
	scratch_load_b128 v[2:5], off, off offset:32
	scratch_load_b128 v[6:9], off, off offset:48
	;; [unrolled: 1-line block ×8, first 2 shown]
	ds_load_b128 v[38:41], v1 offset:992
	ds_load_b128 v[164:167], v1 offset:1008
	s_clause 0x1
	scratch_load_b128 v[34:37], off, off offset:160
	scratch_load_b128 v[168:171], off, off offset:176
	s_and_b32 vcc_lo, exec_lo, s20
	s_wait_loadcnt_dscnt 0x901
	v_mul_f64_e32 v[172:173], v[40:41], v[4:5]
	v_mul_f64_e32 v[4:5], v[38:39], v[4:5]
	s_wait_loadcnt_dscnt 0x800
	v_mul_f64_e32 v[174:175], v[164:165], v[8:9]
	v_mul_f64_e32 v[8:9], v[166:167], v[8:9]
	s_delay_alu instid0(VALU_DEP_4) | instskip(NEXT) | instid1(VALU_DEP_4)
	v_fma_f64 v[172:173], v[38:39], v[2:3], -v[172:173]
	v_fma_f64 v[176:177], v[40:41], v[2:3], v[4:5]
	ds_load_b128 v[2:5], v1 offset:1024
	scratch_load_b128 v[38:41], off, off offset:192
	v_fma_f64 v[174:175], v[166:167], v[6:7], v[174:175]
	v_fma_f64 v[180:181], v[164:165], v[6:7], -v[8:9]
	ds_load_b128 v[6:9], v1 offset:1040
	scratch_load_b128 v[164:167], off, off offset:208
	s_wait_loadcnt_dscnt 0x901
	v_mul_f64_e32 v[178:179], v[2:3], v[12:13]
	v_mul_f64_e32 v[12:13], v[4:5], v[12:13]
	s_wait_loadcnt_dscnt 0x800
	v_mul_f64_e32 v[182:183], v[6:7], v[16:17]
	v_mul_f64_e32 v[16:17], v[8:9], v[16:17]
	v_add_f64_e32 v[172:173], 0, v[172:173]
	v_add_f64_e32 v[176:177], 0, v[176:177]
	v_fma_f64 v[178:179], v[4:5], v[10:11], v[178:179]
	v_fma_f64 v[184:185], v[2:3], v[10:11], -v[12:13]
	ds_load_b128 v[2:5], v1 offset:1056
	scratch_load_b128 v[10:13], off, off offset:224
	v_add_f64_e32 v[172:173], v[172:173], v[180:181]
	v_add_f64_e32 v[174:175], v[176:177], v[174:175]
	v_fma_f64 v[180:181], v[8:9], v[14:15], v[182:183]
	v_fma_f64 v[182:183], v[6:7], v[14:15], -v[16:17]
	ds_load_b128 v[6:9], v1 offset:1072
	scratch_load_b128 v[14:17], off, off offset:240
	s_wait_loadcnt_dscnt 0x901
	v_mul_f64_e32 v[176:177], v[2:3], v[20:21]
	v_mul_f64_e32 v[20:21], v[4:5], v[20:21]
	v_add_f64_e32 v[172:173], v[172:173], v[184:185]
	v_add_f64_e32 v[174:175], v[174:175], v[178:179]
	s_wait_loadcnt_dscnt 0x800
	v_mul_f64_e32 v[178:179], v[6:7], v[24:25]
	v_mul_f64_e32 v[24:25], v[8:9], v[24:25]
	v_fma_f64 v[176:177], v[4:5], v[18:19], v[176:177]
	v_fma_f64 v[184:185], v[2:3], v[18:19], -v[20:21]
	ds_load_b128 v[2:5], v1 offset:1088
	scratch_load_b128 v[18:21], off, off offset:256
	v_add_f64_e32 v[172:173], v[172:173], v[182:183]
	v_add_f64_e32 v[174:175], v[174:175], v[180:181]
	v_fma_f64 v[178:179], v[8:9], v[22:23], v[178:179]
	v_fma_f64 v[182:183], v[6:7], v[22:23], -v[24:25]
	ds_load_b128 v[6:9], v1 offset:1104
	s_wait_loadcnt_dscnt 0x801
	v_mul_f64_e32 v[180:181], v[2:3], v[28:29]
	v_mul_f64_e32 v[28:29], v[4:5], v[28:29]
	scratch_load_b128 v[22:25], off, off offset:272
	v_add_f64_e32 v[172:173], v[172:173], v[184:185]
	v_add_f64_e32 v[174:175], v[174:175], v[176:177]
	s_wait_loadcnt_dscnt 0x800
	v_mul_f64_e32 v[176:177], v[6:7], v[32:33]
	v_mul_f64_e32 v[32:33], v[8:9], v[32:33]
	v_fma_f64 v[180:181], v[4:5], v[26:27], v[180:181]
	v_fma_f64 v[184:185], v[2:3], v[26:27], -v[28:29]
	ds_load_b128 v[2:5], v1 offset:1120
	scratch_load_b128 v[26:29], off, off offset:288
	v_add_f64_e32 v[172:173], v[172:173], v[182:183]
	v_add_f64_e32 v[174:175], v[174:175], v[178:179]
	v_fma_f64 v[176:177], v[8:9], v[30:31], v[176:177]
	v_fma_f64 v[182:183], v[6:7], v[30:31], -v[32:33]
	ds_load_b128 v[6:9], v1 offset:1136
	s_wait_loadcnt_dscnt 0x801
	v_mul_f64_e32 v[178:179], v[2:3], v[36:37]
	v_mul_f64_e32 v[36:37], v[4:5], v[36:37]
	scratch_load_b128 v[30:33], off, off offset:304
	v_add_f64_e32 v[172:173], v[172:173], v[184:185]
	v_add_f64_e32 v[174:175], v[174:175], v[180:181]
	s_wait_loadcnt_dscnt 0x800
	v_mul_f64_e32 v[180:181], v[6:7], v[170:171]
	v_mul_f64_e32 v[170:171], v[8:9], v[170:171]
	v_fma_f64 v[178:179], v[4:5], v[34:35], v[178:179]
	v_fma_f64 v[184:185], v[2:3], v[34:35], -v[36:37]
	ds_load_b128 v[2:5], v1 offset:1152
	scratch_load_b128 v[34:37], off, off offset:320
	v_add_f64_e32 v[172:173], v[172:173], v[182:183]
	v_add_f64_e32 v[174:175], v[174:175], v[176:177]
	v_fma_f64 v[180:181], v[8:9], v[168:169], v[180:181]
	v_fma_f64 v[182:183], v[6:7], v[168:169], -v[170:171]
	ds_load_b128 v[6:9], v1 offset:1168
	scratch_load_b128 v[168:171], off, off offset:336
	s_wait_loadcnt_dscnt 0x901
	v_mul_f64_e32 v[176:177], v[2:3], v[40:41]
	v_mul_f64_e32 v[40:41], v[4:5], v[40:41]
	v_add_f64_e32 v[172:173], v[172:173], v[184:185]
	v_add_f64_e32 v[174:175], v[174:175], v[178:179]
	s_wait_loadcnt_dscnt 0x800
	v_mul_f64_e32 v[178:179], v[6:7], v[166:167]
	v_mul_f64_e32 v[166:167], v[8:9], v[166:167]
	v_fma_f64 v[176:177], v[4:5], v[38:39], v[176:177]
	v_fma_f64 v[184:185], v[2:3], v[38:39], -v[40:41]
	ds_load_b128 v[2:5], v1 offset:1184
	scratch_load_b128 v[38:41], off, off offset:352
	v_add_f64_e32 v[172:173], v[172:173], v[182:183]
	v_add_f64_e32 v[174:175], v[174:175], v[180:181]
	v_fma_f64 v[178:179], v[8:9], v[164:165], v[178:179]
	v_fma_f64 v[182:183], v[6:7], v[164:165], -v[166:167]
	ds_load_b128 v[6:9], v1 offset:1200
	s_wait_loadcnt_dscnt 0x801
	v_mul_f64_e32 v[180:181], v[2:3], v[12:13]
	v_mul_f64_e32 v[12:13], v[4:5], v[12:13]
	scratch_load_b128 v[164:167], off, off offset:368
	v_add_f64_e32 v[172:173], v[172:173], v[184:185]
	v_add_f64_e32 v[174:175], v[174:175], v[176:177]
	s_wait_loadcnt_dscnt 0x800
	v_mul_f64_e32 v[176:177], v[6:7], v[16:17]
	v_mul_f64_e32 v[16:17], v[8:9], v[16:17]
	v_fma_f64 v[180:181], v[4:5], v[10:11], v[180:181]
	v_fma_f64 v[184:185], v[2:3], v[10:11], -v[12:13]
	ds_load_b128 v[2:5], v1 offset:1216
	scratch_load_b128 v[10:13], off, off offset:384
	v_add_f64_e32 v[172:173], v[172:173], v[182:183]
	v_add_f64_e32 v[174:175], v[174:175], v[178:179]
	v_fma_f64 v[176:177], v[8:9], v[14:15], v[176:177]
	v_fma_f64 v[182:183], v[6:7], v[14:15], -v[16:17]
	ds_load_b128 v[6:9], v1 offset:1232
	s_wait_loadcnt_dscnt 0x801
	v_mul_f64_e32 v[178:179], v[2:3], v[20:21]
	v_mul_f64_e32 v[20:21], v[4:5], v[20:21]
	scratch_load_b128 v[14:17], off, off offset:400
	;; [unrolled: 18-line block ×11, first 2 shown]
	v_add_f64_e32 v[172:173], v[172:173], v[184:185]
	v_add_f64_e32 v[174:175], v[174:175], v[180:181]
	s_wait_loadcnt_dscnt 0x800
	v_mul_f64_e32 v[180:181], v[6:7], v[16:17]
	v_mul_f64_e32 v[16:17], v[8:9], v[16:17]
	v_fma_f64 v[178:179], v[4:5], v[10:11], v[178:179]
	v_fma_f64 v[184:185], v[2:3], v[10:11], -v[12:13]
	scratch_load_b128 v[10:13], off, off offset:704
	ds_load_b128 v[2:5], v1 offset:1536
	v_add_f64_e32 v[172:173], v[172:173], v[182:183]
	v_add_f64_e32 v[174:175], v[174:175], v[176:177]
	v_fma_f64 v[180:181], v[8:9], v[14:15], v[180:181]
	v_fma_f64 v[182:183], v[6:7], v[14:15], -v[16:17]
	ds_load_b128 v[6:9], v1 offset:1552
	s_wait_loadcnt_dscnt 0x801
	v_mul_f64_e32 v[176:177], v[2:3], v[20:21]
	v_mul_f64_e32 v[20:21], v[4:5], v[20:21]
	scratch_load_b128 v[14:17], off, off offset:720
	v_add_f64_e32 v[172:173], v[172:173], v[184:185]
	v_add_f64_e32 v[174:175], v[174:175], v[178:179]
	s_wait_loadcnt_dscnt 0x800
	v_mul_f64_e32 v[178:179], v[6:7], v[24:25]
	v_mul_f64_e32 v[24:25], v[8:9], v[24:25]
	v_fma_f64 v[176:177], v[4:5], v[18:19], v[176:177]
	v_fma_f64 v[184:185], v[2:3], v[18:19], -v[20:21]
	ds_load_b128 v[2:5], v1 offset:1568
	scratch_load_b128 v[18:21], off, off offset:736
	v_add_f64_e32 v[172:173], v[172:173], v[182:183]
	v_add_f64_e32 v[174:175], v[174:175], v[180:181]
	v_fma_f64 v[178:179], v[8:9], v[22:23], v[178:179]
	v_fma_f64 v[182:183], v[6:7], v[22:23], -v[24:25]
	ds_load_b128 v[6:9], v1 offset:1584
	s_wait_loadcnt_dscnt 0x801
	v_mul_f64_e32 v[180:181], v[2:3], v[28:29]
	v_mul_f64_e32 v[28:29], v[4:5], v[28:29]
	scratch_load_b128 v[22:25], off, off offset:752
	v_add_f64_e32 v[172:173], v[172:173], v[184:185]
	v_add_f64_e32 v[174:175], v[174:175], v[176:177]
	s_wait_loadcnt_dscnt 0x800
	v_mul_f64_e32 v[176:177], v[6:7], v[32:33]
	v_mul_f64_e32 v[32:33], v[8:9], v[32:33]
	v_fma_f64 v[180:181], v[4:5], v[26:27], v[180:181]
	v_fma_f64 v[184:185], v[2:3], v[26:27], -v[28:29]
	ds_load_b128 v[2:5], v1 offset:1600
	scratch_load_b128 v[26:29], off, off offset:768
	;; [unrolled: 18-line block ×4, first 2 shown]
	v_add_f64_e32 v[172:173], v[172:173], v[182:183]
	v_add_f64_e32 v[174:175], v[174:175], v[180:181]
	v_fma_f64 v[178:179], v[8:9], v[164:165], v[178:179]
	v_fma_f64 v[182:183], v[6:7], v[164:165], -v[166:167]
	ds_load_b128 v[6:9], v1 offset:1680
	s_wait_loadcnt_dscnt 0x801
	v_mul_f64_e32 v[180:181], v[2:3], v[12:13]
	v_mul_f64_e32 v[12:13], v[4:5], v[12:13]
	scratch_load_b128 v[164:167], off, off offset:848
	v_add_f64_e32 v[172:173], v[172:173], v[184:185]
	v_add_f64_e32 v[174:175], v[174:175], v[176:177]
	s_wait_loadcnt_dscnt 0x800
	v_mul_f64_e32 v[176:177], v[6:7], v[16:17]
	v_mul_f64_e32 v[16:17], v[8:9], v[16:17]
	v_fma_f64 v[180:181], v[4:5], v[10:11], v[180:181]
	v_fma_f64 v[184:185], v[2:3], v[10:11], -v[12:13]
	scratch_load_b128 v[10:13], off, off offset:864
	ds_load_b128 v[2:5], v1 offset:1696
	v_add_f64_e32 v[172:173], v[172:173], v[182:183]
	v_add_f64_e32 v[174:175], v[174:175], v[178:179]
	v_fma_f64 v[176:177], v[8:9], v[14:15], v[176:177]
	v_fma_f64 v[182:183], v[6:7], v[14:15], -v[16:17]
	ds_load_b128 v[6:9], v1 offset:1712
	s_wait_loadcnt_dscnt 0x801
	v_mul_f64_e32 v[178:179], v[2:3], v[20:21]
	v_mul_f64_e32 v[20:21], v[4:5], v[20:21]
	scratch_load_b128 v[14:17], off, off offset:880
	v_add_f64_e32 v[172:173], v[172:173], v[184:185]
	v_add_f64_e32 v[174:175], v[174:175], v[180:181]
	s_wait_loadcnt_dscnt 0x800
	v_mul_f64_e32 v[180:181], v[6:7], v[24:25]
	v_mul_f64_e32 v[24:25], v[8:9], v[24:25]
	v_fma_f64 v[178:179], v[4:5], v[18:19], v[178:179]
	v_fma_f64 v[184:185], v[2:3], v[18:19], -v[20:21]
	ds_load_b128 v[2:5], v1 offset:1728
	scratch_load_b128 v[18:21], off, off offset:896
	v_add_f64_e32 v[172:173], v[172:173], v[182:183]
	v_add_f64_e32 v[174:175], v[174:175], v[176:177]
	v_fma_f64 v[180:181], v[8:9], v[22:23], v[180:181]
	v_fma_f64 v[182:183], v[6:7], v[22:23], -v[24:25]
	ds_load_b128 v[6:9], v1 offset:1744
	s_wait_loadcnt_dscnt 0x801
	v_mul_f64_e32 v[176:177], v[2:3], v[28:29]
	v_mul_f64_e32 v[28:29], v[4:5], v[28:29]
	scratch_load_b128 v[22:25], off, off offset:912
	v_add_f64_e32 v[172:173], v[172:173], v[184:185]
	v_add_f64_e32 v[174:175], v[174:175], v[178:179]
	s_wait_loadcnt_dscnt 0x800
	v_mul_f64_e32 v[178:179], v[6:7], v[32:33]
	v_mul_f64_e32 v[32:33], v[8:9], v[32:33]
	v_fma_f64 v[176:177], v[4:5], v[26:27], v[176:177]
	v_fma_f64 v[184:185], v[2:3], v[26:27], -v[28:29]
	ds_load_b128 v[2:5], v1 offset:1760
	scratch_load_b128 v[26:29], off, off offset:928
	;; [unrolled: 18-line block ×3, first 2 shown]
	v_add_f64_e32 v[172:173], v[172:173], v[182:183]
	v_add_f64_e32 v[174:175], v[174:175], v[178:179]
	v_fma_f64 v[176:177], v[8:9], v[168:169], v[176:177]
	v_fma_f64 v[182:183], v[6:7], v[168:169], -v[170:171]
	ds_load_b128 v[6:9], v1 offset:1808
	s_wait_loadcnt_dscnt 0x801
	v_mul_f64_e32 v[178:179], v[2:3], v[40:41]
	v_mul_f64_e32 v[40:41], v[4:5], v[40:41]
	scratch_load_b128 v[168:171], off, off offset:976
	v_add_f64_e32 v[172:173], v[172:173], v[184:185]
	v_add_f64_e32 v[174:175], v[174:175], v[180:181]
	v_fma_f64 v[178:179], v[4:5], v[38:39], v[178:179]
	v_fma_f64 v[38:39], v[2:3], v[38:39], -v[40:41]
	ds_load_b128 v[2:5], v1 offset:1824
	v_add_f64_e32 v[40:41], v[172:173], v[182:183]
	v_add_f64_e32 v[172:173], v[174:175], v[176:177]
	s_wait_loadcnt_dscnt 0x700
	v_mul_f64_e32 v[174:175], v[2:3], v[12:13]
	v_mul_f64_e32 v[12:13], v[4:5], v[12:13]
	s_delay_alu instid0(VALU_DEP_4) | instskip(NEXT) | instid1(VALU_DEP_4)
	v_add_f64_e32 v[38:39], v[40:41], v[38:39]
	v_add_f64_e32 v[40:41], v[172:173], v[178:179]
	s_delay_alu instid0(VALU_DEP_4) | instskip(NEXT) | instid1(VALU_DEP_4)
	v_fma_f64 v[172:173], v[4:5], v[10:11], v[174:175]
	v_fma_f64 v[174:175], v[2:3], v[10:11], -v[12:13]
	scratch_load_b128 v[10:13], off, off offset:16
	v_mul_f64_e32 v[180:181], v[6:7], v[166:167]
	v_mul_f64_e32 v[166:167], v[8:9], v[166:167]
	ds_load_b128 v[2:5], v1 offset:1856
	v_fma_f64 v[176:177], v[8:9], v[164:165], v[180:181]
	v_fma_f64 v[164:165], v[6:7], v[164:165], -v[166:167]
	ds_load_b128 v[6:9], v1 offset:1840
	s_wait_loadcnt_dscnt 0x700
	v_mul_f64_e32 v[166:167], v[6:7], v[16:17]
	v_mul_f64_e32 v[16:17], v[8:9], v[16:17]
	v_add_f64_e32 v[40:41], v[40:41], v[176:177]
	v_add_f64_e32 v[38:39], v[38:39], v[164:165]
	s_wait_loadcnt 0x6
	v_mul_f64_e32 v[164:165], v[2:3], v[20:21]
	v_mul_f64_e32 v[20:21], v[4:5], v[20:21]
	v_fma_f64 v[166:167], v[8:9], v[14:15], v[166:167]
	v_fma_f64 v[14:15], v[6:7], v[14:15], -v[16:17]
	ds_load_b128 v[6:9], v1 offset:1872
	v_add_f64_e32 v[16:17], v[38:39], v[174:175]
	v_add_f64_e32 v[38:39], v[40:41], v[172:173]
	v_fma_f64 v[164:165], v[4:5], v[18:19], v[164:165]
	v_fma_f64 v[18:19], v[2:3], v[18:19], -v[20:21]
	ds_load_b128 v[2:5], v1 offset:1888
	s_wait_loadcnt_dscnt 0x501
	v_mul_f64_e32 v[40:41], v[6:7], v[24:25]
	v_mul_f64_e32 v[24:25], v[8:9], v[24:25]
	s_wait_loadcnt_dscnt 0x400
	v_mul_f64_e32 v[20:21], v[2:3], v[28:29]
	v_mul_f64_e32 v[28:29], v[4:5], v[28:29]
	v_add_f64_e32 v[14:15], v[16:17], v[14:15]
	v_add_f64_e32 v[16:17], v[38:39], v[166:167]
	v_fma_f64 v[38:39], v[8:9], v[22:23], v[40:41]
	v_fma_f64 v[22:23], v[6:7], v[22:23], -v[24:25]
	ds_load_b128 v[6:9], v1 offset:1904
	v_fma_f64 v[20:21], v[4:5], v[26:27], v[20:21]
	v_fma_f64 v[26:27], v[2:3], v[26:27], -v[28:29]
	ds_load_b128 v[2:5], v1 offset:1920
	s_wait_loadcnt_dscnt 0x301
	v_mul_f64_e32 v[24:25], v[8:9], v[32:33]
	v_add_f64_e32 v[14:15], v[14:15], v[18:19]
	v_add_f64_e32 v[16:17], v[16:17], v[164:165]
	v_mul_f64_e32 v[18:19], v[6:7], v[32:33]
	s_wait_loadcnt_dscnt 0x200
	v_mul_f64_e32 v[28:29], v[4:5], v[36:37]
	v_fma_f64 v[24:25], v[6:7], v[30:31], -v[24:25]
	v_add_f64_e32 v[14:15], v[14:15], v[22:23]
	v_add_f64_e32 v[16:17], v[16:17], v[38:39]
	v_mul_f64_e32 v[22:23], v[2:3], v[36:37]
	v_fma_f64 v[18:19], v[8:9], v[30:31], v[18:19]
	ds_load_b128 v[6:9], v1 offset:1936
	v_fma_f64 v[2:3], v[2:3], v[34:35], -v[28:29]
	s_wait_loadcnt_dscnt 0x100
	v_mul_f64_e32 v[0:1], v[6:7], v[170:171]
	v_add_f64_e32 v[14:15], v[14:15], v[26:27]
	v_add_f64_e32 v[16:17], v[16:17], v[20:21]
	v_mul_f64_e32 v[20:21], v[8:9], v[170:171]
	v_fma_f64 v[4:5], v[4:5], v[34:35], v[22:23]
	v_fma_f64 v[0:1], v[8:9], v[168:169], v[0:1]
	v_add_f64_e32 v[14:15], v[14:15], v[24:25]
	v_add_f64_e32 v[16:17], v[16:17], v[18:19]
	v_fma_f64 v[6:7], v[6:7], v[168:169], -v[20:21]
	s_delay_alu instid0(VALU_DEP_3) | instskip(NEXT) | instid1(VALU_DEP_3)
	v_add_f64_e32 v[2:3], v[14:15], v[2:3]
	v_add_f64_e32 v[4:5], v[16:17], v[4:5]
	s_delay_alu instid0(VALU_DEP_2) | instskip(NEXT) | instid1(VALU_DEP_2)
	v_add_f64_e32 v[2:3], v[2:3], v[6:7]
	v_add_f64_e32 v[4:5], v[4:5], v[0:1]
	s_wait_loadcnt 0x0
	s_delay_alu instid0(VALU_DEP_2) | instskip(NEXT) | instid1(VALU_DEP_2)
	v_add_f64_e64 v[0:1], v[10:11], -v[2:3]
	v_add_f64_e64 v[2:3], v[12:13], -v[4:5]
	scratch_store_b128 off, v[0:3], off offset:16
	s_wait_alu 0xfffe
	s_cbranch_vccz .LBB60_512
; %bb.392:
	v_mov_b32_e32 v0, 0
	global_load_b32 v1, v0, s[16:17] offset:236
	s_wait_loadcnt 0x0
	v_cmp_ne_u32_e32 vcc_lo, 60, v1
	s_cbranch_vccz .LBB60_394
; %bb.393:
	v_lshlrev_b32_e32 v1, 4, v1
	s_delay_alu instid0(VALU_DEP_1)
	v_add_nc_u32_e32 v9, 16, v1
	s_clause 0x1
	scratch_load_b128 v[1:4], v9, off offset:-16
	scratch_load_b128 v[5:8], off, s5
	s_wait_loadcnt 0x1
	scratch_store_b128 off, v[1:4], s5
	s_wait_loadcnt 0x0
	scratch_store_b128 v9, v[5:8], off offset:-16
.LBB60_394:
	global_load_b32 v0, v0, s[16:17] offset:232
	s_wait_loadcnt 0x0
	v_cmp_eq_u32_e32 vcc_lo, 59, v0
	s_cbranch_vccnz .LBB60_396
; %bb.395:
	v_lshlrev_b32_e32 v0, 4, v0
	s_delay_alu instid0(VALU_DEP_1)
	v_add_nc_u32_e32 v8, 16, v0
	s_clause 0x1
	scratch_load_b128 v[0:3], v8, off offset:-16
	scratch_load_b128 v[4:7], off, s4
	s_wait_loadcnt 0x1
	scratch_store_b128 off, v[0:3], s4
	s_wait_loadcnt 0x0
	scratch_store_b128 v8, v[4:7], off offset:-16
.LBB60_396:
	v_mov_b32_e32 v0, 0
	global_load_b32 v1, v0, s[16:17] offset:228
	s_wait_loadcnt 0x0
	v_cmp_eq_u32_e32 vcc_lo, 58, v1
	s_cbranch_vccnz .LBB60_398
; %bb.397:
	v_lshlrev_b32_e32 v1, 4, v1
	s_delay_alu instid0(VALU_DEP_1)
	v_add_nc_u32_e32 v9, 16, v1
	s_clause 0x1
	scratch_load_b128 v[1:4], v9, off offset:-16
	scratch_load_b128 v[5:8], off, s10
	s_wait_loadcnt 0x1
	scratch_store_b128 off, v[1:4], s10
	s_wait_loadcnt 0x0
	scratch_store_b128 v9, v[5:8], off offset:-16
.LBB60_398:
	global_load_b32 v0, v0, s[16:17] offset:224
	s_wait_loadcnt 0x0
	v_cmp_eq_u32_e32 vcc_lo, 57, v0
	s_cbranch_vccnz .LBB60_400
; %bb.399:
	v_lshlrev_b32_e32 v0, 4, v0
	s_delay_alu instid0(VALU_DEP_1)
	v_add_nc_u32_e32 v8, 16, v0
	s_clause 0x1
	scratch_load_b128 v[0:3], v8, off offset:-16
	scratch_load_b128 v[4:7], off, s9
	s_wait_loadcnt 0x1
	scratch_store_b128 off, v[0:3], s9
	s_wait_loadcnt 0x0
	scratch_store_b128 v8, v[4:7], off offset:-16
.LBB60_400:
	v_mov_b32_e32 v0, 0
	global_load_b32 v1, v0, s[16:17] offset:220
	s_wait_loadcnt 0x0
	v_cmp_eq_u32_e32 vcc_lo, 56, v1
	s_cbranch_vccnz .LBB60_402
; %bb.401:
	v_lshlrev_b32_e32 v1, 4, v1
	s_delay_alu instid0(VALU_DEP_1)
	v_add_nc_u32_e32 v9, 16, v1
	s_clause 0x1
	scratch_load_b128 v[1:4], v9, off offset:-16
	scratch_load_b128 v[5:8], off, s13
	s_wait_loadcnt 0x1
	scratch_store_b128 off, v[1:4], s13
	s_wait_loadcnt 0x0
	scratch_store_b128 v9, v[5:8], off offset:-16
.LBB60_402:
	;; [unrolled: 33-line block ×29, first 2 shown]
	global_load_b32 v0, v0, s[16:17]
	s_wait_loadcnt 0x0
	v_cmp_eq_u32_e32 vcc_lo, 1, v0
	s_cbranch_vccnz .LBB60_512
; %bb.511:
	v_lshlrev_b32_e32 v0, 4, v0
	s_delay_alu instid0(VALU_DEP_1)
	v_add_nc_u32_e32 v8, 16, v0
	scratch_load_b128 v[0:3], v8, off offset:-16
	scratch_load_b128 v[4:7], off, off offset:16
	s_wait_loadcnt 0x1
	scratch_store_b128 off, v[0:3], off offset:16
	s_wait_loadcnt 0x0
	scratch_store_b128 v8, v[4:7], off offset:-16
.LBB60_512:
	scratch_load_b128 v[0:3], off, off offset:16
	s_clause 0xd
	scratch_load_b128 v[4:7], off, s55
	scratch_load_b128 v[8:11], off, s53
	;; [unrolled: 1-line block ×14, first 2 shown]
	s_wait_loadcnt 0xe
	global_store_b128 v[42:43], v[0:3], off
	s_clause 0x2
	scratch_load_b128 v[0:3], off, s61
	scratch_load_b128 v[40:43], off, s60
	;; [unrolled: 1-line block ×3, first 2 shown]
	s_wait_loadcnt 0x10
	global_store_b128 v[44:45], v[4:7], off
	scratch_load_b128 v[4:7], off, s58
	s_wait_loadcnt 0x10
	global_store_b128 v[46:47], v[8:11], off
	s_clause 0x1
	scratch_load_b128 v[8:11], off, s57
	scratch_load_b128 v[44:47], off, s56
	s_wait_loadcnt 0x11
	global_store_b128 v[48:49], v[12:15], off
	scratch_load_b128 v[12:15], off, s54
	s_wait_loadcnt 0x11
	global_store_b128 v[62:63], v[16:19], off
	scratch_load_b128 v[16:19], off, s50
	s_wait_loadcnt 0x11
	global_store_b128 v[56:57], v[20:23], off
	s_clause 0x1
	scratch_load_b128 v[20:23], off, s48
	scratch_load_b128 v[188:191], off, s49
	s_wait_loadcnt 0x12
	global_store_b128 v[58:59], v[24:27], off
	s_clause 0x1
	scratch_load_b128 v[24:27], off, s47
	scratch_load_b128 v[56:59], off, s46
	s_wait_loadcnt 0x13
	global_store_b128 v[52:53], v[28:31], off
	s_wait_loadcnt 0x12
	global_store_b128 v[70:71], v[32:35], off
	s_clause 0x2
	scratch_load_b128 v[28:31], off, s45
	scratch_load_b128 v[32:35], off, s44
	scratch_load_b128 v[192:195], off, s43
	s_wait_loadcnt 0x14
	global_store_b128 v[50:51], v[36:39], off
	s_wait_loadcnt 0x13
	global_store_b128 v[64:65], v[164:167], off
	s_clause 0x2
	scratch_load_b128 v[36:39], off, s42
	;; [unrolled: 8-line block ×3, first 2 shown]
	scratch_load_b128 v[164:167], off, s38
	s_wait_loadcnt 0x15
	global_store_b128 v[68:69], v[176:179], off
	s_clause 0x1
	scratch_load_b128 v[68:71], off, s36
	scratch_load_b128 v[168:171], off, s37
	s_wait_loadcnt 0x16
	global_store_b128 v[72:73], v[180:183], off
	s_clause 0x1
	scratch_load_b128 v[172:175], off, s35
	scratch_load_b128 v[176:179], off, s34
	s_wait_loadcnt 0x17
	global_store_b128 v[60:61], v[0:3], off
	s_wait_loadcnt 0x16
	global_store_b128 v[82:83], v[40:43], off
	s_clause 0x1
	scratch_load_b128 v[0:3], off, s33
	scratch_load_b128 v[40:43], off, s31
	s_wait_loadcnt 0x17
	global_store_b128 v[74:75], v[184:187], off
	s_clause 0x1
	scratch_load_b128 v[72:75], off, s29
	scratch_load_b128 v[180:183], off, s30
	s_wait_loadcnt 0x18
	global_store_b128 v[78:79], v[4:7], off
	s_clause 0x1
	scratch_load_b128 v[4:7], off, s26
	scratch_load_b128 v[76:79], off, s25
	s_wait_loadcnt 0x19
	global_store_b128 v[66:67], v[8:11], off
	s_wait_loadcnt 0x18
	global_store_b128 v[92:93], v[44:47], off
	s_clause 0x1
	scratch_load_b128 v[8:11], off, s24
	;; [unrolled: 17-line block ×4, first 2 shown]
	scratch_load_b128 v[32:35], off, s4
	s_wait_loadcnt 0x1d
	global_store_b128 v[100:101], v[192:195], off
	s_clause 0x1
	scratch_load_b128 v[98:101], off, s5
	scratch_load_b128 v[188:191], off, s8
	s_wait_loadcnt 0x1e
	global_store_b128 v[102:103], v[36:39], off
	s_wait_loadcnt 0x1d
	global_store_b128 v[104:105], v[48:51], off
	;; [unrolled: 2-line block ×31, first 2 shown]
	s_nop 0
	s_sendmsg sendmsg(MSG_DEALLOC_VGPRS)
	s_endpgm
	.section	.rodata,"a",@progbits
	.p2align	6, 0x0
	.amdhsa_kernel _ZN9rocsolver6v33100L18getri_kernel_smallILi61E19rocblas_complex_numIdEPS3_EEvT1_iilPiilS6_bb
		.amdhsa_group_segment_fixed_size 1960
		.amdhsa_private_segment_fixed_size 1008
		.amdhsa_kernarg_size 60
		.amdhsa_user_sgpr_count 2
		.amdhsa_user_sgpr_dispatch_ptr 0
		.amdhsa_user_sgpr_queue_ptr 0
		.amdhsa_user_sgpr_kernarg_segment_ptr 1
		.amdhsa_user_sgpr_dispatch_id 0
		.amdhsa_user_sgpr_private_segment_size 0
		.amdhsa_wavefront_size32 1
		.amdhsa_uses_dynamic_stack 0
		.amdhsa_enable_private_segment 1
		.amdhsa_system_sgpr_workgroup_id_x 1
		.amdhsa_system_sgpr_workgroup_id_y 0
		.amdhsa_system_sgpr_workgroup_id_z 0
		.amdhsa_system_sgpr_workgroup_info 0
		.amdhsa_system_vgpr_workitem_id 0
		.amdhsa_next_free_vgpr 210
		.amdhsa_next_free_sgpr 88
		.amdhsa_reserve_vcc 1
		.amdhsa_float_round_mode_32 0
		.amdhsa_float_round_mode_16_64 0
		.amdhsa_float_denorm_mode_32 3
		.amdhsa_float_denorm_mode_16_64 3
		.amdhsa_fp16_overflow 0
		.amdhsa_workgroup_processor_mode 1
		.amdhsa_memory_ordered 1
		.amdhsa_forward_progress 1
		.amdhsa_inst_pref_size 255
		.amdhsa_round_robin_scheduling 0
		.amdhsa_exception_fp_ieee_invalid_op 0
		.amdhsa_exception_fp_denorm_src 0
		.amdhsa_exception_fp_ieee_div_zero 0
		.amdhsa_exception_fp_ieee_overflow 0
		.amdhsa_exception_fp_ieee_underflow 0
		.amdhsa_exception_fp_ieee_inexact 0
		.amdhsa_exception_int_div_zero 0
	.end_amdhsa_kernel
	.section	.text._ZN9rocsolver6v33100L18getri_kernel_smallILi61E19rocblas_complex_numIdEPS3_EEvT1_iilPiilS6_bb,"axG",@progbits,_ZN9rocsolver6v33100L18getri_kernel_smallILi61E19rocblas_complex_numIdEPS3_EEvT1_iilPiilS6_bb,comdat
.Lfunc_end60:
	.size	_ZN9rocsolver6v33100L18getri_kernel_smallILi61E19rocblas_complex_numIdEPS3_EEvT1_iilPiilS6_bb, .Lfunc_end60-_ZN9rocsolver6v33100L18getri_kernel_smallILi61E19rocblas_complex_numIdEPS3_EEvT1_iilPiilS6_bb
                                        ; -- End function
	.set _ZN9rocsolver6v33100L18getri_kernel_smallILi61E19rocblas_complex_numIdEPS3_EEvT1_iilPiilS6_bb.num_vgpr, 210
	.set _ZN9rocsolver6v33100L18getri_kernel_smallILi61E19rocblas_complex_numIdEPS3_EEvT1_iilPiilS6_bb.num_agpr, 0
	.set _ZN9rocsolver6v33100L18getri_kernel_smallILi61E19rocblas_complex_numIdEPS3_EEvT1_iilPiilS6_bb.numbered_sgpr, 88
	.set _ZN9rocsolver6v33100L18getri_kernel_smallILi61E19rocblas_complex_numIdEPS3_EEvT1_iilPiilS6_bb.num_named_barrier, 0
	.set _ZN9rocsolver6v33100L18getri_kernel_smallILi61E19rocblas_complex_numIdEPS3_EEvT1_iilPiilS6_bb.private_seg_size, 1008
	.set _ZN9rocsolver6v33100L18getri_kernel_smallILi61E19rocblas_complex_numIdEPS3_EEvT1_iilPiilS6_bb.uses_vcc, 1
	.set _ZN9rocsolver6v33100L18getri_kernel_smallILi61E19rocblas_complex_numIdEPS3_EEvT1_iilPiilS6_bb.uses_flat_scratch, 1
	.set _ZN9rocsolver6v33100L18getri_kernel_smallILi61E19rocblas_complex_numIdEPS3_EEvT1_iilPiilS6_bb.has_dyn_sized_stack, 0
	.set _ZN9rocsolver6v33100L18getri_kernel_smallILi61E19rocblas_complex_numIdEPS3_EEvT1_iilPiilS6_bb.has_recursion, 0
	.set _ZN9rocsolver6v33100L18getri_kernel_smallILi61E19rocblas_complex_numIdEPS3_EEvT1_iilPiilS6_bb.has_indirect_call, 0
	.section	.AMDGPU.csdata,"",@progbits
; Kernel info:
; codeLenInByte = 143932
; TotalNumSgprs: 90
; NumVgprs: 210
; ScratchSize: 1008
; MemoryBound: 0
; FloatMode: 240
; IeeeMode: 1
; LDSByteSize: 1960 bytes/workgroup (compile time only)
; SGPRBlocks: 0
; VGPRBlocks: 26
; NumSGPRsForWavesPerEU: 90
; NumVGPRsForWavesPerEU: 210
; Occupancy: 7
; WaveLimiterHint : 1
; COMPUTE_PGM_RSRC2:SCRATCH_EN: 1
; COMPUTE_PGM_RSRC2:USER_SGPR: 2
; COMPUTE_PGM_RSRC2:TRAP_HANDLER: 0
; COMPUTE_PGM_RSRC2:TGID_X_EN: 1
; COMPUTE_PGM_RSRC2:TGID_Y_EN: 0
; COMPUTE_PGM_RSRC2:TGID_Z_EN: 0
; COMPUTE_PGM_RSRC2:TIDIG_COMP_CNT: 0
	.section	.text._ZN9rocsolver6v33100L18getri_kernel_smallILi62E19rocblas_complex_numIdEPS3_EEvT1_iilPiilS6_bb,"axG",@progbits,_ZN9rocsolver6v33100L18getri_kernel_smallILi62E19rocblas_complex_numIdEPS3_EEvT1_iilPiilS6_bb,comdat
	.globl	_ZN9rocsolver6v33100L18getri_kernel_smallILi62E19rocblas_complex_numIdEPS3_EEvT1_iilPiilS6_bb ; -- Begin function _ZN9rocsolver6v33100L18getri_kernel_smallILi62E19rocblas_complex_numIdEPS3_EEvT1_iilPiilS6_bb
	.p2align	8
	.type	_ZN9rocsolver6v33100L18getri_kernel_smallILi62E19rocblas_complex_numIdEPS3_EEvT1_iilPiilS6_bb,@function
_ZN9rocsolver6v33100L18getri_kernel_smallILi62E19rocblas_complex_numIdEPS3_EEvT1_iilPiilS6_bb: ; @_ZN9rocsolver6v33100L18getri_kernel_smallILi62E19rocblas_complex_numIdEPS3_EEvT1_iilPiilS6_bb
; %bb.0:
	s_mov_b32 s2, exec_lo
	v_cmpx_gt_u32_e32 62, v0
	s_cbranch_execz .LBB61_274
; %bb.1:
	s_clause 0x2
	s_load_b32 s2, s[0:1], 0x38
	s_load_b128 s[12:15], s[0:1], 0x10
	s_load_b128 s[4:7], s[0:1], 0x28
	s_mov_b32 s18, ttmp9
                                        ; implicit-def: $sgpr16_sgpr17
	s_wait_kmcnt 0x0
	s_bitcmp1_b32 s2, 8
	s_cselect_b32 s20, -1, 0
	s_bfe_u32 s2, s2, 0x10008
	s_ashr_i32 s19, ttmp9, 31
	s_cmp_eq_u32 s2, 0
	s_cbranch_scc1 .LBB61_3
; %bb.2:
	s_load_b32 s2, s[0:1], 0x20
	s_mul_u64 s[4:5], s[4:5], s[18:19]
	s_delay_alu instid0(SALU_CYCLE_1) | instskip(NEXT) | instid1(SALU_CYCLE_1)
	s_lshl_b64 s[4:5], s[4:5], 2
	s_add_nc_u64 s[4:5], s[14:15], s[4:5]
	s_wait_kmcnt 0x0
	s_ashr_i32 s3, s2, 31
	s_delay_alu instid0(SALU_CYCLE_1) | instskip(NEXT) | instid1(SALU_CYCLE_1)
	s_lshl_b64 s[2:3], s[2:3], 2
	s_add_nc_u64 s[16:17], s[4:5], s[2:3]
.LBB61_3:
	s_clause 0x1
	s_load_b128 s[8:11], s[0:1], 0x0
	s_load_b32 s2, s[0:1], 0x38
	s_mul_u64 s[0:1], s[12:13], s[18:19]
	v_lshlrev_b32_e32 v13, 4, v0
	s_lshl_b64 s[0:1], s[0:1], 4
	s_movk_i32 s22, 0x130
	s_movk_i32 s23, 0x140
	;; [unrolled: 1-line block ×6, first 2 shown]
	s_add_co_i32 s52, s22, 16
	s_add_co_i32 s53, s23, 16
	;; [unrolled: 1-line block ×3, first 2 shown]
	s_movk_i32 s14, 0x100
	s_movk_i32 s15, 0x110
	;; [unrolled: 1-line block ×4, first 2 shown]
	s_add_co_i32 s50, s24, 16
	s_add_co_i32 s40, s27, 16
	s_wait_kmcnt 0x0
	s_ashr_i32 s5, s10, 31
	s_mov_b32 s4, s10
	s_add_nc_u64 s[0:1], s[8:9], s[0:1]
	s_lshl_b64 s[4:5], s[4:5], 4
	v_add3_u32 v9, s11, s11, v0
	s_add_nc_u64 s[0:1], s[0:1], s[4:5]
	s_ashr_i32 s5, s11, 31
	global_load_b128 v[1:4], v13, s[0:1]
	v_add_co_u32 v42, s3, s0, v13
	v_ashrrev_i32_e32 v10, 31, v9
	s_mov_b32 s4, s11
	v_add_co_ci_u32_e64 v43, null, s1, 0, s3
	s_lshl_b64 s[4:5], s[4:5], 4
	v_lshlrev_b64_e32 v[10:11], 4, v[9:10]
	v_add_nc_u32_e32 v9, s11, v9
	v_add_co_u32 v44, vcc_lo, v42, s4
	s_delay_alu instid0(VALU_DEP_1) | instskip(NEXT) | instid1(VALU_DEP_4)
	v_add_co_ci_u32_e64 v45, null, s5, v43, vcc_lo
	v_add_co_u32 v46, vcc_lo, s0, v10
	s_wait_alu 0xfffd
	v_add_co_ci_u32_e64 v47, null, s1, v11, vcc_lo
	v_add_nc_u32_e32 v11, s11, v9
	v_ashrrev_i32_e32 v10, 31, v9
	s_clause 0x1
	global_load_b128 v[5:8], v[44:45], off
	global_load_b128 v[14:17], v[46:47], off
	s_add_co_i32 s24, s33, 16
	v_add_nc_u32_e32 v18, s11, v11
	v_ashrrev_i32_e32 v12, 31, v11
	v_lshlrev_b64_e32 v[9:10], 4, v[9:10]
	s_movk_i32 s10, 0xc0
	s_movk_i32 s13, 0xf0
	v_add_nc_u32_e32 v20, s11, v18
	v_lshlrev_b64_e32 v[22:23], 4, v[11:12]
	v_ashrrev_i32_e32 v19, 31, v18
	v_add_co_u32 v48, vcc_lo, s0, v9
	s_delay_alu instid0(VALU_DEP_4)
	v_add_nc_u32_e32 v24, s11, v20
	v_ashrrev_i32_e32 v21, 31, v20
	s_wait_alu 0xfffd
	v_add_co_ci_u32_e64 v49, null, s1, v10, vcc_lo
	v_lshlrev_b64_e32 v[18:19], 4, v[18:19]
	v_add_nc_u32_e32 v26, s11, v24
	v_ashrrev_i32_e32 v25, 31, v24
	v_add_co_u32 v50, vcc_lo, s0, v22
	s_wait_alu 0xfffd
	v_add_co_ci_u32_e64 v51, null, s1, v23, vcc_lo
	v_add_nc_u32_e32 v30, s11, v26
	v_ashrrev_i32_e32 v27, 31, v26
	v_lshlrev_b64_e32 v[22:23], 4, v[20:21]
	v_lshlrev_b64_e32 v[24:25], 4, v[24:25]
	v_add_co_u32 v52, vcc_lo, s0, v18
	v_add_nc_u32_e32 v34, s11, v30
	v_ashrrev_i32_e32 v31, 31, v30
	v_lshlrev_b64_e32 v[32:33], 4, v[26:27]
	s_wait_alu 0xfffd
	v_add_co_ci_u32_e64 v53, null, s1, v19, vcc_lo
	v_add_nc_u32_e32 v38, s11, v34
	v_ashrrev_i32_e32 v35, 31, v34
	v_add_co_u32 v54, vcc_lo, s0, v22
	v_lshlrev_b64_e32 v[30:31], 4, v[30:31]
	s_delay_alu instid0(VALU_DEP_4)
	v_add_nc_u32_e32 v64, s11, v38
	v_ashrrev_i32_e32 v39, 31, v38
	s_wait_alu 0xfffd
	v_add_co_ci_u32_e64 v55, null, s1, v23, vcc_lo
	v_add_co_u32 v56, vcc_lo, s0, v24
	v_add_nc_u32_e32 v66, s11, v64
	v_ashrrev_i32_e32 v65, 31, v64
	v_lshlrev_b64_e32 v[40:41], 4, v[34:35]
	global_load_b128 v[9:12], v[48:49], off
	s_wait_alu 0xfffd
	v_add_co_ci_u32_e64 v57, null, s1, v25, vcc_lo
	v_add_nc_u32_e32 v70, s11, v66
	v_ashrrev_i32_e32 v67, 31, v66
	v_add_co_u32 v58, vcc_lo, s0, v32
	v_lshlrev_b64_e32 v[38:39], 4, v[38:39]
	s_wait_alu 0xfffd
	v_add_co_ci_u32_e64 v59, null, s1, v33, vcc_lo
	v_add_co_u32 v60, vcc_lo, s0, v30
	v_lshlrev_b64_e32 v[68:69], 4, v[64:65]
	v_add_nc_u32_e32 v74, s11, v70
	s_wait_alu 0xfffd
	v_add_co_ci_u32_e64 v61, null, s1, v31, vcc_lo
	v_add_co_u32 v62, vcc_lo, s0, v40
	v_lshlrev_b64_e32 v[72:73], 4, v[66:67]
	s_wait_alu 0xfffd
	v_add_co_ci_u32_e64 v63, null, s1, v41, vcc_lo
	v_add_co_u32 v64, vcc_lo, s0, v38
	v_ashrrev_i32_e32 v75, 31, v74
	v_add_nc_u32_e32 v76, s11, v74
	s_wait_alu 0xfffd
	v_add_co_ci_u32_e64 v65, null, s1, v39, vcc_lo
	v_add_co_u32 v66, vcc_lo, s0, v68
	s_wait_alu 0xfffd
	v_add_co_ci_u32_e64 v67, null, s1, v69, vcc_lo
	v_add_co_u32 v68, vcc_lo, s0, v72
	s_wait_alu 0xfffd
	v_add_co_ci_u32_e64 v69, null, s1, v73, vcc_lo
	v_lshlrev_b64_e32 v[72:73], 4, v[74:75]
	v_add_nc_u32_e32 v74, s11, v76
	v_ashrrev_i32_e32 v71, 31, v70
	v_ashrrev_i32_e32 v77, 31, v76
	s_clause 0x2
	global_load_b128 v[18:21], v[50:51], off
	global_load_b128 v[22:25], v[52:53], off
	;; [unrolled: 1-line block ×3, first 2 shown]
	v_add_nc_u32_e32 v78, s11, v74
	v_lshlrev_b64_e32 v[70:71], 4, v[70:71]
	v_ashrrev_i32_e32 v75, 31, v74
	v_lshlrev_b64_e32 v[76:77], 4, v[76:77]
	s_clause 0x1
	global_load_b128 v[30:33], v[56:57], off
	global_load_b128 v[34:37], v[58:59], off
	v_add_nc_u32_e32 v82, s11, v78
	v_ashrrev_i32_e32 v79, 31, v78
	v_add_co_u32 v70, vcc_lo, s0, v70
	v_lshlrev_b64_e32 v[80:81], 4, v[74:75]
	s_wait_alu 0xfffd
	v_add_co_ci_u32_e64 v71, null, s1, v71, vcc_lo
	v_add_co_u32 v72, vcc_lo, s0, v72
	v_ashrrev_i32_e32 v83, 31, v82
	v_add_nc_u32_e32 v84, s11, v82
	s_wait_alu 0xfffd
	v_add_co_ci_u32_e64 v73, null, s1, v73, vcc_lo
	v_add_co_u32 v74, vcc_lo, s0, v76
	s_wait_alu 0xfffd
	v_add_co_ci_u32_e64 v75, null, s1, v77, vcc_lo
	v_add_co_u32 v76, vcc_lo, s0, v80
	s_wait_alu 0xfffd
	v_add_co_ci_u32_e64 v77, null, s1, v81, vcc_lo
	v_lshlrev_b64_e32 v[80:81], 4, v[82:83]
	v_add_nc_u32_e32 v82, s11, v84
	v_ashrrev_i32_e32 v85, 31, v84
	v_lshlrev_b64_e32 v[78:79], 4, v[78:79]
	s_clause 0x3
	global_load_b128 v[38:41], v[60:61], off
	global_load_b128 v[130:133], v[62:63], off
	;; [unrolled: 1-line block ×4, first 2 shown]
	v_add_nc_u32_e32 v86, s11, v82
	v_ashrrev_i32_e32 v83, 31, v82
	v_lshlrev_b64_e32 v[84:85], 4, v[84:85]
	v_add_co_u32 v78, vcc_lo, s0, v78
	s_delay_alu instid0(VALU_DEP_4)
	v_add_nc_u32_e32 v90, s11, v86
	v_ashrrev_i32_e32 v87, 31, v86
	v_lshlrev_b64_e32 v[88:89], 4, v[82:83]
	s_wait_alu 0xfffd
	v_add_co_ci_u32_e64 v79, null, s1, v79, vcc_lo
	v_ashrrev_i32_e32 v91, 31, v90
	v_add_co_u32 v80, vcc_lo, s0, v80
	v_lshlrev_b64_e32 v[86:87], 4, v[86:87]
	v_add_nc_u32_e32 v92, s11, v90
	s_wait_alu 0xfffd
	v_add_co_ci_u32_e64 v81, null, s1, v81, vcc_lo
	v_add_co_u32 v82, vcc_lo, s0, v84
	v_lshlrev_b64_e32 v[90:91], 4, v[90:91]
	s_wait_alu 0xfffd
	v_add_co_ci_u32_e64 v83, null, s1, v85, vcc_lo
	v_add_co_u32 v84, vcc_lo, s0, v88
	v_ashrrev_i32_e32 v93, 31, v92
	v_add_nc_u32_e32 v94, s11, v92
	s_wait_alu 0xfffd
	v_add_co_ci_u32_e64 v85, null, s1, v89, vcc_lo
	v_add_co_u32 v88, vcc_lo, s0, v86
	s_wait_alu 0xfffd
	v_add_co_ci_u32_e64 v89, null, s1, v87, vcc_lo
	v_add_co_u32 v86, vcc_lo, s0, v90
	s_wait_alu 0xfffd
	v_add_co_ci_u32_e64 v87, null, s1, v91, vcc_lo
	v_lshlrev_b64_e32 v[90:91], 4, v[92:93]
	v_add_nc_u32_e32 v92, s11, v94
	v_ashrrev_i32_e32 v95, 31, v94
	s_clause 0x5
	global_load_b128 v[142:145], v[68:69], off
	global_load_b128 v[146:149], v[70:71], off
	;; [unrolled: 1-line block ×6, first 2 shown]
	v_add_nc_u32_e32 v96, s11, v92
	v_ashrrev_i32_e32 v93, 31, v92
	v_lshlrev_b64_e32 v[94:95], 4, v[94:95]
	s_clause 0x1
	global_load_b128 v[166:169], v[80:81], off
	global_load_b128 v[170:173], v[82:83], off
	v_add_co_u32 v90, vcc_lo, s0, v90
	v_add_nc_u32_e32 v98, s11, v96
	v_ashrrev_i32_e32 v97, 31, v96
	v_lshlrev_b64_e32 v[92:93], 4, v[92:93]
	s_wait_alu 0xfffd
	v_add_co_ci_u32_e64 v91, null, s1, v91, vcc_lo
	v_ashrrev_i32_e32 v99, 31, v98
	v_lshlrev_b64_e32 v[96:97], 4, v[96:97]
	v_add_nc_u32_e32 v100, s11, v98
	v_add_co_u32 v94, vcc_lo, s0, v94
	s_delay_alu instid0(VALU_DEP_4)
	v_lshlrev_b64_e32 v[101:102], 4, v[98:99]
	s_wait_alu 0xfffd
	v_add_co_ci_u32_e64 v95, null, s1, v95, vcc_lo
	v_add_co_u32 v92, vcc_lo, s0, v92
	v_add_nc_u32_e32 v104, s11, v100
	s_wait_alu 0xfffd
	v_add_co_ci_u32_e64 v93, null, s1, v93, vcc_lo
	v_add_co_u32 v98, vcc_lo, s0, v96
	s_wait_alu 0xfffd
	v_add_co_ci_u32_e64 v99, null, s1, v97, vcc_lo
	v_add_co_u32 v96, vcc_lo, s0, v101
	v_ashrrev_i32_e32 v101, 31, v100
	v_ashrrev_i32_e32 v105, 31, v104
	s_wait_alu 0xfffd
	v_add_co_ci_u32_e64 v97, null, s1, v102, vcc_lo
	global_load_b128 v[174:177], v[84:85], off
	v_lshlrev_b64_e32 v[100:101], 4, v[100:101]
	v_lshlrev_b64_e32 v[105:106], 4, v[104:105]
	s_clause 0x2
	global_load_b128 v[178:181], v[88:89], off
	global_load_b128 v[182:185], v[86:87], off
	;; [unrolled: 1-line block ×3, first 2 shown]
	v_add_nc_u32_e32 v104, s11, v104
	s_clause 0x1
	global_load_b128 v[186:189], v[90:91], off
	global_load_b128 v[194:197], v[92:93], off
	v_add_co_u32 v102, vcc_lo, s0, v100
	s_wait_alu 0xfffd
	v_add_co_ci_u32_e64 v103, null, s1, v101, vcc_lo
	v_add_co_u32 v100, vcc_lo, s0, v105
	s_wait_alu 0xfffd
	v_add_co_ci_u32_e64 v101, null, s1, v106, vcc_lo
	v_add_nc_u32_e32 v106, s11, v104
	v_ashrrev_i32_e32 v105, 31, v104
	s_clause 0x2
	global_load_b128 v[190:193], v[94:95], off
	global_load_b128 v[202:205], v[96:97], off
	;; [unrolled: 1-line block ×3, first 2 shown]
	v_ashrrev_i32_e32 v107, 31, v106
	s_movk_i32 s35, 0x1f0
	s_movk_i32 s43, 0x240
	s_add_co_i32 s55, s14, 16
	s_add_co_i32 s56, s15, 16
	;; [unrolled: 1-line block ×4, first 2 shown]
	s_movk_i32 s5, 0x90
	s_movk_i32 s39, 0x210
	;; [unrolled: 1-line block ×3, first 2 shown]
	s_wait_alu 0xfffe
	s_add_co_i32 s65, s10, 16
	s_add_co_i32 s57, s13, 16
	;; [unrolled: 1-line block ×4, first 2 shown]
	s_movk_i32 s3, 0x70
	s_movk_i32 s4, 0x80
	;; [unrolled: 1-line block ×25, first 2 shown]
	s_add_co_i32 s68, s5, 16
	s_add_co_i32 s5, s44, 16
	s_wait_alu 0xfffe
	s_add_co_i32 s70, s3, 16
	s_add_co_i32 s69, s4, 16
	s_add_co_i32 s67, s8, 16
	s_add_co_i32 s66, s9, 16
	s_add_co_i32 s59, s12, 16
	s_add_co_i32 s54, s21, 16
	s_add_co_i32 s45, s25, 16
	s_add_co_i32 s46, s26, 16
	s_add_co_i32 s36, s28, 16
	s_add_co_i32 s37, s29, 16
	s_add_co_i32 s28, s30, 16
	s_add_co_i32 s12, s41, 16
	s_add_co_i32 s9, s42, 16
	s_add_co_i32 s8, s47, 16
	s_add_co_i32 s4, s48, 16
	s_add_co_i32 s51, s49, 16
	s_add_co_i32 s47, s58, 16
	s_add_co_i32 s48, s73, 16
	s_add_co_i32 s41, s74, 16
	s_add_co_i32 s42, s75, 16
	s_add_co_i32 s29, s76, 16
	s_add_co_i32 s30, s77, 16
	s_add_co_i32 s25, s78, 16
	s_add_co_i32 s26, s79, 16
	s_add_co_i32 s21, s80, 16
	s_mov_b32 s63, 32
	s_mov_b32 s62, 48
	;; [unrolled: 1-line block ×3, first 2 shown]
	s_movk_i32 s60, 0x50
	s_wait_loadcnt 0x1d
	scratch_store_b128 off, v[1:4], off offset:16
	global_load_b128 v[1:4], v[100:101], off
	s_wait_loadcnt 0x1d
	scratch_store_b128 off, v[5:8], off offset:32
	v_add_nc_u32_e32 v5, s11, v106
	v_lshlrev_b64_e32 v[7:8], 4, v[104:105]
	v_lshlrev_b64_e32 v[106:107], 4, v[106:107]
	s_wait_loadcnt 0x1c
	scratch_store_b128 off, v[14:17], off offset:48
	v_ashrrev_i32_e32 v6, 31, v5
	v_add_co_u32 v104, vcc_lo, s0, v7
	v_add_nc_u32_e32 v7, s11, v5
	s_delay_alu instid0(VALU_DEP_3)
	v_lshlrev_b64_e32 v[5:6], 4, v[5:6]
	s_wait_alu 0xfffd
	v_add_co_ci_u32_e64 v105, null, s1, v8, vcc_lo
	v_add_co_u32 v106, vcc_lo, s0, v106
	v_add_nc_u32_e32 v14, s11, v7
	v_ashrrev_i32_e32 v8, 31, v7
	s_wait_alu 0xfffd
	v_add_co_ci_u32_e64 v107, null, s1, v107, vcc_lo
	v_add_co_u32 v108, vcc_lo, s0, v5
	v_add_nc_u32_e32 v5, s11, v14
	v_lshlrev_b64_e32 v[7:8], 4, v[7:8]
	v_ashrrev_i32_e32 v15, 31, v14
	s_wait_alu 0xfffd
	v_add_co_ci_u32_e64 v109, null, s1, v6, vcc_lo
	v_ashrrev_i32_e32 v6, 31, v5
	s_delay_alu instid0(VALU_DEP_4) | instskip(SKIP_3) | instid1(VALU_DEP_2)
	v_add_co_u32 v110, vcc_lo, s0, v7
	v_lshlrev_b64_e32 v[14:15], 4, v[14:15]
	s_wait_alu 0xfffd
	v_add_co_ci_u32_e64 v111, null, s1, v8, vcc_lo
	v_add_co_u32 v112, vcc_lo, s0, v14
	s_wait_alu 0xfffd
	s_delay_alu instid0(VALU_DEP_3) | instskip(SKIP_4) | instid1(VALU_DEP_2)
	v_add_co_ci_u32_e64 v113, null, s1, v15, vcc_lo
	s_wait_loadcnt 0x1b
	scratch_store_b128 off, v[9:12], off offset:64
	v_add_nc_u32_e32 v9, s11, v5
	v_lshlrev_b64_e32 v[5:6], 4, v[5:6]
	v_add_nc_u32_e32 v7, s11, v9
	v_ashrrev_i32_e32 v10, 31, v9
	s_delay_alu instid0(VALU_DEP_3) | instskip(SKIP_1) | instid1(VALU_DEP_4)
	v_add_co_u32 v114, vcc_lo, s0, v5
	s_wait_alu 0xfffd
	v_add_co_ci_u32_e64 v115, null, s1, v6, vcc_lo
	v_add_nc_u32_e32 v11, s11, v7
	v_lshlrev_b64_e32 v[9:10], 4, v[9:10]
	v_ashrrev_i32_e32 v8, 31, v7
	s_delay_alu instid0(VALU_DEP_3) | instskip(SKIP_1) | instid1(VALU_DEP_4)
	v_add_nc_u32_e32 v5, s11, v11
	v_ashrrev_i32_e32 v12, 31, v11
	v_add_co_u32 v116, vcc_lo, s0, v9
	s_wait_alu 0xfffd
	v_add_co_ci_u32_e64 v117, null, s1, v10, vcc_lo
	s_delay_alu instid0(VALU_DEP_3) | instskip(SKIP_3) | instid1(VALU_DEP_3)
	v_lshlrev_b64_e32 v[9:10], 4, v[11:12]
	v_add_nc_u32_e32 v11, s11, v5
	v_lshlrev_b64_e32 v[7:8], 4, v[7:8]
	v_ashrrev_i32_e32 v6, 31, v5
	v_add_nc_u32_e32 v14, s11, v11
	v_ashrrev_i32_e32 v12, 31, v11
	s_delay_alu instid0(VALU_DEP_4) | instskip(NEXT) | instid1(VALU_DEP_4)
	v_add_co_u32 v118, vcc_lo, s0, v7
	v_lshlrev_b64_e32 v[5:6], 4, v[5:6]
	s_delay_alu instid0(VALU_DEP_4)
	v_add_nc_u32_e32 v16, s11, v14
	s_wait_alu 0xfffd
	v_add_co_ci_u32_e64 v119, null, s1, v8, vcc_lo
	v_lshlrev_b64_e32 v[7:8], 4, v[11:12]
	v_add_co_u32 v120, vcc_lo, s0, v9
	s_wait_loadcnt 0x1a
	scratch_store_b128 off, v[18:21], off offset:80
	s_wait_loadcnt 0x19
	scratch_store_b128 off, v[22:25], off offset:96
	v_add_nc_u32_e32 v22, s11, v16
	s_wait_loadcnt 0x18
	scratch_store_b128 off, v[26:29], off offset:112
	s_wait_loadcnt 0x17
	scratch_store_b128 off, v[30:33], off offset:128
	;; [unrolled: 2-line block ×3, first 2 shown]
	s_wait_alu 0xfffd
	v_add_co_ci_u32_e64 v121, null, s1, v10, vcc_lo
	v_add_nc_u32_e32 v24, s11, v22
	v_ashrrev_i32_e32 v15, 31, v14
	v_add_co_u32 v122, vcc_lo, s0, v5
	s_wait_alu 0xfffd
	v_add_co_ci_u32_e64 v123, null, s1, v6, vcc_lo
	v_add_nc_u32_e32 v30, s11, v24
	v_ashrrev_i32_e32 v17, 31, v16
	v_add_co_u32 v124, vcc_lo, s0, v7
	s_wait_alu 0xfffd
	v_add_co_ci_u32_e64 v125, null, s1, v8, vcc_lo
	v_add_nc_u32_e32 v32, s11, v30
	s_clause 0x1
	global_load_b128 v[5:8], v[104:105], off
	global_load_b128 v[9:12], v[106:107], off
	v_ashrrev_i32_e32 v23, 31, v22
	v_lshlrev_b64_e32 v[14:15], 4, v[14:15]
	v_ashrrev_i32_e32 v25, 31, v24
	v_lshlrev_b64_e32 v[16:17], 4, v[16:17]
	;; [unrolled: 2-line block ×3, first 2 shown]
	v_ashrrev_i32_e32 v33, 31, v32
	v_add_co_u32 v126, vcc_lo, s0, v14
	s_wait_loadcnt 0x17
	scratch_store_b128 off, v[38:41], off offset:160
	v_add_nc_u32_e32 v38, s11, v32
	v_lshlrev_b64_e32 v[24:25], 4, v[24:25]
	s_wait_alu 0xfffd
	v_add_co_ci_u32_e64 v127, null, s1, v15, vcc_lo
	v_add_co_u32 v128, vcc_lo, s0, v16
	v_add_nc_u32_e32 v40, s11, v38
	v_ashrrev_i32_e32 v39, 31, v38
	v_lshlrev_b64_e32 v[30:31], 4, v[30:31]
	s_wait_alu 0xfffd
	v_add_co_ci_u32_e64 v129, null, s1, v17, vcc_lo
	v_ashrrev_i32_e32 v41, 31, v40
	s_wait_loadcnt 0x16
	scratch_store_b128 off, v[130:133], off offset:176
	s_wait_loadcnt 0x15
	scratch_store_b128 off, v[134:137], off offset:192
	v_add_co_u32 v130, vcc_lo, s0, v22
	v_lshlrev_b64_e32 v[32:33], 4, v[32:33]
	s_wait_alu 0xfffd
	v_add_co_ci_u32_e64 v131, null, s1, v23, vcc_lo
	v_add_co_u32 v132, vcc_lo, s0, v24
	v_lshlrev_b64_e32 v[38:39], 4, v[38:39]
	s_clause 0x1
	global_load_b128 v[14:17], v[108:109], off
	global_load_b128 v[18:21], v[110:111], off
	s_wait_loadcnt 0x16
	scratch_store_b128 off, v[138:141], off offset:208
	s_wait_alu 0xfffd
	v_add_co_ci_u32_e64 v133, null, s1, v25, vcc_lo
	s_wait_loadcnt 0x15
	scratch_store_b128 off, v[142:145], off offset:224
	s_wait_loadcnt 0x14
	scratch_store_b128 off, v[146:149], off offset:240
	v_add_co_u32 v134, vcc_lo, s0, v30
	v_add_nc_u32_e32 v142, s11, v40
	v_lshlrev_b64_e32 v[40:41], 4, v[40:41]
	s_wait_alu 0xfffd
	v_add_co_ci_u32_e64 v135, null, s1, v31, vcc_lo
	v_add_co_u32 v136, vcc_lo, s0, v32
	s_wait_alu 0xfffd
	v_add_co_ci_u32_e64 v137, null, s1, v33, vcc_lo
	v_add_co_u32 v138, vcc_lo, s0, v38
	s_clause 0x1
	global_load_b128 v[22:25], v[112:113], off
	global_load_b128 v[26:29], v[114:115], off
	s_wait_loadcnt 0x15
	scratch_store_b128 off, v[150:153], off offset:256
	s_wait_loadcnt 0x14
	scratch_store_b128 off, v[154:157], off offset:272
	;; [unrolled: 2-line block ×3, first 2 shown]
	s_wait_alu 0xfffd
	v_add_co_ci_u32_e64 v139, null, s1, v39, vcc_lo
	v_add_co_u32 v140, vcc_lo, s0, v40
	s_clause 0x1
	global_load_b128 v[30:33], v[116:117], off
	global_load_b128 v[34:37], v[118:119], off
	s_wait_loadcnt 0x14
	scratch_store_b128 off, v[162:165], off offset:304
	s_wait_loadcnt 0x13
	scratch_store_b128 off, v[166:169], off offset:320
	;; [unrolled: 2-line block ×3, first 2 shown]
	s_wait_alu 0xfffd
	v_add_co_ci_u32_e64 v141, null, s1, v41, vcc_lo
	s_clause 0x1
	global_load_b128 v[38:41], v[120:121], off
	global_load_b128 v[162:165], v[122:123], off
	v_add_nc_u32_e32 v144, s11, v142
	v_ashrrev_i32_e32 v143, 31, v142
	s_delay_alu instid0(VALU_DEP_2) | instskip(SKIP_1) | instid1(VALU_DEP_3)
	v_add_nc_u32_e32 v146, s11, v144
	v_ashrrev_i32_e32 v145, 31, v144
	v_lshlrev_b64_e32 v[142:143], 4, v[142:143]
	s_delay_alu instid0(VALU_DEP_3)
	v_add_nc_u32_e32 v148, s11, v146
	v_ashrrev_i32_e32 v147, 31, v146
	s_wait_loadcnt 0x13
	scratch_store_b128 off, v[174:177], off offset:352
	s_wait_loadcnt 0x12
	scratch_store_b128 off, v[178:181], off offset:368
	s_wait_loadcnt 0x11
	scratch_store_b128 off, v[182:185], off offset:384
	s_clause 0x4
	global_load_b128 v[166:169], v[124:125], off
	global_load_b128 v[170:173], v[126:127], off
	;; [unrolled: 1-line block ×5, first 2 shown]
	v_add_nc_u32_e32 v150, s11, v148
	v_ashrrev_i32_e32 v149, 31, v148
	v_lshlrev_b64_e32 v[144:145], 4, v[144:145]
	v_lshlrev_b64_e32 v[146:147], 4, v[146:147]
	v_add_co_u32 v142, vcc_lo, s0, v142
	v_add_nc_u32_e32 v152, s11, v150
	v_ashrrev_i32_e32 v151, 31, v150
	v_lshlrev_b64_e32 v[148:149], 4, v[148:149]
	s_wait_alu 0xfffd
	v_add_co_ci_u32_e64 v143, null, s1, v143, vcc_lo
	v_add_nc_u32_e32 v154, s11, v152
	v_add_co_u32 v144, vcc_lo, s0, v144
	v_lshlrev_b64_e32 v[150:151], 4, v[150:151]
	s_wait_alu 0xfffd
	v_add_co_ci_u32_e64 v145, null, s1, v145, vcc_lo
	v_add_nc_u32_e32 v156, s11, v154
	v_add_co_u32 v146, vcc_lo, s0, v146
	s_wait_alu 0xfffd
	v_add_co_ci_u32_e64 v147, null, s1, v147, vcc_lo
	s_delay_alu instid0(VALU_DEP_3)
	v_add_nc_u32_e32 v158, s11, v156
	v_add_co_u32 v148, vcc_lo, s0, v148
	s_wait_alu 0xfffd
	v_add_co_ci_u32_e64 v149, null, s1, v149, vcc_lo
	v_add_co_u32 v150, vcc_lo, s0, v150
	s_wait_loadcnt 0x14
	scratch_store_b128 off, v[186:189], off offset:400
	s_wait_loadcnt 0x12
	scratch_store_b128 off, v[190:193], off offset:416
	v_add_nc_u32_e32 v190, s11, v158
	s_clause 0x1
	scratch_store_b128 off, v[194:197], off offset:432
	scratch_store_b128 off, v[198:201], off offset:448
	s_wait_alu 0xfffd
	v_add_co_ci_u32_e64 v151, null, s1, v151, vcc_lo
	s_wait_loadcnt 0x11
	scratch_store_b128 off, v[202:205], off offset:464
	s_wait_loadcnt 0x10
	scratch_store_b128 off, v[206:209], off offset:480
	v_ashrrev_i32_e32 v153, 31, v152
	v_ashrrev_i32_e32 v155, 31, v154
	;; [unrolled: 1-line block ×5, first 2 shown]
	v_lshlrev_b64_e32 v[152:153], 4, v[152:153]
	v_lshlrev_b64_e32 v[154:155], 4, v[154:155]
	;; [unrolled: 1-line block ×5, first 2 shown]
	v_add_co_u32 v152, vcc_lo, s0, v152
	s_wait_alu 0xfffd
	v_add_co_ci_u32_e64 v153, null, s1, v153, vcc_lo
	v_add_co_u32 v154, vcc_lo, s0, v154
	s_wait_alu 0xfffd
	v_add_co_ci_u32_e64 v155, null, s1, v155, vcc_lo
	;; [unrolled: 3-line block ×5, first 2 shown]
	s_wait_loadcnt 0xf
	scratch_store_b128 off, v[1:4], off offset:496
	global_load_b128 v[1:4], v[134:135], off
	s_wait_loadcnt 0xf
	scratch_store_b128 off, v[5:8], off offset:512
	s_wait_loadcnt 0xe
	scratch_store_b128 off, v[9:12], off offset:528
	s_clause 0x1
	global_load_b128 v[5:8], v[136:137], off
	global_load_b128 v[9:12], v[138:139], off
	s_wait_loadcnt 0xf
	scratch_store_b128 off, v[14:17], off offset:544
	s_wait_loadcnt 0xe
	scratch_store_b128 off, v[18:21], off offset:560
	s_clause 0x1
	global_load_b128 v[14:17], v[140:141], off
	;; [unrolled: 7-line block ×4, first 2 shown]
	global_load_b128 v[34:37], v[150:151], off
	s_wait_loadcnt 0xf
	scratch_store_b128 off, v[38:41], off offset:640
	s_wait_loadcnt 0xe
	scratch_store_b128 off, v[162:165], off offset:656
	v_add_nc_u32_e32 v162, s11, v190
	s_clause 0x1
	global_load_b128 v[38:41], v[152:153], off
	global_load_b128 v[186:189], v[154:155], off
	s_wait_loadcnt 0xf
	scratch_store_b128 off, v[166:169], off offset:672
	s_wait_loadcnt 0xe
	scratch_store_b128 off, v[170:173], off offset:688
	v_add_nc_u32_e32 v164, s11, v162
	v_ashrrev_i32_e32 v163, 31, v162
	s_clause 0x1
	global_load_b128 v[166:169], v[156:157], off
	global_load_b128 v[170:173], v[158:159], off
	s_wait_loadcnt 0xf
	scratch_store_b128 off, v[174:177], off offset:704
	s_wait_loadcnt 0xe
	scratch_store_b128 off, v[178:181], off offset:720
	v_ashrrev_i32_e32 v165, 31, v164
	v_lshlrev_b64_e32 v[162:163], 4, v[162:163]
	global_load_b128 v[174:177], v[160:161], off
	s_wait_loadcnt 0xe
	scratch_store_b128 off, v[182:185], off offset:736
	s_movk_i32 s11, 0xd0
	v_lshlrev_b64_e32 v[164:165], 4, v[164:165]
	s_wait_alu 0xfffe
	s_add_co_i32 s64, s11, 16
	v_add_co_u32 v162, vcc_lo, s0, v162
	s_wait_alu 0xfffd
	v_add_co_ci_u32_e64 v163, null, s1, v163, vcc_lo
	v_add_co_u32 v164, vcc_lo, s0, v164
	s_wait_alu 0xfffd
	v_add_co_ci_u32_e64 v165, null, s1, v165, vcc_lo
	global_load_b128 v[178:181], v[162:163], off
	s_movk_i32 s0, 0x50
	s_movk_i32 s1, 0x60
	s_wait_alu 0xfffe
	s_add_co_i32 s72, s0, 16
	s_add_co_i32 s71, s1, 16
	s_movk_i32 s0, 0x320
	s_movk_i32 s1, 0x330
	s_wait_alu 0xfffe
	s_add_co_i32 s31, s0, 16
	s_add_co_i32 s22, s1, 16
	;; [unrolled: 5-line block ×5, first 2 shown]
	s_movk_i32 s0, 0x3a0
	s_movk_i32 s1, 0x3b0
	s_add_co_i32 s11, s39, 16
	s_wait_alu 0xfffe
	s_add_co_i32 s44, s0, 16
	s_add_co_i32 s39, s1, 16
	s_movk_i32 s0, 0x3c0
	s_movk_i32 s1, 0x3d0
	s_wait_alu 0xfffe
	s_add_co_i32 s49, s0, 16
	s_add_co_i32 s58, s1, 16
	s_bitcmp0_b32 s2, 0
	s_mov_b32 s1, -1
	s_wait_loadcnt 0xe
	scratch_store_b128 off, v[1:4], off offset:752
	global_load_b128 v[1:4], v[164:165], off
	s_wait_loadcnt 0xe
	scratch_store_b128 off, v[5:8], off offset:768
	s_wait_loadcnt 0xd
	scratch_store_b128 off, v[9:12], off offset:784
	;; [unrolled: 2-line block ×15, first 2 shown]
	s_cbranch_scc1 .LBB61_272
; %bb.4:
	v_cmp_eq_u32_e64 s0, 0, v0
	s_and_saveexec_b32 s1, s0
; %bb.5:
	v_mov_b32_e32 v1, 0
	ds_store_b32 v1, v1 offset:1984
; %bb.6:
	s_wait_alu 0xfffe
	s_or_b32 exec_lo, exec_lo, s1
	s_wait_storecnt_dscnt 0x0
	s_barrier_signal -1
	s_barrier_wait -1
	global_inv scope:SCOPE_SE
	scratch_load_b128 v[1:4], v13, off offset:16
	s_wait_loadcnt 0x0
	v_cmp_eq_f64_e32 vcc_lo, 0, v[1:2]
	v_cmp_eq_f64_e64 s1, 0, v[3:4]
	s_and_b32 s1, vcc_lo, s1
	s_wait_alu 0xfffe
	s_and_saveexec_b32 s2, s1
	s_cbranch_execz .LBB61_10
; %bb.7:
	v_mov_b32_e32 v1, 0
	s_mov_b32 s3, 0
	ds_load_b32 v2, v1 offset:1984
	s_wait_dscnt 0x0
	v_readfirstlane_b32 s1, v2
	v_add_nc_u32_e32 v2, 1, v0
	s_cmp_eq_u32 s1, 0
	s_delay_alu instid0(VALU_DEP_1) | instskip(SKIP_1) | instid1(SALU_CYCLE_1)
	v_cmp_gt_i32_e32 vcc_lo, s1, v2
	s_cselect_b32 s73, -1, 0
	s_or_b32 s73, s73, vcc_lo
	s_delay_alu instid0(SALU_CYCLE_1)
	s_and_b32 exec_lo, exec_lo, s73
	s_cbranch_execz .LBB61_10
; %bb.8:
	v_mov_b32_e32 v3, s1
.LBB61_9:                               ; =>This Inner Loop Header: Depth=1
	ds_cmpstore_rtn_b32 v3, v1, v2, v3 offset:1984
	s_wait_dscnt 0x0
	v_cmp_ne_u32_e32 vcc_lo, 0, v3
	v_cmp_le_i32_e64 s1, v3, v2
	s_and_b32 s1, vcc_lo, s1
	s_wait_alu 0xfffe
	s_and_b32 s1, exec_lo, s1
	s_wait_alu 0xfffe
	s_or_b32 s3, s1, s3
	s_wait_alu 0xfffe
	s_and_not1_b32 exec_lo, exec_lo, s3
	s_cbranch_execnz .LBB61_9
.LBB61_10:
	s_wait_alu 0xfffe
	s_or_b32 exec_lo, exec_lo, s2
	v_mov_b32_e32 v1, 0
	s_barrier_signal -1
	s_barrier_wait -1
	global_inv scope:SCOPE_SE
	ds_load_b32 v2, v1 offset:1984
	s_and_saveexec_b32 s1, s0
	s_cbranch_execz .LBB61_12
; %bb.11:
	s_lshl_b64 s[2:3], s[18:19], 2
	s_wait_alu 0xfffe
	s_add_nc_u64 s[2:3], s[6:7], s[2:3]
	s_wait_dscnt 0x0
	global_store_b32 v1, v2, s[2:3]
.LBB61_12:
	s_wait_alu 0xfffe
	s_or_b32 exec_lo, exec_lo, s1
	s_wait_dscnt 0x0
	v_cmp_ne_u32_e32 vcc_lo, 0, v2
	s_mov_b32 s1, 0
	s_cbranch_vccnz .LBB61_272
; %bb.13:
	v_add_nc_u32_e32 v14, 16, v13
                                        ; implicit-def: $vgpr1_vgpr2
                                        ; implicit-def: $vgpr9_vgpr10
	scratch_load_b128 v[5:8], v14, off
	s_wait_loadcnt 0x0
	v_cmp_ngt_f64_e64 s1, |v[5:6]|, |v[7:8]|
	s_wait_alu 0xfffe
	s_and_saveexec_b32 s2, s1
	s_wait_alu 0xfffe
	s_xor_b32 s1, exec_lo, s2
	s_cbranch_execz .LBB61_15
; %bb.14:
	v_div_scale_f64 v[1:2], null, v[7:8], v[7:8], v[5:6]
	v_div_scale_f64 v[11:12], vcc_lo, v[5:6], v[7:8], v[5:6]
	s_delay_alu instid0(VALU_DEP_2) | instskip(NEXT) | instid1(TRANS32_DEP_1)
	v_rcp_f64_e32 v[3:4], v[1:2]
	v_fma_f64 v[9:10], -v[1:2], v[3:4], 1.0
	s_delay_alu instid0(VALU_DEP_1) | instskip(NEXT) | instid1(VALU_DEP_1)
	v_fma_f64 v[3:4], v[3:4], v[9:10], v[3:4]
	v_fma_f64 v[9:10], -v[1:2], v[3:4], 1.0
	s_delay_alu instid0(VALU_DEP_1) | instskip(NEXT) | instid1(VALU_DEP_1)
	v_fma_f64 v[3:4], v[3:4], v[9:10], v[3:4]
	v_mul_f64_e32 v[9:10], v[11:12], v[3:4]
	s_delay_alu instid0(VALU_DEP_1) | instskip(SKIP_1) | instid1(VALU_DEP_1)
	v_fma_f64 v[1:2], -v[1:2], v[9:10], v[11:12]
	s_wait_alu 0xfffd
	v_div_fmas_f64 v[1:2], v[1:2], v[3:4], v[9:10]
	s_delay_alu instid0(VALU_DEP_1) | instskip(NEXT) | instid1(VALU_DEP_1)
	v_div_fixup_f64 v[1:2], v[1:2], v[7:8], v[5:6]
	v_fma_f64 v[3:4], v[5:6], v[1:2], v[7:8]
	s_delay_alu instid0(VALU_DEP_1) | instskip(SKIP_1) | instid1(VALU_DEP_2)
	v_div_scale_f64 v[5:6], null, v[3:4], v[3:4], 1.0
	v_div_scale_f64 v[11:12], vcc_lo, 1.0, v[3:4], 1.0
	v_rcp_f64_e32 v[7:8], v[5:6]
	s_delay_alu instid0(TRANS32_DEP_1) | instskip(NEXT) | instid1(VALU_DEP_1)
	v_fma_f64 v[9:10], -v[5:6], v[7:8], 1.0
	v_fma_f64 v[7:8], v[7:8], v[9:10], v[7:8]
	s_delay_alu instid0(VALU_DEP_1) | instskip(NEXT) | instid1(VALU_DEP_1)
	v_fma_f64 v[9:10], -v[5:6], v[7:8], 1.0
	v_fma_f64 v[7:8], v[7:8], v[9:10], v[7:8]
	s_delay_alu instid0(VALU_DEP_1) | instskip(NEXT) | instid1(VALU_DEP_1)
	v_mul_f64_e32 v[9:10], v[11:12], v[7:8]
	v_fma_f64 v[5:6], -v[5:6], v[9:10], v[11:12]
	s_wait_alu 0xfffd
	s_delay_alu instid0(VALU_DEP_1) | instskip(NEXT) | instid1(VALU_DEP_1)
	v_div_fmas_f64 v[5:6], v[5:6], v[7:8], v[9:10]
	v_div_fixup_f64 v[3:4], v[5:6], v[3:4], 1.0
                                        ; implicit-def: $vgpr5_vgpr6
	s_delay_alu instid0(VALU_DEP_1) | instskip(SKIP_1) | instid1(VALU_DEP_2)
	v_mul_f64_e32 v[1:2], v[1:2], v[3:4]
	v_xor_b32_e32 v4, 0x80000000, v4
	v_xor_b32_e32 v10, 0x80000000, v2
	s_delay_alu instid0(VALU_DEP_3)
	v_mov_b32_e32 v9, v1
.LBB61_15:
	s_wait_alu 0xfffe
	s_and_not1_saveexec_b32 s1, s1
	s_cbranch_execz .LBB61_17
; %bb.16:
	v_div_scale_f64 v[1:2], null, v[5:6], v[5:6], v[7:8]
	v_div_scale_f64 v[11:12], vcc_lo, v[7:8], v[5:6], v[7:8]
	s_delay_alu instid0(VALU_DEP_2) | instskip(NEXT) | instid1(TRANS32_DEP_1)
	v_rcp_f64_e32 v[3:4], v[1:2]
	v_fma_f64 v[9:10], -v[1:2], v[3:4], 1.0
	s_delay_alu instid0(VALU_DEP_1) | instskip(NEXT) | instid1(VALU_DEP_1)
	v_fma_f64 v[3:4], v[3:4], v[9:10], v[3:4]
	v_fma_f64 v[9:10], -v[1:2], v[3:4], 1.0
	s_delay_alu instid0(VALU_DEP_1) | instskip(NEXT) | instid1(VALU_DEP_1)
	v_fma_f64 v[3:4], v[3:4], v[9:10], v[3:4]
	v_mul_f64_e32 v[9:10], v[11:12], v[3:4]
	s_delay_alu instid0(VALU_DEP_1) | instskip(SKIP_1) | instid1(VALU_DEP_1)
	v_fma_f64 v[1:2], -v[1:2], v[9:10], v[11:12]
	s_wait_alu 0xfffd
	v_div_fmas_f64 v[1:2], v[1:2], v[3:4], v[9:10]
	s_delay_alu instid0(VALU_DEP_1) | instskip(NEXT) | instid1(VALU_DEP_1)
	v_div_fixup_f64 v[3:4], v[1:2], v[5:6], v[7:8]
	v_fma_f64 v[1:2], v[7:8], v[3:4], v[5:6]
	s_delay_alu instid0(VALU_DEP_1) | instskip(NEXT) | instid1(VALU_DEP_1)
	v_div_scale_f64 v[5:6], null, v[1:2], v[1:2], 1.0
	v_rcp_f64_e32 v[7:8], v[5:6]
	s_delay_alu instid0(TRANS32_DEP_1) | instskip(NEXT) | instid1(VALU_DEP_1)
	v_fma_f64 v[9:10], -v[5:6], v[7:8], 1.0
	v_fma_f64 v[7:8], v[7:8], v[9:10], v[7:8]
	s_delay_alu instid0(VALU_DEP_1) | instskip(NEXT) | instid1(VALU_DEP_1)
	v_fma_f64 v[9:10], -v[5:6], v[7:8], 1.0
	v_fma_f64 v[7:8], v[7:8], v[9:10], v[7:8]
	v_div_scale_f64 v[9:10], vcc_lo, 1.0, v[1:2], 1.0
	s_delay_alu instid0(VALU_DEP_1) | instskip(NEXT) | instid1(VALU_DEP_1)
	v_mul_f64_e32 v[11:12], v[9:10], v[7:8]
	v_fma_f64 v[5:6], -v[5:6], v[11:12], v[9:10]
	s_wait_alu 0xfffd
	s_delay_alu instid0(VALU_DEP_1) | instskip(NEXT) | instid1(VALU_DEP_1)
	v_div_fmas_f64 v[5:6], v[5:6], v[7:8], v[11:12]
	v_div_fixup_f64 v[1:2], v[5:6], v[1:2], 1.0
	s_delay_alu instid0(VALU_DEP_1)
	v_mul_f64_e64 v[3:4], v[3:4], -v[1:2]
	v_xor_b32_e32 v10, 0x80000000, v2
	v_mov_b32_e32 v9, v1
.LBB61_17:
	s_wait_alu 0xfffe
	s_or_b32 exec_lo, exec_lo, s1
	scratch_store_b128 v14, v[1:4], off
	scratch_load_b128 v[15:18], off, s63
	v_xor_b32_e32 v12, 0x80000000, v4
	v_mov_b32_e32 v11, v3
	v_add_nc_u32_e32 v5, 0x3e0, v13
	ds_store_b128 v13, v[9:12]
	s_wait_loadcnt 0x0
	ds_store_b128 v13, v[15:18] offset:992
	s_wait_storecnt_dscnt 0x0
	s_barrier_signal -1
	s_barrier_wait -1
	global_inv scope:SCOPE_SE
	s_and_saveexec_b32 s1, s0
	s_cbranch_execz .LBB61_19
; %bb.18:
	scratch_load_b128 v[1:4], v14, off
	ds_load_b128 v[6:9], v5
	v_mov_b32_e32 v10, 0
	ds_load_b128 v[15:18], v10 offset:16
	s_wait_loadcnt_dscnt 0x1
	v_mul_f64_e32 v[10:11], v[6:7], v[3:4]
	v_mul_f64_e32 v[3:4], v[8:9], v[3:4]
	s_delay_alu instid0(VALU_DEP_2) | instskip(NEXT) | instid1(VALU_DEP_2)
	v_fma_f64 v[8:9], v[8:9], v[1:2], v[10:11]
	v_fma_f64 v[1:2], v[6:7], v[1:2], -v[3:4]
	s_delay_alu instid0(VALU_DEP_2) | instskip(NEXT) | instid1(VALU_DEP_2)
	v_add_f64_e32 v[3:4], 0, v[8:9]
	v_add_f64_e32 v[1:2], 0, v[1:2]
	s_wait_dscnt 0x0
	s_delay_alu instid0(VALU_DEP_2) | instskip(NEXT) | instid1(VALU_DEP_2)
	v_mul_f64_e32 v[6:7], v[3:4], v[17:18]
	v_mul_f64_e32 v[8:9], v[1:2], v[17:18]
	s_delay_alu instid0(VALU_DEP_2) | instskip(NEXT) | instid1(VALU_DEP_2)
	v_fma_f64 v[1:2], v[1:2], v[15:16], -v[6:7]
	v_fma_f64 v[3:4], v[3:4], v[15:16], v[8:9]
	scratch_store_b128 off, v[1:4], off offset:32
.LBB61_19:
	s_wait_alu 0xfffe
	s_or_b32 exec_lo, exec_lo, s1
	s_wait_loadcnt 0x0
	s_wait_storecnt 0x0
	s_barrier_signal -1
	s_barrier_wait -1
	global_inv scope:SCOPE_SE
	scratch_load_b128 v[1:4], off, s62
	v_cmp_gt_u32_e32 vcc_lo, 2, v0
	s_wait_loadcnt 0x0
	ds_store_b128 v5, v[1:4]
	s_wait_dscnt 0x0
	s_barrier_signal -1
	s_barrier_wait -1
	global_inv scope:SCOPE_SE
	s_and_saveexec_b32 s1, vcc_lo
	s_cbranch_execz .LBB61_23
; %bb.20:
	scratch_load_b128 v[1:4], v14, off
	ds_load_b128 v[6:9], v5
	s_wait_loadcnt_dscnt 0x0
	v_mul_f64_e32 v[10:11], v[8:9], v[3:4]
	v_mul_f64_e32 v[3:4], v[6:7], v[3:4]
	s_delay_alu instid0(VALU_DEP_2) | instskip(NEXT) | instid1(VALU_DEP_2)
	v_fma_f64 v[6:7], v[6:7], v[1:2], -v[10:11]
	v_fma_f64 v[3:4], v[8:9], v[1:2], v[3:4]
	s_delay_alu instid0(VALU_DEP_2) | instskip(NEXT) | instid1(VALU_DEP_2)
	v_add_f64_e32 v[1:2], 0, v[6:7]
	v_add_f64_e32 v[3:4], 0, v[3:4]
	s_and_saveexec_b32 s2, s0
	s_cbranch_execz .LBB61_22
; %bb.21:
	scratch_load_b128 v[6:9], off, off offset:32
	v_mov_b32_e32 v10, 0
	ds_load_b128 v[15:18], v10 offset:1008
	s_wait_loadcnt_dscnt 0x0
	v_mul_f64_e32 v[10:11], v[15:16], v[8:9]
	v_mul_f64_e32 v[8:9], v[17:18], v[8:9]
	s_delay_alu instid0(VALU_DEP_2) | instskip(NEXT) | instid1(VALU_DEP_2)
	v_fma_f64 v[10:11], v[17:18], v[6:7], v[10:11]
	v_fma_f64 v[6:7], v[15:16], v[6:7], -v[8:9]
	s_delay_alu instid0(VALU_DEP_2) | instskip(NEXT) | instid1(VALU_DEP_2)
	v_add_f64_e32 v[3:4], v[3:4], v[10:11]
	v_add_f64_e32 v[1:2], v[1:2], v[6:7]
.LBB61_22:
	s_wait_alu 0xfffe
	s_or_b32 exec_lo, exec_lo, s2
	v_mov_b32_e32 v6, 0
	ds_load_b128 v[6:9], v6 offset:32
	s_wait_dscnt 0x0
	v_mul_f64_e32 v[10:11], v[3:4], v[8:9]
	v_mul_f64_e32 v[8:9], v[1:2], v[8:9]
	s_delay_alu instid0(VALU_DEP_2) | instskip(NEXT) | instid1(VALU_DEP_2)
	v_fma_f64 v[1:2], v[1:2], v[6:7], -v[10:11]
	v_fma_f64 v[3:4], v[3:4], v[6:7], v[8:9]
	scratch_store_b128 off, v[1:4], off offset:48
.LBB61_23:
	s_wait_alu 0xfffe
	s_or_b32 exec_lo, exec_lo, s1
	s_wait_loadcnt 0x0
	s_wait_storecnt 0x0
	s_barrier_signal -1
	s_barrier_wait -1
	global_inv scope:SCOPE_SE
	scratch_load_b128 v[1:4], off, s61
	v_add_nc_u32_e32 v6, -1, v0
	s_mov_b32 s2, exec_lo
	s_wait_loadcnt 0x0
	ds_store_b128 v5, v[1:4]
	s_wait_dscnt 0x0
	s_barrier_signal -1
	s_barrier_wait -1
	global_inv scope:SCOPE_SE
	v_cmpx_gt_u32_e32 3, v0
	s_cbranch_execz .LBB61_27
; %bb.24:
	v_dual_mov_b32 v1, 0 :: v_dual_add_nc_u32 v8, 0x3e0, v13
	v_mov_b32_e32 v3, 0
	v_dual_mov_b32 v2, 0 :: v_dual_add_nc_u32 v7, -1, v0
	v_mov_b32_e32 v4, 0
	v_or_b32_e32 v9, 8, v14
	s_mov_b32 s3, 0
.LBB61_25:                              ; =>This Inner Loop Header: Depth=1
	scratch_load_b128 v[15:18], v9, off offset:-8
	ds_load_b128 v[19:22], v8
	v_add_nc_u32_e32 v7, 1, v7
	v_add_nc_u32_e32 v8, 16, v8
	;; [unrolled: 1-line block ×3, first 2 shown]
	s_delay_alu instid0(VALU_DEP_3)
	v_cmp_lt_u32_e64 s1, 1, v7
	s_wait_alu 0xfffe
	s_or_b32 s3, s1, s3
	s_wait_loadcnt_dscnt 0x0
	v_mul_f64_e32 v[10:11], v[21:22], v[17:18]
	v_mul_f64_e32 v[17:18], v[19:20], v[17:18]
	s_delay_alu instid0(VALU_DEP_2) | instskip(NEXT) | instid1(VALU_DEP_2)
	v_fma_f64 v[10:11], v[19:20], v[15:16], -v[10:11]
	v_fma_f64 v[15:16], v[21:22], v[15:16], v[17:18]
	s_delay_alu instid0(VALU_DEP_2) | instskip(NEXT) | instid1(VALU_DEP_2)
	v_add_f64_e32 v[3:4], v[3:4], v[10:11]
	v_add_f64_e32 v[1:2], v[1:2], v[15:16]
	s_wait_alu 0xfffe
	s_and_not1_b32 exec_lo, exec_lo, s3
	s_cbranch_execnz .LBB61_25
; %bb.26:
	s_or_b32 exec_lo, exec_lo, s3
	v_mov_b32_e32 v7, 0
	ds_load_b128 v[7:10], v7 offset:48
	s_wait_dscnt 0x0
	v_mul_f64_e32 v[11:12], v[1:2], v[9:10]
	v_mul_f64_e32 v[15:16], v[3:4], v[9:10]
	s_delay_alu instid0(VALU_DEP_2) | instskip(NEXT) | instid1(VALU_DEP_2)
	v_fma_f64 v[9:10], v[3:4], v[7:8], -v[11:12]
	v_fma_f64 v[11:12], v[1:2], v[7:8], v[15:16]
	scratch_store_b128 off, v[9:12], off offset:64
.LBB61_27:
	s_wait_alu 0xfffe
	s_or_b32 exec_lo, exec_lo, s2
	s_wait_loadcnt 0x0
	s_wait_storecnt 0x0
	s_barrier_signal -1
	s_barrier_wait -1
	global_inv scope:SCOPE_SE
	scratch_load_b128 v[1:4], off, s60
	v_cmp_gt_u32_e64 s1, 4, v0
	s_wait_loadcnt 0x0
	ds_store_b128 v5, v[1:4]
	s_wait_dscnt 0x0
	s_barrier_signal -1
	s_barrier_wait -1
	global_inv scope:SCOPE_SE
	s_and_saveexec_b32 s3, s1
	s_cbranch_execz .LBB61_31
; %bb.28:
	v_dual_mov_b32 v1, 0 :: v_dual_add_nc_u32 v8, 0x3e0, v13
	v_mov_b32_e32 v3, 0
	v_dual_mov_b32 v2, 0 :: v_dual_add_nc_u32 v7, -1, v0
	v_mov_b32_e32 v4, 0
	v_or_b32_e32 v9, 8, v14
	s_mov_b32 s73, 0
.LBB61_29:                              ; =>This Inner Loop Header: Depth=1
	scratch_load_b128 v[15:18], v9, off offset:-8
	ds_load_b128 v[19:22], v8
	v_add_nc_u32_e32 v7, 1, v7
	v_add_nc_u32_e32 v8, 16, v8
	v_add_nc_u32_e32 v9, 16, v9
	s_delay_alu instid0(VALU_DEP_3) | instskip(SKIP_4) | instid1(VALU_DEP_2)
	v_cmp_lt_u32_e64 s2, 2, v7
	s_or_b32 s73, s2, s73
	s_wait_loadcnt_dscnt 0x0
	v_mul_f64_e32 v[10:11], v[21:22], v[17:18]
	v_mul_f64_e32 v[17:18], v[19:20], v[17:18]
	v_fma_f64 v[10:11], v[19:20], v[15:16], -v[10:11]
	s_delay_alu instid0(VALU_DEP_2) | instskip(NEXT) | instid1(VALU_DEP_2)
	v_fma_f64 v[15:16], v[21:22], v[15:16], v[17:18]
	v_add_f64_e32 v[3:4], v[3:4], v[10:11]
	s_delay_alu instid0(VALU_DEP_2)
	v_add_f64_e32 v[1:2], v[1:2], v[15:16]
	s_and_not1_b32 exec_lo, exec_lo, s73
	s_cbranch_execnz .LBB61_29
; %bb.30:
	s_or_b32 exec_lo, exec_lo, s73
	v_mov_b32_e32 v7, 0
	ds_load_b128 v[7:10], v7 offset:64
	s_wait_dscnt 0x0
	v_mul_f64_e32 v[11:12], v[1:2], v[9:10]
	v_mul_f64_e32 v[15:16], v[3:4], v[9:10]
	s_delay_alu instid0(VALU_DEP_2) | instskip(NEXT) | instid1(VALU_DEP_2)
	v_fma_f64 v[9:10], v[3:4], v[7:8], -v[11:12]
	v_fma_f64 v[11:12], v[1:2], v[7:8], v[15:16]
	scratch_store_b128 off, v[9:12], off offset:80
.LBB61_31:
	s_wait_alu 0xfffe
	s_or_b32 exec_lo, exec_lo, s3
	s_wait_loadcnt 0x0
	s_wait_storecnt 0x0
	s_barrier_signal -1
	s_barrier_wait -1
	global_inv scope:SCOPE_SE
	scratch_load_b128 v[1:4], off, s72
	s_mov_b32 s3, exec_lo
	s_wait_loadcnt 0x0
	ds_store_b128 v5, v[1:4]
	s_wait_dscnt 0x0
	s_barrier_signal -1
	s_barrier_wait -1
	global_inv scope:SCOPE_SE
	v_cmpx_gt_u32_e32 5, v0
	s_cbranch_execz .LBB61_35
; %bb.32:
	v_dual_mov_b32 v1, 0 :: v_dual_add_nc_u32 v8, 0x3e0, v13
	v_mov_b32_e32 v3, 0
	v_dual_mov_b32 v2, 0 :: v_dual_add_nc_u32 v7, -1, v0
	v_mov_b32_e32 v4, 0
	v_or_b32_e32 v9, 8, v14
	s_mov_b32 s73, 0
.LBB61_33:                              ; =>This Inner Loop Header: Depth=1
	scratch_load_b128 v[15:18], v9, off offset:-8
	ds_load_b128 v[19:22], v8
	v_add_nc_u32_e32 v7, 1, v7
	v_add_nc_u32_e32 v8, 16, v8
	;; [unrolled: 1-line block ×3, first 2 shown]
	s_delay_alu instid0(VALU_DEP_3) | instskip(SKIP_4) | instid1(VALU_DEP_2)
	v_cmp_lt_u32_e64 s2, 3, v7
	s_or_b32 s73, s2, s73
	s_wait_loadcnt_dscnt 0x0
	v_mul_f64_e32 v[10:11], v[21:22], v[17:18]
	v_mul_f64_e32 v[17:18], v[19:20], v[17:18]
	v_fma_f64 v[10:11], v[19:20], v[15:16], -v[10:11]
	s_delay_alu instid0(VALU_DEP_2) | instskip(NEXT) | instid1(VALU_DEP_2)
	v_fma_f64 v[15:16], v[21:22], v[15:16], v[17:18]
	v_add_f64_e32 v[3:4], v[3:4], v[10:11]
	s_delay_alu instid0(VALU_DEP_2)
	v_add_f64_e32 v[1:2], v[1:2], v[15:16]
	s_and_not1_b32 exec_lo, exec_lo, s73
	s_cbranch_execnz .LBB61_33
; %bb.34:
	s_or_b32 exec_lo, exec_lo, s73
	v_mov_b32_e32 v7, 0
	ds_load_b128 v[7:10], v7 offset:80
	s_wait_dscnt 0x0
	v_mul_f64_e32 v[11:12], v[1:2], v[9:10]
	v_mul_f64_e32 v[15:16], v[3:4], v[9:10]
	s_delay_alu instid0(VALU_DEP_2) | instskip(NEXT) | instid1(VALU_DEP_2)
	v_fma_f64 v[9:10], v[3:4], v[7:8], -v[11:12]
	v_fma_f64 v[11:12], v[1:2], v[7:8], v[15:16]
	scratch_store_b128 off, v[9:12], off offset:96
.LBB61_35:
	s_wait_alu 0xfffe
	s_or_b32 exec_lo, exec_lo, s3
	s_wait_loadcnt 0x0
	s_wait_storecnt 0x0
	s_barrier_signal -1
	s_barrier_wait -1
	global_inv scope:SCOPE_SE
	scratch_load_b128 v[1:4], off, s71
	v_cmp_gt_u32_e64 s2, 6, v0
	s_wait_loadcnt 0x0
	ds_store_b128 v5, v[1:4]
	s_wait_dscnt 0x0
	s_barrier_signal -1
	s_barrier_wait -1
	global_inv scope:SCOPE_SE
	s_and_saveexec_b32 s73, s2
	s_cbranch_execz .LBB61_39
; %bb.36:
	v_dual_mov_b32 v1, 0 :: v_dual_add_nc_u32 v8, 0x3e0, v13
	v_mov_b32_e32 v3, 0
	v_dual_mov_b32 v2, 0 :: v_dual_add_nc_u32 v7, -1, v0
	v_mov_b32_e32 v4, 0
	v_or_b32_e32 v9, 8, v14
	s_mov_b32 s74, 0
.LBB61_37:                              ; =>This Inner Loop Header: Depth=1
	scratch_load_b128 v[15:18], v9, off offset:-8
	ds_load_b128 v[19:22], v8
	v_add_nc_u32_e32 v7, 1, v7
	v_add_nc_u32_e32 v8, 16, v8
	;; [unrolled: 1-line block ×3, first 2 shown]
	s_delay_alu instid0(VALU_DEP_3) | instskip(SKIP_4) | instid1(VALU_DEP_2)
	v_cmp_lt_u32_e64 s3, 4, v7
	s_or_b32 s74, s3, s74
	s_wait_loadcnt_dscnt 0x0
	v_mul_f64_e32 v[10:11], v[21:22], v[17:18]
	v_mul_f64_e32 v[17:18], v[19:20], v[17:18]
	v_fma_f64 v[10:11], v[19:20], v[15:16], -v[10:11]
	s_delay_alu instid0(VALU_DEP_2) | instskip(NEXT) | instid1(VALU_DEP_2)
	v_fma_f64 v[15:16], v[21:22], v[15:16], v[17:18]
	v_add_f64_e32 v[3:4], v[3:4], v[10:11]
	s_delay_alu instid0(VALU_DEP_2)
	v_add_f64_e32 v[1:2], v[1:2], v[15:16]
	s_and_not1_b32 exec_lo, exec_lo, s74
	s_cbranch_execnz .LBB61_37
; %bb.38:
	s_or_b32 exec_lo, exec_lo, s74
	v_mov_b32_e32 v7, 0
	ds_load_b128 v[7:10], v7 offset:96
	s_wait_dscnt 0x0
	v_mul_f64_e32 v[11:12], v[1:2], v[9:10]
	v_mul_f64_e32 v[15:16], v[3:4], v[9:10]
	s_delay_alu instid0(VALU_DEP_2) | instskip(NEXT) | instid1(VALU_DEP_2)
	v_fma_f64 v[9:10], v[3:4], v[7:8], -v[11:12]
	v_fma_f64 v[11:12], v[1:2], v[7:8], v[15:16]
	scratch_store_b128 off, v[9:12], off offset:112
.LBB61_39:
	s_or_b32 exec_lo, exec_lo, s73
	s_wait_loadcnt 0x0
	s_wait_storecnt 0x0
	s_barrier_signal -1
	s_barrier_wait -1
	global_inv scope:SCOPE_SE
	scratch_load_b128 v[1:4], off, s70
	s_mov_b32 s73, exec_lo
	s_wait_loadcnt 0x0
	ds_store_b128 v5, v[1:4]
	s_wait_dscnt 0x0
	s_barrier_signal -1
	s_barrier_wait -1
	global_inv scope:SCOPE_SE
	v_cmpx_gt_u32_e32 7, v0
	s_cbranch_execz .LBB61_43
; %bb.40:
	v_dual_mov_b32 v1, 0 :: v_dual_add_nc_u32 v8, 0x3e0, v13
	v_mov_b32_e32 v3, 0
	v_dual_mov_b32 v2, 0 :: v_dual_add_nc_u32 v7, -1, v0
	v_mov_b32_e32 v4, 0
	v_or_b32_e32 v9, 8, v14
	s_mov_b32 s74, 0
.LBB61_41:                              ; =>This Inner Loop Header: Depth=1
	scratch_load_b128 v[15:18], v9, off offset:-8
	ds_load_b128 v[19:22], v8
	v_add_nc_u32_e32 v7, 1, v7
	v_add_nc_u32_e32 v8, 16, v8
	;; [unrolled: 1-line block ×3, first 2 shown]
	s_delay_alu instid0(VALU_DEP_3) | instskip(SKIP_4) | instid1(VALU_DEP_2)
	v_cmp_lt_u32_e64 s3, 5, v7
	s_or_b32 s74, s3, s74
	s_wait_loadcnt_dscnt 0x0
	v_mul_f64_e32 v[10:11], v[21:22], v[17:18]
	v_mul_f64_e32 v[17:18], v[19:20], v[17:18]
	v_fma_f64 v[10:11], v[19:20], v[15:16], -v[10:11]
	s_delay_alu instid0(VALU_DEP_2) | instskip(NEXT) | instid1(VALU_DEP_2)
	v_fma_f64 v[15:16], v[21:22], v[15:16], v[17:18]
	v_add_f64_e32 v[3:4], v[3:4], v[10:11]
	s_delay_alu instid0(VALU_DEP_2)
	v_add_f64_e32 v[1:2], v[1:2], v[15:16]
	s_and_not1_b32 exec_lo, exec_lo, s74
	s_cbranch_execnz .LBB61_41
; %bb.42:
	s_or_b32 exec_lo, exec_lo, s74
	v_mov_b32_e32 v7, 0
	ds_load_b128 v[7:10], v7 offset:112
	s_wait_dscnt 0x0
	v_mul_f64_e32 v[11:12], v[1:2], v[9:10]
	v_mul_f64_e32 v[15:16], v[3:4], v[9:10]
	s_delay_alu instid0(VALU_DEP_2) | instskip(NEXT) | instid1(VALU_DEP_2)
	v_fma_f64 v[9:10], v[3:4], v[7:8], -v[11:12]
	v_fma_f64 v[11:12], v[1:2], v[7:8], v[15:16]
	scratch_store_b128 off, v[9:12], off offset:128
.LBB61_43:
	s_or_b32 exec_lo, exec_lo, s73
	s_wait_loadcnt 0x0
	s_wait_storecnt 0x0
	s_barrier_signal -1
	s_barrier_wait -1
	global_inv scope:SCOPE_SE
	scratch_load_b128 v[1:4], off, s69
	s_mov_b32 s73, exec_lo
	s_wait_loadcnt 0x0
	ds_store_b128 v5, v[1:4]
	s_wait_dscnt 0x0
	s_barrier_signal -1
	s_barrier_wait -1
	global_inv scope:SCOPE_SE
	v_cmpx_gt_u32_e32 8, v0
	s_cbranch_execz .LBB61_59
; %bb.44:
	scratch_load_b128 v[1:4], v14, off
	ds_load_b128 v[7:10], v5
	s_mov_b32 s74, exec_lo
	s_wait_loadcnt_dscnt 0x0
	v_mul_f64_e32 v[11:12], v[9:10], v[3:4]
	v_mul_f64_e32 v[3:4], v[7:8], v[3:4]
	s_delay_alu instid0(VALU_DEP_2) | instskip(NEXT) | instid1(VALU_DEP_2)
	v_fma_f64 v[7:8], v[7:8], v[1:2], -v[11:12]
	v_fma_f64 v[1:2], v[9:10], v[1:2], v[3:4]
	s_delay_alu instid0(VALU_DEP_2) | instskip(NEXT) | instid1(VALU_DEP_2)
	v_add_f64_e32 v[3:4], 0, v[7:8]
	v_add_f64_e32 v[1:2], 0, v[1:2]
	v_cmpx_ne_u32_e32 7, v0
	s_cbranch_execz .LBB61_58
; %bb.45:
	scratch_load_b128 v[7:10], v14, off offset:16
	ds_load_b128 v[15:18], v5 offset:16
	s_wait_loadcnt_dscnt 0x0
	v_mul_f64_e32 v[11:12], v[17:18], v[9:10]
	v_mul_f64_e32 v[9:10], v[15:16], v[9:10]
	s_delay_alu instid0(VALU_DEP_2) | instskip(NEXT) | instid1(VALU_DEP_2)
	v_fma_f64 v[11:12], v[15:16], v[7:8], -v[11:12]
	v_fma_f64 v[7:8], v[17:18], v[7:8], v[9:10]
	s_delay_alu instid0(VALU_DEP_2) | instskip(NEXT) | instid1(VALU_DEP_2)
	v_add_f64_e32 v[3:4], v[3:4], v[11:12]
	v_add_f64_e32 v[1:2], v[1:2], v[7:8]
	s_and_saveexec_b32 s3, s2
	s_cbranch_execz .LBB61_57
; %bb.46:
	scratch_load_b128 v[7:10], v14, off offset:32
	ds_load_b128 v[15:18], v5 offset:32
	s_mov_b32 s75, exec_lo
	s_wait_loadcnt_dscnt 0x0
	v_mul_f64_e32 v[11:12], v[17:18], v[9:10]
	v_mul_f64_e32 v[9:10], v[15:16], v[9:10]
	s_delay_alu instid0(VALU_DEP_2) | instskip(NEXT) | instid1(VALU_DEP_2)
	v_fma_f64 v[11:12], v[15:16], v[7:8], -v[11:12]
	v_fma_f64 v[7:8], v[17:18], v[7:8], v[9:10]
	s_delay_alu instid0(VALU_DEP_2) | instskip(NEXT) | instid1(VALU_DEP_2)
	v_add_f64_e32 v[3:4], v[3:4], v[11:12]
	v_add_f64_e32 v[1:2], v[1:2], v[7:8]
	v_cmpx_ne_u32_e32 5, v0
	s_cbranch_execz .LBB61_56
; %bb.47:
	scratch_load_b128 v[7:10], v14, off offset:48
	ds_load_b128 v[15:18], v5 offset:48
	s_wait_loadcnt_dscnt 0x0
	v_mul_f64_e32 v[11:12], v[17:18], v[9:10]
	v_mul_f64_e32 v[9:10], v[15:16], v[9:10]
	s_delay_alu instid0(VALU_DEP_2) | instskip(NEXT) | instid1(VALU_DEP_2)
	v_fma_f64 v[11:12], v[15:16], v[7:8], -v[11:12]
	v_fma_f64 v[7:8], v[17:18], v[7:8], v[9:10]
	s_delay_alu instid0(VALU_DEP_2) | instskip(NEXT) | instid1(VALU_DEP_2)
	v_add_f64_e32 v[3:4], v[3:4], v[11:12]
	v_add_f64_e32 v[1:2], v[1:2], v[7:8]
	s_and_saveexec_b32 s2, s1
	s_cbranch_execz .LBB61_55
; %bb.48:
	scratch_load_b128 v[7:10], v14, off offset:64
	ds_load_b128 v[15:18], v5 offset:64
	s_mov_b32 s76, exec_lo
	s_wait_loadcnt_dscnt 0x0
	v_mul_f64_e32 v[11:12], v[17:18], v[9:10]
	v_mul_f64_e32 v[9:10], v[15:16], v[9:10]
	s_delay_alu instid0(VALU_DEP_2) | instskip(NEXT) | instid1(VALU_DEP_2)
	v_fma_f64 v[11:12], v[15:16], v[7:8], -v[11:12]
	v_fma_f64 v[7:8], v[17:18], v[7:8], v[9:10]
	s_delay_alu instid0(VALU_DEP_2) | instskip(NEXT) | instid1(VALU_DEP_2)
	v_add_f64_e32 v[3:4], v[3:4], v[11:12]
	v_add_f64_e32 v[1:2], v[1:2], v[7:8]
	v_cmpx_ne_u32_e32 3, v0
	s_cbranch_execz .LBB61_54
; %bb.49:
	scratch_load_b128 v[7:10], v14, off offset:80
	ds_load_b128 v[15:18], v5 offset:80
	s_wait_loadcnt_dscnt 0x0
	v_mul_f64_e32 v[11:12], v[17:18], v[9:10]
	v_mul_f64_e32 v[9:10], v[15:16], v[9:10]
	s_delay_alu instid0(VALU_DEP_2) | instskip(NEXT) | instid1(VALU_DEP_2)
	v_fma_f64 v[11:12], v[15:16], v[7:8], -v[11:12]
	v_fma_f64 v[7:8], v[17:18], v[7:8], v[9:10]
	s_delay_alu instid0(VALU_DEP_2) | instskip(NEXT) | instid1(VALU_DEP_2)
	v_add_f64_e32 v[3:4], v[3:4], v[11:12]
	v_add_f64_e32 v[1:2], v[1:2], v[7:8]
	s_and_saveexec_b32 s1, vcc_lo
	s_cbranch_execz .LBB61_53
; %bb.50:
	scratch_load_b128 v[7:10], v14, off offset:96
	ds_load_b128 v[15:18], v5 offset:96
	s_wait_loadcnt_dscnt 0x0
	v_mul_f64_e32 v[11:12], v[17:18], v[9:10]
	v_mul_f64_e32 v[9:10], v[15:16], v[9:10]
	s_delay_alu instid0(VALU_DEP_2) | instskip(NEXT) | instid1(VALU_DEP_2)
	v_fma_f64 v[11:12], v[15:16], v[7:8], -v[11:12]
	v_fma_f64 v[7:8], v[17:18], v[7:8], v[9:10]
	s_delay_alu instid0(VALU_DEP_2) | instskip(NEXT) | instid1(VALU_DEP_2)
	v_add_f64_e32 v[3:4], v[3:4], v[11:12]
	v_add_f64_e32 v[1:2], v[1:2], v[7:8]
	s_and_saveexec_b32 s77, s0
	s_cbranch_execz .LBB61_52
; %bb.51:
	scratch_load_b128 v[7:10], v14, off offset:112
	ds_load_b128 v[15:18], v5 offset:112
	s_wait_loadcnt_dscnt 0x0
	v_mul_f64_e32 v[11:12], v[17:18], v[9:10]
	v_mul_f64_e32 v[9:10], v[15:16], v[9:10]
	s_delay_alu instid0(VALU_DEP_2) | instskip(NEXT) | instid1(VALU_DEP_2)
	v_fma_f64 v[11:12], v[15:16], v[7:8], -v[11:12]
	v_fma_f64 v[7:8], v[17:18], v[7:8], v[9:10]
	s_delay_alu instid0(VALU_DEP_2) | instskip(NEXT) | instid1(VALU_DEP_2)
	v_add_f64_e32 v[3:4], v[3:4], v[11:12]
	v_add_f64_e32 v[1:2], v[1:2], v[7:8]
.LBB61_52:
	s_or_b32 exec_lo, exec_lo, s77
.LBB61_53:
	s_wait_alu 0xfffe
	s_or_b32 exec_lo, exec_lo, s1
.LBB61_54:
	s_delay_alu instid0(SALU_CYCLE_1)
	s_or_b32 exec_lo, exec_lo, s76
.LBB61_55:
	s_wait_alu 0xfffe
	s_or_b32 exec_lo, exec_lo, s2
.LBB61_56:
	s_delay_alu instid0(SALU_CYCLE_1)
	s_or_b32 exec_lo, exec_lo, s75
.LBB61_57:
	s_wait_alu 0xfffe
	s_or_b32 exec_lo, exec_lo, s3
.LBB61_58:
	s_delay_alu instid0(SALU_CYCLE_1)
	s_or_b32 exec_lo, exec_lo, s74
	v_mov_b32_e32 v7, 0
	ds_load_b128 v[7:10], v7 offset:128
	s_wait_dscnt 0x0
	v_mul_f64_e32 v[11:12], v[1:2], v[9:10]
	v_mul_f64_e32 v[15:16], v[3:4], v[9:10]
	s_delay_alu instid0(VALU_DEP_2) | instskip(NEXT) | instid1(VALU_DEP_2)
	v_fma_f64 v[9:10], v[3:4], v[7:8], -v[11:12]
	v_fma_f64 v[11:12], v[1:2], v[7:8], v[15:16]
	scratch_store_b128 off, v[9:12], off offset:144
.LBB61_59:
	s_or_b32 exec_lo, exec_lo, s73
	s_wait_loadcnt 0x0
	s_wait_storecnt 0x0
	s_barrier_signal -1
	s_barrier_wait -1
	global_inv scope:SCOPE_SE
	scratch_load_b128 v[1:4], off, s68
	s_mov_b32 s0, exec_lo
	s_wait_loadcnt 0x0
	ds_store_b128 v5, v[1:4]
	s_wait_dscnt 0x0
	s_barrier_signal -1
	s_barrier_wait -1
	global_inv scope:SCOPE_SE
	v_cmpx_gt_u32_e32 9, v0
	s_cbranch_execz .LBB61_63
; %bb.60:
	v_dual_mov_b32 v1, 0 :: v_dual_add_nc_u32 v8, 0x3e0, v13
	v_mov_b32_e32 v3, 0
	v_dual_mov_b32 v2, 0 :: v_dual_add_nc_u32 v7, -1, v0
	v_mov_b32_e32 v4, 0
	v_or_b32_e32 v9, 8, v14
	s_mov_b32 s1, 0
.LBB61_61:                              ; =>This Inner Loop Header: Depth=1
	scratch_load_b128 v[15:18], v9, off offset:-8
	ds_load_b128 v[19:22], v8
	v_add_nc_u32_e32 v7, 1, v7
	v_add_nc_u32_e32 v8, 16, v8
	v_add_nc_u32_e32 v9, 16, v9
	s_delay_alu instid0(VALU_DEP_3)
	v_cmp_lt_u32_e32 vcc_lo, 7, v7
	s_wait_alu 0xfffe
	s_or_b32 s1, vcc_lo, s1
	s_wait_loadcnt_dscnt 0x0
	v_mul_f64_e32 v[10:11], v[21:22], v[17:18]
	v_mul_f64_e32 v[17:18], v[19:20], v[17:18]
	s_delay_alu instid0(VALU_DEP_2) | instskip(NEXT) | instid1(VALU_DEP_2)
	v_fma_f64 v[10:11], v[19:20], v[15:16], -v[10:11]
	v_fma_f64 v[15:16], v[21:22], v[15:16], v[17:18]
	s_delay_alu instid0(VALU_DEP_2) | instskip(NEXT) | instid1(VALU_DEP_2)
	v_add_f64_e32 v[3:4], v[3:4], v[10:11]
	v_add_f64_e32 v[1:2], v[1:2], v[15:16]
	s_wait_alu 0xfffe
	s_and_not1_b32 exec_lo, exec_lo, s1
	s_cbranch_execnz .LBB61_61
; %bb.62:
	s_or_b32 exec_lo, exec_lo, s1
	v_mov_b32_e32 v7, 0
	ds_load_b128 v[7:10], v7 offset:144
	s_wait_dscnt 0x0
	v_mul_f64_e32 v[11:12], v[1:2], v[9:10]
	v_mul_f64_e32 v[15:16], v[3:4], v[9:10]
	s_delay_alu instid0(VALU_DEP_2) | instskip(NEXT) | instid1(VALU_DEP_2)
	v_fma_f64 v[9:10], v[3:4], v[7:8], -v[11:12]
	v_fma_f64 v[11:12], v[1:2], v[7:8], v[15:16]
	scratch_store_b128 off, v[9:12], off offset:160
.LBB61_63:
	s_wait_alu 0xfffe
	s_or_b32 exec_lo, exec_lo, s0
	s_wait_loadcnt 0x0
	s_wait_storecnt 0x0
	s_barrier_signal -1
	s_barrier_wait -1
	global_inv scope:SCOPE_SE
	scratch_load_b128 v[1:4], off, s67
	s_mov_b32 s0, exec_lo
	s_wait_loadcnt 0x0
	ds_store_b128 v5, v[1:4]
	s_wait_dscnt 0x0
	s_barrier_signal -1
	s_barrier_wait -1
	global_inv scope:SCOPE_SE
	v_cmpx_gt_u32_e32 10, v0
	s_cbranch_execz .LBB61_67
; %bb.64:
	v_dual_mov_b32 v1, 0 :: v_dual_add_nc_u32 v8, 0x3e0, v13
	v_mov_b32_e32 v3, 0
	v_dual_mov_b32 v2, 0 :: v_dual_add_nc_u32 v7, -1, v0
	v_mov_b32_e32 v4, 0
	v_or_b32_e32 v9, 8, v14
	s_mov_b32 s1, 0
.LBB61_65:                              ; =>This Inner Loop Header: Depth=1
	scratch_load_b128 v[15:18], v9, off offset:-8
	ds_load_b128 v[19:22], v8
	v_add_nc_u32_e32 v7, 1, v7
	v_add_nc_u32_e32 v8, 16, v8
	v_add_nc_u32_e32 v9, 16, v9
	s_delay_alu instid0(VALU_DEP_3)
	v_cmp_lt_u32_e32 vcc_lo, 8, v7
	s_wait_alu 0xfffe
	s_or_b32 s1, vcc_lo, s1
	s_wait_loadcnt_dscnt 0x0
	v_mul_f64_e32 v[10:11], v[21:22], v[17:18]
	v_mul_f64_e32 v[17:18], v[19:20], v[17:18]
	s_delay_alu instid0(VALU_DEP_2) | instskip(NEXT) | instid1(VALU_DEP_2)
	v_fma_f64 v[10:11], v[19:20], v[15:16], -v[10:11]
	v_fma_f64 v[15:16], v[21:22], v[15:16], v[17:18]
	s_delay_alu instid0(VALU_DEP_2) | instskip(NEXT) | instid1(VALU_DEP_2)
	v_add_f64_e32 v[3:4], v[3:4], v[10:11]
	v_add_f64_e32 v[1:2], v[1:2], v[15:16]
	s_wait_alu 0xfffe
	s_and_not1_b32 exec_lo, exec_lo, s1
	s_cbranch_execnz .LBB61_65
; %bb.66:
	s_or_b32 exec_lo, exec_lo, s1
	v_mov_b32_e32 v7, 0
	ds_load_b128 v[7:10], v7 offset:160
	s_wait_dscnt 0x0
	v_mul_f64_e32 v[11:12], v[1:2], v[9:10]
	v_mul_f64_e32 v[15:16], v[3:4], v[9:10]
	s_delay_alu instid0(VALU_DEP_2) | instskip(NEXT) | instid1(VALU_DEP_2)
	v_fma_f64 v[9:10], v[3:4], v[7:8], -v[11:12]
	v_fma_f64 v[11:12], v[1:2], v[7:8], v[15:16]
	scratch_store_b128 off, v[9:12], off offset:176
.LBB61_67:
	s_wait_alu 0xfffe
	;; [unrolled: 58-line block ×10, first 2 shown]
	s_or_b32 exec_lo, exec_lo, s0
	s_wait_loadcnt 0x0
	s_wait_storecnt 0x0
	s_barrier_signal -1
	s_barrier_wait -1
	global_inv scope:SCOPE_SE
	scratch_load_b128 v[1:4], off, s52
	s_mov_b32 s0, exec_lo
	s_wait_loadcnt 0x0
	ds_store_b128 v5, v[1:4]
	s_wait_dscnt 0x0
	s_barrier_signal -1
	s_barrier_wait -1
	global_inv scope:SCOPE_SE
	v_cmpx_gt_u32_e32 19, v0
	s_cbranch_execz .LBB61_103
; %bb.100:
	v_dual_mov_b32 v1, 0 :: v_dual_add_nc_u32 v8, 0x3e0, v13
	v_mov_b32_e32 v3, 0
	v_dual_mov_b32 v2, 0 :: v_dual_add_nc_u32 v7, -1, v0
	v_mov_b32_e32 v4, 0
	v_or_b32_e32 v9, 8, v14
	s_mov_b32 s1, 0
.LBB61_101:                             ; =>This Inner Loop Header: Depth=1
	scratch_load_b128 v[15:18], v9, off offset:-8
	ds_load_b128 v[19:22], v8
	v_add_nc_u32_e32 v7, 1, v7
	v_add_nc_u32_e32 v8, 16, v8
	v_add_nc_u32_e32 v9, 16, v9
	s_delay_alu instid0(VALU_DEP_3)
	v_cmp_lt_u32_e32 vcc_lo, 17, v7
	s_wait_alu 0xfffe
	s_or_b32 s1, vcc_lo, s1
	s_wait_loadcnt_dscnt 0x0
	v_mul_f64_e32 v[10:11], v[21:22], v[17:18]
	v_mul_f64_e32 v[17:18], v[19:20], v[17:18]
	s_delay_alu instid0(VALU_DEP_2) | instskip(NEXT) | instid1(VALU_DEP_2)
	v_fma_f64 v[10:11], v[19:20], v[15:16], -v[10:11]
	v_fma_f64 v[15:16], v[21:22], v[15:16], v[17:18]
	s_delay_alu instid0(VALU_DEP_2) | instskip(NEXT) | instid1(VALU_DEP_2)
	v_add_f64_e32 v[3:4], v[3:4], v[10:11]
	v_add_f64_e32 v[1:2], v[1:2], v[15:16]
	s_wait_alu 0xfffe
	s_and_not1_b32 exec_lo, exec_lo, s1
	s_cbranch_execnz .LBB61_101
; %bb.102:
	s_or_b32 exec_lo, exec_lo, s1
	v_mov_b32_e32 v7, 0
	ds_load_b128 v[7:10], v7 offset:304
	s_wait_dscnt 0x0
	v_mul_f64_e32 v[11:12], v[1:2], v[9:10]
	v_mul_f64_e32 v[15:16], v[3:4], v[9:10]
	s_delay_alu instid0(VALU_DEP_2) | instskip(NEXT) | instid1(VALU_DEP_2)
	v_fma_f64 v[9:10], v[3:4], v[7:8], -v[11:12]
	v_fma_f64 v[11:12], v[1:2], v[7:8], v[15:16]
	scratch_store_b128 off, v[9:12], off offset:320
.LBB61_103:
	s_wait_alu 0xfffe
	s_or_b32 exec_lo, exec_lo, s0
	s_wait_loadcnt 0x0
	s_wait_storecnt 0x0
	s_barrier_signal -1
	s_barrier_wait -1
	global_inv scope:SCOPE_SE
	scratch_load_b128 v[1:4], off, s53
	s_mov_b32 s0, exec_lo
	s_wait_loadcnt 0x0
	ds_store_b128 v5, v[1:4]
	s_wait_dscnt 0x0
	s_barrier_signal -1
	s_barrier_wait -1
	global_inv scope:SCOPE_SE
	v_cmpx_gt_u32_e32 20, v0
	s_cbranch_execz .LBB61_107
; %bb.104:
	v_dual_mov_b32 v1, 0 :: v_dual_add_nc_u32 v8, 0x3e0, v13
	v_mov_b32_e32 v3, 0
	v_dual_mov_b32 v2, 0 :: v_dual_add_nc_u32 v7, -1, v0
	v_mov_b32_e32 v4, 0
	v_or_b32_e32 v9, 8, v14
	s_mov_b32 s1, 0
.LBB61_105:                             ; =>This Inner Loop Header: Depth=1
	scratch_load_b128 v[15:18], v9, off offset:-8
	ds_load_b128 v[19:22], v8
	v_add_nc_u32_e32 v7, 1, v7
	v_add_nc_u32_e32 v8, 16, v8
	v_add_nc_u32_e32 v9, 16, v9
	s_delay_alu instid0(VALU_DEP_3)
	v_cmp_lt_u32_e32 vcc_lo, 18, v7
	s_wait_alu 0xfffe
	s_or_b32 s1, vcc_lo, s1
	s_wait_loadcnt_dscnt 0x0
	v_mul_f64_e32 v[10:11], v[21:22], v[17:18]
	v_mul_f64_e32 v[17:18], v[19:20], v[17:18]
	s_delay_alu instid0(VALU_DEP_2) | instskip(NEXT) | instid1(VALU_DEP_2)
	v_fma_f64 v[10:11], v[19:20], v[15:16], -v[10:11]
	v_fma_f64 v[15:16], v[21:22], v[15:16], v[17:18]
	s_delay_alu instid0(VALU_DEP_2) | instskip(NEXT) | instid1(VALU_DEP_2)
	v_add_f64_e32 v[3:4], v[3:4], v[10:11]
	v_add_f64_e32 v[1:2], v[1:2], v[15:16]
	s_wait_alu 0xfffe
	s_and_not1_b32 exec_lo, exec_lo, s1
	s_cbranch_execnz .LBB61_105
; %bb.106:
	s_or_b32 exec_lo, exec_lo, s1
	v_mov_b32_e32 v7, 0
	ds_load_b128 v[7:10], v7 offset:320
	s_wait_dscnt 0x0
	v_mul_f64_e32 v[11:12], v[1:2], v[9:10]
	v_mul_f64_e32 v[15:16], v[3:4], v[9:10]
	s_delay_alu instid0(VALU_DEP_2) | instskip(NEXT) | instid1(VALU_DEP_2)
	v_fma_f64 v[9:10], v[3:4], v[7:8], -v[11:12]
	v_fma_f64 v[11:12], v[1:2], v[7:8], v[15:16]
	scratch_store_b128 off, v[9:12], off offset:336
.LBB61_107:
	s_wait_alu 0xfffe
	;; [unrolled: 58-line block ×42, first 2 shown]
	s_or_b32 exec_lo, exec_lo, s0
	s_wait_loadcnt 0x0
	s_wait_storecnt 0x0
	s_barrier_signal -1
	s_barrier_wait -1
	global_inv scope:SCOPE_SE
	scratch_load_b128 v[1:4], off, s58
	s_mov_b32 s0, exec_lo
	s_wait_loadcnt 0x0
	ds_store_b128 v5, v[1:4]
	s_wait_dscnt 0x0
	s_barrier_signal -1
	s_barrier_wait -1
	global_inv scope:SCOPE_SE
	v_cmpx_ne_u32_e32 61, v0
	s_cbranch_execz .LBB61_271
; %bb.268:
	v_mov_b32_e32 v1, 0
	v_dual_mov_b32 v2, 0 :: v_dual_mov_b32 v3, 0
	v_mov_b32_e32 v4, 0
	v_or_b32_e32 v7, 8, v14
	s_mov_b32 s1, 0
.LBB61_269:                             ; =>This Inner Loop Header: Depth=1
	scratch_load_b128 v[8:11], v7, off offset:-8
	ds_load_b128 v[12:15], v5
	v_add_nc_u32_e32 v6, 1, v6
	v_add_nc_u32_e32 v5, 16, v5
	;; [unrolled: 1-line block ×3, first 2 shown]
	s_delay_alu instid0(VALU_DEP_3)
	v_cmp_lt_u32_e32 vcc_lo, 59, v6
	s_wait_alu 0xfffe
	s_or_b32 s1, vcc_lo, s1
	s_wait_loadcnt_dscnt 0x0
	v_mul_f64_e32 v[16:17], v[14:15], v[10:11]
	v_mul_f64_e32 v[10:11], v[12:13], v[10:11]
	s_delay_alu instid0(VALU_DEP_2) | instskip(NEXT) | instid1(VALU_DEP_2)
	v_fma_f64 v[12:13], v[12:13], v[8:9], -v[16:17]
	v_fma_f64 v[8:9], v[14:15], v[8:9], v[10:11]
	s_delay_alu instid0(VALU_DEP_2) | instskip(NEXT) | instid1(VALU_DEP_2)
	v_add_f64_e32 v[3:4], v[3:4], v[12:13]
	v_add_f64_e32 v[1:2], v[1:2], v[8:9]
	s_wait_alu 0xfffe
	s_and_not1_b32 exec_lo, exec_lo, s1
	s_cbranch_execnz .LBB61_269
; %bb.270:
	s_or_b32 exec_lo, exec_lo, s1
	v_mov_b32_e32 v5, 0
	ds_load_b128 v[5:8], v5 offset:976
	s_wait_dscnt 0x0
	v_mul_f64_e32 v[9:10], v[1:2], v[7:8]
	v_mul_f64_e32 v[7:8], v[3:4], v[7:8]
	s_delay_alu instid0(VALU_DEP_2) | instskip(NEXT) | instid1(VALU_DEP_2)
	v_fma_f64 v[3:4], v[3:4], v[5:6], -v[9:10]
	v_fma_f64 v[5:6], v[1:2], v[5:6], v[7:8]
	scratch_store_b128 off, v[3:6], off offset:992
.LBB61_271:
	s_wait_alu 0xfffe
	s_or_b32 exec_lo, exec_lo, s0
	s_mov_b32 s1, -1
	s_wait_loadcnt 0x0
	s_wait_storecnt 0x0
	s_barrier_signal -1
	s_barrier_wait -1
	global_inv scope:SCOPE_SE
.LBB61_272:
	s_wait_alu 0xfffe
	s_and_b32 vcc_lo, exec_lo, s1
	s_wait_alu 0xfffe
	s_cbranch_vccz .LBB61_274
; %bb.273:
	v_mov_b32_e32 v1, 0
	s_lshl_b64 s[0:1], s[18:19], 2
	s_wait_alu 0xfffe
	s_add_nc_u64 s[0:1], s[6:7], s[0:1]
	global_load_b32 v1, v1, s[0:1]
	s_wait_loadcnt 0x0
	v_cmp_ne_u32_e32 vcc_lo, 0, v1
	s_cbranch_vccz .LBB61_275
.LBB61_274:
	s_nop 0
	s_sendmsg sendmsg(MSG_DEALLOC_VGPRS)
	s_endpgm
.LBB61_275:
	v_lshl_add_u32 v166, v0, 4, 0x3e0
	s_mov_b32 s0, exec_lo
	v_cmpx_eq_u32_e32 61, v0
	s_cbranch_execz .LBB61_277
; %bb.276:
	scratch_load_b128 v[1:4], off, s49
	v_mov_b32_e32 v5, 0
	s_delay_alu instid0(VALU_DEP_1)
	v_dual_mov_b32 v6, v5 :: v_dual_mov_b32 v7, v5
	v_mov_b32_e32 v8, v5
	scratch_store_b128 off, v[5:8], off offset:976
	s_wait_loadcnt 0x0
	ds_store_b128 v166, v[1:4]
.LBB61_277:
	s_wait_alu 0xfffe
	s_or_b32 exec_lo, exec_lo, s0
	s_wait_storecnt_dscnt 0x0
	s_barrier_signal -1
	s_barrier_wait -1
	global_inv scope:SCOPE_SE
	s_clause 0x1
	scratch_load_b128 v[2:5], off, off offset:992
	scratch_load_b128 v[6:9], off, off offset:976
	v_mov_b32_e32 v1, 0
	s_mov_b32 s0, exec_lo
	ds_load_b128 v[10:13], v1 offset:1968
	s_wait_loadcnt_dscnt 0x100
	v_mul_f64_e32 v[14:15], v[12:13], v[4:5]
	v_mul_f64_e32 v[4:5], v[10:11], v[4:5]
	s_delay_alu instid0(VALU_DEP_2) | instskip(NEXT) | instid1(VALU_DEP_2)
	v_fma_f64 v[10:11], v[10:11], v[2:3], -v[14:15]
	v_fma_f64 v[2:3], v[12:13], v[2:3], v[4:5]
	s_delay_alu instid0(VALU_DEP_2) | instskip(NEXT) | instid1(VALU_DEP_2)
	v_add_f64_e32 v[4:5], 0, v[10:11]
	v_add_f64_e32 v[10:11], 0, v[2:3]
	s_wait_loadcnt 0x0
	s_delay_alu instid0(VALU_DEP_2) | instskip(NEXT) | instid1(VALU_DEP_2)
	v_add_f64_e64 v[2:3], v[6:7], -v[4:5]
	v_add_f64_e64 v[4:5], v[8:9], -v[10:11]
	scratch_store_b128 off, v[2:5], off offset:976
	v_cmpx_lt_u32_e32 59, v0
	s_cbranch_execz .LBB61_279
; %bb.278:
	scratch_load_b128 v[5:8], off, s39
	v_dual_mov_b32 v2, v1 :: v_dual_mov_b32 v3, v1
	v_mov_b32_e32 v4, v1
	scratch_store_b128 off, v[1:4], off offset:960
	s_wait_loadcnt 0x0
	ds_store_b128 v166, v[5:8]
.LBB61_279:
	s_wait_alu 0xfffe
	s_or_b32 exec_lo, exec_lo, s0
	s_wait_storecnt_dscnt 0x0
	s_barrier_signal -1
	s_barrier_wait -1
	global_inv scope:SCOPE_SE
	s_clause 0x2
	scratch_load_b128 v[2:5], off, off offset:976
	scratch_load_b128 v[6:9], off, off offset:992
	;; [unrolled: 1-line block ×3, first 2 shown]
	ds_load_b128 v[14:17], v1 offset:1952
	ds_load_b128 v[18:21], v1 offset:1968
	s_mov_b32 s0, exec_lo
	s_wait_loadcnt_dscnt 0x201
	v_mul_f64_e32 v[22:23], v[16:17], v[4:5]
	v_mul_f64_e32 v[4:5], v[14:15], v[4:5]
	s_wait_loadcnt_dscnt 0x100
	v_mul_f64_e32 v[24:25], v[18:19], v[8:9]
	v_mul_f64_e32 v[8:9], v[20:21], v[8:9]
	s_delay_alu instid0(VALU_DEP_4) | instskip(NEXT) | instid1(VALU_DEP_4)
	v_fma_f64 v[14:15], v[14:15], v[2:3], -v[22:23]
	v_fma_f64 v[1:2], v[16:17], v[2:3], v[4:5]
	s_delay_alu instid0(VALU_DEP_4) | instskip(NEXT) | instid1(VALU_DEP_4)
	v_fma_f64 v[3:4], v[20:21], v[6:7], v[24:25]
	v_fma_f64 v[5:6], v[18:19], v[6:7], -v[8:9]
	s_delay_alu instid0(VALU_DEP_4) | instskip(NEXT) | instid1(VALU_DEP_4)
	v_add_f64_e32 v[7:8], 0, v[14:15]
	v_add_f64_e32 v[1:2], 0, v[1:2]
	s_delay_alu instid0(VALU_DEP_2) | instskip(NEXT) | instid1(VALU_DEP_2)
	v_add_f64_e32 v[5:6], v[7:8], v[5:6]
	v_add_f64_e32 v[3:4], v[1:2], v[3:4]
	s_wait_loadcnt 0x0
	s_delay_alu instid0(VALU_DEP_2) | instskip(NEXT) | instid1(VALU_DEP_2)
	v_add_f64_e64 v[1:2], v[10:11], -v[5:6]
	v_add_f64_e64 v[3:4], v[12:13], -v[3:4]
	scratch_store_b128 off, v[1:4], off offset:960
	v_cmpx_lt_u32_e32 58, v0
	s_cbranch_execz .LBB61_281
; %bb.280:
	scratch_load_b128 v[1:4], off, s44
	v_mov_b32_e32 v5, 0
	s_delay_alu instid0(VALU_DEP_1)
	v_dual_mov_b32 v6, v5 :: v_dual_mov_b32 v7, v5
	v_mov_b32_e32 v8, v5
	scratch_store_b128 off, v[5:8], off offset:944
	s_wait_loadcnt 0x0
	ds_store_b128 v166, v[1:4]
.LBB61_281:
	s_wait_alu 0xfffe
	s_or_b32 exec_lo, exec_lo, s0
	s_wait_storecnt_dscnt 0x0
	s_barrier_signal -1
	s_barrier_wait -1
	global_inv scope:SCOPE_SE
	s_clause 0x3
	scratch_load_b128 v[2:5], off, off offset:960
	scratch_load_b128 v[6:9], off, off offset:976
	;; [unrolled: 1-line block ×4, first 2 shown]
	v_mov_b32_e32 v1, 0
	ds_load_b128 v[18:21], v1 offset:1936
	ds_load_b128 v[22:25], v1 offset:1952
	s_mov_b32 s0, exec_lo
	s_wait_loadcnt_dscnt 0x301
	v_mul_f64_e32 v[26:27], v[20:21], v[4:5]
	v_mul_f64_e32 v[4:5], v[18:19], v[4:5]
	s_wait_loadcnt_dscnt 0x200
	v_mul_f64_e32 v[28:29], v[22:23], v[8:9]
	v_mul_f64_e32 v[8:9], v[24:25], v[8:9]
	s_delay_alu instid0(VALU_DEP_4) | instskip(NEXT) | instid1(VALU_DEP_4)
	v_fma_f64 v[18:19], v[18:19], v[2:3], -v[26:27]
	v_fma_f64 v[20:21], v[20:21], v[2:3], v[4:5]
	ds_load_b128 v[2:5], v1 offset:1968
	v_fma_f64 v[24:25], v[24:25], v[6:7], v[28:29]
	v_fma_f64 v[6:7], v[22:23], v[6:7], -v[8:9]
	s_wait_loadcnt_dscnt 0x100
	v_mul_f64_e32 v[26:27], v[2:3], v[12:13]
	v_mul_f64_e32 v[12:13], v[4:5], v[12:13]
	v_add_f64_e32 v[8:9], 0, v[18:19]
	v_add_f64_e32 v[18:19], 0, v[20:21]
	s_delay_alu instid0(VALU_DEP_4) | instskip(NEXT) | instid1(VALU_DEP_4)
	v_fma_f64 v[4:5], v[4:5], v[10:11], v[26:27]
	v_fma_f64 v[2:3], v[2:3], v[10:11], -v[12:13]
	s_delay_alu instid0(VALU_DEP_4) | instskip(NEXT) | instid1(VALU_DEP_4)
	v_add_f64_e32 v[6:7], v[8:9], v[6:7]
	v_add_f64_e32 v[8:9], v[18:19], v[24:25]
	s_delay_alu instid0(VALU_DEP_2) | instskip(NEXT) | instid1(VALU_DEP_2)
	v_add_f64_e32 v[2:3], v[6:7], v[2:3]
	v_add_f64_e32 v[4:5], v[8:9], v[4:5]
	s_wait_loadcnt 0x0
	s_delay_alu instid0(VALU_DEP_2) | instskip(NEXT) | instid1(VALU_DEP_2)
	v_add_f64_e64 v[2:3], v[14:15], -v[2:3]
	v_add_f64_e64 v[4:5], v[16:17], -v[4:5]
	scratch_store_b128 off, v[2:5], off offset:944
	v_cmpx_lt_u32_e32 57, v0
	s_cbranch_execz .LBB61_283
; %bb.282:
	scratch_load_b128 v[5:8], off, s35
	v_dual_mov_b32 v2, v1 :: v_dual_mov_b32 v3, v1
	v_mov_b32_e32 v4, v1
	scratch_store_b128 off, v[1:4], off offset:928
	s_wait_loadcnt 0x0
	ds_store_b128 v166, v[5:8]
.LBB61_283:
	s_wait_alu 0xfffe
	s_or_b32 exec_lo, exec_lo, s0
	s_wait_storecnt_dscnt 0x0
	s_barrier_signal -1
	s_barrier_wait -1
	global_inv scope:SCOPE_SE
	s_clause 0x4
	scratch_load_b128 v[2:5], off, off offset:944
	scratch_load_b128 v[6:9], off, off offset:960
	;; [unrolled: 1-line block ×5, first 2 shown]
	ds_load_b128 v[22:25], v1 offset:1920
	ds_load_b128 v[26:29], v1 offset:1936
	s_mov_b32 s0, exec_lo
	s_wait_loadcnt_dscnt 0x401
	v_mul_f64_e32 v[30:31], v[24:25], v[4:5]
	v_mul_f64_e32 v[4:5], v[22:23], v[4:5]
	s_wait_loadcnt_dscnt 0x300
	v_mul_f64_e32 v[32:33], v[26:27], v[8:9]
	v_mul_f64_e32 v[8:9], v[28:29], v[8:9]
	s_delay_alu instid0(VALU_DEP_4) | instskip(NEXT) | instid1(VALU_DEP_4)
	v_fma_f64 v[30:31], v[22:23], v[2:3], -v[30:31]
	v_fma_f64 v[34:35], v[24:25], v[2:3], v[4:5]
	ds_load_b128 v[2:5], v1 offset:1952
	ds_load_b128 v[22:25], v1 offset:1968
	v_fma_f64 v[28:29], v[28:29], v[6:7], v[32:33]
	v_fma_f64 v[6:7], v[26:27], v[6:7], -v[8:9]
	s_wait_loadcnt_dscnt 0x201
	v_mul_f64_e32 v[36:37], v[2:3], v[12:13]
	v_mul_f64_e32 v[12:13], v[4:5], v[12:13]
	v_add_f64_e32 v[8:9], 0, v[30:31]
	v_add_f64_e32 v[26:27], 0, v[34:35]
	s_wait_loadcnt_dscnt 0x100
	v_mul_f64_e32 v[30:31], v[22:23], v[16:17]
	v_mul_f64_e32 v[16:17], v[24:25], v[16:17]
	v_fma_f64 v[4:5], v[4:5], v[10:11], v[36:37]
	v_fma_f64 v[1:2], v[2:3], v[10:11], -v[12:13]
	v_add_f64_e32 v[6:7], v[8:9], v[6:7]
	v_add_f64_e32 v[8:9], v[26:27], v[28:29]
	v_fma_f64 v[10:11], v[24:25], v[14:15], v[30:31]
	v_fma_f64 v[12:13], v[22:23], v[14:15], -v[16:17]
	s_delay_alu instid0(VALU_DEP_4) | instskip(NEXT) | instid1(VALU_DEP_4)
	v_add_f64_e32 v[1:2], v[6:7], v[1:2]
	v_add_f64_e32 v[3:4], v[8:9], v[4:5]
	s_delay_alu instid0(VALU_DEP_2) | instskip(NEXT) | instid1(VALU_DEP_2)
	v_add_f64_e32 v[1:2], v[1:2], v[12:13]
	v_add_f64_e32 v[3:4], v[3:4], v[10:11]
	s_wait_loadcnt 0x0
	s_delay_alu instid0(VALU_DEP_2) | instskip(NEXT) | instid1(VALU_DEP_2)
	v_add_f64_e64 v[1:2], v[18:19], -v[1:2]
	v_add_f64_e64 v[3:4], v[20:21], -v[3:4]
	scratch_store_b128 off, v[1:4], off offset:928
	v_cmpx_lt_u32_e32 56, v0
	s_cbranch_execz .LBB61_285
; %bb.284:
	scratch_load_b128 v[1:4], off, s43
	v_mov_b32_e32 v5, 0
	s_delay_alu instid0(VALU_DEP_1)
	v_dual_mov_b32 v6, v5 :: v_dual_mov_b32 v7, v5
	v_mov_b32_e32 v8, v5
	scratch_store_b128 off, v[5:8], off offset:912
	s_wait_loadcnt 0x0
	ds_store_b128 v166, v[1:4]
.LBB61_285:
	s_wait_alu 0xfffe
	s_or_b32 exec_lo, exec_lo, s0
	s_wait_storecnt_dscnt 0x0
	s_barrier_signal -1
	s_barrier_wait -1
	global_inv scope:SCOPE_SE
	s_clause 0x5
	scratch_load_b128 v[2:5], off, off offset:928
	scratch_load_b128 v[6:9], off, off offset:944
	scratch_load_b128 v[10:13], off, off offset:960
	scratch_load_b128 v[14:17], off, off offset:976
	scratch_load_b128 v[18:21], off, off offset:992
	scratch_load_b128 v[22:25], off, off offset:912
	v_mov_b32_e32 v1, 0
	ds_load_b128 v[26:29], v1 offset:1904
	ds_load_b128 v[30:33], v1 offset:1920
	s_mov_b32 s0, exec_lo
	s_wait_loadcnt_dscnt 0x501
	v_mul_f64_e32 v[34:35], v[28:29], v[4:5]
	v_mul_f64_e32 v[4:5], v[26:27], v[4:5]
	s_wait_loadcnt_dscnt 0x400
	v_mul_f64_e32 v[36:37], v[30:31], v[8:9]
	v_mul_f64_e32 v[8:9], v[32:33], v[8:9]
	s_delay_alu instid0(VALU_DEP_4) | instskip(NEXT) | instid1(VALU_DEP_4)
	v_fma_f64 v[34:35], v[26:27], v[2:3], -v[34:35]
	v_fma_f64 v[38:39], v[28:29], v[2:3], v[4:5]
	ds_load_b128 v[2:5], v1 offset:1936
	ds_load_b128 v[26:29], v1 offset:1952
	v_fma_f64 v[32:33], v[32:33], v[6:7], v[36:37]
	v_fma_f64 v[6:7], v[30:31], v[6:7], -v[8:9]
	s_wait_loadcnt_dscnt 0x301
	v_mul_f64_e32 v[40:41], v[2:3], v[12:13]
	v_mul_f64_e32 v[12:13], v[4:5], v[12:13]
	v_add_f64_e32 v[8:9], 0, v[34:35]
	v_add_f64_e32 v[30:31], 0, v[38:39]
	s_wait_loadcnt_dscnt 0x200
	v_mul_f64_e32 v[34:35], v[26:27], v[16:17]
	v_mul_f64_e32 v[16:17], v[28:29], v[16:17]
	v_fma_f64 v[36:37], v[4:5], v[10:11], v[40:41]
	v_fma_f64 v[10:11], v[2:3], v[10:11], -v[12:13]
	ds_load_b128 v[2:5], v1 offset:1968
	v_add_f64_e32 v[6:7], v[8:9], v[6:7]
	v_add_f64_e32 v[8:9], v[30:31], v[32:33]
	v_fma_f64 v[28:29], v[28:29], v[14:15], v[34:35]
	v_fma_f64 v[14:15], v[26:27], v[14:15], -v[16:17]
	s_wait_loadcnt_dscnt 0x100
	v_mul_f64_e32 v[12:13], v[2:3], v[20:21]
	v_mul_f64_e32 v[20:21], v[4:5], v[20:21]
	v_add_f64_e32 v[6:7], v[6:7], v[10:11]
	v_add_f64_e32 v[8:9], v[8:9], v[36:37]
	s_delay_alu instid0(VALU_DEP_4) | instskip(NEXT) | instid1(VALU_DEP_4)
	v_fma_f64 v[4:5], v[4:5], v[18:19], v[12:13]
	v_fma_f64 v[2:3], v[2:3], v[18:19], -v[20:21]
	s_delay_alu instid0(VALU_DEP_4) | instskip(NEXT) | instid1(VALU_DEP_4)
	v_add_f64_e32 v[6:7], v[6:7], v[14:15]
	v_add_f64_e32 v[8:9], v[8:9], v[28:29]
	s_delay_alu instid0(VALU_DEP_2) | instskip(NEXT) | instid1(VALU_DEP_2)
	v_add_f64_e32 v[2:3], v[6:7], v[2:3]
	v_add_f64_e32 v[4:5], v[8:9], v[4:5]
	s_wait_loadcnt 0x0
	s_delay_alu instid0(VALU_DEP_2) | instskip(NEXT) | instid1(VALU_DEP_2)
	v_add_f64_e64 v[2:3], v[22:23], -v[2:3]
	v_add_f64_e64 v[4:5], v[24:25], -v[4:5]
	scratch_store_b128 off, v[2:5], off offset:912
	v_cmpx_lt_u32_e32 55, v0
	s_cbranch_execz .LBB61_287
; %bb.286:
	scratch_load_b128 v[5:8], off, s34
	v_dual_mov_b32 v2, v1 :: v_dual_mov_b32 v3, v1
	v_mov_b32_e32 v4, v1
	scratch_store_b128 off, v[1:4], off offset:896
	s_wait_loadcnt 0x0
	ds_store_b128 v166, v[5:8]
.LBB61_287:
	s_wait_alu 0xfffe
	s_or_b32 exec_lo, exec_lo, s0
	s_wait_storecnt_dscnt 0x0
	s_barrier_signal -1
	s_barrier_wait -1
	global_inv scope:SCOPE_SE
	s_clause 0x5
	scratch_load_b128 v[2:5], off, off offset:912
	scratch_load_b128 v[6:9], off, off offset:928
	;; [unrolled: 1-line block ×6, first 2 shown]
	ds_load_b128 v[26:29], v1 offset:1888
	ds_load_b128 v[34:37], v1 offset:1904
	scratch_load_b128 v[30:33], off, off offset:896
	s_mov_b32 s0, exec_lo
	s_wait_loadcnt_dscnt 0x601
	v_mul_f64_e32 v[38:39], v[28:29], v[4:5]
	v_mul_f64_e32 v[4:5], v[26:27], v[4:5]
	s_wait_loadcnt_dscnt 0x500
	v_mul_f64_e32 v[40:41], v[34:35], v[8:9]
	v_mul_f64_e32 v[8:9], v[36:37], v[8:9]
	s_delay_alu instid0(VALU_DEP_4) | instskip(NEXT) | instid1(VALU_DEP_4)
	v_fma_f64 v[38:39], v[26:27], v[2:3], -v[38:39]
	v_fma_f64 v[167:168], v[28:29], v[2:3], v[4:5]
	ds_load_b128 v[2:5], v1 offset:1920
	ds_load_b128 v[26:29], v1 offset:1936
	v_fma_f64 v[36:37], v[36:37], v[6:7], v[40:41]
	v_fma_f64 v[6:7], v[34:35], v[6:7], -v[8:9]
	s_wait_loadcnt_dscnt 0x401
	v_mul_f64_e32 v[169:170], v[2:3], v[12:13]
	v_mul_f64_e32 v[12:13], v[4:5], v[12:13]
	v_add_f64_e32 v[8:9], 0, v[38:39]
	v_add_f64_e32 v[34:35], 0, v[167:168]
	s_wait_loadcnt_dscnt 0x300
	v_mul_f64_e32 v[38:39], v[26:27], v[16:17]
	v_mul_f64_e32 v[16:17], v[28:29], v[16:17]
	v_fma_f64 v[40:41], v[4:5], v[10:11], v[169:170]
	v_fma_f64 v[10:11], v[2:3], v[10:11], -v[12:13]
	v_add_f64_e32 v[12:13], v[8:9], v[6:7]
	v_add_f64_e32 v[34:35], v[34:35], v[36:37]
	ds_load_b128 v[2:5], v1 offset:1952
	ds_load_b128 v[6:9], v1 offset:1968
	v_fma_f64 v[28:29], v[28:29], v[14:15], v[38:39]
	v_fma_f64 v[14:15], v[26:27], v[14:15], -v[16:17]
	s_wait_loadcnt_dscnt 0x201
	v_mul_f64_e32 v[36:37], v[2:3], v[20:21]
	v_mul_f64_e32 v[20:21], v[4:5], v[20:21]
	s_wait_loadcnt_dscnt 0x100
	v_mul_f64_e32 v[16:17], v[6:7], v[24:25]
	v_mul_f64_e32 v[24:25], v[8:9], v[24:25]
	v_add_f64_e32 v[10:11], v[12:13], v[10:11]
	v_add_f64_e32 v[12:13], v[34:35], v[40:41]
	v_fma_f64 v[4:5], v[4:5], v[18:19], v[36:37]
	v_fma_f64 v[1:2], v[2:3], v[18:19], -v[20:21]
	v_fma_f64 v[8:9], v[8:9], v[22:23], v[16:17]
	v_fma_f64 v[6:7], v[6:7], v[22:23], -v[24:25]
	v_add_f64_e32 v[10:11], v[10:11], v[14:15]
	v_add_f64_e32 v[12:13], v[12:13], v[28:29]
	s_delay_alu instid0(VALU_DEP_2) | instskip(NEXT) | instid1(VALU_DEP_2)
	v_add_f64_e32 v[1:2], v[10:11], v[1:2]
	v_add_f64_e32 v[3:4], v[12:13], v[4:5]
	s_delay_alu instid0(VALU_DEP_2) | instskip(NEXT) | instid1(VALU_DEP_2)
	v_add_f64_e32 v[1:2], v[1:2], v[6:7]
	v_add_f64_e32 v[3:4], v[3:4], v[8:9]
	s_wait_loadcnt 0x0
	s_delay_alu instid0(VALU_DEP_2) | instskip(NEXT) | instid1(VALU_DEP_2)
	v_add_f64_e64 v[1:2], v[30:31], -v[1:2]
	v_add_f64_e64 v[3:4], v[32:33], -v[3:4]
	scratch_store_b128 off, v[1:4], off offset:896
	v_cmpx_lt_u32_e32 54, v0
	s_cbranch_execz .LBB61_289
; %bb.288:
	scratch_load_b128 v[1:4], off, s38
	v_mov_b32_e32 v5, 0
	s_delay_alu instid0(VALU_DEP_1)
	v_dual_mov_b32 v6, v5 :: v_dual_mov_b32 v7, v5
	v_mov_b32_e32 v8, v5
	scratch_store_b128 off, v[5:8], off offset:880
	s_wait_loadcnt 0x0
	ds_store_b128 v166, v[1:4]
.LBB61_289:
	s_wait_alu 0xfffe
	s_or_b32 exec_lo, exec_lo, s0
	s_wait_storecnt_dscnt 0x0
	s_barrier_signal -1
	s_barrier_wait -1
	global_inv scope:SCOPE_SE
	s_clause 0x6
	scratch_load_b128 v[2:5], off, off offset:896
	scratch_load_b128 v[6:9], off, off offset:912
	;; [unrolled: 1-line block ×7, first 2 shown]
	v_mov_b32_e32 v1, 0
	scratch_load_b128 v[34:37], off, off offset:880
	s_mov_b32 s0, exec_lo
	ds_load_b128 v[30:33], v1 offset:1872
	ds_load_b128 v[38:41], v1 offset:1888
	s_wait_loadcnt_dscnt 0x701
	v_mul_f64_e32 v[167:168], v[32:33], v[4:5]
	v_mul_f64_e32 v[4:5], v[30:31], v[4:5]
	s_wait_loadcnt_dscnt 0x600
	v_mul_f64_e32 v[169:170], v[38:39], v[8:9]
	v_mul_f64_e32 v[8:9], v[40:41], v[8:9]
	s_delay_alu instid0(VALU_DEP_4) | instskip(NEXT) | instid1(VALU_DEP_4)
	v_fma_f64 v[167:168], v[30:31], v[2:3], -v[167:168]
	v_fma_f64 v[171:172], v[32:33], v[2:3], v[4:5]
	ds_load_b128 v[2:5], v1 offset:1904
	ds_load_b128 v[30:33], v1 offset:1920
	v_fma_f64 v[40:41], v[40:41], v[6:7], v[169:170]
	v_fma_f64 v[6:7], v[38:39], v[6:7], -v[8:9]
	s_wait_loadcnt_dscnt 0x501
	v_mul_f64_e32 v[173:174], v[2:3], v[12:13]
	v_mul_f64_e32 v[12:13], v[4:5], v[12:13]
	v_add_f64_e32 v[8:9], 0, v[167:168]
	v_add_f64_e32 v[38:39], 0, v[171:172]
	s_wait_loadcnt_dscnt 0x400
	v_mul_f64_e32 v[167:168], v[30:31], v[16:17]
	v_mul_f64_e32 v[16:17], v[32:33], v[16:17]
	v_fma_f64 v[169:170], v[4:5], v[10:11], v[173:174]
	v_fma_f64 v[10:11], v[2:3], v[10:11], -v[12:13]
	v_add_f64_e32 v[12:13], v[8:9], v[6:7]
	v_add_f64_e32 v[38:39], v[38:39], v[40:41]
	ds_load_b128 v[2:5], v1 offset:1936
	ds_load_b128 v[6:9], v1 offset:1952
	v_fma_f64 v[32:33], v[32:33], v[14:15], v[167:168]
	v_fma_f64 v[14:15], v[30:31], v[14:15], -v[16:17]
	s_wait_loadcnt_dscnt 0x301
	v_mul_f64_e32 v[40:41], v[2:3], v[20:21]
	v_mul_f64_e32 v[20:21], v[4:5], v[20:21]
	s_wait_loadcnt_dscnt 0x200
	v_mul_f64_e32 v[16:17], v[6:7], v[24:25]
	v_mul_f64_e32 v[24:25], v[8:9], v[24:25]
	v_add_f64_e32 v[10:11], v[12:13], v[10:11]
	v_add_f64_e32 v[12:13], v[38:39], v[169:170]
	v_fma_f64 v[30:31], v[4:5], v[18:19], v[40:41]
	v_fma_f64 v[18:19], v[2:3], v[18:19], -v[20:21]
	ds_load_b128 v[2:5], v1 offset:1968
	v_fma_f64 v[8:9], v[8:9], v[22:23], v[16:17]
	v_fma_f64 v[6:7], v[6:7], v[22:23], -v[24:25]
	v_add_f64_e32 v[10:11], v[10:11], v[14:15]
	v_add_f64_e32 v[12:13], v[12:13], v[32:33]
	s_wait_loadcnt_dscnt 0x100
	v_mul_f64_e32 v[14:15], v[2:3], v[28:29]
	v_mul_f64_e32 v[20:21], v[4:5], v[28:29]
	s_delay_alu instid0(VALU_DEP_4) | instskip(NEXT) | instid1(VALU_DEP_4)
	v_add_f64_e32 v[10:11], v[10:11], v[18:19]
	v_add_f64_e32 v[12:13], v[12:13], v[30:31]
	s_delay_alu instid0(VALU_DEP_4) | instskip(NEXT) | instid1(VALU_DEP_4)
	v_fma_f64 v[4:5], v[4:5], v[26:27], v[14:15]
	v_fma_f64 v[2:3], v[2:3], v[26:27], -v[20:21]
	s_delay_alu instid0(VALU_DEP_4) | instskip(NEXT) | instid1(VALU_DEP_4)
	v_add_f64_e32 v[6:7], v[10:11], v[6:7]
	v_add_f64_e32 v[8:9], v[12:13], v[8:9]
	s_delay_alu instid0(VALU_DEP_2) | instskip(NEXT) | instid1(VALU_DEP_2)
	v_add_f64_e32 v[2:3], v[6:7], v[2:3]
	v_add_f64_e32 v[4:5], v[8:9], v[4:5]
	s_wait_loadcnt 0x0
	s_delay_alu instid0(VALU_DEP_2) | instskip(NEXT) | instid1(VALU_DEP_2)
	v_add_f64_e64 v[2:3], v[34:35], -v[2:3]
	v_add_f64_e64 v[4:5], v[36:37], -v[4:5]
	scratch_store_b128 off, v[2:5], off offset:880
	v_cmpx_lt_u32_e32 53, v0
	s_cbranch_execz .LBB61_291
; %bb.290:
	scratch_load_b128 v[5:8], off, s27
	v_dual_mov_b32 v2, v1 :: v_dual_mov_b32 v3, v1
	v_mov_b32_e32 v4, v1
	scratch_store_b128 off, v[1:4], off offset:864
	s_wait_loadcnt 0x0
	ds_store_b128 v166, v[5:8]
.LBB61_291:
	s_wait_alu 0xfffe
	s_or_b32 exec_lo, exec_lo, s0
	s_wait_storecnt_dscnt 0x0
	s_barrier_signal -1
	s_barrier_wait -1
	global_inv scope:SCOPE_SE
	s_clause 0x7
	scratch_load_b128 v[2:5], off, off offset:880
	scratch_load_b128 v[6:9], off, off offset:896
	;; [unrolled: 1-line block ×8, first 2 shown]
	ds_load_b128 v[34:37], v1 offset:1856
	ds_load_b128 v[38:41], v1 offset:1872
	scratch_load_b128 v[167:170], off, off offset:864
	s_mov_b32 s0, exec_lo
	s_wait_loadcnt_dscnt 0x801
	v_mul_f64_e32 v[171:172], v[36:37], v[4:5]
	v_mul_f64_e32 v[4:5], v[34:35], v[4:5]
	s_wait_loadcnt_dscnt 0x700
	v_mul_f64_e32 v[173:174], v[38:39], v[8:9]
	v_mul_f64_e32 v[8:9], v[40:41], v[8:9]
	s_delay_alu instid0(VALU_DEP_4) | instskip(NEXT) | instid1(VALU_DEP_4)
	v_fma_f64 v[171:172], v[34:35], v[2:3], -v[171:172]
	v_fma_f64 v[175:176], v[36:37], v[2:3], v[4:5]
	ds_load_b128 v[2:5], v1 offset:1888
	ds_load_b128 v[34:37], v1 offset:1904
	v_fma_f64 v[40:41], v[40:41], v[6:7], v[173:174]
	v_fma_f64 v[6:7], v[38:39], v[6:7], -v[8:9]
	s_wait_loadcnt_dscnt 0x601
	v_mul_f64_e32 v[177:178], v[2:3], v[12:13]
	v_mul_f64_e32 v[12:13], v[4:5], v[12:13]
	v_add_f64_e32 v[8:9], 0, v[171:172]
	v_add_f64_e32 v[38:39], 0, v[175:176]
	s_wait_loadcnt_dscnt 0x500
	v_mul_f64_e32 v[171:172], v[34:35], v[16:17]
	v_mul_f64_e32 v[16:17], v[36:37], v[16:17]
	v_fma_f64 v[173:174], v[4:5], v[10:11], v[177:178]
	v_fma_f64 v[10:11], v[2:3], v[10:11], -v[12:13]
	v_add_f64_e32 v[12:13], v[8:9], v[6:7]
	v_add_f64_e32 v[38:39], v[38:39], v[40:41]
	ds_load_b128 v[2:5], v1 offset:1920
	ds_load_b128 v[6:9], v1 offset:1936
	v_fma_f64 v[36:37], v[36:37], v[14:15], v[171:172]
	v_fma_f64 v[14:15], v[34:35], v[14:15], -v[16:17]
	s_wait_loadcnt_dscnt 0x401
	v_mul_f64_e32 v[40:41], v[2:3], v[20:21]
	v_mul_f64_e32 v[20:21], v[4:5], v[20:21]
	s_wait_loadcnt_dscnt 0x300
	v_mul_f64_e32 v[16:17], v[6:7], v[24:25]
	v_mul_f64_e32 v[24:25], v[8:9], v[24:25]
	v_add_f64_e32 v[10:11], v[12:13], v[10:11]
	v_add_f64_e32 v[12:13], v[38:39], v[173:174]
	v_fma_f64 v[34:35], v[4:5], v[18:19], v[40:41]
	v_fma_f64 v[18:19], v[2:3], v[18:19], -v[20:21]
	v_fma_f64 v[8:9], v[8:9], v[22:23], v[16:17]
	v_fma_f64 v[6:7], v[6:7], v[22:23], -v[24:25]
	v_add_f64_e32 v[14:15], v[10:11], v[14:15]
	v_add_f64_e32 v[20:21], v[12:13], v[36:37]
	ds_load_b128 v[2:5], v1 offset:1952
	ds_load_b128 v[10:13], v1 offset:1968
	s_wait_loadcnt_dscnt 0x201
	v_mul_f64_e32 v[36:37], v[2:3], v[28:29]
	v_mul_f64_e32 v[28:29], v[4:5], v[28:29]
	v_add_f64_e32 v[14:15], v[14:15], v[18:19]
	v_add_f64_e32 v[16:17], v[20:21], v[34:35]
	s_wait_loadcnt_dscnt 0x100
	v_mul_f64_e32 v[18:19], v[10:11], v[32:33]
	v_mul_f64_e32 v[20:21], v[12:13], v[32:33]
	v_fma_f64 v[4:5], v[4:5], v[26:27], v[36:37]
	v_fma_f64 v[1:2], v[2:3], v[26:27], -v[28:29]
	v_add_f64_e32 v[6:7], v[14:15], v[6:7]
	v_add_f64_e32 v[8:9], v[16:17], v[8:9]
	v_fma_f64 v[12:13], v[12:13], v[30:31], v[18:19]
	v_fma_f64 v[10:11], v[10:11], v[30:31], -v[20:21]
	s_delay_alu instid0(VALU_DEP_4) | instskip(NEXT) | instid1(VALU_DEP_4)
	v_add_f64_e32 v[1:2], v[6:7], v[1:2]
	v_add_f64_e32 v[3:4], v[8:9], v[4:5]
	s_delay_alu instid0(VALU_DEP_2) | instskip(NEXT) | instid1(VALU_DEP_2)
	v_add_f64_e32 v[1:2], v[1:2], v[10:11]
	v_add_f64_e32 v[3:4], v[3:4], v[12:13]
	s_wait_loadcnt 0x0
	s_delay_alu instid0(VALU_DEP_2) | instskip(NEXT) | instid1(VALU_DEP_2)
	v_add_f64_e64 v[1:2], v[167:168], -v[1:2]
	v_add_f64_e64 v[3:4], v[169:170], -v[3:4]
	scratch_store_b128 off, v[1:4], off offset:864
	v_cmpx_lt_u32_e32 52, v0
	s_cbranch_execz .LBB61_293
; %bb.292:
	scratch_load_b128 v[1:4], off, s33
	v_mov_b32_e32 v5, 0
	s_delay_alu instid0(VALU_DEP_1)
	v_dual_mov_b32 v6, v5 :: v_dual_mov_b32 v7, v5
	v_mov_b32_e32 v8, v5
	scratch_store_b128 off, v[5:8], off offset:848
	s_wait_loadcnt 0x0
	ds_store_b128 v166, v[1:4]
.LBB61_293:
	s_wait_alu 0xfffe
	s_or_b32 exec_lo, exec_lo, s0
	s_wait_storecnt_dscnt 0x0
	s_barrier_signal -1
	s_barrier_wait -1
	global_inv scope:SCOPE_SE
	s_clause 0x7
	scratch_load_b128 v[2:5], off, off offset:864
	scratch_load_b128 v[6:9], off, off offset:880
	;; [unrolled: 1-line block ×8, first 2 shown]
	v_mov_b32_e32 v1, 0
	s_mov_b32 s0, exec_lo
	ds_load_b128 v[34:37], v1 offset:1840
	s_clause 0x1
	scratch_load_b128 v[38:41], off, off offset:992
	scratch_load_b128 v[167:170], off, off offset:848
	ds_load_b128 v[171:174], v1 offset:1856
	s_wait_loadcnt_dscnt 0x901
	v_mul_f64_e32 v[175:176], v[36:37], v[4:5]
	v_mul_f64_e32 v[4:5], v[34:35], v[4:5]
	s_wait_loadcnt_dscnt 0x800
	v_mul_f64_e32 v[177:178], v[171:172], v[8:9]
	v_mul_f64_e32 v[8:9], v[173:174], v[8:9]
	s_delay_alu instid0(VALU_DEP_4) | instskip(NEXT) | instid1(VALU_DEP_4)
	v_fma_f64 v[175:176], v[34:35], v[2:3], -v[175:176]
	v_fma_f64 v[179:180], v[36:37], v[2:3], v[4:5]
	ds_load_b128 v[2:5], v1 offset:1872
	ds_load_b128 v[34:37], v1 offset:1888
	v_fma_f64 v[173:174], v[173:174], v[6:7], v[177:178]
	v_fma_f64 v[6:7], v[171:172], v[6:7], -v[8:9]
	s_wait_loadcnt_dscnt 0x701
	v_mul_f64_e32 v[181:182], v[2:3], v[12:13]
	v_mul_f64_e32 v[12:13], v[4:5], v[12:13]
	v_add_f64_e32 v[8:9], 0, v[175:176]
	v_add_f64_e32 v[171:172], 0, v[179:180]
	s_wait_loadcnt_dscnt 0x600
	v_mul_f64_e32 v[175:176], v[34:35], v[16:17]
	v_mul_f64_e32 v[16:17], v[36:37], v[16:17]
	v_fma_f64 v[177:178], v[4:5], v[10:11], v[181:182]
	v_fma_f64 v[10:11], v[2:3], v[10:11], -v[12:13]
	v_add_f64_e32 v[12:13], v[8:9], v[6:7]
	v_add_f64_e32 v[171:172], v[171:172], v[173:174]
	ds_load_b128 v[2:5], v1 offset:1904
	ds_load_b128 v[6:9], v1 offset:1920
	v_fma_f64 v[36:37], v[36:37], v[14:15], v[175:176]
	v_fma_f64 v[14:15], v[34:35], v[14:15], -v[16:17]
	s_wait_loadcnt_dscnt 0x501
	v_mul_f64_e32 v[173:174], v[2:3], v[20:21]
	v_mul_f64_e32 v[20:21], v[4:5], v[20:21]
	s_wait_loadcnt_dscnt 0x400
	v_mul_f64_e32 v[16:17], v[6:7], v[24:25]
	v_mul_f64_e32 v[24:25], v[8:9], v[24:25]
	v_add_f64_e32 v[10:11], v[12:13], v[10:11]
	v_add_f64_e32 v[12:13], v[171:172], v[177:178]
	v_fma_f64 v[34:35], v[4:5], v[18:19], v[173:174]
	v_fma_f64 v[18:19], v[2:3], v[18:19], -v[20:21]
	v_fma_f64 v[8:9], v[8:9], v[22:23], v[16:17]
	v_fma_f64 v[6:7], v[6:7], v[22:23], -v[24:25]
	v_add_f64_e32 v[14:15], v[10:11], v[14:15]
	v_add_f64_e32 v[20:21], v[12:13], v[36:37]
	ds_load_b128 v[2:5], v1 offset:1936
	ds_load_b128 v[10:13], v1 offset:1952
	s_wait_loadcnt_dscnt 0x301
	v_mul_f64_e32 v[36:37], v[2:3], v[28:29]
	v_mul_f64_e32 v[28:29], v[4:5], v[28:29]
	v_add_f64_e32 v[14:15], v[14:15], v[18:19]
	v_add_f64_e32 v[16:17], v[20:21], v[34:35]
	s_wait_loadcnt_dscnt 0x200
	v_mul_f64_e32 v[18:19], v[10:11], v[32:33]
	v_mul_f64_e32 v[20:21], v[12:13], v[32:33]
	v_fma_f64 v[22:23], v[4:5], v[26:27], v[36:37]
	v_fma_f64 v[24:25], v[2:3], v[26:27], -v[28:29]
	ds_load_b128 v[2:5], v1 offset:1968
	v_add_f64_e32 v[6:7], v[14:15], v[6:7]
	v_add_f64_e32 v[8:9], v[16:17], v[8:9]
	v_fma_f64 v[12:13], v[12:13], v[30:31], v[18:19]
	v_fma_f64 v[10:11], v[10:11], v[30:31], -v[20:21]
	s_wait_loadcnt_dscnt 0x100
	v_mul_f64_e32 v[14:15], v[2:3], v[40:41]
	v_mul_f64_e32 v[16:17], v[4:5], v[40:41]
	v_add_f64_e32 v[6:7], v[6:7], v[24:25]
	v_add_f64_e32 v[8:9], v[8:9], v[22:23]
	s_delay_alu instid0(VALU_DEP_4) | instskip(NEXT) | instid1(VALU_DEP_4)
	v_fma_f64 v[4:5], v[4:5], v[38:39], v[14:15]
	v_fma_f64 v[2:3], v[2:3], v[38:39], -v[16:17]
	s_delay_alu instid0(VALU_DEP_4) | instskip(NEXT) | instid1(VALU_DEP_4)
	v_add_f64_e32 v[6:7], v[6:7], v[10:11]
	v_add_f64_e32 v[8:9], v[8:9], v[12:13]
	s_delay_alu instid0(VALU_DEP_2) | instskip(NEXT) | instid1(VALU_DEP_2)
	v_add_f64_e32 v[2:3], v[6:7], v[2:3]
	v_add_f64_e32 v[4:5], v[8:9], v[4:5]
	s_wait_loadcnt 0x0
	s_delay_alu instid0(VALU_DEP_2) | instskip(NEXT) | instid1(VALU_DEP_2)
	v_add_f64_e64 v[2:3], v[167:168], -v[2:3]
	v_add_f64_e64 v[4:5], v[169:170], -v[4:5]
	scratch_store_b128 off, v[2:5], off offset:848
	v_cmpx_lt_u32_e32 51, v0
	s_cbranch_execz .LBB61_295
; %bb.294:
	scratch_load_b128 v[5:8], off, s22
	v_dual_mov_b32 v2, v1 :: v_dual_mov_b32 v3, v1
	v_mov_b32_e32 v4, v1
	scratch_store_b128 off, v[1:4], off offset:832
	s_wait_loadcnt 0x0
	ds_store_b128 v166, v[5:8]
.LBB61_295:
	s_wait_alu 0xfffe
	s_or_b32 exec_lo, exec_lo, s0
	s_wait_storecnt_dscnt 0x0
	s_barrier_signal -1
	s_barrier_wait -1
	global_inv scope:SCOPE_SE
	s_clause 0x8
	scratch_load_b128 v[2:5], off, off offset:848
	scratch_load_b128 v[6:9], off, off offset:864
	;; [unrolled: 1-line block ×9, first 2 shown]
	ds_load_b128 v[38:41], v1 offset:1824
	ds_load_b128 v[167:170], v1 offset:1840
	s_clause 0x1
	scratch_load_b128 v[171:174], off, off offset:832
	scratch_load_b128 v[175:178], off, off offset:992
	s_mov_b32 s0, exec_lo
	s_wait_loadcnt_dscnt 0xa01
	v_mul_f64_e32 v[179:180], v[40:41], v[4:5]
	v_mul_f64_e32 v[4:5], v[38:39], v[4:5]
	s_wait_loadcnt_dscnt 0x900
	v_mul_f64_e32 v[181:182], v[167:168], v[8:9]
	v_mul_f64_e32 v[8:9], v[169:170], v[8:9]
	s_delay_alu instid0(VALU_DEP_4) | instskip(NEXT) | instid1(VALU_DEP_4)
	v_fma_f64 v[179:180], v[38:39], v[2:3], -v[179:180]
	v_fma_f64 v[183:184], v[40:41], v[2:3], v[4:5]
	ds_load_b128 v[2:5], v1 offset:1856
	ds_load_b128 v[38:41], v1 offset:1872
	v_fma_f64 v[169:170], v[169:170], v[6:7], v[181:182]
	v_fma_f64 v[6:7], v[167:168], v[6:7], -v[8:9]
	s_wait_loadcnt_dscnt 0x801
	v_mul_f64_e32 v[185:186], v[2:3], v[12:13]
	v_mul_f64_e32 v[12:13], v[4:5], v[12:13]
	v_add_f64_e32 v[8:9], 0, v[179:180]
	v_add_f64_e32 v[167:168], 0, v[183:184]
	s_wait_loadcnt_dscnt 0x700
	v_mul_f64_e32 v[179:180], v[38:39], v[16:17]
	v_mul_f64_e32 v[16:17], v[40:41], v[16:17]
	v_fma_f64 v[181:182], v[4:5], v[10:11], v[185:186]
	v_fma_f64 v[10:11], v[2:3], v[10:11], -v[12:13]
	v_add_f64_e32 v[12:13], v[8:9], v[6:7]
	v_add_f64_e32 v[167:168], v[167:168], v[169:170]
	ds_load_b128 v[2:5], v1 offset:1888
	ds_load_b128 v[6:9], v1 offset:1904
	v_fma_f64 v[40:41], v[40:41], v[14:15], v[179:180]
	v_fma_f64 v[14:15], v[38:39], v[14:15], -v[16:17]
	s_wait_loadcnt_dscnt 0x601
	v_mul_f64_e32 v[169:170], v[2:3], v[20:21]
	v_mul_f64_e32 v[20:21], v[4:5], v[20:21]
	s_wait_loadcnt_dscnt 0x500
	v_mul_f64_e32 v[16:17], v[6:7], v[24:25]
	v_mul_f64_e32 v[24:25], v[8:9], v[24:25]
	v_add_f64_e32 v[10:11], v[12:13], v[10:11]
	v_add_f64_e32 v[12:13], v[167:168], v[181:182]
	v_fma_f64 v[38:39], v[4:5], v[18:19], v[169:170]
	v_fma_f64 v[18:19], v[2:3], v[18:19], -v[20:21]
	v_fma_f64 v[8:9], v[8:9], v[22:23], v[16:17]
	v_fma_f64 v[6:7], v[6:7], v[22:23], -v[24:25]
	v_add_f64_e32 v[14:15], v[10:11], v[14:15]
	v_add_f64_e32 v[20:21], v[12:13], v[40:41]
	ds_load_b128 v[2:5], v1 offset:1920
	ds_load_b128 v[10:13], v1 offset:1936
	s_wait_loadcnt_dscnt 0x401
	v_mul_f64_e32 v[40:41], v[2:3], v[28:29]
	v_mul_f64_e32 v[28:29], v[4:5], v[28:29]
	v_add_f64_e32 v[14:15], v[14:15], v[18:19]
	v_add_f64_e32 v[16:17], v[20:21], v[38:39]
	s_wait_loadcnt_dscnt 0x300
	v_mul_f64_e32 v[18:19], v[10:11], v[32:33]
	v_mul_f64_e32 v[20:21], v[12:13], v[32:33]
	v_fma_f64 v[22:23], v[4:5], v[26:27], v[40:41]
	v_fma_f64 v[24:25], v[2:3], v[26:27], -v[28:29]
	v_add_f64_e32 v[14:15], v[14:15], v[6:7]
	v_add_f64_e32 v[16:17], v[16:17], v[8:9]
	ds_load_b128 v[2:5], v1 offset:1952
	ds_load_b128 v[6:9], v1 offset:1968
	v_fma_f64 v[12:13], v[12:13], v[30:31], v[18:19]
	v_fma_f64 v[10:11], v[10:11], v[30:31], -v[20:21]
	s_wait_loadcnt_dscnt 0x201
	v_mul_f64_e32 v[26:27], v[2:3], v[36:37]
	v_mul_f64_e32 v[28:29], v[4:5], v[36:37]
	s_wait_loadcnt_dscnt 0x0
	v_mul_f64_e32 v[18:19], v[6:7], v[177:178]
	v_mul_f64_e32 v[20:21], v[8:9], v[177:178]
	v_add_f64_e32 v[14:15], v[14:15], v[24:25]
	v_add_f64_e32 v[16:17], v[16:17], v[22:23]
	v_fma_f64 v[4:5], v[4:5], v[34:35], v[26:27]
	v_fma_f64 v[1:2], v[2:3], v[34:35], -v[28:29]
	v_fma_f64 v[8:9], v[8:9], v[175:176], v[18:19]
	v_fma_f64 v[6:7], v[6:7], v[175:176], -v[20:21]
	v_add_f64_e32 v[10:11], v[14:15], v[10:11]
	v_add_f64_e32 v[12:13], v[16:17], v[12:13]
	s_delay_alu instid0(VALU_DEP_2) | instskip(NEXT) | instid1(VALU_DEP_2)
	v_add_f64_e32 v[1:2], v[10:11], v[1:2]
	v_add_f64_e32 v[3:4], v[12:13], v[4:5]
	s_delay_alu instid0(VALU_DEP_2) | instskip(NEXT) | instid1(VALU_DEP_2)
	;; [unrolled: 3-line block ×3, first 2 shown]
	v_add_f64_e64 v[1:2], v[171:172], -v[1:2]
	v_add_f64_e64 v[3:4], v[173:174], -v[3:4]
	scratch_store_b128 off, v[1:4], off offset:832
	v_cmpx_lt_u32_e32 50, v0
	s_cbranch_execz .LBB61_297
; %bb.296:
	scratch_load_b128 v[1:4], off, s31
	v_mov_b32_e32 v5, 0
	s_delay_alu instid0(VALU_DEP_1)
	v_dual_mov_b32 v6, v5 :: v_dual_mov_b32 v7, v5
	v_mov_b32_e32 v8, v5
	scratch_store_b128 off, v[5:8], off offset:816
	s_wait_loadcnt 0x0
	ds_store_b128 v166, v[1:4]
.LBB61_297:
	s_wait_alu 0xfffe
	s_or_b32 exec_lo, exec_lo, s0
	s_wait_storecnt_dscnt 0x0
	s_barrier_signal -1
	s_barrier_wait -1
	global_inv scope:SCOPE_SE
	s_clause 0x7
	scratch_load_b128 v[2:5], off, off offset:832
	scratch_load_b128 v[6:9], off, off offset:848
	;; [unrolled: 1-line block ×8, first 2 shown]
	v_mov_b32_e32 v1, 0
	s_clause 0x1
	scratch_load_b128 v[38:41], off, off offset:960
	scratch_load_b128 v[171:174], off, off offset:976
	s_mov_b32 s0, exec_lo
	ds_load_b128 v[34:37], v1 offset:1808
	ds_load_b128 v[167:170], v1 offset:1824
	s_wait_loadcnt_dscnt 0x901
	v_mul_f64_e32 v[175:176], v[36:37], v[4:5]
	v_mul_f64_e32 v[4:5], v[34:35], v[4:5]
	s_wait_loadcnt_dscnt 0x800
	v_mul_f64_e32 v[177:178], v[167:168], v[8:9]
	v_mul_f64_e32 v[8:9], v[169:170], v[8:9]
	s_delay_alu instid0(VALU_DEP_4) | instskip(NEXT) | instid1(VALU_DEP_4)
	v_fma_f64 v[175:176], v[34:35], v[2:3], -v[175:176]
	v_fma_f64 v[179:180], v[36:37], v[2:3], v[4:5]
	ds_load_b128 v[2:5], v1 offset:1840
	scratch_load_b128 v[34:37], off, off offset:992
	v_fma_f64 v[169:170], v[169:170], v[6:7], v[177:178]
	v_fma_f64 v[167:168], v[167:168], v[6:7], -v[8:9]
	ds_load_b128 v[6:9], v1 offset:1856
	s_wait_loadcnt_dscnt 0x801
	v_mul_f64_e32 v[181:182], v[2:3], v[12:13]
	v_mul_f64_e32 v[12:13], v[4:5], v[12:13]
	v_add_f64_e32 v[175:176], 0, v[175:176]
	v_add_f64_e32 v[177:178], 0, v[179:180]
	s_wait_loadcnt_dscnt 0x700
	v_mul_f64_e32 v[179:180], v[6:7], v[16:17]
	v_mul_f64_e32 v[16:17], v[8:9], v[16:17]
	v_fma_f64 v[181:182], v[4:5], v[10:11], v[181:182]
	v_fma_f64 v[10:11], v[2:3], v[10:11], -v[12:13]
	ds_load_b128 v[2:5], v1 offset:1872
	v_add_f64_e32 v[12:13], v[175:176], v[167:168]
	v_add_f64_e32 v[167:168], v[177:178], v[169:170]
	v_fma_f64 v[175:176], v[8:9], v[14:15], v[179:180]
	v_fma_f64 v[14:15], v[6:7], v[14:15], -v[16:17]
	ds_load_b128 v[6:9], v1 offset:1888
	s_wait_loadcnt_dscnt 0x601
	v_mul_f64_e32 v[169:170], v[2:3], v[20:21]
	v_mul_f64_e32 v[20:21], v[4:5], v[20:21]
	s_wait_loadcnt_dscnt 0x500
	v_mul_f64_e32 v[177:178], v[6:7], v[24:25]
	v_mul_f64_e32 v[24:25], v[8:9], v[24:25]
	v_add_f64_e32 v[16:17], v[12:13], v[10:11]
	v_add_f64_e32 v[167:168], v[167:168], v[181:182]
	scratch_load_b128 v[10:13], off, off offset:816
	v_fma_f64 v[169:170], v[4:5], v[18:19], v[169:170]
	v_fma_f64 v[18:19], v[2:3], v[18:19], -v[20:21]
	ds_load_b128 v[2:5], v1 offset:1904
	v_add_f64_e32 v[14:15], v[16:17], v[14:15]
	v_add_f64_e32 v[16:17], v[167:168], v[175:176]
	v_fma_f64 v[167:168], v[8:9], v[22:23], v[177:178]
	v_fma_f64 v[22:23], v[6:7], v[22:23], -v[24:25]
	ds_load_b128 v[6:9], v1 offset:1920
	s_wait_loadcnt_dscnt 0x501
	v_mul_f64_e32 v[20:21], v[2:3], v[28:29]
	v_mul_f64_e32 v[28:29], v[4:5], v[28:29]
	s_wait_loadcnt_dscnt 0x400
	v_mul_f64_e32 v[24:25], v[8:9], v[32:33]
	v_add_f64_e32 v[14:15], v[14:15], v[18:19]
	v_add_f64_e32 v[16:17], v[16:17], v[169:170]
	v_mul_f64_e32 v[18:19], v[6:7], v[32:33]
	v_fma_f64 v[20:21], v[4:5], v[26:27], v[20:21]
	v_fma_f64 v[26:27], v[2:3], v[26:27], -v[28:29]
	ds_load_b128 v[2:5], v1 offset:1936
	v_fma_f64 v[24:25], v[6:7], v[30:31], -v[24:25]
	v_add_f64_e32 v[14:15], v[14:15], v[22:23]
	v_add_f64_e32 v[16:17], v[16:17], v[167:168]
	v_fma_f64 v[18:19], v[8:9], v[30:31], v[18:19]
	ds_load_b128 v[6:9], v1 offset:1952
	s_wait_loadcnt_dscnt 0x301
	v_mul_f64_e32 v[22:23], v[2:3], v[40:41]
	v_mul_f64_e32 v[28:29], v[4:5], v[40:41]
	v_add_f64_e32 v[14:15], v[14:15], v[26:27]
	v_add_f64_e32 v[16:17], v[16:17], v[20:21]
	s_wait_loadcnt_dscnt 0x200
	v_mul_f64_e32 v[20:21], v[6:7], v[173:174]
	v_mul_f64_e32 v[26:27], v[8:9], v[173:174]
	v_fma_f64 v[22:23], v[4:5], v[38:39], v[22:23]
	v_fma_f64 v[28:29], v[2:3], v[38:39], -v[28:29]
	ds_load_b128 v[2:5], v1 offset:1968
	v_add_f64_e32 v[14:15], v[14:15], v[24:25]
	v_add_f64_e32 v[16:17], v[16:17], v[18:19]
	v_fma_f64 v[8:9], v[8:9], v[171:172], v[20:21]
	v_fma_f64 v[6:7], v[6:7], v[171:172], -v[26:27]
	s_wait_loadcnt_dscnt 0x100
	v_mul_f64_e32 v[18:19], v[2:3], v[36:37]
	v_mul_f64_e32 v[24:25], v[4:5], v[36:37]
	v_add_f64_e32 v[14:15], v[14:15], v[28:29]
	v_add_f64_e32 v[16:17], v[16:17], v[22:23]
	s_delay_alu instid0(VALU_DEP_4) | instskip(NEXT) | instid1(VALU_DEP_4)
	v_fma_f64 v[4:5], v[4:5], v[34:35], v[18:19]
	v_fma_f64 v[2:3], v[2:3], v[34:35], -v[24:25]
	s_delay_alu instid0(VALU_DEP_4) | instskip(NEXT) | instid1(VALU_DEP_4)
	v_add_f64_e32 v[6:7], v[14:15], v[6:7]
	v_add_f64_e32 v[8:9], v[16:17], v[8:9]
	s_delay_alu instid0(VALU_DEP_2) | instskip(NEXT) | instid1(VALU_DEP_2)
	v_add_f64_e32 v[2:3], v[6:7], v[2:3]
	v_add_f64_e32 v[4:5], v[8:9], v[4:5]
	s_wait_loadcnt 0x0
	s_delay_alu instid0(VALU_DEP_2) | instskip(NEXT) | instid1(VALU_DEP_2)
	v_add_f64_e64 v[2:3], v[10:11], -v[2:3]
	v_add_f64_e64 v[4:5], v[12:13], -v[4:5]
	scratch_store_b128 off, v[2:5], off offset:816
	v_cmpx_lt_u32_e32 49, v0
	s_cbranch_execz .LBB61_299
; %bb.298:
	scratch_load_b128 v[5:8], off, s21
	v_dual_mov_b32 v2, v1 :: v_dual_mov_b32 v3, v1
	v_mov_b32_e32 v4, v1
	scratch_store_b128 off, v[1:4], off offset:800
	s_wait_loadcnt 0x0
	ds_store_b128 v166, v[5:8]
.LBB61_299:
	s_wait_alu 0xfffe
	s_or_b32 exec_lo, exec_lo, s0
	s_wait_storecnt_dscnt 0x0
	s_barrier_signal -1
	s_barrier_wait -1
	global_inv scope:SCOPE_SE
	s_clause 0x7
	scratch_load_b128 v[2:5], off, off offset:816
	scratch_load_b128 v[6:9], off, off offset:832
	;; [unrolled: 1-line block ×8, first 2 shown]
	ds_load_b128 v[34:37], v1 offset:1792
	ds_load_b128 v[167:170], v1 offset:1808
	s_clause 0x1
	scratch_load_b128 v[38:41], off, off offset:944
	scratch_load_b128 v[171:174], off, off offset:960
	s_mov_b32 s0, exec_lo
	s_wait_loadcnt_dscnt 0x901
	v_mul_f64_e32 v[175:176], v[36:37], v[4:5]
	v_mul_f64_e32 v[4:5], v[34:35], v[4:5]
	s_wait_loadcnt_dscnt 0x800
	v_mul_f64_e32 v[177:178], v[167:168], v[8:9]
	v_mul_f64_e32 v[8:9], v[169:170], v[8:9]
	s_delay_alu instid0(VALU_DEP_4) | instskip(NEXT) | instid1(VALU_DEP_4)
	v_fma_f64 v[175:176], v[34:35], v[2:3], -v[175:176]
	v_fma_f64 v[179:180], v[36:37], v[2:3], v[4:5]
	ds_load_b128 v[2:5], v1 offset:1824
	scratch_load_b128 v[34:37], off, off offset:976
	v_fma_f64 v[177:178], v[169:170], v[6:7], v[177:178]
	v_fma_f64 v[183:184], v[167:168], v[6:7], -v[8:9]
	ds_load_b128 v[6:9], v1 offset:1840
	scratch_load_b128 v[167:170], off, off offset:992
	s_wait_loadcnt_dscnt 0x901
	v_mul_f64_e32 v[181:182], v[2:3], v[12:13]
	v_mul_f64_e32 v[12:13], v[4:5], v[12:13]
	s_wait_loadcnt_dscnt 0x800
	v_mul_f64_e32 v[185:186], v[6:7], v[16:17]
	v_mul_f64_e32 v[16:17], v[8:9], v[16:17]
	v_add_f64_e32 v[175:176], 0, v[175:176]
	v_add_f64_e32 v[179:180], 0, v[179:180]
	v_fma_f64 v[181:182], v[4:5], v[10:11], v[181:182]
	v_fma_f64 v[10:11], v[2:3], v[10:11], -v[12:13]
	ds_load_b128 v[2:5], v1 offset:1856
	v_add_f64_e32 v[12:13], v[175:176], v[183:184]
	v_add_f64_e32 v[175:176], v[179:180], v[177:178]
	v_fma_f64 v[179:180], v[8:9], v[14:15], v[185:186]
	v_fma_f64 v[14:15], v[6:7], v[14:15], -v[16:17]
	ds_load_b128 v[6:9], v1 offset:1872
	s_wait_loadcnt_dscnt 0x701
	v_mul_f64_e32 v[177:178], v[2:3], v[20:21]
	v_mul_f64_e32 v[20:21], v[4:5], v[20:21]
	s_wait_loadcnt_dscnt 0x600
	v_mul_f64_e32 v[16:17], v[6:7], v[24:25]
	v_mul_f64_e32 v[24:25], v[8:9], v[24:25]
	v_add_f64_e32 v[10:11], v[12:13], v[10:11]
	v_add_f64_e32 v[12:13], v[175:176], v[181:182]
	v_fma_f64 v[175:176], v[4:5], v[18:19], v[177:178]
	v_fma_f64 v[18:19], v[2:3], v[18:19], -v[20:21]
	ds_load_b128 v[2:5], v1 offset:1888
	v_fma_f64 v[16:17], v[8:9], v[22:23], v[16:17]
	v_fma_f64 v[22:23], v[6:7], v[22:23], -v[24:25]
	ds_load_b128 v[6:9], v1 offset:1904
	s_wait_loadcnt_dscnt 0x501
	v_mul_f64_e32 v[177:178], v[2:3], v[28:29]
	v_mul_f64_e32 v[28:29], v[4:5], v[28:29]
	v_add_f64_e32 v[14:15], v[10:11], v[14:15]
	v_add_f64_e32 v[20:21], v[12:13], v[179:180]
	scratch_load_b128 v[10:13], off, off offset:800
	s_wait_loadcnt_dscnt 0x500
	v_mul_f64_e32 v[24:25], v[8:9], v[32:33]
	v_add_f64_e32 v[14:15], v[14:15], v[18:19]
	v_add_f64_e32 v[18:19], v[20:21], v[175:176]
	v_mul_f64_e32 v[20:21], v[6:7], v[32:33]
	v_fma_f64 v[32:33], v[4:5], v[26:27], v[177:178]
	v_fma_f64 v[26:27], v[2:3], v[26:27], -v[28:29]
	ds_load_b128 v[2:5], v1 offset:1920
	v_fma_f64 v[24:25], v[6:7], v[30:31], -v[24:25]
	v_add_f64_e32 v[14:15], v[14:15], v[22:23]
	v_add_f64_e32 v[16:17], v[18:19], v[16:17]
	v_fma_f64 v[20:21], v[8:9], v[30:31], v[20:21]
	ds_load_b128 v[6:9], v1 offset:1936
	s_wait_loadcnt_dscnt 0x401
	v_mul_f64_e32 v[18:19], v[2:3], v[40:41]
	v_mul_f64_e32 v[22:23], v[4:5], v[40:41]
	s_wait_loadcnt_dscnt 0x300
	v_mul_f64_e32 v[28:29], v[8:9], v[173:174]
	v_add_f64_e32 v[14:15], v[14:15], v[26:27]
	v_add_f64_e32 v[16:17], v[16:17], v[32:33]
	v_mul_f64_e32 v[26:27], v[6:7], v[173:174]
	v_fma_f64 v[18:19], v[4:5], v[38:39], v[18:19]
	v_fma_f64 v[22:23], v[2:3], v[38:39], -v[22:23]
	ds_load_b128 v[2:5], v1 offset:1952
	v_fma_f64 v[28:29], v[6:7], v[171:172], -v[28:29]
	v_add_f64_e32 v[14:15], v[14:15], v[24:25]
	v_add_f64_e32 v[16:17], v[16:17], v[20:21]
	v_fma_f64 v[26:27], v[8:9], v[171:172], v[26:27]
	ds_load_b128 v[6:9], v1 offset:1968
	s_wait_loadcnt_dscnt 0x201
	v_mul_f64_e32 v[20:21], v[2:3], v[36:37]
	v_mul_f64_e32 v[24:25], v[4:5], v[36:37]
	v_add_f64_e32 v[14:15], v[14:15], v[22:23]
	v_add_f64_e32 v[16:17], v[16:17], v[18:19]
	s_wait_loadcnt_dscnt 0x100
	v_mul_f64_e32 v[18:19], v[6:7], v[169:170]
	v_mul_f64_e32 v[22:23], v[8:9], v[169:170]
	v_fma_f64 v[4:5], v[4:5], v[34:35], v[20:21]
	v_fma_f64 v[1:2], v[2:3], v[34:35], -v[24:25]
	v_add_f64_e32 v[14:15], v[14:15], v[28:29]
	v_add_f64_e32 v[16:17], v[16:17], v[26:27]
	v_fma_f64 v[8:9], v[8:9], v[167:168], v[18:19]
	v_fma_f64 v[6:7], v[6:7], v[167:168], -v[22:23]
	s_delay_alu instid0(VALU_DEP_4) | instskip(NEXT) | instid1(VALU_DEP_4)
	v_add_f64_e32 v[1:2], v[14:15], v[1:2]
	v_add_f64_e32 v[3:4], v[16:17], v[4:5]
	s_delay_alu instid0(VALU_DEP_2) | instskip(NEXT) | instid1(VALU_DEP_2)
	v_add_f64_e32 v[1:2], v[1:2], v[6:7]
	v_add_f64_e32 v[3:4], v[3:4], v[8:9]
	s_wait_loadcnt 0x0
	s_delay_alu instid0(VALU_DEP_2) | instskip(NEXT) | instid1(VALU_DEP_2)
	v_add_f64_e64 v[1:2], v[10:11], -v[1:2]
	v_add_f64_e64 v[3:4], v[12:13], -v[3:4]
	scratch_store_b128 off, v[1:4], off offset:800
	v_cmpx_lt_u32_e32 48, v0
	s_cbranch_execz .LBB61_301
; %bb.300:
	scratch_load_b128 v[1:4], off, s26
	v_mov_b32_e32 v5, 0
	s_delay_alu instid0(VALU_DEP_1)
	v_dual_mov_b32 v6, v5 :: v_dual_mov_b32 v7, v5
	v_mov_b32_e32 v8, v5
	scratch_store_b128 off, v[5:8], off offset:784
	s_wait_loadcnt 0x0
	ds_store_b128 v166, v[1:4]
.LBB61_301:
	s_wait_alu 0xfffe
	s_or_b32 exec_lo, exec_lo, s0
	s_wait_storecnt_dscnt 0x0
	s_barrier_signal -1
	s_barrier_wait -1
	global_inv scope:SCOPE_SE
	s_clause 0x7
	scratch_load_b128 v[2:5], off, off offset:800
	scratch_load_b128 v[6:9], off, off offset:816
	;; [unrolled: 1-line block ×8, first 2 shown]
	v_mov_b32_e32 v1, 0
	s_clause 0x1
	scratch_load_b128 v[38:41], off, off offset:928
	scratch_load_b128 v[171:174], off, off offset:944
	s_mov_b32 s0, exec_lo
	ds_load_b128 v[34:37], v1 offset:1776
	ds_load_b128 v[167:170], v1 offset:1792
	s_wait_loadcnt_dscnt 0x901
	v_mul_f64_e32 v[175:176], v[36:37], v[4:5]
	v_mul_f64_e32 v[4:5], v[34:35], v[4:5]
	s_wait_loadcnt_dscnt 0x800
	v_mul_f64_e32 v[177:178], v[167:168], v[8:9]
	v_mul_f64_e32 v[8:9], v[169:170], v[8:9]
	s_delay_alu instid0(VALU_DEP_4) | instskip(NEXT) | instid1(VALU_DEP_4)
	v_fma_f64 v[175:176], v[34:35], v[2:3], -v[175:176]
	v_fma_f64 v[179:180], v[36:37], v[2:3], v[4:5]
	ds_load_b128 v[2:5], v1 offset:1808
	scratch_load_b128 v[34:37], off, off offset:960
	v_fma_f64 v[177:178], v[169:170], v[6:7], v[177:178]
	v_fma_f64 v[183:184], v[167:168], v[6:7], -v[8:9]
	ds_load_b128 v[6:9], v1 offset:1824
	scratch_load_b128 v[167:170], off, off offset:976
	s_wait_loadcnt_dscnt 0x901
	v_mul_f64_e32 v[181:182], v[2:3], v[12:13]
	v_mul_f64_e32 v[12:13], v[4:5], v[12:13]
	s_wait_loadcnt_dscnt 0x800
	v_mul_f64_e32 v[185:186], v[6:7], v[16:17]
	v_mul_f64_e32 v[16:17], v[8:9], v[16:17]
	v_add_f64_e32 v[175:176], 0, v[175:176]
	v_add_f64_e32 v[179:180], 0, v[179:180]
	v_fma_f64 v[181:182], v[4:5], v[10:11], v[181:182]
	v_fma_f64 v[187:188], v[2:3], v[10:11], -v[12:13]
	ds_load_b128 v[2:5], v1 offset:1840
	scratch_load_b128 v[10:13], off, off offset:992
	v_add_f64_e32 v[175:176], v[175:176], v[183:184]
	v_add_f64_e32 v[177:178], v[179:180], v[177:178]
	v_fma_f64 v[183:184], v[8:9], v[14:15], v[185:186]
	v_fma_f64 v[14:15], v[6:7], v[14:15], -v[16:17]
	ds_load_b128 v[6:9], v1 offset:1856
	s_wait_loadcnt_dscnt 0x801
	v_mul_f64_e32 v[179:180], v[2:3], v[20:21]
	v_mul_f64_e32 v[20:21], v[4:5], v[20:21]
	v_add_f64_e32 v[16:17], v[175:176], v[187:188]
	v_add_f64_e32 v[175:176], v[177:178], v[181:182]
	s_wait_loadcnt_dscnt 0x700
	v_mul_f64_e32 v[177:178], v[6:7], v[24:25]
	v_mul_f64_e32 v[24:25], v[8:9], v[24:25]
	v_fma_f64 v[179:180], v[4:5], v[18:19], v[179:180]
	v_fma_f64 v[18:19], v[2:3], v[18:19], -v[20:21]
	ds_load_b128 v[2:5], v1 offset:1872
	v_add_f64_e32 v[14:15], v[16:17], v[14:15]
	v_add_f64_e32 v[16:17], v[175:176], v[183:184]
	v_fma_f64 v[175:176], v[8:9], v[22:23], v[177:178]
	v_fma_f64 v[22:23], v[6:7], v[22:23], -v[24:25]
	ds_load_b128 v[6:9], v1 offset:1888
	s_wait_loadcnt_dscnt 0x601
	v_mul_f64_e32 v[20:21], v[2:3], v[28:29]
	v_mul_f64_e32 v[28:29], v[4:5], v[28:29]
	s_wait_loadcnt_dscnt 0x500
	v_mul_f64_e32 v[177:178], v[6:7], v[32:33]
	v_mul_f64_e32 v[32:33], v[8:9], v[32:33]
	v_add_f64_e32 v[18:19], v[14:15], v[18:19]
	v_add_f64_e32 v[24:25], v[16:17], v[179:180]
	scratch_load_b128 v[14:17], off, off offset:784
	v_fma_f64 v[20:21], v[4:5], v[26:27], v[20:21]
	v_fma_f64 v[26:27], v[2:3], v[26:27], -v[28:29]
	ds_load_b128 v[2:5], v1 offset:1904
	s_wait_loadcnt_dscnt 0x500
	v_mul_f64_e32 v[28:29], v[4:5], v[40:41]
	v_add_f64_e32 v[18:19], v[18:19], v[22:23]
	v_add_f64_e32 v[22:23], v[24:25], v[175:176]
	v_mul_f64_e32 v[24:25], v[2:3], v[40:41]
	v_fma_f64 v[40:41], v[8:9], v[30:31], v[177:178]
	v_fma_f64 v[30:31], v[6:7], v[30:31], -v[32:33]
	ds_load_b128 v[6:9], v1 offset:1920
	v_fma_f64 v[28:29], v[2:3], v[38:39], -v[28:29]
	v_add_f64_e32 v[18:19], v[18:19], v[26:27]
	v_add_f64_e32 v[20:21], v[22:23], v[20:21]
	v_fma_f64 v[24:25], v[4:5], v[38:39], v[24:25]
	ds_load_b128 v[2:5], v1 offset:1936
	s_wait_loadcnt_dscnt 0x401
	v_mul_f64_e32 v[22:23], v[6:7], v[173:174]
	v_mul_f64_e32 v[26:27], v[8:9], v[173:174]
	v_add_f64_e32 v[18:19], v[18:19], v[30:31]
	v_add_f64_e32 v[20:21], v[20:21], v[40:41]
	s_delay_alu instid0(VALU_DEP_4) | instskip(NEXT) | instid1(VALU_DEP_4)
	v_fma_f64 v[22:23], v[8:9], v[171:172], v[22:23]
	v_fma_f64 v[26:27], v[6:7], v[171:172], -v[26:27]
	ds_load_b128 v[6:9], v1 offset:1952
	s_wait_loadcnt_dscnt 0x301
	v_mul_f64_e32 v[30:31], v[2:3], v[36:37]
	v_mul_f64_e32 v[32:33], v[4:5], v[36:37]
	v_add_f64_e32 v[18:19], v[18:19], v[28:29]
	v_add_f64_e32 v[20:21], v[20:21], v[24:25]
	s_delay_alu instid0(VALU_DEP_4) | instskip(NEXT) | instid1(VALU_DEP_4)
	v_fma_f64 v[30:31], v[4:5], v[34:35], v[30:31]
	v_fma_f64 v[32:33], v[2:3], v[34:35], -v[32:33]
	ds_load_b128 v[2:5], v1 offset:1968
	s_wait_loadcnt_dscnt 0x201
	v_mul_f64_e32 v[24:25], v[6:7], v[169:170]
	v_mul_f64_e32 v[28:29], v[8:9], v[169:170]
	v_add_f64_e32 v[18:19], v[18:19], v[26:27]
	v_add_f64_e32 v[20:21], v[20:21], v[22:23]
	s_wait_loadcnt_dscnt 0x100
	v_mul_f64_e32 v[22:23], v[2:3], v[12:13]
	v_mul_f64_e32 v[12:13], v[4:5], v[12:13]
	v_fma_f64 v[8:9], v[8:9], v[167:168], v[24:25]
	v_fma_f64 v[6:7], v[6:7], v[167:168], -v[28:29]
	v_add_f64_e32 v[18:19], v[18:19], v[32:33]
	v_add_f64_e32 v[20:21], v[20:21], v[30:31]
	v_fma_f64 v[4:5], v[4:5], v[10:11], v[22:23]
	v_fma_f64 v[2:3], v[2:3], v[10:11], -v[12:13]
	s_delay_alu instid0(VALU_DEP_4) | instskip(NEXT) | instid1(VALU_DEP_4)
	v_add_f64_e32 v[6:7], v[18:19], v[6:7]
	v_add_f64_e32 v[8:9], v[20:21], v[8:9]
	s_delay_alu instid0(VALU_DEP_2) | instskip(NEXT) | instid1(VALU_DEP_2)
	v_add_f64_e32 v[2:3], v[6:7], v[2:3]
	v_add_f64_e32 v[4:5], v[8:9], v[4:5]
	s_wait_loadcnt 0x0
	s_delay_alu instid0(VALU_DEP_2) | instskip(NEXT) | instid1(VALU_DEP_2)
	v_add_f64_e64 v[2:3], v[14:15], -v[2:3]
	v_add_f64_e64 v[4:5], v[16:17], -v[4:5]
	scratch_store_b128 off, v[2:5], off offset:784
	v_cmpx_lt_u32_e32 47, v0
	s_cbranch_execz .LBB61_303
; %bb.302:
	scratch_load_b128 v[5:8], off, s25
	v_dual_mov_b32 v2, v1 :: v_dual_mov_b32 v3, v1
	v_mov_b32_e32 v4, v1
	scratch_store_b128 off, v[1:4], off offset:768
	s_wait_loadcnt 0x0
	ds_store_b128 v166, v[5:8]
.LBB61_303:
	s_wait_alu 0xfffe
	s_or_b32 exec_lo, exec_lo, s0
	s_wait_storecnt_dscnt 0x0
	s_barrier_signal -1
	s_barrier_wait -1
	global_inv scope:SCOPE_SE
	s_clause 0x7
	scratch_load_b128 v[2:5], off, off offset:784
	scratch_load_b128 v[6:9], off, off offset:800
	;; [unrolled: 1-line block ×8, first 2 shown]
	ds_load_b128 v[34:37], v1 offset:1760
	ds_load_b128 v[167:170], v1 offset:1776
	s_clause 0x1
	scratch_load_b128 v[38:41], off, off offset:912
	scratch_load_b128 v[171:174], off, off offset:928
	s_mov_b32 s0, exec_lo
	s_wait_loadcnt_dscnt 0x901
	v_mul_f64_e32 v[175:176], v[36:37], v[4:5]
	v_mul_f64_e32 v[4:5], v[34:35], v[4:5]
	s_wait_loadcnt_dscnt 0x800
	v_mul_f64_e32 v[177:178], v[167:168], v[8:9]
	v_mul_f64_e32 v[8:9], v[169:170], v[8:9]
	s_delay_alu instid0(VALU_DEP_4) | instskip(NEXT) | instid1(VALU_DEP_4)
	v_fma_f64 v[175:176], v[34:35], v[2:3], -v[175:176]
	v_fma_f64 v[179:180], v[36:37], v[2:3], v[4:5]
	ds_load_b128 v[2:5], v1 offset:1792
	scratch_load_b128 v[34:37], off, off offset:944
	v_fma_f64 v[177:178], v[169:170], v[6:7], v[177:178]
	v_fma_f64 v[183:184], v[167:168], v[6:7], -v[8:9]
	ds_load_b128 v[6:9], v1 offset:1808
	scratch_load_b128 v[167:170], off, off offset:960
	s_wait_loadcnt_dscnt 0x901
	v_mul_f64_e32 v[181:182], v[2:3], v[12:13]
	v_mul_f64_e32 v[12:13], v[4:5], v[12:13]
	s_wait_loadcnt_dscnt 0x800
	v_mul_f64_e32 v[185:186], v[6:7], v[16:17]
	v_mul_f64_e32 v[16:17], v[8:9], v[16:17]
	v_add_f64_e32 v[175:176], 0, v[175:176]
	v_add_f64_e32 v[179:180], 0, v[179:180]
	v_fma_f64 v[181:182], v[4:5], v[10:11], v[181:182]
	v_fma_f64 v[187:188], v[2:3], v[10:11], -v[12:13]
	ds_load_b128 v[2:5], v1 offset:1824
	scratch_load_b128 v[10:13], off, off offset:976
	v_add_f64_e32 v[175:176], v[175:176], v[183:184]
	v_add_f64_e32 v[177:178], v[179:180], v[177:178]
	v_fma_f64 v[183:184], v[8:9], v[14:15], v[185:186]
	v_fma_f64 v[185:186], v[6:7], v[14:15], -v[16:17]
	ds_load_b128 v[6:9], v1 offset:1840
	scratch_load_b128 v[14:17], off, off offset:992
	s_wait_loadcnt_dscnt 0x901
	v_mul_f64_e32 v[179:180], v[2:3], v[20:21]
	v_mul_f64_e32 v[20:21], v[4:5], v[20:21]
	v_add_f64_e32 v[175:176], v[175:176], v[187:188]
	v_add_f64_e32 v[177:178], v[177:178], v[181:182]
	s_wait_loadcnt_dscnt 0x800
	v_mul_f64_e32 v[181:182], v[6:7], v[24:25]
	v_mul_f64_e32 v[24:25], v[8:9], v[24:25]
	v_fma_f64 v[179:180], v[4:5], v[18:19], v[179:180]
	v_fma_f64 v[18:19], v[2:3], v[18:19], -v[20:21]
	ds_load_b128 v[2:5], v1 offset:1856
	v_add_f64_e32 v[20:21], v[175:176], v[185:186]
	v_add_f64_e32 v[175:176], v[177:178], v[183:184]
	v_fma_f64 v[181:182], v[8:9], v[22:23], v[181:182]
	v_fma_f64 v[22:23], v[6:7], v[22:23], -v[24:25]
	ds_load_b128 v[6:9], v1 offset:1872
	s_wait_loadcnt_dscnt 0x701
	v_mul_f64_e32 v[177:178], v[2:3], v[28:29]
	v_mul_f64_e32 v[28:29], v[4:5], v[28:29]
	s_wait_loadcnt_dscnt 0x600
	v_mul_f64_e32 v[24:25], v[6:7], v[32:33]
	v_mul_f64_e32 v[32:33], v[8:9], v[32:33]
	v_add_f64_e32 v[18:19], v[20:21], v[18:19]
	v_add_f64_e32 v[20:21], v[175:176], v[179:180]
	v_fma_f64 v[175:176], v[4:5], v[26:27], v[177:178]
	v_fma_f64 v[26:27], v[2:3], v[26:27], -v[28:29]
	ds_load_b128 v[2:5], v1 offset:1888
	v_fma_f64 v[24:25], v[8:9], v[30:31], v[24:25]
	v_fma_f64 v[30:31], v[6:7], v[30:31], -v[32:33]
	ds_load_b128 v[6:9], v1 offset:1904
	v_add_f64_e32 v[22:23], v[18:19], v[22:23]
	v_add_f64_e32 v[28:29], v[20:21], v[181:182]
	scratch_load_b128 v[18:21], off, off offset:768
	s_wait_loadcnt_dscnt 0x601
	v_mul_f64_e32 v[177:178], v[2:3], v[40:41]
	v_mul_f64_e32 v[40:41], v[4:5], v[40:41]
	s_wait_loadcnt_dscnt 0x500
	v_mul_f64_e32 v[32:33], v[8:9], v[173:174]
	v_add_f64_e32 v[22:23], v[22:23], v[26:27]
	v_add_f64_e32 v[26:27], v[28:29], v[175:176]
	v_mul_f64_e32 v[28:29], v[6:7], v[173:174]
	v_fma_f64 v[173:174], v[4:5], v[38:39], v[177:178]
	v_fma_f64 v[38:39], v[2:3], v[38:39], -v[40:41]
	ds_load_b128 v[2:5], v1 offset:1920
	v_fma_f64 v[32:33], v[6:7], v[171:172], -v[32:33]
	v_add_f64_e32 v[22:23], v[22:23], v[30:31]
	v_add_f64_e32 v[24:25], v[26:27], v[24:25]
	v_fma_f64 v[28:29], v[8:9], v[171:172], v[28:29]
	ds_load_b128 v[6:9], v1 offset:1936
	s_wait_loadcnt_dscnt 0x401
	v_mul_f64_e32 v[26:27], v[2:3], v[36:37]
	v_mul_f64_e32 v[30:31], v[4:5], v[36:37]
	s_wait_loadcnt_dscnt 0x300
	v_mul_f64_e32 v[36:37], v[6:7], v[169:170]
	v_add_f64_e32 v[22:23], v[22:23], v[38:39]
	v_add_f64_e32 v[24:25], v[24:25], v[173:174]
	v_mul_f64_e32 v[38:39], v[8:9], v[169:170]
	v_fma_f64 v[26:27], v[4:5], v[34:35], v[26:27]
	v_fma_f64 v[30:31], v[2:3], v[34:35], -v[30:31]
	ds_load_b128 v[2:5], v1 offset:1952
	v_add_f64_e32 v[22:23], v[22:23], v[32:33]
	v_add_f64_e32 v[24:25], v[24:25], v[28:29]
	v_fma_f64 v[32:33], v[8:9], v[167:168], v[36:37]
	v_fma_f64 v[34:35], v[6:7], v[167:168], -v[38:39]
	ds_load_b128 v[6:9], v1 offset:1968
	s_wait_loadcnt_dscnt 0x201
	v_mul_f64_e32 v[28:29], v[2:3], v[12:13]
	v_mul_f64_e32 v[12:13], v[4:5], v[12:13]
	v_add_f64_e32 v[22:23], v[22:23], v[30:31]
	v_add_f64_e32 v[24:25], v[24:25], v[26:27]
	s_wait_loadcnt_dscnt 0x100
	v_mul_f64_e32 v[26:27], v[6:7], v[16:17]
	v_mul_f64_e32 v[16:17], v[8:9], v[16:17]
	v_fma_f64 v[4:5], v[4:5], v[10:11], v[28:29]
	v_fma_f64 v[1:2], v[2:3], v[10:11], -v[12:13]
	v_add_f64_e32 v[10:11], v[22:23], v[34:35]
	v_add_f64_e32 v[12:13], v[24:25], v[32:33]
	v_fma_f64 v[8:9], v[8:9], v[14:15], v[26:27]
	v_fma_f64 v[6:7], v[6:7], v[14:15], -v[16:17]
	s_delay_alu instid0(VALU_DEP_4) | instskip(NEXT) | instid1(VALU_DEP_4)
	v_add_f64_e32 v[1:2], v[10:11], v[1:2]
	v_add_f64_e32 v[3:4], v[12:13], v[4:5]
	s_delay_alu instid0(VALU_DEP_2) | instskip(NEXT) | instid1(VALU_DEP_2)
	v_add_f64_e32 v[1:2], v[1:2], v[6:7]
	v_add_f64_e32 v[3:4], v[3:4], v[8:9]
	s_wait_loadcnt 0x0
	s_delay_alu instid0(VALU_DEP_2) | instskip(NEXT) | instid1(VALU_DEP_2)
	v_add_f64_e64 v[1:2], v[18:19], -v[1:2]
	v_add_f64_e64 v[3:4], v[20:21], -v[3:4]
	scratch_store_b128 off, v[1:4], off offset:768
	v_cmpx_lt_u32_e32 46, v0
	s_cbranch_execz .LBB61_305
; %bb.304:
	scratch_load_b128 v[1:4], off, s30
	v_mov_b32_e32 v5, 0
	s_delay_alu instid0(VALU_DEP_1)
	v_dual_mov_b32 v6, v5 :: v_dual_mov_b32 v7, v5
	v_mov_b32_e32 v8, v5
	scratch_store_b128 off, v[5:8], off offset:752
	s_wait_loadcnt 0x0
	ds_store_b128 v166, v[1:4]
.LBB61_305:
	s_wait_alu 0xfffe
	s_or_b32 exec_lo, exec_lo, s0
	s_wait_storecnt_dscnt 0x0
	s_barrier_signal -1
	s_barrier_wait -1
	global_inv scope:SCOPE_SE
	s_clause 0x7
	scratch_load_b128 v[2:5], off, off offset:768
	scratch_load_b128 v[6:9], off, off offset:784
	;; [unrolled: 1-line block ×8, first 2 shown]
	v_mov_b32_e32 v1, 0
	s_clause 0x1
	scratch_load_b128 v[38:41], off, off offset:896
	scratch_load_b128 v[171:174], off, off offset:912
	s_mov_b32 s0, exec_lo
	ds_load_b128 v[34:37], v1 offset:1744
	ds_load_b128 v[167:170], v1 offset:1760
	s_wait_loadcnt_dscnt 0x901
	v_mul_f64_e32 v[175:176], v[36:37], v[4:5]
	v_mul_f64_e32 v[4:5], v[34:35], v[4:5]
	s_wait_loadcnt_dscnt 0x800
	v_mul_f64_e32 v[177:178], v[167:168], v[8:9]
	v_mul_f64_e32 v[8:9], v[169:170], v[8:9]
	s_delay_alu instid0(VALU_DEP_4) | instskip(NEXT) | instid1(VALU_DEP_4)
	v_fma_f64 v[175:176], v[34:35], v[2:3], -v[175:176]
	v_fma_f64 v[179:180], v[36:37], v[2:3], v[4:5]
	ds_load_b128 v[2:5], v1 offset:1776
	scratch_load_b128 v[34:37], off, off offset:928
	v_fma_f64 v[177:178], v[169:170], v[6:7], v[177:178]
	v_fma_f64 v[183:184], v[167:168], v[6:7], -v[8:9]
	ds_load_b128 v[6:9], v1 offset:1792
	scratch_load_b128 v[167:170], off, off offset:944
	s_wait_loadcnt_dscnt 0x901
	v_mul_f64_e32 v[181:182], v[2:3], v[12:13]
	v_mul_f64_e32 v[12:13], v[4:5], v[12:13]
	s_wait_loadcnt_dscnt 0x800
	v_mul_f64_e32 v[185:186], v[6:7], v[16:17]
	v_mul_f64_e32 v[16:17], v[8:9], v[16:17]
	v_add_f64_e32 v[175:176], 0, v[175:176]
	v_add_f64_e32 v[179:180], 0, v[179:180]
	v_fma_f64 v[181:182], v[4:5], v[10:11], v[181:182]
	v_fma_f64 v[187:188], v[2:3], v[10:11], -v[12:13]
	ds_load_b128 v[2:5], v1 offset:1808
	scratch_load_b128 v[10:13], off, off offset:960
	v_add_f64_e32 v[175:176], v[175:176], v[183:184]
	v_add_f64_e32 v[177:178], v[179:180], v[177:178]
	v_fma_f64 v[183:184], v[8:9], v[14:15], v[185:186]
	v_fma_f64 v[185:186], v[6:7], v[14:15], -v[16:17]
	ds_load_b128 v[6:9], v1 offset:1824
	scratch_load_b128 v[14:17], off, off offset:976
	s_wait_loadcnt_dscnt 0x901
	v_mul_f64_e32 v[179:180], v[2:3], v[20:21]
	v_mul_f64_e32 v[20:21], v[4:5], v[20:21]
	v_add_f64_e32 v[175:176], v[175:176], v[187:188]
	v_add_f64_e32 v[177:178], v[177:178], v[181:182]
	s_wait_loadcnt_dscnt 0x800
	v_mul_f64_e32 v[181:182], v[6:7], v[24:25]
	v_mul_f64_e32 v[24:25], v[8:9], v[24:25]
	v_fma_f64 v[179:180], v[4:5], v[18:19], v[179:180]
	v_fma_f64 v[187:188], v[2:3], v[18:19], -v[20:21]
	ds_load_b128 v[2:5], v1 offset:1840
	scratch_load_b128 v[18:21], off, off offset:992
	v_add_f64_e32 v[175:176], v[175:176], v[185:186]
	v_add_f64_e32 v[177:178], v[177:178], v[183:184]
	v_fma_f64 v[181:182], v[8:9], v[22:23], v[181:182]
	v_fma_f64 v[22:23], v[6:7], v[22:23], -v[24:25]
	ds_load_b128 v[6:9], v1 offset:1856
	s_wait_loadcnt_dscnt 0x801
	v_mul_f64_e32 v[183:184], v[2:3], v[28:29]
	v_mul_f64_e32 v[28:29], v[4:5], v[28:29]
	v_add_f64_e32 v[24:25], v[175:176], v[187:188]
	v_add_f64_e32 v[175:176], v[177:178], v[179:180]
	s_wait_loadcnt_dscnt 0x700
	v_mul_f64_e32 v[177:178], v[6:7], v[32:33]
	v_mul_f64_e32 v[32:33], v[8:9], v[32:33]
	v_fma_f64 v[179:180], v[4:5], v[26:27], v[183:184]
	v_fma_f64 v[26:27], v[2:3], v[26:27], -v[28:29]
	ds_load_b128 v[2:5], v1 offset:1872
	v_add_f64_e32 v[22:23], v[24:25], v[22:23]
	v_add_f64_e32 v[24:25], v[175:176], v[181:182]
	v_fma_f64 v[175:176], v[8:9], v[30:31], v[177:178]
	v_fma_f64 v[30:31], v[6:7], v[30:31], -v[32:33]
	ds_load_b128 v[6:9], v1 offset:1888
	s_wait_loadcnt_dscnt 0x500
	v_mul_f64_e32 v[177:178], v[6:7], v[173:174]
	v_mul_f64_e32 v[173:174], v[8:9], v[173:174]
	v_add_f64_e32 v[26:27], v[22:23], v[26:27]
	v_add_f64_e32 v[32:33], v[24:25], v[179:180]
	scratch_load_b128 v[22:25], off, off offset:752
	v_mul_f64_e32 v[28:29], v[2:3], v[40:41]
	v_mul_f64_e32 v[40:41], v[4:5], v[40:41]
	v_add_f64_e32 v[26:27], v[26:27], v[30:31]
	v_add_f64_e32 v[30:31], v[32:33], v[175:176]
	s_delay_alu instid0(VALU_DEP_4) | instskip(NEXT) | instid1(VALU_DEP_4)
	v_fma_f64 v[28:29], v[4:5], v[38:39], v[28:29]
	v_fma_f64 v[38:39], v[2:3], v[38:39], -v[40:41]
	ds_load_b128 v[2:5], v1 offset:1904
	v_fma_f64 v[40:41], v[8:9], v[171:172], v[177:178]
	v_fma_f64 v[171:172], v[6:7], v[171:172], -v[173:174]
	ds_load_b128 v[6:9], v1 offset:1920
	s_wait_loadcnt_dscnt 0x501
	v_mul_f64_e32 v[32:33], v[2:3], v[36:37]
	v_mul_f64_e32 v[36:37], v[4:5], v[36:37]
	v_add_f64_e32 v[28:29], v[30:31], v[28:29]
	v_add_f64_e32 v[26:27], v[26:27], v[38:39]
	s_wait_loadcnt_dscnt 0x400
	v_mul_f64_e32 v[30:31], v[6:7], v[169:170]
	v_mul_f64_e32 v[38:39], v[8:9], v[169:170]
	v_fma_f64 v[32:33], v[4:5], v[34:35], v[32:33]
	v_fma_f64 v[34:35], v[2:3], v[34:35], -v[36:37]
	ds_load_b128 v[2:5], v1 offset:1936
	v_add_f64_e32 v[28:29], v[28:29], v[40:41]
	v_add_f64_e32 v[26:27], v[26:27], v[171:172]
	v_fma_f64 v[30:31], v[8:9], v[167:168], v[30:31]
	v_fma_f64 v[38:39], v[6:7], v[167:168], -v[38:39]
	ds_load_b128 v[6:9], v1 offset:1952
	s_wait_loadcnt_dscnt 0x301
	v_mul_f64_e32 v[36:37], v[2:3], v[12:13]
	v_mul_f64_e32 v[12:13], v[4:5], v[12:13]
	v_add_f64_e32 v[28:29], v[28:29], v[32:33]
	v_add_f64_e32 v[26:27], v[26:27], v[34:35]
	s_wait_loadcnt_dscnt 0x200
	v_mul_f64_e32 v[32:33], v[6:7], v[16:17]
	v_mul_f64_e32 v[16:17], v[8:9], v[16:17]
	v_fma_f64 v[34:35], v[4:5], v[10:11], v[36:37]
	v_fma_f64 v[10:11], v[2:3], v[10:11], -v[12:13]
	ds_load_b128 v[2:5], v1 offset:1968
	v_add_f64_e32 v[12:13], v[26:27], v[38:39]
	v_add_f64_e32 v[26:27], v[28:29], v[30:31]
	s_wait_loadcnt_dscnt 0x100
	v_mul_f64_e32 v[28:29], v[2:3], v[20:21]
	v_mul_f64_e32 v[20:21], v[4:5], v[20:21]
	v_fma_f64 v[8:9], v[8:9], v[14:15], v[32:33]
	v_fma_f64 v[6:7], v[6:7], v[14:15], -v[16:17]
	v_add_f64_e32 v[10:11], v[12:13], v[10:11]
	v_add_f64_e32 v[12:13], v[26:27], v[34:35]
	v_fma_f64 v[4:5], v[4:5], v[18:19], v[28:29]
	v_fma_f64 v[2:3], v[2:3], v[18:19], -v[20:21]
	s_delay_alu instid0(VALU_DEP_4) | instskip(NEXT) | instid1(VALU_DEP_4)
	v_add_f64_e32 v[6:7], v[10:11], v[6:7]
	v_add_f64_e32 v[8:9], v[12:13], v[8:9]
	s_delay_alu instid0(VALU_DEP_2) | instskip(NEXT) | instid1(VALU_DEP_2)
	v_add_f64_e32 v[2:3], v[6:7], v[2:3]
	v_add_f64_e32 v[4:5], v[8:9], v[4:5]
	s_wait_loadcnt 0x0
	s_delay_alu instid0(VALU_DEP_2) | instskip(NEXT) | instid1(VALU_DEP_2)
	v_add_f64_e64 v[2:3], v[22:23], -v[2:3]
	v_add_f64_e64 v[4:5], v[24:25], -v[4:5]
	scratch_store_b128 off, v[2:5], off offset:752
	v_cmpx_lt_u32_e32 45, v0
	s_cbranch_execz .LBB61_307
; %bb.306:
	scratch_load_b128 v[5:8], off, s29
	v_dual_mov_b32 v2, v1 :: v_dual_mov_b32 v3, v1
	v_mov_b32_e32 v4, v1
	scratch_store_b128 off, v[1:4], off offset:736
	s_wait_loadcnt 0x0
	ds_store_b128 v166, v[5:8]
.LBB61_307:
	s_wait_alu 0xfffe
	s_or_b32 exec_lo, exec_lo, s0
	s_wait_storecnt_dscnt 0x0
	s_barrier_signal -1
	s_barrier_wait -1
	global_inv scope:SCOPE_SE
	s_clause 0x7
	scratch_load_b128 v[2:5], off, off offset:752
	scratch_load_b128 v[6:9], off, off offset:768
	;; [unrolled: 1-line block ×8, first 2 shown]
	ds_load_b128 v[34:37], v1 offset:1728
	ds_load_b128 v[167:170], v1 offset:1744
	s_clause 0x1
	scratch_load_b128 v[38:41], off, off offset:880
	scratch_load_b128 v[171:174], off, off offset:896
	s_mov_b32 s0, exec_lo
	s_wait_loadcnt_dscnt 0x901
	v_mul_f64_e32 v[175:176], v[36:37], v[4:5]
	v_mul_f64_e32 v[4:5], v[34:35], v[4:5]
	s_wait_loadcnt_dscnt 0x800
	v_mul_f64_e32 v[177:178], v[167:168], v[8:9]
	v_mul_f64_e32 v[8:9], v[169:170], v[8:9]
	s_delay_alu instid0(VALU_DEP_4) | instskip(NEXT) | instid1(VALU_DEP_4)
	v_fma_f64 v[175:176], v[34:35], v[2:3], -v[175:176]
	v_fma_f64 v[179:180], v[36:37], v[2:3], v[4:5]
	ds_load_b128 v[2:5], v1 offset:1760
	scratch_load_b128 v[34:37], off, off offset:912
	v_fma_f64 v[177:178], v[169:170], v[6:7], v[177:178]
	v_fma_f64 v[183:184], v[167:168], v[6:7], -v[8:9]
	ds_load_b128 v[6:9], v1 offset:1776
	scratch_load_b128 v[167:170], off, off offset:928
	s_wait_loadcnt_dscnt 0x901
	v_mul_f64_e32 v[181:182], v[2:3], v[12:13]
	v_mul_f64_e32 v[12:13], v[4:5], v[12:13]
	s_wait_loadcnt_dscnt 0x800
	v_mul_f64_e32 v[185:186], v[6:7], v[16:17]
	v_mul_f64_e32 v[16:17], v[8:9], v[16:17]
	v_add_f64_e32 v[175:176], 0, v[175:176]
	v_add_f64_e32 v[179:180], 0, v[179:180]
	v_fma_f64 v[181:182], v[4:5], v[10:11], v[181:182]
	v_fma_f64 v[187:188], v[2:3], v[10:11], -v[12:13]
	ds_load_b128 v[2:5], v1 offset:1792
	scratch_load_b128 v[10:13], off, off offset:944
	v_add_f64_e32 v[175:176], v[175:176], v[183:184]
	v_add_f64_e32 v[177:178], v[179:180], v[177:178]
	v_fma_f64 v[183:184], v[8:9], v[14:15], v[185:186]
	v_fma_f64 v[185:186], v[6:7], v[14:15], -v[16:17]
	ds_load_b128 v[6:9], v1 offset:1808
	scratch_load_b128 v[14:17], off, off offset:960
	s_wait_loadcnt_dscnt 0x901
	v_mul_f64_e32 v[179:180], v[2:3], v[20:21]
	v_mul_f64_e32 v[20:21], v[4:5], v[20:21]
	v_add_f64_e32 v[175:176], v[175:176], v[187:188]
	v_add_f64_e32 v[177:178], v[177:178], v[181:182]
	s_wait_loadcnt_dscnt 0x800
	v_mul_f64_e32 v[181:182], v[6:7], v[24:25]
	v_mul_f64_e32 v[24:25], v[8:9], v[24:25]
	v_fma_f64 v[179:180], v[4:5], v[18:19], v[179:180]
	v_fma_f64 v[187:188], v[2:3], v[18:19], -v[20:21]
	ds_load_b128 v[2:5], v1 offset:1824
	scratch_load_b128 v[18:21], off, off offset:976
	v_add_f64_e32 v[175:176], v[175:176], v[185:186]
	v_add_f64_e32 v[177:178], v[177:178], v[183:184]
	v_fma_f64 v[181:182], v[8:9], v[22:23], v[181:182]
	v_fma_f64 v[185:186], v[6:7], v[22:23], -v[24:25]
	ds_load_b128 v[6:9], v1 offset:1840
	s_wait_loadcnt_dscnt 0x801
	v_mul_f64_e32 v[183:184], v[2:3], v[28:29]
	v_mul_f64_e32 v[28:29], v[4:5], v[28:29]
	scratch_load_b128 v[22:25], off, off offset:992
	v_add_f64_e32 v[175:176], v[175:176], v[187:188]
	v_add_f64_e32 v[177:178], v[177:178], v[179:180]
	s_wait_loadcnt_dscnt 0x800
	v_mul_f64_e32 v[179:180], v[6:7], v[32:33]
	v_mul_f64_e32 v[32:33], v[8:9], v[32:33]
	v_fma_f64 v[183:184], v[4:5], v[26:27], v[183:184]
	v_fma_f64 v[26:27], v[2:3], v[26:27], -v[28:29]
	ds_load_b128 v[2:5], v1 offset:1856
	v_add_f64_e32 v[28:29], v[175:176], v[185:186]
	v_add_f64_e32 v[175:176], v[177:178], v[181:182]
	v_fma_f64 v[179:180], v[8:9], v[30:31], v[179:180]
	v_fma_f64 v[30:31], v[6:7], v[30:31], -v[32:33]
	ds_load_b128 v[6:9], v1 offset:1872
	s_wait_loadcnt_dscnt 0x701
	v_mul_f64_e32 v[177:178], v[2:3], v[40:41]
	v_mul_f64_e32 v[40:41], v[4:5], v[40:41]
	v_add_f64_e32 v[26:27], v[28:29], v[26:27]
	v_add_f64_e32 v[28:29], v[175:176], v[183:184]
	s_delay_alu instid0(VALU_DEP_4) | instskip(NEXT) | instid1(VALU_DEP_4)
	v_fma_f64 v[175:176], v[4:5], v[38:39], v[177:178]
	v_fma_f64 v[38:39], v[2:3], v[38:39], -v[40:41]
	ds_load_b128 v[2:5], v1 offset:1888
	v_add_f64_e32 v[30:31], v[26:27], v[30:31]
	v_add_f64_e32 v[40:41], v[28:29], v[179:180]
	scratch_load_b128 v[26:29], off, off offset:736
	s_wait_loadcnt_dscnt 0x701
	v_mul_f64_e32 v[32:33], v[6:7], v[173:174]
	v_mul_f64_e32 v[173:174], v[8:9], v[173:174]
	v_add_f64_e32 v[30:31], v[30:31], v[38:39]
	v_add_f64_e32 v[38:39], v[40:41], v[175:176]
	s_delay_alu instid0(VALU_DEP_4) | instskip(NEXT) | instid1(VALU_DEP_4)
	v_fma_f64 v[32:33], v[8:9], v[171:172], v[32:33]
	v_fma_f64 v[171:172], v[6:7], v[171:172], -v[173:174]
	ds_load_b128 v[6:9], v1 offset:1904
	s_wait_loadcnt_dscnt 0x601
	v_mul_f64_e32 v[177:178], v[2:3], v[36:37]
	v_mul_f64_e32 v[36:37], v[4:5], v[36:37]
	s_wait_loadcnt_dscnt 0x500
	v_mul_f64_e32 v[40:41], v[6:7], v[169:170]
	v_mul_f64_e32 v[169:170], v[8:9], v[169:170]
	v_add_f64_e32 v[32:33], v[38:39], v[32:33]
	v_add_f64_e32 v[30:31], v[30:31], v[171:172]
	v_fma_f64 v[173:174], v[4:5], v[34:35], v[177:178]
	v_fma_f64 v[34:35], v[2:3], v[34:35], -v[36:37]
	ds_load_b128 v[2:5], v1 offset:1920
	v_fma_f64 v[38:39], v[8:9], v[167:168], v[40:41]
	v_fma_f64 v[40:41], v[6:7], v[167:168], -v[169:170]
	ds_load_b128 v[6:9], v1 offset:1936
	s_wait_loadcnt_dscnt 0x401
	v_mul_f64_e32 v[36:37], v[2:3], v[12:13]
	v_mul_f64_e32 v[12:13], v[4:5], v[12:13]
	v_add_f64_e32 v[32:33], v[32:33], v[173:174]
	v_add_f64_e32 v[30:31], v[30:31], v[34:35]
	s_wait_loadcnt_dscnt 0x300
	v_mul_f64_e32 v[34:35], v[6:7], v[16:17]
	v_mul_f64_e32 v[16:17], v[8:9], v[16:17]
	v_fma_f64 v[36:37], v[4:5], v[10:11], v[36:37]
	v_fma_f64 v[10:11], v[2:3], v[10:11], -v[12:13]
	ds_load_b128 v[2:5], v1 offset:1952
	v_add_f64_e32 v[12:13], v[30:31], v[40:41]
	v_add_f64_e32 v[30:31], v[32:33], v[38:39]
	v_fma_f64 v[34:35], v[8:9], v[14:15], v[34:35]
	v_fma_f64 v[14:15], v[6:7], v[14:15], -v[16:17]
	ds_load_b128 v[6:9], v1 offset:1968
	s_wait_loadcnt_dscnt 0x201
	v_mul_f64_e32 v[32:33], v[2:3], v[20:21]
	v_mul_f64_e32 v[20:21], v[4:5], v[20:21]
	s_wait_loadcnt_dscnt 0x100
	v_mul_f64_e32 v[16:17], v[6:7], v[24:25]
	v_mul_f64_e32 v[24:25], v[8:9], v[24:25]
	v_add_f64_e32 v[10:11], v[12:13], v[10:11]
	v_add_f64_e32 v[12:13], v[30:31], v[36:37]
	v_fma_f64 v[4:5], v[4:5], v[18:19], v[32:33]
	v_fma_f64 v[1:2], v[2:3], v[18:19], -v[20:21]
	v_fma_f64 v[8:9], v[8:9], v[22:23], v[16:17]
	v_fma_f64 v[6:7], v[6:7], v[22:23], -v[24:25]
	v_add_f64_e32 v[10:11], v[10:11], v[14:15]
	v_add_f64_e32 v[12:13], v[12:13], v[34:35]
	s_delay_alu instid0(VALU_DEP_2) | instskip(NEXT) | instid1(VALU_DEP_2)
	v_add_f64_e32 v[1:2], v[10:11], v[1:2]
	v_add_f64_e32 v[3:4], v[12:13], v[4:5]
	s_delay_alu instid0(VALU_DEP_2) | instskip(NEXT) | instid1(VALU_DEP_2)
	v_add_f64_e32 v[1:2], v[1:2], v[6:7]
	v_add_f64_e32 v[3:4], v[3:4], v[8:9]
	s_wait_loadcnt 0x0
	s_delay_alu instid0(VALU_DEP_2) | instskip(NEXT) | instid1(VALU_DEP_2)
	v_add_f64_e64 v[1:2], v[26:27], -v[1:2]
	v_add_f64_e64 v[3:4], v[28:29], -v[3:4]
	scratch_store_b128 off, v[1:4], off offset:736
	v_cmpx_lt_u32_e32 44, v0
	s_cbranch_execz .LBB61_309
; %bb.308:
	scratch_load_b128 v[1:4], off, s42
	v_mov_b32_e32 v5, 0
	s_delay_alu instid0(VALU_DEP_1)
	v_dual_mov_b32 v6, v5 :: v_dual_mov_b32 v7, v5
	v_mov_b32_e32 v8, v5
	scratch_store_b128 off, v[5:8], off offset:720
	s_wait_loadcnt 0x0
	ds_store_b128 v166, v[1:4]
.LBB61_309:
	s_wait_alu 0xfffe
	s_or_b32 exec_lo, exec_lo, s0
	s_wait_storecnt_dscnt 0x0
	s_barrier_signal -1
	s_barrier_wait -1
	global_inv scope:SCOPE_SE
	s_clause 0x7
	scratch_load_b128 v[2:5], off, off offset:736
	scratch_load_b128 v[6:9], off, off offset:752
	;; [unrolled: 1-line block ×8, first 2 shown]
	v_mov_b32_e32 v1, 0
	s_clause 0x1
	scratch_load_b128 v[38:41], off, off offset:864
	scratch_load_b128 v[171:174], off, off offset:880
	s_mov_b32 s0, exec_lo
	ds_load_b128 v[34:37], v1 offset:1712
	ds_load_b128 v[167:170], v1 offset:1728
	s_wait_loadcnt_dscnt 0x901
	v_mul_f64_e32 v[175:176], v[36:37], v[4:5]
	v_mul_f64_e32 v[4:5], v[34:35], v[4:5]
	s_wait_loadcnt_dscnt 0x800
	v_mul_f64_e32 v[177:178], v[167:168], v[8:9]
	v_mul_f64_e32 v[8:9], v[169:170], v[8:9]
	s_delay_alu instid0(VALU_DEP_4) | instskip(NEXT) | instid1(VALU_DEP_4)
	v_fma_f64 v[175:176], v[34:35], v[2:3], -v[175:176]
	v_fma_f64 v[179:180], v[36:37], v[2:3], v[4:5]
	ds_load_b128 v[2:5], v1 offset:1744
	scratch_load_b128 v[34:37], off, off offset:896
	v_fma_f64 v[177:178], v[169:170], v[6:7], v[177:178]
	v_fma_f64 v[183:184], v[167:168], v[6:7], -v[8:9]
	ds_load_b128 v[6:9], v1 offset:1760
	scratch_load_b128 v[167:170], off, off offset:912
	s_wait_loadcnt_dscnt 0x901
	v_mul_f64_e32 v[181:182], v[2:3], v[12:13]
	v_mul_f64_e32 v[12:13], v[4:5], v[12:13]
	s_wait_loadcnt_dscnt 0x800
	v_mul_f64_e32 v[185:186], v[6:7], v[16:17]
	v_mul_f64_e32 v[16:17], v[8:9], v[16:17]
	v_add_f64_e32 v[175:176], 0, v[175:176]
	v_add_f64_e32 v[179:180], 0, v[179:180]
	v_fma_f64 v[181:182], v[4:5], v[10:11], v[181:182]
	v_fma_f64 v[187:188], v[2:3], v[10:11], -v[12:13]
	ds_load_b128 v[2:5], v1 offset:1776
	scratch_load_b128 v[10:13], off, off offset:928
	v_add_f64_e32 v[175:176], v[175:176], v[183:184]
	v_add_f64_e32 v[177:178], v[179:180], v[177:178]
	v_fma_f64 v[183:184], v[8:9], v[14:15], v[185:186]
	v_fma_f64 v[185:186], v[6:7], v[14:15], -v[16:17]
	ds_load_b128 v[6:9], v1 offset:1792
	scratch_load_b128 v[14:17], off, off offset:944
	s_wait_loadcnt_dscnt 0x901
	v_mul_f64_e32 v[179:180], v[2:3], v[20:21]
	v_mul_f64_e32 v[20:21], v[4:5], v[20:21]
	v_add_f64_e32 v[175:176], v[175:176], v[187:188]
	v_add_f64_e32 v[177:178], v[177:178], v[181:182]
	s_wait_loadcnt_dscnt 0x800
	v_mul_f64_e32 v[181:182], v[6:7], v[24:25]
	v_mul_f64_e32 v[24:25], v[8:9], v[24:25]
	v_fma_f64 v[179:180], v[4:5], v[18:19], v[179:180]
	v_fma_f64 v[187:188], v[2:3], v[18:19], -v[20:21]
	ds_load_b128 v[2:5], v1 offset:1808
	scratch_load_b128 v[18:21], off, off offset:960
	v_add_f64_e32 v[175:176], v[175:176], v[185:186]
	v_add_f64_e32 v[177:178], v[177:178], v[183:184]
	v_fma_f64 v[181:182], v[8:9], v[22:23], v[181:182]
	v_fma_f64 v[185:186], v[6:7], v[22:23], -v[24:25]
	ds_load_b128 v[6:9], v1 offset:1824
	s_wait_loadcnt_dscnt 0x801
	v_mul_f64_e32 v[183:184], v[2:3], v[28:29]
	v_mul_f64_e32 v[28:29], v[4:5], v[28:29]
	scratch_load_b128 v[22:25], off, off offset:976
	v_add_f64_e32 v[175:176], v[175:176], v[187:188]
	v_add_f64_e32 v[177:178], v[177:178], v[179:180]
	s_wait_loadcnt_dscnt 0x800
	v_mul_f64_e32 v[179:180], v[6:7], v[32:33]
	v_mul_f64_e32 v[32:33], v[8:9], v[32:33]
	v_fma_f64 v[183:184], v[4:5], v[26:27], v[183:184]
	v_fma_f64 v[187:188], v[2:3], v[26:27], -v[28:29]
	ds_load_b128 v[2:5], v1 offset:1840
	scratch_load_b128 v[26:29], off, off offset:992
	v_add_f64_e32 v[175:176], v[175:176], v[185:186]
	v_add_f64_e32 v[177:178], v[177:178], v[181:182]
	v_fma_f64 v[179:180], v[8:9], v[30:31], v[179:180]
	v_fma_f64 v[30:31], v[6:7], v[30:31], -v[32:33]
	ds_load_b128 v[6:9], v1 offset:1856
	s_wait_loadcnt_dscnt 0x801
	v_mul_f64_e32 v[181:182], v[2:3], v[40:41]
	v_mul_f64_e32 v[40:41], v[4:5], v[40:41]
	v_add_f64_e32 v[32:33], v[175:176], v[187:188]
	v_add_f64_e32 v[175:176], v[177:178], v[183:184]
	s_wait_loadcnt_dscnt 0x700
	v_mul_f64_e32 v[177:178], v[6:7], v[173:174]
	v_mul_f64_e32 v[173:174], v[8:9], v[173:174]
	v_fma_f64 v[181:182], v[4:5], v[38:39], v[181:182]
	v_fma_f64 v[38:39], v[2:3], v[38:39], -v[40:41]
	ds_load_b128 v[2:5], v1 offset:1872
	v_add_f64_e32 v[30:31], v[32:33], v[30:31]
	v_add_f64_e32 v[32:33], v[175:176], v[179:180]
	v_fma_f64 v[175:176], v[8:9], v[171:172], v[177:178]
	v_fma_f64 v[171:172], v[6:7], v[171:172], -v[173:174]
	ds_load_b128 v[6:9], v1 offset:1888
	s_wait_loadcnt_dscnt 0x500
	v_mul_f64_e32 v[177:178], v[6:7], v[169:170]
	v_mul_f64_e32 v[169:170], v[8:9], v[169:170]
	v_add_f64_e32 v[38:39], v[30:31], v[38:39]
	v_add_f64_e32 v[173:174], v[32:33], v[181:182]
	scratch_load_b128 v[30:33], off, off offset:720
	v_mul_f64_e32 v[40:41], v[2:3], v[36:37]
	v_mul_f64_e32 v[36:37], v[4:5], v[36:37]
	s_delay_alu instid0(VALU_DEP_2) | instskip(NEXT) | instid1(VALU_DEP_2)
	v_fma_f64 v[40:41], v[4:5], v[34:35], v[40:41]
	v_fma_f64 v[34:35], v[2:3], v[34:35], -v[36:37]
	v_add_f64_e32 v[36:37], v[38:39], v[171:172]
	v_add_f64_e32 v[38:39], v[173:174], v[175:176]
	ds_load_b128 v[2:5], v1 offset:1904
	v_fma_f64 v[173:174], v[8:9], v[167:168], v[177:178]
	v_fma_f64 v[167:168], v[6:7], v[167:168], -v[169:170]
	ds_load_b128 v[6:9], v1 offset:1920
	s_wait_loadcnt_dscnt 0x501
	v_mul_f64_e32 v[171:172], v[2:3], v[12:13]
	v_mul_f64_e32 v[12:13], v[4:5], v[12:13]
	v_add_f64_e32 v[34:35], v[36:37], v[34:35]
	v_add_f64_e32 v[36:37], v[38:39], v[40:41]
	s_wait_loadcnt_dscnt 0x400
	v_mul_f64_e32 v[38:39], v[6:7], v[16:17]
	v_mul_f64_e32 v[16:17], v[8:9], v[16:17]
	v_fma_f64 v[40:41], v[4:5], v[10:11], v[171:172]
	v_fma_f64 v[10:11], v[2:3], v[10:11], -v[12:13]
	ds_load_b128 v[2:5], v1 offset:1936
	v_add_f64_e32 v[12:13], v[34:35], v[167:168]
	v_add_f64_e32 v[34:35], v[36:37], v[173:174]
	v_fma_f64 v[38:39], v[8:9], v[14:15], v[38:39]
	v_fma_f64 v[14:15], v[6:7], v[14:15], -v[16:17]
	ds_load_b128 v[6:9], v1 offset:1952
	s_wait_loadcnt_dscnt 0x301
	v_mul_f64_e32 v[36:37], v[2:3], v[20:21]
	v_mul_f64_e32 v[20:21], v[4:5], v[20:21]
	s_wait_loadcnt_dscnt 0x200
	v_mul_f64_e32 v[16:17], v[6:7], v[24:25]
	v_mul_f64_e32 v[24:25], v[8:9], v[24:25]
	v_add_f64_e32 v[10:11], v[12:13], v[10:11]
	v_add_f64_e32 v[12:13], v[34:35], v[40:41]
	v_fma_f64 v[34:35], v[4:5], v[18:19], v[36:37]
	v_fma_f64 v[18:19], v[2:3], v[18:19], -v[20:21]
	ds_load_b128 v[2:5], v1 offset:1968
	v_fma_f64 v[8:9], v[8:9], v[22:23], v[16:17]
	v_fma_f64 v[6:7], v[6:7], v[22:23], -v[24:25]
	s_wait_loadcnt_dscnt 0x100
	v_mul_f64_e32 v[20:21], v[4:5], v[28:29]
	v_add_f64_e32 v[10:11], v[10:11], v[14:15]
	v_add_f64_e32 v[12:13], v[12:13], v[38:39]
	v_mul_f64_e32 v[14:15], v[2:3], v[28:29]
	s_delay_alu instid0(VALU_DEP_4) | instskip(NEXT) | instid1(VALU_DEP_4)
	v_fma_f64 v[2:3], v[2:3], v[26:27], -v[20:21]
	v_add_f64_e32 v[10:11], v[10:11], v[18:19]
	s_delay_alu instid0(VALU_DEP_4) | instskip(NEXT) | instid1(VALU_DEP_4)
	v_add_f64_e32 v[12:13], v[12:13], v[34:35]
	v_fma_f64 v[4:5], v[4:5], v[26:27], v[14:15]
	s_delay_alu instid0(VALU_DEP_3) | instskip(NEXT) | instid1(VALU_DEP_3)
	v_add_f64_e32 v[6:7], v[10:11], v[6:7]
	v_add_f64_e32 v[8:9], v[12:13], v[8:9]
	s_delay_alu instid0(VALU_DEP_2) | instskip(NEXT) | instid1(VALU_DEP_2)
	v_add_f64_e32 v[2:3], v[6:7], v[2:3]
	v_add_f64_e32 v[4:5], v[8:9], v[4:5]
	s_wait_loadcnt 0x0
	s_delay_alu instid0(VALU_DEP_2) | instskip(NEXT) | instid1(VALU_DEP_2)
	v_add_f64_e64 v[2:3], v[30:31], -v[2:3]
	v_add_f64_e64 v[4:5], v[32:33], -v[4:5]
	scratch_store_b128 off, v[2:5], off offset:720
	v_cmpx_lt_u32_e32 43, v0
	s_cbranch_execz .LBB61_311
; %bb.310:
	scratch_load_b128 v[5:8], off, s41
	v_dual_mov_b32 v2, v1 :: v_dual_mov_b32 v3, v1
	v_mov_b32_e32 v4, v1
	scratch_store_b128 off, v[1:4], off offset:704
	s_wait_loadcnt 0x0
	ds_store_b128 v166, v[5:8]
.LBB61_311:
	s_wait_alu 0xfffe
	s_or_b32 exec_lo, exec_lo, s0
	s_wait_storecnt_dscnt 0x0
	s_barrier_signal -1
	s_barrier_wait -1
	global_inv scope:SCOPE_SE
	s_clause 0x7
	scratch_load_b128 v[2:5], off, off offset:720
	scratch_load_b128 v[6:9], off, off offset:736
	;; [unrolled: 1-line block ×8, first 2 shown]
	ds_load_b128 v[34:37], v1 offset:1696
	ds_load_b128 v[167:170], v1 offset:1712
	s_clause 0x1
	scratch_load_b128 v[38:41], off, off offset:848
	scratch_load_b128 v[171:174], off, off offset:864
	s_mov_b32 s0, exec_lo
	s_wait_loadcnt_dscnt 0x901
	v_mul_f64_e32 v[175:176], v[36:37], v[4:5]
	v_mul_f64_e32 v[4:5], v[34:35], v[4:5]
	s_wait_loadcnt_dscnt 0x800
	v_mul_f64_e32 v[177:178], v[167:168], v[8:9]
	v_mul_f64_e32 v[8:9], v[169:170], v[8:9]
	s_delay_alu instid0(VALU_DEP_4) | instskip(NEXT) | instid1(VALU_DEP_4)
	v_fma_f64 v[175:176], v[34:35], v[2:3], -v[175:176]
	v_fma_f64 v[179:180], v[36:37], v[2:3], v[4:5]
	scratch_load_b128 v[34:37], off, off offset:880
	ds_load_b128 v[2:5], v1 offset:1728
	v_fma_f64 v[177:178], v[169:170], v[6:7], v[177:178]
	v_fma_f64 v[183:184], v[167:168], v[6:7], -v[8:9]
	ds_load_b128 v[6:9], v1 offset:1744
	scratch_load_b128 v[167:170], off, off offset:896
	s_wait_loadcnt_dscnt 0x901
	v_mul_f64_e32 v[181:182], v[2:3], v[12:13]
	v_mul_f64_e32 v[12:13], v[4:5], v[12:13]
	s_wait_loadcnt_dscnt 0x800
	v_mul_f64_e32 v[185:186], v[6:7], v[16:17]
	v_mul_f64_e32 v[16:17], v[8:9], v[16:17]
	v_add_f64_e32 v[175:176], 0, v[175:176]
	v_add_f64_e32 v[179:180], 0, v[179:180]
	v_fma_f64 v[181:182], v[4:5], v[10:11], v[181:182]
	v_fma_f64 v[187:188], v[2:3], v[10:11], -v[12:13]
	ds_load_b128 v[2:5], v1 offset:1760
	scratch_load_b128 v[10:13], off, off offset:912
	v_add_f64_e32 v[175:176], v[175:176], v[183:184]
	v_add_f64_e32 v[177:178], v[179:180], v[177:178]
	v_fma_f64 v[183:184], v[8:9], v[14:15], v[185:186]
	v_fma_f64 v[185:186], v[6:7], v[14:15], -v[16:17]
	ds_load_b128 v[6:9], v1 offset:1776
	scratch_load_b128 v[14:17], off, off offset:928
	s_wait_loadcnt_dscnt 0x901
	v_mul_f64_e32 v[179:180], v[2:3], v[20:21]
	v_mul_f64_e32 v[20:21], v[4:5], v[20:21]
	v_add_f64_e32 v[175:176], v[175:176], v[187:188]
	v_add_f64_e32 v[177:178], v[177:178], v[181:182]
	s_wait_loadcnt_dscnt 0x800
	v_mul_f64_e32 v[181:182], v[6:7], v[24:25]
	v_mul_f64_e32 v[24:25], v[8:9], v[24:25]
	v_fma_f64 v[179:180], v[4:5], v[18:19], v[179:180]
	v_fma_f64 v[187:188], v[2:3], v[18:19], -v[20:21]
	ds_load_b128 v[2:5], v1 offset:1792
	scratch_load_b128 v[18:21], off, off offset:944
	v_add_f64_e32 v[175:176], v[175:176], v[185:186]
	v_add_f64_e32 v[177:178], v[177:178], v[183:184]
	v_fma_f64 v[181:182], v[8:9], v[22:23], v[181:182]
	v_fma_f64 v[185:186], v[6:7], v[22:23], -v[24:25]
	ds_load_b128 v[6:9], v1 offset:1808
	s_wait_loadcnt_dscnt 0x801
	v_mul_f64_e32 v[183:184], v[2:3], v[28:29]
	v_mul_f64_e32 v[28:29], v[4:5], v[28:29]
	scratch_load_b128 v[22:25], off, off offset:960
	v_add_f64_e32 v[175:176], v[175:176], v[187:188]
	v_add_f64_e32 v[177:178], v[177:178], v[179:180]
	s_wait_loadcnt_dscnt 0x800
	v_mul_f64_e32 v[179:180], v[6:7], v[32:33]
	v_mul_f64_e32 v[32:33], v[8:9], v[32:33]
	v_fma_f64 v[183:184], v[4:5], v[26:27], v[183:184]
	v_fma_f64 v[187:188], v[2:3], v[26:27], -v[28:29]
	ds_load_b128 v[2:5], v1 offset:1824
	scratch_load_b128 v[26:29], off, off offset:976
	v_add_f64_e32 v[175:176], v[175:176], v[185:186]
	v_add_f64_e32 v[177:178], v[177:178], v[181:182]
	v_fma_f64 v[179:180], v[8:9], v[30:31], v[179:180]
	v_fma_f64 v[185:186], v[6:7], v[30:31], -v[32:33]
	ds_load_b128 v[6:9], v1 offset:1840
	s_wait_loadcnt_dscnt 0x801
	v_mul_f64_e32 v[181:182], v[2:3], v[40:41]
	v_mul_f64_e32 v[40:41], v[4:5], v[40:41]
	scratch_load_b128 v[30:33], off, off offset:992
	v_add_f64_e32 v[175:176], v[175:176], v[187:188]
	v_add_f64_e32 v[177:178], v[177:178], v[183:184]
	v_fma_f64 v[181:182], v[4:5], v[38:39], v[181:182]
	v_fma_f64 v[38:39], v[2:3], v[38:39], -v[40:41]
	ds_load_b128 v[2:5], v1 offset:1856
	v_add_f64_e32 v[40:41], v[175:176], v[185:186]
	v_add_f64_e32 v[175:176], v[177:178], v[179:180]
	s_wait_loadcnt_dscnt 0x700
	v_mul_f64_e32 v[177:178], v[2:3], v[36:37]
	v_mul_f64_e32 v[36:37], v[4:5], v[36:37]
	s_delay_alu instid0(VALU_DEP_4) | instskip(NEXT) | instid1(VALU_DEP_4)
	v_add_f64_e32 v[38:39], v[40:41], v[38:39]
	v_add_f64_e32 v[40:41], v[175:176], v[181:182]
	s_delay_alu instid0(VALU_DEP_4) | instskip(NEXT) | instid1(VALU_DEP_4)
	v_fma_f64 v[175:176], v[4:5], v[34:35], v[177:178]
	v_fma_f64 v[177:178], v[2:3], v[34:35], -v[36:37]
	scratch_load_b128 v[34:37], off, off offset:704
	v_mul_f64_e32 v[183:184], v[6:7], v[173:174]
	v_mul_f64_e32 v[173:174], v[8:9], v[173:174]
	ds_load_b128 v[2:5], v1 offset:1888
	v_fma_f64 v[179:180], v[8:9], v[171:172], v[183:184]
	v_fma_f64 v[171:172], v[6:7], v[171:172], -v[173:174]
	ds_load_b128 v[6:9], v1 offset:1872
	s_wait_loadcnt_dscnt 0x700
	v_mul_f64_e32 v[173:174], v[6:7], v[169:170]
	v_mul_f64_e32 v[169:170], v[8:9], v[169:170]
	v_add_f64_e32 v[40:41], v[40:41], v[179:180]
	v_add_f64_e32 v[38:39], v[38:39], v[171:172]
	s_wait_loadcnt 0x6
	v_mul_f64_e32 v[171:172], v[2:3], v[12:13]
	v_mul_f64_e32 v[12:13], v[4:5], v[12:13]
	v_fma_f64 v[173:174], v[8:9], v[167:168], v[173:174]
	v_fma_f64 v[167:168], v[6:7], v[167:168], -v[169:170]
	ds_load_b128 v[6:9], v1 offset:1904
	v_add_f64_e32 v[40:41], v[40:41], v[175:176]
	v_add_f64_e32 v[38:39], v[38:39], v[177:178]
	v_fma_f64 v[171:172], v[4:5], v[10:11], v[171:172]
	v_fma_f64 v[10:11], v[2:3], v[10:11], -v[12:13]
	ds_load_b128 v[2:5], v1 offset:1920
	s_wait_loadcnt_dscnt 0x501
	v_mul_f64_e32 v[169:170], v[6:7], v[16:17]
	v_mul_f64_e32 v[16:17], v[8:9], v[16:17]
	v_add_f64_e32 v[12:13], v[38:39], v[167:168]
	v_add_f64_e32 v[38:39], v[40:41], v[173:174]
	s_wait_loadcnt_dscnt 0x400
	v_mul_f64_e32 v[40:41], v[2:3], v[20:21]
	v_mul_f64_e32 v[20:21], v[4:5], v[20:21]
	v_fma_f64 v[167:168], v[8:9], v[14:15], v[169:170]
	v_fma_f64 v[14:15], v[6:7], v[14:15], -v[16:17]
	ds_load_b128 v[6:9], v1 offset:1936
	v_add_f64_e32 v[10:11], v[12:13], v[10:11]
	v_add_f64_e32 v[12:13], v[38:39], v[171:172]
	v_fma_f64 v[38:39], v[4:5], v[18:19], v[40:41]
	v_fma_f64 v[18:19], v[2:3], v[18:19], -v[20:21]
	ds_load_b128 v[2:5], v1 offset:1952
	s_wait_loadcnt_dscnt 0x301
	v_mul_f64_e32 v[16:17], v[6:7], v[24:25]
	v_mul_f64_e32 v[24:25], v[8:9], v[24:25]
	s_wait_loadcnt_dscnt 0x200
	v_mul_f64_e32 v[20:21], v[4:5], v[28:29]
	v_add_f64_e32 v[10:11], v[10:11], v[14:15]
	v_add_f64_e32 v[12:13], v[12:13], v[167:168]
	v_mul_f64_e32 v[14:15], v[2:3], v[28:29]
	v_fma_f64 v[16:17], v[8:9], v[22:23], v[16:17]
	v_fma_f64 v[22:23], v[6:7], v[22:23], -v[24:25]
	ds_load_b128 v[6:9], v1 offset:1968
	v_fma_f64 v[1:2], v[2:3], v[26:27], -v[20:21]
	s_wait_loadcnt_dscnt 0x100
	v_mul_f64_e32 v[24:25], v[8:9], v[32:33]
	v_add_f64_e32 v[10:11], v[10:11], v[18:19]
	v_add_f64_e32 v[12:13], v[12:13], v[38:39]
	v_mul_f64_e32 v[18:19], v[6:7], v[32:33]
	v_fma_f64 v[4:5], v[4:5], v[26:27], v[14:15]
	v_fma_f64 v[6:7], v[6:7], v[30:31], -v[24:25]
	v_add_f64_e32 v[10:11], v[10:11], v[22:23]
	v_add_f64_e32 v[12:13], v[12:13], v[16:17]
	v_fma_f64 v[8:9], v[8:9], v[30:31], v[18:19]
	s_delay_alu instid0(VALU_DEP_3) | instskip(NEXT) | instid1(VALU_DEP_3)
	v_add_f64_e32 v[1:2], v[10:11], v[1:2]
	v_add_f64_e32 v[3:4], v[12:13], v[4:5]
	s_delay_alu instid0(VALU_DEP_2) | instskip(NEXT) | instid1(VALU_DEP_2)
	v_add_f64_e32 v[1:2], v[1:2], v[6:7]
	v_add_f64_e32 v[3:4], v[3:4], v[8:9]
	s_wait_loadcnt 0x0
	s_delay_alu instid0(VALU_DEP_2) | instskip(NEXT) | instid1(VALU_DEP_2)
	v_add_f64_e64 v[1:2], v[34:35], -v[1:2]
	v_add_f64_e64 v[3:4], v[36:37], -v[3:4]
	scratch_store_b128 off, v[1:4], off offset:704
	v_cmpx_lt_u32_e32 42, v0
	s_cbranch_execz .LBB61_313
; %bb.312:
	scratch_load_b128 v[1:4], off, s48
	v_mov_b32_e32 v5, 0
	s_delay_alu instid0(VALU_DEP_1)
	v_dual_mov_b32 v6, v5 :: v_dual_mov_b32 v7, v5
	v_mov_b32_e32 v8, v5
	scratch_store_b128 off, v[5:8], off offset:688
	s_wait_loadcnt 0x0
	ds_store_b128 v166, v[1:4]
.LBB61_313:
	s_wait_alu 0xfffe
	s_or_b32 exec_lo, exec_lo, s0
	s_wait_storecnt_dscnt 0x0
	s_barrier_signal -1
	s_barrier_wait -1
	global_inv scope:SCOPE_SE
	s_clause 0x7
	scratch_load_b128 v[2:5], off, off offset:704
	scratch_load_b128 v[6:9], off, off offset:720
	;; [unrolled: 1-line block ×8, first 2 shown]
	v_mov_b32_e32 v1, 0
	s_clause 0x1
	scratch_load_b128 v[38:41], off, off offset:832
	scratch_load_b128 v[171:174], off, off offset:848
	s_mov_b32 s0, exec_lo
	ds_load_b128 v[34:37], v1 offset:1680
	ds_load_b128 v[167:170], v1 offset:1696
	s_wait_loadcnt_dscnt 0x901
	v_mul_f64_e32 v[175:176], v[36:37], v[4:5]
	v_mul_f64_e32 v[4:5], v[34:35], v[4:5]
	s_wait_loadcnt_dscnt 0x800
	v_mul_f64_e32 v[177:178], v[167:168], v[8:9]
	v_mul_f64_e32 v[8:9], v[169:170], v[8:9]
	s_delay_alu instid0(VALU_DEP_4) | instskip(NEXT) | instid1(VALU_DEP_4)
	v_fma_f64 v[175:176], v[34:35], v[2:3], -v[175:176]
	v_fma_f64 v[179:180], v[36:37], v[2:3], v[4:5]
	ds_load_b128 v[2:5], v1 offset:1712
	scratch_load_b128 v[34:37], off, off offset:864
	v_fma_f64 v[177:178], v[169:170], v[6:7], v[177:178]
	v_fma_f64 v[183:184], v[167:168], v[6:7], -v[8:9]
	ds_load_b128 v[6:9], v1 offset:1728
	scratch_load_b128 v[167:170], off, off offset:880
	s_wait_loadcnt_dscnt 0x901
	v_mul_f64_e32 v[181:182], v[2:3], v[12:13]
	v_mul_f64_e32 v[12:13], v[4:5], v[12:13]
	s_wait_loadcnt_dscnt 0x800
	v_mul_f64_e32 v[185:186], v[6:7], v[16:17]
	v_mul_f64_e32 v[16:17], v[8:9], v[16:17]
	v_add_f64_e32 v[175:176], 0, v[175:176]
	v_add_f64_e32 v[179:180], 0, v[179:180]
	v_fma_f64 v[181:182], v[4:5], v[10:11], v[181:182]
	v_fma_f64 v[187:188], v[2:3], v[10:11], -v[12:13]
	ds_load_b128 v[2:5], v1 offset:1744
	scratch_load_b128 v[10:13], off, off offset:896
	v_add_f64_e32 v[175:176], v[175:176], v[183:184]
	v_add_f64_e32 v[177:178], v[179:180], v[177:178]
	v_fma_f64 v[183:184], v[8:9], v[14:15], v[185:186]
	v_fma_f64 v[185:186], v[6:7], v[14:15], -v[16:17]
	ds_load_b128 v[6:9], v1 offset:1760
	scratch_load_b128 v[14:17], off, off offset:912
	s_wait_loadcnt_dscnt 0x901
	v_mul_f64_e32 v[179:180], v[2:3], v[20:21]
	v_mul_f64_e32 v[20:21], v[4:5], v[20:21]
	v_add_f64_e32 v[175:176], v[175:176], v[187:188]
	v_add_f64_e32 v[177:178], v[177:178], v[181:182]
	s_wait_loadcnt_dscnt 0x800
	v_mul_f64_e32 v[181:182], v[6:7], v[24:25]
	v_mul_f64_e32 v[24:25], v[8:9], v[24:25]
	v_fma_f64 v[179:180], v[4:5], v[18:19], v[179:180]
	v_fma_f64 v[187:188], v[2:3], v[18:19], -v[20:21]
	ds_load_b128 v[2:5], v1 offset:1776
	scratch_load_b128 v[18:21], off, off offset:928
	v_add_f64_e32 v[175:176], v[175:176], v[185:186]
	v_add_f64_e32 v[177:178], v[177:178], v[183:184]
	v_fma_f64 v[181:182], v[8:9], v[22:23], v[181:182]
	v_fma_f64 v[185:186], v[6:7], v[22:23], -v[24:25]
	ds_load_b128 v[6:9], v1 offset:1792
	s_wait_loadcnt_dscnt 0x801
	v_mul_f64_e32 v[183:184], v[2:3], v[28:29]
	v_mul_f64_e32 v[28:29], v[4:5], v[28:29]
	scratch_load_b128 v[22:25], off, off offset:944
	v_add_f64_e32 v[175:176], v[175:176], v[187:188]
	v_add_f64_e32 v[177:178], v[177:178], v[179:180]
	s_wait_loadcnt_dscnt 0x800
	v_mul_f64_e32 v[179:180], v[6:7], v[32:33]
	v_mul_f64_e32 v[32:33], v[8:9], v[32:33]
	v_fma_f64 v[183:184], v[4:5], v[26:27], v[183:184]
	v_fma_f64 v[187:188], v[2:3], v[26:27], -v[28:29]
	ds_load_b128 v[2:5], v1 offset:1808
	scratch_load_b128 v[26:29], off, off offset:960
	v_add_f64_e32 v[175:176], v[175:176], v[185:186]
	v_add_f64_e32 v[177:178], v[177:178], v[181:182]
	v_fma_f64 v[179:180], v[8:9], v[30:31], v[179:180]
	v_fma_f64 v[185:186], v[6:7], v[30:31], -v[32:33]
	ds_load_b128 v[6:9], v1 offset:1824
	s_wait_loadcnt_dscnt 0x801
	v_mul_f64_e32 v[181:182], v[2:3], v[40:41]
	v_mul_f64_e32 v[40:41], v[4:5], v[40:41]
	scratch_load_b128 v[30:33], off, off offset:976
	v_add_f64_e32 v[175:176], v[175:176], v[187:188]
	v_add_f64_e32 v[177:178], v[177:178], v[183:184]
	s_wait_loadcnt_dscnt 0x800
	v_mul_f64_e32 v[183:184], v[6:7], v[173:174]
	v_mul_f64_e32 v[173:174], v[8:9], v[173:174]
	v_fma_f64 v[181:182], v[4:5], v[38:39], v[181:182]
	v_fma_f64 v[187:188], v[2:3], v[38:39], -v[40:41]
	ds_load_b128 v[2:5], v1 offset:1840
	scratch_load_b128 v[38:41], off, off offset:992
	v_add_f64_e32 v[175:176], v[175:176], v[185:186]
	v_add_f64_e32 v[177:178], v[177:178], v[179:180]
	v_fma_f64 v[183:184], v[8:9], v[171:172], v[183:184]
	v_fma_f64 v[171:172], v[6:7], v[171:172], -v[173:174]
	ds_load_b128 v[6:9], v1 offset:1856
	s_wait_loadcnt_dscnt 0x801
	v_mul_f64_e32 v[179:180], v[2:3], v[36:37]
	v_mul_f64_e32 v[36:37], v[4:5], v[36:37]
	v_add_f64_e32 v[173:174], v[175:176], v[187:188]
	v_add_f64_e32 v[175:176], v[177:178], v[181:182]
	s_wait_loadcnt_dscnt 0x700
	v_mul_f64_e32 v[177:178], v[6:7], v[169:170]
	v_mul_f64_e32 v[169:170], v[8:9], v[169:170]
	v_fma_f64 v[179:180], v[4:5], v[34:35], v[179:180]
	v_fma_f64 v[34:35], v[2:3], v[34:35], -v[36:37]
	ds_load_b128 v[2:5], v1 offset:1872
	v_add_f64_e32 v[36:37], v[173:174], v[171:172]
	v_add_f64_e32 v[171:172], v[175:176], v[183:184]
	v_fma_f64 v[175:176], v[8:9], v[167:168], v[177:178]
	v_fma_f64 v[167:168], v[6:7], v[167:168], -v[169:170]
	ds_load_b128 v[6:9], v1 offset:1888
	s_wait_loadcnt_dscnt 0x500
	v_mul_f64_e32 v[177:178], v[6:7], v[16:17]
	v_mul_f64_e32 v[16:17], v[8:9], v[16:17]
	v_add_f64_e32 v[169:170], v[36:37], v[34:35]
	v_add_f64_e32 v[171:172], v[171:172], v[179:180]
	scratch_load_b128 v[34:37], off, off offset:688
	v_mul_f64_e32 v[173:174], v[2:3], v[12:13]
	v_mul_f64_e32 v[12:13], v[4:5], v[12:13]
	s_delay_alu instid0(VALU_DEP_2) | instskip(NEXT) | instid1(VALU_DEP_2)
	v_fma_f64 v[173:174], v[4:5], v[10:11], v[173:174]
	v_fma_f64 v[10:11], v[2:3], v[10:11], -v[12:13]
	v_add_f64_e32 v[12:13], v[169:170], v[167:168]
	v_add_f64_e32 v[167:168], v[171:172], v[175:176]
	ds_load_b128 v[2:5], v1 offset:1904
	v_fma_f64 v[171:172], v[8:9], v[14:15], v[177:178]
	v_fma_f64 v[14:15], v[6:7], v[14:15], -v[16:17]
	ds_load_b128 v[6:9], v1 offset:1920
	s_wait_loadcnt_dscnt 0x501
	v_mul_f64_e32 v[169:170], v[2:3], v[20:21]
	v_mul_f64_e32 v[20:21], v[4:5], v[20:21]
	s_wait_loadcnt_dscnt 0x400
	v_mul_f64_e32 v[16:17], v[6:7], v[24:25]
	v_mul_f64_e32 v[24:25], v[8:9], v[24:25]
	v_add_f64_e32 v[10:11], v[12:13], v[10:11]
	v_add_f64_e32 v[12:13], v[167:168], v[173:174]
	v_fma_f64 v[167:168], v[4:5], v[18:19], v[169:170]
	v_fma_f64 v[18:19], v[2:3], v[18:19], -v[20:21]
	ds_load_b128 v[2:5], v1 offset:1936
	v_fma_f64 v[16:17], v[8:9], v[22:23], v[16:17]
	v_fma_f64 v[22:23], v[6:7], v[22:23], -v[24:25]
	ds_load_b128 v[6:9], v1 offset:1952
	v_add_f64_e32 v[10:11], v[10:11], v[14:15]
	v_add_f64_e32 v[12:13], v[12:13], v[171:172]
	s_wait_loadcnt_dscnt 0x301
	v_mul_f64_e32 v[14:15], v[2:3], v[28:29]
	v_mul_f64_e32 v[20:21], v[4:5], v[28:29]
	s_wait_loadcnt_dscnt 0x200
	v_mul_f64_e32 v[24:25], v[8:9], v[32:33]
	v_add_f64_e32 v[10:11], v[10:11], v[18:19]
	v_add_f64_e32 v[12:13], v[12:13], v[167:168]
	v_mul_f64_e32 v[18:19], v[6:7], v[32:33]
	v_fma_f64 v[14:15], v[4:5], v[26:27], v[14:15]
	v_fma_f64 v[20:21], v[2:3], v[26:27], -v[20:21]
	ds_load_b128 v[2:5], v1 offset:1968
	v_fma_f64 v[6:7], v[6:7], v[30:31], -v[24:25]
	v_add_f64_e32 v[10:11], v[10:11], v[22:23]
	v_add_f64_e32 v[12:13], v[12:13], v[16:17]
	s_wait_loadcnt_dscnt 0x100
	v_mul_f64_e32 v[16:17], v[2:3], v[40:41]
	v_mul_f64_e32 v[22:23], v[4:5], v[40:41]
	v_fma_f64 v[8:9], v[8:9], v[30:31], v[18:19]
	v_add_f64_e32 v[10:11], v[10:11], v[20:21]
	v_add_f64_e32 v[12:13], v[12:13], v[14:15]
	v_fma_f64 v[4:5], v[4:5], v[38:39], v[16:17]
	v_fma_f64 v[2:3], v[2:3], v[38:39], -v[22:23]
	s_delay_alu instid0(VALU_DEP_4) | instskip(NEXT) | instid1(VALU_DEP_4)
	v_add_f64_e32 v[6:7], v[10:11], v[6:7]
	v_add_f64_e32 v[8:9], v[12:13], v[8:9]
	s_delay_alu instid0(VALU_DEP_2) | instskip(NEXT) | instid1(VALU_DEP_2)
	v_add_f64_e32 v[2:3], v[6:7], v[2:3]
	v_add_f64_e32 v[4:5], v[8:9], v[4:5]
	s_wait_loadcnt 0x0
	s_delay_alu instid0(VALU_DEP_2) | instskip(NEXT) | instid1(VALU_DEP_2)
	v_add_f64_e64 v[2:3], v[34:35], -v[2:3]
	v_add_f64_e64 v[4:5], v[36:37], -v[4:5]
	scratch_store_b128 off, v[2:5], off offset:688
	v_cmpx_lt_u32_e32 41, v0
	s_cbranch_execz .LBB61_315
; %bb.314:
	scratch_load_b128 v[5:8], off, s47
	v_dual_mov_b32 v2, v1 :: v_dual_mov_b32 v3, v1
	v_mov_b32_e32 v4, v1
	scratch_store_b128 off, v[1:4], off offset:672
	s_wait_loadcnt 0x0
	ds_store_b128 v166, v[5:8]
.LBB61_315:
	s_wait_alu 0xfffe
	s_or_b32 exec_lo, exec_lo, s0
	s_wait_storecnt_dscnt 0x0
	s_barrier_signal -1
	s_barrier_wait -1
	global_inv scope:SCOPE_SE
	s_clause 0x7
	scratch_load_b128 v[2:5], off, off offset:688
	scratch_load_b128 v[6:9], off, off offset:704
	;; [unrolled: 1-line block ×8, first 2 shown]
	ds_load_b128 v[34:37], v1 offset:1664
	ds_load_b128 v[167:170], v1 offset:1680
	s_clause 0x1
	scratch_load_b128 v[38:41], off, off offset:816
	scratch_load_b128 v[171:174], off, off offset:832
	s_mov_b32 s0, exec_lo
	s_wait_loadcnt_dscnt 0x901
	v_mul_f64_e32 v[175:176], v[36:37], v[4:5]
	v_mul_f64_e32 v[4:5], v[34:35], v[4:5]
	s_wait_loadcnt_dscnt 0x800
	v_mul_f64_e32 v[177:178], v[167:168], v[8:9]
	v_mul_f64_e32 v[8:9], v[169:170], v[8:9]
	s_delay_alu instid0(VALU_DEP_4) | instskip(NEXT) | instid1(VALU_DEP_4)
	v_fma_f64 v[175:176], v[34:35], v[2:3], -v[175:176]
	v_fma_f64 v[179:180], v[36:37], v[2:3], v[4:5]
	ds_load_b128 v[2:5], v1 offset:1696
	scratch_load_b128 v[34:37], off, off offset:848
	v_fma_f64 v[177:178], v[169:170], v[6:7], v[177:178]
	v_fma_f64 v[183:184], v[167:168], v[6:7], -v[8:9]
	ds_load_b128 v[6:9], v1 offset:1712
	scratch_load_b128 v[167:170], off, off offset:864
	s_wait_loadcnt_dscnt 0x901
	v_mul_f64_e32 v[181:182], v[2:3], v[12:13]
	v_mul_f64_e32 v[12:13], v[4:5], v[12:13]
	s_wait_loadcnt_dscnt 0x800
	v_mul_f64_e32 v[185:186], v[6:7], v[16:17]
	v_mul_f64_e32 v[16:17], v[8:9], v[16:17]
	v_add_f64_e32 v[175:176], 0, v[175:176]
	v_add_f64_e32 v[179:180], 0, v[179:180]
	v_fma_f64 v[181:182], v[4:5], v[10:11], v[181:182]
	v_fma_f64 v[187:188], v[2:3], v[10:11], -v[12:13]
	scratch_load_b128 v[10:13], off, off offset:880
	ds_load_b128 v[2:5], v1 offset:1728
	v_add_f64_e32 v[175:176], v[175:176], v[183:184]
	v_add_f64_e32 v[177:178], v[179:180], v[177:178]
	v_fma_f64 v[183:184], v[8:9], v[14:15], v[185:186]
	v_fma_f64 v[185:186], v[6:7], v[14:15], -v[16:17]
	ds_load_b128 v[6:9], v1 offset:1744
	scratch_load_b128 v[14:17], off, off offset:896
	s_wait_loadcnt_dscnt 0x901
	v_mul_f64_e32 v[179:180], v[2:3], v[20:21]
	v_mul_f64_e32 v[20:21], v[4:5], v[20:21]
	v_add_f64_e32 v[175:176], v[175:176], v[187:188]
	v_add_f64_e32 v[177:178], v[177:178], v[181:182]
	s_wait_loadcnt_dscnt 0x800
	v_mul_f64_e32 v[181:182], v[6:7], v[24:25]
	v_mul_f64_e32 v[24:25], v[8:9], v[24:25]
	v_fma_f64 v[179:180], v[4:5], v[18:19], v[179:180]
	v_fma_f64 v[187:188], v[2:3], v[18:19], -v[20:21]
	ds_load_b128 v[2:5], v1 offset:1760
	scratch_load_b128 v[18:21], off, off offset:912
	v_add_f64_e32 v[175:176], v[175:176], v[185:186]
	v_add_f64_e32 v[177:178], v[177:178], v[183:184]
	v_fma_f64 v[181:182], v[8:9], v[22:23], v[181:182]
	v_fma_f64 v[185:186], v[6:7], v[22:23], -v[24:25]
	ds_load_b128 v[6:9], v1 offset:1776
	s_wait_loadcnt_dscnt 0x801
	v_mul_f64_e32 v[183:184], v[2:3], v[28:29]
	v_mul_f64_e32 v[28:29], v[4:5], v[28:29]
	scratch_load_b128 v[22:25], off, off offset:928
	v_add_f64_e32 v[175:176], v[175:176], v[187:188]
	v_add_f64_e32 v[177:178], v[177:178], v[179:180]
	s_wait_loadcnt_dscnt 0x800
	v_mul_f64_e32 v[179:180], v[6:7], v[32:33]
	v_mul_f64_e32 v[32:33], v[8:9], v[32:33]
	v_fma_f64 v[183:184], v[4:5], v[26:27], v[183:184]
	v_fma_f64 v[187:188], v[2:3], v[26:27], -v[28:29]
	ds_load_b128 v[2:5], v1 offset:1792
	scratch_load_b128 v[26:29], off, off offset:944
	v_add_f64_e32 v[175:176], v[175:176], v[185:186]
	v_add_f64_e32 v[177:178], v[177:178], v[181:182]
	v_fma_f64 v[179:180], v[8:9], v[30:31], v[179:180]
	v_fma_f64 v[185:186], v[6:7], v[30:31], -v[32:33]
	ds_load_b128 v[6:9], v1 offset:1808
	s_wait_loadcnt_dscnt 0x801
	v_mul_f64_e32 v[181:182], v[2:3], v[40:41]
	v_mul_f64_e32 v[40:41], v[4:5], v[40:41]
	scratch_load_b128 v[30:33], off, off offset:960
	v_add_f64_e32 v[175:176], v[175:176], v[187:188]
	v_add_f64_e32 v[177:178], v[177:178], v[183:184]
	s_wait_loadcnt_dscnt 0x800
	v_mul_f64_e32 v[183:184], v[6:7], v[173:174]
	v_mul_f64_e32 v[173:174], v[8:9], v[173:174]
	v_fma_f64 v[181:182], v[4:5], v[38:39], v[181:182]
	v_fma_f64 v[187:188], v[2:3], v[38:39], -v[40:41]
	ds_load_b128 v[2:5], v1 offset:1824
	scratch_load_b128 v[38:41], off, off offset:976
	v_add_f64_e32 v[175:176], v[175:176], v[185:186]
	v_add_f64_e32 v[177:178], v[177:178], v[179:180]
	v_fma_f64 v[183:184], v[8:9], v[171:172], v[183:184]
	v_fma_f64 v[185:186], v[6:7], v[171:172], -v[173:174]
	ds_load_b128 v[6:9], v1 offset:1840
	scratch_load_b128 v[171:174], off, off offset:992
	s_wait_loadcnt_dscnt 0x901
	v_mul_f64_e32 v[179:180], v[2:3], v[36:37]
	v_mul_f64_e32 v[36:37], v[4:5], v[36:37]
	v_add_f64_e32 v[175:176], v[175:176], v[187:188]
	v_add_f64_e32 v[177:178], v[177:178], v[181:182]
	s_delay_alu instid0(VALU_DEP_4) | instskip(NEXT) | instid1(VALU_DEP_4)
	v_fma_f64 v[179:180], v[4:5], v[34:35], v[179:180]
	v_fma_f64 v[34:35], v[2:3], v[34:35], -v[36:37]
	ds_load_b128 v[2:5], v1 offset:1856
	v_add_f64_e32 v[36:37], v[175:176], v[185:186]
	v_add_f64_e32 v[175:176], v[177:178], v[183:184]
	s_wait_loadcnt_dscnt 0x700
	v_mul_f64_e32 v[177:178], v[2:3], v[12:13]
	v_mul_f64_e32 v[12:13], v[4:5], v[12:13]
	s_delay_alu instid0(VALU_DEP_4) | instskip(NEXT) | instid1(VALU_DEP_4)
	v_add_f64_e32 v[34:35], v[36:37], v[34:35]
	v_add_f64_e32 v[36:37], v[175:176], v[179:180]
	s_delay_alu instid0(VALU_DEP_4) | instskip(NEXT) | instid1(VALU_DEP_4)
	v_fma_f64 v[175:176], v[4:5], v[10:11], v[177:178]
	v_fma_f64 v[177:178], v[2:3], v[10:11], -v[12:13]
	scratch_load_b128 v[10:13], off, off offset:672
	v_mul_f64_e32 v[181:182], v[6:7], v[169:170]
	v_mul_f64_e32 v[169:170], v[8:9], v[169:170]
	ds_load_b128 v[2:5], v1 offset:1888
	v_fma_f64 v[181:182], v[8:9], v[167:168], v[181:182]
	v_fma_f64 v[167:168], v[6:7], v[167:168], -v[169:170]
	ds_load_b128 v[6:9], v1 offset:1872
	s_wait_loadcnt_dscnt 0x700
	v_mul_f64_e32 v[169:170], v[6:7], v[16:17]
	v_mul_f64_e32 v[16:17], v[8:9], v[16:17]
	v_add_f64_e32 v[36:37], v[36:37], v[181:182]
	v_add_f64_e32 v[34:35], v[34:35], v[167:168]
	s_wait_loadcnt 0x6
	v_mul_f64_e32 v[167:168], v[2:3], v[20:21]
	v_mul_f64_e32 v[20:21], v[4:5], v[20:21]
	v_fma_f64 v[169:170], v[8:9], v[14:15], v[169:170]
	v_fma_f64 v[14:15], v[6:7], v[14:15], -v[16:17]
	ds_load_b128 v[6:9], v1 offset:1904
	v_add_f64_e32 v[16:17], v[34:35], v[177:178]
	v_add_f64_e32 v[34:35], v[36:37], v[175:176]
	v_fma_f64 v[167:168], v[4:5], v[18:19], v[167:168]
	v_fma_f64 v[18:19], v[2:3], v[18:19], -v[20:21]
	ds_load_b128 v[2:5], v1 offset:1920
	s_wait_loadcnt_dscnt 0x501
	v_mul_f64_e32 v[36:37], v[6:7], v[24:25]
	v_mul_f64_e32 v[24:25], v[8:9], v[24:25]
	s_wait_loadcnt_dscnt 0x400
	v_mul_f64_e32 v[20:21], v[2:3], v[28:29]
	v_mul_f64_e32 v[28:29], v[4:5], v[28:29]
	v_add_f64_e32 v[14:15], v[16:17], v[14:15]
	v_add_f64_e32 v[16:17], v[34:35], v[169:170]
	v_fma_f64 v[34:35], v[8:9], v[22:23], v[36:37]
	v_fma_f64 v[22:23], v[6:7], v[22:23], -v[24:25]
	ds_load_b128 v[6:9], v1 offset:1936
	v_fma_f64 v[20:21], v[4:5], v[26:27], v[20:21]
	v_fma_f64 v[26:27], v[2:3], v[26:27], -v[28:29]
	ds_load_b128 v[2:5], v1 offset:1952
	s_wait_loadcnt_dscnt 0x301
	v_mul_f64_e32 v[24:25], v[8:9], v[32:33]
	v_add_f64_e32 v[14:15], v[14:15], v[18:19]
	v_add_f64_e32 v[16:17], v[16:17], v[167:168]
	v_mul_f64_e32 v[18:19], v[6:7], v[32:33]
	s_wait_loadcnt_dscnt 0x200
	v_mul_f64_e32 v[28:29], v[4:5], v[40:41]
	v_fma_f64 v[24:25], v[6:7], v[30:31], -v[24:25]
	v_add_f64_e32 v[14:15], v[14:15], v[22:23]
	v_add_f64_e32 v[16:17], v[16:17], v[34:35]
	v_mul_f64_e32 v[22:23], v[2:3], v[40:41]
	v_fma_f64 v[18:19], v[8:9], v[30:31], v[18:19]
	ds_load_b128 v[6:9], v1 offset:1968
	v_fma_f64 v[1:2], v[2:3], v[38:39], -v[28:29]
	v_add_f64_e32 v[14:15], v[14:15], v[26:27]
	v_add_f64_e32 v[16:17], v[16:17], v[20:21]
	s_wait_loadcnt_dscnt 0x100
	v_mul_f64_e32 v[20:21], v[6:7], v[173:174]
	v_mul_f64_e32 v[26:27], v[8:9], v[173:174]
	v_fma_f64 v[4:5], v[4:5], v[38:39], v[22:23]
	v_add_f64_e32 v[14:15], v[14:15], v[24:25]
	v_add_f64_e32 v[16:17], v[16:17], v[18:19]
	v_fma_f64 v[8:9], v[8:9], v[171:172], v[20:21]
	v_fma_f64 v[6:7], v[6:7], v[171:172], -v[26:27]
	s_delay_alu instid0(VALU_DEP_4) | instskip(NEXT) | instid1(VALU_DEP_4)
	v_add_f64_e32 v[1:2], v[14:15], v[1:2]
	v_add_f64_e32 v[3:4], v[16:17], v[4:5]
	s_delay_alu instid0(VALU_DEP_2) | instskip(NEXT) | instid1(VALU_DEP_2)
	v_add_f64_e32 v[1:2], v[1:2], v[6:7]
	v_add_f64_e32 v[3:4], v[3:4], v[8:9]
	s_wait_loadcnt 0x0
	s_delay_alu instid0(VALU_DEP_2) | instskip(NEXT) | instid1(VALU_DEP_2)
	v_add_f64_e64 v[1:2], v[10:11], -v[1:2]
	v_add_f64_e64 v[3:4], v[12:13], -v[3:4]
	scratch_store_b128 off, v[1:4], off offset:672
	v_cmpx_lt_u32_e32 40, v0
	s_cbranch_execz .LBB61_317
; %bb.316:
	scratch_load_b128 v[1:4], off, s51
	v_mov_b32_e32 v5, 0
	s_delay_alu instid0(VALU_DEP_1)
	v_dual_mov_b32 v6, v5 :: v_dual_mov_b32 v7, v5
	v_mov_b32_e32 v8, v5
	scratch_store_b128 off, v[5:8], off offset:656
	s_wait_loadcnt 0x0
	ds_store_b128 v166, v[1:4]
.LBB61_317:
	s_wait_alu 0xfffe
	s_or_b32 exec_lo, exec_lo, s0
	s_wait_storecnt_dscnt 0x0
	s_barrier_signal -1
	s_barrier_wait -1
	global_inv scope:SCOPE_SE
	s_clause 0x7
	scratch_load_b128 v[2:5], off, off offset:672
	scratch_load_b128 v[6:9], off, off offset:688
	;; [unrolled: 1-line block ×8, first 2 shown]
	v_mov_b32_e32 v1, 0
	s_clause 0x1
	scratch_load_b128 v[38:41], off, off offset:800
	scratch_load_b128 v[171:174], off, off offset:816
	s_mov_b32 s0, exec_lo
	ds_load_b128 v[34:37], v1 offset:1648
	ds_load_b128 v[167:170], v1 offset:1664
	s_wait_loadcnt_dscnt 0x901
	v_mul_f64_e32 v[175:176], v[36:37], v[4:5]
	v_mul_f64_e32 v[4:5], v[34:35], v[4:5]
	s_wait_loadcnt_dscnt 0x800
	v_mul_f64_e32 v[177:178], v[167:168], v[8:9]
	v_mul_f64_e32 v[8:9], v[169:170], v[8:9]
	s_delay_alu instid0(VALU_DEP_4) | instskip(NEXT) | instid1(VALU_DEP_4)
	v_fma_f64 v[175:176], v[34:35], v[2:3], -v[175:176]
	v_fma_f64 v[179:180], v[36:37], v[2:3], v[4:5]
	ds_load_b128 v[2:5], v1 offset:1680
	scratch_load_b128 v[34:37], off, off offset:832
	v_fma_f64 v[177:178], v[169:170], v[6:7], v[177:178]
	v_fma_f64 v[183:184], v[167:168], v[6:7], -v[8:9]
	ds_load_b128 v[6:9], v1 offset:1696
	scratch_load_b128 v[167:170], off, off offset:848
	s_wait_loadcnt_dscnt 0x901
	v_mul_f64_e32 v[181:182], v[2:3], v[12:13]
	v_mul_f64_e32 v[12:13], v[4:5], v[12:13]
	s_wait_loadcnt_dscnt 0x800
	v_mul_f64_e32 v[185:186], v[6:7], v[16:17]
	v_mul_f64_e32 v[16:17], v[8:9], v[16:17]
	v_add_f64_e32 v[175:176], 0, v[175:176]
	v_add_f64_e32 v[179:180], 0, v[179:180]
	v_fma_f64 v[181:182], v[4:5], v[10:11], v[181:182]
	v_fma_f64 v[187:188], v[2:3], v[10:11], -v[12:13]
	ds_load_b128 v[2:5], v1 offset:1712
	scratch_load_b128 v[10:13], off, off offset:864
	v_add_f64_e32 v[175:176], v[175:176], v[183:184]
	v_add_f64_e32 v[177:178], v[179:180], v[177:178]
	v_fma_f64 v[183:184], v[8:9], v[14:15], v[185:186]
	v_fma_f64 v[185:186], v[6:7], v[14:15], -v[16:17]
	ds_load_b128 v[6:9], v1 offset:1728
	scratch_load_b128 v[14:17], off, off offset:880
	s_wait_loadcnt_dscnt 0x901
	v_mul_f64_e32 v[179:180], v[2:3], v[20:21]
	v_mul_f64_e32 v[20:21], v[4:5], v[20:21]
	v_add_f64_e32 v[175:176], v[175:176], v[187:188]
	v_add_f64_e32 v[177:178], v[177:178], v[181:182]
	s_wait_loadcnt_dscnt 0x800
	v_mul_f64_e32 v[181:182], v[6:7], v[24:25]
	v_mul_f64_e32 v[24:25], v[8:9], v[24:25]
	v_fma_f64 v[179:180], v[4:5], v[18:19], v[179:180]
	v_fma_f64 v[187:188], v[2:3], v[18:19], -v[20:21]
	ds_load_b128 v[2:5], v1 offset:1744
	scratch_load_b128 v[18:21], off, off offset:896
	v_add_f64_e32 v[175:176], v[175:176], v[185:186]
	v_add_f64_e32 v[177:178], v[177:178], v[183:184]
	v_fma_f64 v[181:182], v[8:9], v[22:23], v[181:182]
	v_fma_f64 v[185:186], v[6:7], v[22:23], -v[24:25]
	ds_load_b128 v[6:9], v1 offset:1760
	s_wait_loadcnt_dscnt 0x801
	v_mul_f64_e32 v[183:184], v[2:3], v[28:29]
	v_mul_f64_e32 v[28:29], v[4:5], v[28:29]
	scratch_load_b128 v[22:25], off, off offset:912
	v_add_f64_e32 v[175:176], v[175:176], v[187:188]
	v_add_f64_e32 v[177:178], v[177:178], v[179:180]
	s_wait_loadcnt_dscnt 0x800
	v_mul_f64_e32 v[179:180], v[6:7], v[32:33]
	v_mul_f64_e32 v[32:33], v[8:9], v[32:33]
	v_fma_f64 v[183:184], v[4:5], v[26:27], v[183:184]
	v_fma_f64 v[187:188], v[2:3], v[26:27], -v[28:29]
	ds_load_b128 v[2:5], v1 offset:1776
	scratch_load_b128 v[26:29], off, off offset:928
	v_add_f64_e32 v[175:176], v[175:176], v[185:186]
	v_add_f64_e32 v[177:178], v[177:178], v[181:182]
	v_fma_f64 v[179:180], v[8:9], v[30:31], v[179:180]
	v_fma_f64 v[185:186], v[6:7], v[30:31], -v[32:33]
	ds_load_b128 v[6:9], v1 offset:1792
	s_wait_loadcnt_dscnt 0x801
	v_mul_f64_e32 v[181:182], v[2:3], v[40:41]
	v_mul_f64_e32 v[40:41], v[4:5], v[40:41]
	scratch_load_b128 v[30:33], off, off offset:944
	v_add_f64_e32 v[175:176], v[175:176], v[187:188]
	v_add_f64_e32 v[177:178], v[177:178], v[183:184]
	s_wait_loadcnt_dscnt 0x800
	v_mul_f64_e32 v[183:184], v[6:7], v[173:174]
	v_mul_f64_e32 v[173:174], v[8:9], v[173:174]
	v_fma_f64 v[181:182], v[4:5], v[38:39], v[181:182]
	v_fma_f64 v[187:188], v[2:3], v[38:39], -v[40:41]
	ds_load_b128 v[2:5], v1 offset:1808
	scratch_load_b128 v[38:41], off, off offset:960
	v_add_f64_e32 v[175:176], v[175:176], v[185:186]
	v_add_f64_e32 v[177:178], v[177:178], v[179:180]
	v_fma_f64 v[183:184], v[8:9], v[171:172], v[183:184]
	v_fma_f64 v[185:186], v[6:7], v[171:172], -v[173:174]
	ds_load_b128 v[6:9], v1 offset:1824
	scratch_load_b128 v[171:174], off, off offset:976
	s_wait_loadcnt_dscnt 0x901
	v_mul_f64_e32 v[179:180], v[2:3], v[36:37]
	v_mul_f64_e32 v[36:37], v[4:5], v[36:37]
	v_add_f64_e32 v[175:176], v[175:176], v[187:188]
	v_add_f64_e32 v[177:178], v[177:178], v[181:182]
	s_wait_loadcnt_dscnt 0x800
	v_mul_f64_e32 v[181:182], v[6:7], v[169:170]
	v_mul_f64_e32 v[169:170], v[8:9], v[169:170]
	v_fma_f64 v[179:180], v[4:5], v[34:35], v[179:180]
	v_fma_f64 v[187:188], v[2:3], v[34:35], -v[36:37]
	ds_load_b128 v[2:5], v1 offset:1840
	scratch_load_b128 v[34:37], off, off offset:992
	v_add_f64_e32 v[175:176], v[175:176], v[185:186]
	v_add_f64_e32 v[177:178], v[177:178], v[183:184]
	v_fma_f64 v[181:182], v[8:9], v[167:168], v[181:182]
	v_fma_f64 v[167:168], v[6:7], v[167:168], -v[169:170]
	ds_load_b128 v[6:9], v1 offset:1856
	s_wait_loadcnt_dscnt 0x801
	v_mul_f64_e32 v[183:184], v[2:3], v[12:13]
	v_mul_f64_e32 v[12:13], v[4:5], v[12:13]
	v_add_f64_e32 v[169:170], v[175:176], v[187:188]
	v_add_f64_e32 v[175:176], v[177:178], v[179:180]
	s_wait_loadcnt_dscnt 0x700
	v_mul_f64_e32 v[177:178], v[6:7], v[16:17]
	v_mul_f64_e32 v[16:17], v[8:9], v[16:17]
	v_fma_f64 v[179:180], v[4:5], v[10:11], v[183:184]
	v_fma_f64 v[10:11], v[2:3], v[10:11], -v[12:13]
	ds_load_b128 v[2:5], v1 offset:1872
	v_add_f64_e32 v[12:13], v[169:170], v[167:168]
	v_add_f64_e32 v[167:168], v[175:176], v[181:182]
	v_fma_f64 v[175:176], v[8:9], v[14:15], v[177:178]
	v_fma_f64 v[14:15], v[6:7], v[14:15], -v[16:17]
	ds_load_b128 v[6:9], v1 offset:1888
	s_wait_loadcnt_dscnt 0x500
	v_mul_f64_e32 v[177:178], v[6:7], v[24:25]
	v_mul_f64_e32 v[24:25], v[8:9], v[24:25]
	v_add_f64_e32 v[16:17], v[12:13], v[10:11]
	v_add_f64_e32 v[167:168], v[167:168], v[179:180]
	scratch_load_b128 v[10:13], off, off offset:656
	v_mul_f64_e32 v[169:170], v[2:3], v[20:21]
	v_mul_f64_e32 v[20:21], v[4:5], v[20:21]
	v_add_f64_e32 v[14:15], v[16:17], v[14:15]
	v_add_f64_e32 v[16:17], v[167:168], v[175:176]
	v_fma_f64 v[167:168], v[8:9], v[22:23], v[177:178]
	v_fma_f64 v[169:170], v[4:5], v[18:19], v[169:170]
	v_fma_f64 v[18:19], v[2:3], v[18:19], -v[20:21]
	ds_load_b128 v[2:5], v1 offset:1904
	v_fma_f64 v[22:23], v[6:7], v[22:23], -v[24:25]
	ds_load_b128 v[6:9], v1 offset:1920
	s_wait_loadcnt_dscnt 0x501
	v_mul_f64_e32 v[20:21], v[2:3], v[28:29]
	v_mul_f64_e32 v[28:29], v[4:5], v[28:29]
	s_wait_loadcnt_dscnt 0x400
	v_mul_f64_e32 v[24:25], v[8:9], v[32:33]
	v_add_f64_e32 v[16:17], v[16:17], v[169:170]
	v_add_f64_e32 v[14:15], v[14:15], v[18:19]
	v_mul_f64_e32 v[18:19], v[6:7], v[32:33]
	v_fma_f64 v[20:21], v[4:5], v[26:27], v[20:21]
	v_fma_f64 v[26:27], v[2:3], v[26:27], -v[28:29]
	ds_load_b128 v[2:5], v1 offset:1936
	v_fma_f64 v[24:25], v[6:7], v[30:31], -v[24:25]
	v_add_f64_e32 v[16:17], v[16:17], v[167:168]
	v_add_f64_e32 v[14:15], v[14:15], v[22:23]
	v_fma_f64 v[18:19], v[8:9], v[30:31], v[18:19]
	ds_load_b128 v[6:9], v1 offset:1952
	s_wait_loadcnt_dscnt 0x301
	v_mul_f64_e32 v[22:23], v[2:3], v[40:41]
	v_mul_f64_e32 v[28:29], v[4:5], v[40:41]
	v_add_f64_e32 v[16:17], v[16:17], v[20:21]
	v_add_f64_e32 v[14:15], v[14:15], v[26:27]
	s_wait_loadcnt_dscnt 0x200
	v_mul_f64_e32 v[20:21], v[6:7], v[173:174]
	v_mul_f64_e32 v[26:27], v[8:9], v[173:174]
	v_fma_f64 v[22:23], v[4:5], v[38:39], v[22:23]
	v_fma_f64 v[28:29], v[2:3], v[38:39], -v[28:29]
	ds_load_b128 v[2:5], v1 offset:1968
	v_add_f64_e32 v[16:17], v[16:17], v[18:19]
	v_add_f64_e32 v[14:15], v[14:15], v[24:25]
	s_wait_loadcnt_dscnt 0x100
	v_mul_f64_e32 v[18:19], v[2:3], v[36:37]
	v_mul_f64_e32 v[24:25], v[4:5], v[36:37]
	v_fma_f64 v[8:9], v[8:9], v[171:172], v[20:21]
	v_fma_f64 v[6:7], v[6:7], v[171:172], -v[26:27]
	v_add_f64_e32 v[16:17], v[16:17], v[22:23]
	v_add_f64_e32 v[14:15], v[14:15], v[28:29]
	v_fma_f64 v[4:5], v[4:5], v[34:35], v[18:19]
	v_fma_f64 v[2:3], v[2:3], v[34:35], -v[24:25]
	s_delay_alu instid0(VALU_DEP_4) | instskip(NEXT) | instid1(VALU_DEP_4)
	v_add_f64_e32 v[8:9], v[16:17], v[8:9]
	v_add_f64_e32 v[6:7], v[14:15], v[6:7]
	s_delay_alu instid0(VALU_DEP_2) | instskip(NEXT) | instid1(VALU_DEP_2)
	v_add_f64_e32 v[4:5], v[8:9], v[4:5]
	v_add_f64_e32 v[2:3], v[6:7], v[2:3]
	s_wait_loadcnt 0x0
	s_delay_alu instid0(VALU_DEP_2) | instskip(NEXT) | instid1(VALU_DEP_2)
	v_add_f64_e64 v[4:5], v[12:13], -v[4:5]
	v_add_f64_e64 v[2:3], v[10:11], -v[2:3]
	scratch_store_b128 off, v[2:5], off offset:656
	v_cmpx_lt_u32_e32 39, v0
	s_cbranch_execz .LBB61_319
; %bb.318:
	scratch_load_b128 v[5:8], off, s4
	v_dual_mov_b32 v2, v1 :: v_dual_mov_b32 v3, v1
	v_mov_b32_e32 v4, v1
	scratch_store_b128 off, v[1:4], off offset:640
	s_wait_loadcnt 0x0
	ds_store_b128 v166, v[5:8]
.LBB61_319:
	s_wait_alu 0xfffe
	s_or_b32 exec_lo, exec_lo, s0
	s_wait_storecnt_dscnt 0x0
	s_barrier_signal -1
	s_barrier_wait -1
	global_inv scope:SCOPE_SE
	s_clause 0x7
	scratch_load_b128 v[2:5], off, off offset:656
	scratch_load_b128 v[6:9], off, off offset:672
	;; [unrolled: 1-line block ×8, first 2 shown]
	ds_load_b128 v[34:37], v1 offset:1632
	ds_load_b128 v[167:170], v1 offset:1648
	s_clause 0x1
	scratch_load_b128 v[38:41], off, off offset:784
	scratch_load_b128 v[171:174], off, off offset:800
	s_mov_b32 s0, exec_lo
	s_wait_loadcnt_dscnt 0x901
	v_mul_f64_e32 v[175:176], v[36:37], v[4:5]
	v_mul_f64_e32 v[4:5], v[34:35], v[4:5]
	s_wait_loadcnt_dscnt 0x800
	v_mul_f64_e32 v[177:178], v[167:168], v[8:9]
	v_mul_f64_e32 v[8:9], v[169:170], v[8:9]
	s_delay_alu instid0(VALU_DEP_4) | instskip(NEXT) | instid1(VALU_DEP_4)
	v_fma_f64 v[175:176], v[34:35], v[2:3], -v[175:176]
	v_fma_f64 v[179:180], v[36:37], v[2:3], v[4:5]
	ds_load_b128 v[2:5], v1 offset:1664
	scratch_load_b128 v[34:37], off, off offset:816
	v_fma_f64 v[177:178], v[169:170], v[6:7], v[177:178]
	v_fma_f64 v[183:184], v[167:168], v[6:7], -v[8:9]
	ds_load_b128 v[6:9], v1 offset:1680
	scratch_load_b128 v[167:170], off, off offset:832
	s_wait_loadcnt_dscnt 0x901
	v_mul_f64_e32 v[181:182], v[2:3], v[12:13]
	v_mul_f64_e32 v[12:13], v[4:5], v[12:13]
	s_wait_loadcnt_dscnt 0x800
	v_mul_f64_e32 v[185:186], v[6:7], v[16:17]
	v_mul_f64_e32 v[16:17], v[8:9], v[16:17]
	v_add_f64_e32 v[175:176], 0, v[175:176]
	v_add_f64_e32 v[179:180], 0, v[179:180]
	v_fma_f64 v[181:182], v[4:5], v[10:11], v[181:182]
	v_fma_f64 v[187:188], v[2:3], v[10:11], -v[12:13]
	ds_load_b128 v[2:5], v1 offset:1696
	scratch_load_b128 v[10:13], off, off offset:848
	v_add_f64_e32 v[175:176], v[175:176], v[183:184]
	v_add_f64_e32 v[177:178], v[179:180], v[177:178]
	v_fma_f64 v[183:184], v[8:9], v[14:15], v[185:186]
	v_fma_f64 v[185:186], v[6:7], v[14:15], -v[16:17]
	ds_load_b128 v[6:9], v1 offset:1712
	scratch_load_b128 v[14:17], off, off offset:864
	s_wait_loadcnt_dscnt 0x901
	v_mul_f64_e32 v[179:180], v[2:3], v[20:21]
	v_mul_f64_e32 v[20:21], v[4:5], v[20:21]
	v_add_f64_e32 v[175:176], v[175:176], v[187:188]
	v_add_f64_e32 v[177:178], v[177:178], v[181:182]
	s_wait_loadcnt_dscnt 0x800
	v_mul_f64_e32 v[181:182], v[6:7], v[24:25]
	v_mul_f64_e32 v[24:25], v[8:9], v[24:25]
	v_fma_f64 v[179:180], v[4:5], v[18:19], v[179:180]
	v_fma_f64 v[187:188], v[2:3], v[18:19], -v[20:21]
	ds_load_b128 v[2:5], v1 offset:1728
	scratch_load_b128 v[18:21], off, off offset:880
	v_add_f64_e32 v[175:176], v[175:176], v[185:186]
	v_add_f64_e32 v[177:178], v[177:178], v[183:184]
	v_fma_f64 v[181:182], v[8:9], v[22:23], v[181:182]
	v_fma_f64 v[185:186], v[6:7], v[22:23], -v[24:25]
	ds_load_b128 v[6:9], v1 offset:1744
	s_wait_loadcnt_dscnt 0x801
	v_mul_f64_e32 v[183:184], v[2:3], v[28:29]
	v_mul_f64_e32 v[28:29], v[4:5], v[28:29]
	scratch_load_b128 v[22:25], off, off offset:896
	v_add_f64_e32 v[175:176], v[175:176], v[187:188]
	v_add_f64_e32 v[177:178], v[177:178], v[179:180]
	s_wait_loadcnt_dscnt 0x800
	v_mul_f64_e32 v[179:180], v[6:7], v[32:33]
	v_mul_f64_e32 v[32:33], v[8:9], v[32:33]
	v_fma_f64 v[183:184], v[4:5], v[26:27], v[183:184]
	v_fma_f64 v[187:188], v[2:3], v[26:27], -v[28:29]
	ds_load_b128 v[2:5], v1 offset:1760
	scratch_load_b128 v[26:29], off, off offset:912
	v_add_f64_e32 v[175:176], v[175:176], v[185:186]
	v_add_f64_e32 v[177:178], v[177:178], v[181:182]
	v_fma_f64 v[179:180], v[8:9], v[30:31], v[179:180]
	v_fma_f64 v[185:186], v[6:7], v[30:31], -v[32:33]
	ds_load_b128 v[6:9], v1 offset:1776
	s_wait_loadcnt_dscnt 0x801
	v_mul_f64_e32 v[181:182], v[2:3], v[40:41]
	v_mul_f64_e32 v[40:41], v[4:5], v[40:41]
	scratch_load_b128 v[30:33], off, off offset:928
	v_add_f64_e32 v[175:176], v[175:176], v[187:188]
	v_add_f64_e32 v[177:178], v[177:178], v[183:184]
	s_wait_loadcnt_dscnt 0x800
	v_mul_f64_e32 v[183:184], v[6:7], v[173:174]
	v_mul_f64_e32 v[173:174], v[8:9], v[173:174]
	v_fma_f64 v[181:182], v[4:5], v[38:39], v[181:182]
	v_fma_f64 v[187:188], v[2:3], v[38:39], -v[40:41]
	ds_load_b128 v[2:5], v1 offset:1792
	scratch_load_b128 v[38:41], off, off offset:944
	v_add_f64_e32 v[175:176], v[175:176], v[185:186]
	v_add_f64_e32 v[177:178], v[177:178], v[179:180]
	v_fma_f64 v[183:184], v[8:9], v[171:172], v[183:184]
	v_fma_f64 v[185:186], v[6:7], v[171:172], -v[173:174]
	ds_load_b128 v[6:9], v1 offset:1808
	scratch_load_b128 v[171:174], off, off offset:960
	s_wait_loadcnt_dscnt 0x901
	v_mul_f64_e32 v[179:180], v[2:3], v[36:37]
	v_mul_f64_e32 v[36:37], v[4:5], v[36:37]
	v_add_f64_e32 v[175:176], v[175:176], v[187:188]
	v_add_f64_e32 v[177:178], v[177:178], v[181:182]
	s_wait_loadcnt_dscnt 0x800
	v_mul_f64_e32 v[181:182], v[6:7], v[169:170]
	v_mul_f64_e32 v[169:170], v[8:9], v[169:170]
	v_fma_f64 v[179:180], v[4:5], v[34:35], v[179:180]
	v_fma_f64 v[187:188], v[2:3], v[34:35], -v[36:37]
	ds_load_b128 v[2:5], v1 offset:1824
	scratch_load_b128 v[34:37], off, off offset:976
	v_add_f64_e32 v[175:176], v[175:176], v[185:186]
	v_add_f64_e32 v[177:178], v[177:178], v[183:184]
	v_fma_f64 v[181:182], v[8:9], v[167:168], v[181:182]
	v_fma_f64 v[185:186], v[6:7], v[167:168], -v[169:170]
	ds_load_b128 v[6:9], v1 offset:1840
	s_wait_loadcnt_dscnt 0x801
	v_mul_f64_e32 v[183:184], v[2:3], v[12:13]
	v_mul_f64_e32 v[12:13], v[4:5], v[12:13]
	scratch_load_b128 v[167:170], off, off offset:992
	v_add_f64_e32 v[175:176], v[175:176], v[187:188]
	v_add_f64_e32 v[177:178], v[177:178], v[179:180]
	s_wait_loadcnt_dscnt 0x800
	v_mul_f64_e32 v[179:180], v[6:7], v[16:17]
	v_mul_f64_e32 v[16:17], v[8:9], v[16:17]
	v_fma_f64 v[183:184], v[4:5], v[10:11], v[183:184]
	v_fma_f64 v[10:11], v[2:3], v[10:11], -v[12:13]
	ds_load_b128 v[2:5], v1 offset:1856
	v_add_f64_e32 v[12:13], v[175:176], v[185:186]
	v_add_f64_e32 v[175:176], v[177:178], v[181:182]
	v_fma_f64 v[179:180], v[8:9], v[14:15], v[179:180]
	v_fma_f64 v[14:15], v[6:7], v[14:15], -v[16:17]
	ds_load_b128 v[6:9], v1 offset:1872
	s_wait_loadcnt_dscnt 0x701
	v_mul_f64_e32 v[177:178], v[2:3], v[20:21]
	v_mul_f64_e32 v[20:21], v[4:5], v[20:21]
	v_add_f64_e32 v[10:11], v[12:13], v[10:11]
	v_add_f64_e32 v[12:13], v[175:176], v[183:184]
	s_delay_alu instid0(VALU_DEP_4) | instskip(NEXT) | instid1(VALU_DEP_4)
	v_fma_f64 v[175:176], v[4:5], v[18:19], v[177:178]
	v_fma_f64 v[18:19], v[2:3], v[18:19], -v[20:21]
	ds_load_b128 v[2:5], v1 offset:1888
	v_add_f64_e32 v[14:15], v[10:11], v[14:15]
	v_add_f64_e32 v[20:21], v[12:13], v[179:180]
	scratch_load_b128 v[10:13], off, off offset:640
	s_wait_loadcnt_dscnt 0x701
	v_mul_f64_e32 v[16:17], v[6:7], v[24:25]
	v_mul_f64_e32 v[24:25], v[8:9], v[24:25]
	v_add_f64_e32 v[14:15], v[14:15], v[18:19]
	v_add_f64_e32 v[18:19], v[20:21], v[175:176]
	s_delay_alu instid0(VALU_DEP_4) | instskip(NEXT) | instid1(VALU_DEP_4)
	v_fma_f64 v[16:17], v[8:9], v[22:23], v[16:17]
	v_fma_f64 v[22:23], v[6:7], v[22:23], -v[24:25]
	ds_load_b128 v[6:9], v1 offset:1904
	s_wait_loadcnt_dscnt 0x601
	v_mul_f64_e32 v[177:178], v[2:3], v[28:29]
	v_mul_f64_e32 v[28:29], v[4:5], v[28:29]
	s_wait_loadcnt_dscnt 0x500
	v_mul_f64_e32 v[20:21], v[6:7], v[32:33]
	v_mul_f64_e32 v[24:25], v[8:9], v[32:33]
	v_add_f64_e32 v[16:17], v[18:19], v[16:17]
	v_add_f64_e32 v[14:15], v[14:15], v[22:23]
	v_fma_f64 v[32:33], v[4:5], v[26:27], v[177:178]
	v_fma_f64 v[26:27], v[2:3], v[26:27], -v[28:29]
	ds_load_b128 v[2:5], v1 offset:1920
	v_fma_f64 v[20:21], v[8:9], v[30:31], v[20:21]
	v_fma_f64 v[24:25], v[6:7], v[30:31], -v[24:25]
	ds_load_b128 v[6:9], v1 offset:1936
	s_wait_loadcnt_dscnt 0x401
	v_mul_f64_e32 v[18:19], v[2:3], v[40:41]
	v_mul_f64_e32 v[22:23], v[4:5], v[40:41]
	v_add_f64_e32 v[16:17], v[16:17], v[32:33]
	v_add_f64_e32 v[14:15], v[14:15], v[26:27]
	s_wait_loadcnt_dscnt 0x300
	v_mul_f64_e32 v[26:27], v[6:7], v[173:174]
	v_mul_f64_e32 v[28:29], v[8:9], v[173:174]
	v_fma_f64 v[18:19], v[4:5], v[38:39], v[18:19]
	v_fma_f64 v[22:23], v[2:3], v[38:39], -v[22:23]
	ds_load_b128 v[2:5], v1 offset:1952
	v_add_f64_e32 v[16:17], v[16:17], v[20:21]
	v_add_f64_e32 v[14:15], v[14:15], v[24:25]
	v_fma_f64 v[26:27], v[8:9], v[171:172], v[26:27]
	v_fma_f64 v[28:29], v[6:7], v[171:172], -v[28:29]
	ds_load_b128 v[6:9], v1 offset:1968
	s_wait_loadcnt_dscnt 0x201
	v_mul_f64_e32 v[20:21], v[2:3], v[36:37]
	v_mul_f64_e32 v[24:25], v[4:5], v[36:37]
	v_add_f64_e32 v[16:17], v[16:17], v[18:19]
	v_add_f64_e32 v[14:15], v[14:15], v[22:23]
	s_wait_loadcnt_dscnt 0x100
	v_mul_f64_e32 v[18:19], v[6:7], v[169:170]
	v_mul_f64_e32 v[22:23], v[8:9], v[169:170]
	v_fma_f64 v[4:5], v[4:5], v[34:35], v[20:21]
	v_fma_f64 v[1:2], v[2:3], v[34:35], -v[24:25]
	v_add_f64_e32 v[16:17], v[16:17], v[26:27]
	v_add_f64_e32 v[14:15], v[14:15], v[28:29]
	v_fma_f64 v[8:9], v[8:9], v[167:168], v[18:19]
	v_fma_f64 v[6:7], v[6:7], v[167:168], -v[22:23]
	s_delay_alu instid0(VALU_DEP_4) | instskip(NEXT) | instid1(VALU_DEP_4)
	v_add_f64_e32 v[3:4], v[16:17], v[4:5]
	v_add_f64_e32 v[1:2], v[14:15], v[1:2]
	s_delay_alu instid0(VALU_DEP_2) | instskip(NEXT) | instid1(VALU_DEP_2)
	v_add_f64_e32 v[3:4], v[3:4], v[8:9]
	v_add_f64_e32 v[1:2], v[1:2], v[6:7]
	s_wait_loadcnt 0x0
	s_delay_alu instid0(VALU_DEP_2) | instskip(NEXT) | instid1(VALU_DEP_2)
	v_add_f64_e64 v[3:4], v[12:13], -v[3:4]
	v_add_f64_e64 v[1:2], v[10:11], -v[1:2]
	scratch_store_b128 off, v[1:4], off offset:640
	v_cmpx_lt_u32_e32 38, v0
	s_cbranch_execz .LBB61_321
; %bb.320:
	scratch_load_b128 v[1:4], off, s8
	v_mov_b32_e32 v5, 0
	s_delay_alu instid0(VALU_DEP_1)
	v_dual_mov_b32 v6, v5 :: v_dual_mov_b32 v7, v5
	v_mov_b32_e32 v8, v5
	scratch_store_b128 off, v[5:8], off offset:624
	s_wait_loadcnt 0x0
	ds_store_b128 v166, v[1:4]
.LBB61_321:
	s_wait_alu 0xfffe
	s_or_b32 exec_lo, exec_lo, s0
	s_wait_storecnt_dscnt 0x0
	s_barrier_signal -1
	s_barrier_wait -1
	global_inv scope:SCOPE_SE
	s_clause 0x7
	scratch_load_b128 v[2:5], off, off offset:640
	scratch_load_b128 v[6:9], off, off offset:656
	;; [unrolled: 1-line block ×8, first 2 shown]
	v_mov_b32_e32 v1, 0
	s_clause 0x1
	scratch_load_b128 v[38:41], off, off offset:768
	scratch_load_b128 v[171:174], off, off offset:784
	s_mov_b32 s0, exec_lo
	ds_load_b128 v[34:37], v1 offset:1616
	ds_load_b128 v[167:170], v1 offset:1632
	s_wait_loadcnt_dscnt 0x901
	v_mul_f64_e32 v[175:176], v[36:37], v[4:5]
	v_mul_f64_e32 v[4:5], v[34:35], v[4:5]
	s_wait_loadcnt_dscnt 0x800
	v_mul_f64_e32 v[177:178], v[167:168], v[8:9]
	v_mul_f64_e32 v[8:9], v[169:170], v[8:9]
	s_delay_alu instid0(VALU_DEP_4) | instskip(NEXT) | instid1(VALU_DEP_4)
	v_fma_f64 v[175:176], v[34:35], v[2:3], -v[175:176]
	v_fma_f64 v[179:180], v[36:37], v[2:3], v[4:5]
	ds_load_b128 v[2:5], v1 offset:1648
	scratch_load_b128 v[34:37], off, off offset:800
	v_fma_f64 v[177:178], v[169:170], v[6:7], v[177:178]
	v_fma_f64 v[183:184], v[167:168], v[6:7], -v[8:9]
	ds_load_b128 v[6:9], v1 offset:1664
	scratch_load_b128 v[167:170], off, off offset:816
	s_wait_loadcnt_dscnt 0x901
	v_mul_f64_e32 v[181:182], v[2:3], v[12:13]
	v_mul_f64_e32 v[12:13], v[4:5], v[12:13]
	s_wait_loadcnt_dscnt 0x800
	v_mul_f64_e32 v[185:186], v[6:7], v[16:17]
	v_mul_f64_e32 v[16:17], v[8:9], v[16:17]
	v_add_f64_e32 v[175:176], 0, v[175:176]
	v_add_f64_e32 v[179:180], 0, v[179:180]
	v_fma_f64 v[181:182], v[4:5], v[10:11], v[181:182]
	v_fma_f64 v[187:188], v[2:3], v[10:11], -v[12:13]
	ds_load_b128 v[2:5], v1 offset:1680
	scratch_load_b128 v[10:13], off, off offset:832
	v_add_f64_e32 v[175:176], v[175:176], v[183:184]
	v_add_f64_e32 v[177:178], v[179:180], v[177:178]
	v_fma_f64 v[183:184], v[8:9], v[14:15], v[185:186]
	v_fma_f64 v[185:186], v[6:7], v[14:15], -v[16:17]
	ds_load_b128 v[6:9], v1 offset:1696
	scratch_load_b128 v[14:17], off, off offset:848
	s_wait_loadcnt_dscnt 0x901
	v_mul_f64_e32 v[179:180], v[2:3], v[20:21]
	v_mul_f64_e32 v[20:21], v[4:5], v[20:21]
	v_add_f64_e32 v[175:176], v[175:176], v[187:188]
	v_add_f64_e32 v[177:178], v[177:178], v[181:182]
	s_wait_loadcnt_dscnt 0x800
	v_mul_f64_e32 v[181:182], v[6:7], v[24:25]
	v_mul_f64_e32 v[24:25], v[8:9], v[24:25]
	v_fma_f64 v[179:180], v[4:5], v[18:19], v[179:180]
	v_fma_f64 v[187:188], v[2:3], v[18:19], -v[20:21]
	ds_load_b128 v[2:5], v1 offset:1712
	scratch_load_b128 v[18:21], off, off offset:864
	v_add_f64_e32 v[175:176], v[175:176], v[185:186]
	v_add_f64_e32 v[177:178], v[177:178], v[183:184]
	v_fma_f64 v[181:182], v[8:9], v[22:23], v[181:182]
	v_fma_f64 v[185:186], v[6:7], v[22:23], -v[24:25]
	ds_load_b128 v[6:9], v1 offset:1728
	s_wait_loadcnt_dscnt 0x801
	v_mul_f64_e32 v[183:184], v[2:3], v[28:29]
	v_mul_f64_e32 v[28:29], v[4:5], v[28:29]
	scratch_load_b128 v[22:25], off, off offset:880
	v_add_f64_e32 v[175:176], v[175:176], v[187:188]
	v_add_f64_e32 v[177:178], v[177:178], v[179:180]
	s_wait_loadcnt_dscnt 0x800
	v_mul_f64_e32 v[179:180], v[6:7], v[32:33]
	v_mul_f64_e32 v[32:33], v[8:9], v[32:33]
	v_fma_f64 v[183:184], v[4:5], v[26:27], v[183:184]
	v_fma_f64 v[187:188], v[2:3], v[26:27], -v[28:29]
	ds_load_b128 v[2:5], v1 offset:1744
	scratch_load_b128 v[26:29], off, off offset:896
	v_add_f64_e32 v[175:176], v[175:176], v[185:186]
	v_add_f64_e32 v[177:178], v[177:178], v[181:182]
	v_fma_f64 v[179:180], v[8:9], v[30:31], v[179:180]
	v_fma_f64 v[185:186], v[6:7], v[30:31], -v[32:33]
	ds_load_b128 v[6:9], v1 offset:1760
	s_wait_loadcnt_dscnt 0x801
	v_mul_f64_e32 v[181:182], v[2:3], v[40:41]
	v_mul_f64_e32 v[40:41], v[4:5], v[40:41]
	scratch_load_b128 v[30:33], off, off offset:912
	v_add_f64_e32 v[175:176], v[175:176], v[187:188]
	v_add_f64_e32 v[177:178], v[177:178], v[183:184]
	s_wait_loadcnt_dscnt 0x800
	v_mul_f64_e32 v[183:184], v[6:7], v[173:174]
	v_mul_f64_e32 v[173:174], v[8:9], v[173:174]
	v_fma_f64 v[181:182], v[4:5], v[38:39], v[181:182]
	v_fma_f64 v[187:188], v[2:3], v[38:39], -v[40:41]
	ds_load_b128 v[2:5], v1 offset:1776
	scratch_load_b128 v[38:41], off, off offset:928
	v_add_f64_e32 v[175:176], v[175:176], v[185:186]
	v_add_f64_e32 v[177:178], v[177:178], v[179:180]
	v_fma_f64 v[183:184], v[8:9], v[171:172], v[183:184]
	v_fma_f64 v[185:186], v[6:7], v[171:172], -v[173:174]
	ds_load_b128 v[6:9], v1 offset:1792
	scratch_load_b128 v[171:174], off, off offset:944
	s_wait_loadcnt_dscnt 0x901
	v_mul_f64_e32 v[179:180], v[2:3], v[36:37]
	v_mul_f64_e32 v[36:37], v[4:5], v[36:37]
	v_add_f64_e32 v[175:176], v[175:176], v[187:188]
	v_add_f64_e32 v[177:178], v[177:178], v[181:182]
	s_wait_loadcnt_dscnt 0x800
	v_mul_f64_e32 v[181:182], v[6:7], v[169:170]
	v_mul_f64_e32 v[169:170], v[8:9], v[169:170]
	v_fma_f64 v[179:180], v[4:5], v[34:35], v[179:180]
	v_fma_f64 v[187:188], v[2:3], v[34:35], -v[36:37]
	ds_load_b128 v[2:5], v1 offset:1808
	scratch_load_b128 v[34:37], off, off offset:960
	v_add_f64_e32 v[175:176], v[175:176], v[185:186]
	v_add_f64_e32 v[177:178], v[177:178], v[183:184]
	v_fma_f64 v[181:182], v[8:9], v[167:168], v[181:182]
	v_fma_f64 v[185:186], v[6:7], v[167:168], -v[169:170]
	ds_load_b128 v[6:9], v1 offset:1824
	s_wait_loadcnt_dscnt 0x801
	v_mul_f64_e32 v[183:184], v[2:3], v[12:13]
	v_mul_f64_e32 v[12:13], v[4:5], v[12:13]
	scratch_load_b128 v[167:170], off, off offset:976
	v_add_f64_e32 v[175:176], v[175:176], v[187:188]
	v_add_f64_e32 v[177:178], v[177:178], v[179:180]
	s_wait_loadcnt_dscnt 0x800
	v_mul_f64_e32 v[179:180], v[6:7], v[16:17]
	v_mul_f64_e32 v[16:17], v[8:9], v[16:17]
	v_fma_f64 v[183:184], v[4:5], v[10:11], v[183:184]
	v_fma_f64 v[187:188], v[2:3], v[10:11], -v[12:13]
	ds_load_b128 v[2:5], v1 offset:1840
	scratch_load_b128 v[10:13], off, off offset:992
	v_add_f64_e32 v[175:176], v[175:176], v[185:186]
	v_add_f64_e32 v[177:178], v[177:178], v[181:182]
	v_fma_f64 v[179:180], v[8:9], v[14:15], v[179:180]
	v_fma_f64 v[14:15], v[6:7], v[14:15], -v[16:17]
	ds_load_b128 v[6:9], v1 offset:1856
	s_wait_loadcnt_dscnt 0x801
	v_mul_f64_e32 v[181:182], v[2:3], v[20:21]
	v_mul_f64_e32 v[20:21], v[4:5], v[20:21]
	v_add_f64_e32 v[16:17], v[175:176], v[187:188]
	v_add_f64_e32 v[175:176], v[177:178], v[183:184]
	s_wait_loadcnt_dscnt 0x700
	v_mul_f64_e32 v[177:178], v[6:7], v[24:25]
	v_mul_f64_e32 v[24:25], v[8:9], v[24:25]
	v_fma_f64 v[181:182], v[4:5], v[18:19], v[181:182]
	v_fma_f64 v[18:19], v[2:3], v[18:19], -v[20:21]
	ds_load_b128 v[2:5], v1 offset:1872
	v_add_f64_e32 v[14:15], v[16:17], v[14:15]
	v_add_f64_e32 v[16:17], v[175:176], v[179:180]
	v_fma_f64 v[175:176], v[8:9], v[22:23], v[177:178]
	v_fma_f64 v[22:23], v[6:7], v[22:23], -v[24:25]
	ds_load_b128 v[6:9], v1 offset:1888
	s_wait_loadcnt_dscnt 0x500
	v_mul_f64_e32 v[177:178], v[6:7], v[32:33]
	v_mul_f64_e32 v[32:33], v[8:9], v[32:33]
	v_add_f64_e32 v[18:19], v[14:15], v[18:19]
	v_add_f64_e32 v[24:25], v[16:17], v[181:182]
	scratch_load_b128 v[14:17], off, off offset:624
	v_mul_f64_e32 v[20:21], v[2:3], v[28:29]
	v_mul_f64_e32 v[28:29], v[4:5], v[28:29]
	v_add_f64_e32 v[18:19], v[18:19], v[22:23]
	v_add_f64_e32 v[22:23], v[24:25], v[175:176]
	s_delay_alu instid0(VALU_DEP_4) | instskip(NEXT) | instid1(VALU_DEP_4)
	v_fma_f64 v[20:21], v[4:5], v[26:27], v[20:21]
	v_fma_f64 v[26:27], v[2:3], v[26:27], -v[28:29]
	ds_load_b128 v[2:5], v1 offset:1904
	s_wait_loadcnt_dscnt 0x500
	v_mul_f64_e32 v[24:25], v[2:3], v[40:41]
	v_mul_f64_e32 v[28:29], v[4:5], v[40:41]
	v_fma_f64 v[40:41], v[8:9], v[30:31], v[177:178]
	v_fma_f64 v[30:31], v[6:7], v[30:31], -v[32:33]
	ds_load_b128 v[6:9], v1 offset:1920
	v_add_f64_e32 v[20:21], v[22:23], v[20:21]
	v_add_f64_e32 v[18:19], v[18:19], v[26:27]
	v_fma_f64 v[24:25], v[4:5], v[38:39], v[24:25]
	v_fma_f64 v[28:29], v[2:3], v[38:39], -v[28:29]
	ds_load_b128 v[2:5], v1 offset:1936
	s_wait_loadcnt_dscnt 0x401
	v_mul_f64_e32 v[22:23], v[6:7], v[173:174]
	v_mul_f64_e32 v[26:27], v[8:9], v[173:174]
	v_add_f64_e32 v[20:21], v[20:21], v[40:41]
	v_add_f64_e32 v[18:19], v[18:19], v[30:31]
	s_wait_loadcnt_dscnt 0x300
	v_mul_f64_e32 v[30:31], v[2:3], v[36:37]
	v_mul_f64_e32 v[32:33], v[4:5], v[36:37]
	v_fma_f64 v[22:23], v[8:9], v[171:172], v[22:23]
	v_fma_f64 v[26:27], v[6:7], v[171:172], -v[26:27]
	ds_load_b128 v[6:9], v1 offset:1952
	v_add_f64_e32 v[20:21], v[20:21], v[24:25]
	v_add_f64_e32 v[18:19], v[18:19], v[28:29]
	v_fma_f64 v[30:31], v[4:5], v[34:35], v[30:31]
	v_fma_f64 v[32:33], v[2:3], v[34:35], -v[32:33]
	ds_load_b128 v[2:5], v1 offset:1968
	s_wait_loadcnt_dscnt 0x201
	v_mul_f64_e32 v[24:25], v[6:7], v[169:170]
	v_mul_f64_e32 v[28:29], v[8:9], v[169:170]
	v_add_f64_e32 v[20:21], v[20:21], v[22:23]
	v_add_f64_e32 v[18:19], v[18:19], v[26:27]
	s_wait_loadcnt_dscnt 0x100
	v_mul_f64_e32 v[22:23], v[2:3], v[12:13]
	v_mul_f64_e32 v[12:13], v[4:5], v[12:13]
	v_fma_f64 v[8:9], v[8:9], v[167:168], v[24:25]
	v_fma_f64 v[6:7], v[6:7], v[167:168], -v[28:29]
	v_add_f64_e32 v[20:21], v[20:21], v[30:31]
	v_add_f64_e32 v[18:19], v[18:19], v[32:33]
	v_fma_f64 v[4:5], v[4:5], v[10:11], v[22:23]
	v_fma_f64 v[2:3], v[2:3], v[10:11], -v[12:13]
	s_delay_alu instid0(VALU_DEP_4) | instskip(NEXT) | instid1(VALU_DEP_4)
	v_add_f64_e32 v[8:9], v[20:21], v[8:9]
	v_add_f64_e32 v[6:7], v[18:19], v[6:7]
	s_delay_alu instid0(VALU_DEP_2) | instskip(NEXT) | instid1(VALU_DEP_2)
	v_add_f64_e32 v[4:5], v[8:9], v[4:5]
	v_add_f64_e32 v[2:3], v[6:7], v[2:3]
	s_wait_loadcnt 0x0
	s_delay_alu instid0(VALU_DEP_2) | instskip(NEXT) | instid1(VALU_DEP_2)
	v_add_f64_e64 v[4:5], v[16:17], -v[4:5]
	v_add_f64_e64 v[2:3], v[14:15], -v[2:3]
	scratch_store_b128 off, v[2:5], off offset:624
	v_cmpx_lt_u32_e32 37, v0
	s_cbranch_execz .LBB61_323
; %bb.322:
	scratch_load_b128 v[5:8], off, s5
	v_dual_mov_b32 v2, v1 :: v_dual_mov_b32 v3, v1
	v_mov_b32_e32 v4, v1
	scratch_store_b128 off, v[1:4], off offset:608
	s_wait_loadcnt 0x0
	ds_store_b128 v166, v[5:8]
.LBB61_323:
	s_wait_alu 0xfffe
	s_or_b32 exec_lo, exec_lo, s0
	s_wait_storecnt_dscnt 0x0
	s_barrier_signal -1
	s_barrier_wait -1
	global_inv scope:SCOPE_SE
	s_clause 0x7
	scratch_load_b128 v[2:5], off, off offset:624
	scratch_load_b128 v[6:9], off, off offset:640
	;; [unrolled: 1-line block ×8, first 2 shown]
	ds_load_b128 v[34:37], v1 offset:1600
	ds_load_b128 v[167:170], v1 offset:1616
	s_clause 0x1
	scratch_load_b128 v[38:41], off, off offset:752
	scratch_load_b128 v[171:174], off, off offset:768
	s_mov_b32 s0, exec_lo
	s_wait_loadcnt_dscnt 0x901
	v_mul_f64_e32 v[175:176], v[36:37], v[4:5]
	v_mul_f64_e32 v[4:5], v[34:35], v[4:5]
	s_wait_loadcnt_dscnt 0x800
	v_mul_f64_e32 v[177:178], v[167:168], v[8:9]
	v_mul_f64_e32 v[8:9], v[169:170], v[8:9]
	s_delay_alu instid0(VALU_DEP_4) | instskip(NEXT) | instid1(VALU_DEP_4)
	v_fma_f64 v[175:176], v[34:35], v[2:3], -v[175:176]
	v_fma_f64 v[179:180], v[36:37], v[2:3], v[4:5]
	ds_load_b128 v[2:5], v1 offset:1632
	scratch_load_b128 v[34:37], off, off offset:784
	v_fma_f64 v[177:178], v[169:170], v[6:7], v[177:178]
	v_fma_f64 v[183:184], v[167:168], v[6:7], -v[8:9]
	ds_load_b128 v[6:9], v1 offset:1648
	scratch_load_b128 v[167:170], off, off offset:800
	s_wait_loadcnt_dscnt 0x901
	v_mul_f64_e32 v[181:182], v[2:3], v[12:13]
	v_mul_f64_e32 v[12:13], v[4:5], v[12:13]
	s_wait_loadcnt_dscnt 0x800
	v_mul_f64_e32 v[185:186], v[6:7], v[16:17]
	v_mul_f64_e32 v[16:17], v[8:9], v[16:17]
	v_add_f64_e32 v[175:176], 0, v[175:176]
	v_add_f64_e32 v[179:180], 0, v[179:180]
	v_fma_f64 v[181:182], v[4:5], v[10:11], v[181:182]
	v_fma_f64 v[187:188], v[2:3], v[10:11], -v[12:13]
	ds_load_b128 v[2:5], v1 offset:1664
	scratch_load_b128 v[10:13], off, off offset:816
	v_add_f64_e32 v[175:176], v[175:176], v[183:184]
	v_add_f64_e32 v[177:178], v[179:180], v[177:178]
	v_fma_f64 v[183:184], v[8:9], v[14:15], v[185:186]
	v_fma_f64 v[185:186], v[6:7], v[14:15], -v[16:17]
	ds_load_b128 v[6:9], v1 offset:1680
	scratch_load_b128 v[14:17], off, off offset:832
	s_wait_loadcnt_dscnt 0x901
	v_mul_f64_e32 v[179:180], v[2:3], v[20:21]
	v_mul_f64_e32 v[20:21], v[4:5], v[20:21]
	v_add_f64_e32 v[175:176], v[175:176], v[187:188]
	v_add_f64_e32 v[177:178], v[177:178], v[181:182]
	s_wait_loadcnt_dscnt 0x800
	v_mul_f64_e32 v[181:182], v[6:7], v[24:25]
	v_mul_f64_e32 v[24:25], v[8:9], v[24:25]
	v_fma_f64 v[179:180], v[4:5], v[18:19], v[179:180]
	v_fma_f64 v[187:188], v[2:3], v[18:19], -v[20:21]
	ds_load_b128 v[2:5], v1 offset:1696
	scratch_load_b128 v[18:21], off, off offset:848
	v_add_f64_e32 v[175:176], v[175:176], v[185:186]
	v_add_f64_e32 v[177:178], v[177:178], v[183:184]
	v_fma_f64 v[181:182], v[8:9], v[22:23], v[181:182]
	v_fma_f64 v[185:186], v[6:7], v[22:23], -v[24:25]
	ds_load_b128 v[6:9], v1 offset:1712
	s_wait_loadcnt_dscnt 0x801
	v_mul_f64_e32 v[183:184], v[2:3], v[28:29]
	v_mul_f64_e32 v[28:29], v[4:5], v[28:29]
	scratch_load_b128 v[22:25], off, off offset:864
	v_add_f64_e32 v[175:176], v[175:176], v[187:188]
	v_add_f64_e32 v[177:178], v[177:178], v[179:180]
	s_wait_loadcnt_dscnt 0x800
	v_mul_f64_e32 v[179:180], v[6:7], v[32:33]
	v_mul_f64_e32 v[32:33], v[8:9], v[32:33]
	v_fma_f64 v[183:184], v[4:5], v[26:27], v[183:184]
	v_fma_f64 v[187:188], v[2:3], v[26:27], -v[28:29]
	ds_load_b128 v[2:5], v1 offset:1728
	scratch_load_b128 v[26:29], off, off offset:880
	v_add_f64_e32 v[175:176], v[175:176], v[185:186]
	v_add_f64_e32 v[177:178], v[177:178], v[181:182]
	v_fma_f64 v[179:180], v[8:9], v[30:31], v[179:180]
	v_fma_f64 v[185:186], v[6:7], v[30:31], -v[32:33]
	ds_load_b128 v[6:9], v1 offset:1744
	s_wait_loadcnt_dscnt 0x801
	v_mul_f64_e32 v[181:182], v[2:3], v[40:41]
	v_mul_f64_e32 v[40:41], v[4:5], v[40:41]
	scratch_load_b128 v[30:33], off, off offset:896
	v_add_f64_e32 v[175:176], v[175:176], v[187:188]
	v_add_f64_e32 v[177:178], v[177:178], v[183:184]
	s_wait_loadcnt_dscnt 0x800
	v_mul_f64_e32 v[183:184], v[6:7], v[173:174]
	v_mul_f64_e32 v[173:174], v[8:9], v[173:174]
	v_fma_f64 v[181:182], v[4:5], v[38:39], v[181:182]
	v_fma_f64 v[187:188], v[2:3], v[38:39], -v[40:41]
	ds_load_b128 v[2:5], v1 offset:1760
	scratch_load_b128 v[38:41], off, off offset:912
	v_add_f64_e32 v[175:176], v[175:176], v[185:186]
	v_add_f64_e32 v[177:178], v[177:178], v[179:180]
	v_fma_f64 v[183:184], v[8:9], v[171:172], v[183:184]
	v_fma_f64 v[185:186], v[6:7], v[171:172], -v[173:174]
	ds_load_b128 v[6:9], v1 offset:1776
	scratch_load_b128 v[171:174], off, off offset:928
	s_wait_loadcnt_dscnt 0x901
	v_mul_f64_e32 v[179:180], v[2:3], v[36:37]
	v_mul_f64_e32 v[36:37], v[4:5], v[36:37]
	v_add_f64_e32 v[175:176], v[175:176], v[187:188]
	v_add_f64_e32 v[177:178], v[177:178], v[181:182]
	s_wait_loadcnt_dscnt 0x800
	v_mul_f64_e32 v[181:182], v[6:7], v[169:170]
	v_mul_f64_e32 v[169:170], v[8:9], v[169:170]
	v_fma_f64 v[179:180], v[4:5], v[34:35], v[179:180]
	v_fma_f64 v[187:188], v[2:3], v[34:35], -v[36:37]
	ds_load_b128 v[2:5], v1 offset:1792
	scratch_load_b128 v[34:37], off, off offset:944
	v_add_f64_e32 v[175:176], v[175:176], v[185:186]
	v_add_f64_e32 v[177:178], v[177:178], v[183:184]
	v_fma_f64 v[181:182], v[8:9], v[167:168], v[181:182]
	v_fma_f64 v[185:186], v[6:7], v[167:168], -v[169:170]
	ds_load_b128 v[6:9], v1 offset:1808
	s_wait_loadcnt_dscnt 0x801
	v_mul_f64_e32 v[183:184], v[2:3], v[12:13]
	v_mul_f64_e32 v[12:13], v[4:5], v[12:13]
	scratch_load_b128 v[167:170], off, off offset:960
	v_add_f64_e32 v[175:176], v[175:176], v[187:188]
	v_add_f64_e32 v[177:178], v[177:178], v[179:180]
	s_wait_loadcnt_dscnt 0x800
	v_mul_f64_e32 v[179:180], v[6:7], v[16:17]
	v_mul_f64_e32 v[16:17], v[8:9], v[16:17]
	v_fma_f64 v[183:184], v[4:5], v[10:11], v[183:184]
	v_fma_f64 v[187:188], v[2:3], v[10:11], -v[12:13]
	ds_load_b128 v[2:5], v1 offset:1824
	scratch_load_b128 v[10:13], off, off offset:976
	v_add_f64_e32 v[175:176], v[175:176], v[185:186]
	v_add_f64_e32 v[177:178], v[177:178], v[181:182]
	v_fma_f64 v[179:180], v[8:9], v[14:15], v[179:180]
	v_fma_f64 v[185:186], v[6:7], v[14:15], -v[16:17]
	ds_load_b128 v[6:9], v1 offset:1840
	s_wait_loadcnt_dscnt 0x801
	v_mul_f64_e32 v[181:182], v[2:3], v[20:21]
	v_mul_f64_e32 v[20:21], v[4:5], v[20:21]
	scratch_load_b128 v[14:17], off, off offset:992
	v_add_f64_e32 v[175:176], v[175:176], v[187:188]
	v_add_f64_e32 v[177:178], v[177:178], v[183:184]
	s_wait_loadcnt_dscnt 0x800
	v_mul_f64_e32 v[183:184], v[6:7], v[24:25]
	v_mul_f64_e32 v[24:25], v[8:9], v[24:25]
	v_fma_f64 v[181:182], v[4:5], v[18:19], v[181:182]
	v_fma_f64 v[18:19], v[2:3], v[18:19], -v[20:21]
	ds_load_b128 v[2:5], v1 offset:1856
	v_add_f64_e32 v[20:21], v[175:176], v[185:186]
	v_add_f64_e32 v[175:176], v[177:178], v[179:180]
	v_fma_f64 v[179:180], v[8:9], v[22:23], v[183:184]
	v_fma_f64 v[22:23], v[6:7], v[22:23], -v[24:25]
	ds_load_b128 v[6:9], v1 offset:1872
	s_wait_loadcnt_dscnt 0x701
	v_mul_f64_e32 v[177:178], v[2:3], v[28:29]
	v_mul_f64_e32 v[28:29], v[4:5], v[28:29]
	v_add_f64_e32 v[18:19], v[20:21], v[18:19]
	v_add_f64_e32 v[20:21], v[175:176], v[181:182]
	s_delay_alu instid0(VALU_DEP_4) | instskip(NEXT) | instid1(VALU_DEP_4)
	v_fma_f64 v[175:176], v[4:5], v[26:27], v[177:178]
	v_fma_f64 v[26:27], v[2:3], v[26:27], -v[28:29]
	ds_load_b128 v[2:5], v1 offset:1888
	v_add_f64_e32 v[22:23], v[18:19], v[22:23]
	v_add_f64_e32 v[28:29], v[20:21], v[179:180]
	scratch_load_b128 v[18:21], off, off offset:608
	s_wait_loadcnt_dscnt 0x701
	v_mul_f64_e32 v[24:25], v[6:7], v[32:33]
	v_mul_f64_e32 v[32:33], v[8:9], v[32:33]
	v_add_f64_e32 v[22:23], v[22:23], v[26:27]
	v_add_f64_e32 v[26:27], v[28:29], v[175:176]
	s_delay_alu instid0(VALU_DEP_4) | instskip(NEXT) | instid1(VALU_DEP_4)
	v_fma_f64 v[24:25], v[8:9], v[30:31], v[24:25]
	v_fma_f64 v[30:31], v[6:7], v[30:31], -v[32:33]
	ds_load_b128 v[6:9], v1 offset:1904
	s_wait_loadcnt_dscnt 0x601
	v_mul_f64_e32 v[177:178], v[2:3], v[40:41]
	v_mul_f64_e32 v[40:41], v[4:5], v[40:41]
	s_wait_loadcnt_dscnt 0x500
	v_mul_f64_e32 v[28:29], v[6:7], v[173:174]
	v_mul_f64_e32 v[32:33], v[8:9], v[173:174]
	v_add_f64_e32 v[24:25], v[26:27], v[24:25]
	v_add_f64_e32 v[22:23], v[22:23], v[30:31]
	v_fma_f64 v[173:174], v[4:5], v[38:39], v[177:178]
	v_fma_f64 v[38:39], v[2:3], v[38:39], -v[40:41]
	ds_load_b128 v[2:5], v1 offset:1920
	v_fma_f64 v[28:29], v[8:9], v[171:172], v[28:29]
	v_fma_f64 v[32:33], v[6:7], v[171:172], -v[32:33]
	ds_load_b128 v[6:9], v1 offset:1936
	s_wait_loadcnt_dscnt 0x401
	v_mul_f64_e32 v[26:27], v[2:3], v[36:37]
	v_mul_f64_e32 v[30:31], v[4:5], v[36:37]
	v_add_f64_e32 v[24:25], v[24:25], v[173:174]
	v_add_f64_e32 v[22:23], v[22:23], v[38:39]
	s_wait_loadcnt_dscnt 0x300
	v_mul_f64_e32 v[36:37], v[6:7], v[169:170]
	v_mul_f64_e32 v[38:39], v[8:9], v[169:170]
	v_fma_f64 v[26:27], v[4:5], v[34:35], v[26:27]
	v_fma_f64 v[30:31], v[2:3], v[34:35], -v[30:31]
	ds_load_b128 v[2:5], v1 offset:1952
	v_add_f64_e32 v[24:25], v[24:25], v[28:29]
	v_add_f64_e32 v[22:23], v[22:23], v[32:33]
	v_fma_f64 v[32:33], v[8:9], v[167:168], v[36:37]
	v_fma_f64 v[34:35], v[6:7], v[167:168], -v[38:39]
	ds_load_b128 v[6:9], v1 offset:1968
	s_wait_loadcnt_dscnt 0x201
	v_mul_f64_e32 v[28:29], v[2:3], v[12:13]
	v_mul_f64_e32 v[12:13], v[4:5], v[12:13]
	v_add_f64_e32 v[24:25], v[24:25], v[26:27]
	v_add_f64_e32 v[22:23], v[22:23], v[30:31]
	s_wait_loadcnt_dscnt 0x100
	v_mul_f64_e32 v[26:27], v[6:7], v[16:17]
	v_mul_f64_e32 v[16:17], v[8:9], v[16:17]
	v_fma_f64 v[4:5], v[4:5], v[10:11], v[28:29]
	v_fma_f64 v[1:2], v[2:3], v[10:11], -v[12:13]
	v_add_f64_e32 v[12:13], v[24:25], v[32:33]
	v_add_f64_e32 v[10:11], v[22:23], v[34:35]
	v_fma_f64 v[8:9], v[8:9], v[14:15], v[26:27]
	v_fma_f64 v[6:7], v[6:7], v[14:15], -v[16:17]
	s_delay_alu instid0(VALU_DEP_4) | instskip(NEXT) | instid1(VALU_DEP_4)
	v_add_f64_e32 v[3:4], v[12:13], v[4:5]
	v_add_f64_e32 v[1:2], v[10:11], v[1:2]
	s_delay_alu instid0(VALU_DEP_2) | instskip(NEXT) | instid1(VALU_DEP_2)
	v_add_f64_e32 v[3:4], v[3:4], v[8:9]
	v_add_f64_e32 v[1:2], v[1:2], v[6:7]
	s_wait_loadcnt 0x0
	s_delay_alu instid0(VALU_DEP_2) | instskip(NEXT) | instid1(VALU_DEP_2)
	v_add_f64_e64 v[3:4], v[20:21], -v[3:4]
	v_add_f64_e64 v[1:2], v[18:19], -v[1:2]
	scratch_store_b128 off, v[1:4], off offset:608
	v_cmpx_lt_u32_e32 36, v0
	s_cbranch_execz .LBB61_325
; %bb.324:
	scratch_load_b128 v[1:4], off, s10
	v_mov_b32_e32 v5, 0
	s_delay_alu instid0(VALU_DEP_1)
	v_dual_mov_b32 v6, v5 :: v_dual_mov_b32 v7, v5
	v_mov_b32_e32 v8, v5
	scratch_store_b128 off, v[5:8], off offset:592
	s_wait_loadcnt 0x0
	ds_store_b128 v166, v[1:4]
.LBB61_325:
	s_wait_alu 0xfffe
	s_or_b32 exec_lo, exec_lo, s0
	s_wait_storecnt_dscnt 0x0
	s_barrier_signal -1
	s_barrier_wait -1
	global_inv scope:SCOPE_SE
	s_clause 0x7
	scratch_load_b128 v[2:5], off, off offset:608
	scratch_load_b128 v[6:9], off, off offset:624
	;; [unrolled: 1-line block ×8, first 2 shown]
	v_mov_b32_e32 v1, 0
	s_clause 0x1
	scratch_load_b128 v[38:41], off, off offset:736
	scratch_load_b128 v[171:174], off, off offset:752
	s_mov_b32 s0, exec_lo
	ds_load_b128 v[34:37], v1 offset:1584
	ds_load_b128 v[167:170], v1 offset:1600
	s_wait_loadcnt_dscnt 0x901
	v_mul_f64_e32 v[175:176], v[36:37], v[4:5]
	v_mul_f64_e32 v[4:5], v[34:35], v[4:5]
	s_wait_loadcnt_dscnt 0x800
	v_mul_f64_e32 v[177:178], v[167:168], v[8:9]
	v_mul_f64_e32 v[8:9], v[169:170], v[8:9]
	s_delay_alu instid0(VALU_DEP_4) | instskip(NEXT) | instid1(VALU_DEP_4)
	v_fma_f64 v[175:176], v[34:35], v[2:3], -v[175:176]
	v_fma_f64 v[179:180], v[36:37], v[2:3], v[4:5]
	ds_load_b128 v[2:5], v1 offset:1616
	scratch_load_b128 v[34:37], off, off offset:768
	v_fma_f64 v[177:178], v[169:170], v[6:7], v[177:178]
	v_fma_f64 v[183:184], v[167:168], v[6:7], -v[8:9]
	ds_load_b128 v[6:9], v1 offset:1632
	scratch_load_b128 v[167:170], off, off offset:784
	s_wait_loadcnt_dscnt 0x901
	v_mul_f64_e32 v[181:182], v[2:3], v[12:13]
	v_mul_f64_e32 v[12:13], v[4:5], v[12:13]
	s_wait_loadcnt_dscnt 0x800
	v_mul_f64_e32 v[185:186], v[6:7], v[16:17]
	v_mul_f64_e32 v[16:17], v[8:9], v[16:17]
	v_add_f64_e32 v[175:176], 0, v[175:176]
	v_add_f64_e32 v[179:180], 0, v[179:180]
	v_fma_f64 v[181:182], v[4:5], v[10:11], v[181:182]
	v_fma_f64 v[187:188], v[2:3], v[10:11], -v[12:13]
	ds_load_b128 v[2:5], v1 offset:1648
	scratch_load_b128 v[10:13], off, off offset:800
	v_add_f64_e32 v[175:176], v[175:176], v[183:184]
	v_add_f64_e32 v[177:178], v[179:180], v[177:178]
	v_fma_f64 v[183:184], v[8:9], v[14:15], v[185:186]
	v_fma_f64 v[185:186], v[6:7], v[14:15], -v[16:17]
	ds_load_b128 v[6:9], v1 offset:1664
	scratch_load_b128 v[14:17], off, off offset:816
	s_wait_loadcnt_dscnt 0x901
	v_mul_f64_e32 v[179:180], v[2:3], v[20:21]
	v_mul_f64_e32 v[20:21], v[4:5], v[20:21]
	v_add_f64_e32 v[175:176], v[175:176], v[187:188]
	v_add_f64_e32 v[177:178], v[177:178], v[181:182]
	s_wait_loadcnt_dscnt 0x800
	v_mul_f64_e32 v[181:182], v[6:7], v[24:25]
	v_mul_f64_e32 v[24:25], v[8:9], v[24:25]
	v_fma_f64 v[179:180], v[4:5], v[18:19], v[179:180]
	v_fma_f64 v[187:188], v[2:3], v[18:19], -v[20:21]
	ds_load_b128 v[2:5], v1 offset:1680
	scratch_load_b128 v[18:21], off, off offset:832
	v_add_f64_e32 v[175:176], v[175:176], v[185:186]
	v_add_f64_e32 v[177:178], v[177:178], v[183:184]
	v_fma_f64 v[181:182], v[8:9], v[22:23], v[181:182]
	v_fma_f64 v[185:186], v[6:7], v[22:23], -v[24:25]
	ds_load_b128 v[6:9], v1 offset:1696
	s_wait_loadcnt_dscnt 0x801
	v_mul_f64_e32 v[183:184], v[2:3], v[28:29]
	v_mul_f64_e32 v[28:29], v[4:5], v[28:29]
	scratch_load_b128 v[22:25], off, off offset:848
	v_add_f64_e32 v[175:176], v[175:176], v[187:188]
	v_add_f64_e32 v[177:178], v[177:178], v[179:180]
	s_wait_loadcnt_dscnt 0x800
	v_mul_f64_e32 v[179:180], v[6:7], v[32:33]
	v_mul_f64_e32 v[32:33], v[8:9], v[32:33]
	v_fma_f64 v[183:184], v[4:5], v[26:27], v[183:184]
	v_fma_f64 v[187:188], v[2:3], v[26:27], -v[28:29]
	ds_load_b128 v[2:5], v1 offset:1712
	scratch_load_b128 v[26:29], off, off offset:864
	v_add_f64_e32 v[175:176], v[175:176], v[185:186]
	v_add_f64_e32 v[177:178], v[177:178], v[181:182]
	v_fma_f64 v[179:180], v[8:9], v[30:31], v[179:180]
	v_fma_f64 v[185:186], v[6:7], v[30:31], -v[32:33]
	ds_load_b128 v[6:9], v1 offset:1728
	s_wait_loadcnt_dscnt 0x801
	v_mul_f64_e32 v[181:182], v[2:3], v[40:41]
	v_mul_f64_e32 v[40:41], v[4:5], v[40:41]
	scratch_load_b128 v[30:33], off, off offset:880
	v_add_f64_e32 v[175:176], v[175:176], v[187:188]
	v_add_f64_e32 v[177:178], v[177:178], v[183:184]
	s_wait_loadcnt_dscnt 0x800
	v_mul_f64_e32 v[183:184], v[6:7], v[173:174]
	v_mul_f64_e32 v[173:174], v[8:9], v[173:174]
	v_fma_f64 v[181:182], v[4:5], v[38:39], v[181:182]
	v_fma_f64 v[187:188], v[2:3], v[38:39], -v[40:41]
	ds_load_b128 v[2:5], v1 offset:1744
	scratch_load_b128 v[38:41], off, off offset:896
	v_add_f64_e32 v[175:176], v[175:176], v[185:186]
	v_add_f64_e32 v[177:178], v[177:178], v[179:180]
	v_fma_f64 v[183:184], v[8:9], v[171:172], v[183:184]
	v_fma_f64 v[185:186], v[6:7], v[171:172], -v[173:174]
	ds_load_b128 v[6:9], v1 offset:1760
	scratch_load_b128 v[171:174], off, off offset:912
	s_wait_loadcnt_dscnt 0x901
	v_mul_f64_e32 v[179:180], v[2:3], v[36:37]
	v_mul_f64_e32 v[36:37], v[4:5], v[36:37]
	v_add_f64_e32 v[175:176], v[175:176], v[187:188]
	v_add_f64_e32 v[177:178], v[177:178], v[181:182]
	s_wait_loadcnt_dscnt 0x800
	v_mul_f64_e32 v[181:182], v[6:7], v[169:170]
	v_mul_f64_e32 v[169:170], v[8:9], v[169:170]
	v_fma_f64 v[179:180], v[4:5], v[34:35], v[179:180]
	v_fma_f64 v[187:188], v[2:3], v[34:35], -v[36:37]
	ds_load_b128 v[2:5], v1 offset:1776
	scratch_load_b128 v[34:37], off, off offset:928
	v_add_f64_e32 v[175:176], v[175:176], v[185:186]
	v_add_f64_e32 v[177:178], v[177:178], v[183:184]
	v_fma_f64 v[181:182], v[8:9], v[167:168], v[181:182]
	v_fma_f64 v[185:186], v[6:7], v[167:168], -v[169:170]
	ds_load_b128 v[6:9], v1 offset:1792
	s_wait_loadcnt_dscnt 0x801
	v_mul_f64_e32 v[183:184], v[2:3], v[12:13]
	v_mul_f64_e32 v[12:13], v[4:5], v[12:13]
	scratch_load_b128 v[167:170], off, off offset:944
	v_add_f64_e32 v[175:176], v[175:176], v[187:188]
	v_add_f64_e32 v[177:178], v[177:178], v[179:180]
	s_wait_loadcnt_dscnt 0x800
	v_mul_f64_e32 v[179:180], v[6:7], v[16:17]
	v_mul_f64_e32 v[16:17], v[8:9], v[16:17]
	v_fma_f64 v[183:184], v[4:5], v[10:11], v[183:184]
	v_fma_f64 v[187:188], v[2:3], v[10:11], -v[12:13]
	ds_load_b128 v[2:5], v1 offset:1808
	scratch_load_b128 v[10:13], off, off offset:960
	v_add_f64_e32 v[175:176], v[175:176], v[185:186]
	v_add_f64_e32 v[177:178], v[177:178], v[181:182]
	v_fma_f64 v[179:180], v[8:9], v[14:15], v[179:180]
	v_fma_f64 v[185:186], v[6:7], v[14:15], -v[16:17]
	ds_load_b128 v[6:9], v1 offset:1824
	s_wait_loadcnt_dscnt 0x801
	v_mul_f64_e32 v[181:182], v[2:3], v[20:21]
	v_mul_f64_e32 v[20:21], v[4:5], v[20:21]
	scratch_load_b128 v[14:17], off, off offset:976
	v_add_f64_e32 v[175:176], v[175:176], v[187:188]
	v_add_f64_e32 v[177:178], v[177:178], v[183:184]
	s_wait_loadcnt_dscnt 0x800
	v_mul_f64_e32 v[183:184], v[6:7], v[24:25]
	v_mul_f64_e32 v[24:25], v[8:9], v[24:25]
	v_fma_f64 v[181:182], v[4:5], v[18:19], v[181:182]
	v_fma_f64 v[187:188], v[2:3], v[18:19], -v[20:21]
	ds_load_b128 v[2:5], v1 offset:1840
	scratch_load_b128 v[18:21], off, off offset:992
	v_add_f64_e32 v[175:176], v[175:176], v[185:186]
	v_add_f64_e32 v[177:178], v[177:178], v[179:180]
	v_fma_f64 v[183:184], v[8:9], v[22:23], v[183:184]
	v_fma_f64 v[22:23], v[6:7], v[22:23], -v[24:25]
	ds_load_b128 v[6:9], v1 offset:1856
	s_wait_loadcnt_dscnt 0x801
	v_mul_f64_e32 v[179:180], v[2:3], v[28:29]
	v_mul_f64_e32 v[28:29], v[4:5], v[28:29]
	v_add_f64_e32 v[24:25], v[175:176], v[187:188]
	v_add_f64_e32 v[175:176], v[177:178], v[181:182]
	s_wait_loadcnt_dscnt 0x700
	v_mul_f64_e32 v[177:178], v[6:7], v[32:33]
	v_mul_f64_e32 v[32:33], v[8:9], v[32:33]
	v_fma_f64 v[179:180], v[4:5], v[26:27], v[179:180]
	v_fma_f64 v[26:27], v[2:3], v[26:27], -v[28:29]
	ds_load_b128 v[2:5], v1 offset:1872
	v_add_f64_e32 v[22:23], v[24:25], v[22:23]
	v_add_f64_e32 v[24:25], v[175:176], v[183:184]
	v_fma_f64 v[175:176], v[8:9], v[30:31], v[177:178]
	v_fma_f64 v[30:31], v[6:7], v[30:31], -v[32:33]
	ds_load_b128 v[6:9], v1 offset:1888
	s_wait_loadcnt_dscnt 0x500
	v_mul_f64_e32 v[177:178], v[6:7], v[173:174]
	v_mul_f64_e32 v[173:174], v[8:9], v[173:174]
	v_add_f64_e32 v[26:27], v[22:23], v[26:27]
	v_add_f64_e32 v[32:33], v[24:25], v[179:180]
	scratch_load_b128 v[22:25], off, off offset:592
	v_mul_f64_e32 v[28:29], v[2:3], v[40:41]
	v_mul_f64_e32 v[40:41], v[4:5], v[40:41]
	v_add_f64_e32 v[26:27], v[26:27], v[30:31]
	v_add_f64_e32 v[30:31], v[32:33], v[175:176]
	s_delay_alu instid0(VALU_DEP_4) | instskip(NEXT) | instid1(VALU_DEP_4)
	v_fma_f64 v[28:29], v[4:5], v[38:39], v[28:29]
	v_fma_f64 v[38:39], v[2:3], v[38:39], -v[40:41]
	ds_load_b128 v[2:5], v1 offset:1904
	v_fma_f64 v[40:41], v[8:9], v[171:172], v[177:178]
	v_fma_f64 v[171:172], v[6:7], v[171:172], -v[173:174]
	ds_load_b128 v[6:9], v1 offset:1920
	s_wait_loadcnt_dscnt 0x501
	v_mul_f64_e32 v[32:33], v[2:3], v[36:37]
	v_mul_f64_e32 v[36:37], v[4:5], v[36:37]
	v_add_f64_e32 v[28:29], v[30:31], v[28:29]
	v_add_f64_e32 v[26:27], v[26:27], v[38:39]
	s_wait_loadcnt_dscnt 0x400
	v_mul_f64_e32 v[30:31], v[6:7], v[169:170]
	v_mul_f64_e32 v[38:39], v[8:9], v[169:170]
	v_fma_f64 v[32:33], v[4:5], v[34:35], v[32:33]
	v_fma_f64 v[34:35], v[2:3], v[34:35], -v[36:37]
	ds_load_b128 v[2:5], v1 offset:1936
	v_add_f64_e32 v[28:29], v[28:29], v[40:41]
	v_add_f64_e32 v[26:27], v[26:27], v[171:172]
	v_fma_f64 v[30:31], v[8:9], v[167:168], v[30:31]
	v_fma_f64 v[38:39], v[6:7], v[167:168], -v[38:39]
	ds_load_b128 v[6:9], v1 offset:1952
	s_wait_loadcnt_dscnt 0x301
	v_mul_f64_e32 v[36:37], v[2:3], v[12:13]
	v_mul_f64_e32 v[12:13], v[4:5], v[12:13]
	v_add_f64_e32 v[28:29], v[28:29], v[32:33]
	v_add_f64_e32 v[26:27], v[26:27], v[34:35]
	s_wait_loadcnt_dscnt 0x200
	v_mul_f64_e32 v[32:33], v[6:7], v[16:17]
	v_mul_f64_e32 v[16:17], v[8:9], v[16:17]
	v_fma_f64 v[34:35], v[4:5], v[10:11], v[36:37]
	v_fma_f64 v[10:11], v[2:3], v[10:11], -v[12:13]
	ds_load_b128 v[2:5], v1 offset:1968
	v_add_f64_e32 v[12:13], v[26:27], v[38:39]
	v_add_f64_e32 v[26:27], v[28:29], v[30:31]
	s_wait_loadcnt_dscnt 0x100
	v_mul_f64_e32 v[28:29], v[2:3], v[20:21]
	v_mul_f64_e32 v[20:21], v[4:5], v[20:21]
	v_fma_f64 v[8:9], v[8:9], v[14:15], v[32:33]
	v_fma_f64 v[6:7], v[6:7], v[14:15], -v[16:17]
	v_add_f64_e32 v[10:11], v[12:13], v[10:11]
	v_add_f64_e32 v[12:13], v[26:27], v[34:35]
	v_fma_f64 v[4:5], v[4:5], v[18:19], v[28:29]
	v_fma_f64 v[2:3], v[2:3], v[18:19], -v[20:21]
	s_delay_alu instid0(VALU_DEP_4) | instskip(NEXT) | instid1(VALU_DEP_4)
	v_add_f64_e32 v[6:7], v[10:11], v[6:7]
	v_add_f64_e32 v[8:9], v[12:13], v[8:9]
	s_delay_alu instid0(VALU_DEP_2) | instskip(NEXT) | instid1(VALU_DEP_2)
	v_add_f64_e32 v[2:3], v[6:7], v[2:3]
	v_add_f64_e32 v[4:5], v[8:9], v[4:5]
	s_wait_loadcnt 0x0
	s_delay_alu instid0(VALU_DEP_2) | instskip(NEXT) | instid1(VALU_DEP_2)
	v_add_f64_e64 v[2:3], v[22:23], -v[2:3]
	v_add_f64_e64 v[4:5], v[24:25], -v[4:5]
	scratch_store_b128 off, v[2:5], off offset:592
	v_cmpx_lt_u32_e32 35, v0
	s_cbranch_execz .LBB61_327
; %bb.326:
	scratch_load_b128 v[5:8], off, s9
	v_dual_mov_b32 v2, v1 :: v_dual_mov_b32 v3, v1
	v_mov_b32_e32 v4, v1
	scratch_store_b128 off, v[1:4], off offset:576
	s_wait_loadcnt 0x0
	ds_store_b128 v166, v[5:8]
.LBB61_327:
	s_wait_alu 0xfffe
	s_or_b32 exec_lo, exec_lo, s0
	s_wait_storecnt_dscnt 0x0
	s_barrier_signal -1
	s_barrier_wait -1
	global_inv scope:SCOPE_SE
	s_clause 0x7
	scratch_load_b128 v[2:5], off, off offset:592
	scratch_load_b128 v[6:9], off, off offset:608
	;; [unrolled: 1-line block ×8, first 2 shown]
	ds_load_b128 v[34:37], v1 offset:1568
	ds_load_b128 v[167:170], v1 offset:1584
	s_clause 0x1
	scratch_load_b128 v[38:41], off, off offset:720
	scratch_load_b128 v[171:174], off, off offset:736
	s_mov_b32 s0, exec_lo
	s_wait_loadcnt_dscnt 0x901
	v_mul_f64_e32 v[175:176], v[36:37], v[4:5]
	v_mul_f64_e32 v[4:5], v[34:35], v[4:5]
	s_wait_loadcnt_dscnt 0x800
	v_mul_f64_e32 v[177:178], v[167:168], v[8:9]
	v_mul_f64_e32 v[8:9], v[169:170], v[8:9]
	s_delay_alu instid0(VALU_DEP_4) | instskip(NEXT) | instid1(VALU_DEP_4)
	v_fma_f64 v[175:176], v[34:35], v[2:3], -v[175:176]
	v_fma_f64 v[179:180], v[36:37], v[2:3], v[4:5]
	ds_load_b128 v[2:5], v1 offset:1600
	scratch_load_b128 v[34:37], off, off offset:752
	v_fma_f64 v[177:178], v[169:170], v[6:7], v[177:178]
	v_fma_f64 v[183:184], v[167:168], v[6:7], -v[8:9]
	ds_load_b128 v[6:9], v1 offset:1616
	scratch_load_b128 v[167:170], off, off offset:768
	s_wait_loadcnt_dscnt 0x901
	v_mul_f64_e32 v[181:182], v[2:3], v[12:13]
	v_mul_f64_e32 v[12:13], v[4:5], v[12:13]
	s_wait_loadcnt_dscnt 0x800
	v_mul_f64_e32 v[185:186], v[6:7], v[16:17]
	v_mul_f64_e32 v[16:17], v[8:9], v[16:17]
	v_add_f64_e32 v[175:176], 0, v[175:176]
	v_add_f64_e32 v[179:180], 0, v[179:180]
	v_fma_f64 v[181:182], v[4:5], v[10:11], v[181:182]
	v_fma_f64 v[187:188], v[2:3], v[10:11], -v[12:13]
	ds_load_b128 v[2:5], v1 offset:1632
	scratch_load_b128 v[10:13], off, off offset:784
	v_add_f64_e32 v[175:176], v[175:176], v[183:184]
	v_add_f64_e32 v[177:178], v[179:180], v[177:178]
	v_fma_f64 v[183:184], v[8:9], v[14:15], v[185:186]
	v_fma_f64 v[185:186], v[6:7], v[14:15], -v[16:17]
	ds_load_b128 v[6:9], v1 offset:1648
	scratch_load_b128 v[14:17], off, off offset:800
	s_wait_loadcnt_dscnt 0x901
	v_mul_f64_e32 v[179:180], v[2:3], v[20:21]
	v_mul_f64_e32 v[20:21], v[4:5], v[20:21]
	v_add_f64_e32 v[175:176], v[175:176], v[187:188]
	v_add_f64_e32 v[177:178], v[177:178], v[181:182]
	s_wait_loadcnt_dscnt 0x800
	v_mul_f64_e32 v[181:182], v[6:7], v[24:25]
	v_mul_f64_e32 v[24:25], v[8:9], v[24:25]
	v_fma_f64 v[179:180], v[4:5], v[18:19], v[179:180]
	v_fma_f64 v[187:188], v[2:3], v[18:19], -v[20:21]
	ds_load_b128 v[2:5], v1 offset:1664
	scratch_load_b128 v[18:21], off, off offset:816
	v_add_f64_e32 v[175:176], v[175:176], v[185:186]
	v_add_f64_e32 v[177:178], v[177:178], v[183:184]
	v_fma_f64 v[181:182], v[8:9], v[22:23], v[181:182]
	v_fma_f64 v[185:186], v[6:7], v[22:23], -v[24:25]
	ds_load_b128 v[6:9], v1 offset:1680
	s_wait_loadcnt_dscnt 0x801
	v_mul_f64_e32 v[183:184], v[2:3], v[28:29]
	v_mul_f64_e32 v[28:29], v[4:5], v[28:29]
	scratch_load_b128 v[22:25], off, off offset:832
	v_add_f64_e32 v[175:176], v[175:176], v[187:188]
	v_add_f64_e32 v[177:178], v[177:178], v[179:180]
	s_wait_loadcnt_dscnt 0x800
	v_mul_f64_e32 v[179:180], v[6:7], v[32:33]
	v_mul_f64_e32 v[32:33], v[8:9], v[32:33]
	v_fma_f64 v[183:184], v[4:5], v[26:27], v[183:184]
	v_fma_f64 v[187:188], v[2:3], v[26:27], -v[28:29]
	ds_load_b128 v[2:5], v1 offset:1696
	scratch_load_b128 v[26:29], off, off offset:848
	v_add_f64_e32 v[175:176], v[175:176], v[185:186]
	v_add_f64_e32 v[177:178], v[177:178], v[181:182]
	v_fma_f64 v[179:180], v[8:9], v[30:31], v[179:180]
	v_fma_f64 v[185:186], v[6:7], v[30:31], -v[32:33]
	ds_load_b128 v[6:9], v1 offset:1712
	s_wait_loadcnt_dscnt 0x801
	v_mul_f64_e32 v[181:182], v[2:3], v[40:41]
	v_mul_f64_e32 v[40:41], v[4:5], v[40:41]
	scratch_load_b128 v[30:33], off, off offset:864
	v_add_f64_e32 v[175:176], v[175:176], v[187:188]
	v_add_f64_e32 v[177:178], v[177:178], v[183:184]
	s_wait_loadcnt_dscnt 0x800
	v_mul_f64_e32 v[183:184], v[6:7], v[173:174]
	v_mul_f64_e32 v[173:174], v[8:9], v[173:174]
	v_fma_f64 v[181:182], v[4:5], v[38:39], v[181:182]
	v_fma_f64 v[187:188], v[2:3], v[38:39], -v[40:41]
	ds_load_b128 v[2:5], v1 offset:1728
	scratch_load_b128 v[38:41], off, off offset:880
	v_add_f64_e32 v[175:176], v[175:176], v[185:186]
	v_add_f64_e32 v[177:178], v[177:178], v[179:180]
	v_fma_f64 v[183:184], v[8:9], v[171:172], v[183:184]
	v_fma_f64 v[185:186], v[6:7], v[171:172], -v[173:174]
	ds_load_b128 v[6:9], v1 offset:1744
	scratch_load_b128 v[171:174], off, off offset:896
	s_wait_loadcnt_dscnt 0x901
	v_mul_f64_e32 v[179:180], v[2:3], v[36:37]
	v_mul_f64_e32 v[36:37], v[4:5], v[36:37]
	v_add_f64_e32 v[175:176], v[175:176], v[187:188]
	v_add_f64_e32 v[177:178], v[177:178], v[181:182]
	s_wait_loadcnt_dscnt 0x800
	v_mul_f64_e32 v[181:182], v[6:7], v[169:170]
	v_mul_f64_e32 v[169:170], v[8:9], v[169:170]
	v_fma_f64 v[179:180], v[4:5], v[34:35], v[179:180]
	v_fma_f64 v[187:188], v[2:3], v[34:35], -v[36:37]
	ds_load_b128 v[2:5], v1 offset:1760
	scratch_load_b128 v[34:37], off, off offset:912
	v_add_f64_e32 v[175:176], v[175:176], v[185:186]
	v_add_f64_e32 v[177:178], v[177:178], v[183:184]
	v_fma_f64 v[181:182], v[8:9], v[167:168], v[181:182]
	v_fma_f64 v[185:186], v[6:7], v[167:168], -v[169:170]
	ds_load_b128 v[6:9], v1 offset:1776
	s_wait_loadcnt_dscnt 0x801
	v_mul_f64_e32 v[183:184], v[2:3], v[12:13]
	v_mul_f64_e32 v[12:13], v[4:5], v[12:13]
	scratch_load_b128 v[167:170], off, off offset:928
	v_add_f64_e32 v[175:176], v[175:176], v[187:188]
	v_add_f64_e32 v[177:178], v[177:178], v[179:180]
	s_wait_loadcnt_dscnt 0x800
	v_mul_f64_e32 v[179:180], v[6:7], v[16:17]
	v_mul_f64_e32 v[16:17], v[8:9], v[16:17]
	v_fma_f64 v[183:184], v[4:5], v[10:11], v[183:184]
	v_fma_f64 v[187:188], v[2:3], v[10:11], -v[12:13]
	ds_load_b128 v[2:5], v1 offset:1792
	scratch_load_b128 v[10:13], off, off offset:944
	v_add_f64_e32 v[175:176], v[175:176], v[185:186]
	v_add_f64_e32 v[177:178], v[177:178], v[181:182]
	v_fma_f64 v[179:180], v[8:9], v[14:15], v[179:180]
	v_fma_f64 v[185:186], v[6:7], v[14:15], -v[16:17]
	ds_load_b128 v[6:9], v1 offset:1808
	s_wait_loadcnt_dscnt 0x801
	v_mul_f64_e32 v[181:182], v[2:3], v[20:21]
	v_mul_f64_e32 v[20:21], v[4:5], v[20:21]
	scratch_load_b128 v[14:17], off, off offset:960
	;; [unrolled: 18-line block ×3, first 2 shown]
	v_add_f64_e32 v[175:176], v[175:176], v[187:188]
	v_add_f64_e32 v[177:178], v[177:178], v[181:182]
	s_wait_loadcnt_dscnt 0x800
	v_mul_f64_e32 v[181:182], v[6:7], v[32:33]
	v_mul_f64_e32 v[32:33], v[8:9], v[32:33]
	v_fma_f64 v[179:180], v[4:5], v[26:27], v[179:180]
	v_fma_f64 v[26:27], v[2:3], v[26:27], -v[28:29]
	ds_load_b128 v[2:5], v1 offset:1856
	v_add_f64_e32 v[28:29], v[175:176], v[185:186]
	v_add_f64_e32 v[175:176], v[177:178], v[183:184]
	v_fma_f64 v[181:182], v[8:9], v[30:31], v[181:182]
	v_fma_f64 v[30:31], v[6:7], v[30:31], -v[32:33]
	ds_load_b128 v[6:9], v1 offset:1872
	s_wait_loadcnt_dscnt 0x701
	v_mul_f64_e32 v[177:178], v[2:3], v[40:41]
	v_mul_f64_e32 v[40:41], v[4:5], v[40:41]
	v_add_f64_e32 v[26:27], v[28:29], v[26:27]
	v_add_f64_e32 v[28:29], v[175:176], v[179:180]
	s_delay_alu instid0(VALU_DEP_4) | instskip(NEXT) | instid1(VALU_DEP_4)
	v_fma_f64 v[175:176], v[4:5], v[38:39], v[177:178]
	v_fma_f64 v[38:39], v[2:3], v[38:39], -v[40:41]
	ds_load_b128 v[2:5], v1 offset:1888
	v_add_f64_e32 v[30:31], v[26:27], v[30:31]
	v_add_f64_e32 v[40:41], v[28:29], v[181:182]
	scratch_load_b128 v[26:29], off, off offset:576
	s_wait_loadcnt_dscnt 0x701
	v_mul_f64_e32 v[32:33], v[6:7], v[173:174]
	v_mul_f64_e32 v[173:174], v[8:9], v[173:174]
	v_add_f64_e32 v[30:31], v[30:31], v[38:39]
	v_add_f64_e32 v[38:39], v[40:41], v[175:176]
	s_delay_alu instid0(VALU_DEP_4) | instskip(NEXT) | instid1(VALU_DEP_4)
	v_fma_f64 v[32:33], v[8:9], v[171:172], v[32:33]
	v_fma_f64 v[171:172], v[6:7], v[171:172], -v[173:174]
	ds_load_b128 v[6:9], v1 offset:1904
	s_wait_loadcnt_dscnt 0x601
	v_mul_f64_e32 v[177:178], v[2:3], v[36:37]
	v_mul_f64_e32 v[36:37], v[4:5], v[36:37]
	s_wait_loadcnt_dscnt 0x500
	v_mul_f64_e32 v[40:41], v[6:7], v[169:170]
	v_mul_f64_e32 v[169:170], v[8:9], v[169:170]
	v_add_f64_e32 v[32:33], v[38:39], v[32:33]
	v_add_f64_e32 v[30:31], v[30:31], v[171:172]
	v_fma_f64 v[173:174], v[4:5], v[34:35], v[177:178]
	v_fma_f64 v[34:35], v[2:3], v[34:35], -v[36:37]
	ds_load_b128 v[2:5], v1 offset:1920
	v_fma_f64 v[38:39], v[8:9], v[167:168], v[40:41]
	v_fma_f64 v[40:41], v[6:7], v[167:168], -v[169:170]
	ds_load_b128 v[6:9], v1 offset:1936
	s_wait_loadcnt_dscnt 0x401
	v_mul_f64_e32 v[36:37], v[2:3], v[12:13]
	v_mul_f64_e32 v[12:13], v[4:5], v[12:13]
	v_add_f64_e32 v[32:33], v[32:33], v[173:174]
	v_add_f64_e32 v[30:31], v[30:31], v[34:35]
	s_wait_loadcnt_dscnt 0x300
	v_mul_f64_e32 v[34:35], v[6:7], v[16:17]
	v_mul_f64_e32 v[16:17], v[8:9], v[16:17]
	v_fma_f64 v[36:37], v[4:5], v[10:11], v[36:37]
	v_fma_f64 v[10:11], v[2:3], v[10:11], -v[12:13]
	ds_load_b128 v[2:5], v1 offset:1952
	v_add_f64_e32 v[12:13], v[30:31], v[40:41]
	v_add_f64_e32 v[30:31], v[32:33], v[38:39]
	v_fma_f64 v[34:35], v[8:9], v[14:15], v[34:35]
	v_fma_f64 v[14:15], v[6:7], v[14:15], -v[16:17]
	ds_load_b128 v[6:9], v1 offset:1968
	s_wait_loadcnt_dscnt 0x201
	v_mul_f64_e32 v[32:33], v[2:3], v[20:21]
	v_mul_f64_e32 v[20:21], v[4:5], v[20:21]
	s_wait_loadcnt_dscnt 0x100
	v_mul_f64_e32 v[16:17], v[6:7], v[24:25]
	v_mul_f64_e32 v[24:25], v[8:9], v[24:25]
	v_add_f64_e32 v[10:11], v[12:13], v[10:11]
	v_add_f64_e32 v[12:13], v[30:31], v[36:37]
	v_fma_f64 v[4:5], v[4:5], v[18:19], v[32:33]
	v_fma_f64 v[1:2], v[2:3], v[18:19], -v[20:21]
	v_fma_f64 v[8:9], v[8:9], v[22:23], v[16:17]
	v_fma_f64 v[6:7], v[6:7], v[22:23], -v[24:25]
	v_add_f64_e32 v[10:11], v[10:11], v[14:15]
	v_add_f64_e32 v[12:13], v[12:13], v[34:35]
	s_delay_alu instid0(VALU_DEP_2) | instskip(NEXT) | instid1(VALU_DEP_2)
	v_add_f64_e32 v[1:2], v[10:11], v[1:2]
	v_add_f64_e32 v[3:4], v[12:13], v[4:5]
	s_delay_alu instid0(VALU_DEP_2) | instskip(NEXT) | instid1(VALU_DEP_2)
	v_add_f64_e32 v[1:2], v[1:2], v[6:7]
	v_add_f64_e32 v[3:4], v[3:4], v[8:9]
	s_wait_loadcnt 0x0
	s_delay_alu instid0(VALU_DEP_2) | instskip(NEXT) | instid1(VALU_DEP_2)
	v_add_f64_e64 v[1:2], v[26:27], -v[1:2]
	v_add_f64_e64 v[3:4], v[28:29], -v[3:4]
	scratch_store_b128 off, v[1:4], off offset:576
	v_cmpx_lt_u32_e32 34, v0
	s_cbranch_execz .LBB61_329
; %bb.328:
	scratch_load_b128 v[1:4], off, s12
	v_mov_b32_e32 v5, 0
	s_delay_alu instid0(VALU_DEP_1)
	v_dual_mov_b32 v6, v5 :: v_dual_mov_b32 v7, v5
	v_mov_b32_e32 v8, v5
	scratch_store_b128 off, v[5:8], off offset:560
	s_wait_loadcnt 0x0
	ds_store_b128 v166, v[1:4]
.LBB61_329:
	s_wait_alu 0xfffe
	s_or_b32 exec_lo, exec_lo, s0
	s_wait_storecnt_dscnt 0x0
	s_barrier_signal -1
	s_barrier_wait -1
	global_inv scope:SCOPE_SE
	s_clause 0x7
	scratch_load_b128 v[2:5], off, off offset:576
	scratch_load_b128 v[6:9], off, off offset:592
	;; [unrolled: 1-line block ×8, first 2 shown]
	v_mov_b32_e32 v1, 0
	s_clause 0x1
	scratch_load_b128 v[38:41], off, off offset:704
	scratch_load_b128 v[171:174], off, off offset:720
	s_mov_b32 s0, exec_lo
	ds_load_b128 v[34:37], v1 offset:1552
	ds_load_b128 v[167:170], v1 offset:1568
	s_wait_loadcnt_dscnt 0x901
	v_mul_f64_e32 v[175:176], v[36:37], v[4:5]
	v_mul_f64_e32 v[4:5], v[34:35], v[4:5]
	s_wait_loadcnt_dscnt 0x800
	v_mul_f64_e32 v[177:178], v[167:168], v[8:9]
	v_mul_f64_e32 v[8:9], v[169:170], v[8:9]
	s_delay_alu instid0(VALU_DEP_4) | instskip(NEXT) | instid1(VALU_DEP_4)
	v_fma_f64 v[175:176], v[34:35], v[2:3], -v[175:176]
	v_fma_f64 v[179:180], v[36:37], v[2:3], v[4:5]
	ds_load_b128 v[2:5], v1 offset:1584
	scratch_load_b128 v[34:37], off, off offset:736
	v_fma_f64 v[177:178], v[169:170], v[6:7], v[177:178]
	v_fma_f64 v[183:184], v[167:168], v[6:7], -v[8:9]
	ds_load_b128 v[6:9], v1 offset:1600
	scratch_load_b128 v[167:170], off, off offset:752
	s_wait_loadcnt_dscnt 0x901
	v_mul_f64_e32 v[181:182], v[2:3], v[12:13]
	v_mul_f64_e32 v[12:13], v[4:5], v[12:13]
	s_wait_loadcnt_dscnt 0x800
	v_mul_f64_e32 v[185:186], v[6:7], v[16:17]
	v_mul_f64_e32 v[16:17], v[8:9], v[16:17]
	v_add_f64_e32 v[175:176], 0, v[175:176]
	v_add_f64_e32 v[179:180], 0, v[179:180]
	v_fma_f64 v[181:182], v[4:5], v[10:11], v[181:182]
	v_fma_f64 v[187:188], v[2:3], v[10:11], -v[12:13]
	ds_load_b128 v[2:5], v1 offset:1616
	scratch_load_b128 v[10:13], off, off offset:768
	v_add_f64_e32 v[175:176], v[175:176], v[183:184]
	v_add_f64_e32 v[177:178], v[179:180], v[177:178]
	v_fma_f64 v[183:184], v[8:9], v[14:15], v[185:186]
	v_fma_f64 v[185:186], v[6:7], v[14:15], -v[16:17]
	ds_load_b128 v[6:9], v1 offset:1632
	scratch_load_b128 v[14:17], off, off offset:784
	s_wait_loadcnt_dscnt 0x901
	v_mul_f64_e32 v[179:180], v[2:3], v[20:21]
	v_mul_f64_e32 v[20:21], v[4:5], v[20:21]
	v_add_f64_e32 v[175:176], v[175:176], v[187:188]
	v_add_f64_e32 v[177:178], v[177:178], v[181:182]
	s_wait_loadcnt_dscnt 0x800
	v_mul_f64_e32 v[181:182], v[6:7], v[24:25]
	v_mul_f64_e32 v[24:25], v[8:9], v[24:25]
	v_fma_f64 v[179:180], v[4:5], v[18:19], v[179:180]
	v_fma_f64 v[187:188], v[2:3], v[18:19], -v[20:21]
	ds_load_b128 v[2:5], v1 offset:1648
	scratch_load_b128 v[18:21], off, off offset:800
	v_add_f64_e32 v[175:176], v[175:176], v[185:186]
	v_add_f64_e32 v[177:178], v[177:178], v[183:184]
	v_fma_f64 v[181:182], v[8:9], v[22:23], v[181:182]
	v_fma_f64 v[185:186], v[6:7], v[22:23], -v[24:25]
	ds_load_b128 v[6:9], v1 offset:1664
	s_wait_loadcnt_dscnt 0x801
	v_mul_f64_e32 v[183:184], v[2:3], v[28:29]
	v_mul_f64_e32 v[28:29], v[4:5], v[28:29]
	scratch_load_b128 v[22:25], off, off offset:816
	v_add_f64_e32 v[175:176], v[175:176], v[187:188]
	v_add_f64_e32 v[177:178], v[177:178], v[179:180]
	s_wait_loadcnt_dscnt 0x800
	v_mul_f64_e32 v[179:180], v[6:7], v[32:33]
	v_mul_f64_e32 v[32:33], v[8:9], v[32:33]
	v_fma_f64 v[183:184], v[4:5], v[26:27], v[183:184]
	v_fma_f64 v[187:188], v[2:3], v[26:27], -v[28:29]
	ds_load_b128 v[2:5], v1 offset:1680
	scratch_load_b128 v[26:29], off, off offset:832
	v_add_f64_e32 v[175:176], v[175:176], v[185:186]
	v_add_f64_e32 v[177:178], v[177:178], v[181:182]
	v_fma_f64 v[179:180], v[8:9], v[30:31], v[179:180]
	v_fma_f64 v[185:186], v[6:7], v[30:31], -v[32:33]
	ds_load_b128 v[6:9], v1 offset:1696
	s_wait_loadcnt_dscnt 0x801
	v_mul_f64_e32 v[181:182], v[2:3], v[40:41]
	v_mul_f64_e32 v[40:41], v[4:5], v[40:41]
	scratch_load_b128 v[30:33], off, off offset:848
	v_add_f64_e32 v[175:176], v[175:176], v[187:188]
	v_add_f64_e32 v[177:178], v[177:178], v[183:184]
	s_wait_loadcnt_dscnt 0x800
	v_mul_f64_e32 v[183:184], v[6:7], v[173:174]
	v_mul_f64_e32 v[173:174], v[8:9], v[173:174]
	v_fma_f64 v[181:182], v[4:5], v[38:39], v[181:182]
	v_fma_f64 v[187:188], v[2:3], v[38:39], -v[40:41]
	ds_load_b128 v[2:5], v1 offset:1712
	scratch_load_b128 v[38:41], off, off offset:864
	v_add_f64_e32 v[175:176], v[175:176], v[185:186]
	v_add_f64_e32 v[177:178], v[177:178], v[179:180]
	v_fma_f64 v[183:184], v[8:9], v[171:172], v[183:184]
	v_fma_f64 v[185:186], v[6:7], v[171:172], -v[173:174]
	ds_load_b128 v[6:9], v1 offset:1728
	scratch_load_b128 v[171:174], off, off offset:880
	s_wait_loadcnt_dscnt 0x901
	v_mul_f64_e32 v[179:180], v[2:3], v[36:37]
	v_mul_f64_e32 v[36:37], v[4:5], v[36:37]
	v_add_f64_e32 v[175:176], v[175:176], v[187:188]
	v_add_f64_e32 v[177:178], v[177:178], v[181:182]
	s_wait_loadcnt_dscnt 0x800
	v_mul_f64_e32 v[181:182], v[6:7], v[169:170]
	v_mul_f64_e32 v[169:170], v[8:9], v[169:170]
	v_fma_f64 v[179:180], v[4:5], v[34:35], v[179:180]
	v_fma_f64 v[187:188], v[2:3], v[34:35], -v[36:37]
	ds_load_b128 v[2:5], v1 offset:1744
	scratch_load_b128 v[34:37], off, off offset:896
	v_add_f64_e32 v[175:176], v[175:176], v[185:186]
	v_add_f64_e32 v[177:178], v[177:178], v[183:184]
	v_fma_f64 v[181:182], v[8:9], v[167:168], v[181:182]
	v_fma_f64 v[185:186], v[6:7], v[167:168], -v[169:170]
	ds_load_b128 v[6:9], v1 offset:1760
	s_wait_loadcnt_dscnt 0x801
	v_mul_f64_e32 v[183:184], v[2:3], v[12:13]
	v_mul_f64_e32 v[12:13], v[4:5], v[12:13]
	scratch_load_b128 v[167:170], off, off offset:912
	v_add_f64_e32 v[175:176], v[175:176], v[187:188]
	v_add_f64_e32 v[177:178], v[177:178], v[179:180]
	s_wait_loadcnt_dscnt 0x800
	v_mul_f64_e32 v[179:180], v[6:7], v[16:17]
	v_mul_f64_e32 v[16:17], v[8:9], v[16:17]
	v_fma_f64 v[183:184], v[4:5], v[10:11], v[183:184]
	v_fma_f64 v[187:188], v[2:3], v[10:11], -v[12:13]
	ds_load_b128 v[2:5], v1 offset:1776
	scratch_load_b128 v[10:13], off, off offset:928
	v_add_f64_e32 v[175:176], v[175:176], v[185:186]
	v_add_f64_e32 v[177:178], v[177:178], v[181:182]
	v_fma_f64 v[179:180], v[8:9], v[14:15], v[179:180]
	v_fma_f64 v[185:186], v[6:7], v[14:15], -v[16:17]
	ds_load_b128 v[6:9], v1 offset:1792
	s_wait_loadcnt_dscnt 0x801
	v_mul_f64_e32 v[181:182], v[2:3], v[20:21]
	v_mul_f64_e32 v[20:21], v[4:5], v[20:21]
	scratch_load_b128 v[14:17], off, off offset:944
	v_add_f64_e32 v[175:176], v[175:176], v[187:188]
	v_add_f64_e32 v[177:178], v[177:178], v[183:184]
	s_wait_loadcnt_dscnt 0x800
	v_mul_f64_e32 v[183:184], v[6:7], v[24:25]
	v_mul_f64_e32 v[24:25], v[8:9], v[24:25]
	v_fma_f64 v[181:182], v[4:5], v[18:19], v[181:182]
	v_fma_f64 v[187:188], v[2:3], v[18:19], -v[20:21]
	ds_load_b128 v[2:5], v1 offset:1808
	scratch_load_b128 v[18:21], off, off offset:960
	v_add_f64_e32 v[175:176], v[175:176], v[185:186]
	v_add_f64_e32 v[177:178], v[177:178], v[179:180]
	v_fma_f64 v[183:184], v[8:9], v[22:23], v[183:184]
	v_fma_f64 v[185:186], v[6:7], v[22:23], -v[24:25]
	ds_load_b128 v[6:9], v1 offset:1824
	s_wait_loadcnt_dscnt 0x801
	v_mul_f64_e32 v[179:180], v[2:3], v[28:29]
	v_mul_f64_e32 v[28:29], v[4:5], v[28:29]
	scratch_load_b128 v[22:25], off, off offset:976
	v_add_f64_e32 v[175:176], v[175:176], v[187:188]
	v_add_f64_e32 v[177:178], v[177:178], v[181:182]
	s_wait_loadcnt_dscnt 0x800
	v_mul_f64_e32 v[181:182], v[6:7], v[32:33]
	v_mul_f64_e32 v[32:33], v[8:9], v[32:33]
	v_fma_f64 v[179:180], v[4:5], v[26:27], v[179:180]
	v_fma_f64 v[187:188], v[2:3], v[26:27], -v[28:29]
	ds_load_b128 v[2:5], v1 offset:1840
	scratch_load_b128 v[26:29], off, off offset:992
	v_add_f64_e32 v[175:176], v[175:176], v[185:186]
	v_add_f64_e32 v[177:178], v[177:178], v[183:184]
	v_fma_f64 v[181:182], v[8:9], v[30:31], v[181:182]
	v_fma_f64 v[30:31], v[6:7], v[30:31], -v[32:33]
	ds_load_b128 v[6:9], v1 offset:1856
	s_wait_loadcnt_dscnt 0x801
	v_mul_f64_e32 v[183:184], v[2:3], v[40:41]
	v_mul_f64_e32 v[40:41], v[4:5], v[40:41]
	v_add_f64_e32 v[32:33], v[175:176], v[187:188]
	v_add_f64_e32 v[175:176], v[177:178], v[179:180]
	s_wait_loadcnt_dscnt 0x700
	v_mul_f64_e32 v[177:178], v[6:7], v[173:174]
	v_mul_f64_e32 v[173:174], v[8:9], v[173:174]
	v_fma_f64 v[179:180], v[4:5], v[38:39], v[183:184]
	v_fma_f64 v[38:39], v[2:3], v[38:39], -v[40:41]
	ds_load_b128 v[2:5], v1 offset:1872
	v_add_f64_e32 v[30:31], v[32:33], v[30:31]
	v_add_f64_e32 v[32:33], v[175:176], v[181:182]
	v_fma_f64 v[175:176], v[8:9], v[171:172], v[177:178]
	v_fma_f64 v[171:172], v[6:7], v[171:172], -v[173:174]
	ds_load_b128 v[6:9], v1 offset:1888
	s_wait_loadcnt_dscnt 0x500
	v_mul_f64_e32 v[177:178], v[6:7], v[169:170]
	v_mul_f64_e32 v[169:170], v[8:9], v[169:170]
	v_add_f64_e32 v[38:39], v[30:31], v[38:39]
	v_add_f64_e32 v[173:174], v[32:33], v[179:180]
	scratch_load_b128 v[30:33], off, off offset:560
	v_mul_f64_e32 v[40:41], v[2:3], v[36:37]
	v_mul_f64_e32 v[36:37], v[4:5], v[36:37]
	s_delay_alu instid0(VALU_DEP_2) | instskip(NEXT) | instid1(VALU_DEP_2)
	v_fma_f64 v[40:41], v[4:5], v[34:35], v[40:41]
	v_fma_f64 v[34:35], v[2:3], v[34:35], -v[36:37]
	v_add_f64_e32 v[36:37], v[38:39], v[171:172]
	v_add_f64_e32 v[38:39], v[173:174], v[175:176]
	ds_load_b128 v[2:5], v1 offset:1904
	v_fma_f64 v[173:174], v[8:9], v[167:168], v[177:178]
	v_fma_f64 v[167:168], v[6:7], v[167:168], -v[169:170]
	ds_load_b128 v[6:9], v1 offset:1920
	s_wait_loadcnt_dscnt 0x501
	v_mul_f64_e32 v[171:172], v[2:3], v[12:13]
	v_mul_f64_e32 v[12:13], v[4:5], v[12:13]
	v_add_f64_e32 v[34:35], v[36:37], v[34:35]
	v_add_f64_e32 v[36:37], v[38:39], v[40:41]
	s_wait_loadcnt_dscnt 0x400
	v_mul_f64_e32 v[38:39], v[6:7], v[16:17]
	v_mul_f64_e32 v[16:17], v[8:9], v[16:17]
	v_fma_f64 v[40:41], v[4:5], v[10:11], v[171:172]
	v_fma_f64 v[10:11], v[2:3], v[10:11], -v[12:13]
	ds_load_b128 v[2:5], v1 offset:1936
	v_add_f64_e32 v[12:13], v[34:35], v[167:168]
	v_add_f64_e32 v[34:35], v[36:37], v[173:174]
	v_fma_f64 v[38:39], v[8:9], v[14:15], v[38:39]
	v_fma_f64 v[14:15], v[6:7], v[14:15], -v[16:17]
	ds_load_b128 v[6:9], v1 offset:1952
	s_wait_loadcnt_dscnt 0x301
	v_mul_f64_e32 v[36:37], v[2:3], v[20:21]
	v_mul_f64_e32 v[20:21], v[4:5], v[20:21]
	s_wait_loadcnt_dscnt 0x200
	v_mul_f64_e32 v[16:17], v[6:7], v[24:25]
	v_mul_f64_e32 v[24:25], v[8:9], v[24:25]
	v_add_f64_e32 v[10:11], v[12:13], v[10:11]
	v_add_f64_e32 v[12:13], v[34:35], v[40:41]
	v_fma_f64 v[34:35], v[4:5], v[18:19], v[36:37]
	v_fma_f64 v[18:19], v[2:3], v[18:19], -v[20:21]
	ds_load_b128 v[2:5], v1 offset:1968
	v_fma_f64 v[8:9], v[8:9], v[22:23], v[16:17]
	v_fma_f64 v[6:7], v[6:7], v[22:23], -v[24:25]
	s_wait_loadcnt_dscnt 0x100
	v_mul_f64_e32 v[20:21], v[4:5], v[28:29]
	v_add_f64_e32 v[10:11], v[10:11], v[14:15]
	v_add_f64_e32 v[12:13], v[12:13], v[38:39]
	v_mul_f64_e32 v[14:15], v[2:3], v[28:29]
	s_delay_alu instid0(VALU_DEP_4) | instskip(NEXT) | instid1(VALU_DEP_4)
	v_fma_f64 v[2:3], v[2:3], v[26:27], -v[20:21]
	v_add_f64_e32 v[10:11], v[10:11], v[18:19]
	s_delay_alu instid0(VALU_DEP_4) | instskip(NEXT) | instid1(VALU_DEP_4)
	v_add_f64_e32 v[12:13], v[12:13], v[34:35]
	v_fma_f64 v[4:5], v[4:5], v[26:27], v[14:15]
	s_delay_alu instid0(VALU_DEP_3) | instskip(NEXT) | instid1(VALU_DEP_3)
	v_add_f64_e32 v[6:7], v[10:11], v[6:7]
	v_add_f64_e32 v[8:9], v[12:13], v[8:9]
	s_delay_alu instid0(VALU_DEP_2) | instskip(NEXT) | instid1(VALU_DEP_2)
	v_add_f64_e32 v[2:3], v[6:7], v[2:3]
	v_add_f64_e32 v[4:5], v[8:9], v[4:5]
	s_wait_loadcnt 0x0
	s_delay_alu instid0(VALU_DEP_2) | instskip(NEXT) | instid1(VALU_DEP_2)
	v_add_f64_e64 v[2:3], v[30:31], -v[2:3]
	v_add_f64_e64 v[4:5], v[32:33], -v[4:5]
	scratch_store_b128 off, v[2:5], off offset:560
	v_cmpx_lt_u32_e32 33, v0
	s_cbranch_execz .LBB61_331
; %bb.330:
	scratch_load_b128 v[5:8], off, s11
	v_dual_mov_b32 v2, v1 :: v_dual_mov_b32 v3, v1
	v_mov_b32_e32 v4, v1
	scratch_store_b128 off, v[1:4], off offset:544
	s_wait_loadcnt 0x0
	ds_store_b128 v166, v[5:8]
.LBB61_331:
	s_wait_alu 0xfffe
	s_or_b32 exec_lo, exec_lo, s0
	s_wait_storecnt_dscnt 0x0
	s_barrier_signal -1
	s_barrier_wait -1
	global_inv scope:SCOPE_SE
	s_clause 0x7
	scratch_load_b128 v[2:5], off, off offset:560
	scratch_load_b128 v[6:9], off, off offset:576
	;; [unrolled: 1-line block ×8, first 2 shown]
	ds_load_b128 v[34:37], v1 offset:1536
	ds_load_b128 v[167:170], v1 offset:1552
	s_clause 0x1
	scratch_load_b128 v[38:41], off, off offset:688
	scratch_load_b128 v[171:174], off, off offset:704
	s_mov_b32 s0, exec_lo
	s_wait_loadcnt_dscnt 0x901
	v_mul_f64_e32 v[175:176], v[36:37], v[4:5]
	v_mul_f64_e32 v[4:5], v[34:35], v[4:5]
	s_wait_loadcnt_dscnt 0x800
	v_mul_f64_e32 v[177:178], v[167:168], v[8:9]
	v_mul_f64_e32 v[8:9], v[169:170], v[8:9]
	s_delay_alu instid0(VALU_DEP_4) | instskip(NEXT) | instid1(VALU_DEP_4)
	v_fma_f64 v[175:176], v[34:35], v[2:3], -v[175:176]
	v_fma_f64 v[179:180], v[36:37], v[2:3], v[4:5]
	scratch_load_b128 v[34:37], off, off offset:720
	ds_load_b128 v[2:5], v1 offset:1568
	v_fma_f64 v[177:178], v[169:170], v[6:7], v[177:178]
	v_fma_f64 v[183:184], v[167:168], v[6:7], -v[8:9]
	ds_load_b128 v[6:9], v1 offset:1584
	scratch_load_b128 v[167:170], off, off offset:736
	s_wait_loadcnt_dscnt 0x901
	v_mul_f64_e32 v[181:182], v[2:3], v[12:13]
	v_mul_f64_e32 v[12:13], v[4:5], v[12:13]
	s_wait_loadcnt_dscnt 0x800
	v_mul_f64_e32 v[185:186], v[6:7], v[16:17]
	v_mul_f64_e32 v[16:17], v[8:9], v[16:17]
	v_add_f64_e32 v[175:176], 0, v[175:176]
	v_add_f64_e32 v[179:180], 0, v[179:180]
	v_fma_f64 v[181:182], v[4:5], v[10:11], v[181:182]
	v_fma_f64 v[187:188], v[2:3], v[10:11], -v[12:13]
	ds_load_b128 v[2:5], v1 offset:1600
	scratch_load_b128 v[10:13], off, off offset:752
	v_add_f64_e32 v[175:176], v[175:176], v[183:184]
	v_add_f64_e32 v[177:178], v[179:180], v[177:178]
	v_fma_f64 v[183:184], v[8:9], v[14:15], v[185:186]
	v_fma_f64 v[185:186], v[6:7], v[14:15], -v[16:17]
	ds_load_b128 v[6:9], v1 offset:1616
	scratch_load_b128 v[14:17], off, off offset:768
	s_wait_loadcnt_dscnt 0x901
	v_mul_f64_e32 v[179:180], v[2:3], v[20:21]
	v_mul_f64_e32 v[20:21], v[4:5], v[20:21]
	v_add_f64_e32 v[175:176], v[175:176], v[187:188]
	v_add_f64_e32 v[177:178], v[177:178], v[181:182]
	s_wait_loadcnt_dscnt 0x800
	v_mul_f64_e32 v[181:182], v[6:7], v[24:25]
	v_mul_f64_e32 v[24:25], v[8:9], v[24:25]
	v_fma_f64 v[179:180], v[4:5], v[18:19], v[179:180]
	v_fma_f64 v[187:188], v[2:3], v[18:19], -v[20:21]
	ds_load_b128 v[2:5], v1 offset:1632
	scratch_load_b128 v[18:21], off, off offset:784
	v_add_f64_e32 v[175:176], v[175:176], v[185:186]
	v_add_f64_e32 v[177:178], v[177:178], v[183:184]
	v_fma_f64 v[181:182], v[8:9], v[22:23], v[181:182]
	v_fma_f64 v[185:186], v[6:7], v[22:23], -v[24:25]
	ds_load_b128 v[6:9], v1 offset:1648
	s_wait_loadcnt_dscnt 0x801
	v_mul_f64_e32 v[183:184], v[2:3], v[28:29]
	v_mul_f64_e32 v[28:29], v[4:5], v[28:29]
	scratch_load_b128 v[22:25], off, off offset:800
	v_add_f64_e32 v[175:176], v[175:176], v[187:188]
	v_add_f64_e32 v[177:178], v[177:178], v[179:180]
	s_wait_loadcnt_dscnt 0x800
	v_mul_f64_e32 v[179:180], v[6:7], v[32:33]
	v_mul_f64_e32 v[32:33], v[8:9], v[32:33]
	v_fma_f64 v[183:184], v[4:5], v[26:27], v[183:184]
	v_fma_f64 v[187:188], v[2:3], v[26:27], -v[28:29]
	ds_load_b128 v[2:5], v1 offset:1664
	scratch_load_b128 v[26:29], off, off offset:816
	v_add_f64_e32 v[175:176], v[175:176], v[185:186]
	v_add_f64_e32 v[177:178], v[177:178], v[181:182]
	v_fma_f64 v[179:180], v[8:9], v[30:31], v[179:180]
	v_fma_f64 v[185:186], v[6:7], v[30:31], -v[32:33]
	ds_load_b128 v[6:9], v1 offset:1680
	s_wait_loadcnt_dscnt 0x801
	v_mul_f64_e32 v[181:182], v[2:3], v[40:41]
	v_mul_f64_e32 v[40:41], v[4:5], v[40:41]
	scratch_load_b128 v[30:33], off, off offset:832
	v_add_f64_e32 v[175:176], v[175:176], v[187:188]
	v_add_f64_e32 v[177:178], v[177:178], v[183:184]
	s_wait_loadcnt_dscnt 0x800
	v_mul_f64_e32 v[183:184], v[6:7], v[173:174]
	v_mul_f64_e32 v[173:174], v[8:9], v[173:174]
	v_fma_f64 v[181:182], v[4:5], v[38:39], v[181:182]
	v_fma_f64 v[187:188], v[2:3], v[38:39], -v[40:41]
	ds_load_b128 v[2:5], v1 offset:1696
	scratch_load_b128 v[38:41], off, off offset:848
	v_add_f64_e32 v[175:176], v[175:176], v[185:186]
	v_add_f64_e32 v[177:178], v[177:178], v[179:180]
	v_fma_f64 v[183:184], v[8:9], v[171:172], v[183:184]
	v_fma_f64 v[185:186], v[6:7], v[171:172], -v[173:174]
	ds_load_b128 v[6:9], v1 offset:1712
	scratch_load_b128 v[171:174], off, off offset:864
	s_wait_loadcnt_dscnt 0x901
	v_mul_f64_e32 v[179:180], v[2:3], v[36:37]
	v_mul_f64_e32 v[36:37], v[4:5], v[36:37]
	v_add_f64_e32 v[175:176], v[175:176], v[187:188]
	v_add_f64_e32 v[177:178], v[177:178], v[181:182]
	s_wait_loadcnt_dscnt 0x800
	v_mul_f64_e32 v[181:182], v[6:7], v[169:170]
	v_mul_f64_e32 v[169:170], v[8:9], v[169:170]
	v_fma_f64 v[179:180], v[4:5], v[34:35], v[179:180]
	v_fma_f64 v[187:188], v[2:3], v[34:35], -v[36:37]
	scratch_load_b128 v[34:37], off, off offset:880
	ds_load_b128 v[2:5], v1 offset:1728
	v_add_f64_e32 v[175:176], v[175:176], v[185:186]
	v_add_f64_e32 v[177:178], v[177:178], v[183:184]
	v_fma_f64 v[181:182], v[8:9], v[167:168], v[181:182]
	v_fma_f64 v[185:186], v[6:7], v[167:168], -v[169:170]
	ds_load_b128 v[6:9], v1 offset:1744
	s_wait_loadcnt_dscnt 0x801
	v_mul_f64_e32 v[183:184], v[2:3], v[12:13]
	v_mul_f64_e32 v[12:13], v[4:5], v[12:13]
	scratch_load_b128 v[167:170], off, off offset:896
	v_add_f64_e32 v[175:176], v[175:176], v[187:188]
	v_add_f64_e32 v[177:178], v[177:178], v[179:180]
	s_wait_loadcnt_dscnt 0x800
	v_mul_f64_e32 v[179:180], v[6:7], v[16:17]
	v_mul_f64_e32 v[16:17], v[8:9], v[16:17]
	v_fma_f64 v[183:184], v[4:5], v[10:11], v[183:184]
	v_fma_f64 v[187:188], v[2:3], v[10:11], -v[12:13]
	ds_load_b128 v[2:5], v1 offset:1760
	scratch_load_b128 v[10:13], off, off offset:912
	v_add_f64_e32 v[175:176], v[175:176], v[185:186]
	v_add_f64_e32 v[177:178], v[177:178], v[181:182]
	v_fma_f64 v[179:180], v[8:9], v[14:15], v[179:180]
	v_fma_f64 v[185:186], v[6:7], v[14:15], -v[16:17]
	ds_load_b128 v[6:9], v1 offset:1776
	s_wait_loadcnt_dscnt 0x801
	v_mul_f64_e32 v[181:182], v[2:3], v[20:21]
	v_mul_f64_e32 v[20:21], v[4:5], v[20:21]
	scratch_load_b128 v[14:17], off, off offset:928
	v_add_f64_e32 v[175:176], v[175:176], v[187:188]
	v_add_f64_e32 v[177:178], v[177:178], v[183:184]
	s_wait_loadcnt_dscnt 0x800
	v_mul_f64_e32 v[183:184], v[6:7], v[24:25]
	v_mul_f64_e32 v[24:25], v[8:9], v[24:25]
	v_fma_f64 v[181:182], v[4:5], v[18:19], v[181:182]
	v_fma_f64 v[187:188], v[2:3], v[18:19], -v[20:21]
	ds_load_b128 v[2:5], v1 offset:1792
	scratch_load_b128 v[18:21], off, off offset:944
	;; [unrolled: 18-line block ×3, first 2 shown]
	v_add_f64_e32 v[175:176], v[175:176], v[185:186]
	v_add_f64_e32 v[177:178], v[177:178], v[183:184]
	v_fma_f64 v[181:182], v[8:9], v[30:31], v[181:182]
	v_fma_f64 v[185:186], v[6:7], v[30:31], -v[32:33]
	ds_load_b128 v[6:9], v1 offset:1840
	s_wait_loadcnt_dscnt 0x801
	v_mul_f64_e32 v[183:184], v[2:3], v[40:41]
	v_mul_f64_e32 v[40:41], v[4:5], v[40:41]
	scratch_load_b128 v[30:33], off, off offset:992
	v_add_f64_e32 v[175:176], v[175:176], v[187:188]
	v_add_f64_e32 v[177:178], v[177:178], v[179:180]
	v_fma_f64 v[183:184], v[4:5], v[38:39], v[183:184]
	v_fma_f64 v[38:39], v[2:3], v[38:39], -v[40:41]
	ds_load_b128 v[2:5], v1 offset:1856
	v_add_f64_e32 v[40:41], v[175:176], v[185:186]
	v_add_f64_e32 v[175:176], v[177:178], v[181:182]
	s_wait_loadcnt_dscnt 0x700
	v_mul_f64_e32 v[177:178], v[2:3], v[36:37]
	v_mul_f64_e32 v[36:37], v[4:5], v[36:37]
	s_delay_alu instid0(VALU_DEP_4) | instskip(NEXT) | instid1(VALU_DEP_4)
	v_add_f64_e32 v[38:39], v[40:41], v[38:39]
	v_add_f64_e32 v[40:41], v[175:176], v[183:184]
	s_delay_alu instid0(VALU_DEP_4) | instskip(NEXT) | instid1(VALU_DEP_4)
	v_fma_f64 v[175:176], v[4:5], v[34:35], v[177:178]
	v_fma_f64 v[177:178], v[2:3], v[34:35], -v[36:37]
	scratch_load_b128 v[34:37], off, off offset:544
	v_mul_f64_e32 v[179:180], v[6:7], v[173:174]
	v_mul_f64_e32 v[173:174], v[8:9], v[173:174]
	ds_load_b128 v[2:5], v1 offset:1888
	v_fma_f64 v[179:180], v[8:9], v[171:172], v[179:180]
	v_fma_f64 v[171:172], v[6:7], v[171:172], -v[173:174]
	ds_load_b128 v[6:9], v1 offset:1872
	s_wait_loadcnt_dscnt 0x700
	v_mul_f64_e32 v[173:174], v[6:7], v[169:170]
	v_mul_f64_e32 v[169:170], v[8:9], v[169:170]
	v_add_f64_e32 v[40:41], v[40:41], v[179:180]
	v_add_f64_e32 v[38:39], v[38:39], v[171:172]
	s_wait_loadcnt 0x6
	v_mul_f64_e32 v[171:172], v[2:3], v[12:13]
	v_mul_f64_e32 v[12:13], v[4:5], v[12:13]
	v_fma_f64 v[173:174], v[8:9], v[167:168], v[173:174]
	v_fma_f64 v[167:168], v[6:7], v[167:168], -v[169:170]
	ds_load_b128 v[6:9], v1 offset:1904
	v_add_f64_e32 v[40:41], v[40:41], v[175:176]
	v_add_f64_e32 v[38:39], v[38:39], v[177:178]
	v_fma_f64 v[171:172], v[4:5], v[10:11], v[171:172]
	v_fma_f64 v[10:11], v[2:3], v[10:11], -v[12:13]
	ds_load_b128 v[2:5], v1 offset:1920
	s_wait_loadcnt_dscnt 0x501
	v_mul_f64_e32 v[169:170], v[6:7], v[16:17]
	v_mul_f64_e32 v[16:17], v[8:9], v[16:17]
	v_add_f64_e32 v[12:13], v[38:39], v[167:168]
	v_add_f64_e32 v[38:39], v[40:41], v[173:174]
	s_wait_loadcnt_dscnt 0x400
	v_mul_f64_e32 v[40:41], v[2:3], v[20:21]
	v_mul_f64_e32 v[20:21], v[4:5], v[20:21]
	v_fma_f64 v[167:168], v[8:9], v[14:15], v[169:170]
	v_fma_f64 v[14:15], v[6:7], v[14:15], -v[16:17]
	ds_load_b128 v[6:9], v1 offset:1936
	v_add_f64_e32 v[10:11], v[12:13], v[10:11]
	v_add_f64_e32 v[12:13], v[38:39], v[171:172]
	v_fma_f64 v[38:39], v[4:5], v[18:19], v[40:41]
	v_fma_f64 v[18:19], v[2:3], v[18:19], -v[20:21]
	ds_load_b128 v[2:5], v1 offset:1952
	s_wait_loadcnt_dscnt 0x301
	v_mul_f64_e32 v[16:17], v[6:7], v[24:25]
	v_mul_f64_e32 v[24:25], v[8:9], v[24:25]
	s_wait_loadcnt_dscnt 0x200
	v_mul_f64_e32 v[20:21], v[4:5], v[28:29]
	v_add_f64_e32 v[10:11], v[10:11], v[14:15]
	v_add_f64_e32 v[12:13], v[12:13], v[167:168]
	v_mul_f64_e32 v[14:15], v[2:3], v[28:29]
	v_fma_f64 v[16:17], v[8:9], v[22:23], v[16:17]
	v_fma_f64 v[22:23], v[6:7], v[22:23], -v[24:25]
	ds_load_b128 v[6:9], v1 offset:1968
	v_fma_f64 v[1:2], v[2:3], v[26:27], -v[20:21]
	s_wait_loadcnt_dscnt 0x100
	v_mul_f64_e32 v[24:25], v[8:9], v[32:33]
	v_add_f64_e32 v[10:11], v[10:11], v[18:19]
	v_add_f64_e32 v[12:13], v[12:13], v[38:39]
	v_mul_f64_e32 v[18:19], v[6:7], v[32:33]
	v_fma_f64 v[4:5], v[4:5], v[26:27], v[14:15]
	v_fma_f64 v[6:7], v[6:7], v[30:31], -v[24:25]
	v_add_f64_e32 v[10:11], v[10:11], v[22:23]
	v_add_f64_e32 v[12:13], v[12:13], v[16:17]
	v_fma_f64 v[8:9], v[8:9], v[30:31], v[18:19]
	s_delay_alu instid0(VALU_DEP_3) | instskip(NEXT) | instid1(VALU_DEP_3)
	v_add_f64_e32 v[1:2], v[10:11], v[1:2]
	v_add_f64_e32 v[3:4], v[12:13], v[4:5]
	s_delay_alu instid0(VALU_DEP_2) | instskip(NEXT) | instid1(VALU_DEP_2)
	v_add_f64_e32 v[1:2], v[1:2], v[6:7]
	v_add_f64_e32 v[3:4], v[3:4], v[8:9]
	s_wait_loadcnt 0x0
	s_delay_alu instid0(VALU_DEP_2) | instskip(NEXT) | instid1(VALU_DEP_2)
	v_add_f64_e64 v[1:2], v[34:35], -v[1:2]
	v_add_f64_e64 v[3:4], v[36:37], -v[3:4]
	scratch_store_b128 off, v[1:4], off offset:544
	v_cmpx_lt_u32_e32 32, v0
	s_cbranch_execz .LBB61_333
; %bb.332:
	scratch_load_b128 v[1:4], off, s14
	v_mov_b32_e32 v5, 0
	s_delay_alu instid0(VALU_DEP_1)
	v_dual_mov_b32 v6, v5 :: v_dual_mov_b32 v7, v5
	v_mov_b32_e32 v8, v5
	scratch_store_b128 off, v[5:8], off offset:528
	s_wait_loadcnt 0x0
	ds_store_b128 v166, v[1:4]
.LBB61_333:
	s_wait_alu 0xfffe
	s_or_b32 exec_lo, exec_lo, s0
	s_wait_storecnt_dscnt 0x0
	s_barrier_signal -1
	s_barrier_wait -1
	global_inv scope:SCOPE_SE
	s_clause 0x7
	scratch_load_b128 v[2:5], off, off offset:544
	scratch_load_b128 v[6:9], off, off offset:560
	scratch_load_b128 v[10:13], off, off offset:576
	scratch_load_b128 v[14:17], off, off offset:592
	scratch_load_b128 v[18:21], off, off offset:608
	scratch_load_b128 v[22:25], off, off offset:624
	scratch_load_b128 v[26:29], off, off offset:640
	scratch_load_b128 v[30:33], off, off offset:656
	v_mov_b32_e32 v1, 0
	s_clause 0x1
	scratch_load_b128 v[38:41], off, off offset:672
	scratch_load_b128 v[171:174], off, off offset:688
	s_mov_b32 s0, exec_lo
	ds_load_b128 v[34:37], v1 offset:1520
	ds_load_b128 v[167:170], v1 offset:1536
	s_wait_loadcnt_dscnt 0x901
	v_mul_f64_e32 v[175:176], v[36:37], v[4:5]
	v_mul_f64_e32 v[4:5], v[34:35], v[4:5]
	s_wait_loadcnt_dscnt 0x800
	v_mul_f64_e32 v[177:178], v[167:168], v[8:9]
	v_mul_f64_e32 v[8:9], v[169:170], v[8:9]
	s_delay_alu instid0(VALU_DEP_4) | instskip(NEXT) | instid1(VALU_DEP_4)
	v_fma_f64 v[175:176], v[34:35], v[2:3], -v[175:176]
	v_fma_f64 v[179:180], v[36:37], v[2:3], v[4:5]
	ds_load_b128 v[2:5], v1 offset:1552
	scratch_load_b128 v[34:37], off, off offset:704
	v_fma_f64 v[177:178], v[169:170], v[6:7], v[177:178]
	v_fma_f64 v[183:184], v[167:168], v[6:7], -v[8:9]
	ds_load_b128 v[6:9], v1 offset:1568
	scratch_load_b128 v[167:170], off, off offset:720
	s_wait_loadcnt_dscnt 0x901
	v_mul_f64_e32 v[181:182], v[2:3], v[12:13]
	v_mul_f64_e32 v[12:13], v[4:5], v[12:13]
	s_wait_loadcnt_dscnt 0x800
	v_mul_f64_e32 v[185:186], v[6:7], v[16:17]
	v_mul_f64_e32 v[16:17], v[8:9], v[16:17]
	v_add_f64_e32 v[175:176], 0, v[175:176]
	v_add_f64_e32 v[179:180], 0, v[179:180]
	v_fma_f64 v[181:182], v[4:5], v[10:11], v[181:182]
	v_fma_f64 v[187:188], v[2:3], v[10:11], -v[12:13]
	ds_load_b128 v[2:5], v1 offset:1584
	scratch_load_b128 v[10:13], off, off offset:736
	v_add_f64_e32 v[175:176], v[175:176], v[183:184]
	v_add_f64_e32 v[177:178], v[179:180], v[177:178]
	v_fma_f64 v[183:184], v[8:9], v[14:15], v[185:186]
	v_fma_f64 v[185:186], v[6:7], v[14:15], -v[16:17]
	ds_load_b128 v[6:9], v1 offset:1600
	scratch_load_b128 v[14:17], off, off offset:752
	s_wait_loadcnt_dscnt 0x901
	v_mul_f64_e32 v[179:180], v[2:3], v[20:21]
	v_mul_f64_e32 v[20:21], v[4:5], v[20:21]
	v_add_f64_e32 v[175:176], v[175:176], v[187:188]
	v_add_f64_e32 v[177:178], v[177:178], v[181:182]
	s_wait_loadcnt_dscnt 0x800
	v_mul_f64_e32 v[181:182], v[6:7], v[24:25]
	v_mul_f64_e32 v[24:25], v[8:9], v[24:25]
	v_fma_f64 v[179:180], v[4:5], v[18:19], v[179:180]
	v_fma_f64 v[187:188], v[2:3], v[18:19], -v[20:21]
	ds_load_b128 v[2:5], v1 offset:1616
	scratch_load_b128 v[18:21], off, off offset:768
	v_add_f64_e32 v[175:176], v[175:176], v[185:186]
	v_add_f64_e32 v[177:178], v[177:178], v[183:184]
	v_fma_f64 v[181:182], v[8:9], v[22:23], v[181:182]
	v_fma_f64 v[185:186], v[6:7], v[22:23], -v[24:25]
	ds_load_b128 v[6:9], v1 offset:1632
	s_wait_loadcnt_dscnt 0x801
	v_mul_f64_e32 v[183:184], v[2:3], v[28:29]
	v_mul_f64_e32 v[28:29], v[4:5], v[28:29]
	scratch_load_b128 v[22:25], off, off offset:784
	v_add_f64_e32 v[175:176], v[175:176], v[187:188]
	v_add_f64_e32 v[177:178], v[177:178], v[179:180]
	s_wait_loadcnt_dscnt 0x800
	v_mul_f64_e32 v[179:180], v[6:7], v[32:33]
	v_mul_f64_e32 v[32:33], v[8:9], v[32:33]
	v_fma_f64 v[183:184], v[4:5], v[26:27], v[183:184]
	v_fma_f64 v[187:188], v[2:3], v[26:27], -v[28:29]
	ds_load_b128 v[2:5], v1 offset:1648
	scratch_load_b128 v[26:29], off, off offset:800
	v_add_f64_e32 v[175:176], v[175:176], v[185:186]
	v_add_f64_e32 v[177:178], v[177:178], v[181:182]
	v_fma_f64 v[179:180], v[8:9], v[30:31], v[179:180]
	v_fma_f64 v[185:186], v[6:7], v[30:31], -v[32:33]
	ds_load_b128 v[6:9], v1 offset:1664
	s_wait_loadcnt_dscnt 0x801
	v_mul_f64_e32 v[181:182], v[2:3], v[40:41]
	v_mul_f64_e32 v[40:41], v[4:5], v[40:41]
	scratch_load_b128 v[30:33], off, off offset:816
	v_add_f64_e32 v[175:176], v[175:176], v[187:188]
	v_add_f64_e32 v[177:178], v[177:178], v[183:184]
	s_wait_loadcnt_dscnt 0x800
	v_mul_f64_e32 v[183:184], v[6:7], v[173:174]
	v_mul_f64_e32 v[173:174], v[8:9], v[173:174]
	v_fma_f64 v[181:182], v[4:5], v[38:39], v[181:182]
	v_fma_f64 v[187:188], v[2:3], v[38:39], -v[40:41]
	ds_load_b128 v[2:5], v1 offset:1680
	scratch_load_b128 v[38:41], off, off offset:832
	v_add_f64_e32 v[175:176], v[175:176], v[185:186]
	v_add_f64_e32 v[177:178], v[177:178], v[179:180]
	v_fma_f64 v[183:184], v[8:9], v[171:172], v[183:184]
	v_fma_f64 v[185:186], v[6:7], v[171:172], -v[173:174]
	ds_load_b128 v[6:9], v1 offset:1696
	scratch_load_b128 v[171:174], off, off offset:848
	s_wait_loadcnt_dscnt 0x901
	v_mul_f64_e32 v[179:180], v[2:3], v[36:37]
	v_mul_f64_e32 v[36:37], v[4:5], v[36:37]
	v_add_f64_e32 v[175:176], v[175:176], v[187:188]
	v_add_f64_e32 v[177:178], v[177:178], v[181:182]
	s_wait_loadcnt_dscnt 0x800
	v_mul_f64_e32 v[181:182], v[6:7], v[169:170]
	v_mul_f64_e32 v[169:170], v[8:9], v[169:170]
	v_fma_f64 v[179:180], v[4:5], v[34:35], v[179:180]
	v_fma_f64 v[187:188], v[2:3], v[34:35], -v[36:37]
	ds_load_b128 v[2:5], v1 offset:1712
	scratch_load_b128 v[34:37], off, off offset:864
	v_add_f64_e32 v[175:176], v[175:176], v[185:186]
	v_add_f64_e32 v[177:178], v[177:178], v[183:184]
	v_fma_f64 v[181:182], v[8:9], v[167:168], v[181:182]
	v_fma_f64 v[185:186], v[6:7], v[167:168], -v[169:170]
	ds_load_b128 v[6:9], v1 offset:1728
	s_wait_loadcnt_dscnt 0x801
	v_mul_f64_e32 v[183:184], v[2:3], v[12:13]
	v_mul_f64_e32 v[12:13], v[4:5], v[12:13]
	scratch_load_b128 v[167:170], off, off offset:880
	v_add_f64_e32 v[175:176], v[175:176], v[187:188]
	v_add_f64_e32 v[177:178], v[177:178], v[179:180]
	s_wait_loadcnt_dscnt 0x800
	v_mul_f64_e32 v[179:180], v[6:7], v[16:17]
	v_mul_f64_e32 v[16:17], v[8:9], v[16:17]
	v_fma_f64 v[183:184], v[4:5], v[10:11], v[183:184]
	v_fma_f64 v[187:188], v[2:3], v[10:11], -v[12:13]
	ds_load_b128 v[2:5], v1 offset:1744
	scratch_load_b128 v[10:13], off, off offset:896
	v_add_f64_e32 v[175:176], v[175:176], v[185:186]
	v_add_f64_e32 v[177:178], v[177:178], v[181:182]
	v_fma_f64 v[179:180], v[8:9], v[14:15], v[179:180]
	v_fma_f64 v[185:186], v[6:7], v[14:15], -v[16:17]
	ds_load_b128 v[6:9], v1 offset:1760
	s_wait_loadcnt_dscnt 0x801
	v_mul_f64_e32 v[181:182], v[2:3], v[20:21]
	v_mul_f64_e32 v[20:21], v[4:5], v[20:21]
	scratch_load_b128 v[14:17], off, off offset:912
	;; [unrolled: 18-line block ×4, first 2 shown]
	v_add_f64_e32 v[175:176], v[175:176], v[187:188]
	v_add_f64_e32 v[177:178], v[177:178], v[179:180]
	s_wait_loadcnt_dscnt 0x800
	v_mul_f64_e32 v[179:180], v[6:7], v[173:174]
	v_mul_f64_e32 v[173:174], v[8:9], v[173:174]
	v_fma_f64 v[183:184], v[4:5], v[38:39], v[183:184]
	v_fma_f64 v[187:188], v[2:3], v[38:39], -v[40:41]
	ds_load_b128 v[2:5], v1 offset:1840
	scratch_load_b128 v[38:41], off, off offset:992
	v_add_f64_e32 v[175:176], v[175:176], v[185:186]
	v_add_f64_e32 v[177:178], v[177:178], v[181:182]
	v_fma_f64 v[179:180], v[8:9], v[171:172], v[179:180]
	v_fma_f64 v[171:172], v[6:7], v[171:172], -v[173:174]
	ds_load_b128 v[6:9], v1 offset:1856
	s_wait_loadcnt_dscnt 0x801
	v_mul_f64_e32 v[181:182], v[2:3], v[36:37]
	v_mul_f64_e32 v[36:37], v[4:5], v[36:37]
	v_add_f64_e32 v[173:174], v[175:176], v[187:188]
	v_add_f64_e32 v[175:176], v[177:178], v[183:184]
	s_wait_loadcnt_dscnt 0x700
	v_mul_f64_e32 v[177:178], v[6:7], v[169:170]
	v_mul_f64_e32 v[169:170], v[8:9], v[169:170]
	v_fma_f64 v[181:182], v[4:5], v[34:35], v[181:182]
	v_fma_f64 v[34:35], v[2:3], v[34:35], -v[36:37]
	ds_load_b128 v[2:5], v1 offset:1872
	v_add_f64_e32 v[36:37], v[173:174], v[171:172]
	v_add_f64_e32 v[171:172], v[175:176], v[179:180]
	v_fma_f64 v[175:176], v[8:9], v[167:168], v[177:178]
	v_fma_f64 v[167:168], v[6:7], v[167:168], -v[169:170]
	ds_load_b128 v[6:9], v1 offset:1888
	s_wait_loadcnt_dscnt 0x500
	v_mul_f64_e32 v[177:178], v[6:7], v[16:17]
	v_mul_f64_e32 v[16:17], v[8:9], v[16:17]
	v_add_f64_e32 v[169:170], v[36:37], v[34:35]
	v_add_f64_e32 v[171:172], v[171:172], v[181:182]
	scratch_load_b128 v[34:37], off, off offset:528
	v_mul_f64_e32 v[173:174], v[2:3], v[12:13]
	v_mul_f64_e32 v[12:13], v[4:5], v[12:13]
	s_delay_alu instid0(VALU_DEP_2) | instskip(NEXT) | instid1(VALU_DEP_2)
	v_fma_f64 v[173:174], v[4:5], v[10:11], v[173:174]
	v_fma_f64 v[10:11], v[2:3], v[10:11], -v[12:13]
	v_add_f64_e32 v[12:13], v[169:170], v[167:168]
	v_add_f64_e32 v[167:168], v[171:172], v[175:176]
	ds_load_b128 v[2:5], v1 offset:1904
	v_fma_f64 v[171:172], v[8:9], v[14:15], v[177:178]
	v_fma_f64 v[14:15], v[6:7], v[14:15], -v[16:17]
	ds_load_b128 v[6:9], v1 offset:1920
	s_wait_loadcnt_dscnt 0x501
	v_mul_f64_e32 v[169:170], v[2:3], v[20:21]
	v_mul_f64_e32 v[20:21], v[4:5], v[20:21]
	s_wait_loadcnt_dscnt 0x400
	v_mul_f64_e32 v[16:17], v[6:7], v[24:25]
	v_mul_f64_e32 v[24:25], v[8:9], v[24:25]
	v_add_f64_e32 v[10:11], v[12:13], v[10:11]
	v_add_f64_e32 v[12:13], v[167:168], v[173:174]
	v_fma_f64 v[167:168], v[4:5], v[18:19], v[169:170]
	v_fma_f64 v[18:19], v[2:3], v[18:19], -v[20:21]
	ds_load_b128 v[2:5], v1 offset:1936
	v_fma_f64 v[16:17], v[8:9], v[22:23], v[16:17]
	v_fma_f64 v[22:23], v[6:7], v[22:23], -v[24:25]
	ds_load_b128 v[6:9], v1 offset:1952
	v_add_f64_e32 v[10:11], v[10:11], v[14:15]
	v_add_f64_e32 v[12:13], v[12:13], v[171:172]
	s_wait_loadcnt_dscnt 0x301
	v_mul_f64_e32 v[14:15], v[2:3], v[28:29]
	v_mul_f64_e32 v[20:21], v[4:5], v[28:29]
	s_wait_loadcnt_dscnt 0x200
	v_mul_f64_e32 v[24:25], v[8:9], v[32:33]
	v_add_f64_e32 v[10:11], v[10:11], v[18:19]
	v_add_f64_e32 v[12:13], v[12:13], v[167:168]
	v_mul_f64_e32 v[18:19], v[6:7], v[32:33]
	v_fma_f64 v[14:15], v[4:5], v[26:27], v[14:15]
	v_fma_f64 v[20:21], v[2:3], v[26:27], -v[20:21]
	ds_load_b128 v[2:5], v1 offset:1968
	v_fma_f64 v[6:7], v[6:7], v[30:31], -v[24:25]
	v_add_f64_e32 v[10:11], v[10:11], v[22:23]
	v_add_f64_e32 v[12:13], v[12:13], v[16:17]
	s_wait_loadcnt_dscnt 0x100
	v_mul_f64_e32 v[16:17], v[2:3], v[40:41]
	v_mul_f64_e32 v[22:23], v[4:5], v[40:41]
	v_fma_f64 v[8:9], v[8:9], v[30:31], v[18:19]
	v_add_f64_e32 v[10:11], v[10:11], v[20:21]
	v_add_f64_e32 v[12:13], v[12:13], v[14:15]
	v_fma_f64 v[4:5], v[4:5], v[38:39], v[16:17]
	v_fma_f64 v[2:3], v[2:3], v[38:39], -v[22:23]
	s_delay_alu instid0(VALU_DEP_4) | instskip(NEXT) | instid1(VALU_DEP_4)
	v_add_f64_e32 v[6:7], v[10:11], v[6:7]
	v_add_f64_e32 v[8:9], v[12:13], v[8:9]
	s_delay_alu instid0(VALU_DEP_2) | instskip(NEXT) | instid1(VALU_DEP_2)
	v_add_f64_e32 v[2:3], v[6:7], v[2:3]
	v_add_f64_e32 v[4:5], v[8:9], v[4:5]
	s_wait_loadcnt 0x0
	s_delay_alu instid0(VALU_DEP_2) | instskip(NEXT) | instid1(VALU_DEP_2)
	v_add_f64_e64 v[2:3], v[34:35], -v[2:3]
	v_add_f64_e64 v[4:5], v[36:37], -v[4:5]
	scratch_store_b128 off, v[2:5], off offset:528
	v_cmpx_lt_u32_e32 31, v0
	s_cbranch_execz .LBB61_335
; %bb.334:
	scratch_load_b128 v[5:8], off, s13
	v_dual_mov_b32 v2, v1 :: v_dual_mov_b32 v3, v1
	v_mov_b32_e32 v4, v1
	scratch_store_b128 off, v[1:4], off offset:512
	s_wait_loadcnt 0x0
	ds_store_b128 v166, v[5:8]
.LBB61_335:
	s_wait_alu 0xfffe
	s_or_b32 exec_lo, exec_lo, s0
	s_wait_storecnt_dscnt 0x0
	s_barrier_signal -1
	s_barrier_wait -1
	global_inv scope:SCOPE_SE
	s_clause 0x7
	scratch_load_b128 v[2:5], off, off offset:528
	scratch_load_b128 v[6:9], off, off offset:544
	;; [unrolled: 1-line block ×8, first 2 shown]
	ds_load_b128 v[34:37], v1 offset:1504
	ds_load_b128 v[167:170], v1 offset:1520
	s_clause 0x1
	scratch_load_b128 v[38:41], off, off offset:656
	scratch_load_b128 v[171:174], off, off offset:672
	s_mov_b32 s0, exec_lo
	s_wait_loadcnt_dscnt 0x901
	v_mul_f64_e32 v[175:176], v[36:37], v[4:5]
	v_mul_f64_e32 v[4:5], v[34:35], v[4:5]
	s_wait_loadcnt_dscnt 0x800
	v_mul_f64_e32 v[177:178], v[167:168], v[8:9]
	v_mul_f64_e32 v[8:9], v[169:170], v[8:9]
	s_delay_alu instid0(VALU_DEP_4) | instskip(NEXT) | instid1(VALU_DEP_4)
	v_fma_f64 v[175:176], v[34:35], v[2:3], -v[175:176]
	v_fma_f64 v[179:180], v[36:37], v[2:3], v[4:5]
	ds_load_b128 v[2:5], v1 offset:1536
	scratch_load_b128 v[34:37], off, off offset:688
	v_fma_f64 v[177:178], v[169:170], v[6:7], v[177:178]
	v_fma_f64 v[183:184], v[167:168], v[6:7], -v[8:9]
	ds_load_b128 v[6:9], v1 offset:1552
	scratch_load_b128 v[167:170], off, off offset:704
	s_wait_loadcnt_dscnt 0x901
	v_mul_f64_e32 v[181:182], v[2:3], v[12:13]
	v_mul_f64_e32 v[12:13], v[4:5], v[12:13]
	s_wait_loadcnt_dscnt 0x800
	v_mul_f64_e32 v[185:186], v[6:7], v[16:17]
	v_mul_f64_e32 v[16:17], v[8:9], v[16:17]
	v_add_f64_e32 v[175:176], 0, v[175:176]
	v_add_f64_e32 v[179:180], 0, v[179:180]
	v_fma_f64 v[181:182], v[4:5], v[10:11], v[181:182]
	v_fma_f64 v[187:188], v[2:3], v[10:11], -v[12:13]
	scratch_load_b128 v[10:13], off, off offset:720
	ds_load_b128 v[2:5], v1 offset:1568
	v_add_f64_e32 v[175:176], v[175:176], v[183:184]
	v_add_f64_e32 v[177:178], v[179:180], v[177:178]
	v_fma_f64 v[183:184], v[8:9], v[14:15], v[185:186]
	v_fma_f64 v[185:186], v[6:7], v[14:15], -v[16:17]
	ds_load_b128 v[6:9], v1 offset:1584
	scratch_load_b128 v[14:17], off, off offset:736
	s_wait_loadcnt_dscnt 0x901
	v_mul_f64_e32 v[179:180], v[2:3], v[20:21]
	v_mul_f64_e32 v[20:21], v[4:5], v[20:21]
	v_add_f64_e32 v[175:176], v[175:176], v[187:188]
	v_add_f64_e32 v[177:178], v[177:178], v[181:182]
	s_wait_loadcnt_dscnt 0x800
	v_mul_f64_e32 v[181:182], v[6:7], v[24:25]
	v_mul_f64_e32 v[24:25], v[8:9], v[24:25]
	v_fma_f64 v[179:180], v[4:5], v[18:19], v[179:180]
	v_fma_f64 v[187:188], v[2:3], v[18:19], -v[20:21]
	ds_load_b128 v[2:5], v1 offset:1600
	scratch_load_b128 v[18:21], off, off offset:752
	v_add_f64_e32 v[175:176], v[175:176], v[185:186]
	v_add_f64_e32 v[177:178], v[177:178], v[183:184]
	v_fma_f64 v[181:182], v[8:9], v[22:23], v[181:182]
	v_fma_f64 v[185:186], v[6:7], v[22:23], -v[24:25]
	ds_load_b128 v[6:9], v1 offset:1616
	s_wait_loadcnt_dscnt 0x801
	v_mul_f64_e32 v[183:184], v[2:3], v[28:29]
	v_mul_f64_e32 v[28:29], v[4:5], v[28:29]
	scratch_load_b128 v[22:25], off, off offset:768
	v_add_f64_e32 v[175:176], v[175:176], v[187:188]
	v_add_f64_e32 v[177:178], v[177:178], v[179:180]
	s_wait_loadcnt_dscnt 0x800
	v_mul_f64_e32 v[179:180], v[6:7], v[32:33]
	v_mul_f64_e32 v[32:33], v[8:9], v[32:33]
	v_fma_f64 v[183:184], v[4:5], v[26:27], v[183:184]
	v_fma_f64 v[187:188], v[2:3], v[26:27], -v[28:29]
	ds_load_b128 v[2:5], v1 offset:1632
	scratch_load_b128 v[26:29], off, off offset:784
	v_add_f64_e32 v[175:176], v[175:176], v[185:186]
	v_add_f64_e32 v[177:178], v[177:178], v[181:182]
	v_fma_f64 v[179:180], v[8:9], v[30:31], v[179:180]
	v_fma_f64 v[185:186], v[6:7], v[30:31], -v[32:33]
	ds_load_b128 v[6:9], v1 offset:1648
	s_wait_loadcnt_dscnt 0x801
	v_mul_f64_e32 v[181:182], v[2:3], v[40:41]
	v_mul_f64_e32 v[40:41], v[4:5], v[40:41]
	scratch_load_b128 v[30:33], off, off offset:800
	v_add_f64_e32 v[175:176], v[175:176], v[187:188]
	v_add_f64_e32 v[177:178], v[177:178], v[183:184]
	s_wait_loadcnt_dscnt 0x800
	v_mul_f64_e32 v[183:184], v[6:7], v[173:174]
	v_mul_f64_e32 v[173:174], v[8:9], v[173:174]
	v_fma_f64 v[181:182], v[4:5], v[38:39], v[181:182]
	v_fma_f64 v[187:188], v[2:3], v[38:39], -v[40:41]
	ds_load_b128 v[2:5], v1 offset:1664
	scratch_load_b128 v[38:41], off, off offset:816
	v_add_f64_e32 v[175:176], v[175:176], v[185:186]
	v_add_f64_e32 v[177:178], v[177:178], v[179:180]
	v_fma_f64 v[183:184], v[8:9], v[171:172], v[183:184]
	v_fma_f64 v[185:186], v[6:7], v[171:172], -v[173:174]
	ds_load_b128 v[6:9], v1 offset:1680
	scratch_load_b128 v[171:174], off, off offset:832
	s_wait_loadcnt_dscnt 0x901
	v_mul_f64_e32 v[179:180], v[2:3], v[36:37]
	v_mul_f64_e32 v[36:37], v[4:5], v[36:37]
	v_add_f64_e32 v[175:176], v[175:176], v[187:188]
	v_add_f64_e32 v[177:178], v[177:178], v[181:182]
	s_wait_loadcnt_dscnt 0x800
	v_mul_f64_e32 v[181:182], v[6:7], v[169:170]
	v_mul_f64_e32 v[169:170], v[8:9], v[169:170]
	v_fma_f64 v[179:180], v[4:5], v[34:35], v[179:180]
	v_fma_f64 v[187:188], v[2:3], v[34:35], -v[36:37]
	ds_load_b128 v[2:5], v1 offset:1696
	scratch_load_b128 v[34:37], off, off offset:848
	v_add_f64_e32 v[175:176], v[175:176], v[185:186]
	v_add_f64_e32 v[177:178], v[177:178], v[183:184]
	v_fma_f64 v[181:182], v[8:9], v[167:168], v[181:182]
	v_fma_f64 v[185:186], v[6:7], v[167:168], -v[169:170]
	ds_load_b128 v[6:9], v1 offset:1712
	s_wait_loadcnt_dscnt 0x801
	v_mul_f64_e32 v[183:184], v[2:3], v[12:13]
	v_mul_f64_e32 v[12:13], v[4:5], v[12:13]
	scratch_load_b128 v[167:170], off, off offset:864
	v_add_f64_e32 v[175:176], v[175:176], v[187:188]
	v_add_f64_e32 v[177:178], v[177:178], v[179:180]
	s_wait_loadcnt_dscnt 0x800
	v_mul_f64_e32 v[179:180], v[6:7], v[16:17]
	v_mul_f64_e32 v[16:17], v[8:9], v[16:17]
	v_fma_f64 v[183:184], v[4:5], v[10:11], v[183:184]
	v_fma_f64 v[187:188], v[2:3], v[10:11], -v[12:13]
	scratch_load_b128 v[10:13], off, off offset:880
	ds_load_b128 v[2:5], v1 offset:1728
	v_add_f64_e32 v[175:176], v[175:176], v[185:186]
	v_add_f64_e32 v[177:178], v[177:178], v[181:182]
	v_fma_f64 v[179:180], v[8:9], v[14:15], v[179:180]
	v_fma_f64 v[185:186], v[6:7], v[14:15], -v[16:17]
	ds_load_b128 v[6:9], v1 offset:1744
	s_wait_loadcnt_dscnt 0x801
	v_mul_f64_e32 v[181:182], v[2:3], v[20:21]
	v_mul_f64_e32 v[20:21], v[4:5], v[20:21]
	scratch_load_b128 v[14:17], off, off offset:896
	v_add_f64_e32 v[175:176], v[175:176], v[187:188]
	v_add_f64_e32 v[177:178], v[177:178], v[183:184]
	s_wait_loadcnt_dscnt 0x800
	v_mul_f64_e32 v[183:184], v[6:7], v[24:25]
	v_mul_f64_e32 v[24:25], v[8:9], v[24:25]
	v_fma_f64 v[181:182], v[4:5], v[18:19], v[181:182]
	v_fma_f64 v[187:188], v[2:3], v[18:19], -v[20:21]
	ds_load_b128 v[2:5], v1 offset:1760
	scratch_load_b128 v[18:21], off, off offset:912
	v_add_f64_e32 v[175:176], v[175:176], v[185:186]
	v_add_f64_e32 v[177:178], v[177:178], v[179:180]
	v_fma_f64 v[183:184], v[8:9], v[22:23], v[183:184]
	v_fma_f64 v[185:186], v[6:7], v[22:23], -v[24:25]
	ds_load_b128 v[6:9], v1 offset:1776
	s_wait_loadcnt_dscnt 0x801
	v_mul_f64_e32 v[179:180], v[2:3], v[28:29]
	v_mul_f64_e32 v[28:29], v[4:5], v[28:29]
	scratch_load_b128 v[22:25], off, off offset:928
	v_add_f64_e32 v[175:176], v[175:176], v[187:188]
	v_add_f64_e32 v[177:178], v[177:178], v[181:182]
	s_wait_loadcnt_dscnt 0x800
	v_mul_f64_e32 v[181:182], v[6:7], v[32:33]
	v_mul_f64_e32 v[32:33], v[8:9], v[32:33]
	v_fma_f64 v[179:180], v[4:5], v[26:27], v[179:180]
	v_fma_f64 v[187:188], v[2:3], v[26:27], -v[28:29]
	ds_load_b128 v[2:5], v1 offset:1792
	scratch_load_b128 v[26:29], off, off offset:944
	;; [unrolled: 18-line block ×3, first 2 shown]
	v_add_f64_e32 v[175:176], v[175:176], v[185:186]
	v_add_f64_e32 v[177:178], v[177:178], v[181:182]
	v_fma_f64 v[179:180], v[8:9], v[171:172], v[179:180]
	v_fma_f64 v[185:186], v[6:7], v[171:172], -v[173:174]
	ds_load_b128 v[6:9], v1 offset:1840
	s_wait_loadcnt_dscnt 0x801
	v_mul_f64_e32 v[181:182], v[2:3], v[36:37]
	v_mul_f64_e32 v[36:37], v[4:5], v[36:37]
	scratch_load_b128 v[171:174], off, off offset:992
	v_add_f64_e32 v[175:176], v[175:176], v[187:188]
	v_add_f64_e32 v[177:178], v[177:178], v[183:184]
	v_fma_f64 v[181:182], v[4:5], v[34:35], v[181:182]
	v_fma_f64 v[34:35], v[2:3], v[34:35], -v[36:37]
	ds_load_b128 v[2:5], v1 offset:1856
	v_add_f64_e32 v[36:37], v[175:176], v[185:186]
	v_add_f64_e32 v[175:176], v[177:178], v[179:180]
	s_wait_loadcnt_dscnt 0x700
	v_mul_f64_e32 v[177:178], v[2:3], v[12:13]
	v_mul_f64_e32 v[12:13], v[4:5], v[12:13]
	s_delay_alu instid0(VALU_DEP_4) | instskip(NEXT) | instid1(VALU_DEP_4)
	v_add_f64_e32 v[34:35], v[36:37], v[34:35]
	v_add_f64_e32 v[36:37], v[175:176], v[181:182]
	s_delay_alu instid0(VALU_DEP_4) | instskip(NEXT) | instid1(VALU_DEP_4)
	v_fma_f64 v[175:176], v[4:5], v[10:11], v[177:178]
	v_fma_f64 v[177:178], v[2:3], v[10:11], -v[12:13]
	scratch_load_b128 v[10:13], off, off offset:512
	v_mul_f64_e32 v[183:184], v[6:7], v[169:170]
	v_mul_f64_e32 v[169:170], v[8:9], v[169:170]
	ds_load_b128 v[2:5], v1 offset:1888
	v_fma_f64 v[179:180], v[8:9], v[167:168], v[183:184]
	v_fma_f64 v[167:168], v[6:7], v[167:168], -v[169:170]
	ds_load_b128 v[6:9], v1 offset:1872
	s_wait_loadcnt_dscnt 0x700
	v_mul_f64_e32 v[169:170], v[6:7], v[16:17]
	v_mul_f64_e32 v[16:17], v[8:9], v[16:17]
	v_add_f64_e32 v[36:37], v[36:37], v[179:180]
	v_add_f64_e32 v[34:35], v[34:35], v[167:168]
	s_wait_loadcnt 0x6
	v_mul_f64_e32 v[167:168], v[2:3], v[20:21]
	v_mul_f64_e32 v[20:21], v[4:5], v[20:21]
	v_fma_f64 v[169:170], v[8:9], v[14:15], v[169:170]
	v_fma_f64 v[14:15], v[6:7], v[14:15], -v[16:17]
	ds_load_b128 v[6:9], v1 offset:1904
	v_add_f64_e32 v[16:17], v[34:35], v[177:178]
	v_add_f64_e32 v[34:35], v[36:37], v[175:176]
	v_fma_f64 v[167:168], v[4:5], v[18:19], v[167:168]
	v_fma_f64 v[18:19], v[2:3], v[18:19], -v[20:21]
	ds_load_b128 v[2:5], v1 offset:1920
	s_wait_loadcnt_dscnt 0x501
	v_mul_f64_e32 v[36:37], v[6:7], v[24:25]
	v_mul_f64_e32 v[24:25], v[8:9], v[24:25]
	s_wait_loadcnt_dscnt 0x400
	v_mul_f64_e32 v[20:21], v[2:3], v[28:29]
	v_mul_f64_e32 v[28:29], v[4:5], v[28:29]
	v_add_f64_e32 v[14:15], v[16:17], v[14:15]
	v_add_f64_e32 v[16:17], v[34:35], v[169:170]
	v_fma_f64 v[34:35], v[8:9], v[22:23], v[36:37]
	v_fma_f64 v[22:23], v[6:7], v[22:23], -v[24:25]
	ds_load_b128 v[6:9], v1 offset:1936
	v_fma_f64 v[20:21], v[4:5], v[26:27], v[20:21]
	v_fma_f64 v[26:27], v[2:3], v[26:27], -v[28:29]
	ds_load_b128 v[2:5], v1 offset:1952
	s_wait_loadcnt_dscnt 0x301
	v_mul_f64_e32 v[24:25], v[8:9], v[32:33]
	v_add_f64_e32 v[14:15], v[14:15], v[18:19]
	v_add_f64_e32 v[16:17], v[16:17], v[167:168]
	v_mul_f64_e32 v[18:19], v[6:7], v[32:33]
	s_wait_loadcnt_dscnt 0x200
	v_mul_f64_e32 v[28:29], v[4:5], v[40:41]
	v_fma_f64 v[24:25], v[6:7], v[30:31], -v[24:25]
	v_add_f64_e32 v[14:15], v[14:15], v[22:23]
	v_add_f64_e32 v[16:17], v[16:17], v[34:35]
	v_mul_f64_e32 v[22:23], v[2:3], v[40:41]
	v_fma_f64 v[18:19], v[8:9], v[30:31], v[18:19]
	ds_load_b128 v[6:9], v1 offset:1968
	v_fma_f64 v[1:2], v[2:3], v[38:39], -v[28:29]
	v_add_f64_e32 v[14:15], v[14:15], v[26:27]
	v_add_f64_e32 v[16:17], v[16:17], v[20:21]
	s_wait_loadcnt_dscnt 0x100
	v_mul_f64_e32 v[20:21], v[6:7], v[173:174]
	v_mul_f64_e32 v[26:27], v[8:9], v[173:174]
	v_fma_f64 v[4:5], v[4:5], v[38:39], v[22:23]
	v_add_f64_e32 v[14:15], v[14:15], v[24:25]
	v_add_f64_e32 v[16:17], v[16:17], v[18:19]
	v_fma_f64 v[8:9], v[8:9], v[171:172], v[20:21]
	v_fma_f64 v[6:7], v[6:7], v[171:172], -v[26:27]
	s_delay_alu instid0(VALU_DEP_4) | instskip(NEXT) | instid1(VALU_DEP_4)
	v_add_f64_e32 v[1:2], v[14:15], v[1:2]
	v_add_f64_e32 v[3:4], v[16:17], v[4:5]
	s_delay_alu instid0(VALU_DEP_2) | instskip(NEXT) | instid1(VALU_DEP_2)
	v_add_f64_e32 v[1:2], v[1:2], v[6:7]
	v_add_f64_e32 v[3:4], v[3:4], v[8:9]
	s_wait_loadcnt 0x0
	s_delay_alu instid0(VALU_DEP_2) | instskip(NEXT) | instid1(VALU_DEP_2)
	v_add_f64_e64 v[1:2], v[10:11], -v[1:2]
	v_add_f64_e64 v[3:4], v[12:13], -v[3:4]
	scratch_store_b128 off, v[1:4], off offset:512
	v_cmpx_lt_u32_e32 30, v0
	s_cbranch_execz .LBB61_337
; %bb.336:
	scratch_load_b128 v[1:4], off, s15
	v_mov_b32_e32 v5, 0
	s_delay_alu instid0(VALU_DEP_1)
	v_dual_mov_b32 v6, v5 :: v_dual_mov_b32 v7, v5
	v_mov_b32_e32 v8, v5
	scratch_store_b128 off, v[5:8], off offset:496
	s_wait_loadcnt 0x0
	ds_store_b128 v166, v[1:4]
.LBB61_337:
	s_wait_alu 0xfffe
	s_or_b32 exec_lo, exec_lo, s0
	s_wait_storecnt_dscnt 0x0
	s_barrier_signal -1
	s_barrier_wait -1
	global_inv scope:SCOPE_SE
	s_clause 0x7
	scratch_load_b128 v[2:5], off, off offset:512
	scratch_load_b128 v[6:9], off, off offset:528
	scratch_load_b128 v[10:13], off, off offset:544
	scratch_load_b128 v[14:17], off, off offset:560
	scratch_load_b128 v[18:21], off, off offset:576
	scratch_load_b128 v[22:25], off, off offset:592
	scratch_load_b128 v[26:29], off, off offset:608
	scratch_load_b128 v[30:33], off, off offset:624
	v_mov_b32_e32 v1, 0
	s_clause 0x1
	scratch_load_b128 v[38:41], off, off offset:640
	scratch_load_b128 v[171:174], off, off offset:656
	s_mov_b32 s0, exec_lo
	ds_load_b128 v[34:37], v1 offset:1488
	ds_load_b128 v[167:170], v1 offset:1504
	s_wait_loadcnt_dscnt 0x901
	v_mul_f64_e32 v[175:176], v[36:37], v[4:5]
	v_mul_f64_e32 v[4:5], v[34:35], v[4:5]
	s_wait_loadcnt_dscnt 0x800
	v_mul_f64_e32 v[177:178], v[167:168], v[8:9]
	v_mul_f64_e32 v[8:9], v[169:170], v[8:9]
	s_delay_alu instid0(VALU_DEP_4) | instskip(NEXT) | instid1(VALU_DEP_4)
	v_fma_f64 v[175:176], v[34:35], v[2:3], -v[175:176]
	v_fma_f64 v[179:180], v[36:37], v[2:3], v[4:5]
	ds_load_b128 v[2:5], v1 offset:1520
	scratch_load_b128 v[34:37], off, off offset:672
	v_fma_f64 v[177:178], v[169:170], v[6:7], v[177:178]
	v_fma_f64 v[183:184], v[167:168], v[6:7], -v[8:9]
	ds_load_b128 v[6:9], v1 offset:1536
	scratch_load_b128 v[167:170], off, off offset:688
	s_wait_loadcnt_dscnt 0x901
	v_mul_f64_e32 v[181:182], v[2:3], v[12:13]
	v_mul_f64_e32 v[12:13], v[4:5], v[12:13]
	s_wait_loadcnt_dscnt 0x800
	v_mul_f64_e32 v[185:186], v[6:7], v[16:17]
	v_mul_f64_e32 v[16:17], v[8:9], v[16:17]
	v_add_f64_e32 v[175:176], 0, v[175:176]
	v_add_f64_e32 v[179:180], 0, v[179:180]
	v_fma_f64 v[181:182], v[4:5], v[10:11], v[181:182]
	v_fma_f64 v[187:188], v[2:3], v[10:11], -v[12:13]
	ds_load_b128 v[2:5], v1 offset:1552
	scratch_load_b128 v[10:13], off, off offset:704
	v_add_f64_e32 v[175:176], v[175:176], v[183:184]
	v_add_f64_e32 v[177:178], v[179:180], v[177:178]
	v_fma_f64 v[183:184], v[8:9], v[14:15], v[185:186]
	v_fma_f64 v[185:186], v[6:7], v[14:15], -v[16:17]
	ds_load_b128 v[6:9], v1 offset:1568
	scratch_load_b128 v[14:17], off, off offset:720
	s_wait_loadcnt_dscnt 0x901
	v_mul_f64_e32 v[179:180], v[2:3], v[20:21]
	v_mul_f64_e32 v[20:21], v[4:5], v[20:21]
	v_add_f64_e32 v[175:176], v[175:176], v[187:188]
	v_add_f64_e32 v[177:178], v[177:178], v[181:182]
	s_wait_loadcnt_dscnt 0x800
	v_mul_f64_e32 v[181:182], v[6:7], v[24:25]
	v_mul_f64_e32 v[24:25], v[8:9], v[24:25]
	v_fma_f64 v[179:180], v[4:5], v[18:19], v[179:180]
	v_fma_f64 v[187:188], v[2:3], v[18:19], -v[20:21]
	ds_load_b128 v[2:5], v1 offset:1584
	scratch_load_b128 v[18:21], off, off offset:736
	v_add_f64_e32 v[175:176], v[175:176], v[185:186]
	v_add_f64_e32 v[177:178], v[177:178], v[183:184]
	v_fma_f64 v[181:182], v[8:9], v[22:23], v[181:182]
	v_fma_f64 v[185:186], v[6:7], v[22:23], -v[24:25]
	ds_load_b128 v[6:9], v1 offset:1600
	s_wait_loadcnt_dscnt 0x801
	v_mul_f64_e32 v[183:184], v[2:3], v[28:29]
	v_mul_f64_e32 v[28:29], v[4:5], v[28:29]
	scratch_load_b128 v[22:25], off, off offset:752
	v_add_f64_e32 v[175:176], v[175:176], v[187:188]
	v_add_f64_e32 v[177:178], v[177:178], v[179:180]
	s_wait_loadcnt_dscnt 0x800
	v_mul_f64_e32 v[179:180], v[6:7], v[32:33]
	v_mul_f64_e32 v[32:33], v[8:9], v[32:33]
	v_fma_f64 v[183:184], v[4:5], v[26:27], v[183:184]
	v_fma_f64 v[187:188], v[2:3], v[26:27], -v[28:29]
	ds_load_b128 v[2:5], v1 offset:1616
	scratch_load_b128 v[26:29], off, off offset:768
	v_add_f64_e32 v[175:176], v[175:176], v[185:186]
	v_add_f64_e32 v[177:178], v[177:178], v[181:182]
	v_fma_f64 v[179:180], v[8:9], v[30:31], v[179:180]
	v_fma_f64 v[185:186], v[6:7], v[30:31], -v[32:33]
	ds_load_b128 v[6:9], v1 offset:1632
	s_wait_loadcnt_dscnt 0x801
	v_mul_f64_e32 v[181:182], v[2:3], v[40:41]
	v_mul_f64_e32 v[40:41], v[4:5], v[40:41]
	scratch_load_b128 v[30:33], off, off offset:784
	v_add_f64_e32 v[175:176], v[175:176], v[187:188]
	v_add_f64_e32 v[177:178], v[177:178], v[183:184]
	s_wait_loadcnt_dscnt 0x800
	v_mul_f64_e32 v[183:184], v[6:7], v[173:174]
	v_mul_f64_e32 v[173:174], v[8:9], v[173:174]
	v_fma_f64 v[181:182], v[4:5], v[38:39], v[181:182]
	v_fma_f64 v[187:188], v[2:3], v[38:39], -v[40:41]
	ds_load_b128 v[2:5], v1 offset:1648
	scratch_load_b128 v[38:41], off, off offset:800
	v_add_f64_e32 v[175:176], v[175:176], v[185:186]
	v_add_f64_e32 v[177:178], v[177:178], v[179:180]
	v_fma_f64 v[183:184], v[8:9], v[171:172], v[183:184]
	v_fma_f64 v[185:186], v[6:7], v[171:172], -v[173:174]
	ds_load_b128 v[6:9], v1 offset:1664
	scratch_load_b128 v[171:174], off, off offset:816
	s_wait_loadcnt_dscnt 0x901
	v_mul_f64_e32 v[179:180], v[2:3], v[36:37]
	v_mul_f64_e32 v[36:37], v[4:5], v[36:37]
	v_add_f64_e32 v[175:176], v[175:176], v[187:188]
	v_add_f64_e32 v[177:178], v[177:178], v[181:182]
	s_wait_loadcnt_dscnt 0x800
	v_mul_f64_e32 v[181:182], v[6:7], v[169:170]
	v_mul_f64_e32 v[169:170], v[8:9], v[169:170]
	v_fma_f64 v[179:180], v[4:5], v[34:35], v[179:180]
	v_fma_f64 v[187:188], v[2:3], v[34:35], -v[36:37]
	ds_load_b128 v[2:5], v1 offset:1680
	scratch_load_b128 v[34:37], off, off offset:832
	v_add_f64_e32 v[175:176], v[175:176], v[185:186]
	v_add_f64_e32 v[177:178], v[177:178], v[183:184]
	v_fma_f64 v[181:182], v[8:9], v[167:168], v[181:182]
	v_fma_f64 v[185:186], v[6:7], v[167:168], -v[169:170]
	ds_load_b128 v[6:9], v1 offset:1696
	s_wait_loadcnt_dscnt 0x801
	v_mul_f64_e32 v[183:184], v[2:3], v[12:13]
	v_mul_f64_e32 v[12:13], v[4:5], v[12:13]
	scratch_load_b128 v[167:170], off, off offset:848
	v_add_f64_e32 v[175:176], v[175:176], v[187:188]
	v_add_f64_e32 v[177:178], v[177:178], v[179:180]
	s_wait_loadcnt_dscnt 0x800
	v_mul_f64_e32 v[179:180], v[6:7], v[16:17]
	v_mul_f64_e32 v[16:17], v[8:9], v[16:17]
	v_fma_f64 v[183:184], v[4:5], v[10:11], v[183:184]
	v_fma_f64 v[187:188], v[2:3], v[10:11], -v[12:13]
	ds_load_b128 v[2:5], v1 offset:1712
	scratch_load_b128 v[10:13], off, off offset:864
	v_add_f64_e32 v[175:176], v[175:176], v[185:186]
	v_add_f64_e32 v[177:178], v[177:178], v[181:182]
	v_fma_f64 v[179:180], v[8:9], v[14:15], v[179:180]
	v_fma_f64 v[185:186], v[6:7], v[14:15], -v[16:17]
	ds_load_b128 v[6:9], v1 offset:1728
	s_wait_loadcnt_dscnt 0x801
	v_mul_f64_e32 v[181:182], v[2:3], v[20:21]
	v_mul_f64_e32 v[20:21], v[4:5], v[20:21]
	scratch_load_b128 v[14:17], off, off offset:880
	;; [unrolled: 18-line block ×5, first 2 shown]
	v_add_f64_e32 v[175:176], v[175:176], v[187:188]
	v_add_f64_e32 v[177:178], v[177:178], v[183:184]
	s_wait_loadcnt_dscnt 0x800
	v_mul_f64_e32 v[183:184], v[6:7], v[169:170]
	v_mul_f64_e32 v[169:170], v[8:9], v[169:170]
	v_fma_f64 v[181:182], v[4:5], v[34:35], v[181:182]
	v_fma_f64 v[187:188], v[2:3], v[34:35], -v[36:37]
	ds_load_b128 v[2:5], v1 offset:1840
	scratch_load_b128 v[34:37], off, off offset:992
	v_add_f64_e32 v[175:176], v[175:176], v[185:186]
	v_add_f64_e32 v[177:178], v[177:178], v[179:180]
	v_fma_f64 v[183:184], v[8:9], v[167:168], v[183:184]
	v_fma_f64 v[167:168], v[6:7], v[167:168], -v[169:170]
	ds_load_b128 v[6:9], v1 offset:1856
	s_wait_loadcnt_dscnt 0x801
	v_mul_f64_e32 v[179:180], v[2:3], v[12:13]
	v_mul_f64_e32 v[12:13], v[4:5], v[12:13]
	v_add_f64_e32 v[169:170], v[175:176], v[187:188]
	v_add_f64_e32 v[175:176], v[177:178], v[181:182]
	s_wait_loadcnt_dscnt 0x700
	v_mul_f64_e32 v[177:178], v[6:7], v[16:17]
	v_mul_f64_e32 v[16:17], v[8:9], v[16:17]
	v_fma_f64 v[179:180], v[4:5], v[10:11], v[179:180]
	v_fma_f64 v[10:11], v[2:3], v[10:11], -v[12:13]
	ds_load_b128 v[2:5], v1 offset:1872
	v_add_f64_e32 v[12:13], v[169:170], v[167:168]
	v_add_f64_e32 v[167:168], v[175:176], v[183:184]
	v_fma_f64 v[175:176], v[8:9], v[14:15], v[177:178]
	v_fma_f64 v[14:15], v[6:7], v[14:15], -v[16:17]
	ds_load_b128 v[6:9], v1 offset:1888
	s_wait_loadcnt_dscnt 0x500
	v_mul_f64_e32 v[177:178], v[6:7], v[24:25]
	v_mul_f64_e32 v[24:25], v[8:9], v[24:25]
	v_add_f64_e32 v[16:17], v[12:13], v[10:11]
	v_add_f64_e32 v[167:168], v[167:168], v[179:180]
	scratch_load_b128 v[10:13], off, off offset:496
	v_mul_f64_e32 v[169:170], v[2:3], v[20:21]
	v_mul_f64_e32 v[20:21], v[4:5], v[20:21]
	v_add_f64_e32 v[14:15], v[16:17], v[14:15]
	v_add_f64_e32 v[16:17], v[167:168], v[175:176]
	v_fma_f64 v[167:168], v[8:9], v[22:23], v[177:178]
	v_fma_f64 v[169:170], v[4:5], v[18:19], v[169:170]
	v_fma_f64 v[18:19], v[2:3], v[18:19], -v[20:21]
	ds_load_b128 v[2:5], v1 offset:1904
	v_fma_f64 v[22:23], v[6:7], v[22:23], -v[24:25]
	ds_load_b128 v[6:9], v1 offset:1920
	s_wait_loadcnt_dscnt 0x501
	v_mul_f64_e32 v[20:21], v[2:3], v[28:29]
	v_mul_f64_e32 v[28:29], v[4:5], v[28:29]
	s_wait_loadcnt_dscnt 0x400
	v_mul_f64_e32 v[24:25], v[8:9], v[32:33]
	v_add_f64_e32 v[16:17], v[16:17], v[169:170]
	v_add_f64_e32 v[14:15], v[14:15], v[18:19]
	v_mul_f64_e32 v[18:19], v[6:7], v[32:33]
	v_fma_f64 v[20:21], v[4:5], v[26:27], v[20:21]
	v_fma_f64 v[26:27], v[2:3], v[26:27], -v[28:29]
	ds_load_b128 v[2:5], v1 offset:1936
	v_fma_f64 v[24:25], v[6:7], v[30:31], -v[24:25]
	v_add_f64_e32 v[16:17], v[16:17], v[167:168]
	v_add_f64_e32 v[14:15], v[14:15], v[22:23]
	v_fma_f64 v[18:19], v[8:9], v[30:31], v[18:19]
	ds_load_b128 v[6:9], v1 offset:1952
	s_wait_loadcnt_dscnt 0x301
	v_mul_f64_e32 v[22:23], v[2:3], v[40:41]
	v_mul_f64_e32 v[28:29], v[4:5], v[40:41]
	v_add_f64_e32 v[16:17], v[16:17], v[20:21]
	v_add_f64_e32 v[14:15], v[14:15], v[26:27]
	s_wait_loadcnt_dscnt 0x200
	v_mul_f64_e32 v[20:21], v[6:7], v[173:174]
	v_mul_f64_e32 v[26:27], v[8:9], v[173:174]
	v_fma_f64 v[22:23], v[4:5], v[38:39], v[22:23]
	v_fma_f64 v[28:29], v[2:3], v[38:39], -v[28:29]
	ds_load_b128 v[2:5], v1 offset:1968
	v_add_f64_e32 v[16:17], v[16:17], v[18:19]
	v_add_f64_e32 v[14:15], v[14:15], v[24:25]
	s_wait_loadcnt_dscnt 0x100
	v_mul_f64_e32 v[18:19], v[2:3], v[36:37]
	v_mul_f64_e32 v[24:25], v[4:5], v[36:37]
	v_fma_f64 v[8:9], v[8:9], v[171:172], v[20:21]
	v_fma_f64 v[6:7], v[6:7], v[171:172], -v[26:27]
	v_add_f64_e32 v[16:17], v[16:17], v[22:23]
	v_add_f64_e32 v[14:15], v[14:15], v[28:29]
	v_fma_f64 v[4:5], v[4:5], v[34:35], v[18:19]
	v_fma_f64 v[2:3], v[2:3], v[34:35], -v[24:25]
	s_delay_alu instid0(VALU_DEP_4) | instskip(NEXT) | instid1(VALU_DEP_4)
	v_add_f64_e32 v[8:9], v[16:17], v[8:9]
	v_add_f64_e32 v[6:7], v[14:15], v[6:7]
	s_delay_alu instid0(VALU_DEP_2) | instskip(NEXT) | instid1(VALU_DEP_2)
	v_add_f64_e32 v[4:5], v[8:9], v[4:5]
	v_add_f64_e32 v[2:3], v[6:7], v[2:3]
	s_wait_loadcnt 0x0
	s_delay_alu instid0(VALU_DEP_2) | instskip(NEXT) | instid1(VALU_DEP_2)
	v_add_f64_e64 v[4:5], v[12:13], -v[4:5]
	v_add_f64_e64 v[2:3], v[10:11], -v[2:3]
	scratch_store_b128 off, v[2:5], off offset:496
	v_cmpx_lt_u32_e32 29, v0
	s_cbranch_execz .LBB61_339
; %bb.338:
	scratch_load_b128 v[5:8], off, s24
	v_dual_mov_b32 v2, v1 :: v_dual_mov_b32 v3, v1
	v_mov_b32_e32 v4, v1
	scratch_store_b128 off, v[1:4], off offset:480
	s_wait_loadcnt 0x0
	ds_store_b128 v166, v[5:8]
.LBB61_339:
	s_wait_alu 0xfffe
	s_or_b32 exec_lo, exec_lo, s0
	s_wait_storecnt_dscnt 0x0
	s_barrier_signal -1
	s_barrier_wait -1
	global_inv scope:SCOPE_SE
	s_clause 0x7
	scratch_load_b128 v[2:5], off, off offset:496
	scratch_load_b128 v[6:9], off, off offset:512
	;; [unrolled: 1-line block ×8, first 2 shown]
	ds_load_b128 v[34:37], v1 offset:1472
	ds_load_b128 v[167:170], v1 offset:1488
	s_clause 0x1
	scratch_load_b128 v[38:41], off, off offset:624
	scratch_load_b128 v[171:174], off, off offset:640
	s_mov_b32 s0, exec_lo
	s_wait_loadcnt_dscnt 0x901
	v_mul_f64_e32 v[175:176], v[36:37], v[4:5]
	v_mul_f64_e32 v[4:5], v[34:35], v[4:5]
	s_wait_loadcnt_dscnt 0x800
	v_mul_f64_e32 v[177:178], v[167:168], v[8:9]
	v_mul_f64_e32 v[8:9], v[169:170], v[8:9]
	s_delay_alu instid0(VALU_DEP_4) | instskip(NEXT) | instid1(VALU_DEP_4)
	v_fma_f64 v[175:176], v[34:35], v[2:3], -v[175:176]
	v_fma_f64 v[179:180], v[36:37], v[2:3], v[4:5]
	ds_load_b128 v[2:5], v1 offset:1504
	scratch_load_b128 v[34:37], off, off offset:656
	v_fma_f64 v[177:178], v[169:170], v[6:7], v[177:178]
	v_fma_f64 v[183:184], v[167:168], v[6:7], -v[8:9]
	ds_load_b128 v[6:9], v1 offset:1520
	scratch_load_b128 v[167:170], off, off offset:672
	s_wait_loadcnt_dscnt 0x901
	v_mul_f64_e32 v[181:182], v[2:3], v[12:13]
	v_mul_f64_e32 v[12:13], v[4:5], v[12:13]
	s_wait_loadcnt_dscnt 0x800
	v_mul_f64_e32 v[185:186], v[6:7], v[16:17]
	v_mul_f64_e32 v[16:17], v[8:9], v[16:17]
	v_add_f64_e32 v[175:176], 0, v[175:176]
	v_add_f64_e32 v[179:180], 0, v[179:180]
	v_fma_f64 v[181:182], v[4:5], v[10:11], v[181:182]
	v_fma_f64 v[187:188], v[2:3], v[10:11], -v[12:13]
	ds_load_b128 v[2:5], v1 offset:1536
	scratch_load_b128 v[10:13], off, off offset:688
	v_add_f64_e32 v[175:176], v[175:176], v[183:184]
	v_add_f64_e32 v[177:178], v[179:180], v[177:178]
	v_fma_f64 v[183:184], v[8:9], v[14:15], v[185:186]
	v_fma_f64 v[185:186], v[6:7], v[14:15], -v[16:17]
	ds_load_b128 v[6:9], v1 offset:1552
	scratch_load_b128 v[14:17], off, off offset:704
	s_wait_loadcnt_dscnt 0x901
	v_mul_f64_e32 v[179:180], v[2:3], v[20:21]
	v_mul_f64_e32 v[20:21], v[4:5], v[20:21]
	v_add_f64_e32 v[175:176], v[175:176], v[187:188]
	v_add_f64_e32 v[177:178], v[177:178], v[181:182]
	s_wait_loadcnt_dscnt 0x800
	v_mul_f64_e32 v[181:182], v[6:7], v[24:25]
	v_mul_f64_e32 v[24:25], v[8:9], v[24:25]
	v_fma_f64 v[179:180], v[4:5], v[18:19], v[179:180]
	v_fma_f64 v[187:188], v[2:3], v[18:19], -v[20:21]
	ds_load_b128 v[2:5], v1 offset:1568
	scratch_load_b128 v[18:21], off, off offset:720
	v_add_f64_e32 v[175:176], v[175:176], v[185:186]
	v_add_f64_e32 v[177:178], v[177:178], v[183:184]
	v_fma_f64 v[181:182], v[8:9], v[22:23], v[181:182]
	v_fma_f64 v[185:186], v[6:7], v[22:23], -v[24:25]
	ds_load_b128 v[6:9], v1 offset:1584
	s_wait_loadcnt_dscnt 0x801
	v_mul_f64_e32 v[183:184], v[2:3], v[28:29]
	v_mul_f64_e32 v[28:29], v[4:5], v[28:29]
	scratch_load_b128 v[22:25], off, off offset:736
	v_add_f64_e32 v[175:176], v[175:176], v[187:188]
	v_add_f64_e32 v[177:178], v[177:178], v[179:180]
	s_wait_loadcnt_dscnt 0x800
	v_mul_f64_e32 v[179:180], v[6:7], v[32:33]
	v_mul_f64_e32 v[32:33], v[8:9], v[32:33]
	v_fma_f64 v[183:184], v[4:5], v[26:27], v[183:184]
	v_fma_f64 v[187:188], v[2:3], v[26:27], -v[28:29]
	ds_load_b128 v[2:5], v1 offset:1600
	scratch_load_b128 v[26:29], off, off offset:752
	v_add_f64_e32 v[175:176], v[175:176], v[185:186]
	v_add_f64_e32 v[177:178], v[177:178], v[181:182]
	v_fma_f64 v[179:180], v[8:9], v[30:31], v[179:180]
	v_fma_f64 v[185:186], v[6:7], v[30:31], -v[32:33]
	ds_load_b128 v[6:9], v1 offset:1616
	s_wait_loadcnt_dscnt 0x801
	v_mul_f64_e32 v[181:182], v[2:3], v[40:41]
	v_mul_f64_e32 v[40:41], v[4:5], v[40:41]
	scratch_load_b128 v[30:33], off, off offset:768
	v_add_f64_e32 v[175:176], v[175:176], v[187:188]
	v_add_f64_e32 v[177:178], v[177:178], v[183:184]
	s_wait_loadcnt_dscnt 0x800
	v_mul_f64_e32 v[183:184], v[6:7], v[173:174]
	v_mul_f64_e32 v[173:174], v[8:9], v[173:174]
	v_fma_f64 v[181:182], v[4:5], v[38:39], v[181:182]
	v_fma_f64 v[187:188], v[2:3], v[38:39], -v[40:41]
	ds_load_b128 v[2:5], v1 offset:1632
	scratch_load_b128 v[38:41], off, off offset:784
	v_add_f64_e32 v[175:176], v[175:176], v[185:186]
	v_add_f64_e32 v[177:178], v[177:178], v[179:180]
	v_fma_f64 v[183:184], v[8:9], v[171:172], v[183:184]
	v_fma_f64 v[185:186], v[6:7], v[171:172], -v[173:174]
	ds_load_b128 v[6:9], v1 offset:1648
	scratch_load_b128 v[171:174], off, off offset:800
	s_wait_loadcnt_dscnt 0x901
	v_mul_f64_e32 v[179:180], v[2:3], v[36:37]
	v_mul_f64_e32 v[36:37], v[4:5], v[36:37]
	v_add_f64_e32 v[175:176], v[175:176], v[187:188]
	v_add_f64_e32 v[177:178], v[177:178], v[181:182]
	s_wait_loadcnt_dscnt 0x800
	v_mul_f64_e32 v[181:182], v[6:7], v[169:170]
	v_mul_f64_e32 v[169:170], v[8:9], v[169:170]
	v_fma_f64 v[179:180], v[4:5], v[34:35], v[179:180]
	v_fma_f64 v[187:188], v[2:3], v[34:35], -v[36:37]
	ds_load_b128 v[2:5], v1 offset:1664
	scratch_load_b128 v[34:37], off, off offset:816
	v_add_f64_e32 v[175:176], v[175:176], v[185:186]
	v_add_f64_e32 v[177:178], v[177:178], v[183:184]
	v_fma_f64 v[181:182], v[8:9], v[167:168], v[181:182]
	v_fma_f64 v[185:186], v[6:7], v[167:168], -v[169:170]
	ds_load_b128 v[6:9], v1 offset:1680
	s_wait_loadcnt_dscnt 0x801
	v_mul_f64_e32 v[183:184], v[2:3], v[12:13]
	v_mul_f64_e32 v[12:13], v[4:5], v[12:13]
	scratch_load_b128 v[167:170], off, off offset:832
	v_add_f64_e32 v[175:176], v[175:176], v[187:188]
	v_add_f64_e32 v[177:178], v[177:178], v[179:180]
	s_wait_loadcnt_dscnt 0x800
	v_mul_f64_e32 v[179:180], v[6:7], v[16:17]
	v_mul_f64_e32 v[16:17], v[8:9], v[16:17]
	v_fma_f64 v[183:184], v[4:5], v[10:11], v[183:184]
	v_fma_f64 v[187:188], v[2:3], v[10:11], -v[12:13]
	ds_load_b128 v[2:5], v1 offset:1696
	scratch_load_b128 v[10:13], off, off offset:848
	v_add_f64_e32 v[175:176], v[175:176], v[185:186]
	v_add_f64_e32 v[177:178], v[177:178], v[181:182]
	v_fma_f64 v[179:180], v[8:9], v[14:15], v[179:180]
	v_fma_f64 v[185:186], v[6:7], v[14:15], -v[16:17]
	ds_load_b128 v[6:9], v1 offset:1712
	s_wait_loadcnt_dscnt 0x801
	v_mul_f64_e32 v[181:182], v[2:3], v[20:21]
	v_mul_f64_e32 v[20:21], v[4:5], v[20:21]
	scratch_load_b128 v[14:17], off, off offset:864
	;; [unrolled: 18-line block ×6, first 2 shown]
	v_add_f64_e32 v[175:176], v[175:176], v[187:188]
	v_add_f64_e32 v[177:178], v[177:178], v[181:182]
	s_wait_loadcnt_dscnt 0x800
	v_mul_f64_e32 v[181:182], v[6:7], v[16:17]
	v_mul_f64_e32 v[16:17], v[8:9], v[16:17]
	v_fma_f64 v[179:180], v[4:5], v[10:11], v[179:180]
	v_fma_f64 v[10:11], v[2:3], v[10:11], -v[12:13]
	ds_load_b128 v[2:5], v1 offset:1856
	v_add_f64_e32 v[12:13], v[175:176], v[185:186]
	v_add_f64_e32 v[175:176], v[177:178], v[183:184]
	v_fma_f64 v[181:182], v[8:9], v[14:15], v[181:182]
	v_fma_f64 v[14:15], v[6:7], v[14:15], -v[16:17]
	ds_load_b128 v[6:9], v1 offset:1872
	s_wait_loadcnt_dscnt 0x701
	v_mul_f64_e32 v[177:178], v[2:3], v[20:21]
	v_mul_f64_e32 v[20:21], v[4:5], v[20:21]
	v_add_f64_e32 v[10:11], v[12:13], v[10:11]
	v_add_f64_e32 v[12:13], v[175:176], v[179:180]
	s_delay_alu instid0(VALU_DEP_4) | instskip(NEXT) | instid1(VALU_DEP_4)
	v_fma_f64 v[175:176], v[4:5], v[18:19], v[177:178]
	v_fma_f64 v[18:19], v[2:3], v[18:19], -v[20:21]
	ds_load_b128 v[2:5], v1 offset:1888
	v_add_f64_e32 v[14:15], v[10:11], v[14:15]
	v_add_f64_e32 v[20:21], v[12:13], v[181:182]
	scratch_load_b128 v[10:13], off, off offset:480
	s_wait_loadcnt_dscnt 0x701
	v_mul_f64_e32 v[16:17], v[6:7], v[24:25]
	v_mul_f64_e32 v[24:25], v[8:9], v[24:25]
	v_add_f64_e32 v[14:15], v[14:15], v[18:19]
	v_add_f64_e32 v[18:19], v[20:21], v[175:176]
	s_delay_alu instid0(VALU_DEP_4) | instskip(NEXT) | instid1(VALU_DEP_4)
	v_fma_f64 v[16:17], v[8:9], v[22:23], v[16:17]
	v_fma_f64 v[22:23], v[6:7], v[22:23], -v[24:25]
	ds_load_b128 v[6:9], v1 offset:1904
	s_wait_loadcnt_dscnt 0x601
	v_mul_f64_e32 v[177:178], v[2:3], v[28:29]
	v_mul_f64_e32 v[28:29], v[4:5], v[28:29]
	s_wait_loadcnt_dscnt 0x500
	v_mul_f64_e32 v[20:21], v[6:7], v[32:33]
	v_mul_f64_e32 v[24:25], v[8:9], v[32:33]
	v_add_f64_e32 v[16:17], v[18:19], v[16:17]
	v_add_f64_e32 v[14:15], v[14:15], v[22:23]
	v_fma_f64 v[32:33], v[4:5], v[26:27], v[177:178]
	v_fma_f64 v[26:27], v[2:3], v[26:27], -v[28:29]
	ds_load_b128 v[2:5], v1 offset:1920
	v_fma_f64 v[20:21], v[8:9], v[30:31], v[20:21]
	v_fma_f64 v[24:25], v[6:7], v[30:31], -v[24:25]
	ds_load_b128 v[6:9], v1 offset:1936
	s_wait_loadcnt_dscnt 0x401
	v_mul_f64_e32 v[18:19], v[2:3], v[40:41]
	v_mul_f64_e32 v[22:23], v[4:5], v[40:41]
	v_add_f64_e32 v[16:17], v[16:17], v[32:33]
	v_add_f64_e32 v[14:15], v[14:15], v[26:27]
	s_wait_loadcnt_dscnt 0x300
	v_mul_f64_e32 v[26:27], v[6:7], v[173:174]
	v_mul_f64_e32 v[28:29], v[8:9], v[173:174]
	v_fma_f64 v[18:19], v[4:5], v[38:39], v[18:19]
	v_fma_f64 v[22:23], v[2:3], v[38:39], -v[22:23]
	ds_load_b128 v[2:5], v1 offset:1952
	v_add_f64_e32 v[16:17], v[16:17], v[20:21]
	v_add_f64_e32 v[14:15], v[14:15], v[24:25]
	v_fma_f64 v[26:27], v[8:9], v[171:172], v[26:27]
	v_fma_f64 v[28:29], v[6:7], v[171:172], -v[28:29]
	ds_load_b128 v[6:9], v1 offset:1968
	s_wait_loadcnt_dscnt 0x201
	v_mul_f64_e32 v[20:21], v[2:3], v[36:37]
	v_mul_f64_e32 v[24:25], v[4:5], v[36:37]
	v_add_f64_e32 v[16:17], v[16:17], v[18:19]
	v_add_f64_e32 v[14:15], v[14:15], v[22:23]
	s_wait_loadcnt_dscnt 0x100
	v_mul_f64_e32 v[18:19], v[6:7], v[169:170]
	v_mul_f64_e32 v[22:23], v[8:9], v[169:170]
	v_fma_f64 v[4:5], v[4:5], v[34:35], v[20:21]
	v_fma_f64 v[1:2], v[2:3], v[34:35], -v[24:25]
	v_add_f64_e32 v[16:17], v[16:17], v[26:27]
	v_add_f64_e32 v[14:15], v[14:15], v[28:29]
	v_fma_f64 v[8:9], v[8:9], v[167:168], v[18:19]
	v_fma_f64 v[6:7], v[6:7], v[167:168], -v[22:23]
	s_delay_alu instid0(VALU_DEP_4) | instskip(NEXT) | instid1(VALU_DEP_4)
	v_add_f64_e32 v[3:4], v[16:17], v[4:5]
	v_add_f64_e32 v[1:2], v[14:15], v[1:2]
	s_delay_alu instid0(VALU_DEP_2) | instskip(NEXT) | instid1(VALU_DEP_2)
	v_add_f64_e32 v[3:4], v[3:4], v[8:9]
	v_add_f64_e32 v[1:2], v[1:2], v[6:7]
	s_wait_loadcnt 0x0
	s_delay_alu instid0(VALU_DEP_2) | instskip(NEXT) | instid1(VALU_DEP_2)
	v_add_f64_e64 v[3:4], v[12:13], -v[3:4]
	v_add_f64_e64 v[1:2], v[10:11], -v[1:2]
	scratch_store_b128 off, v[1:4], off offset:480
	v_cmpx_lt_u32_e32 28, v0
	s_cbranch_execz .LBB61_341
; %bb.340:
	scratch_load_b128 v[1:4], off, s23
	v_mov_b32_e32 v5, 0
	s_delay_alu instid0(VALU_DEP_1)
	v_dual_mov_b32 v6, v5 :: v_dual_mov_b32 v7, v5
	v_mov_b32_e32 v8, v5
	scratch_store_b128 off, v[5:8], off offset:464
	s_wait_loadcnt 0x0
	ds_store_b128 v166, v[1:4]
.LBB61_341:
	s_wait_alu 0xfffe
	s_or_b32 exec_lo, exec_lo, s0
	s_wait_storecnt_dscnt 0x0
	s_barrier_signal -1
	s_barrier_wait -1
	global_inv scope:SCOPE_SE
	s_clause 0x7
	scratch_load_b128 v[2:5], off, off offset:480
	scratch_load_b128 v[6:9], off, off offset:496
	;; [unrolled: 1-line block ×8, first 2 shown]
	v_mov_b32_e32 v1, 0
	s_clause 0x1
	scratch_load_b128 v[38:41], off, off offset:608
	scratch_load_b128 v[171:174], off, off offset:624
	s_mov_b32 s0, exec_lo
	ds_load_b128 v[34:37], v1 offset:1456
	ds_load_b128 v[167:170], v1 offset:1472
	s_wait_loadcnt_dscnt 0x901
	v_mul_f64_e32 v[175:176], v[36:37], v[4:5]
	v_mul_f64_e32 v[4:5], v[34:35], v[4:5]
	s_wait_loadcnt_dscnt 0x800
	v_mul_f64_e32 v[177:178], v[167:168], v[8:9]
	v_mul_f64_e32 v[8:9], v[169:170], v[8:9]
	s_delay_alu instid0(VALU_DEP_4) | instskip(NEXT) | instid1(VALU_DEP_4)
	v_fma_f64 v[175:176], v[34:35], v[2:3], -v[175:176]
	v_fma_f64 v[179:180], v[36:37], v[2:3], v[4:5]
	ds_load_b128 v[2:5], v1 offset:1488
	scratch_load_b128 v[34:37], off, off offset:640
	v_fma_f64 v[177:178], v[169:170], v[6:7], v[177:178]
	v_fma_f64 v[183:184], v[167:168], v[6:7], -v[8:9]
	ds_load_b128 v[6:9], v1 offset:1504
	scratch_load_b128 v[167:170], off, off offset:656
	s_wait_loadcnt_dscnt 0x901
	v_mul_f64_e32 v[181:182], v[2:3], v[12:13]
	v_mul_f64_e32 v[12:13], v[4:5], v[12:13]
	s_wait_loadcnt_dscnt 0x800
	v_mul_f64_e32 v[185:186], v[6:7], v[16:17]
	v_mul_f64_e32 v[16:17], v[8:9], v[16:17]
	v_add_f64_e32 v[175:176], 0, v[175:176]
	v_add_f64_e32 v[179:180], 0, v[179:180]
	v_fma_f64 v[181:182], v[4:5], v[10:11], v[181:182]
	v_fma_f64 v[187:188], v[2:3], v[10:11], -v[12:13]
	ds_load_b128 v[2:5], v1 offset:1520
	scratch_load_b128 v[10:13], off, off offset:672
	v_add_f64_e32 v[175:176], v[175:176], v[183:184]
	v_add_f64_e32 v[177:178], v[179:180], v[177:178]
	v_fma_f64 v[183:184], v[8:9], v[14:15], v[185:186]
	v_fma_f64 v[185:186], v[6:7], v[14:15], -v[16:17]
	ds_load_b128 v[6:9], v1 offset:1536
	scratch_load_b128 v[14:17], off, off offset:688
	s_wait_loadcnt_dscnt 0x901
	v_mul_f64_e32 v[179:180], v[2:3], v[20:21]
	v_mul_f64_e32 v[20:21], v[4:5], v[20:21]
	v_add_f64_e32 v[175:176], v[175:176], v[187:188]
	v_add_f64_e32 v[177:178], v[177:178], v[181:182]
	s_wait_loadcnt_dscnt 0x800
	v_mul_f64_e32 v[181:182], v[6:7], v[24:25]
	v_mul_f64_e32 v[24:25], v[8:9], v[24:25]
	v_fma_f64 v[179:180], v[4:5], v[18:19], v[179:180]
	v_fma_f64 v[187:188], v[2:3], v[18:19], -v[20:21]
	ds_load_b128 v[2:5], v1 offset:1552
	scratch_load_b128 v[18:21], off, off offset:704
	v_add_f64_e32 v[175:176], v[175:176], v[185:186]
	v_add_f64_e32 v[177:178], v[177:178], v[183:184]
	v_fma_f64 v[181:182], v[8:9], v[22:23], v[181:182]
	v_fma_f64 v[185:186], v[6:7], v[22:23], -v[24:25]
	ds_load_b128 v[6:9], v1 offset:1568
	s_wait_loadcnt_dscnt 0x801
	v_mul_f64_e32 v[183:184], v[2:3], v[28:29]
	v_mul_f64_e32 v[28:29], v[4:5], v[28:29]
	scratch_load_b128 v[22:25], off, off offset:720
	v_add_f64_e32 v[175:176], v[175:176], v[187:188]
	v_add_f64_e32 v[177:178], v[177:178], v[179:180]
	s_wait_loadcnt_dscnt 0x800
	v_mul_f64_e32 v[179:180], v[6:7], v[32:33]
	v_mul_f64_e32 v[32:33], v[8:9], v[32:33]
	v_fma_f64 v[183:184], v[4:5], v[26:27], v[183:184]
	v_fma_f64 v[187:188], v[2:3], v[26:27], -v[28:29]
	ds_load_b128 v[2:5], v1 offset:1584
	scratch_load_b128 v[26:29], off, off offset:736
	v_add_f64_e32 v[175:176], v[175:176], v[185:186]
	v_add_f64_e32 v[177:178], v[177:178], v[181:182]
	v_fma_f64 v[179:180], v[8:9], v[30:31], v[179:180]
	v_fma_f64 v[185:186], v[6:7], v[30:31], -v[32:33]
	ds_load_b128 v[6:9], v1 offset:1600
	s_wait_loadcnt_dscnt 0x801
	v_mul_f64_e32 v[181:182], v[2:3], v[40:41]
	v_mul_f64_e32 v[40:41], v[4:5], v[40:41]
	scratch_load_b128 v[30:33], off, off offset:752
	v_add_f64_e32 v[175:176], v[175:176], v[187:188]
	v_add_f64_e32 v[177:178], v[177:178], v[183:184]
	s_wait_loadcnt_dscnt 0x800
	v_mul_f64_e32 v[183:184], v[6:7], v[173:174]
	v_mul_f64_e32 v[173:174], v[8:9], v[173:174]
	v_fma_f64 v[181:182], v[4:5], v[38:39], v[181:182]
	v_fma_f64 v[187:188], v[2:3], v[38:39], -v[40:41]
	ds_load_b128 v[2:5], v1 offset:1616
	scratch_load_b128 v[38:41], off, off offset:768
	v_add_f64_e32 v[175:176], v[175:176], v[185:186]
	v_add_f64_e32 v[177:178], v[177:178], v[179:180]
	v_fma_f64 v[183:184], v[8:9], v[171:172], v[183:184]
	v_fma_f64 v[185:186], v[6:7], v[171:172], -v[173:174]
	ds_load_b128 v[6:9], v1 offset:1632
	scratch_load_b128 v[171:174], off, off offset:784
	s_wait_loadcnt_dscnt 0x901
	v_mul_f64_e32 v[179:180], v[2:3], v[36:37]
	v_mul_f64_e32 v[36:37], v[4:5], v[36:37]
	v_add_f64_e32 v[175:176], v[175:176], v[187:188]
	v_add_f64_e32 v[177:178], v[177:178], v[181:182]
	s_wait_loadcnt_dscnt 0x800
	v_mul_f64_e32 v[181:182], v[6:7], v[169:170]
	v_mul_f64_e32 v[169:170], v[8:9], v[169:170]
	v_fma_f64 v[179:180], v[4:5], v[34:35], v[179:180]
	v_fma_f64 v[187:188], v[2:3], v[34:35], -v[36:37]
	ds_load_b128 v[2:5], v1 offset:1648
	scratch_load_b128 v[34:37], off, off offset:800
	v_add_f64_e32 v[175:176], v[175:176], v[185:186]
	v_add_f64_e32 v[177:178], v[177:178], v[183:184]
	v_fma_f64 v[181:182], v[8:9], v[167:168], v[181:182]
	v_fma_f64 v[185:186], v[6:7], v[167:168], -v[169:170]
	ds_load_b128 v[6:9], v1 offset:1664
	s_wait_loadcnt_dscnt 0x801
	v_mul_f64_e32 v[183:184], v[2:3], v[12:13]
	v_mul_f64_e32 v[12:13], v[4:5], v[12:13]
	scratch_load_b128 v[167:170], off, off offset:816
	v_add_f64_e32 v[175:176], v[175:176], v[187:188]
	v_add_f64_e32 v[177:178], v[177:178], v[179:180]
	s_wait_loadcnt_dscnt 0x800
	v_mul_f64_e32 v[179:180], v[6:7], v[16:17]
	v_mul_f64_e32 v[16:17], v[8:9], v[16:17]
	v_fma_f64 v[183:184], v[4:5], v[10:11], v[183:184]
	v_fma_f64 v[187:188], v[2:3], v[10:11], -v[12:13]
	ds_load_b128 v[2:5], v1 offset:1680
	scratch_load_b128 v[10:13], off, off offset:832
	v_add_f64_e32 v[175:176], v[175:176], v[185:186]
	v_add_f64_e32 v[177:178], v[177:178], v[181:182]
	v_fma_f64 v[179:180], v[8:9], v[14:15], v[179:180]
	v_fma_f64 v[185:186], v[6:7], v[14:15], -v[16:17]
	ds_load_b128 v[6:9], v1 offset:1696
	s_wait_loadcnt_dscnt 0x801
	v_mul_f64_e32 v[181:182], v[2:3], v[20:21]
	v_mul_f64_e32 v[20:21], v[4:5], v[20:21]
	scratch_load_b128 v[14:17], off, off offset:848
	;; [unrolled: 18-line block ×6, first 2 shown]
	v_add_f64_e32 v[175:176], v[175:176], v[187:188]
	v_add_f64_e32 v[177:178], v[177:178], v[181:182]
	s_wait_loadcnt_dscnt 0x800
	v_mul_f64_e32 v[181:182], v[6:7], v[16:17]
	v_mul_f64_e32 v[16:17], v[8:9], v[16:17]
	v_fma_f64 v[179:180], v[4:5], v[10:11], v[179:180]
	v_fma_f64 v[187:188], v[2:3], v[10:11], -v[12:13]
	ds_load_b128 v[2:5], v1 offset:1840
	scratch_load_b128 v[10:13], off, off offset:992
	v_add_f64_e32 v[175:176], v[175:176], v[185:186]
	v_add_f64_e32 v[177:178], v[177:178], v[183:184]
	v_fma_f64 v[181:182], v[8:9], v[14:15], v[181:182]
	v_fma_f64 v[14:15], v[6:7], v[14:15], -v[16:17]
	ds_load_b128 v[6:9], v1 offset:1856
	s_wait_loadcnt_dscnt 0x801
	v_mul_f64_e32 v[183:184], v[2:3], v[20:21]
	v_mul_f64_e32 v[20:21], v[4:5], v[20:21]
	v_add_f64_e32 v[16:17], v[175:176], v[187:188]
	v_add_f64_e32 v[175:176], v[177:178], v[179:180]
	s_wait_loadcnt_dscnt 0x700
	v_mul_f64_e32 v[177:178], v[6:7], v[24:25]
	v_mul_f64_e32 v[24:25], v[8:9], v[24:25]
	v_fma_f64 v[179:180], v[4:5], v[18:19], v[183:184]
	v_fma_f64 v[18:19], v[2:3], v[18:19], -v[20:21]
	ds_load_b128 v[2:5], v1 offset:1872
	v_add_f64_e32 v[14:15], v[16:17], v[14:15]
	v_add_f64_e32 v[16:17], v[175:176], v[181:182]
	v_fma_f64 v[175:176], v[8:9], v[22:23], v[177:178]
	v_fma_f64 v[22:23], v[6:7], v[22:23], -v[24:25]
	ds_load_b128 v[6:9], v1 offset:1888
	s_wait_loadcnt_dscnt 0x500
	v_mul_f64_e32 v[177:178], v[6:7], v[32:33]
	v_mul_f64_e32 v[32:33], v[8:9], v[32:33]
	v_add_f64_e32 v[18:19], v[14:15], v[18:19]
	v_add_f64_e32 v[24:25], v[16:17], v[179:180]
	scratch_load_b128 v[14:17], off, off offset:464
	v_mul_f64_e32 v[20:21], v[2:3], v[28:29]
	v_mul_f64_e32 v[28:29], v[4:5], v[28:29]
	v_add_f64_e32 v[18:19], v[18:19], v[22:23]
	v_add_f64_e32 v[22:23], v[24:25], v[175:176]
	s_delay_alu instid0(VALU_DEP_4) | instskip(NEXT) | instid1(VALU_DEP_4)
	v_fma_f64 v[20:21], v[4:5], v[26:27], v[20:21]
	v_fma_f64 v[26:27], v[2:3], v[26:27], -v[28:29]
	ds_load_b128 v[2:5], v1 offset:1904
	s_wait_loadcnt_dscnt 0x500
	v_mul_f64_e32 v[24:25], v[2:3], v[40:41]
	v_mul_f64_e32 v[28:29], v[4:5], v[40:41]
	v_fma_f64 v[40:41], v[8:9], v[30:31], v[177:178]
	v_fma_f64 v[30:31], v[6:7], v[30:31], -v[32:33]
	ds_load_b128 v[6:9], v1 offset:1920
	v_add_f64_e32 v[20:21], v[22:23], v[20:21]
	v_add_f64_e32 v[18:19], v[18:19], v[26:27]
	v_fma_f64 v[24:25], v[4:5], v[38:39], v[24:25]
	v_fma_f64 v[28:29], v[2:3], v[38:39], -v[28:29]
	ds_load_b128 v[2:5], v1 offset:1936
	s_wait_loadcnt_dscnt 0x401
	v_mul_f64_e32 v[22:23], v[6:7], v[173:174]
	v_mul_f64_e32 v[26:27], v[8:9], v[173:174]
	v_add_f64_e32 v[20:21], v[20:21], v[40:41]
	v_add_f64_e32 v[18:19], v[18:19], v[30:31]
	s_wait_loadcnt_dscnt 0x300
	v_mul_f64_e32 v[30:31], v[2:3], v[36:37]
	v_mul_f64_e32 v[32:33], v[4:5], v[36:37]
	v_fma_f64 v[22:23], v[8:9], v[171:172], v[22:23]
	v_fma_f64 v[26:27], v[6:7], v[171:172], -v[26:27]
	ds_load_b128 v[6:9], v1 offset:1952
	v_add_f64_e32 v[20:21], v[20:21], v[24:25]
	v_add_f64_e32 v[18:19], v[18:19], v[28:29]
	v_fma_f64 v[30:31], v[4:5], v[34:35], v[30:31]
	v_fma_f64 v[32:33], v[2:3], v[34:35], -v[32:33]
	ds_load_b128 v[2:5], v1 offset:1968
	s_wait_loadcnt_dscnt 0x201
	v_mul_f64_e32 v[24:25], v[6:7], v[169:170]
	v_mul_f64_e32 v[28:29], v[8:9], v[169:170]
	v_add_f64_e32 v[20:21], v[20:21], v[22:23]
	v_add_f64_e32 v[18:19], v[18:19], v[26:27]
	s_wait_loadcnt_dscnt 0x100
	v_mul_f64_e32 v[22:23], v[2:3], v[12:13]
	v_mul_f64_e32 v[12:13], v[4:5], v[12:13]
	v_fma_f64 v[8:9], v[8:9], v[167:168], v[24:25]
	v_fma_f64 v[6:7], v[6:7], v[167:168], -v[28:29]
	v_add_f64_e32 v[20:21], v[20:21], v[30:31]
	v_add_f64_e32 v[18:19], v[18:19], v[32:33]
	v_fma_f64 v[4:5], v[4:5], v[10:11], v[22:23]
	v_fma_f64 v[2:3], v[2:3], v[10:11], -v[12:13]
	s_delay_alu instid0(VALU_DEP_4) | instskip(NEXT) | instid1(VALU_DEP_4)
	v_add_f64_e32 v[8:9], v[20:21], v[8:9]
	v_add_f64_e32 v[6:7], v[18:19], v[6:7]
	s_delay_alu instid0(VALU_DEP_2) | instskip(NEXT) | instid1(VALU_DEP_2)
	v_add_f64_e32 v[4:5], v[8:9], v[4:5]
	v_add_f64_e32 v[2:3], v[6:7], v[2:3]
	s_wait_loadcnt 0x0
	s_delay_alu instid0(VALU_DEP_2) | instskip(NEXT) | instid1(VALU_DEP_2)
	v_add_f64_e64 v[4:5], v[16:17], -v[4:5]
	v_add_f64_e64 v[2:3], v[14:15], -v[2:3]
	scratch_store_b128 off, v[2:5], off offset:464
	v_cmpx_lt_u32_e32 27, v0
	s_cbranch_execz .LBB61_343
; %bb.342:
	scratch_load_b128 v[5:8], off, s28
	v_dual_mov_b32 v2, v1 :: v_dual_mov_b32 v3, v1
	v_mov_b32_e32 v4, v1
	scratch_store_b128 off, v[1:4], off offset:448
	s_wait_loadcnt 0x0
	ds_store_b128 v166, v[5:8]
.LBB61_343:
	s_wait_alu 0xfffe
	s_or_b32 exec_lo, exec_lo, s0
	s_wait_storecnt_dscnt 0x0
	s_barrier_signal -1
	s_barrier_wait -1
	global_inv scope:SCOPE_SE
	s_clause 0x7
	scratch_load_b128 v[2:5], off, off offset:464
	scratch_load_b128 v[6:9], off, off offset:480
	;; [unrolled: 1-line block ×8, first 2 shown]
	ds_load_b128 v[38:41], v1 offset:1440
	ds_load_b128 v[167:170], v1 offset:1456
	s_clause 0x1
	scratch_load_b128 v[34:37], off, off offset:592
	scratch_load_b128 v[171:174], off, off offset:608
	s_mov_b32 s0, exec_lo
	s_wait_loadcnt_dscnt 0x901
	v_mul_f64_e32 v[175:176], v[40:41], v[4:5]
	v_mul_f64_e32 v[4:5], v[38:39], v[4:5]
	s_wait_loadcnt_dscnt 0x800
	v_mul_f64_e32 v[177:178], v[167:168], v[8:9]
	v_mul_f64_e32 v[8:9], v[169:170], v[8:9]
	s_delay_alu instid0(VALU_DEP_4) | instskip(NEXT) | instid1(VALU_DEP_4)
	v_fma_f64 v[175:176], v[38:39], v[2:3], -v[175:176]
	v_fma_f64 v[179:180], v[40:41], v[2:3], v[4:5]
	ds_load_b128 v[2:5], v1 offset:1472
	scratch_load_b128 v[38:41], off, off offset:624
	v_fma_f64 v[177:178], v[169:170], v[6:7], v[177:178]
	v_fma_f64 v[183:184], v[167:168], v[6:7], -v[8:9]
	ds_load_b128 v[6:9], v1 offset:1488
	scratch_load_b128 v[167:170], off, off offset:640
	s_wait_loadcnt_dscnt 0x901
	v_mul_f64_e32 v[181:182], v[2:3], v[12:13]
	v_mul_f64_e32 v[12:13], v[4:5], v[12:13]
	s_wait_loadcnt_dscnt 0x800
	v_mul_f64_e32 v[185:186], v[6:7], v[16:17]
	v_mul_f64_e32 v[16:17], v[8:9], v[16:17]
	v_add_f64_e32 v[175:176], 0, v[175:176]
	v_add_f64_e32 v[179:180], 0, v[179:180]
	v_fma_f64 v[181:182], v[4:5], v[10:11], v[181:182]
	v_fma_f64 v[187:188], v[2:3], v[10:11], -v[12:13]
	ds_load_b128 v[2:5], v1 offset:1504
	scratch_load_b128 v[10:13], off, off offset:656
	v_add_f64_e32 v[175:176], v[175:176], v[183:184]
	v_add_f64_e32 v[177:178], v[179:180], v[177:178]
	v_fma_f64 v[183:184], v[8:9], v[14:15], v[185:186]
	v_fma_f64 v[185:186], v[6:7], v[14:15], -v[16:17]
	ds_load_b128 v[6:9], v1 offset:1520
	scratch_load_b128 v[14:17], off, off offset:672
	s_wait_loadcnt_dscnt 0x901
	v_mul_f64_e32 v[179:180], v[2:3], v[20:21]
	v_mul_f64_e32 v[20:21], v[4:5], v[20:21]
	v_add_f64_e32 v[175:176], v[175:176], v[187:188]
	v_add_f64_e32 v[177:178], v[177:178], v[181:182]
	s_wait_loadcnt_dscnt 0x800
	v_mul_f64_e32 v[181:182], v[6:7], v[24:25]
	v_mul_f64_e32 v[24:25], v[8:9], v[24:25]
	v_fma_f64 v[179:180], v[4:5], v[18:19], v[179:180]
	v_fma_f64 v[187:188], v[2:3], v[18:19], -v[20:21]
	ds_load_b128 v[2:5], v1 offset:1536
	scratch_load_b128 v[18:21], off, off offset:688
	v_add_f64_e32 v[175:176], v[175:176], v[185:186]
	v_add_f64_e32 v[177:178], v[177:178], v[183:184]
	v_fma_f64 v[181:182], v[8:9], v[22:23], v[181:182]
	v_fma_f64 v[185:186], v[6:7], v[22:23], -v[24:25]
	ds_load_b128 v[6:9], v1 offset:1552
	s_wait_loadcnt_dscnt 0x801
	v_mul_f64_e32 v[183:184], v[2:3], v[28:29]
	v_mul_f64_e32 v[28:29], v[4:5], v[28:29]
	scratch_load_b128 v[22:25], off, off offset:704
	v_add_f64_e32 v[175:176], v[175:176], v[187:188]
	v_add_f64_e32 v[177:178], v[177:178], v[179:180]
	s_wait_loadcnt_dscnt 0x800
	v_mul_f64_e32 v[179:180], v[6:7], v[32:33]
	v_mul_f64_e32 v[32:33], v[8:9], v[32:33]
	v_fma_f64 v[183:184], v[4:5], v[26:27], v[183:184]
	v_fma_f64 v[187:188], v[2:3], v[26:27], -v[28:29]
	ds_load_b128 v[2:5], v1 offset:1568
	scratch_load_b128 v[26:29], off, off offset:720
	v_add_f64_e32 v[175:176], v[175:176], v[185:186]
	v_add_f64_e32 v[177:178], v[177:178], v[181:182]
	v_fma_f64 v[179:180], v[8:9], v[30:31], v[179:180]
	v_fma_f64 v[185:186], v[6:7], v[30:31], -v[32:33]
	ds_load_b128 v[6:9], v1 offset:1584
	s_wait_loadcnt_dscnt 0x801
	v_mul_f64_e32 v[181:182], v[2:3], v[36:37]
	v_mul_f64_e32 v[36:37], v[4:5], v[36:37]
	scratch_load_b128 v[30:33], off, off offset:736
	v_add_f64_e32 v[175:176], v[175:176], v[187:188]
	v_add_f64_e32 v[177:178], v[177:178], v[183:184]
	s_wait_loadcnt_dscnt 0x800
	v_mul_f64_e32 v[183:184], v[6:7], v[173:174]
	v_mul_f64_e32 v[173:174], v[8:9], v[173:174]
	v_fma_f64 v[181:182], v[4:5], v[34:35], v[181:182]
	v_fma_f64 v[187:188], v[2:3], v[34:35], -v[36:37]
	ds_load_b128 v[2:5], v1 offset:1600
	scratch_load_b128 v[34:37], off, off offset:752
	v_add_f64_e32 v[175:176], v[175:176], v[185:186]
	v_add_f64_e32 v[177:178], v[177:178], v[179:180]
	v_fma_f64 v[183:184], v[8:9], v[171:172], v[183:184]
	v_fma_f64 v[185:186], v[6:7], v[171:172], -v[173:174]
	ds_load_b128 v[6:9], v1 offset:1616
	scratch_load_b128 v[171:174], off, off offset:768
	s_wait_loadcnt_dscnt 0x901
	v_mul_f64_e32 v[179:180], v[2:3], v[40:41]
	v_mul_f64_e32 v[40:41], v[4:5], v[40:41]
	v_add_f64_e32 v[175:176], v[175:176], v[187:188]
	v_add_f64_e32 v[177:178], v[177:178], v[181:182]
	s_wait_loadcnt_dscnt 0x800
	v_mul_f64_e32 v[181:182], v[6:7], v[169:170]
	v_mul_f64_e32 v[169:170], v[8:9], v[169:170]
	v_fma_f64 v[179:180], v[4:5], v[38:39], v[179:180]
	v_fma_f64 v[187:188], v[2:3], v[38:39], -v[40:41]
	ds_load_b128 v[2:5], v1 offset:1632
	scratch_load_b128 v[38:41], off, off offset:784
	v_add_f64_e32 v[175:176], v[175:176], v[185:186]
	v_add_f64_e32 v[177:178], v[177:178], v[183:184]
	v_fma_f64 v[181:182], v[8:9], v[167:168], v[181:182]
	v_fma_f64 v[185:186], v[6:7], v[167:168], -v[169:170]
	ds_load_b128 v[6:9], v1 offset:1648
	s_wait_loadcnt_dscnt 0x801
	v_mul_f64_e32 v[183:184], v[2:3], v[12:13]
	v_mul_f64_e32 v[12:13], v[4:5], v[12:13]
	scratch_load_b128 v[167:170], off, off offset:800
	v_add_f64_e32 v[175:176], v[175:176], v[187:188]
	v_add_f64_e32 v[177:178], v[177:178], v[179:180]
	s_wait_loadcnt_dscnt 0x800
	v_mul_f64_e32 v[179:180], v[6:7], v[16:17]
	v_mul_f64_e32 v[16:17], v[8:9], v[16:17]
	v_fma_f64 v[183:184], v[4:5], v[10:11], v[183:184]
	v_fma_f64 v[187:188], v[2:3], v[10:11], -v[12:13]
	ds_load_b128 v[2:5], v1 offset:1664
	scratch_load_b128 v[10:13], off, off offset:816
	v_add_f64_e32 v[175:176], v[175:176], v[185:186]
	v_add_f64_e32 v[177:178], v[177:178], v[181:182]
	v_fma_f64 v[179:180], v[8:9], v[14:15], v[179:180]
	v_fma_f64 v[185:186], v[6:7], v[14:15], -v[16:17]
	ds_load_b128 v[6:9], v1 offset:1680
	s_wait_loadcnt_dscnt 0x801
	v_mul_f64_e32 v[181:182], v[2:3], v[20:21]
	v_mul_f64_e32 v[20:21], v[4:5], v[20:21]
	scratch_load_b128 v[14:17], off, off offset:832
	;; [unrolled: 18-line block ×7, first 2 shown]
	v_add_f64_e32 v[175:176], v[175:176], v[187:188]
	v_add_f64_e32 v[177:178], v[177:178], v[179:180]
	s_wait_loadcnt_dscnt 0x800
	v_mul_f64_e32 v[179:180], v[6:7], v[24:25]
	v_mul_f64_e32 v[24:25], v[8:9], v[24:25]
	v_fma_f64 v[183:184], v[4:5], v[18:19], v[183:184]
	v_fma_f64 v[18:19], v[2:3], v[18:19], -v[20:21]
	ds_load_b128 v[2:5], v1 offset:1856
	v_add_f64_e32 v[20:21], v[175:176], v[185:186]
	v_add_f64_e32 v[175:176], v[177:178], v[181:182]
	v_fma_f64 v[179:180], v[8:9], v[22:23], v[179:180]
	v_fma_f64 v[22:23], v[6:7], v[22:23], -v[24:25]
	ds_load_b128 v[6:9], v1 offset:1872
	s_wait_loadcnt_dscnt 0x701
	v_mul_f64_e32 v[177:178], v[2:3], v[28:29]
	v_mul_f64_e32 v[28:29], v[4:5], v[28:29]
	v_add_f64_e32 v[18:19], v[20:21], v[18:19]
	v_add_f64_e32 v[20:21], v[175:176], v[183:184]
	s_delay_alu instid0(VALU_DEP_4) | instskip(NEXT) | instid1(VALU_DEP_4)
	v_fma_f64 v[175:176], v[4:5], v[26:27], v[177:178]
	v_fma_f64 v[26:27], v[2:3], v[26:27], -v[28:29]
	ds_load_b128 v[2:5], v1 offset:1888
	v_add_f64_e32 v[22:23], v[18:19], v[22:23]
	v_add_f64_e32 v[28:29], v[20:21], v[179:180]
	scratch_load_b128 v[18:21], off, off offset:448
	s_wait_loadcnt_dscnt 0x701
	v_mul_f64_e32 v[24:25], v[6:7], v[32:33]
	v_mul_f64_e32 v[32:33], v[8:9], v[32:33]
	v_add_f64_e32 v[22:23], v[22:23], v[26:27]
	v_add_f64_e32 v[26:27], v[28:29], v[175:176]
	s_delay_alu instid0(VALU_DEP_4) | instskip(NEXT) | instid1(VALU_DEP_4)
	v_fma_f64 v[24:25], v[8:9], v[30:31], v[24:25]
	v_fma_f64 v[30:31], v[6:7], v[30:31], -v[32:33]
	ds_load_b128 v[6:9], v1 offset:1904
	s_wait_loadcnt_dscnt 0x601
	v_mul_f64_e32 v[177:178], v[2:3], v[36:37]
	v_mul_f64_e32 v[36:37], v[4:5], v[36:37]
	s_wait_loadcnt_dscnt 0x500
	v_mul_f64_e32 v[28:29], v[6:7], v[173:174]
	v_mul_f64_e32 v[32:33], v[8:9], v[173:174]
	v_add_f64_e32 v[24:25], v[26:27], v[24:25]
	v_add_f64_e32 v[22:23], v[22:23], v[30:31]
	v_fma_f64 v[173:174], v[4:5], v[34:35], v[177:178]
	v_fma_f64 v[34:35], v[2:3], v[34:35], -v[36:37]
	ds_load_b128 v[2:5], v1 offset:1920
	v_fma_f64 v[28:29], v[8:9], v[171:172], v[28:29]
	v_fma_f64 v[32:33], v[6:7], v[171:172], -v[32:33]
	ds_load_b128 v[6:9], v1 offset:1936
	s_wait_loadcnt_dscnt 0x401
	v_mul_f64_e32 v[26:27], v[2:3], v[40:41]
	v_mul_f64_e32 v[30:31], v[4:5], v[40:41]
	v_add_f64_e32 v[24:25], v[24:25], v[173:174]
	v_add_f64_e32 v[22:23], v[22:23], v[34:35]
	s_wait_loadcnt_dscnt 0x300
	v_mul_f64_e32 v[34:35], v[6:7], v[169:170]
	v_mul_f64_e32 v[36:37], v[8:9], v[169:170]
	v_fma_f64 v[26:27], v[4:5], v[38:39], v[26:27]
	v_fma_f64 v[30:31], v[2:3], v[38:39], -v[30:31]
	ds_load_b128 v[2:5], v1 offset:1952
	v_add_f64_e32 v[24:25], v[24:25], v[28:29]
	v_add_f64_e32 v[22:23], v[22:23], v[32:33]
	v_fma_f64 v[32:33], v[8:9], v[167:168], v[34:35]
	v_fma_f64 v[34:35], v[6:7], v[167:168], -v[36:37]
	ds_load_b128 v[6:9], v1 offset:1968
	s_wait_loadcnt_dscnt 0x201
	v_mul_f64_e32 v[28:29], v[2:3], v[12:13]
	v_mul_f64_e32 v[12:13], v[4:5], v[12:13]
	v_add_f64_e32 v[24:25], v[24:25], v[26:27]
	v_add_f64_e32 v[22:23], v[22:23], v[30:31]
	s_wait_loadcnt_dscnt 0x100
	v_mul_f64_e32 v[26:27], v[6:7], v[16:17]
	v_mul_f64_e32 v[16:17], v[8:9], v[16:17]
	v_fma_f64 v[4:5], v[4:5], v[10:11], v[28:29]
	v_fma_f64 v[1:2], v[2:3], v[10:11], -v[12:13]
	v_add_f64_e32 v[12:13], v[24:25], v[32:33]
	v_add_f64_e32 v[10:11], v[22:23], v[34:35]
	v_fma_f64 v[8:9], v[8:9], v[14:15], v[26:27]
	v_fma_f64 v[6:7], v[6:7], v[14:15], -v[16:17]
	s_delay_alu instid0(VALU_DEP_4) | instskip(NEXT) | instid1(VALU_DEP_4)
	v_add_f64_e32 v[3:4], v[12:13], v[4:5]
	v_add_f64_e32 v[1:2], v[10:11], v[1:2]
	s_delay_alu instid0(VALU_DEP_2) | instskip(NEXT) | instid1(VALU_DEP_2)
	v_add_f64_e32 v[3:4], v[3:4], v[8:9]
	v_add_f64_e32 v[1:2], v[1:2], v[6:7]
	s_wait_loadcnt 0x0
	s_delay_alu instid0(VALU_DEP_2) | instskip(NEXT) | instid1(VALU_DEP_2)
	v_add_f64_e64 v[3:4], v[20:21], -v[3:4]
	v_add_f64_e64 v[1:2], v[18:19], -v[1:2]
	scratch_store_b128 off, v[1:4], off offset:448
	v_cmpx_lt_u32_e32 26, v0
	s_cbranch_execz .LBB61_345
; %bb.344:
	scratch_load_b128 v[1:4], off, s37
	v_mov_b32_e32 v5, 0
	s_delay_alu instid0(VALU_DEP_1)
	v_dual_mov_b32 v6, v5 :: v_dual_mov_b32 v7, v5
	v_mov_b32_e32 v8, v5
	scratch_store_b128 off, v[5:8], off offset:432
	s_wait_loadcnt 0x0
	ds_store_b128 v166, v[1:4]
.LBB61_345:
	s_wait_alu 0xfffe
	s_or_b32 exec_lo, exec_lo, s0
	s_wait_storecnt_dscnt 0x0
	s_barrier_signal -1
	s_barrier_wait -1
	global_inv scope:SCOPE_SE
	s_clause 0x7
	scratch_load_b128 v[2:5], off, off offset:448
	scratch_load_b128 v[6:9], off, off offset:464
	;; [unrolled: 1-line block ×8, first 2 shown]
	v_mov_b32_e32 v1, 0
	s_clause 0x1
	scratch_load_b128 v[34:37], off, off offset:576
	scratch_load_b128 v[171:174], off, off offset:592
	s_mov_b32 s0, exec_lo
	ds_load_b128 v[38:41], v1 offset:1424
	ds_load_b128 v[167:170], v1 offset:1440
	s_wait_loadcnt_dscnt 0x901
	v_mul_f64_e32 v[175:176], v[40:41], v[4:5]
	v_mul_f64_e32 v[4:5], v[38:39], v[4:5]
	s_wait_loadcnt_dscnt 0x800
	v_mul_f64_e32 v[177:178], v[167:168], v[8:9]
	v_mul_f64_e32 v[8:9], v[169:170], v[8:9]
	s_delay_alu instid0(VALU_DEP_4) | instskip(NEXT) | instid1(VALU_DEP_4)
	v_fma_f64 v[175:176], v[38:39], v[2:3], -v[175:176]
	v_fma_f64 v[179:180], v[40:41], v[2:3], v[4:5]
	ds_load_b128 v[2:5], v1 offset:1456
	scratch_load_b128 v[38:41], off, off offset:608
	v_fma_f64 v[177:178], v[169:170], v[6:7], v[177:178]
	v_fma_f64 v[183:184], v[167:168], v[6:7], -v[8:9]
	ds_load_b128 v[6:9], v1 offset:1472
	scratch_load_b128 v[167:170], off, off offset:624
	s_wait_loadcnt_dscnt 0x901
	v_mul_f64_e32 v[181:182], v[2:3], v[12:13]
	v_mul_f64_e32 v[12:13], v[4:5], v[12:13]
	s_wait_loadcnt_dscnt 0x800
	v_mul_f64_e32 v[185:186], v[6:7], v[16:17]
	v_mul_f64_e32 v[16:17], v[8:9], v[16:17]
	v_add_f64_e32 v[175:176], 0, v[175:176]
	v_add_f64_e32 v[179:180], 0, v[179:180]
	v_fma_f64 v[181:182], v[4:5], v[10:11], v[181:182]
	v_fma_f64 v[187:188], v[2:3], v[10:11], -v[12:13]
	ds_load_b128 v[2:5], v1 offset:1488
	scratch_load_b128 v[10:13], off, off offset:640
	v_add_f64_e32 v[175:176], v[175:176], v[183:184]
	v_add_f64_e32 v[177:178], v[179:180], v[177:178]
	v_fma_f64 v[183:184], v[8:9], v[14:15], v[185:186]
	v_fma_f64 v[185:186], v[6:7], v[14:15], -v[16:17]
	ds_load_b128 v[6:9], v1 offset:1504
	scratch_load_b128 v[14:17], off, off offset:656
	s_wait_loadcnt_dscnt 0x901
	v_mul_f64_e32 v[179:180], v[2:3], v[20:21]
	v_mul_f64_e32 v[20:21], v[4:5], v[20:21]
	v_add_f64_e32 v[175:176], v[175:176], v[187:188]
	v_add_f64_e32 v[177:178], v[177:178], v[181:182]
	s_wait_loadcnt_dscnt 0x800
	v_mul_f64_e32 v[181:182], v[6:7], v[24:25]
	v_mul_f64_e32 v[24:25], v[8:9], v[24:25]
	v_fma_f64 v[179:180], v[4:5], v[18:19], v[179:180]
	v_fma_f64 v[187:188], v[2:3], v[18:19], -v[20:21]
	ds_load_b128 v[2:5], v1 offset:1520
	scratch_load_b128 v[18:21], off, off offset:672
	v_add_f64_e32 v[175:176], v[175:176], v[185:186]
	v_add_f64_e32 v[177:178], v[177:178], v[183:184]
	v_fma_f64 v[181:182], v[8:9], v[22:23], v[181:182]
	v_fma_f64 v[185:186], v[6:7], v[22:23], -v[24:25]
	ds_load_b128 v[6:9], v1 offset:1536
	s_wait_loadcnt_dscnt 0x801
	v_mul_f64_e32 v[183:184], v[2:3], v[28:29]
	v_mul_f64_e32 v[28:29], v[4:5], v[28:29]
	scratch_load_b128 v[22:25], off, off offset:688
	v_add_f64_e32 v[175:176], v[175:176], v[187:188]
	v_add_f64_e32 v[177:178], v[177:178], v[179:180]
	s_wait_loadcnt_dscnt 0x800
	v_mul_f64_e32 v[179:180], v[6:7], v[32:33]
	v_mul_f64_e32 v[32:33], v[8:9], v[32:33]
	v_fma_f64 v[183:184], v[4:5], v[26:27], v[183:184]
	v_fma_f64 v[187:188], v[2:3], v[26:27], -v[28:29]
	ds_load_b128 v[2:5], v1 offset:1552
	scratch_load_b128 v[26:29], off, off offset:704
	v_add_f64_e32 v[175:176], v[175:176], v[185:186]
	v_add_f64_e32 v[177:178], v[177:178], v[181:182]
	v_fma_f64 v[179:180], v[8:9], v[30:31], v[179:180]
	v_fma_f64 v[185:186], v[6:7], v[30:31], -v[32:33]
	ds_load_b128 v[6:9], v1 offset:1568
	s_wait_loadcnt_dscnt 0x801
	v_mul_f64_e32 v[181:182], v[2:3], v[36:37]
	v_mul_f64_e32 v[36:37], v[4:5], v[36:37]
	scratch_load_b128 v[30:33], off, off offset:720
	v_add_f64_e32 v[175:176], v[175:176], v[187:188]
	v_add_f64_e32 v[177:178], v[177:178], v[183:184]
	s_wait_loadcnt_dscnt 0x800
	v_mul_f64_e32 v[183:184], v[6:7], v[173:174]
	v_mul_f64_e32 v[173:174], v[8:9], v[173:174]
	v_fma_f64 v[181:182], v[4:5], v[34:35], v[181:182]
	v_fma_f64 v[187:188], v[2:3], v[34:35], -v[36:37]
	ds_load_b128 v[2:5], v1 offset:1584
	scratch_load_b128 v[34:37], off, off offset:736
	v_add_f64_e32 v[175:176], v[175:176], v[185:186]
	v_add_f64_e32 v[177:178], v[177:178], v[179:180]
	v_fma_f64 v[183:184], v[8:9], v[171:172], v[183:184]
	v_fma_f64 v[185:186], v[6:7], v[171:172], -v[173:174]
	ds_load_b128 v[6:9], v1 offset:1600
	scratch_load_b128 v[171:174], off, off offset:752
	s_wait_loadcnt_dscnt 0x901
	v_mul_f64_e32 v[179:180], v[2:3], v[40:41]
	v_mul_f64_e32 v[40:41], v[4:5], v[40:41]
	v_add_f64_e32 v[175:176], v[175:176], v[187:188]
	v_add_f64_e32 v[177:178], v[177:178], v[181:182]
	s_wait_loadcnt_dscnt 0x800
	v_mul_f64_e32 v[181:182], v[6:7], v[169:170]
	v_mul_f64_e32 v[169:170], v[8:9], v[169:170]
	v_fma_f64 v[179:180], v[4:5], v[38:39], v[179:180]
	v_fma_f64 v[187:188], v[2:3], v[38:39], -v[40:41]
	ds_load_b128 v[2:5], v1 offset:1616
	scratch_load_b128 v[38:41], off, off offset:768
	v_add_f64_e32 v[175:176], v[175:176], v[185:186]
	v_add_f64_e32 v[177:178], v[177:178], v[183:184]
	v_fma_f64 v[181:182], v[8:9], v[167:168], v[181:182]
	v_fma_f64 v[185:186], v[6:7], v[167:168], -v[169:170]
	ds_load_b128 v[6:9], v1 offset:1632
	s_wait_loadcnt_dscnt 0x801
	v_mul_f64_e32 v[183:184], v[2:3], v[12:13]
	v_mul_f64_e32 v[12:13], v[4:5], v[12:13]
	scratch_load_b128 v[167:170], off, off offset:784
	v_add_f64_e32 v[175:176], v[175:176], v[187:188]
	v_add_f64_e32 v[177:178], v[177:178], v[179:180]
	s_wait_loadcnt_dscnt 0x800
	v_mul_f64_e32 v[179:180], v[6:7], v[16:17]
	v_mul_f64_e32 v[16:17], v[8:9], v[16:17]
	v_fma_f64 v[183:184], v[4:5], v[10:11], v[183:184]
	v_fma_f64 v[187:188], v[2:3], v[10:11], -v[12:13]
	ds_load_b128 v[2:5], v1 offset:1648
	scratch_load_b128 v[10:13], off, off offset:800
	v_add_f64_e32 v[175:176], v[175:176], v[185:186]
	v_add_f64_e32 v[177:178], v[177:178], v[181:182]
	v_fma_f64 v[179:180], v[8:9], v[14:15], v[179:180]
	v_fma_f64 v[185:186], v[6:7], v[14:15], -v[16:17]
	ds_load_b128 v[6:9], v1 offset:1664
	s_wait_loadcnt_dscnt 0x801
	v_mul_f64_e32 v[181:182], v[2:3], v[20:21]
	v_mul_f64_e32 v[20:21], v[4:5], v[20:21]
	scratch_load_b128 v[14:17], off, off offset:816
	;; [unrolled: 18-line block ×7, first 2 shown]
	v_add_f64_e32 v[175:176], v[175:176], v[187:188]
	v_add_f64_e32 v[177:178], v[177:178], v[179:180]
	s_wait_loadcnt_dscnt 0x800
	v_mul_f64_e32 v[179:180], v[6:7], v[24:25]
	v_mul_f64_e32 v[24:25], v[8:9], v[24:25]
	v_fma_f64 v[183:184], v[4:5], v[18:19], v[183:184]
	v_fma_f64 v[187:188], v[2:3], v[18:19], -v[20:21]
	ds_load_b128 v[2:5], v1 offset:1840
	scratch_load_b128 v[18:21], off, off offset:992
	v_add_f64_e32 v[175:176], v[175:176], v[185:186]
	v_add_f64_e32 v[177:178], v[177:178], v[181:182]
	v_fma_f64 v[179:180], v[8:9], v[22:23], v[179:180]
	v_fma_f64 v[22:23], v[6:7], v[22:23], -v[24:25]
	ds_load_b128 v[6:9], v1 offset:1856
	s_wait_loadcnt_dscnt 0x801
	v_mul_f64_e32 v[181:182], v[2:3], v[28:29]
	v_mul_f64_e32 v[28:29], v[4:5], v[28:29]
	v_add_f64_e32 v[24:25], v[175:176], v[187:188]
	v_add_f64_e32 v[175:176], v[177:178], v[183:184]
	s_wait_loadcnt_dscnt 0x700
	v_mul_f64_e32 v[177:178], v[6:7], v[32:33]
	v_mul_f64_e32 v[32:33], v[8:9], v[32:33]
	v_fma_f64 v[181:182], v[4:5], v[26:27], v[181:182]
	v_fma_f64 v[26:27], v[2:3], v[26:27], -v[28:29]
	ds_load_b128 v[2:5], v1 offset:1872
	v_add_f64_e32 v[22:23], v[24:25], v[22:23]
	v_add_f64_e32 v[24:25], v[175:176], v[179:180]
	v_fma_f64 v[175:176], v[8:9], v[30:31], v[177:178]
	v_fma_f64 v[30:31], v[6:7], v[30:31], -v[32:33]
	ds_load_b128 v[6:9], v1 offset:1888
	s_wait_loadcnt_dscnt 0x500
	v_mul_f64_e32 v[177:178], v[6:7], v[173:174]
	v_mul_f64_e32 v[173:174], v[8:9], v[173:174]
	v_add_f64_e32 v[26:27], v[22:23], v[26:27]
	v_add_f64_e32 v[32:33], v[24:25], v[181:182]
	scratch_load_b128 v[22:25], off, off offset:432
	v_mul_f64_e32 v[28:29], v[2:3], v[36:37]
	v_mul_f64_e32 v[36:37], v[4:5], v[36:37]
	v_add_f64_e32 v[26:27], v[26:27], v[30:31]
	v_add_f64_e32 v[30:31], v[32:33], v[175:176]
	s_delay_alu instid0(VALU_DEP_4) | instskip(NEXT) | instid1(VALU_DEP_4)
	v_fma_f64 v[28:29], v[4:5], v[34:35], v[28:29]
	v_fma_f64 v[34:35], v[2:3], v[34:35], -v[36:37]
	ds_load_b128 v[2:5], v1 offset:1904
	s_wait_loadcnt_dscnt 0x500
	v_mul_f64_e32 v[32:33], v[2:3], v[40:41]
	v_mul_f64_e32 v[36:37], v[4:5], v[40:41]
	v_fma_f64 v[40:41], v[8:9], v[171:172], v[177:178]
	v_fma_f64 v[171:172], v[6:7], v[171:172], -v[173:174]
	ds_load_b128 v[6:9], v1 offset:1920
	v_add_f64_e32 v[28:29], v[30:31], v[28:29]
	v_add_f64_e32 v[26:27], v[26:27], v[34:35]
	v_fma_f64 v[32:33], v[4:5], v[38:39], v[32:33]
	v_fma_f64 v[36:37], v[2:3], v[38:39], -v[36:37]
	ds_load_b128 v[2:5], v1 offset:1936
	s_wait_loadcnt_dscnt 0x401
	v_mul_f64_e32 v[30:31], v[6:7], v[169:170]
	v_mul_f64_e32 v[34:35], v[8:9], v[169:170]
	v_add_f64_e32 v[28:29], v[28:29], v[40:41]
	v_add_f64_e32 v[26:27], v[26:27], v[171:172]
	s_wait_loadcnt_dscnt 0x300
	v_mul_f64_e32 v[38:39], v[2:3], v[12:13]
	v_mul_f64_e32 v[12:13], v[4:5], v[12:13]
	v_fma_f64 v[30:31], v[8:9], v[167:168], v[30:31]
	v_fma_f64 v[34:35], v[6:7], v[167:168], -v[34:35]
	ds_load_b128 v[6:9], v1 offset:1952
	v_add_f64_e32 v[28:29], v[28:29], v[32:33]
	v_add_f64_e32 v[26:27], v[26:27], v[36:37]
	v_fma_f64 v[36:37], v[4:5], v[10:11], v[38:39]
	v_fma_f64 v[10:11], v[2:3], v[10:11], -v[12:13]
	ds_load_b128 v[2:5], v1 offset:1968
	s_wait_loadcnt_dscnt 0x201
	v_mul_f64_e32 v[32:33], v[6:7], v[16:17]
	v_mul_f64_e32 v[16:17], v[8:9], v[16:17]
	v_add_f64_e32 v[12:13], v[26:27], v[34:35]
	v_add_f64_e32 v[26:27], v[28:29], v[30:31]
	s_wait_loadcnt_dscnt 0x100
	v_mul_f64_e32 v[28:29], v[2:3], v[20:21]
	v_mul_f64_e32 v[20:21], v[4:5], v[20:21]
	v_fma_f64 v[8:9], v[8:9], v[14:15], v[32:33]
	v_fma_f64 v[6:7], v[6:7], v[14:15], -v[16:17]
	v_add_f64_e32 v[10:11], v[12:13], v[10:11]
	v_add_f64_e32 v[12:13], v[26:27], v[36:37]
	v_fma_f64 v[4:5], v[4:5], v[18:19], v[28:29]
	v_fma_f64 v[2:3], v[2:3], v[18:19], -v[20:21]
	s_delay_alu instid0(VALU_DEP_4) | instskip(NEXT) | instid1(VALU_DEP_4)
	v_add_f64_e32 v[6:7], v[10:11], v[6:7]
	v_add_f64_e32 v[8:9], v[12:13], v[8:9]
	s_delay_alu instid0(VALU_DEP_2) | instskip(NEXT) | instid1(VALU_DEP_2)
	v_add_f64_e32 v[2:3], v[6:7], v[2:3]
	v_add_f64_e32 v[4:5], v[8:9], v[4:5]
	s_wait_loadcnt 0x0
	s_delay_alu instid0(VALU_DEP_2) | instskip(NEXT) | instid1(VALU_DEP_2)
	v_add_f64_e64 v[2:3], v[22:23], -v[2:3]
	v_add_f64_e64 v[4:5], v[24:25], -v[4:5]
	scratch_store_b128 off, v[2:5], off offset:432
	v_cmpx_lt_u32_e32 25, v0
	s_cbranch_execz .LBB61_347
; %bb.346:
	scratch_load_b128 v[5:8], off, s36
	v_dual_mov_b32 v2, v1 :: v_dual_mov_b32 v3, v1
	v_mov_b32_e32 v4, v1
	scratch_store_b128 off, v[1:4], off offset:416
	s_wait_loadcnt 0x0
	ds_store_b128 v166, v[5:8]
.LBB61_347:
	s_wait_alu 0xfffe
	s_or_b32 exec_lo, exec_lo, s0
	s_wait_storecnt_dscnt 0x0
	s_barrier_signal -1
	s_barrier_wait -1
	global_inv scope:SCOPE_SE
	s_clause 0x7
	scratch_load_b128 v[2:5], off, off offset:432
	scratch_load_b128 v[6:9], off, off offset:448
	;; [unrolled: 1-line block ×8, first 2 shown]
	ds_load_b128 v[38:41], v1 offset:1408
	ds_load_b128 v[167:170], v1 offset:1424
	s_clause 0x1
	scratch_load_b128 v[34:37], off, off offset:560
	scratch_load_b128 v[171:174], off, off offset:576
	s_mov_b32 s0, exec_lo
	s_wait_loadcnt_dscnt 0x901
	v_mul_f64_e32 v[175:176], v[40:41], v[4:5]
	v_mul_f64_e32 v[4:5], v[38:39], v[4:5]
	s_wait_loadcnt_dscnt 0x800
	v_mul_f64_e32 v[177:178], v[167:168], v[8:9]
	v_mul_f64_e32 v[8:9], v[169:170], v[8:9]
	s_delay_alu instid0(VALU_DEP_4) | instskip(NEXT) | instid1(VALU_DEP_4)
	v_fma_f64 v[175:176], v[38:39], v[2:3], -v[175:176]
	v_fma_f64 v[179:180], v[40:41], v[2:3], v[4:5]
	ds_load_b128 v[2:5], v1 offset:1440
	scratch_load_b128 v[38:41], off, off offset:592
	v_fma_f64 v[177:178], v[169:170], v[6:7], v[177:178]
	v_fma_f64 v[183:184], v[167:168], v[6:7], -v[8:9]
	ds_load_b128 v[6:9], v1 offset:1456
	scratch_load_b128 v[167:170], off, off offset:608
	s_wait_loadcnt_dscnt 0x901
	v_mul_f64_e32 v[181:182], v[2:3], v[12:13]
	v_mul_f64_e32 v[12:13], v[4:5], v[12:13]
	s_wait_loadcnt_dscnt 0x800
	v_mul_f64_e32 v[185:186], v[6:7], v[16:17]
	v_mul_f64_e32 v[16:17], v[8:9], v[16:17]
	v_add_f64_e32 v[175:176], 0, v[175:176]
	v_add_f64_e32 v[179:180], 0, v[179:180]
	v_fma_f64 v[181:182], v[4:5], v[10:11], v[181:182]
	v_fma_f64 v[187:188], v[2:3], v[10:11], -v[12:13]
	ds_load_b128 v[2:5], v1 offset:1472
	scratch_load_b128 v[10:13], off, off offset:624
	v_add_f64_e32 v[175:176], v[175:176], v[183:184]
	v_add_f64_e32 v[177:178], v[179:180], v[177:178]
	v_fma_f64 v[183:184], v[8:9], v[14:15], v[185:186]
	v_fma_f64 v[185:186], v[6:7], v[14:15], -v[16:17]
	ds_load_b128 v[6:9], v1 offset:1488
	scratch_load_b128 v[14:17], off, off offset:640
	s_wait_loadcnt_dscnt 0x901
	v_mul_f64_e32 v[179:180], v[2:3], v[20:21]
	v_mul_f64_e32 v[20:21], v[4:5], v[20:21]
	v_add_f64_e32 v[175:176], v[175:176], v[187:188]
	v_add_f64_e32 v[177:178], v[177:178], v[181:182]
	s_wait_loadcnt_dscnt 0x800
	v_mul_f64_e32 v[181:182], v[6:7], v[24:25]
	v_mul_f64_e32 v[24:25], v[8:9], v[24:25]
	v_fma_f64 v[179:180], v[4:5], v[18:19], v[179:180]
	v_fma_f64 v[187:188], v[2:3], v[18:19], -v[20:21]
	ds_load_b128 v[2:5], v1 offset:1504
	scratch_load_b128 v[18:21], off, off offset:656
	v_add_f64_e32 v[175:176], v[175:176], v[185:186]
	v_add_f64_e32 v[177:178], v[177:178], v[183:184]
	v_fma_f64 v[181:182], v[8:9], v[22:23], v[181:182]
	v_fma_f64 v[185:186], v[6:7], v[22:23], -v[24:25]
	ds_load_b128 v[6:9], v1 offset:1520
	s_wait_loadcnt_dscnt 0x801
	v_mul_f64_e32 v[183:184], v[2:3], v[28:29]
	v_mul_f64_e32 v[28:29], v[4:5], v[28:29]
	scratch_load_b128 v[22:25], off, off offset:672
	v_add_f64_e32 v[175:176], v[175:176], v[187:188]
	v_add_f64_e32 v[177:178], v[177:178], v[179:180]
	s_wait_loadcnt_dscnt 0x800
	v_mul_f64_e32 v[179:180], v[6:7], v[32:33]
	v_mul_f64_e32 v[32:33], v[8:9], v[32:33]
	v_fma_f64 v[183:184], v[4:5], v[26:27], v[183:184]
	v_fma_f64 v[187:188], v[2:3], v[26:27], -v[28:29]
	ds_load_b128 v[2:5], v1 offset:1536
	scratch_load_b128 v[26:29], off, off offset:688
	v_add_f64_e32 v[175:176], v[175:176], v[185:186]
	v_add_f64_e32 v[177:178], v[177:178], v[181:182]
	v_fma_f64 v[179:180], v[8:9], v[30:31], v[179:180]
	v_fma_f64 v[185:186], v[6:7], v[30:31], -v[32:33]
	ds_load_b128 v[6:9], v1 offset:1552
	s_wait_loadcnt_dscnt 0x801
	v_mul_f64_e32 v[181:182], v[2:3], v[36:37]
	v_mul_f64_e32 v[36:37], v[4:5], v[36:37]
	scratch_load_b128 v[30:33], off, off offset:704
	v_add_f64_e32 v[175:176], v[175:176], v[187:188]
	v_add_f64_e32 v[177:178], v[177:178], v[183:184]
	s_wait_loadcnt_dscnt 0x800
	v_mul_f64_e32 v[183:184], v[6:7], v[173:174]
	v_mul_f64_e32 v[173:174], v[8:9], v[173:174]
	v_fma_f64 v[181:182], v[4:5], v[34:35], v[181:182]
	v_fma_f64 v[187:188], v[2:3], v[34:35], -v[36:37]
	ds_load_b128 v[2:5], v1 offset:1568
	scratch_load_b128 v[34:37], off, off offset:720
	v_add_f64_e32 v[175:176], v[175:176], v[185:186]
	v_add_f64_e32 v[177:178], v[177:178], v[179:180]
	v_fma_f64 v[183:184], v[8:9], v[171:172], v[183:184]
	v_fma_f64 v[185:186], v[6:7], v[171:172], -v[173:174]
	ds_load_b128 v[6:9], v1 offset:1584
	scratch_load_b128 v[171:174], off, off offset:736
	s_wait_loadcnt_dscnt 0x901
	v_mul_f64_e32 v[179:180], v[2:3], v[40:41]
	v_mul_f64_e32 v[40:41], v[4:5], v[40:41]
	v_add_f64_e32 v[175:176], v[175:176], v[187:188]
	v_add_f64_e32 v[177:178], v[177:178], v[181:182]
	s_wait_loadcnt_dscnt 0x800
	v_mul_f64_e32 v[181:182], v[6:7], v[169:170]
	v_mul_f64_e32 v[169:170], v[8:9], v[169:170]
	v_fma_f64 v[179:180], v[4:5], v[38:39], v[179:180]
	v_fma_f64 v[187:188], v[2:3], v[38:39], -v[40:41]
	ds_load_b128 v[2:5], v1 offset:1600
	scratch_load_b128 v[38:41], off, off offset:752
	v_add_f64_e32 v[175:176], v[175:176], v[185:186]
	v_add_f64_e32 v[177:178], v[177:178], v[183:184]
	v_fma_f64 v[181:182], v[8:9], v[167:168], v[181:182]
	v_fma_f64 v[185:186], v[6:7], v[167:168], -v[169:170]
	ds_load_b128 v[6:9], v1 offset:1616
	s_wait_loadcnt_dscnt 0x801
	v_mul_f64_e32 v[183:184], v[2:3], v[12:13]
	v_mul_f64_e32 v[12:13], v[4:5], v[12:13]
	scratch_load_b128 v[167:170], off, off offset:768
	v_add_f64_e32 v[175:176], v[175:176], v[187:188]
	v_add_f64_e32 v[177:178], v[177:178], v[179:180]
	s_wait_loadcnt_dscnt 0x800
	v_mul_f64_e32 v[179:180], v[6:7], v[16:17]
	v_mul_f64_e32 v[16:17], v[8:9], v[16:17]
	v_fma_f64 v[183:184], v[4:5], v[10:11], v[183:184]
	v_fma_f64 v[187:188], v[2:3], v[10:11], -v[12:13]
	ds_load_b128 v[2:5], v1 offset:1632
	scratch_load_b128 v[10:13], off, off offset:784
	v_add_f64_e32 v[175:176], v[175:176], v[185:186]
	v_add_f64_e32 v[177:178], v[177:178], v[181:182]
	v_fma_f64 v[179:180], v[8:9], v[14:15], v[179:180]
	v_fma_f64 v[185:186], v[6:7], v[14:15], -v[16:17]
	ds_load_b128 v[6:9], v1 offset:1648
	s_wait_loadcnt_dscnt 0x801
	v_mul_f64_e32 v[181:182], v[2:3], v[20:21]
	v_mul_f64_e32 v[20:21], v[4:5], v[20:21]
	scratch_load_b128 v[14:17], off, off offset:800
	;; [unrolled: 18-line block ×8, first 2 shown]
	v_add_f64_e32 v[175:176], v[175:176], v[187:188]
	v_add_f64_e32 v[177:178], v[177:178], v[183:184]
	s_wait_loadcnt_dscnt 0x800
	v_mul_f64_e32 v[183:184], v[6:7], v[32:33]
	v_mul_f64_e32 v[32:33], v[8:9], v[32:33]
	v_fma_f64 v[181:182], v[4:5], v[26:27], v[181:182]
	v_fma_f64 v[26:27], v[2:3], v[26:27], -v[28:29]
	ds_load_b128 v[2:5], v1 offset:1856
	v_add_f64_e32 v[28:29], v[175:176], v[185:186]
	v_add_f64_e32 v[175:176], v[177:178], v[179:180]
	v_fma_f64 v[179:180], v[8:9], v[30:31], v[183:184]
	v_fma_f64 v[30:31], v[6:7], v[30:31], -v[32:33]
	ds_load_b128 v[6:9], v1 offset:1872
	s_wait_loadcnt_dscnt 0x701
	v_mul_f64_e32 v[177:178], v[2:3], v[36:37]
	v_mul_f64_e32 v[36:37], v[4:5], v[36:37]
	v_add_f64_e32 v[26:27], v[28:29], v[26:27]
	v_add_f64_e32 v[28:29], v[175:176], v[181:182]
	s_delay_alu instid0(VALU_DEP_4) | instskip(NEXT) | instid1(VALU_DEP_4)
	v_fma_f64 v[175:176], v[4:5], v[34:35], v[177:178]
	v_fma_f64 v[34:35], v[2:3], v[34:35], -v[36:37]
	ds_load_b128 v[2:5], v1 offset:1888
	v_add_f64_e32 v[30:31], v[26:27], v[30:31]
	v_add_f64_e32 v[36:37], v[28:29], v[179:180]
	scratch_load_b128 v[26:29], off, off offset:416
	s_wait_loadcnt_dscnt 0x701
	v_mul_f64_e32 v[32:33], v[6:7], v[173:174]
	v_mul_f64_e32 v[173:174], v[8:9], v[173:174]
	v_add_f64_e32 v[30:31], v[30:31], v[34:35]
	v_add_f64_e32 v[34:35], v[36:37], v[175:176]
	s_delay_alu instid0(VALU_DEP_4) | instskip(NEXT) | instid1(VALU_DEP_4)
	v_fma_f64 v[32:33], v[8:9], v[171:172], v[32:33]
	v_fma_f64 v[171:172], v[6:7], v[171:172], -v[173:174]
	ds_load_b128 v[6:9], v1 offset:1904
	s_wait_loadcnt_dscnt 0x601
	v_mul_f64_e32 v[177:178], v[2:3], v[40:41]
	v_mul_f64_e32 v[40:41], v[4:5], v[40:41]
	s_wait_loadcnt_dscnt 0x500
	v_mul_f64_e32 v[36:37], v[6:7], v[169:170]
	v_mul_f64_e32 v[169:170], v[8:9], v[169:170]
	v_add_f64_e32 v[32:33], v[34:35], v[32:33]
	v_add_f64_e32 v[30:31], v[30:31], v[171:172]
	v_fma_f64 v[173:174], v[4:5], v[38:39], v[177:178]
	v_fma_f64 v[38:39], v[2:3], v[38:39], -v[40:41]
	ds_load_b128 v[2:5], v1 offset:1920
	v_fma_f64 v[36:37], v[8:9], v[167:168], v[36:37]
	v_fma_f64 v[40:41], v[6:7], v[167:168], -v[169:170]
	ds_load_b128 v[6:9], v1 offset:1936
	s_wait_loadcnt_dscnt 0x401
	v_mul_f64_e32 v[34:35], v[2:3], v[12:13]
	v_mul_f64_e32 v[12:13], v[4:5], v[12:13]
	v_add_f64_e32 v[32:33], v[32:33], v[173:174]
	v_add_f64_e32 v[30:31], v[30:31], v[38:39]
	s_wait_loadcnt_dscnt 0x300
	v_mul_f64_e32 v[38:39], v[6:7], v[16:17]
	v_mul_f64_e32 v[16:17], v[8:9], v[16:17]
	v_fma_f64 v[34:35], v[4:5], v[10:11], v[34:35]
	v_fma_f64 v[10:11], v[2:3], v[10:11], -v[12:13]
	ds_load_b128 v[2:5], v1 offset:1952
	v_add_f64_e32 v[12:13], v[30:31], v[40:41]
	v_add_f64_e32 v[30:31], v[32:33], v[36:37]
	v_fma_f64 v[36:37], v[8:9], v[14:15], v[38:39]
	v_fma_f64 v[14:15], v[6:7], v[14:15], -v[16:17]
	ds_load_b128 v[6:9], v1 offset:1968
	s_wait_loadcnt_dscnt 0x201
	v_mul_f64_e32 v[32:33], v[2:3], v[20:21]
	v_mul_f64_e32 v[20:21], v[4:5], v[20:21]
	s_wait_loadcnt_dscnt 0x100
	v_mul_f64_e32 v[16:17], v[6:7], v[24:25]
	v_mul_f64_e32 v[24:25], v[8:9], v[24:25]
	v_add_f64_e32 v[10:11], v[12:13], v[10:11]
	v_add_f64_e32 v[12:13], v[30:31], v[34:35]
	v_fma_f64 v[4:5], v[4:5], v[18:19], v[32:33]
	v_fma_f64 v[1:2], v[2:3], v[18:19], -v[20:21]
	v_fma_f64 v[8:9], v[8:9], v[22:23], v[16:17]
	v_fma_f64 v[6:7], v[6:7], v[22:23], -v[24:25]
	v_add_f64_e32 v[10:11], v[10:11], v[14:15]
	v_add_f64_e32 v[12:13], v[12:13], v[36:37]
	s_delay_alu instid0(VALU_DEP_2) | instskip(NEXT) | instid1(VALU_DEP_2)
	v_add_f64_e32 v[1:2], v[10:11], v[1:2]
	v_add_f64_e32 v[3:4], v[12:13], v[4:5]
	s_delay_alu instid0(VALU_DEP_2) | instskip(NEXT) | instid1(VALU_DEP_2)
	v_add_f64_e32 v[1:2], v[1:2], v[6:7]
	v_add_f64_e32 v[3:4], v[3:4], v[8:9]
	s_wait_loadcnt 0x0
	s_delay_alu instid0(VALU_DEP_2) | instskip(NEXT) | instid1(VALU_DEP_2)
	v_add_f64_e64 v[1:2], v[26:27], -v[1:2]
	v_add_f64_e64 v[3:4], v[28:29], -v[3:4]
	scratch_store_b128 off, v[1:4], off offset:416
	v_cmpx_lt_u32_e32 24, v0
	s_cbranch_execz .LBB61_349
; %bb.348:
	scratch_load_b128 v[1:4], off, s40
	v_mov_b32_e32 v5, 0
	s_delay_alu instid0(VALU_DEP_1)
	v_dual_mov_b32 v6, v5 :: v_dual_mov_b32 v7, v5
	v_mov_b32_e32 v8, v5
	scratch_store_b128 off, v[5:8], off offset:400
	s_wait_loadcnt 0x0
	ds_store_b128 v166, v[1:4]
.LBB61_349:
	s_wait_alu 0xfffe
	s_or_b32 exec_lo, exec_lo, s0
	s_wait_storecnt_dscnt 0x0
	s_barrier_signal -1
	s_barrier_wait -1
	global_inv scope:SCOPE_SE
	s_clause 0x7
	scratch_load_b128 v[2:5], off, off offset:416
	scratch_load_b128 v[6:9], off, off offset:432
	;; [unrolled: 1-line block ×8, first 2 shown]
	v_mov_b32_e32 v1, 0
	s_clause 0x1
	scratch_load_b128 v[34:37], off, off offset:544
	scratch_load_b128 v[171:174], off, off offset:560
	s_mov_b32 s0, exec_lo
	ds_load_b128 v[38:41], v1 offset:1392
	ds_load_b128 v[167:170], v1 offset:1408
	s_wait_loadcnt_dscnt 0x901
	v_mul_f64_e32 v[175:176], v[40:41], v[4:5]
	v_mul_f64_e32 v[4:5], v[38:39], v[4:5]
	s_wait_loadcnt_dscnt 0x800
	v_mul_f64_e32 v[177:178], v[167:168], v[8:9]
	v_mul_f64_e32 v[8:9], v[169:170], v[8:9]
	s_delay_alu instid0(VALU_DEP_4) | instskip(NEXT) | instid1(VALU_DEP_4)
	v_fma_f64 v[175:176], v[38:39], v[2:3], -v[175:176]
	v_fma_f64 v[179:180], v[40:41], v[2:3], v[4:5]
	ds_load_b128 v[2:5], v1 offset:1424
	scratch_load_b128 v[38:41], off, off offset:576
	v_fma_f64 v[177:178], v[169:170], v[6:7], v[177:178]
	v_fma_f64 v[183:184], v[167:168], v[6:7], -v[8:9]
	ds_load_b128 v[6:9], v1 offset:1440
	scratch_load_b128 v[167:170], off, off offset:592
	s_wait_loadcnt_dscnt 0x901
	v_mul_f64_e32 v[181:182], v[2:3], v[12:13]
	v_mul_f64_e32 v[12:13], v[4:5], v[12:13]
	s_wait_loadcnt_dscnt 0x800
	v_mul_f64_e32 v[185:186], v[6:7], v[16:17]
	v_mul_f64_e32 v[16:17], v[8:9], v[16:17]
	v_add_f64_e32 v[175:176], 0, v[175:176]
	v_add_f64_e32 v[179:180], 0, v[179:180]
	v_fma_f64 v[181:182], v[4:5], v[10:11], v[181:182]
	v_fma_f64 v[187:188], v[2:3], v[10:11], -v[12:13]
	ds_load_b128 v[2:5], v1 offset:1456
	scratch_load_b128 v[10:13], off, off offset:608
	v_add_f64_e32 v[175:176], v[175:176], v[183:184]
	v_add_f64_e32 v[177:178], v[179:180], v[177:178]
	v_fma_f64 v[183:184], v[8:9], v[14:15], v[185:186]
	v_fma_f64 v[185:186], v[6:7], v[14:15], -v[16:17]
	ds_load_b128 v[6:9], v1 offset:1472
	scratch_load_b128 v[14:17], off, off offset:624
	s_wait_loadcnt_dscnt 0x901
	v_mul_f64_e32 v[179:180], v[2:3], v[20:21]
	v_mul_f64_e32 v[20:21], v[4:5], v[20:21]
	v_add_f64_e32 v[175:176], v[175:176], v[187:188]
	v_add_f64_e32 v[177:178], v[177:178], v[181:182]
	s_wait_loadcnt_dscnt 0x800
	v_mul_f64_e32 v[181:182], v[6:7], v[24:25]
	v_mul_f64_e32 v[24:25], v[8:9], v[24:25]
	v_fma_f64 v[179:180], v[4:5], v[18:19], v[179:180]
	v_fma_f64 v[187:188], v[2:3], v[18:19], -v[20:21]
	ds_load_b128 v[2:5], v1 offset:1488
	scratch_load_b128 v[18:21], off, off offset:640
	v_add_f64_e32 v[175:176], v[175:176], v[185:186]
	v_add_f64_e32 v[177:178], v[177:178], v[183:184]
	v_fma_f64 v[181:182], v[8:9], v[22:23], v[181:182]
	v_fma_f64 v[185:186], v[6:7], v[22:23], -v[24:25]
	ds_load_b128 v[6:9], v1 offset:1504
	s_wait_loadcnt_dscnt 0x801
	v_mul_f64_e32 v[183:184], v[2:3], v[28:29]
	v_mul_f64_e32 v[28:29], v[4:5], v[28:29]
	scratch_load_b128 v[22:25], off, off offset:656
	v_add_f64_e32 v[175:176], v[175:176], v[187:188]
	v_add_f64_e32 v[177:178], v[177:178], v[179:180]
	s_wait_loadcnt_dscnt 0x800
	v_mul_f64_e32 v[179:180], v[6:7], v[32:33]
	v_mul_f64_e32 v[32:33], v[8:9], v[32:33]
	v_fma_f64 v[183:184], v[4:5], v[26:27], v[183:184]
	v_fma_f64 v[187:188], v[2:3], v[26:27], -v[28:29]
	ds_load_b128 v[2:5], v1 offset:1520
	scratch_load_b128 v[26:29], off, off offset:672
	v_add_f64_e32 v[175:176], v[175:176], v[185:186]
	v_add_f64_e32 v[177:178], v[177:178], v[181:182]
	v_fma_f64 v[179:180], v[8:9], v[30:31], v[179:180]
	v_fma_f64 v[185:186], v[6:7], v[30:31], -v[32:33]
	ds_load_b128 v[6:9], v1 offset:1536
	s_wait_loadcnt_dscnt 0x801
	v_mul_f64_e32 v[181:182], v[2:3], v[36:37]
	v_mul_f64_e32 v[36:37], v[4:5], v[36:37]
	scratch_load_b128 v[30:33], off, off offset:688
	v_add_f64_e32 v[175:176], v[175:176], v[187:188]
	v_add_f64_e32 v[177:178], v[177:178], v[183:184]
	s_wait_loadcnt_dscnt 0x800
	v_mul_f64_e32 v[183:184], v[6:7], v[173:174]
	v_mul_f64_e32 v[173:174], v[8:9], v[173:174]
	v_fma_f64 v[181:182], v[4:5], v[34:35], v[181:182]
	v_fma_f64 v[187:188], v[2:3], v[34:35], -v[36:37]
	ds_load_b128 v[2:5], v1 offset:1552
	scratch_load_b128 v[34:37], off, off offset:704
	v_add_f64_e32 v[175:176], v[175:176], v[185:186]
	v_add_f64_e32 v[177:178], v[177:178], v[179:180]
	v_fma_f64 v[183:184], v[8:9], v[171:172], v[183:184]
	v_fma_f64 v[185:186], v[6:7], v[171:172], -v[173:174]
	ds_load_b128 v[6:9], v1 offset:1568
	scratch_load_b128 v[171:174], off, off offset:720
	s_wait_loadcnt_dscnt 0x901
	v_mul_f64_e32 v[179:180], v[2:3], v[40:41]
	v_mul_f64_e32 v[40:41], v[4:5], v[40:41]
	v_add_f64_e32 v[175:176], v[175:176], v[187:188]
	v_add_f64_e32 v[177:178], v[177:178], v[181:182]
	s_wait_loadcnt_dscnt 0x800
	v_mul_f64_e32 v[181:182], v[6:7], v[169:170]
	v_mul_f64_e32 v[169:170], v[8:9], v[169:170]
	v_fma_f64 v[179:180], v[4:5], v[38:39], v[179:180]
	v_fma_f64 v[187:188], v[2:3], v[38:39], -v[40:41]
	ds_load_b128 v[2:5], v1 offset:1584
	scratch_load_b128 v[38:41], off, off offset:736
	v_add_f64_e32 v[175:176], v[175:176], v[185:186]
	v_add_f64_e32 v[177:178], v[177:178], v[183:184]
	v_fma_f64 v[181:182], v[8:9], v[167:168], v[181:182]
	v_fma_f64 v[185:186], v[6:7], v[167:168], -v[169:170]
	ds_load_b128 v[6:9], v1 offset:1600
	s_wait_loadcnt_dscnt 0x801
	v_mul_f64_e32 v[183:184], v[2:3], v[12:13]
	v_mul_f64_e32 v[12:13], v[4:5], v[12:13]
	scratch_load_b128 v[167:170], off, off offset:752
	v_add_f64_e32 v[175:176], v[175:176], v[187:188]
	v_add_f64_e32 v[177:178], v[177:178], v[179:180]
	s_wait_loadcnt_dscnt 0x800
	v_mul_f64_e32 v[179:180], v[6:7], v[16:17]
	v_mul_f64_e32 v[16:17], v[8:9], v[16:17]
	v_fma_f64 v[183:184], v[4:5], v[10:11], v[183:184]
	v_fma_f64 v[187:188], v[2:3], v[10:11], -v[12:13]
	ds_load_b128 v[2:5], v1 offset:1616
	scratch_load_b128 v[10:13], off, off offset:768
	v_add_f64_e32 v[175:176], v[175:176], v[185:186]
	v_add_f64_e32 v[177:178], v[177:178], v[181:182]
	v_fma_f64 v[179:180], v[8:9], v[14:15], v[179:180]
	v_fma_f64 v[185:186], v[6:7], v[14:15], -v[16:17]
	ds_load_b128 v[6:9], v1 offset:1632
	s_wait_loadcnt_dscnt 0x801
	v_mul_f64_e32 v[181:182], v[2:3], v[20:21]
	v_mul_f64_e32 v[20:21], v[4:5], v[20:21]
	scratch_load_b128 v[14:17], off, off offset:784
	;; [unrolled: 18-line block ×8, first 2 shown]
	v_add_f64_e32 v[175:176], v[175:176], v[187:188]
	v_add_f64_e32 v[177:178], v[177:178], v[183:184]
	s_wait_loadcnt_dscnt 0x800
	v_mul_f64_e32 v[183:184], v[6:7], v[32:33]
	v_mul_f64_e32 v[32:33], v[8:9], v[32:33]
	v_fma_f64 v[181:182], v[4:5], v[26:27], v[181:182]
	v_fma_f64 v[187:188], v[2:3], v[26:27], -v[28:29]
	ds_load_b128 v[2:5], v1 offset:1840
	scratch_load_b128 v[26:29], off, off offset:992
	v_add_f64_e32 v[175:176], v[175:176], v[185:186]
	v_add_f64_e32 v[177:178], v[177:178], v[179:180]
	v_fma_f64 v[183:184], v[8:9], v[30:31], v[183:184]
	v_fma_f64 v[30:31], v[6:7], v[30:31], -v[32:33]
	ds_load_b128 v[6:9], v1 offset:1856
	s_wait_loadcnt_dscnt 0x801
	v_mul_f64_e32 v[179:180], v[2:3], v[36:37]
	v_mul_f64_e32 v[36:37], v[4:5], v[36:37]
	v_add_f64_e32 v[32:33], v[175:176], v[187:188]
	v_add_f64_e32 v[175:176], v[177:178], v[181:182]
	s_wait_loadcnt_dscnt 0x700
	v_mul_f64_e32 v[177:178], v[6:7], v[173:174]
	v_mul_f64_e32 v[173:174], v[8:9], v[173:174]
	v_fma_f64 v[179:180], v[4:5], v[34:35], v[179:180]
	v_fma_f64 v[34:35], v[2:3], v[34:35], -v[36:37]
	ds_load_b128 v[2:5], v1 offset:1872
	v_add_f64_e32 v[30:31], v[32:33], v[30:31]
	v_add_f64_e32 v[32:33], v[175:176], v[183:184]
	v_fma_f64 v[175:176], v[8:9], v[171:172], v[177:178]
	v_fma_f64 v[171:172], v[6:7], v[171:172], -v[173:174]
	ds_load_b128 v[6:9], v1 offset:1888
	s_wait_loadcnt_dscnt 0x500
	v_mul_f64_e32 v[177:178], v[6:7], v[169:170]
	v_mul_f64_e32 v[169:170], v[8:9], v[169:170]
	v_add_f64_e32 v[34:35], v[30:31], v[34:35]
	v_add_f64_e32 v[173:174], v[32:33], v[179:180]
	scratch_load_b128 v[30:33], off, off offset:400
	v_mul_f64_e32 v[36:37], v[2:3], v[40:41]
	v_mul_f64_e32 v[40:41], v[4:5], v[40:41]
	v_add_f64_e32 v[34:35], v[34:35], v[171:172]
	s_delay_alu instid0(VALU_DEP_3) | instskip(NEXT) | instid1(VALU_DEP_3)
	v_fma_f64 v[36:37], v[4:5], v[38:39], v[36:37]
	v_fma_f64 v[38:39], v[2:3], v[38:39], -v[40:41]
	v_add_f64_e32 v[40:41], v[173:174], v[175:176]
	ds_load_b128 v[2:5], v1 offset:1904
	v_fma_f64 v[173:174], v[8:9], v[167:168], v[177:178]
	v_fma_f64 v[167:168], v[6:7], v[167:168], -v[169:170]
	ds_load_b128 v[6:9], v1 offset:1920
	s_wait_loadcnt_dscnt 0x501
	v_mul_f64_e32 v[171:172], v[2:3], v[12:13]
	v_mul_f64_e32 v[12:13], v[4:5], v[12:13]
	v_add_f64_e32 v[34:35], v[34:35], v[38:39]
	v_add_f64_e32 v[36:37], v[40:41], v[36:37]
	s_wait_loadcnt_dscnt 0x400
	v_mul_f64_e32 v[38:39], v[6:7], v[16:17]
	v_mul_f64_e32 v[16:17], v[8:9], v[16:17]
	v_fma_f64 v[40:41], v[4:5], v[10:11], v[171:172]
	v_fma_f64 v[10:11], v[2:3], v[10:11], -v[12:13]
	ds_load_b128 v[2:5], v1 offset:1936
	v_add_f64_e32 v[12:13], v[34:35], v[167:168]
	v_add_f64_e32 v[34:35], v[36:37], v[173:174]
	v_fma_f64 v[38:39], v[8:9], v[14:15], v[38:39]
	v_fma_f64 v[14:15], v[6:7], v[14:15], -v[16:17]
	ds_load_b128 v[6:9], v1 offset:1952
	s_wait_loadcnt_dscnt 0x301
	v_mul_f64_e32 v[36:37], v[2:3], v[20:21]
	v_mul_f64_e32 v[20:21], v[4:5], v[20:21]
	s_wait_loadcnt_dscnt 0x200
	v_mul_f64_e32 v[16:17], v[6:7], v[24:25]
	v_mul_f64_e32 v[24:25], v[8:9], v[24:25]
	v_add_f64_e32 v[10:11], v[12:13], v[10:11]
	v_add_f64_e32 v[12:13], v[34:35], v[40:41]
	v_fma_f64 v[34:35], v[4:5], v[18:19], v[36:37]
	v_fma_f64 v[18:19], v[2:3], v[18:19], -v[20:21]
	ds_load_b128 v[2:5], v1 offset:1968
	v_fma_f64 v[8:9], v[8:9], v[22:23], v[16:17]
	v_fma_f64 v[6:7], v[6:7], v[22:23], -v[24:25]
	s_wait_loadcnt_dscnt 0x100
	v_mul_f64_e32 v[20:21], v[4:5], v[28:29]
	v_add_f64_e32 v[10:11], v[10:11], v[14:15]
	v_add_f64_e32 v[12:13], v[12:13], v[38:39]
	v_mul_f64_e32 v[14:15], v[2:3], v[28:29]
	s_delay_alu instid0(VALU_DEP_4) | instskip(NEXT) | instid1(VALU_DEP_4)
	v_fma_f64 v[2:3], v[2:3], v[26:27], -v[20:21]
	v_add_f64_e32 v[10:11], v[10:11], v[18:19]
	s_delay_alu instid0(VALU_DEP_4) | instskip(NEXT) | instid1(VALU_DEP_4)
	v_add_f64_e32 v[12:13], v[12:13], v[34:35]
	v_fma_f64 v[4:5], v[4:5], v[26:27], v[14:15]
	s_delay_alu instid0(VALU_DEP_3) | instskip(NEXT) | instid1(VALU_DEP_3)
	v_add_f64_e32 v[6:7], v[10:11], v[6:7]
	v_add_f64_e32 v[8:9], v[12:13], v[8:9]
	s_delay_alu instid0(VALU_DEP_2) | instskip(NEXT) | instid1(VALU_DEP_2)
	v_add_f64_e32 v[2:3], v[6:7], v[2:3]
	v_add_f64_e32 v[4:5], v[8:9], v[4:5]
	s_wait_loadcnt 0x0
	s_delay_alu instid0(VALU_DEP_2) | instskip(NEXT) | instid1(VALU_DEP_2)
	v_add_f64_e64 v[2:3], v[30:31], -v[2:3]
	v_add_f64_e64 v[4:5], v[32:33], -v[4:5]
	scratch_store_b128 off, v[2:5], off offset:400
	v_cmpx_lt_u32_e32 23, v0
	s_cbranch_execz .LBB61_351
; %bb.350:
	scratch_load_b128 v[5:8], off, s46
	v_dual_mov_b32 v2, v1 :: v_dual_mov_b32 v3, v1
	v_mov_b32_e32 v4, v1
	scratch_store_b128 off, v[1:4], off offset:384
	s_wait_loadcnt 0x0
	ds_store_b128 v166, v[5:8]
.LBB61_351:
	s_wait_alu 0xfffe
	s_or_b32 exec_lo, exec_lo, s0
	s_wait_storecnt_dscnt 0x0
	s_barrier_signal -1
	s_barrier_wait -1
	global_inv scope:SCOPE_SE
	s_clause 0x7
	scratch_load_b128 v[2:5], off, off offset:400
	scratch_load_b128 v[6:9], off, off offset:416
	;; [unrolled: 1-line block ×8, first 2 shown]
	ds_load_b128 v[38:41], v1 offset:1376
	ds_load_b128 v[167:170], v1 offset:1392
	s_clause 0x1
	scratch_load_b128 v[34:37], off, off offset:528
	scratch_load_b128 v[171:174], off, off offset:544
	s_mov_b32 s0, exec_lo
	s_wait_loadcnt_dscnt 0x901
	v_mul_f64_e32 v[175:176], v[40:41], v[4:5]
	v_mul_f64_e32 v[4:5], v[38:39], v[4:5]
	s_wait_loadcnt_dscnt 0x800
	v_mul_f64_e32 v[177:178], v[167:168], v[8:9]
	v_mul_f64_e32 v[8:9], v[169:170], v[8:9]
	s_delay_alu instid0(VALU_DEP_4) | instskip(NEXT) | instid1(VALU_DEP_4)
	v_fma_f64 v[175:176], v[38:39], v[2:3], -v[175:176]
	v_fma_f64 v[179:180], v[40:41], v[2:3], v[4:5]
	ds_load_b128 v[2:5], v1 offset:1408
	scratch_load_b128 v[38:41], off, off offset:560
	v_fma_f64 v[177:178], v[169:170], v[6:7], v[177:178]
	v_fma_f64 v[183:184], v[167:168], v[6:7], -v[8:9]
	ds_load_b128 v[6:9], v1 offset:1424
	scratch_load_b128 v[167:170], off, off offset:576
	s_wait_loadcnt_dscnt 0x901
	v_mul_f64_e32 v[181:182], v[2:3], v[12:13]
	v_mul_f64_e32 v[12:13], v[4:5], v[12:13]
	s_wait_loadcnt_dscnt 0x800
	v_mul_f64_e32 v[185:186], v[6:7], v[16:17]
	v_mul_f64_e32 v[16:17], v[8:9], v[16:17]
	v_add_f64_e32 v[175:176], 0, v[175:176]
	v_add_f64_e32 v[179:180], 0, v[179:180]
	v_fma_f64 v[181:182], v[4:5], v[10:11], v[181:182]
	v_fma_f64 v[187:188], v[2:3], v[10:11], -v[12:13]
	ds_load_b128 v[2:5], v1 offset:1440
	scratch_load_b128 v[10:13], off, off offset:592
	v_add_f64_e32 v[175:176], v[175:176], v[183:184]
	v_add_f64_e32 v[177:178], v[179:180], v[177:178]
	v_fma_f64 v[183:184], v[8:9], v[14:15], v[185:186]
	v_fma_f64 v[185:186], v[6:7], v[14:15], -v[16:17]
	ds_load_b128 v[6:9], v1 offset:1456
	scratch_load_b128 v[14:17], off, off offset:608
	s_wait_loadcnt_dscnt 0x901
	v_mul_f64_e32 v[179:180], v[2:3], v[20:21]
	v_mul_f64_e32 v[20:21], v[4:5], v[20:21]
	v_add_f64_e32 v[175:176], v[175:176], v[187:188]
	v_add_f64_e32 v[177:178], v[177:178], v[181:182]
	s_wait_loadcnt_dscnt 0x800
	v_mul_f64_e32 v[181:182], v[6:7], v[24:25]
	v_mul_f64_e32 v[24:25], v[8:9], v[24:25]
	v_fma_f64 v[179:180], v[4:5], v[18:19], v[179:180]
	v_fma_f64 v[187:188], v[2:3], v[18:19], -v[20:21]
	ds_load_b128 v[2:5], v1 offset:1472
	scratch_load_b128 v[18:21], off, off offset:624
	v_add_f64_e32 v[175:176], v[175:176], v[185:186]
	v_add_f64_e32 v[177:178], v[177:178], v[183:184]
	v_fma_f64 v[181:182], v[8:9], v[22:23], v[181:182]
	v_fma_f64 v[185:186], v[6:7], v[22:23], -v[24:25]
	ds_load_b128 v[6:9], v1 offset:1488
	s_wait_loadcnt_dscnt 0x801
	v_mul_f64_e32 v[183:184], v[2:3], v[28:29]
	v_mul_f64_e32 v[28:29], v[4:5], v[28:29]
	scratch_load_b128 v[22:25], off, off offset:640
	v_add_f64_e32 v[175:176], v[175:176], v[187:188]
	v_add_f64_e32 v[177:178], v[177:178], v[179:180]
	s_wait_loadcnt_dscnt 0x800
	v_mul_f64_e32 v[179:180], v[6:7], v[32:33]
	v_mul_f64_e32 v[32:33], v[8:9], v[32:33]
	v_fma_f64 v[183:184], v[4:5], v[26:27], v[183:184]
	v_fma_f64 v[187:188], v[2:3], v[26:27], -v[28:29]
	ds_load_b128 v[2:5], v1 offset:1504
	scratch_load_b128 v[26:29], off, off offset:656
	v_add_f64_e32 v[175:176], v[175:176], v[185:186]
	v_add_f64_e32 v[177:178], v[177:178], v[181:182]
	v_fma_f64 v[179:180], v[8:9], v[30:31], v[179:180]
	v_fma_f64 v[185:186], v[6:7], v[30:31], -v[32:33]
	ds_load_b128 v[6:9], v1 offset:1520
	s_wait_loadcnt_dscnt 0x801
	v_mul_f64_e32 v[181:182], v[2:3], v[36:37]
	v_mul_f64_e32 v[36:37], v[4:5], v[36:37]
	scratch_load_b128 v[30:33], off, off offset:672
	v_add_f64_e32 v[175:176], v[175:176], v[187:188]
	v_add_f64_e32 v[177:178], v[177:178], v[183:184]
	s_wait_loadcnt_dscnt 0x800
	v_mul_f64_e32 v[183:184], v[6:7], v[173:174]
	v_mul_f64_e32 v[173:174], v[8:9], v[173:174]
	v_fma_f64 v[181:182], v[4:5], v[34:35], v[181:182]
	v_fma_f64 v[187:188], v[2:3], v[34:35], -v[36:37]
	ds_load_b128 v[2:5], v1 offset:1536
	scratch_load_b128 v[34:37], off, off offset:688
	v_add_f64_e32 v[175:176], v[175:176], v[185:186]
	v_add_f64_e32 v[177:178], v[177:178], v[179:180]
	v_fma_f64 v[183:184], v[8:9], v[171:172], v[183:184]
	v_fma_f64 v[185:186], v[6:7], v[171:172], -v[173:174]
	ds_load_b128 v[6:9], v1 offset:1552
	scratch_load_b128 v[171:174], off, off offset:704
	s_wait_loadcnt_dscnt 0x901
	v_mul_f64_e32 v[179:180], v[2:3], v[40:41]
	v_mul_f64_e32 v[40:41], v[4:5], v[40:41]
	v_add_f64_e32 v[175:176], v[175:176], v[187:188]
	v_add_f64_e32 v[177:178], v[177:178], v[181:182]
	s_wait_loadcnt_dscnt 0x800
	v_mul_f64_e32 v[181:182], v[6:7], v[169:170]
	v_mul_f64_e32 v[169:170], v[8:9], v[169:170]
	v_fma_f64 v[179:180], v[4:5], v[38:39], v[179:180]
	v_fma_f64 v[187:188], v[2:3], v[38:39], -v[40:41]
	ds_load_b128 v[2:5], v1 offset:1568
	scratch_load_b128 v[38:41], off, off offset:720
	v_add_f64_e32 v[175:176], v[175:176], v[185:186]
	v_add_f64_e32 v[177:178], v[177:178], v[183:184]
	v_fma_f64 v[181:182], v[8:9], v[167:168], v[181:182]
	v_fma_f64 v[185:186], v[6:7], v[167:168], -v[169:170]
	ds_load_b128 v[6:9], v1 offset:1584
	s_wait_loadcnt_dscnt 0x801
	v_mul_f64_e32 v[183:184], v[2:3], v[12:13]
	v_mul_f64_e32 v[12:13], v[4:5], v[12:13]
	scratch_load_b128 v[167:170], off, off offset:736
	v_add_f64_e32 v[175:176], v[175:176], v[187:188]
	v_add_f64_e32 v[177:178], v[177:178], v[179:180]
	s_wait_loadcnt_dscnt 0x800
	v_mul_f64_e32 v[179:180], v[6:7], v[16:17]
	v_mul_f64_e32 v[16:17], v[8:9], v[16:17]
	v_fma_f64 v[183:184], v[4:5], v[10:11], v[183:184]
	v_fma_f64 v[187:188], v[2:3], v[10:11], -v[12:13]
	ds_load_b128 v[2:5], v1 offset:1600
	scratch_load_b128 v[10:13], off, off offset:752
	v_add_f64_e32 v[175:176], v[175:176], v[185:186]
	v_add_f64_e32 v[177:178], v[177:178], v[181:182]
	v_fma_f64 v[179:180], v[8:9], v[14:15], v[179:180]
	v_fma_f64 v[185:186], v[6:7], v[14:15], -v[16:17]
	ds_load_b128 v[6:9], v1 offset:1616
	s_wait_loadcnt_dscnt 0x801
	v_mul_f64_e32 v[181:182], v[2:3], v[20:21]
	v_mul_f64_e32 v[20:21], v[4:5], v[20:21]
	scratch_load_b128 v[14:17], off, off offset:768
	v_add_f64_e32 v[175:176], v[175:176], v[187:188]
	v_add_f64_e32 v[177:178], v[177:178], v[183:184]
	s_wait_loadcnt_dscnt 0x800
	v_mul_f64_e32 v[183:184], v[6:7], v[24:25]
	v_mul_f64_e32 v[24:25], v[8:9], v[24:25]
	v_fma_f64 v[181:182], v[4:5], v[18:19], v[181:182]
	v_fma_f64 v[187:188], v[2:3], v[18:19], -v[20:21]
	ds_load_b128 v[2:5], v1 offset:1632
	scratch_load_b128 v[18:21], off, off offset:784
	v_add_f64_e32 v[175:176], v[175:176], v[185:186]
	v_add_f64_e32 v[177:178], v[177:178], v[179:180]
	v_fma_f64 v[183:184], v[8:9], v[22:23], v[183:184]
	v_fma_f64 v[185:186], v[6:7], v[22:23], -v[24:25]
	ds_load_b128 v[6:9], v1 offset:1648
	s_wait_loadcnt_dscnt 0x801
	v_mul_f64_e32 v[179:180], v[2:3], v[28:29]
	v_mul_f64_e32 v[28:29], v[4:5], v[28:29]
	scratch_load_b128 v[22:25], off, off offset:800
	v_add_f64_e32 v[175:176], v[175:176], v[187:188]
	v_add_f64_e32 v[177:178], v[177:178], v[181:182]
	s_wait_loadcnt_dscnt 0x800
	v_mul_f64_e32 v[181:182], v[6:7], v[32:33]
	v_mul_f64_e32 v[32:33], v[8:9], v[32:33]
	v_fma_f64 v[179:180], v[4:5], v[26:27], v[179:180]
	v_fma_f64 v[187:188], v[2:3], v[26:27], -v[28:29]
	ds_load_b128 v[2:5], v1 offset:1664
	scratch_load_b128 v[26:29], off, off offset:816
	v_add_f64_e32 v[175:176], v[175:176], v[185:186]
	v_add_f64_e32 v[177:178], v[177:178], v[183:184]
	v_fma_f64 v[181:182], v[8:9], v[30:31], v[181:182]
	v_fma_f64 v[185:186], v[6:7], v[30:31], -v[32:33]
	ds_load_b128 v[6:9], v1 offset:1680
	s_wait_loadcnt_dscnt 0x801
	v_mul_f64_e32 v[183:184], v[2:3], v[36:37]
	v_mul_f64_e32 v[36:37], v[4:5], v[36:37]
	scratch_load_b128 v[30:33], off, off offset:832
	v_add_f64_e32 v[175:176], v[175:176], v[187:188]
	v_add_f64_e32 v[177:178], v[177:178], v[179:180]
	s_wait_loadcnt_dscnt 0x800
	v_mul_f64_e32 v[179:180], v[6:7], v[173:174]
	v_mul_f64_e32 v[173:174], v[8:9], v[173:174]
	v_fma_f64 v[183:184], v[4:5], v[34:35], v[183:184]
	v_fma_f64 v[187:188], v[2:3], v[34:35], -v[36:37]
	ds_load_b128 v[2:5], v1 offset:1696
	scratch_load_b128 v[34:37], off, off offset:848
	v_add_f64_e32 v[175:176], v[175:176], v[185:186]
	v_add_f64_e32 v[177:178], v[177:178], v[181:182]
	v_fma_f64 v[179:180], v[8:9], v[171:172], v[179:180]
	v_fma_f64 v[185:186], v[6:7], v[171:172], -v[173:174]
	ds_load_b128 v[6:9], v1 offset:1712
	s_wait_loadcnt_dscnt 0x801
	v_mul_f64_e32 v[181:182], v[2:3], v[40:41]
	v_mul_f64_e32 v[40:41], v[4:5], v[40:41]
	scratch_load_b128 v[171:174], off, off offset:864
	v_add_f64_e32 v[175:176], v[175:176], v[187:188]
	v_add_f64_e32 v[177:178], v[177:178], v[183:184]
	s_wait_loadcnt_dscnt 0x800
	v_mul_f64_e32 v[183:184], v[6:7], v[169:170]
	v_mul_f64_e32 v[169:170], v[8:9], v[169:170]
	v_fma_f64 v[181:182], v[4:5], v[38:39], v[181:182]
	v_fma_f64 v[187:188], v[2:3], v[38:39], -v[40:41]
	ds_load_b128 v[2:5], v1 offset:1728
	scratch_load_b128 v[38:41], off, off offset:880
	v_add_f64_e32 v[175:176], v[175:176], v[185:186]
	v_add_f64_e32 v[177:178], v[177:178], v[179:180]
	v_fma_f64 v[183:184], v[8:9], v[167:168], v[183:184]
	v_fma_f64 v[185:186], v[6:7], v[167:168], -v[169:170]
	ds_load_b128 v[6:9], v1 offset:1744
	s_wait_loadcnt_dscnt 0x801
	v_mul_f64_e32 v[179:180], v[2:3], v[12:13]
	v_mul_f64_e32 v[12:13], v[4:5], v[12:13]
	scratch_load_b128 v[167:170], off, off offset:896
	v_add_f64_e32 v[175:176], v[175:176], v[187:188]
	v_add_f64_e32 v[177:178], v[177:178], v[181:182]
	s_wait_loadcnt_dscnt 0x800
	v_mul_f64_e32 v[181:182], v[6:7], v[16:17]
	v_mul_f64_e32 v[16:17], v[8:9], v[16:17]
	v_fma_f64 v[179:180], v[4:5], v[10:11], v[179:180]
	v_fma_f64 v[187:188], v[2:3], v[10:11], -v[12:13]
	ds_load_b128 v[2:5], v1 offset:1760
	scratch_load_b128 v[10:13], off, off offset:912
	v_add_f64_e32 v[175:176], v[175:176], v[185:186]
	v_add_f64_e32 v[177:178], v[177:178], v[183:184]
	v_fma_f64 v[181:182], v[8:9], v[14:15], v[181:182]
	v_fma_f64 v[185:186], v[6:7], v[14:15], -v[16:17]
	ds_load_b128 v[6:9], v1 offset:1776
	s_wait_loadcnt_dscnt 0x801
	v_mul_f64_e32 v[183:184], v[2:3], v[20:21]
	v_mul_f64_e32 v[20:21], v[4:5], v[20:21]
	scratch_load_b128 v[14:17], off, off offset:928
	v_add_f64_e32 v[175:176], v[175:176], v[187:188]
	v_add_f64_e32 v[177:178], v[177:178], v[179:180]
	s_wait_loadcnt_dscnt 0x800
	v_mul_f64_e32 v[179:180], v[6:7], v[24:25]
	v_mul_f64_e32 v[24:25], v[8:9], v[24:25]
	v_fma_f64 v[183:184], v[4:5], v[18:19], v[183:184]
	v_fma_f64 v[187:188], v[2:3], v[18:19], -v[20:21]
	ds_load_b128 v[2:5], v1 offset:1792
	scratch_load_b128 v[18:21], off, off offset:944
	v_add_f64_e32 v[175:176], v[175:176], v[185:186]
	v_add_f64_e32 v[177:178], v[177:178], v[181:182]
	v_fma_f64 v[179:180], v[8:9], v[22:23], v[179:180]
	v_fma_f64 v[185:186], v[6:7], v[22:23], -v[24:25]
	ds_load_b128 v[6:9], v1 offset:1808
	s_wait_loadcnt_dscnt 0x801
	v_mul_f64_e32 v[181:182], v[2:3], v[28:29]
	v_mul_f64_e32 v[28:29], v[4:5], v[28:29]
	scratch_load_b128 v[22:25], off, off offset:960
	v_add_f64_e32 v[175:176], v[175:176], v[187:188]
	v_add_f64_e32 v[177:178], v[177:178], v[183:184]
	s_wait_loadcnt_dscnt 0x800
	v_mul_f64_e32 v[183:184], v[6:7], v[32:33]
	v_mul_f64_e32 v[32:33], v[8:9], v[32:33]
	v_fma_f64 v[181:182], v[4:5], v[26:27], v[181:182]
	v_fma_f64 v[187:188], v[2:3], v[26:27], -v[28:29]
	ds_load_b128 v[2:5], v1 offset:1824
	scratch_load_b128 v[26:29], off, off offset:976
	v_add_f64_e32 v[175:176], v[175:176], v[185:186]
	v_add_f64_e32 v[177:178], v[177:178], v[179:180]
	v_fma_f64 v[183:184], v[8:9], v[30:31], v[183:184]
	v_fma_f64 v[185:186], v[6:7], v[30:31], -v[32:33]
	ds_load_b128 v[6:9], v1 offset:1840
	s_wait_loadcnt_dscnt 0x801
	v_mul_f64_e32 v[179:180], v[2:3], v[36:37]
	v_mul_f64_e32 v[36:37], v[4:5], v[36:37]
	scratch_load_b128 v[30:33], off, off offset:992
	v_add_f64_e32 v[175:176], v[175:176], v[187:188]
	v_add_f64_e32 v[177:178], v[177:178], v[181:182]
	s_wait_loadcnt_dscnt 0x800
	v_mul_f64_e32 v[181:182], v[6:7], v[173:174]
	v_mul_f64_e32 v[173:174], v[8:9], v[173:174]
	v_fma_f64 v[179:180], v[4:5], v[34:35], v[179:180]
	v_fma_f64 v[34:35], v[2:3], v[34:35], -v[36:37]
	ds_load_b128 v[2:5], v1 offset:1856
	v_add_f64_e32 v[36:37], v[175:176], v[185:186]
	v_add_f64_e32 v[175:176], v[177:178], v[183:184]
	v_fma_f64 v[181:182], v[8:9], v[171:172], v[181:182]
	v_fma_f64 v[171:172], v[6:7], v[171:172], -v[173:174]
	ds_load_b128 v[6:9], v1 offset:1872
	s_wait_loadcnt_dscnt 0x701
	v_mul_f64_e32 v[177:178], v[2:3], v[40:41]
	v_mul_f64_e32 v[40:41], v[4:5], v[40:41]
	v_add_f64_e32 v[34:35], v[36:37], v[34:35]
	v_add_f64_e32 v[36:37], v[175:176], v[179:180]
	s_delay_alu instid0(VALU_DEP_4) | instskip(NEXT) | instid1(VALU_DEP_4)
	v_fma_f64 v[175:176], v[4:5], v[38:39], v[177:178]
	v_fma_f64 v[38:39], v[2:3], v[38:39], -v[40:41]
	ds_load_b128 v[2:5], v1 offset:1888
	v_add_f64_e32 v[40:41], v[34:35], v[171:172]
	v_add_f64_e32 v[171:172], v[36:37], v[181:182]
	scratch_load_b128 v[34:37], off, off offset:384
	s_wait_loadcnt_dscnt 0x701
	v_mul_f64_e32 v[173:174], v[6:7], v[169:170]
	v_mul_f64_e32 v[169:170], v[8:9], v[169:170]
	v_add_f64_e32 v[38:39], v[40:41], v[38:39]
	v_add_f64_e32 v[40:41], v[171:172], v[175:176]
	s_delay_alu instid0(VALU_DEP_4) | instskip(NEXT) | instid1(VALU_DEP_4)
	v_fma_f64 v[173:174], v[8:9], v[167:168], v[173:174]
	v_fma_f64 v[167:168], v[6:7], v[167:168], -v[169:170]
	ds_load_b128 v[6:9], v1 offset:1904
	s_wait_loadcnt_dscnt 0x601
	v_mul_f64_e32 v[177:178], v[2:3], v[12:13]
	v_mul_f64_e32 v[12:13], v[4:5], v[12:13]
	s_wait_loadcnt_dscnt 0x500
	v_mul_f64_e32 v[169:170], v[6:7], v[16:17]
	v_mul_f64_e32 v[16:17], v[8:9], v[16:17]
	s_delay_alu instid0(VALU_DEP_4) | instskip(NEXT) | instid1(VALU_DEP_4)
	v_fma_f64 v[171:172], v[4:5], v[10:11], v[177:178]
	v_fma_f64 v[10:11], v[2:3], v[10:11], -v[12:13]
	v_add_f64_e32 v[12:13], v[38:39], v[167:168]
	v_add_f64_e32 v[38:39], v[40:41], v[173:174]
	ds_load_b128 v[2:5], v1 offset:1920
	v_fma_f64 v[167:168], v[8:9], v[14:15], v[169:170]
	v_fma_f64 v[14:15], v[6:7], v[14:15], -v[16:17]
	ds_load_b128 v[6:9], v1 offset:1936
	s_wait_loadcnt_dscnt 0x401
	v_mul_f64_e32 v[40:41], v[2:3], v[20:21]
	v_mul_f64_e32 v[20:21], v[4:5], v[20:21]
	v_add_f64_e32 v[10:11], v[12:13], v[10:11]
	v_add_f64_e32 v[12:13], v[38:39], v[171:172]
	s_wait_loadcnt_dscnt 0x300
	v_mul_f64_e32 v[16:17], v[6:7], v[24:25]
	v_mul_f64_e32 v[24:25], v[8:9], v[24:25]
	v_fma_f64 v[38:39], v[4:5], v[18:19], v[40:41]
	v_fma_f64 v[18:19], v[2:3], v[18:19], -v[20:21]
	ds_load_b128 v[2:5], v1 offset:1952
	v_add_f64_e32 v[10:11], v[10:11], v[14:15]
	v_add_f64_e32 v[12:13], v[12:13], v[167:168]
	v_fma_f64 v[16:17], v[8:9], v[22:23], v[16:17]
	v_fma_f64 v[22:23], v[6:7], v[22:23], -v[24:25]
	ds_load_b128 v[6:9], v1 offset:1968
	s_wait_loadcnt_dscnt 0x201
	v_mul_f64_e32 v[14:15], v[2:3], v[28:29]
	v_mul_f64_e32 v[20:21], v[4:5], v[28:29]
	s_wait_loadcnt_dscnt 0x100
	v_mul_f64_e32 v[24:25], v[8:9], v[32:33]
	v_add_f64_e32 v[10:11], v[10:11], v[18:19]
	v_add_f64_e32 v[12:13], v[12:13], v[38:39]
	v_mul_f64_e32 v[18:19], v[6:7], v[32:33]
	v_fma_f64 v[4:5], v[4:5], v[26:27], v[14:15]
	v_fma_f64 v[1:2], v[2:3], v[26:27], -v[20:21]
	v_fma_f64 v[6:7], v[6:7], v[30:31], -v[24:25]
	v_add_f64_e32 v[10:11], v[10:11], v[22:23]
	v_add_f64_e32 v[12:13], v[12:13], v[16:17]
	v_fma_f64 v[8:9], v[8:9], v[30:31], v[18:19]
	s_delay_alu instid0(VALU_DEP_3) | instskip(NEXT) | instid1(VALU_DEP_3)
	v_add_f64_e32 v[1:2], v[10:11], v[1:2]
	v_add_f64_e32 v[3:4], v[12:13], v[4:5]
	s_delay_alu instid0(VALU_DEP_2) | instskip(NEXT) | instid1(VALU_DEP_2)
	v_add_f64_e32 v[1:2], v[1:2], v[6:7]
	v_add_f64_e32 v[3:4], v[3:4], v[8:9]
	s_wait_loadcnt 0x0
	s_delay_alu instid0(VALU_DEP_2) | instskip(NEXT) | instid1(VALU_DEP_2)
	v_add_f64_e64 v[1:2], v[34:35], -v[1:2]
	v_add_f64_e64 v[3:4], v[36:37], -v[3:4]
	scratch_store_b128 off, v[1:4], off offset:384
	v_cmpx_lt_u32_e32 22, v0
	s_cbranch_execz .LBB61_353
; %bb.352:
	scratch_load_b128 v[1:4], off, s45
	v_mov_b32_e32 v5, 0
	s_delay_alu instid0(VALU_DEP_1)
	v_dual_mov_b32 v6, v5 :: v_dual_mov_b32 v7, v5
	v_mov_b32_e32 v8, v5
	scratch_store_b128 off, v[5:8], off offset:368
	s_wait_loadcnt 0x0
	ds_store_b128 v166, v[1:4]
.LBB61_353:
	s_wait_alu 0xfffe
	s_or_b32 exec_lo, exec_lo, s0
	s_wait_storecnt_dscnt 0x0
	s_barrier_signal -1
	s_barrier_wait -1
	global_inv scope:SCOPE_SE
	s_clause 0x7
	scratch_load_b128 v[2:5], off, off offset:384
	scratch_load_b128 v[6:9], off, off offset:400
	;; [unrolled: 1-line block ×8, first 2 shown]
	v_mov_b32_e32 v1, 0
	s_clause 0x1
	scratch_load_b128 v[34:37], off, off offset:512
	scratch_load_b128 v[171:174], off, off offset:528
	s_mov_b32 s0, exec_lo
	ds_load_b128 v[38:41], v1 offset:1360
	ds_load_b128 v[167:170], v1 offset:1376
	s_wait_loadcnt_dscnt 0x901
	v_mul_f64_e32 v[175:176], v[40:41], v[4:5]
	v_mul_f64_e32 v[4:5], v[38:39], v[4:5]
	s_wait_loadcnt_dscnt 0x800
	v_mul_f64_e32 v[177:178], v[167:168], v[8:9]
	v_mul_f64_e32 v[8:9], v[169:170], v[8:9]
	s_delay_alu instid0(VALU_DEP_4) | instskip(NEXT) | instid1(VALU_DEP_4)
	v_fma_f64 v[175:176], v[38:39], v[2:3], -v[175:176]
	v_fma_f64 v[179:180], v[40:41], v[2:3], v[4:5]
	ds_load_b128 v[2:5], v1 offset:1392
	scratch_load_b128 v[38:41], off, off offset:544
	v_fma_f64 v[177:178], v[169:170], v[6:7], v[177:178]
	v_fma_f64 v[183:184], v[167:168], v[6:7], -v[8:9]
	ds_load_b128 v[6:9], v1 offset:1408
	scratch_load_b128 v[167:170], off, off offset:560
	s_wait_loadcnt_dscnt 0x901
	v_mul_f64_e32 v[181:182], v[2:3], v[12:13]
	v_mul_f64_e32 v[12:13], v[4:5], v[12:13]
	s_wait_loadcnt_dscnt 0x800
	v_mul_f64_e32 v[185:186], v[6:7], v[16:17]
	v_mul_f64_e32 v[16:17], v[8:9], v[16:17]
	v_add_f64_e32 v[175:176], 0, v[175:176]
	v_add_f64_e32 v[179:180], 0, v[179:180]
	v_fma_f64 v[181:182], v[4:5], v[10:11], v[181:182]
	v_fma_f64 v[187:188], v[2:3], v[10:11], -v[12:13]
	ds_load_b128 v[2:5], v1 offset:1424
	scratch_load_b128 v[10:13], off, off offset:576
	v_add_f64_e32 v[175:176], v[175:176], v[183:184]
	v_add_f64_e32 v[177:178], v[179:180], v[177:178]
	v_fma_f64 v[183:184], v[8:9], v[14:15], v[185:186]
	v_fma_f64 v[185:186], v[6:7], v[14:15], -v[16:17]
	ds_load_b128 v[6:9], v1 offset:1440
	scratch_load_b128 v[14:17], off, off offset:592
	s_wait_loadcnt_dscnt 0x901
	v_mul_f64_e32 v[179:180], v[2:3], v[20:21]
	v_mul_f64_e32 v[20:21], v[4:5], v[20:21]
	v_add_f64_e32 v[175:176], v[175:176], v[187:188]
	v_add_f64_e32 v[177:178], v[177:178], v[181:182]
	s_wait_loadcnt_dscnt 0x800
	v_mul_f64_e32 v[181:182], v[6:7], v[24:25]
	v_mul_f64_e32 v[24:25], v[8:9], v[24:25]
	v_fma_f64 v[179:180], v[4:5], v[18:19], v[179:180]
	v_fma_f64 v[187:188], v[2:3], v[18:19], -v[20:21]
	ds_load_b128 v[2:5], v1 offset:1456
	scratch_load_b128 v[18:21], off, off offset:608
	v_add_f64_e32 v[175:176], v[175:176], v[185:186]
	v_add_f64_e32 v[177:178], v[177:178], v[183:184]
	v_fma_f64 v[181:182], v[8:9], v[22:23], v[181:182]
	v_fma_f64 v[185:186], v[6:7], v[22:23], -v[24:25]
	ds_load_b128 v[6:9], v1 offset:1472
	s_wait_loadcnt_dscnt 0x801
	v_mul_f64_e32 v[183:184], v[2:3], v[28:29]
	v_mul_f64_e32 v[28:29], v[4:5], v[28:29]
	scratch_load_b128 v[22:25], off, off offset:624
	v_add_f64_e32 v[175:176], v[175:176], v[187:188]
	v_add_f64_e32 v[177:178], v[177:178], v[179:180]
	s_wait_loadcnt_dscnt 0x800
	v_mul_f64_e32 v[179:180], v[6:7], v[32:33]
	v_mul_f64_e32 v[32:33], v[8:9], v[32:33]
	v_fma_f64 v[183:184], v[4:5], v[26:27], v[183:184]
	v_fma_f64 v[187:188], v[2:3], v[26:27], -v[28:29]
	ds_load_b128 v[2:5], v1 offset:1488
	scratch_load_b128 v[26:29], off, off offset:640
	v_add_f64_e32 v[175:176], v[175:176], v[185:186]
	v_add_f64_e32 v[177:178], v[177:178], v[181:182]
	v_fma_f64 v[179:180], v[8:9], v[30:31], v[179:180]
	v_fma_f64 v[185:186], v[6:7], v[30:31], -v[32:33]
	ds_load_b128 v[6:9], v1 offset:1504
	s_wait_loadcnt_dscnt 0x801
	v_mul_f64_e32 v[181:182], v[2:3], v[36:37]
	v_mul_f64_e32 v[36:37], v[4:5], v[36:37]
	scratch_load_b128 v[30:33], off, off offset:656
	v_add_f64_e32 v[175:176], v[175:176], v[187:188]
	v_add_f64_e32 v[177:178], v[177:178], v[183:184]
	s_wait_loadcnt_dscnt 0x800
	v_mul_f64_e32 v[183:184], v[6:7], v[173:174]
	v_mul_f64_e32 v[173:174], v[8:9], v[173:174]
	v_fma_f64 v[181:182], v[4:5], v[34:35], v[181:182]
	v_fma_f64 v[187:188], v[2:3], v[34:35], -v[36:37]
	ds_load_b128 v[2:5], v1 offset:1520
	scratch_load_b128 v[34:37], off, off offset:672
	v_add_f64_e32 v[175:176], v[175:176], v[185:186]
	v_add_f64_e32 v[177:178], v[177:178], v[179:180]
	v_fma_f64 v[183:184], v[8:9], v[171:172], v[183:184]
	v_fma_f64 v[185:186], v[6:7], v[171:172], -v[173:174]
	ds_load_b128 v[6:9], v1 offset:1536
	scratch_load_b128 v[171:174], off, off offset:688
	s_wait_loadcnt_dscnt 0x901
	v_mul_f64_e32 v[179:180], v[2:3], v[40:41]
	v_mul_f64_e32 v[40:41], v[4:5], v[40:41]
	v_add_f64_e32 v[175:176], v[175:176], v[187:188]
	v_add_f64_e32 v[177:178], v[177:178], v[181:182]
	s_wait_loadcnt_dscnt 0x800
	v_mul_f64_e32 v[181:182], v[6:7], v[169:170]
	v_mul_f64_e32 v[169:170], v[8:9], v[169:170]
	v_fma_f64 v[179:180], v[4:5], v[38:39], v[179:180]
	v_fma_f64 v[187:188], v[2:3], v[38:39], -v[40:41]
	ds_load_b128 v[2:5], v1 offset:1552
	scratch_load_b128 v[38:41], off, off offset:704
	v_add_f64_e32 v[175:176], v[175:176], v[185:186]
	v_add_f64_e32 v[177:178], v[177:178], v[183:184]
	v_fma_f64 v[181:182], v[8:9], v[167:168], v[181:182]
	v_fma_f64 v[185:186], v[6:7], v[167:168], -v[169:170]
	ds_load_b128 v[6:9], v1 offset:1568
	s_wait_loadcnt_dscnt 0x801
	v_mul_f64_e32 v[183:184], v[2:3], v[12:13]
	v_mul_f64_e32 v[12:13], v[4:5], v[12:13]
	scratch_load_b128 v[167:170], off, off offset:720
	v_add_f64_e32 v[175:176], v[175:176], v[187:188]
	v_add_f64_e32 v[177:178], v[177:178], v[179:180]
	s_wait_loadcnt_dscnt 0x800
	v_mul_f64_e32 v[179:180], v[6:7], v[16:17]
	v_mul_f64_e32 v[16:17], v[8:9], v[16:17]
	v_fma_f64 v[183:184], v[4:5], v[10:11], v[183:184]
	v_fma_f64 v[187:188], v[2:3], v[10:11], -v[12:13]
	ds_load_b128 v[2:5], v1 offset:1584
	scratch_load_b128 v[10:13], off, off offset:736
	v_add_f64_e32 v[175:176], v[175:176], v[185:186]
	v_add_f64_e32 v[177:178], v[177:178], v[181:182]
	v_fma_f64 v[179:180], v[8:9], v[14:15], v[179:180]
	v_fma_f64 v[185:186], v[6:7], v[14:15], -v[16:17]
	ds_load_b128 v[6:9], v1 offset:1600
	s_wait_loadcnt_dscnt 0x801
	v_mul_f64_e32 v[181:182], v[2:3], v[20:21]
	v_mul_f64_e32 v[20:21], v[4:5], v[20:21]
	scratch_load_b128 v[14:17], off, off offset:752
	;; [unrolled: 18-line block ×9, first 2 shown]
	v_add_f64_e32 v[175:176], v[175:176], v[187:188]
	v_add_f64_e32 v[177:178], v[177:178], v[181:182]
	s_wait_loadcnt_dscnt 0x800
	v_mul_f64_e32 v[181:182], v[6:7], v[173:174]
	v_mul_f64_e32 v[173:174], v[8:9], v[173:174]
	v_fma_f64 v[179:180], v[4:5], v[34:35], v[179:180]
	v_fma_f64 v[187:188], v[2:3], v[34:35], -v[36:37]
	ds_load_b128 v[2:5], v1 offset:1840
	scratch_load_b128 v[34:37], off, off offset:992
	v_add_f64_e32 v[175:176], v[175:176], v[185:186]
	v_add_f64_e32 v[177:178], v[177:178], v[183:184]
	v_fma_f64 v[181:182], v[8:9], v[171:172], v[181:182]
	v_fma_f64 v[171:172], v[6:7], v[171:172], -v[173:174]
	ds_load_b128 v[6:9], v1 offset:1856
	s_wait_loadcnt_dscnt 0x801
	v_mul_f64_e32 v[183:184], v[2:3], v[40:41]
	v_mul_f64_e32 v[40:41], v[4:5], v[40:41]
	v_add_f64_e32 v[173:174], v[175:176], v[187:188]
	v_add_f64_e32 v[175:176], v[177:178], v[179:180]
	s_wait_loadcnt_dscnt 0x700
	v_mul_f64_e32 v[177:178], v[6:7], v[169:170]
	v_mul_f64_e32 v[169:170], v[8:9], v[169:170]
	v_fma_f64 v[179:180], v[4:5], v[38:39], v[183:184]
	v_fma_f64 v[38:39], v[2:3], v[38:39], -v[40:41]
	ds_load_b128 v[2:5], v1 offset:1872
	v_add_f64_e32 v[40:41], v[173:174], v[171:172]
	v_add_f64_e32 v[171:172], v[175:176], v[181:182]
	v_fma_f64 v[175:176], v[8:9], v[167:168], v[177:178]
	v_fma_f64 v[167:168], v[6:7], v[167:168], -v[169:170]
	ds_load_b128 v[6:9], v1 offset:1888
	s_wait_loadcnt_dscnt 0x500
	v_mul_f64_e32 v[177:178], v[6:7], v[16:17]
	v_mul_f64_e32 v[16:17], v[8:9], v[16:17]
	v_add_f64_e32 v[169:170], v[40:41], v[38:39]
	v_add_f64_e32 v[171:172], v[171:172], v[179:180]
	scratch_load_b128 v[38:41], off, off offset:368
	v_mul_f64_e32 v[173:174], v[2:3], v[12:13]
	v_mul_f64_e32 v[12:13], v[4:5], v[12:13]
	s_delay_alu instid0(VALU_DEP_2) | instskip(NEXT) | instid1(VALU_DEP_2)
	v_fma_f64 v[173:174], v[4:5], v[10:11], v[173:174]
	v_fma_f64 v[10:11], v[2:3], v[10:11], -v[12:13]
	v_add_f64_e32 v[12:13], v[169:170], v[167:168]
	v_add_f64_e32 v[167:168], v[171:172], v[175:176]
	ds_load_b128 v[2:5], v1 offset:1904
	v_fma_f64 v[171:172], v[8:9], v[14:15], v[177:178]
	v_fma_f64 v[14:15], v[6:7], v[14:15], -v[16:17]
	ds_load_b128 v[6:9], v1 offset:1920
	s_wait_loadcnt_dscnt 0x501
	v_mul_f64_e32 v[169:170], v[2:3], v[20:21]
	v_mul_f64_e32 v[20:21], v[4:5], v[20:21]
	s_wait_loadcnt_dscnt 0x400
	v_mul_f64_e32 v[16:17], v[6:7], v[24:25]
	v_mul_f64_e32 v[24:25], v[8:9], v[24:25]
	v_add_f64_e32 v[10:11], v[12:13], v[10:11]
	v_add_f64_e32 v[12:13], v[167:168], v[173:174]
	v_fma_f64 v[167:168], v[4:5], v[18:19], v[169:170]
	v_fma_f64 v[18:19], v[2:3], v[18:19], -v[20:21]
	ds_load_b128 v[2:5], v1 offset:1936
	v_fma_f64 v[16:17], v[8:9], v[22:23], v[16:17]
	v_fma_f64 v[22:23], v[6:7], v[22:23], -v[24:25]
	ds_load_b128 v[6:9], v1 offset:1952
	v_add_f64_e32 v[10:11], v[10:11], v[14:15]
	v_add_f64_e32 v[12:13], v[12:13], v[171:172]
	s_wait_loadcnt_dscnt 0x301
	v_mul_f64_e32 v[14:15], v[2:3], v[28:29]
	v_mul_f64_e32 v[20:21], v[4:5], v[28:29]
	s_wait_loadcnt_dscnt 0x200
	v_mul_f64_e32 v[24:25], v[8:9], v[32:33]
	v_add_f64_e32 v[10:11], v[10:11], v[18:19]
	v_add_f64_e32 v[12:13], v[12:13], v[167:168]
	v_mul_f64_e32 v[18:19], v[6:7], v[32:33]
	v_fma_f64 v[14:15], v[4:5], v[26:27], v[14:15]
	v_fma_f64 v[20:21], v[2:3], v[26:27], -v[20:21]
	ds_load_b128 v[2:5], v1 offset:1968
	v_fma_f64 v[6:7], v[6:7], v[30:31], -v[24:25]
	v_add_f64_e32 v[10:11], v[10:11], v[22:23]
	v_add_f64_e32 v[12:13], v[12:13], v[16:17]
	s_wait_loadcnt_dscnt 0x100
	v_mul_f64_e32 v[16:17], v[2:3], v[36:37]
	v_mul_f64_e32 v[22:23], v[4:5], v[36:37]
	v_fma_f64 v[8:9], v[8:9], v[30:31], v[18:19]
	v_add_f64_e32 v[10:11], v[10:11], v[20:21]
	v_add_f64_e32 v[12:13], v[12:13], v[14:15]
	v_fma_f64 v[4:5], v[4:5], v[34:35], v[16:17]
	v_fma_f64 v[2:3], v[2:3], v[34:35], -v[22:23]
	s_delay_alu instid0(VALU_DEP_4) | instskip(NEXT) | instid1(VALU_DEP_4)
	v_add_f64_e32 v[6:7], v[10:11], v[6:7]
	v_add_f64_e32 v[8:9], v[12:13], v[8:9]
	s_delay_alu instid0(VALU_DEP_2) | instskip(NEXT) | instid1(VALU_DEP_2)
	v_add_f64_e32 v[2:3], v[6:7], v[2:3]
	v_add_f64_e32 v[4:5], v[8:9], v[4:5]
	s_wait_loadcnt 0x0
	s_delay_alu instid0(VALU_DEP_2) | instskip(NEXT) | instid1(VALU_DEP_2)
	v_add_f64_e64 v[2:3], v[38:39], -v[2:3]
	v_add_f64_e64 v[4:5], v[40:41], -v[4:5]
	scratch_store_b128 off, v[2:5], off offset:368
	v_cmpx_lt_u32_e32 21, v0
	s_cbranch_execz .LBB61_355
; %bb.354:
	scratch_load_b128 v[5:8], off, s50
	v_dual_mov_b32 v2, v1 :: v_dual_mov_b32 v3, v1
	v_mov_b32_e32 v4, v1
	scratch_store_b128 off, v[1:4], off offset:352
	s_wait_loadcnt 0x0
	ds_store_b128 v166, v[5:8]
.LBB61_355:
	s_wait_alu 0xfffe
	s_or_b32 exec_lo, exec_lo, s0
	s_wait_storecnt_dscnt 0x0
	s_barrier_signal -1
	s_barrier_wait -1
	global_inv scope:SCOPE_SE
	s_clause 0x7
	scratch_load_b128 v[2:5], off, off offset:368
	scratch_load_b128 v[6:9], off, off offset:384
	;; [unrolled: 1-line block ×8, first 2 shown]
	ds_load_b128 v[38:41], v1 offset:1344
	ds_load_b128 v[167:170], v1 offset:1360
	s_clause 0x1
	scratch_load_b128 v[34:37], off, off offset:496
	scratch_load_b128 v[171:174], off, off offset:512
	s_mov_b32 s0, exec_lo
	s_wait_loadcnt_dscnt 0x901
	v_mul_f64_e32 v[175:176], v[40:41], v[4:5]
	v_mul_f64_e32 v[4:5], v[38:39], v[4:5]
	s_wait_loadcnt_dscnt 0x800
	v_mul_f64_e32 v[177:178], v[167:168], v[8:9]
	v_mul_f64_e32 v[8:9], v[169:170], v[8:9]
	s_delay_alu instid0(VALU_DEP_4) | instskip(NEXT) | instid1(VALU_DEP_4)
	v_fma_f64 v[175:176], v[38:39], v[2:3], -v[175:176]
	v_fma_f64 v[179:180], v[40:41], v[2:3], v[4:5]
	ds_load_b128 v[2:5], v1 offset:1376
	scratch_load_b128 v[38:41], off, off offset:528
	v_fma_f64 v[177:178], v[169:170], v[6:7], v[177:178]
	v_fma_f64 v[183:184], v[167:168], v[6:7], -v[8:9]
	ds_load_b128 v[6:9], v1 offset:1392
	scratch_load_b128 v[167:170], off, off offset:544
	s_wait_loadcnt_dscnt 0x901
	v_mul_f64_e32 v[181:182], v[2:3], v[12:13]
	v_mul_f64_e32 v[12:13], v[4:5], v[12:13]
	s_wait_loadcnt_dscnt 0x800
	v_mul_f64_e32 v[185:186], v[6:7], v[16:17]
	v_mul_f64_e32 v[16:17], v[8:9], v[16:17]
	v_add_f64_e32 v[175:176], 0, v[175:176]
	v_add_f64_e32 v[179:180], 0, v[179:180]
	v_fma_f64 v[181:182], v[4:5], v[10:11], v[181:182]
	v_fma_f64 v[187:188], v[2:3], v[10:11], -v[12:13]
	ds_load_b128 v[2:5], v1 offset:1408
	scratch_load_b128 v[10:13], off, off offset:560
	v_add_f64_e32 v[175:176], v[175:176], v[183:184]
	v_add_f64_e32 v[177:178], v[179:180], v[177:178]
	v_fma_f64 v[183:184], v[8:9], v[14:15], v[185:186]
	v_fma_f64 v[185:186], v[6:7], v[14:15], -v[16:17]
	ds_load_b128 v[6:9], v1 offset:1424
	scratch_load_b128 v[14:17], off, off offset:576
	s_wait_loadcnt_dscnt 0x901
	v_mul_f64_e32 v[179:180], v[2:3], v[20:21]
	v_mul_f64_e32 v[20:21], v[4:5], v[20:21]
	v_add_f64_e32 v[175:176], v[175:176], v[187:188]
	v_add_f64_e32 v[177:178], v[177:178], v[181:182]
	s_wait_loadcnt_dscnt 0x800
	v_mul_f64_e32 v[181:182], v[6:7], v[24:25]
	v_mul_f64_e32 v[24:25], v[8:9], v[24:25]
	v_fma_f64 v[179:180], v[4:5], v[18:19], v[179:180]
	v_fma_f64 v[187:188], v[2:3], v[18:19], -v[20:21]
	ds_load_b128 v[2:5], v1 offset:1440
	scratch_load_b128 v[18:21], off, off offset:592
	v_add_f64_e32 v[175:176], v[175:176], v[185:186]
	v_add_f64_e32 v[177:178], v[177:178], v[183:184]
	v_fma_f64 v[181:182], v[8:9], v[22:23], v[181:182]
	v_fma_f64 v[185:186], v[6:7], v[22:23], -v[24:25]
	ds_load_b128 v[6:9], v1 offset:1456
	s_wait_loadcnt_dscnt 0x801
	v_mul_f64_e32 v[183:184], v[2:3], v[28:29]
	v_mul_f64_e32 v[28:29], v[4:5], v[28:29]
	scratch_load_b128 v[22:25], off, off offset:608
	v_add_f64_e32 v[175:176], v[175:176], v[187:188]
	v_add_f64_e32 v[177:178], v[177:178], v[179:180]
	s_wait_loadcnt_dscnt 0x800
	v_mul_f64_e32 v[179:180], v[6:7], v[32:33]
	v_mul_f64_e32 v[32:33], v[8:9], v[32:33]
	v_fma_f64 v[183:184], v[4:5], v[26:27], v[183:184]
	v_fma_f64 v[187:188], v[2:3], v[26:27], -v[28:29]
	ds_load_b128 v[2:5], v1 offset:1472
	scratch_load_b128 v[26:29], off, off offset:624
	v_add_f64_e32 v[175:176], v[175:176], v[185:186]
	v_add_f64_e32 v[177:178], v[177:178], v[181:182]
	v_fma_f64 v[179:180], v[8:9], v[30:31], v[179:180]
	v_fma_f64 v[185:186], v[6:7], v[30:31], -v[32:33]
	ds_load_b128 v[6:9], v1 offset:1488
	s_wait_loadcnt_dscnt 0x801
	v_mul_f64_e32 v[181:182], v[2:3], v[36:37]
	v_mul_f64_e32 v[36:37], v[4:5], v[36:37]
	scratch_load_b128 v[30:33], off, off offset:640
	v_add_f64_e32 v[175:176], v[175:176], v[187:188]
	v_add_f64_e32 v[177:178], v[177:178], v[183:184]
	s_wait_loadcnt_dscnt 0x800
	v_mul_f64_e32 v[183:184], v[6:7], v[173:174]
	v_mul_f64_e32 v[173:174], v[8:9], v[173:174]
	v_fma_f64 v[181:182], v[4:5], v[34:35], v[181:182]
	v_fma_f64 v[187:188], v[2:3], v[34:35], -v[36:37]
	ds_load_b128 v[2:5], v1 offset:1504
	scratch_load_b128 v[34:37], off, off offset:656
	v_add_f64_e32 v[175:176], v[175:176], v[185:186]
	v_add_f64_e32 v[177:178], v[177:178], v[179:180]
	v_fma_f64 v[183:184], v[8:9], v[171:172], v[183:184]
	v_fma_f64 v[185:186], v[6:7], v[171:172], -v[173:174]
	ds_load_b128 v[6:9], v1 offset:1520
	scratch_load_b128 v[171:174], off, off offset:672
	s_wait_loadcnt_dscnt 0x901
	v_mul_f64_e32 v[179:180], v[2:3], v[40:41]
	v_mul_f64_e32 v[40:41], v[4:5], v[40:41]
	v_add_f64_e32 v[175:176], v[175:176], v[187:188]
	v_add_f64_e32 v[177:178], v[177:178], v[181:182]
	s_wait_loadcnt_dscnt 0x800
	v_mul_f64_e32 v[181:182], v[6:7], v[169:170]
	v_mul_f64_e32 v[169:170], v[8:9], v[169:170]
	v_fma_f64 v[179:180], v[4:5], v[38:39], v[179:180]
	v_fma_f64 v[187:188], v[2:3], v[38:39], -v[40:41]
	ds_load_b128 v[2:5], v1 offset:1536
	scratch_load_b128 v[38:41], off, off offset:688
	v_add_f64_e32 v[175:176], v[175:176], v[185:186]
	v_add_f64_e32 v[177:178], v[177:178], v[183:184]
	v_fma_f64 v[181:182], v[8:9], v[167:168], v[181:182]
	v_fma_f64 v[185:186], v[6:7], v[167:168], -v[169:170]
	ds_load_b128 v[6:9], v1 offset:1552
	s_wait_loadcnt_dscnt 0x801
	v_mul_f64_e32 v[183:184], v[2:3], v[12:13]
	v_mul_f64_e32 v[12:13], v[4:5], v[12:13]
	scratch_load_b128 v[167:170], off, off offset:704
	v_add_f64_e32 v[175:176], v[175:176], v[187:188]
	v_add_f64_e32 v[177:178], v[177:178], v[179:180]
	s_wait_loadcnt_dscnt 0x800
	v_mul_f64_e32 v[179:180], v[6:7], v[16:17]
	v_mul_f64_e32 v[16:17], v[8:9], v[16:17]
	v_fma_f64 v[183:184], v[4:5], v[10:11], v[183:184]
	v_fma_f64 v[187:188], v[2:3], v[10:11], -v[12:13]
	scratch_load_b128 v[10:13], off, off offset:720
	ds_load_b128 v[2:5], v1 offset:1568
	v_add_f64_e32 v[175:176], v[175:176], v[185:186]
	v_add_f64_e32 v[177:178], v[177:178], v[181:182]
	v_fma_f64 v[179:180], v[8:9], v[14:15], v[179:180]
	v_fma_f64 v[185:186], v[6:7], v[14:15], -v[16:17]
	ds_load_b128 v[6:9], v1 offset:1584
	s_wait_loadcnt_dscnt 0x801
	v_mul_f64_e32 v[181:182], v[2:3], v[20:21]
	v_mul_f64_e32 v[20:21], v[4:5], v[20:21]
	scratch_load_b128 v[14:17], off, off offset:736
	v_add_f64_e32 v[175:176], v[175:176], v[187:188]
	v_add_f64_e32 v[177:178], v[177:178], v[183:184]
	s_wait_loadcnt_dscnt 0x800
	v_mul_f64_e32 v[183:184], v[6:7], v[24:25]
	v_mul_f64_e32 v[24:25], v[8:9], v[24:25]
	v_fma_f64 v[181:182], v[4:5], v[18:19], v[181:182]
	v_fma_f64 v[187:188], v[2:3], v[18:19], -v[20:21]
	ds_load_b128 v[2:5], v1 offset:1600
	scratch_load_b128 v[18:21], off, off offset:752
	v_add_f64_e32 v[175:176], v[175:176], v[185:186]
	v_add_f64_e32 v[177:178], v[177:178], v[179:180]
	v_fma_f64 v[183:184], v[8:9], v[22:23], v[183:184]
	v_fma_f64 v[185:186], v[6:7], v[22:23], -v[24:25]
	ds_load_b128 v[6:9], v1 offset:1616
	s_wait_loadcnt_dscnt 0x801
	v_mul_f64_e32 v[179:180], v[2:3], v[28:29]
	v_mul_f64_e32 v[28:29], v[4:5], v[28:29]
	scratch_load_b128 v[22:25], off, off offset:768
	v_add_f64_e32 v[175:176], v[175:176], v[187:188]
	v_add_f64_e32 v[177:178], v[177:178], v[181:182]
	s_wait_loadcnt_dscnt 0x800
	v_mul_f64_e32 v[181:182], v[6:7], v[32:33]
	v_mul_f64_e32 v[32:33], v[8:9], v[32:33]
	v_fma_f64 v[179:180], v[4:5], v[26:27], v[179:180]
	v_fma_f64 v[187:188], v[2:3], v[26:27], -v[28:29]
	ds_load_b128 v[2:5], v1 offset:1632
	scratch_load_b128 v[26:29], off, off offset:784
	;; [unrolled: 18-line block ×4, first 2 shown]
	v_add_f64_e32 v[175:176], v[175:176], v[185:186]
	v_add_f64_e32 v[177:178], v[177:178], v[179:180]
	v_fma_f64 v[183:184], v[8:9], v[167:168], v[183:184]
	v_fma_f64 v[185:186], v[6:7], v[167:168], -v[169:170]
	ds_load_b128 v[6:9], v1 offset:1712
	s_wait_loadcnt_dscnt 0x801
	v_mul_f64_e32 v[179:180], v[2:3], v[12:13]
	v_mul_f64_e32 v[12:13], v[4:5], v[12:13]
	scratch_load_b128 v[167:170], off, off offset:864
	v_add_f64_e32 v[175:176], v[175:176], v[187:188]
	v_add_f64_e32 v[177:178], v[177:178], v[181:182]
	s_wait_loadcnt_dscnt 0x800
	v_mul_f64_e32 v[181:182], v[6:7], v[16:17]
	v_mul_f64_e32 v[16:17], v[8:9], v[16:17]
	v_fma_f64 v[179:180], v[4:5], v[10:11], v[179:180]
	v_fma_f64 v[187:188], v[2:3], v[10:11], -v[12:13]
	scratch_load_b128 v[10:13], off, off offset:880
	ds_load_b128 v[2:5], v1 offset:1728
	v_add_f64_e32 v[175:176], v[175:176], v[185:186]
	v_add_f64_e32 v[177:178], v[177:178], v[183:184]
	v_fma_f64 v[181:182], v[8:9], v[14:15], v[181:182]
	v_fma_f64 v[185:186], v[6:7], v[14:15], -v[16:17]
	ds_load_b128 v[6:9], v1 offset:1744
	s_wait_loadcnt_dscnt 0x801
	v_mul_f64_e32 v[183:184], v[2:3], v[20:21]
	v_mul_f64_e32 v[20:21], v[4:5], v[20:21]
	scratch_load_b128 v[14:17], off, off offset:896
	v_add_f64_e32 v[175:176], v[175:176], v[187:188]
	v_add_f64_e32 v[177:178], v[177:178], v[179:180]
	s_wait_loadcnt_dscnt 0x800
	v_mul_f64_e32 v[179:180], v[6:7], v[24:25]
	v_mul_f64_e32 v[24:25], v[8:9], v[24:25]
	v_fma_f64 v[183:184], v[4:5], v[18:19], v[183:184]
	v_fma_f64 v[187:188], v[2:3], v[18:19], -v[20:21]
	ds_load_b128 v[2:5], v1 offset:1760
	scratch_load_b128 v[18:21], off, off offset:912
	v_add_f64_e32 v[175:176], v[175:176], v[185:186]
	v_add_f64_e32 v[177:178], v[177:178], v[181:182]
	v_fma_f64 v[179:180], v[8:9], v[22:23], v[179:180]
	v_fma_f64 v[185:186], v[6:7], v[22:23], -v[24:25]
	ds_load_b128 v[6:9], v1 offset:1776
	s_wait_loadcnt_dscnt 0x801
	v_mul_f64_e32 v[181:182], v[2:3], v[28:29]
	v_mul_f64_e32 v[28:29], v[4:5], v[28:29]
	scratch_load_b128 v[22:25], off, off offset:928
	v_add_f64_e32 v[175:176], v[175:176], v[187:188]
	v_add_f64_e32 v[177:178], v[177:178], v[183:184]
	s_wait_loadcnt_dscnt 0x800
	v_mul_f64_e32 v[183:184], v[6:7], v[32:33]
	v_mul_f64_e32 v[32:33], v[8:9], v[32:33]
	v_fma_f64 v[181:182], v[4:5], v[26:27], v[181:182]
	v_fma_f64 v[187:188], v[2:3], v[26:27], -v[28:29]
	ds_load_b128 v[2:5], v1 offset:1792
	scratch_load_b128 v[26:29], off, off offset:944
	;; [unrolled: 18-line block ×3, first 2 shown]
	v_add_f64_e32 v[175:176], v[175:176], v[185:186]
	v_add_f64_e32 v[177:178], v[177:178], v[183:184]
	v_fma_f64 v[181:182], v[8:9], v[171:172], v[181:182]
	v_fma_f64 v[185:186], v[6:7], v[171:172], -v[173:174]
	ds_load_b128 v[6:9], v1 offset:1840
	s_wait_loadcnt_dscnt 0x801
	v_mul_f64_e32 v[183:184], v[2:3], v[40:41]
	v_mul_f64_e32 v[40:41], v[4:5], v[40:41]
	scratch_load_b128 v[171:174], off, off offset:992
	v_add_f64_e32 v[175:176], v[175:176], v[187:188]
	v_add_f64_e32 v[177:178], v[177:178], v[179:180]
	v_fma_f64 v[183:184], v[4:5], v[38:39], v[183:184]
	v_fma_f64 v[38:39], v[2:3], v[38:39], -v[40:41]
	ds_load_b128 v[2:5], v1 offset:1856
	v_add_f64_e32 v[40:41], v[175:176], v[185:186]
	v_add_f64_e32 v[175:176], v[177:178], v[181:182]
	s_wait_loadcnt_dscnt 0x700
	v_mul_f64_e32 v[177:178], v[2:3], v[12:13]
	v_mul_f64_e32 v[12:13], v[4:5], v[12:13]
	s_delay_alu instid0(VALU_DEP_4) | instskip(NEXT) | instid1(VALU_DEP_4)
	v_add_f64_e32 v[38:39], v[40:41], v[38:39]
	v_add_f64_e32 v[40:41], v[175:176], v[183:184]
	s_delay_alu instid0(VALU_DEP_4) | instskip(NEXT) | instid1(VALU_DEP_4)
	v_fma_f64 v[175:176], v[4:5], v[10:11], v[177:178]
	v_fma_f64 v[177:178], v[2:3], v[10:11], -v[12:13]
	scratch_load_b128 v[10:13], off, off offset:352
	v_mul_f64_e32 v[179:180], v[6:7], v[169:170]
	v_mul_f64_e32 v[169:170], v[8:9], v[169:170]
	ds_load_b128 v[2:5], v1 offset:1888
	v_fma_f64 v[179:180], v[8:9], v[167:168], v[179:180]
	v_fma_f64 v[167:168], v[6:7], v[167:168], -v[169:170]
	ds_load_b128 v[6:9], v1 offset:1872
	s_wait_loadcnt_dscnt 0x700
	v_mul_f64_e32 v[169:170], v[6:7], v[16:17]
	v_mul_f64_e32 v[16:17], v[8:9], v[16:17]
	v_add_f64_e32 v[40:41], v[40:41], v[179:180]
	v_add_f64_e32 v[38:39], v[38:39], v[167:168]
	s_wait_loadcnt 0x6
	v_mul_f64_e32 v[167:168], v[2:3], v[20:21]
	v_mul_f64_e32 v[20:21], v[4:5], v[20:21]
	v_fma_f64 v[169:170], v[8:9], v[14:15], v[169:170]
	v_fma_f64 v[14:15], v[6:7], v[14:15], -v[16:17]
	ds_load_b128 v[6:9], v1 offset:1904
	v_add_f64_e32 v[16:17], v[38:39], v[177:178]
	v_add_f64_e32 v[38:39], v[40:41], v[175:176]
	v_fma_f64 v[167:168], v[4:5], v[18:19], v[167:168]
	v_fma_f64 v[18:19], v[2:3], v[18:19], -v[20:21]
	ds_load_b128 v[2:5], v1 offset:1920
	s_wait_loadcnt_dscnt 0x501
	v_mul_f64_e32 v[40:41], v[6:7], v[24:25]
	v_mul_f64_e32 v[24:25], v[8:9], v[24:25]
	s_wait_loadcnt_dscnt 0x400
	v_mul_f64_e32 v[20:21], v[2:3], v[28:29]
	v_mul_f64_e32 v[28:29], v[4:5], v[28:29]
	v_add_f64_e32 v[14:15], v[16:17], v[14:15]
	v_add_f64_e32 v[16:17], v[38:39], v[169:170]
	v_fma_f64 v[38:39], v[8:9], v[22:23], v[40:41]
	v_fma_f64 v[22:23], v[6:7], v[22:23], -v[24:25]
	ds_load_b128 v[6:9], v1 offset:1936
	v_fma_f64 v[20:21], v[4:5], v[26:27], v[20:21]
	v_fma_f64 v[26:27], v[2:3], v[26:27], -v[28:29]
	ds_load_b128 v[2:5], v1 offset:1952
	s_wait_loadcnt_dscnt 0x301
	v_mul_f64_e32 v[24:25], v[8:9], v[32:33]
	v_add_f64_e32 v[14:15], v[14:15], v[18:19]
	v_add_f64_e32 v[16:17], v[16:17], v[167:168]
	v_mul_f64_e32 v[18:19], v[6:7], v[32:33]
	s_wait_loadcnt_dscnt 0x200
	v_mul_f64_e32 v[28:29], v[4:5], v[36:37]
	v_fma_f64 v[24:25], v[6:7], v[30:31], -v[24:25]
	v_add_f64_e32 v[14:15], v[14:15], v[22:23]
	v_add_f64_e32 v[16:17], v[16:17], v[38:39]
	v_mul_f64_e32 v[22:23], v[2:3], v[36:37]
	v_fma_f64 v[18:19], v[8:9], v[30:31], v[18:19]
	ds_load_b128 v[6:9], v1 offset:1968
	v_fma_f64 v[1:2], v[2:3], v[34:35], -v[28:29]
	v_add_f64_e32 v[14:15], v[14:15], v[26:27]
	v_add_f64_e32 v[16:17], v[16:17], v[20:21]
	s_wait_loadcnt_dscnt 0x100
	v_mul_f64_e32 v[20:21], v[6:7], v[173:174]
	v_mul_f64_e32 v[26:27], v[8:9], v[173:174]
	v_fma_f64 v[4:5], v[4:5], v[34:35], v[22:23]
	v_add_f64_e32 v[14:15], v[14:15], v[24:25]
	v_add_f64_e32 v[16:17], v[16:17], v[18:19]
	v_fma_f64 v[8:9], v[8:9], v[171:172], v[20:21]
	v_fma_f64 v[6:7], v[6:7], v[171:172], -v[26:27]
	s_delay_alu instid0(VALU_DEP_4) | instskip(NEXT) | instid1(VALU_DEP_4)
	v_add_f64_e32 v[1:2], v[14:15], v[1:2]
	v_add_f64_e32 v[3:4], v[16:17], v[4:5]
	s_delay_alu instid0(VALU_DEP_2) | instskip(NEXT) | instid1(VALU_DEP_2)
	v_add_f64_e32 v[1:2], v[1:2], v[6:7]
	v_add_f64_e32 v[3:4], v[3:4], v[8:9]
	s_wait_loadcnt 0x0
	s_delay_alu instid0(VALU_DEP_2) | instskip(NEXT) | instid1(VALU_DEP_2)
	v_add_f64_e64 v[1:2], v[10:11], -v[1:2]
	v_add_f64_e64 v[3:4], v[12:13], -v[3:4]
	scratch_store_b128 off, v[1:4], off offset:352
	v_cmpx_lt_u32_e32 20, v0
	s_cbranch_execz .LBB61_357
; %bb.356:
	scratch_load_b128 v[1:4], off, s53
	v_mov_b32_e32 v5, 0
	s_delay_alu instid0(VALU_DEP_1)
	v_dual_mov_b32 v6, v5 :: v_dual_mov_b32 v7, v5
	v_mov_b32_e32 v8, v5
	scratch_store_b128 off, v[5:8], off offset:336
	s_wait_loadcnt 0x0
	ds_store_b128 v166, v[1:4]
.LBB61_357:
	s_wait_alu 0xfffe
	s_or_b32 exec_lo, exec_lo, s0
	s_wait_storecnt_dscnt 0x0
	s_barrier_signal -1
	s_barrier_wait -1
	global_inv scope:SCOPE_SE
	s_clause 0x7
	scratch_load_b128 v[2:5], off, off offset:352
	scratch_load_b128 v[6:9], off, off offset:368
	;; [unrolled: 1-line block ×8, first 2 shown]
	v_mov_b32_e32 v1, 0
	s_clause 0x1
	scratch_load_b128 v[34:37], off, off offset:480
	scratch_load_b128 v[171:174], off, off offset:496
	s_mov_b32 s0, exec_lo
	ds_load_b128 v[38:41], v1 offset:1328
	ds_load_b128 v[167:170], v1 offset:1344
	s_wait_loadcnt_dscnt 0x901
	v_mul_f64_e32 v[175:176], v[40:41], v[4:5]
	v_mul_f64_e32 v[4:5], v[38:39], v[4:5]
	s_wait_loadcnt_dscnt 0x800
	v_mul_f64_e32 v[177:178], v[167:168], v[8:9]
	v_mul_f64_e32 v[8:9], v[169:170], v[8:9]
	s_delay_alu instid0(VALU_DEP_4) | instskip(NEXT) | instid1(VALU_DEP_4)
	v_fma_f64 v[175:176], v[38:39], v[2:3], -v[175:176]
	v_fma_f64 v[179:180], v[40:41], v[2:3], v[4:5]
	ds_load_b128 v[2:5], v1 offset:1360
	scratch_load_b128 v[38:41], off, off offset:512
	v_fma_f64 v[177:178], v[169:170], v[6:7], v[177:178]
	v_fma_f64 v[183:184], v[167:168], v[6:7], -v[8:9]
	ds_load_b128 v[6:9], v1 offset:1376
	scratch_load_b128 v[167:170], off, off offset:528
	s_wait_loadcnt_dscnt 0x901
	v_mul_f64_e32 v[181:182], v[2:3], v[12:13]
	v_mul_f64_e32 v[12:13], v[4:5], v[12:13]
	s_wait_loadcnt_dscnt 0x800
	v_mul_f64_e32 v[185:186], v[6:7], v[16:17]
	v_mul_f64_e32 v[16:17], v[8:9], v[16:17]
	v_add_f64_e32 v[175:176], 0, v[175:176]
	v_add_f64_e32 v[179:180], 0, v[179:180]
	v_fma_f64 v[181:182], v[4:5], v[10:11], v[181:182]
	v_fma_f64 v[187:188], v[2:3], v[10:11], -v[12:13]
	ds_load_b128 v[2:5], v1 offset:1392
	scratch_load_b128 v[10:13], off, off offset:544
	v_add_f64_e32 v[175:176], v[175:176], v[183:184]
	v_add_f64_e32 v[177:178], v[179:180], v[177:178]
	v_fma_f64 v[183:184], v[8:9], v[14:15], v[185:186]
	v_fma_f64 v[185:186], v[6:7], v[14:15], -v[16:17]
	ds_load_b128 v[6:9], v1 offset:1408
	scratch_load_b128 v[14:17], off, off offset:560
	s_wait_loadcnt_dscnt 0x901
	v_mul_f64_e32 v[179:180], v[2:3], v[20:21]
	v_mul_f64_e32 v[20:21], v[4:5], v[20:21]
	v_add_f64_e32 v[175:176], v[175:176], v[187:188]
	v_add_f64_e32 v[177:178], v[177:178], v[181:182]
	s_wait_loadcnt_dscnt 0x800
	v_mul_f64_e32 v[181:182], v[6:7], v[24:25]
	v_mul_f64_e32 v[24:25], v[8:9], v[24:25]
	v_fma_f64 v[179:180], v[4:5], v[18:19], v[179:180]
	v_fma_f64 v[187:188], v[2:3], v[18:19], -v[20:21]
	ds_load_b128 v[2:5], v1 offset:1424
	scratch_load_b128 v[18:21], off, off offset:576
	v_add_f64_e32 v[175:176], v[175:176], v[185:186]
	v_add_f64_e32 v[177:178], v[177:178], v[183:184]
	v_fma_f64 v[181:182], v[8:9], v[22:23], v[181:182]
	v_fma_f64 v[185:186], v[6:7], v[22:23], -v[24:25]
	ds_load_b128 v[6:9], v1 offset:1440
	s_wait_loadcnt_dscnt 0x801
	v_mul_f64_e32 v[183:184], v[2:3], v[28:29]
	v_mul_f64_e32 v[28:29], v[4:5], v[28:29]
	scratch_load_b128 v[22:25], off, off offset:592
	v_add_f64_e32 v[175:176], v[175:176], v[187:188]
	v_add_f64_e32 v[177:178], v[177:178], v[179:180]
	s_wait_loadcnt_dscnt 0x800
	v_mul_f64_e32 v[179:180], v[6:7], v[32:33]
	v_mul_f64_e32 v[32:33], v[8:9], v[32:33]
	v_fma_f64 v[183:184], v[4:5], v[26:27], v[183:184]
	v_fma_f64 v[187:188], v[2:3], v[26:27], -v[28:29]
	ds_load_b128 v[2:5], v1 offset:1456
	scratch_load_b128 v[26:29], off, off offset:608
	v_add_f64_e32 v[175:176], v[175:176], v[185:186]
	v_add_f64_e32 v[177:178], v[177:178], v[181:182]
	v_fma_f64 v[179:180], v[8:9], v[30:31], v[179:180]
	v_fma_f64 v[185:186], v[6:7], v[30:31], -v[32:33]
	ds_load_b128 v[6:9], v1 offset:1472
	s_wait_loadcnt_dscnt 0x801
	v_mul_f64_e32 v[181:182], v[2:3], v[36:37]
	v_mul_f64_e32 v[36:37], v[4:5], v[36:37]
	scratch_load_b128 v[30:33], off, off offset:624
	v_add_f64_e32 v[175:176], v[175:176], v[187:188]
	v_add_f64_e32 v[177:178], v[177:178], v[183:184]
	s_wait_loadcnt_dscnt 0x800
	v_mul_f64_e32 v[183:184], v[6:7], v[173:174]
	v_mul_f64_e32 v[173:174], v[8:9], v[173:174]
	v_fma_f64 v[181:182], v[4:5], v[34:35], v[181:182]
	v_fma_f64 v[187:188], v[2:3], v[34:35], -v[36:37]
	ds_load_b128 v[2:5], v1 offset:1488
	scratch_load_b128 v[34:37], off, off offset:640
	v_add_f64_e32 v[175:176], v[175:176], v[185:186]
	v_add_f64_e32 v[177:178], v[177:178], v[179:180]
	v_fma_f64 v[183:184], v[8:9], v[171:172], v[183:184]
	v_fma_f64 v[185:186], v[6:7], v[171:172], -v[173:174]
	ds_load_b128 v[6:9], v1 offset:1504
	scratch_load_b128 v[171:174], off, off offset:656
	s_wait_loadcnt_dscnt 0x901
	v_mul_f64_e32 v[179:180], v[2:3], v[40:41]
	v_mul_f64_e32 v[40:41], v[4:5], v[40:41]
	v_add_f64_e32 v[175:176], v[175:176], v[187:188]
	v_add_f64_e32 v[177:178], v[177:178], v[181:182]
	s_wait_loadcnt_dscnt 0x800
	v_mul_f64_e32 v[181:182], v[6:7], v[169:170]
	v_mul_f64_e32 v[169:170], v[8:9], v[169:170]
	v_fma_f64 v[179:180], v[4:5], v[38:39], v[179:180]
	v_fma_f64 v[187:188], v[2:3], v[38:39], -v[40:41]
	ds_load_b128 v[2:5], v1 offset:1520
	scratch_load_b128 v[38:41], off, off offset:672
	v_add_f64_e32 v[175:176], v[175:176], v[185:186]
	v_add_f64_e32 v[177:178], v[177:178], v[183:184]
	v_fma_f64 v[181:182], v[8:9], v[167:168], v[181:182]
	v_fma_f64 v[185:186], v[6:7], v[167:168], -v[169:170]
	ds_load_b128 v[6:9], v1 offset:1536
	s_wait_loadcnt_dscnt 0x801
	v_mul_f64_e32 v[183:184], v[2:3], v[12:13]
	v_mul_f64_e32 v[12:13], v[4:5], v[12:13]
	scratch_load_b128 v[167:170], off, off offset:688
	v_add_f64_e32 v[175:176], v[175:176], v[187:188]
	v_add_f64_e32 v[177:178], v[177:178], v[179:180]
	s_wait_loadcnt_dscnt 0x800
	v_mul_f64_e32 v[179:180], v[6:7], v[16:17]
	v_mul_f64_e32 v[16:17], v[8:9], v[16:17]
	v_fma_f64 v[183:184], v[4:5], v[10:11], v[183:184]
	v_fma_f64 v[187:188], v[2:3], v[10:11], -v[12:13]
	ds_load_b128 v[2:5], v1 offset:1552
	scratch_load_b128 v[10:13], off, off offset:704
	v_add_f64_e32 v[175:176], v[175:176], v[185:186]
	v_add_f64_e32 v[177:178], v[177:178], v[181:182]
	v_fma_f64 v[179:180], v[8:9], v[14:15], v[179:180]
	v_fma_f64 v[185:186], v[6:7], v[14:15], -v[16:17]
	ds_load_b128 v[6:9], v1 offset:1568
	s_wait_loadcnt_dscnt 0x801
	v_mul_f64_e32 v[181:182], v[2:3], v[20:21]
	v_mul_f64_e32 v[20:21], v[4:5], v[20:21]
	scratch_load_b128 v[14:17], off, off offset:720
	;; [unrolled: 18-line block ×10, first 2 shown]
	v_add_f64_e32 v[175:176], v[175:176], v[187:188]
	v_add_f64_e32 v[177:178], v[177:178], v[179:180]
	s_wait_loadcnt_dscnt 0x800
	v_mul_f64_e32 v[179:180], v[6:7], v[169:170]
	v_mul_f64_e32 v[169:170], v[8:9], v[169:170]
	v_fma_f64 v[183:184], v[4:5], v[38:39], v[183:184]
	v_fma_f64 v[187:188], v[2:3], v[38:39], -v[40:41]
	ds_load_b128 v[2:5], v1 offset:1840
	scratch_load_b128 v[38:41], off, off offset:992
	v_add_f64_e32 v[175:176], v[175:176], v[185:186]
	v_add_f64_e32 v[177:178], v[177:178], v[181:182]
	v_fma_f64 v[179:180], v[8:9], v[167:168], v[179:180]
	v_fma_f64 v[167:168], v[6:7], v[167:168], -v[169:170]
	ds_load_b128 v[6:9], v1 offset:1856
	s_wait_loadcnt_dscnt 0x801
	v_mul_f64_e32 v[181:182], v[2:3], v[12:13]
	v_mul_f64_e32 v[12:13], v[4:5], v[12:13]
	v_add_f64_e32 v[169:170], v[175:176], v[187:188]
	v_add_f64_e32 v[175:176], v[177:178], v[183:184]
	s_wait_loadcnt_dscnt 0x700
	v_mul_f64_e32 v[177:178], v[6:7], v[16:17]
	v_mul_f64_e32 v[16:17], v[8:9], v[16:17]
	v_fma_f64 v[181:182], v[4:5], v[10:11], v[181:182]
	v_fma_f64 v[10:11], v[2:3], v[10:11], -v[12:13]
	ds_load_b128 v[2:5], v1 offset:1872
	v_add_f64_e32 v[12:13], v[169:170], v[167:168]
	v_add_f64_e32 v[167:168], v[175:176], v[179:180]
	v_fma_f64 v[175:176], v[8:9], v[14:15], v[177:178]
	v_fma_f64 v[14:15], v[6:7], v[14:15], -v[16:17]
	ds_load_b128 v[6:9], v1 offset:1888
	s_wait_loadcnt_dscnt 0x500
	v_mul_f64_e32 v[177:178], v[6:7], v[24:25]
	v_mul_f64_e32 v[24:25], v[8:9], v[24:25]
	v_add_f64_e32 v[16:17], v[12:13], v[10:11]
	v_add_f64_e32 v[167:168], v[167:168], v[181:182]
	scratch_load_b128 v[10:13], off, off offset:336
	v_mul_f64_e32 v[169:170], v[2:3], v[20:21]
	v_mul_f64_e32 v[20:21], v[4:5], v[20:21]
	v_add_f64_e32 v[14:15], v[16:17], v[14:15]
	v_add_f64_e32 v[16:17], v[167:168], v[175:176]
	v_fma_f64 v[167:168], v[8:9], v[22:23], v[177:178]
	v_fma_f64 v[169:170], v[4:5], v[18:19], v[169:170]
	v_fma_f64 v[18:19], v[2:3], v[18:19], -v[20:21]
	ds_load_b128 v[2:5], v1 offset:1904
	v_fma_f64 v[22:23], v[6:7], v[22:23], -v[24:25]
	ds_load_b128 v[6:9], v1 offset:1920
	s_wait_loadcnt_dscnt 0x501
	v_mul_f64_e32 v[20:21], v[2:3], v[28:29]
	v_mul_f64_e32 v[28:29], v[4:5], v[28:29]
	s_wait_loadcnt_dscnt 0x400
	v_mul_f64_e32 v[24:25], v[8:9], v[32:33]
	v_add_f64_e32 v[16:17], v[16:17], v[169:170]
	v_add_f64_e32 v[14:15], v[14:15], v[18:19]
	v_mul_f64_e32 v[18:19], v[6:7], v[32:33]
	v_fma_f64 v[20:21], v[4:5], v[26:27], v[20:21]
	v_fma_f64 v[26:27], v[2:3], v[26:27], -v[28:29]
	ds_load_b128 v[2:5], v1 offset:1936
	v_fma_f64 v[24:25], v[6:7], v[30:31], -v[24:25]
	v_add_f64_e32 v[16:17], v[16:17], v[167:168]
	v_add_f64_e32 v[14:15], v[14:15], v[22:23]
	v_fma_f64 v[18:19], v[8:9], v[30:31], v[18:19]
	ds_load_b128 v[6:9], v1 offset:1952
	s_wait_loadcnt_dscnt 0x301
	v_mul_f64_e32 v[22:23], v[2:3], v[36:37]
	v_mul_f64_e32 v[28:29], v[4:5], v[36:37]
	v_add_f64_e32 v[16:17], v[16:17], v[20:21]
	v_add_f64_e32 v[14:15], v[14:15], v[26:27]
	s_wait_loadcnt_dscnt 0x200
	v_mul_f64_e32 v[20:21], v[6:7], v[173:174]
	v_mul_f64_e32 v[26:27], v[8:9], v[173:174]
	v_fma_f64 v[22:23], v[4:5], v[34:35], v[22:23]
	v_fma_f64 v[28:29], v[2:3], v[34:35], -v[28:29]
	ds_load_b128 v[2:5], v1 offset:1968
	v_add_f64_e32 v[16:17], v[16:17], v[18:19]
	v_add_f64_e32 v[14:15], v[14:15], v[24:25]
	s_wait_loadcnt_dscnt 0x100
	v_mul_f64_e32 v[18:19], v[2:3], v[40:41]
	v_mul_f64_e32 v[24:25], v[4:5], v[40:41]
	v_fma_f64 v[8:9], v[8:9], v[171:172], v[20:21]
	v_fma_f64 v[6:7], v[6:7], v[171:172], -v[26:27]
	v_add_f64_e32 v[16:17], v[16:17], v[22:23]
	v_add_f64_e32 v[14:15], v[14:15], v[28:29]
	v_fma_f64 v[4:5], v[4:5], v[38:39], v[18:19]
	v_fma_f64 v[2:3], v[2:3], v[38:39], -v[24:25]
	s_delay_alu instid0(VALU_DEP_4) | instskip(NEXT) | instid1(VALU_DEP_4)
	v_add_f64_e32 v[8:9], v[16:17], v[8:9]
	v_add_f64_e32 v[6:7], v[14:15], v[6:7]
	s_delay_alu instid0(VALU_DEP_2) | instskip(NEXT) | instid1(VALU_DEP_2)
	v_add_f64_e32 v[4:5], v[8:9], v[4:5]
	v_add_f64_e32 v[2:3], v[6:7], v[2:3]
	s_wait_loadcnt 0x0
	s_delay_alu instid0(VALU_DEP_2) | instskip(NEXT) | instid1(VALU_DEP_2)
	v_add_f64_e64 v[4:5], v[12:13], -v[4:5]
	v_add_f64_e64 v[2:3], v[10:11], -v[2:3]
	scratch_store_b128 off, v[2:5], off offset:336
	v_cmpx_lt_u32_e32 19, v0
	s_cbranch_execz .LBB61_359
; %bb.358:
	scratch_load_b128 v[5:8], off, s52
	v_dual_mov_b32 v2, v1 :: v_dual_mov_b32 v3, v1
	v_mov_b32_e32 v4, v1
	scratch_store_b128 off, v[1:4], off offset:320
	s_wait_loadcnt 0x0
	ds_store_b128 v166, v[5:8]
.LBB61_359:
	s_wait_alu 0xfffe
	s_or_b32 exec_lo, exec_lo, s0
	s_wait_storecnt_dscnt 0x0
	s_barrier_signal -1
	s_barrier_wait -1
	global_inv scope:SCOPE_SE
	s_clause 0x7
	scratch_load_b128 v[2:5], off, off offset:336
	scratch_load_b128 v[6:9], off, off offset:352
	;; [unrolled: 1-line block ×8, first 2 shown]
	ds_load_b128 v[38:41], v1 offset:1312
	ds_load_b128 v[167:170], v1 offset:1328
	s_clause 0x1
	scratch_load_b128 v[34:37], off, off offset:464
	scratch_load_b128 v[171:174], off, off offset:480
	s_mov_b32 s0, exec_lo
	s_wait_loadcnt_dscnt 0x901
	v_mul_f64_e32 v[175:176], v[40:41], v[4:5]
	v_mul_f64_e32 v[4:5], v[38:39], v[4:5]
	s_wait_loadcnt_dscnt 0x800
	v_mul_f64_e32 v[177:178], v[167:168], v[8:9]
	v_mul_f64_e32 v[8:9], v[169:170], v[8:9]
	s_delay_alu instid0(VALU_DEP_4) | instskip(NEXT) | instid1(VALU_DEP_4)
	v_fma_f64 v[175:176], v[38:39], v[2:3], -v[175:176]
	v_fma_f64 v[179:180], v[40:41], v[2:3], v[4:5]
	ds_load_b128 v[2:5], v1 offset:1344
	scratch_load_b128 v[38:41], off, off offset:496
	v_fma_f64 v[177:178], v[169:170], v[6:7], v[177:178]
	v_fma_f64 v[183:184], v[167:168], v[6:7], -v[8:9]
	ds_load_b128 v[6:9], v1 offset:1360
	scratch_load_b128 v[167:170], off, off offset:512
	s_wait_loadcnt_dscnt 0x901
	v_mul_f64_e32 v[181:182], v[2:3], v[12:13]
	v_mul_f64_e32 v[12:13], v[4:5], v[12:13]
	s_wait_loadcnt_dscnt 0x800
	v_mul_f64_e32 v[185:186], v[6:7], v[16:17]
	v_mul_f64_e32 v[16:17], v[8:9], v[16:17]
	v_add_f64_e32 v[175:176], 0, v[175:176]
	v_add_f64_e32 v[179:180], 0, v[179:180]
	v_fma_f64 v[181:182], v[4:5], v[10:11], v[181:182]
	v_fma_f64 v[187:188], v[2:3], v[10:11], -v[12:13]
	ds_load_b128 v[2:5], v1 offset:1376
	scratch_load_b128 v[10:13], off, off offset:528
	v_add_f64_e32 v[175:176], v[175:176], v[183:184]
	v_add_f64_e32 v[177:178], v[179:180], v[177:178]
	v_fma_f64 v[183:184], v[8:9], v[14:15], v[185:186]
	v_fma_f64 v[185:186], v[6:7], v[14:15], -v[16:17]
	ds_load_b128 v[6:9], v1 offset:1392
	scratch_load_b128 v[14:17], off, off offset:544
	s_wait_loadcnt_dscnt 0x901
	v_mul_f64_e32 v[179:180], v[2:3], v[20:21]
	v_mul_f64_e32 v[20:21], v[4:5], v[20:21]
	v_add_f64_e32 v[175:176], v[175:176], v[187:188]
	v_add_f64_e32 v[177:178], v[177:178], v[181:182]
	s_wait_loadcnt_dscnt 0x800
	v_mul_f64_e32 v[181:182], v[6:7], v[24:25]
	v_mul_f64_e32 v[24:25], v[8:9], v[24:25]
	v_fma_f64 v[179:180], v[4:5], v[18:19], v[179:180]
	v_fma_f64 v[187:188], v[2:3], v[18:19], -v[20:21]
	ds_load_b128 v[2:5], v1 offset:1408
	scratch_load_b128 v[18:21], off, off offset:560
	v_add_f64_e32 v[175:176], v[175:176], v[185:186]
	v_add_f64_e32 v[177:178], v[177:178], v[183:184]
	v_fma_f64 v[181:182], v[8:9], v[22:23], v[181:182]
	v_fma_f64 v[185:186], v[6:7], v[22:23], -v[24:25]
	ds_load_b128 v[6:9], v1 offset:1424
	s_wait_loadcnt_dscnt 0x801
	v_mul_f64_e32 v[183:184], v[2:3], v[28:29]
	v_mul_f64_e32 v[28:29], v[4:5], v[28:29]
	scratch_load_b128 v[22:25], off, off offset:576
	v_add_f64_e32 v[175:176], v[175:176], v[187:188]
	v_add_f64_e32 v[177:178], v[177:178], v[179:180]
	s_wait_loadcnt_dscnt 0x800
	v_mul_f64_e32 v[179:180], v[6:7], v[32:33]
	v_mul_f64_e32 v[32:33], v[8:9], v[32:33]
	v_fma_f64 v[183:184], v[4:5], v[26:27], v[183:184]
	v_fma_f64 v[187:188], v[2:3], v[26:27], -v[28:29]
	ds_load_b128 v[2:5], v1 offset:1440
	scratch_load_b128 v[26:29], off, off offset:592
	v_add_f64_e32 v[175:176], v[175:176], v[185:186]
	v_add_f64_e32 v[177:178], v[177:178], v[181:182]
	v_fma_f64 v[179:180], v[8:9], v[30:31], v[179:180]
	v_fma_f64 v[185:186], v[6:7], v[30:31], -v[32:33]
	ds_load_b128 v[6:9], v1 offset:1456
	s_wait_loadcnt_dscnt 0x801
	v_mul_f64_e32 v[181:182], v[2:3], v[36:37]
	v_mul_f64_e32 v[36:37], v[4:5], v[36:37]
	scratch_load_b128 v[30:33], off, off offset:608
	v_add_f64_e32 v[175:176], v[175:176], v[187:188]
	v_add_f64_e32 v[177:178], v[177:178], v[183:184]
	s_wait_loadcnt_dscnt 0x800
	v_mul_f64_e32 v[183:184], v[6:7], v[173:174]
	v_mul_f64_e32 v[173:174], v[8:9], v[173:174]
	v_fma_f64 v[181:182], v[4:5], v[34:35], v[181:182]
	v_fma_f64 v[187:188], v[2:3], v[34:35], -v[36:37]
	ds_load_b128 v[2:5], v1 offset:1472
	scratch_load_b128 v[34:37], off, off offset:624
	v_add_f64_e32 v[175:176], v[175:176], v[185:186]
	v_add_f64_e32 v[177:178], v[177:178], v[179:180]
	v_fma_f64 v[183:184], v[8:9], v[171:172], v[183:184]
	v_fma_f64 v[185:186], v[6:7], v[171:172], -v[173:174]
	ds_load_b128 v[6:9], v1 offset:1488
	scratch_load_b128 v[171:174], off, off offset:640
	s_wait_loadcnt_dscnt 0x901
	v_mul_f64_e32 v[179:180], v[2:3], v[40:41]
	v_mul_f64_e32 v[40:41], v[4:5], v[40:41]
	v_add_f64_e32 v[175:176], v[175:176], v[187:188]
	v_add_f64_e32 v[177:178], v[177:178], v[181:182]
	s_wait_loadcnt_dscnt 0x800
	v_mul_f64_e32 v[181:182], v[6:7], v[169:170]
	v_mul_f64_e32 v[169:170], v[8:9], v[169:170]
	v_fma_f64 v[179:180], v[4:5], v[38:39], v[179:180]
	v_fma_f64 v[187:188], v[2:3], v[38:39], -v[40:41]
	ds_load_b128 v[2:5], v1 offset:1504
	scratch_load_b128 v[38:41], off, off offset:656
	v_add_f64_e32 v[175:176], v[175:176], v[185:186]
	v_add_f64_e32 v[177:178], v[177:178], v[183:184]
	v_fma_f64 v[181:182], v[8:9], v[167:168], v[181:182]
	v_fma_f64 v[185:186], v[6:7], v[167:168], -v[169:170]
	ds_load_b128 v[6:9], v1 offset:1520
	s_wait_loadcnt_dscnt 0x801
	v_mul_f64_e32 v[183:184], v[2:3], v[12:13]
	v_mul_f64_e32 v[12:13], v[4:5], v[12:13]
	scratch_load_b128 v[167:170], off, off offset:672
	v_add_f64_e32 v[175:176], v[175:176], v[187:188]
	v_add_f64_e32 v[177:178], v[177:178], v[179:180]
	s_wait_loadcnt_dscnt 0x800
	v_mul_f64_e32 v[179:180], v[6:7], v[16:17]
	v_mul_f64_e32 v[16:17], v[8:9], v[16:17]
	v_fma_f64 v[183:184], v[4:5], v[10:11], v[183:184]
	v_fma_f64 v[187:188], v[2:3], v[10:11], -v[12:13]
	ds_load_b128 v[2:5], v1 offset:1536
	scratch_load_b128 v[10:13], off, off offset:688
	v_add_f64_e32 v[175:176], v[175:176], v[185:186]
	v_add_f64_e32 v[177:178], v[177:178], v[181:182]
	v_fma_f64 v[179:180], v[8:9], v[14:15], v[179:180]
	v_fma_f64 v[185:186], v[6:7], v[14:15], -v[16:17]
	ds_load_b128 v[6:9], v1 offset:1552
	s_wait_loadcnt_dscnt 0x801
	v_mul_f64_e32 v[181:182], v[2:3], v[20:21]
	v_mul_f64_e32 v[20:21], v[4:5], v[20:21]
	scratch_load_b128 v[14:17], off, off offset:704
	;; [unrolled: 18-line block ×11, first 2 shown]
	v_add_f64_e32 v[175:176], v[175:176], v[187:188]
	v_add_f64_e32 v[177:178], v[177:178], v[183:184]
	s_wait_loadcnt_dscnt 0x800
	v_mul_f64_e32 v[183:184], v[6:7], v[16:17]
	v_mul_f64_e32 v[16:17], v[8:9], v[16:17]
	v_fma_f64 v[181:182], v[4:5], v[10:11], v[181:182]
	v_fma_f64 v[10:11], v[2:3], v[10:11], -v[12:13]
	ds_load_b128 v[2:5], v1 offset:1856
	v_add_f64_e32 v[12:13], v[175:176], v[185:186]
	v_add_f64_e32 v[175:176], v[177:178], v[179:180]
	v_fma_f64 v[179:180], v[8:9], v[14:15], v[183:184]
	v_fma_f64 v[14:15], v[6:7], v[14:15], -v[16:17]
	ds_load_b128 v[6:9], v1 offset:1872
	s_wait_loadcnt_dscnt 0x701
	v_mul_f64_e32 v[177:178], v[2:3], v[20:21]
	v_mul_f64_e32 v[20:21], v[4:5], v[20:21]
	v_add_f64_e32 v[10:11], v[12:13], v[10:11]
	v_add_f64_e32 v[12:13], v[175:176], v[181:182]
	s_delay_alu instid0(VALU_DEP_4) | instskip(NEXT) | instid1(VALU_DEP_4)
	v_fma_f64 v[175:176], v[4:5], v[18:19], v[177:178]
	v_fma_f64 v[18:19], v[2:3], v[18:19], -v[20:21]
	ds_load_b128 v[2:5], v1 offset:1888
	v_add_f64_e32 v[14:15], v[10:11], v[14:15]
	v_add_f64_e32 v[20:21], v[12:13], v[179:180]
	scratch_load_b128 v[10:13], off, off offset:320
	s_wait_loadcnt_dscnt 0x701
	v_mul_f64_e32 v[16:17], v[6:7], v[24:25]
	v_mul_f64_e32 v[24:25], v[8:9], v[24:25]
	v_add_f64_e32 v[14:15], v[14:15], v[18:19]
	v_add_f64_e32 v[18:19], v[20:21], v[175:176]
	s_delay_alu instid0(VALU_DEP_4) | instskip(NEXT) | instid1(VALU_DEP_4)
	v_fma_f64 v[16:17], v[8:9], v[22:23], v[16:17]
	v_fma_f64 v[22:23], v[6:7], v[22:23], -v[24:25]
	ds_load_b128 v[6:9], v1 offset:1904
	s_wait_loadcnt_dscnt 0x601
	v_mul_f64_e32 v[177:178], v[2:3], v[28:29]
	v_mul_f64_e32 v[28:29], v[4:5], v[28:29]
	s_wait_loadcnt_dscnt 0x500
	v_mul_f64_e32 v[20:21], v[6:7], v[32:33]
	v_mul_f64_e32 v[24:25], v[8:9], v[32:33]
	v_add_f64_e32 v[16:17], v[18:19], v[16:17]
	v_add_f64_e32 v[14:15], v[14:15], v[22:23]
	v_fma_f64 v[32:33], v[4:5], v[26:27], v[177:178]
	v_fma_f64 v[26:27], v[2:3], v[26:27], -v[28:29]
	ds_load_b128 v[2:5], v1 offset:1920
	v_fma_f64 v[20:21], v[8:9], v[30:31], v[20:21]
	v_fma_f64 v[24:25], v[6:7], v[30:31], -v[24:25]
	ds_load_b128 v[6:9], v1 offset:1936
	s_wait_loadcnt_dscnt 0x401
	v_mul_f64_e32 v[18:19], v[2:3], v[36:37]
	v_mul_f64_e32 v[22:23], v[4:5], v[36:37]
	v_add_f64_e32 v[16:17], v[16:17], v[32:33]
	v_add_f64_e32 v[14:15], v[14:15], v[26:27]
	s_wait_loadcnt_dscnt 0x300
	v_mul_f64_e32 v[26:27], v[6:7], v[173:174]
	v_mul_f64_e32 v[28:29], v[8:9], v[173:174]
	v_fma_f64 v[18:19], v[4:5], v[34:35], v[18:19]
	v_fma_f64 v[22:23], v[2:3], v[34:35], -v[22:23]
	ds_load_b128 v[2:5], v1 offset:1952
	v_add_f64_e32 v[16:17], v[16:17], v[20:21]
	v_add_f64_e32 v[14:15], v[14:15], v[24:25]
	v_fma_f64 v[26:27], v[8:9], v[171:172], v[26:27]
	v_fma_f64 v[28:29], v[6:7], v[171:172], -v[28:29]
	ds_load_b128 v[6:9], v1 offset:1968
	s_wait_loadcnt_dscnt 0x201
	v_mul_f64_e32 v[20:21], v[2:3], v[40:41]
	v_mul_f64_e32 v[24:25], v[4:5], v[40:41]
	v_add_f64_e32 v[16:17], v[16:17], v[18:19]
	v_add_f64_e32 v[14:15], v[14:15], v[22:23]
	s_wait_loadcnt_dscnt 0x100
	v_mul_f64_e32 v[18:19], v[6:7], v[169:170]
	v_mul_f64_e32 v[22:23], v[8:9], v[169:170]
	v_fma_f64 v[4:5], v[4:5], v[38:39], v[20:21]
	v_fma_f64 v[1:2], v[2:3], v[38:39], -v[24:25]
	v_add_f64_e32 v[16:17], v[16:17], v[26:27]
	v_add_f64_e32 v[14:15], v[14:15], v[28:29]
	v_fma_f64 v[8:9], v[8:9], v[167:168], v[18:19]
	v_fma_f64 v[6:7], v[6:7], v[167:168], -v[22:23]
	s_delay_alu instid0(VALU_DEP_4) | instskip(NEXT) | instid1(VALU_DEP_4)
	v_add_f64_e32 v[3:4], v[16:17], v[4:5]
	v_add_f64_e32 v[1:2], v[14:15], v[1:2]
	s_delay_alu instid0(VALU_DEP_2) | instskip(NEXT) | instid1(VALU_DEP_2)
	v_add_f64_e32 v[3:4], v[3:4], v[8:9]
	v_add_f64_e32 v[1:2], v[1:2], v[6:7]
	s_wait_loadcnt 0x0
	s_delay_alu instid0(VALU_DEP_2) | instskip(NEXT) | instid1(VALU_DEP_2)
	v_add_f64_e64 v[3:4], v[12:13], -v[3:4]
	v_add_f64_e64 v[1:2], v[10:11], -v[1:2]
	scratch_store_b128 off, v[1:4], off offset:320
	v_cmpx_lt_u32_e32 18, v0
	s_cbranch_execz .LBB61_361
; %bb.360:
	scratch_load_b128 v[1:4], off, s54
	v_mov_b32_e32 v5, 0
	s_delay_alu instid0(VALU_DEP_1)
	v_dual_mov_b32 v6, v5 :: v_dual_mov_b32 v7, v5
	v_mov_b32_e32 v8, v5
	scratch_store_b128 off, v[5:8], off offset:304
	s_wait_loadcnt 0x0
	ds_store_b128 v166, v[1:4]
.LBB61_361:
	s_wait_alu 0xfffe
	s_or_b32 exec_lo, exec_lo, s0
	s_wait_storecnt_dscnt 0x0
	s_barrier_signal -1
	s_barrier_wait -1
	global_inv scope:SCOPE_SE
	s_clause 0x7
	scratch_load_b128 v[2:5], off, off offset:320
	scratch_load_b128 v[6:9], off, off offset:336
	;; [unrolled: 1-line block ×8, first 2 shown]
	v_mov_b32_e32 v1, 0
	s_clause 0x1
	scratch_load_b128 v[34:37], off, off offset:448
	scratch_load_b128 v[171:174], off, off offset:464
	s_mov_b32 s0, exec_lo
	ds_load_b128 v[38:41], v1 offset:1296
	ds_load_b128 v[167:170], v1 offset:1312
	s_wait_loadcnt_dscnt 0x901
	v_mul_f64_e32 v[175:176], v[40:41], v[4:5]
	v_mul_f64_e32 v[4:5], v[38:39], v[4:5]
	s_wait_loadcnt_dscnt 0x800
	v_mul_f64_e32 v[177:178], v[167:168], v[8:9]
	v_mul_f64_e32 v[8:9], v[169:170], v[8:9]
	s_delay_alu instid0(VALU_DEP_4) | instskip(NEXT) | instid1(VALU_DEP_4)
	v_fma_f64 v[175:176], v[38:39], v[2:3], -v[175:176]
	v_fma_f64 v[179:180], v[40:41], v[2:3], v[4:5]
	ds_load_b128 v[2:5], v1 offset:1328
	scratch_load_b128 v[38:41], off, off offset:480
	v_fma_f64 v[177:178], v[169:170], v[6:7], v[177:178]
	v_fma_f64 v[183:184], v[167:168], v[6:7], -v[8:9]
	ds_load_b128 v[6:9], v1 offset:1344
	scratch_load_b128 v[167:170], off, off offset:496
	s_wait_loadcnt_dscnt 0x901
	v_mul_f64_e32 v[181:182], v[2:3], v[12:13]
	v_mul_f64_e32 v[12:13], v[4:5], v[12:13]
	s_wait_loadcnt_dscnt 0x800
	v_mul_f64_e32 v[185:186], v[6:7], v[16:17]
	v_mul_f64_e32 v[16:17], v[8:9], v[16:17]
	v_add_f64_e32 v[175:176], 0, v[175:176]
	v_add_f64_e32 v[179:180], 0, v[179:180]
	v_fma_f64 v[181:182], v[4:5], v[10:11], v[181:182]
	v_fma_f64 v[187:188], v[2:3], v[10:11], -v[12:13]
	ds_load_b128 v[2:5], v1 offset:1360
	scratch_load_b128 v[10:13], off, off offset:512
	v_add_f64_e32 v[175:176], v[175:176], v[183:184]
	v_add_f64_e32 v[177:178], v[179:180], v[177:178]
	v_fma_f64 v[183:184], v[8:9], v[14:15], v[185:186]
	v_fma_f64 v[185:186], v[6:7], v[14:15], -v[16:17]
	ds_load_b128 v[6:9], v1 offset:1376
	scratch_load_b128 v[14:17], off, off offset:528
	s_wait_loadcnt_dscnt 0x901
	v_mul_f64_e32 v[179:180], v[2:3], v[20:21]
	v_mul_f64_e32 v[20:21], v[4:5], v[20:21]
	v_add_f64_e32 v[175:176], v[175:176], v[187:188]
	v_add_f64_e32 v[177:178], v[177:178], v[181:182]
	s_wait_loadcnt_dscnt 0x800
	v_mul_f64_e32 v[181:182], v[6:7], v[24:25]
	v_mul_f64_e32 v[24:25], v[8:9], v[24:25]
	v_fma_f64 v[179:180], v[4:5], v[18:19], v[179:180]
	v_fma_f64 v[187:188], v[2:3], v[18:19], -v[20:21]
	ds_load_b128 v[2:5], v1 offset:1392
	scratch_load_b128 v[18:21], off, off offset:544
	v_add_f64_e32 v[175:176], v[175:176], v[185:186]
	v_add_f64_e32 v[177:178], v[177:178], v[183:184]
	v_fma_f64 v[181:182], v[8:9], v[22:23], v[181:182]
	v_fma_f64 v[185:186], v[6:7], v[22:23], -v[24:25]
	ds_load_b128 v[6:9], v1 offset:1408
	s_wait_loadcnt_dscnt 0x801
	v_mul_f64_e32 v[183:184], v[2:3], v[28:29]
	v_mul_f64_e32 v[28:29], v[4:5], v[28:29]
	scratch_load_b128 v[22:25], off, off offset:560
	v_add_f64_e32 v[175:176], v[175:176], v[187:188]
	v_add_f64_e32 v[177:178], v[177:178], v[179:180]
	s_wait_loadcnt_dscnt 0x800
	v_mul_f64_e32 v[179:180], v[6:7], v[32:33]
	v_mul_f64_e32 v[32:33], v[8:9], v[32:33]
	v_fma_f64 v[183:184], v[4:5], v[26:27], v[183:184]
	v_fma_f64 v[187:188], v[2:3], v[26:27], -v[28:29]
	ds_load_b128 v[2:5], v1 offset:1424
	scratch_load_b128 v[26:29], off, off offset:576
	v_add_f64_e32 v[175:176], v[175:176], v[185:186]
	v_add_f64_e32 v[177:178], v[177:178], v[181:182]
	v_fma_f64 v[179:180], v[8:9], v[30:31], v[179:180]
	v_fma_f64 v[185:186], v[6:7], v[30:31], -v[32:33]
	ds_load_b128 v[6:9], v1 offset:1440
	s_wait_loadcnt_dscnt 0x801
	v_mul_f64_e32 v[181:182], v[2:3], v[36:37]
	v_mul_f64_e32 v[36:37], v[4:5], v[36:37]
	scratch_load_b128 v[30:33], off, off offset:592
	v_add_f64_e32 v[175:176], v[175:176], v[187:188]
	v_add_f64_e32 v[177:178], v[177:178], v[183:184]
	s_wait_loadcnt_dscnt 0x800
	v_mul_f64_e32 v[183:184], v[6:7], v[173:174]
	v_mul_f64_e32 v[173:174], v[8:9], v[173:174]
	v_fma_f64 v[181:182], v[4:5], v[34:35], v[181:182]
	v_fma_f64 v[187:188], v[2:3], v[34:35], -v[36:37]
	ds_load_b128 v[2:5], v1 offset:1456
	scratch_load_b128 v[34:37], off, off offset:608
	v_add_f64_e32 v[175:176], v[175:176], v[185:186]
	v_add_f64_e32 v[177:178], v[177:178], v[179:180]
	v_fma_f64 v[183:184], v[8:9], v[171:172], v[183:184]
	v_fma_f64 v[185:186], v[6:7], v[171:172], -v[173:174]
	ds_load_b128 v[6:9], v1 offset:1472
	scratch_load_b128 v[171:174], off, off offset:624
	s_wait_loadcnt_dscnt 0x901
	v_mul_f64_e32 v[179:180], v[2:3], v[40:41]
	v_mul_f64_e32 v[40:41], v[4:5], v[40:41]
	v_add_f64_e32 v[175:176], v[175:176], v[187:188]
	v_add_f64_e32 v[177:178], v[177:178], v[181:182]
	s_wait_loadcnt_dscnt 0x800
	v_mul_f64_e32 v[181:182], v[6:7], v[169:170]
	v_mul_f64_e32 v[169:170], v[8:9], v[169:170]
	v_fma_f64 v[179:180], v[4:5], v[38:39], v[179:180]
	v_fma_f64 v[187:188], v[2:3], v[38:39], -v[40:41]
	ds_load_b128 v[2:5], v1 offset:1488
	scratch_load_b128 v[38:41], off, off offset:640
	v_add_f64_e32 v[175:176], v[175:176], v[185:186]
	v_add_f64_e32 v[177:178], v[177:178], v[183:184]
	v_fma_f64 v[181:182], v[8:9], v[167:168], v[181:182]
	v_fma_f64 v[185:186], v[6:7], v[167:168], -v[169:170]
	ds_load_b128 v[6:9], v1 offset:1504
	s_wait_loadcnt_dscnt 0x801
	v_mul_f64_e32 v[183:184], v[2:3], v[12:13]
	v_mul_f64_e32 v[12:13], v[4:5], v[12:13]
	scratch_load_b128 v[167:170], off, off offset:656
	v_add_f64_e32 v[175:176], v[175:176], v[187:188]
	v_add_f64_e32 v[177:178], v[177:178], v[179:180]
	s_wait_loadcnt_dscnt 0x800
	v_mul_f64_e32 v[179:180], v[6:7], v[16:17]
	v_mul_f64_e32 v[16:17], v[8:9], v[16:17]
	v_fma_f64 v[183:184], v[4:5], v[10:11], v[183:184]
	v_fma_f64 v[187:188], v[2:3], v[10:11], -v[12:13]
	ds_load_b128 v[2:5], v1 offset:1520
	scratch_load_b128 v[10:13], off, off offset:672
	v_add_f64_e32 v[175:176], v[175:176], v[185:186]
	v_add_f64_e32 v[177:178], v[177:178], v[181:182]
	v_fma_f64 v[179:180], v[8:9], v[14:15], v[179:180]
	v_fma_f64 v[185:186], v[6:7], v[14:15], -v[16:17]
	ds_load_b128 v[6:9], v1 offset:1536
	s_wait_loadcnt_dscnt 0x801
	v_mul_f64_e32 v[181:182], v[2:3], v[20:21]
	v_mul_f64_e32 v[20:21], v[4:5], v[20:21]
	scratch_load_b128 v[14:17], off, off offset:688
	;; [unrolled: 18-line block ×11, first 2 shown]
	v_add_f64_e32 v[175:176], v[175:176], v[187:188]
	v_add_f64_e32 v[177:178], v[177:178], v[183:184]
	s_wait_loadcnt_dscnt 0x800
	v_mul_f64_e32 v[183:184], v[6:7], v[16:17]
	v_mul_f64_e32 v[16:17], v[8:9], v[16:17]
	v_fma_f64 v[181:182], v[4:5], v[10:11], v[181:182]
	v_fma_f64 v[187:188], v[2:3], v[10:11], -v[12:13]
	ds_load_b128 v[2:5], v1 offset:1840
	scratch_load_b128 v[10:13], off, off offset:992
	v_add_f64_e32 v[175:176], v[175:176], v[185:186]
	v_add_f64_e32 v[177:178], v[177:178], v[179:180]
	v_fma_f64 v[183:184], v[8:9], v[14:15], v[183:184]
	v_fma_f64 v[14:15], v[6:7], v[14:15], -v[16:17]
	ds_load_b128 v[6:9], v1 offset:1856
	s_wait_loadcnt_dscnt 0x801
	v_mul_f64_e32 v[179:180], v[2:3], v[20:21]
	v_mul_f64_e32 v[20:21], v[4:5], v[20:21]
	v_add_f64_e32 v[16:17], v[175:176], v[187:188]
	v_add_f64_e32 v[175:176], v[177:178], v[181:182]
	s_wait_loadcnt_dscnt 0x700
	v_mul_f64_e32 v[177:178], v[6:7], v[24:25]
	v_mul_f64_e32 v[24:25], v[8:9], v[24:25]
	v_fma_f64 v[179:180], v[4:5], v[18:19], v[179:180]
	v_fma_f64 v[18:19], v[2:3], v[18:19], -v[20:21]
	ds_load_b128 v[2:5], v1 offset:1872
	v_add_f64_e32 v[14:15], v[16:17], v[14:15]
	v_add_f64_e32 v[16:17], v[175:176], v[183:184]
	v_fma_f64 v[175:176], v[8:9], v[22:23], v[177:178]
	v_fma_f64 v[22:23], v[6:7], v[22:23], -v[24:25]
	ds_load_b128 v[6:9], v1 offset:1888
	s_wait_loadcnt_dscnt 0x500
	v_mul_f64_e32 v[177:178], v[6:7], v[32:33]
	v_mul_f64_e32 v[32:33], v[8:9], v[32:33]
	v_add_f64_e32 v[18:19], v[14:15], v[18:19]
	v_add_f64_e32 v[24:25], v[16:17], v[179:180]
	scratch_load_b128 v[14:17], off, off offset:304
	v_mul_f64_e32 v[20:21], v[2:3], v[28:29]
	v_mul_f64_e32 v[28:29], v[4:5], v[28:29]
	v_add_f64_e32 v[18:19], v[18:19], v[22:23]
	v_add_f64_e32 v[22:23], v[24:25], v[175:176]
	s_delay_alu instid0(VALU_DEP_4) | instskip(NEXT) | instid1(VALU_DEP_4)
	v_fma_f64 v[20:21], v[4:5], v[26:27], v[20:21]
	v_fma_f64 v[26:27], v[2:3], v[26:27], -v[28:29]
	ds_load_b128 v[2:5], v1 offset:1904
	s_wait_loadcnt_dscnt 0x500
	v_mul_f64_e32 v[24:25], v[2:3], v[36:37]
	v_mul_f64_e32 v[28:29], v[4:5], v[36:37]
	v_fma_f64 v[36:37], v[8:9], v[30:31], v[177:178]
	v_fma_f64 v[30:31], v[6:7], v[30:31], -v[32:33]
	ds_load_b128 v[6:9], v1 offset:1920
	v_add_f64_e32 v[20:21], v[22:23], v[20:21]
	v_add_f64_e32 v[18:19], v[18:19], v[26:27]
	v_fma_f64 v[24:25], v[4:5], v[34:35], v[24:25]
	v_fma_f64 v[28:29], v[2:3], v[34:35], -v[28:29]
	ds_load_b128 v[2:5], v1 offset:1936
	s_wait_loadcnt_dscnt 0x401
	v_mul_f64_e32 v[22:23], v[6:7], v[173:174]
	v_mul_f64_e32 v[26:27], v[8:9], v[173:174]
	v_add_f64_e32 v[20:21], v[20:21], v[36:37]
	v_add_f64_e32 v[18:19], v[18:19], v[30:31]
	s_wait_loadcnt_dscnt 0x300
	v_mul_f64_e32 v[30:31], v[2:3], v[40:41]
	v_mul_f64_e32 v[32:33], v[4:5], v[40:41]
	v_fma_f64 v[22:23], v[8:9], v[171:172], v[22:23]
	v_fma_f64 v[26:27], v[6:7], v[171:172], -v[26:27]
	ds_load_b128 v[6:9], v1 offset:1952
	v_add_f64_e32 v[20:21], v[20:21], v[24:25]
	v_add_f64_e32 v[18:19], v[18:19], v[28:29]
	v_fma_f64 v[30:31], v[4:5], v[38:39], v[30:31]
	v_fma_f64 v[32:33], v[2:3], v[38:39], -v[32:33]
	ds_load_b128 v[2:5], v1 offset:1968
	s_wait_loadcnt_dscnt 0x201
	v_mul_f64_e32 v[24:25], v[6:7], v[169:170]
	v_mul_f64_e32 v[28:29], v[8:9], v[169:170]
	v_add_f64_e32 v[20:21], v[20:21], v[22:23]
	v_add_f64_e32 v[18:19], v[18:19], v[26:27]
	s_wait_loadcnt_dscnt 0x100
	v_mul_f64_e32 v[22:23], v[2:3], v[12:13]
	v_mul_f64_e32 v[12:13], v[4:5], v[12:13]
	v_fma_f64 v[8:9], v[8:9], v[167:168], v[24:25]
	v_fma_f64 v[6:7], v[6:7], v[167:168], -v[28:29]
	v_add_f64_e32 v[20:21], v[20:21], v[30:31]
	v_add_f64_e32 v[18:19], v[18:19], v[32:33]
	v_fma_f64 v[4:5], v[4:5], v[10:11], v[22:23]
	v_fma_f64 v[2:3], v[2:3], v[10:11], -v[12:13]
	s_delay_alu instid0(VALU_DEP_4) | instskip(NEXT) | instid1(VALU_DEP_4)
	v_add_f64_e32 v[8:9], v[20:21], v[8:9]
	v_add_f64_e32 v[6:7], v[18:19], v[6:7]
	s_delay_alu instid0(VALU_DEP_2) | instskip(NEXT) | instid1(VALU_DEP_2)
	v_add_f64_e32 v[4:5], v[8:9], v[4:5]
	v_add_f64_e32 v[2:3], v[6:7], v[2:3]
	s_wait_loadcnt 0x0
	s_delay_alu instid0(VALU_DEP_2) | instskip(NEXT) | instid1(VALU_DEP_2)
	v_add_f64_e64 v[4:5], v[16:17], -v[4:5]
	v_add_f64_e64 v[2:3], v[14:15], -v[2:3]
	scratch_store_b128 off, v[2:5], off offset:304
	v_cmpx_lt_u32_e32 17, v0
	s_cbranch_execz .LBB61_363
; %bb.362:
	scratch_load_b128 v[5:8], off, s56
	v_dual_mov_b32 v2, v1 :: v_dual_mov_b32 v3, v1
	v_mov_b32_e32 v4, v1
	scratch_store_b128 off, v[1:4], off offset:288
	s_wait_loadcnt 0x0
	ds_store_b128 v166, v[5:8]
.LBB61_363:
	s_wait_alu 0xfffe
	s_or_b32 exec_lo, exec_lo, s0
	s_wait_storecnt_dscnt 0x0
	s_barrier_signal -1
	s_barrier_wait -1
	global_inv scope:SCOPE_SE
	s_clause 0x7
	scratch_load_b128 v[2:5], off, off offset:304
	scratch_load_b128 v[6:9], off, off offset:320
	;; [unrolled: 1-line block ×8, first 2 shown]
	ds_load_b128 v[38:41], v1 offset:1280
	ds_load_b128 v[167:170], v1 offset:1296
	s_clause 0x1
	scratch_load_b128 v[34:37], off, off offset:432
	scratch_load_b128 v[171:174], off, off offset:448
	s_mov_b32 s0, exec_lo
	s_wait_loadcnt_dscnt 0x901
	v_mul_f64_e32 v[175:176], v[40:41], v[4:5]
	v_mul_f64_e32 v[4:5], v[38:39], v[4:5]
	s_wait_loadcnt_dscnt 0x800
	v_mul_f64_e32 v[177:178], v[167:168], v[8:9]
	v_mul_f64_e32 v[8:9], v[169:170], v[8:9]
	s_delay_alu instid0(VALU_DEP_4) | instskip(NEXT) | instid1(VALU_DEP_4)
	v_fma_f64 v[175:176], v[38:39], v[2:3], -v[175:176]
	v_fma_f64 v[179:180], v[40:41], v[2:3], v[4:5]
	ds_load_b128 v[2:5], v1 offset:1312
	scratch_load_b128 v[38:41], off, off offset:464
	v_fma_f64 v[177:178], v[169:170], v[6:7], v[177:178]
	v_fma_f64 v[183:184], v[167:168], v[6:7], -v[8:9]
	ds_load_b128 v[6:9], v1 offset:1328
	scratch_load_b128 v[167:170], off, off offset:480
	s_wait_loadcnt_dscnt 0x901
	v_mul_f64_e32 v[181:182], v[2:3], v[12:13]
	v_mul_f64_e32 v[12:13], v[4:5], v[12:13]
	s_wait_loadcnt_dscnt 0x800
	v_mul_f64_e32 v[185:186], v[6:7], v[16:17]
	v_mul_f64_e32 v[16:17], v[8:9], v[16:17]
	v_add_f64_e32 v[175:176], 0, v[175:176]
	v_add_f64_e32 v[179:180], 0, v[179:180]
	v_fma_f64 v[181:182], v[4:5], v[10:11], v[181:182]
	v_fma_f64 v[187:188], v[2:3], v[10:11], -v[12:13]
	ds_load_b128 v[2:5], v1 offset:1344
	scratch_load_b128 v[10:13], off, off offset:496
	v_add_f64_e32 v[175:176], v[175:176], v[183:184]
	v_add_f64_e32 v[177:178], v[179:180], v[177:178]
	v_fma_f64 v[183:184], v[8:9], v[14:15], v[185:186]
	v_fma_f64 v[185:186], v[6:7], v[14:15], -v[16:17]
	ds_load_b128 v[6:9], v1 offset:1360
	scratch_load_b128 v[14:17], off, off offset:512
	s_wait_loadcnt_dscnt 0x901
	v_mul_f64_e32 v[179:180], v[2:3], v[20:21]
	v_mul_f64_e32 v[20:21], v[4:5], v[20:21]
	v_add_f64_e32 v[175:176], v[175:176], v[187:188]
	v_add_f64_e32 v[177:178], v[177:178], v[181:182]
	s_wait_loadcnt_dscnt 0x800
	v_mul_f64_e32 v[181:182], v[6:7], v[24:25]
	v_mul_f64_e32 v[24:25], v[8:9], v[24:25]
	v_fma_f64 v[179:180], v[4:5], v[18:19], v[179:180]
	v_fma_f64 v[187:188], v[2:3], v[18:19], -v[20:21]
	ds_load_b128 v[2:5], v1 offset:1376
	scratch_load_b128 v[18:21], off, off offset:528
	v_add_f64_e32 v[175:176], v[175:176], v[185:186]
	v_add_f64_e32 v[177:178], v[177:178], v[183:184]
	v_fma_f64 v[181:182], v[8:9], v[22:23], v[181:182]
	v_fma_f64 v[185:186], v[6:7], v[22:23], -v[24:25]
	ds_load_b128 v[6:9], v1 offset:1392
	s_wait_loadcnt_dscnt 0x801
	v_mul_f64_e32 v[183:184], v[2:3], v[28:29]
	v_mul_f64_e32 v[28:29], v[4:5], v[28:29]
	scratch_load_b128 v[22:25], off, off offset:544
	v_add_f64_e32 v[175:176], v[175:176], v[187:188]
	v_add_f64_e32 v[177:178], v[177:178], v[179:180]
	s_wait_loadcnt_dscnt 0x800
	v_mul_f64_e32 v[179:180], v[6:7], v[32:33]
	v_mul_f64_e32 v[32:33], v[8:9], v[32:33]
	v_fma_f64 v[183:184], v[4:5], v[26:27], v[183:184]
	v_fma_f64 v[187:188], v[2:3], v[26:27], -v[28:29]
	ds_load_b128 v[2:5], v1 offset:1408
	scratch_load_b128 v[26:29], off, off offset:560
	v_add_f64_e32 v[175:176], v[175:176], v[185:186]
	v_add_f64_e32 v[177:178], v[177:178], v[181:182]
	v_fma_f64 v[179:180], v[8:9], v[30:31], v[179:180]
	v_fma_f64 v[185:186], v[6:7], v[30:31], -v[32:33]
	ds_load_b128 v[6:9], v1 offset:1424
	s_wait_loadcnt_dscnt 0x801
	v_mul_f64_e32 v[181:182], v[2:3], v[36:37]
	v_mul_f64_e32 v[36:37], v[4:5], v[36:37]
	scratch_load_b128 v[30:33], off, off offset:576
	v_add_f64_e32 v[175:176], v[175:176], v[187:188]
	v_add_f64_e32 v[177:178], v[177:178], v[183:184]
	s_wait_loadcnt_dscnt 0x800
	v_mul_f64_e32 v[183:184], v[6:7], v[173:174]
	v_mul_f64_e32 v[173:174], v[8:9], v[173:174]
	v_fma_f64 v[181:182], v[4:5], v[34:35], v[181:182]
	v_fma_f64 v[187:188], v[2:3], v[34:35], -v[36:37]
	ds_load_b128 v[2:5], v1 offset:1440
	scratch_load_b128 v[34:37], off, off offset:592
	v_add_f64_e32 v[175:176], v[175:176], v[185:186]
	v_add_f64_e32 v[177:178], v[177:178], v[179:180]
	v_fma_f64 v[183:184], v[8:9], v[171:172], v[183:184]
	v_fma_f64 v[185:186], v[6:7], v[171:172], -v[173:174]
	ds_load_b128 v[6:9], v1 offset:1456
	scratch_load_b128 v[171:174], off, off offset:608
	s_wait_loadcnt_dscnt 0x901
	v_mul_f64_e32 v[179:180], v[2:3], v[40:41]
	v_mul_f64_e32 v[40:41], v[4:5], v[40:41]
	v_add_f64_e32 v[175:176], v[175:176], v[187:188]
	v_add_f64_e32 v[177:178], v[177:178], v[181:182]
	s_wait_loadcnt_dscnt 0x800
	v_mul_f64_e32 v[181:182], v[6:7], v[169:170]
	v_mul_f64_e32 v[169:170], v[8:9], v[169:170]
	v_fma_f64 v[179:180], v[4:5], v[38:39], v[179:180]
	v_fma_f64 v[187:188], v[2:3], v[38:39], -v[40:41]
	ds_load_b128 v[2:5], v1 offset:1472
	scratch_load_b128 v[38:41], off, off offset:624
	v_add_f64_e32 v[175:176], v[175:176], v[185:186]
	v_add_f64_e32 v[177:178], v[177:178], v[183:184]
	v_fma_f64 v[181:182], v[8:9], v[167:168], v[181:182]
	v_fma_f64 v[185:186], v[6:7], v[167:168], -v[169:170]
	ds_load_b128 v[6:9], v1 offset:1488
	s_wait_loadcnt_dscnt 0x801
	v_mul_f64_e32 v[183:184], v[2:3], v[12:13]
	v_mul_f64_e32 v[12:13], v[4:5], v[12:13]
	scratch_load_b128 v[167:170], off, off offset:640
	v_add_f64_e32 v[175:176], v[175:176], v[187:188]
	v_add_f64_e32 v[177:178], v[177:178], v[179:180]
	s_wait_loadcnt_dscnt 0x800
	v_mul_f64_e32 v[179:180], v[6:7], v[16:17]
	v_mul_f64_e32 v[16:17], v[8:9], v[16:17]
	v_fma_f64 v[183:184], v[4:5], v[10:11], v[183:184]
	v_fma_f64 v[187:188], v[2:3], v[10:11], -v[12:13]
	ds_load_b128 v[2:5], v1 offset:1504
	scratch_load_b128 v[10:13], off, off offset:656
	v_add_f64_e32 v[175:176], v[175:176], v[185:186]
	v_add_f64_e32 v[177:178], v[177:178], v[181:182]
	v_fma_f64 v[179:180], v[8:9], v[14:15], v[179:180]
	v_fma_f64 v[185:186], v[6:7], v[14:15], -v[16:17]
	ds_load_b128 v[6:9], v1 offset:1520
	s_wait_loadcnt_dscnt 0x801
	v_mul_f64_e32 v[181:182], v[2:3], v[20:21]
	v_mul_f64_e32 v[20:21], v[4:5], v[20:21]
	scratch_load_b128 v[14:17], off, off offset:672
	;; [unrolled: 18-line block ×12, first 2 shown]
	v_add_f64_e32 v[175:176], v[175:176], v[187:188]
	v_add_f64_e32 v[177:178], v[177:178], v[181:182]
	s_wait_loadcnt_dscnt 0x800
	v_mul_f64_e32 v[181:182], v[6:7], v[24:25]
	v_mul_f64_e32 v[24:25], v[8:9], v[24:25]
	v_fma_f64 v[179:180], v[4:5], v[18:19], v[179:180]
	v_fma_f64 v[18:19], v[2:3], v[18:19], -v[20:21]
	ds_load_b128 v[2:5], v1 offset:1856
	v_add_f64_e32 v[20:21], v[175:176], v[185:186]
	v_add_f64_e32 v[175:176], v[177:178], v[183:184]
	v_fma_f64 v[181:182], v[8:9], v[22:23], v[181:182]
	v_fma_f64 v[22:23], v[6:7], v[22:23], -v[24:25]
	ds_load_b128 v[6:9], v1 offset:1872
	s_wait_loadcnt_dscnt 0x701
	v_mul_f64_e32 v[177:178], v[2:3], v[28:29]
	v_mul_f64_e32 v[28:29], v[4:5], v[28:29]
	v_add_f64_e32 v[18:19], v[20:21], v[18:19]
	v_add_f64_e32 v[20:21], v[175:176], v[179:180]
	s_delay_alu instid0(VALU_DEP_4) | instskip(NEXT) | instid1(VALU_DEP_4)
	v_fma_f64 v[175:176], v[4:5], v[26:27], v[177:178]
	v_fma_f64 v[26:27], v[2:3], v[26:27], -v[28:29]
	ds_load_b128 v[2:5], v1 offset:1888
	v_add_f64_e32 v[22:23], v[18:19], v[22:23]
	v_add_f64_e32 v[28:29], v[20:21], v[181:182]
	scratch_load_b128 v[18:21], off, off offset:288
	s_wait_loadcnt_dscnt 0x701
	v_mul_f64_e32 v[24:25], v[6:7], v[32:33]
	v_mul_f64_e32 v[32:33], v[8:9], v[32:33]
	v_add_f64_e32 v[22:23], v[22:23], v[26:27]
	v_add_f64_e32 v[26:27], v[28:29], v[175:176]
	s_delay_alu instid0(VALU_DEP_4) | instskip(NEXT) | instid1(VALU_DEP_4)
	v_fma_f64 v[24:25], v[8:9], v[30:31], v[24:25]
	v_fma_f64 v[30:31], v[6:7], v[30:31], -v[32:33]
	ds_load_b128 v[6:9], v1 offset:1904
	s_wait_loadcnt_dscnt 0x601
	v_mul_f64_e32 v[177:178], v[2:3], v[36:37]
	v_mul_f64_e32 v[36:37], v[4:5], v[36:37]
	s_wait_loadcnt_dscnt 0x500
	v_mul_f64_e32 v[28:29], v[6:7], v[173:174]
	v_mul_f64_e32 v[32:33], v[8:9], v[173:174]
	v_add_f64_e32 v[24:25], v[26:27], v[24:25]
	v_add_f64_e32 v[22:23], v[22:23], v[30:31]
	v_fma_f64 v[173:174], v[4:5], v[34:35], v[177:178]
	v_fma_f64 v[34:35], v[2:3], v[34:35], -v[36:37]
	ds_load_b128 v[2:5], v1 offset:1920
	v_fma_f64 v[28:29], v[8:9], v[171:172], v[28:29]
	v_fma_f64 v[32:33], v[6:7], v[171:172], -v[32:33]
	ds_load_b128 v[6:9], v1 offset:1936
	s_wait_loadcnt_dscnt 0x401
	v_mul_f64_e32 v[26:27], v[2:3], v[40:41]
	v_mul_f64_e32 v[30:31], v[4:5], v[40:41]
	v_add_f64_e32 v[24:25], v[24:25], v[173:174]
	v_add_f64_e32 v[22:23], v[22:23], v[34:35]
	s_wait_loadcnt_dscnt 0x300
	v_mul_f64_e32 v[34:35], v[6:7], v[169:170]
	v_mul_f64_e32 v[36:37], v[8:9], v[169:170]
	v_fma_f64 v[26:27], v[4:5], v[38:39], v[26:27]
	v_fma_f64 v[30:31], v[2:3], v[38:39], -v[30:31]
	ds_load_b128 v[2:5], v1 offset:1952
	v_add_f64_e32 v[24:25], v[24:25], v[28:29]
	v_add_f64_e32 v[22:23], v[22:23], v[32:33]
	v_fma_f64 v[32:33], v[8:9], v[167:168], v[34:35]
	v_fma_f64 v[34:35], v[6:7], v[167:168], -v[36:37]
	ds_load_b128 v[6:9], v1 offset:1968
	s_wait_loadcnt_dscnt 0x201
	v_mul_f64_e32 v[28:29], v[2:3], v[12:13]
	v_mul_f64_e32 v[12:13], v[4:5], v[12:13]
	v_add_f64_e32 v[24:25], v[24:25], v[26:27]
	v_add_f64_e32 v[22:23], v[22:23], v[30:31]
	s_wait_loadcnt_dscnt 0x100
	v_mul_f64_e32 v[26:27], v[6:7], v[16:17]
	v_mul_f64_e32 v[16:17], v[8:9], v[16:17]
	v_fma_f64 v[4:5], v[4:5], v[10:11], v[28:29]
	v_fma_f64 v[1:2], v[2:3], v[10:11], -v[12:13]
	v_add_f64_e32 v[12:13], v[24:25], v[32:33]
	v_add_f64_e32 v[10:11], v[22:23], v[34:35]
	v_fma_f64 v[8:9], v[8:9], v[14:15], v[26:27]
	v_fma_f64 v[6:7], v[6:7], v[14:15], -v[16:17]
	s_delay_alu instid0(VALU_DEP_4) | instskip(NEXT) | instid1(VALU_DEP_4)
	v_add_f64_e32 v[3:4], v[12:13], v[4:5]
	v_add_f64_e32 v[1:2], v[10:11], v[1:2]
	s_delay_alu instid0(VALU_DEP_2) | instskip(NEXT) | instid1(VALU_DEP_2)
	v_add_f64_e32 v[3:4], v[3:4], v[8:9]
	v_add_f64_e32 v[1:2], v[1:2], v[6:7]
	s_wait_loadcnt 0x0
	s_delay_alu instid0(VALU_DEP_2) | instskip(NEXT) | instid1(VALU_DEP_2)
	v_add_f64_e64 v[3:4], v[20:21], -v[3:4]
	v_add_f64_e64 v[1:2], v[18:19], -v[1:2]
	scratch_store_b128 off, v[1:4], off offset:288
	v_cmpx_lt_u32_e32 16, v0
	s_cbranch_execz .LBB61_365
; %bb.364:
	scratch_load_b128 v[1:4], off, s55
	v_mov_b32_e32 v5, 0
	s_delay_alu instid0(VALU_DEP_1)
	v_dual_mov_b32 v6, v5 :: v_dual_mov_b32 v7, v5
	v_mov_b32_e32 v8, v5
	scratch_store_b128 off, v[5:8], off offset:272
	s_wait_loadcnt 0x0
	ds_store_b128 v166, v[1:4]
.LBB61_365:
	s_wait_alu 0xfffe
	s_or_b32 exec_lo, exec_lo, s0
	s_wait_storecnt_dscnt 0x0
	s_barrier_signal -1
	s_barrier_wait -1
	global_inv scope:SCOPE_SE
	s_clause 0x7
	scratch_load_b128 v[2:5], off, off offset:288
	scratch_load_b128 v[6:9], off, off offset:304
	;; [unrolled: 1-line block ×8, first 2 shown]
	v_mov_b32_e32 v1, 0
	s_clause 0x1
	scratch_load_b128 v[34:37], off, off offset:416
	scratch_load_b128 v[171:174], off, off offset:432
	s_mov_b32 s0, exec_lo
	ds_load_b128 v[38:41], v1 offset:1264
	ds_load_b128 v[167:170], v1 offset:1280
	s_wait_loadcnt_dscnt 0x901
	v_mul_f64_e32 v[175:176], v[40:41], v[4:5]
	v_mul_f64_e32 v[4:5], v[38:39], v[4:5]
	s_wait_loadcnt_dscnt 0x800
	v_mul_f64_e32 v[177:178], v[167:168], v[8:9]
	v_mul_f64_e32 v[8:9], v[169:170], v[8:9]
	s_delay_alu instid0(VALU_DEP_4) | instskip(NEXT) | instid1(VALU_DEP_4)
	v_fma_f64 v[175:176], v[38:39], v[2:3], -v[175:176]
	v_fma_f64 v[179:180], v[40:41], v[2:3], v[4:5]
	ds_load_b128 v[2:5], v1 offset:1296
	scratch_load_b128 v[38:41], off, off offset:448
	v_fma_f64 v[177:178], v[169:170], v[6:7], v[177:178]
	v_fma_f64 v[183:184], v[167:168], v[6:7], -v[8:9]
	ds_load_b128 v[6:9], v1 offset:1312
	scratch_load_b128 v[167:170], off, off offset:464
	s_wait_loadcnt_dscnt 0x901
	v_mul_f64_e32 v[181:182], v[2:3], v[12:13]
	v_mul_f64_e32 v[12:13], v[4:5], v[12:13]
	s_wait_loadcnt_dscnt 0x800
	v_mul_f64_e32 v[185:186], v[6:7], v[16:17]
	v_mul_f64_e32 v[16:17], v[8:9], v[16:17]
	v_add_f64_e32 v[175:176], 0, v[175:176]
	v_add_f64_e32 v[179:180], 0, v[179:180]
	v_fma_f64 v[181:182], v[4:5], v[10:11], v[181:182]
	v_fma_f64 v[187:188], v[2:3], v[10:11], -v[12:13]
	ds_load_b128 v[2:5], v1 offset:1328
	scratch_load_b128 v[10:13], off, off offset:480
	v_add_f64_e32 v[175:176], v[175:176], v[183:184]
	v_add_f64_e32 v[177:178], v[179:180], v[177:178]
	v_fma_f64 v[183:184], v[8:9], v[14:15], v[185:186]
	v_fma_f64 v[185:186], v[6:7], v[14:15], -v[16:17]
	ds_load_b128 v[6:9], v1 offset:1344
	scratch_load_b128 v[14:17], off, off offset:496
	s_wait_loadcnt_dscnt 0x901
	v_mul_f64_e32 v[179:180], v[2:3], v[20:21]
	v_mul_f64_e32 v[20:21], v[4:5], v[20:21]
	v_add_f64_e32 v[175:176], v[175:176], v[187:188]
	v_add_f64_e32 v[177:178], v[177:178], v[181:182]
	s_wait_loadcnt_dscnt 0x800
	v_mul_f64_e32 v[181:182], v[6:7], v[24:25]
	v_mul_f64_e32 v[24:25], v[8:9], v[24:25]
	v_fma_f64 v[179:180], v[4:5], v[18:19], v[179:180]
	v_fma_f64 v[187:188], v[2:3], v[18:19], -v[20:21]
	ds_load_b128 v[2:5], v1 offset:1360
	scratch_load_b128 v[18:21], off, off offset:512
	v_add_f64_e32 v[175:176], v[175:176], v[185:186]
	v_add_f64_e32 v[177:178], v[177:178], v[183:184]
	v_fma_f64 v[181:182], v[8:9], v[22:23], v[181:182]
	v_fma_f64 v[185:186], v[6:7], v[22:23], -v[24:25]
	ds_load_b128 v[6:9], v1 offset:1376
	s_wait_loadcnt_dscnt 0x801
	v_mul_f64_e32 v[183:184], v[2:3], v[28:29]
	v_mul_f64_e32 v[28:29], v[4:5], v[28:29]
	scratch_load_b128 v[22:25], off, off offset:528
	v_add_f64_e32 v[175:176], v[175:176], v[187:188]
	v_add_f64_e32 v[177:178], v[177:178], v[179:180]
	s_wait_loadcnt_dscnt 0x800
	v_mul_f64_e32 v[179:180], v[6:7], v[32:33]
	v_mul_f64_e32 v[32:33], v[8:9], v[32:33]
	v_fma_f64 v[183:184], v[4:5], v[26:27], v[183:184]
	v_fma_f64 v[187:188], v[2:3], v[26:27], -v[28:29]
	ds_load_b128 v[2:5], v1 offset:1392
	scratch_load_b128 v[26:29], off, off offset:544
	v_add_f64_e32 v[175:176], v[175:176], v[185:186]
	v_add_f64_e32 v[177:178], v[177:178], v[181:182]
	v_fma_f64 v[179:180], v[8:9], v[30:31], v[179:180]
	v_fma_f64 v[185:186], v[6:7], v[30:31], -v[32:33]
	ds_load_b128 v[6:9], v1 offset:1408
	s_wait_loadcnt_dscnt 0x801
	v_mul_f64_e32 v[181:182], v[2:3], v[36:37]
	v_mul_f64_e32 v[36:37], v[4:5], v[36:37]
	scratch_load_b128 v[30:33], off, off offset:560
	v_add_f64_e32 v[175:176], v[175:176], v[187:188]
	v_add_f64_e32 v[177:178], v[177:178], v[183:184]
	s_wait_loadcnt_dscnt 0x800
	v_mul_f64_e32 v[183:184], v[6:7], v[173:174]
	v_mul_f64_e32 v[173:174], v[8:9], v[173:174]
	v_fma_f64 v[181:182], v[4:5], v[34:35], v[181:182]
	v_fma_f64 v[187:188], v[2:3], v[34:35], -v[36:37]
	ds_load_b128 v[2:5], v1 offset:1424
	scratch_load_b128 v[34:37], off, off offset:576
	v_add_f64_e32 v[175:176], v[175:176], v[185:186]
	v_add_f64_e32 v[177:178], v[177:178], v[179:180]
	v_fma_f64 v[183:184], v[8:9], v[171:172], v[183:184]
	v_fma_f64 v[185:186], v[6:7], v[171:172], -v[173:174]
	ds_load_b128 v[6:9], v1 offset:1440
	scratch_load_b128 v[171:174], off, off offset:592
	s_wait_loadcnt_dscnt 0x901
	v_mul_f64_e32 v[179:180], v[2:3], v[40:41]
	v_mul_f64_e32 v[40:41], v[4:5], v[40:41]
	v_add_f64_e32 v[175:176], v[175:176], v[187:188]
	v_add_f64_e32 v[177:178], v[177:178], v[181:182]
	s_wait_loadcnt_dscnt 0x800
	v_mul_f64_e32 v[181:182], v[6:7], v[169:170]
	v_mul_f64_e32 v[169:170], v[8:9], v[169:170]
	v_fma_f64 v[179:180], v[4:5], v[38:39], v[179:180]
	v_fma_f64 v[187:188], v[2:3], v[38:39], -v[40:41]
	ds_load_b128 v[2:5], v1 offset:1456
	scratch_load_b128 v[38:41], off, off offset:608
	v_add_f64_e32 v[175:176], v[175:176], v[185:186]
	v_add_f64_e32 v[177:178], v[177:178], v[183:184]
	v_fma_f64 v[181:182], v[8:9], v[167:168], v[181:182]
	v_fma_f64 v[185:186], v[6:7], v[167:168], -v[169:170]
	ds_load_b128 v[6:9], v1 offset:1472
	s_wait_loadcnt_dscnt 0x801
	v_mul_f64_e32 v[183:184], v[2:3], v[12:13]
	v_mul_f64_e32 v[12:13], v[4:5], v[12:13]
	scratch_load_b128 v[167:170], off, off offset:624
	v_add_f64_e32 v[175:176], v[175:176], v[187:188]
	v_add_f64_e32 v[177:178], v[177:178], v[179:180]
	s_wait_loadcnt_dscnt 0x800
	v_mul_f64_e32 v[179:180], v[6:7], v[16:17]
	v_mul_f64_e32 v[16:17], v[8:9], v[16:17]
	v_fma_f64 v[183:184], v[4:5], v[10:11], v[183:184]
	v_fma_f64 v[187:188], v[2:3], v[10:11], -v[12:13]
	ds_load_b128 v[2:5], v1 offset:1488
	scratch_load_b128 v[10:13], off, off offset:640
	v_add_f64_e32 v[175:176], v[175:176], v[185:186]
	v_add_f64_e32 v[177:178], v[177:178], v[181:182]
	v_fma_f64 v[179:180], v[8:9], v[14:15], v[179:180]
	v_fma_f64 v[185:186], v[6:7], v[14:15], -v[16:17]
	ds_load_b128 v[6:9], v1 offset:1504
	s_wait_loadcnt_dscnt 0x801
	v_mul_f64_e32 v[181:182], v[2:3], v[20:21]
	v_mul_f64_e32 v[20:21], v[4:5], v[20:21]
	scratch_load_b128 v[14:17], off, off offset:656
	;; [unrolled: 18-line block ×12, first 2 shown]
	v_add_f64_e32 v[175:176], v[175:176], v[187:188]
	v_add_f64_e32 v[177:178], v[177:178], v[181:182]
	s_wait_loadcnt_dscnt 0x800
	v_mul_f64_e32 v[181:182], v[6:7], v[24:25]
	v_mul_f64_e32 v[24:25], v[8:9], v[24:25]
	v_fma_f64 v[179:180], v[4:5], v[18:19], v[179:180]
	v_fma_f64 v[187:188], v[2:3], v[18:19], -v[20:21]
	ds_load_b128 v[2:5], v1 offset:1840
	scratch_load_b128 v[18:21], off, off offset:992
	v_add_f64_e32 v[175:176], v[175:176], v[185:186]
	v_add_f64_e32 v[177:178], v[177:178], v[183:184]
	v_fma_f64 v[181:182], v[8:9], v[22:23], v[181:182]
	v_fma_f64 v[22:23], v[6:7], v[22:23], -v[24:25]
	ds_load_b128 v[6:9], v1 offset:1856
	s_wait_loadcnt_dscnt 0x801
	v_mul_f64_e32 v[183:184], v[2:3], v[28:29]
	v_mul_f64_e32 v[28:29], v[4:5], v[28:29]
	v_add_f64_e32 v[24:25], v[175:176], v[187:188]
	v_add_f64_e32 v[175:176], v[177:178], v[179:180]
	s_wait_loadcnt_dscnt 0x700
	v_mul_f64_e32 v[177:178], v[6:7], v[32:33]
	v_mul_f64_e32 v[32:33], v[8:9], v[32:33]
	v_fma_f64 v[179:180], v[4:5], v[26:27], v[183:184]
	v_fma_f64 v[26:27], v[2:3], v[26:27], -v[28:29]
	ds_load_b128 v[2:5], v1 offset:1872
	v_add_f64_e32 v[22:23], v[24:25], v[22:23]
	v_add_f64_e32 v[24:25], v[175:176], v[181:182]
	v_fma_f64 v[175:176], v[8:9], v[30:31], v[177:178]
	v_fma_f64 v[30:31], v[6:7], v[30:31], -v[32:33]
	ds_load_b128 v[6:9], v1 offset:1888
	s_wait_loadcnt_dscnt 0x500
	v_mul_f64_e32 v[177:178], v[6:7], v[173:174]
	v_mul_f64_e32 v[173:174], v[8:9], v[173:174]
	v_add_f64_e32 v[26:27], v[22:23], v[26:27]
	v_add_f64_e32 v[32:33], v[24:25], v[179:180]
	scratch_load_b128 v[22:25], off, off offset:272
	v_mul_f64_e32 v[28:29], v[2:3], v[36:37]
	v_mul_f64_e32 v[36:37], v[4:5], v[36:37]
	v_add_f64_e32 v[26:27], v[26:27], v[30:31]
	v_add_f64_e32 v[30:31], v[32:33], v[175:176]
	s_delay_alu instid0(VALU_DEP_4) | instskip(NEXT) | instid1(VALU_DEP_4)
	v_fma_f64 v[28:29], v[4:5], v[34:35], v[28:29]
	v_fma_f64 v[34:35], v[2:3], v[34:35], -v[36:37]
	ds_load_b128 v[2:5], v1 offset:1904
	s_wait_loadcnt_dscnt 0x500
	v_mul_f64_e32 v[32:33], v[2:3], v[40:41]
	v_mul_f64_e32 v[36:37], v[4:5], v[40:41]
	v_fma_f64 v[40:41], v[8:9], v[171:172], v[177:178]
	v_fma_f64 v[171:172], v[6:7], v[171:172], -v[173:174]
	ds_load_b128 v[6:9], v1 offset:1920
	v_add_f64_e32 v[28:29], v[30:31], v[28:29]
	v_add_f64_e32 v[26:27], v[26:27], v[34:35]
	v_fma_f64 v[32:33], v[4:5], v[38:39], v[32:33]
	v_fma_f64 v[36:37], v[2:3], v[38:39], -v[36:37]
	ds_load_b128 v[2:5], v1 offset:1936
	s_wait_loadcnt_dscnt 0x401
	v_mul_f64_e32 v[30:31], v[6:7], v[169:170]
	v_mul_f64_e32 v[34:35], v[8:9], v[169:170]
	v_add_f64_e32 v[28:29], v[28:29], v[40:41]
	v_add_f64_e32 v[26:27], v[26:27], v[171:172]
	s_wait_loadcnt_dscnt 0x300
	v_mul_f64_e32 v[38:39], v[2:3], v[12:13]
	v_mul_f64_e32 v[12:13], v[4:5], v[12:13]
	v_fma_f64 v[30:31], v[8:9], v[167:168], v[30:31]
	v_fma_f64 v[34:35], v[6:7], v[167:168], -v[34:35]
	ds_load_b128 v[6:9], v1 offset:1952
	v_add_f64_e32 v[28:29], v[28:29], v[32:33]
	v_add_f64_e32 v[26:27], v[26:27], v[36:37]
	v_fma_f64 v[36:37], v[4:5], v[10:11], v[38:39]
	v_fma_f64 v[10:11], v[2:3], v[10:11], -v[12:13]
	ds_load_b128 v[2:5], v1 offset:1968
	s_wait_loadcnt_dscnt 0x201
	v_mul_f64_e32 v[32:33], v[6:7], v[16:17]
	v_mul_f64_e32 v[16:17], v[8:9], v[16:17]
	v_add_f64_e32 v[12:13], v[26:27], v[34:35]
	v_add_f64_e32 v[26:27], v[28:29], v[30:31]
	s_wait_loadcnt_dscnt 0x100
	v_mul_f64_e32 v[28:29], v[2:3], v[20:21]
	v_mul_f64_e32 v[20:21], v[4:5], v[20:21]
	v_fma_f64 v[8:9], v[8:9], v[14:15], v[32:33]
	v_fma_f64 v[6:7], v[6:7], v[14:15], -v[16:17]
	v_add_f64_e32 v[10:11], v[12:13], v[10:11]
	v_add_f64_e32 v[12:13], v[26:27], v[36:37]
	v_fma_f64 v[4:5], v[4:5], v[18:19], v[28:29]
	v_fma_f64 v[2:3], v[2:3], v[18:19], -v[20:21]
	s_delay_alu instid0(VALU_DEP_4) | instskip(NEXT) | instid1(VALU_DEP_4)
	v_add_f64_e32 v[6:7], v[10:11], v[6:7]
	v_add_f64_e32 v[8:9], v[12:13], v[8:9]
	s_delay_alu instid0(VALU_DEP_2) | instskip(NEXT) | instid1(VALU_DEP_2)
	v_add_f64_e32 v[2:3], v[6:7], v[2:3]
	v_add_f64_e32 v[4:5], v[8:9], v[4:5]
	s_wait_loadcnt 0x0
	s_delay_alu instid0(VALU_DEP_2) | instskip(NEXT) | instid1(VALU_DEP_2)
	v_add_f64_e64 v[2:3], v[22:23], -v[2:3]
	v_add_f64_e64 v[4:5], v[24:25], -v[4:5]
	scratch_store_b128 off, v[2:5], off offset:272
	v_cmpx_lt_u32_e32 15, v0
	s_cbranch_execz .LBB61_367
; %bb.366:
	scratch_load_b128 v[5:8], off, s57
	v_dual_mov_b32 v2, v1 :: v_dual_mov_b32 v3, v1
	v_mov_b32_e32 v4, v1
	scratch_store_b128 off, v[1:4], off offset:256
	s_wait_loadcnt 0x0
	ds_store_b128 v166, v[5:8]
.LBB61_367:
	s_wait_alu 0xfffe
	s_or_b32 exec_lo, exec_lo, s0
	s_wait_storecnt_dscnt 0x0
	s_barrier_signal -1
	s_barrier_wait -1
	global_inv scope:SCOPE_SE
	s_clause 0x7
	scratch_load_b128 v[2:5], off, off offset:272
	scratch_load_b128 v[6:9], off, off offset:288
	;; [unrolled: 1-line block ×8, first 2 shown]
	ds_load_b128 v[38:41], v1 offset:1248
	ds_load_b128 v[167:170], v1 offset:1264
	s_clause 0x1
	scratch_load_b128 v[34:37], off, off offset:400
	scratch_load_b128 v[171:174], off, off offset:416
	s_mov_b32 s0, exec_lo
	s_wait_loadcnt_dscnt 0x901
	v_mul_f64_e32 v[175:176], v[40:41], v[4:5]
	v_mul_f64_e32 v[4:5], v[38:39], v[4:5]
	s_wait_loadcnt_dscnt 0x800
	v_mul_f64_e32 v[177:178], v[167:168], v[8:9]
	v_mul_f64_e32 v[8:9], v[169:170], v[8:9]
	s_delay_alu instid0(VALU_DEP_4) | instskip(NEXT) | instid1(VALU_DEP_4)
	v_fma_f64 v[175:176], v[38:39], v[2:3], -v[175:176]
	v_fma_f64 v[179:180], v[40:41], v[2:3], v[4:5]
	ds_load_b128 v[2:5], v1 offset:1280
	scratch_load_b128 v[38:41], off, off offset:432
	v_fma_f64 v[177:178], v[169:170], v[6:7], v[177:178]
	v_fma_f64 v[183:184], v[167:168], v[6:7], -v[8:9]
	ds_load_b128 v[6:9], v1 offset:1296
	scratch_load_b128 v[167:170], off, off offset:448
	s_wait_loadcnt_dscnt 0x901
	v_mul_f64_e32 v[181:182], v[2:3], v[12:13]
	v_mul_f64_e32 v[12:13], v[4:5], v[12:13]
	s_wait_loadcnt_dscnt 0x800
	v_mul_f64_e32 v[185:186], v[6:7], v[16:17]
	v_mul_f64_e32 v[16:17], v[8:9], v[16:17]
	v_add_f64_e32 v[175:176], 0, v[175:176]
	v_add_f64_e32 v[179:180], 0, v[179:180]
	v_fma_f64 v[181:182], v[4:5], v[10:11], v[181:182]
	v_fma_f64 v[187:188], v[2:3], v[10:11], -v[12:13]
	ds_load_b128 v[2:5], v1 offset:1312
	scratch_load_b128 v[10:13], off, off offset:464
	v_add_f64_e32 v[175:176], v[175:176], v[183:184]
	v_add_f64_e32 v[177:178], v[179:180], v[177:178]
	v_fma_f64 v[183:184], v[8:9], v[14:15], v[185:186]
	v_fma_f64 v[185:186], v[6:7], v[14:15], -v[16:17]
	ds_load_b128 v[6:9], v1 offset:1328
	scratch_load_b128 v[14:17], off, off offset:480
	s_wait_loadcnt_dscnt 0x901
	v_mul_f64_e32 v[179:180], v[2:3], v[20:21]
	v_mul_f64_e32 v[20:21], v[4:5], v[20:21]
	v_add_f64_e32 v[175:176], v[175:176], v[187:188]
	v_add_f64_e32 v[177:178], v[177:178], v[181:182]
	s_wait_loadcnt_dscnt 0x800
	v_mul_f64_e32 v[181:182], v[6:7], v[24:25]
	v_mul_f64_e32 v[24:25], v[8:9], v[24:25]
	v_fma_f64 v[179:180], v[4:5], v[18:19], v[179:180]
	v_fma_f64 v[187:188], v[2:3], v[18:19], -v[20:21]
	ds_load_b128 v[2:5], v1 offset:1344
	scratch_load_b128 v[18:21], off, off offset:496
	v_add_f64_e32 v[175:176], v[175:176], v[185:186]
	v_add_f64_e32 v[177:178], v[177:178], v[183:184]
	v_fma_f64 v[181:182], v[8:9], v[22:23], v[181:182]
	v_fma_f64 v[185:186], v[6:7], v[22:23], -v[24:25]
	ds_load_b128 v[6:9], v1 offset:1360
	s_wait_loadcnt_dscnt 0x801
	v_mul_f64_e32 v[183:184], v[2:3], v[28:29]
	v_mul_f64_e32 v[28:29], v[4:5], v[28:29]
	scratch_load_b128 v[22:25], off, off offset:512
	v_add_f64_e32 v[175:176], v[175:176], v[187:188]
	v_add_f64_e32 v[177:178], v[177:178], v[179:180]
	s_wait_loadcnt_dscnt 0x800
	v_mul_f64_e32 v[179:180], v[6:7], v[32:33]
	v_mul_f64_e32 v[32:33], v[8:9], v[32:33]
	v_fma_f64 v[183:184], v[4:5], v[26:27], v[183:184]
	v_fma_f64 v[187:188], v[2:3], v[26:27], -v[28:29]
	ds_load_b128 v[2:5], v1 offset:1376
	scratch_load_b128 v[26:29], off, off offset:528
	v_add_f64_e32 v[175:176], v[175:176], v[185:186]
	v_add_f64_e32 v[177:178], v[177:178], v[181:182]
	v_fma_f64 v[179:180], v[8:9], v[30:31], v[179:180]
	v_fma_f64 v[185:186], v[6:7], v[30:31], -v[32:33]
	ds_load_b128 v[6:9], v1 offset:1392
	s_wait_loadcnt_dscnt 0x801
	v_mul_f64_e32 v[181:182], v[2:3], v[36:37]
	v_mul_f64_e32 v[36:37], v[4:5], v[36:37]
	scratch_load_b128 v[30:33], off, off offset:544
	v_add_f64_e32 v[175:176], v[175:176], v[187:188]
	v_add_f64_e32 v[177:178], v[177:178], v[183:184]
	s_wait_loadcnt_dscnt 0x800
	v_mul_f64_e32 v[183:184], v[6:7], v[173:174]
	v_mul_f64_e32 v[173:174], v[8:9], v[173:174]
	v_fma_f64 v[181:182], v[4:5], v[34:35], v[181:182]
	v_fma_f64 v[187:188], v[2:3], v[34:35], -v[36:37]
	ds_load_b128 v[2:5], v1 offset:1408
	scratch_load_b128 v[34:37], off, off offset:560
	v_add_f64_e32 v[175:176], v[175:176], v[185:186]
	v_add_f64_e32 v[177:178], v[177:178], v[179:180]
	v_fma_f64 v[183:184], v[8:9], v[171:172], v[183:184]
	v_fma_f64 v[185:186], v[6:7], v[171:172], -v[173:174]
	ds_load_b128 v[6:9], v1 offset:1424
	scratch_load_b128 v[171:174], off, off offset:576
	s_wait_loadcnt_dscnt 0x901
	v_mul_f64_e32 v[179:180], v[2:3], v[40:41]
	v_mul_f64_e32 v[40:41], v[4:5], v[40:41]
	v_add_f64_e32 v[175:176], v[175:176], v[187:188]
	v_add_f64_e32 v[177:178], v[177:178], v[181:182]
	s_wait_loadcnt_dscnt 0x800
	v_mul_f64_e32 v[181:182], v[6:7], v[169:170]
	v_mul_f64_e32 v[169:170], v[8:9], v[169:170]
	v_fma_f64 v[179:180], v[4:5], v[38:39], v[179:180]
	v_fma_f64 v[187:188], v[2:3], v[38:39], -v[40:41]
	ds_load_b128 v[2:5], v1 offset:1440
	scratch_load_b128 v[38:41], off, off offset:592
	v_add_f64_e32 v[175:176], v[175:176], v[185:186]
	v_add_f64_e32 v[177:178], v[177:178], v[183:184]
	v_fma_f64 v[181:182], v[8:9], v[167:168], v[181:182]
	v_fma_f64 v[185:186], v[6:7], v[167:168], -v[169:170]
	ds_load_b128 v[6:9], v1 offset:1456
	s_wait_loadcnt_dscnt 0x801
	v_mul_f64_e32 v[183:184], v[2:3], v[12:13]
	v_mul_f64_e32 v[12:13], v[4:5], v[12:13]
	scratch_load_b128 v[167:170], off, off offset:608
	v_add_f64_e32 v[175:176], v[175:176], v[187:188]
	v_add_f64_e32 v[177:178], v[177:178], v[179:180]
	s_wait_loadcnt_dscnt 0x800
	v_mul_f64_e32 v[179:180], v[6:7], v[16:17]
	v_mul_f64_e32 v[16:17], v[8:9], v[16:17]
	v_fma_f64 v[183:184], v[4:5], v[10:11], v[183:184]
	v_fma_f64 v[187:188], v[2:3], v[10:11], -v[12:13]
	ds_load_b128 v[2:5], v1 offset:1472
	scratch_load_b128 v[10:13], off, off offset:624
	v_add_f64_e32 v[175:176], v[175:176], v[185:186]
	v_add_f64_e32 v[177:178], v[177:178], v[181:182]
	v_fma_f64 v[179:180], v[8:9], v[14:15], v[179:180]
	v_fma_f64 v[185:186], v[6:7], v[14:15], -v[16:17]
	ds_load_b128 v[6:9], v1 offset:1488
	s_wait_loadcnt_dscnt 0x801
	v_mul_f64_e32 v[181:182], v[2:3], v[20:21]
	v_mul_f64_e32 v[20:21], v[4:5], v[20:21]
	scratch_load_b128 v[14:17], off, off offset:640
	v_add_f64_e32 v[175:176], v[175:176], v[187:188]
	v_add_f64_e32 v[177:178], v[177:178], v[183:184]
	s_wait_loadcnt_dscnt 0x800
	v_mul_f64_e32 v[183:184], v[6:7], v[24:25]
	v_mul_f64_e32 v[24:25], v[8:9], v[24:25]
	v_fma_f64 v[181:182], v[4:5], v[18:19], v[181:182]
	v_fma_f64 v[187:188], v[2:3], v[18:19], -v[20:21]
	ds_load_b128 v[2:5], v1 offset:1504
	scratch_load_b128 v[18:21], off, off offset:656
	v_add_f64_e32 v[175:176], v[175:176], v[185:186]
	v_add_f64_e32 v[177:178], v[177:178], v[179:180]
	v_fma_f64 v[183:184], v[8:9], v[22:23], v[183:184]
	v_fma_f64 v[185:186], v[6:7], v[22:23], -v[24:25]
	ds_load_b128 v[6:9], v1 offset:1520
	s_wait_loadcnt_dscnt 0x801
	v_mul_f64_e32 v[179:180], v[2:3], v[28:29]
	v_mul_f64_e32 v[28:29], v[4:5], v[28:29]
	scratch_load_b128 v[22:25], off, off offset:672
	v_add_f64_e32 v[175:176], v[175:176], v[187:188]
	v_add_f64_e32 v[177:178], v[177:178], v[181:182]
	s_wait_loadcnt_dscnt 0x800
	v_mul_f64_e32 v[181:182], v[6:7], v[32:33]
	v_mul_f64_e32 v[32:33], v[8:9], v[32:33]
	v_fma_f64 v[179:180], v[4:5], v[26:27], v[179:180]
	v_fma_f64 v[187:188], v[2:3], v[26:27], -v[28:29]
	ds_load_b128 v[2:5], v1 offset:1536
	scratch_load_b128 v[26:29], off, off offset:688
	v_add_f64_e32 v[175:176], v[175:176], v[185:186]
	v_add_f64_e32 v[177:178], v[177:178], v[183:184]
	v_fma_f64 v[181:182], v[8:9], v[30:31], v[181:182]
	v_fma_f64 v[185:186], v[6:7], v[30:31], -v[32:33]
	ds_load_b128 v[6:9], v1 offset:1552
	s_wait_loadcnt_dscnt 0x801
	v_mul_f64_e32 v[183:184], v[2:3], v[36:37]
	v_mul_f64_e32 v[36:37], v[4:5], v[36:37]
	scratch_load_b128 v[30:33], off, off offset:704
	v_add_f64_e32 v[175:176], v[175:176], v[187:188]
	v_add_f64_e32 v[177:178], v[177:178], v[179:180]
	s_wait_loadcnt_dscnt 0x800
	v_mul_f64_e32 v[179:180], v[6:7], v[173:174]
	v_mul_f64_e32 v[173:174], v[8:9], v[173:174]
	v_fma_f64 v[183:184], v[4:5], v[34:35], v[183:184]
	v_fma_f64 v[187:188], v[2:3], v[34:35], -v[36:37]
	ds_load_b128 v[2:5], v1 offset:1568
	scratch_load_b128 v[34:37], off, off offset:720
	v_add_f64_e32 v[175:176], v[175:176], v[185:186]
	v_add_f64_e32 v[177:178], v[177:178], v[181:182]
	v_fma_f64 v[179:180], v[8:9], v[171:172], v[179:180]
	v_fma_f64 v[185:186], v[6:7], v[171:172], -v[173:174]
	ds_load_b128 v[6:9], v1 offset:1584
	s_wait_loadcnt_dscnt 0x801
	v_mul_f64_e32 v[181:182], v[2:3], v[40:41]
	v_mul_f64_e32 v[40:41], v[4:5], v[40:41]
	scratch_load_b128 v[171:174], off, off offset:736
	v_add_f64_e32 v[175:176], v[175:176], v[187:188]
	v_add_f64_e32 v[177:178], v[177:178], v[183:184]
	s_wait_loadcnt_dscnt 0x800
	v_mul_f64_e32 v[183:184], v[6:7], v[169:170]
	v_mul_f64_e32 v[169:170], v[8:9], v[169:170]
	v_fma_f64 v[181:182], v[4:5], v[38:39], v[181:182]
	v_fma_f64 v[187:188], v[2:3], v[38:39], -v[40:41]
	ds_load_b128 v[2:5], v1 offset:1600
	scratch_load_b128 v[38:41], off, off offset:752
	v_add_f64_e32 v[175:176], v[175:176], v[185:186]
	v_add_f64_e32 v[177:178], v[177:178], v[179:180]
	v_fma_f64 v[183:184], v[8:9], v[167:168], v[183:184]
	v_fma_f64 v[185:186], v[6:7], v[167:168], -v[169:170]
	ds_load_b128 v[6:9], v1 offset:1616
	s_wait_loadcnt_dscnt 0x801
	v_mul_f64_e32 v[179:180], v[2:3], v[12:13]
	v_mul_f64_e32 v[12:13], v[4:5], v[12:13]
	scratch_load_b128 v[167:170], off, off offset:768
	v_add_f64_e32 v[175:176], v[175:176], v[187:188]
	v_add_f64_e32 v[177:178], v[177:178], v[181:182]
	s_wait_loadcnt_dscnt 0x800
	v_mul_f64_e32 v[181:182], v[6:7], v[16:17]
	v_mul_f64_e32 v[16:17], v[8:9], v[16:17]
	v_fma_f64 v[179:180], v[4:5], v[10:11], v[179:180]
	v_fma_f64 v[187:188], v[2:3], v[10:11], -v[12:13]
	ds_load_b128 v[2:5], v1 offset:1632
	scratch_load_b128 v[10:13], off, off offset:784
	v_add_f64_e32 v[175:176], v[175:176], v[185:186]
	v_add_f64_e32 v[177:178], v[177:178], v[183:184]
	v_fma_f64 v[181:182], v[8:9], v[14:15], v[181:182]
	v_fma_f64 v[185:186], v[6:7], v[14:15], -v[16:17]
	ds_load_b128 v[6:9], v1 offset:1648
	s_wait_loadcnt_dscnt 0x801
	v_mul_f64_e32 v[183:184], v[2:3], v[20:21]
	v_mul_f64_e32 v[20:21], v[4:5], v[20:21]
	scratch_load_b128 v[14:17], off, off offset:800
	v_add_f64_e32 v[175:176], v[175:176], v[187:188]
	v_add_f64_e32 v[177:178], v[177:178], v[179:180]
	s_wait_loadcnt_dscnt 0x800
	v_mul_f64_e32 v[179:180], v[6:7], v[24:25]
	v_mul_f64_e32 v[24:25], v[8:9], v[24:25]
	v_fma_f64 v[183:184], v[4:5], v[18:19], v[183:184]
	v_fma_f64 v[187:188], v[2:3], v[18:19], -v[20:21]
	ds_load_b128 v[2:5], v1 offset:1664
	scratch_load_b128 v[18:21], off, off offset:816
	v_add_f64_e32 v[175:176], v[175:176], v[185:186]
	v_add_f64_e32 v[177:178], v[177:178], v[181:182]
	v_fma_f64 v[179:180], v[8:9], v[22:23], v[179:180]
	v_fma_f64 v[185:186], v[6:7], v[22:23], -v[24:25]
	ds_load_b128 v[6:9], v1 offset:1680
	s_wait_loadcnt_dscnt 0x801
	v_mul_f64_e32 v[181:182], v[2:3], v[28:29]
	v_mul_f64_e32 v[28:29], v[4:5], v[28:29]
	scratch_load_b128 v[22:25], off, off offset:832
	v_add_f64_e32 v[175:176], v[175:176], v[187:188]
	v_add_f64_e32 v[177:178], v[177:178], v[183:184]
	s_wait_loadcnt_dscnt 0x800
	v_mul_f64_e32 v[183:184], v[6:7], v[32:33]
	v_mul_f64_e32 v[32:33], v[8:9], v[32:33]
	v_fma_f64 v[181:182], v[4:5], v[26:27], v[181:182]
	v_fma_f64 v[187:188], v[2:3], v[26:27], -v[28:29]
	ds_load_b128 v[2:5], v1 offset:1696
	scratch_load_b128 v[26:29], off, off offset:848
	v_add_f64_e32 v[175:176], v[175:176], v[185:186]
	v_add_f64_e32 v[177:178], v[177:178], v[179:180]
	v_fma_f64 v[183:184], v[8:9], v[30:31], v[183:184]
	v_fma_f64 v[185:186], v[6:7], v[30:31], -v[32:33]
	ds_load_b128 v[6:9], v1 offset:1712
	s_wait_loadcnt_dscnt 0x801
	v_mul_f64_e32 v[179:180], v[2:3], v[36:37]
	v_mul_f64_e32 v[36:37], v[4:5], v[36:37]
	scratch_load_b128 v[30:33], off, off offset:864
	v_add_f64_e32 v[175:176], v[175:176], v[187:188]
	v_add_f64_e32 v[177:178], v[177:178], v[181:182]
	s_wait_loadcnt_dscnt 0x800
	v_mul_f64_e32 v[181:182], v[6:7], v[173:174]
	v_mul_f64_e32 v[173:174], v[8:9], v[173:174]
	v_fma_f64 v[179:180], v[4:5], v[34:35], v[179:180]
	v_fma_f64 v[187:188], v[2:3], v[34:35], -v[36:37]
	ds_load_b128 v[2:5], v1 offset:1728
	scratch_load_b128 v[34:37], off, off offset:880
	v_add_f64_e32 v[175:176], v[175:176], v[185:186]
	v_add_f64_e32 v[177:178], v[177:178], v[183:184]
	v_fma_f64 v[181:182], v[8:9], v[171:172], v[181:182]
	v_fma_f64 v[185:186], v[6:7], v[171:172], -v[173:174]
	ds_load_b128 v[6:9], v1 offset:1744
	s_wait_loadcnt_dscnt 0x801
	v_mul_f64_e32 v[183:184], v[2:3], v[40:41]
	v_mul_f64_e32 v[40:41], v[4:5], v[40:41]
	scratch_load_b128 v[171:174], off, off offset:896
	v_add_f64_e32 v[175:176], v[175:176], v[187:188]
	v_add_f64_e32 v[177:178], v[177:178], v[179:180]
	s_wait_loadcnt_dscnt 0x800
	v_mul_f64_e32 v[179:180], v[6:7], v[169:170]
	v_mul_f64_e32 v[169:170], v[8:9], v[169:170]
	v_fma_f64 v[183:184], v[4:5], v[38:39], v[183:184]
	v_fma_f64 v[187:188], v[2:3], v[38:39], -v[40:41]
	ds_load_b128 v[2:5], v1 offset:1760
	scratch_load_b128 v[38:41], off, off offset:912
	v_add_f64_e32 v[175:176], v[175:176], v[185:186]
	v_add_f64_e32 v[177:178], v[177:178], v[181:182]
	v_fma_f64 v[179:180], v[8:9], v[167:168], v[179:180]
	v_fma_f64 v[185:186], v[6:7], v[167:168], -v[169:170]
	ds_load_b128 v[6:9], v1 offset:1776
	s_wait_loadcnt_dscnt 0x801
	v_mul_f64_e32 v[181:182], v[2:3], v[12:13]
	v_mul_f64_e32 v[12:13], v[4:5], v[12:13]
	scratch_load_b128 v[167:170], off, off offset:928
	v_add_f64_e32 v[175:176], v[175:176], v[187:188]
	v_add_f64_e32 v[177:178], v[177:178], v[183:184]
	s_wait_loadcnt_dscnt 0x800
	v_mul_f64_e32 v[183:184], v[6:7], v[16:17]
	v_mul_f64_e32 v[16:17], v[8:9], v[16:17]
	v_fma_f64 v[181:182], v[4:5], v[10:11], v[181:182]
	v_fma_f64 v[187:188], v[2:3], v[10:11], -v[12:13]
	ds_load_b128 v[2:5], v1 offset:1792
	scratch_load_b128 v[10:13], off, off offset:944
	v_add_f64_e32 v[175:176], v[175:176], v[185:186]
	v_add_f64_e32 v[177:178], v[177:178], v[179:180]
	v_fma_f64 v[183:184], v[8:9], v[14:15], v[183:184]
	v_fma_f64 v[185:186], v[6:7], v[14:15], -v[16:17]
	ds_load_b128 v[6:9], v1 offset:1808
	s_wait_loadcnt_dscnt 0x801
	v_mul_f64_e32 v[179:180], v[2:3], v[20:21]
	v_mul_f64_e32 v[20:21], v[4:5], v[20:21]
	scratch_load_b128 v[14:17], off, off offset:960
	v_add_f64_e32 v[175:176], v[175:176], v[187:188]
	v_add_f64_e32 v[177:178], v[177:178], v[181:182]
	s_wait_loadcnt_dscnt 0x800
	v_mul_f64_e32 v[181:182], v[6:7], v[24:25]
	v_mul_f64_e32 v[24:25], v[8:9], v[24:25]
	v_fma_f64 v[179:180], v[4:5], v[18:19], v[179:180]
	v_fma_f64 v[187:188], v[2:3], v[18:19], -v[20:21]
	ds_load_b128 v[2:5], v1 offset:1824
	scratch_load_b128 v[18:21], off, off offset:976
	v_add_f64_e32 v[175:176], v[175:176], v[185:186]
	v_add_f64_e32 v[177:178], v[177:178], v[183:184]
	v_fma_f64 v[181:182], v[8:9], v[22:23], v[181:182]
	v_fma_f64 v[185:186], v[6:7], v[22:23], -v[24:25]
	ds_load_b128 v[6:9], v1 offset:1840
	s_wait_loadcnt_dscnt 0x801
	v_mul_f64_e32 v[183:184], v[2:3], v[28:29]
	v_mul_f64_e32 v[28:29], v[4:5], v[28:29]
	scratch_load_b128 v[22:25], off, off offset:992
	v_add_f64_e32 v[175:176], v[175:176], v[187:188]
	v_add_f64_e32 v[177:178], v[177:178], v[179:180]
	s_wait_loadcnt_dscnt 0x800
	v_mul_f64_e32 v[179:180], v[6:7], v[32:33]
	v_mul_f64_e32 v[32:33], v[8:9], v[32:33]
	v_fma_f64 v[183:184], v[4:5], v[26:27], v[183:184]
	v_fma_f64 v[26:27], v[2:3], v[26:27], -v[28:29]
	ds_load_b128 v[2:5], v1 offset:1856
	v_add_f64_e32 v[28:29], v[175:176], v[185:186]
	v_add_f64_e32 v[175:176], v[177:178], v[181:182]
	v_fma_f64 v[179:180], v[8:9], v[30:31], v[179:180]
	v_fma_f64 v[30:31], v[6:7], v[30:31], -v[32:33]
	ds_load_b128 v[6:9], v1 offset:1872
	s_wait_loadcnt_dscnt 0x701
	v_mul_f64_e32 v[177:178], v[2:3], v[36:37]
	v_mul_f64_e32 v[36:37], v[4:5], v[36:37]
	v_add_f64_e32 v[26:27], v[28:29], v[26:27]
	v_add_f64_e32 v[28:29], v[175:176], v[183:184]
	s_delay_alu instid0(VALU_DEP_4) | instskip(NEXT) | instid1(VALU_DEP_4)
	v_fma_f64 v[175:176], v[4:5], v[34:35], v[177:178]
	v_fma_f64 v[34:35], v[2:3], v[34:35], -v[36:37]
	ds_load_b128 v[2:5], v1 offset:1888
	v_add_f64_e32 v[30:31], v[26:27], v[30:31]
	v_add_f64_e32 v[36:37], v[28:29], v[179:180]
	scratch_load_b128 v[26:29], off, off offset:256
	s_wait_loadcnt_dscnt 0x701
	v_mul_f64_e32 v[32:33], v[6:7], v[173:174]
	v_mul_f64_e32 v[173:174], v[8:9], v[173:174]
	v_add_f64_e32 v[30:31], v[30:31], v[34:35]
	v_add_f64_e32 v[34:35], v[36:37], v[175:176]
	s_delay_alu instid0(VALU_DEP_4) | instskip(NEXT) | instid1(VALU_DEP_4)
	v_fma_f64 v[32:33], v[8:9], v[171:172], v[32:33]
	v_fma_f64 v[171:172], v[6:7], v[171:172], -v[173:174]
	ds_load_b128 v[6:9], v1 offset:1904
	s_wait_loadcnt_dscnt 0x601
	v_mul_f64_e32 v[177:178], v[2:3], v[40:41]
	v_mul_f64_e32 v[40:41], v[4:5], v[40:41]
	s_wait_loadcnt_dscnt 0x500
	v_mul_f64_e32 v[36:37], v[6:7], v[169:170]
	v_mul_f64_e32 v[169:170], v[8:9], v[169:170]
	v_add_f64_e32 v[32:33], v[34:35], v[32:33]
	v_add_f64_e32 v[30:31], v[30:31], v[171:172]
	v_fma_f64 v[173:174], v[4:5], v[38:39], v[177:178]
	v_fma_f64 v[38:39], v[2:3], v[38:39], -v[40:41]
	ds_load_b128 v[2:5], v1 offset:1920
	v_fma_f64 v[36:37], v[8:9], v[167:168], v[36:37]
	v_fma_f64 v[40:41], v[6:7], v[167:168], -v[169:170]
	ds_load_b128 v[6:9], v1 offset:1936
	s_wait_loadcnt_dscnt 0x401
	v_mul_f64_e32 v[34:35], v[2:3], v[12:13]
	v_mul_f64_e32 v[12:13], v[4:5], v[12:13]
	v_add_f64_e32 v[32:33], v[32:33], v[173:174]
	v_add_f64_e32 v[30:31], v[30:31], v[38:39]
	s_wait_loadcnt_dscnt 0x300
	v_mul_f64_e32 v[38:39], v[6:7], v[16:17]
	v_mul_f64_e32 v[16:17], v[8:9], v[16:17]
	v_fma_f64 v[34:35], v[4:5], v[10:11], v[34:35]
	v_fma_f64 v[10:11], v[2:3], v[10:11], -v[12:13]
	ds_load_b128 v[2:5], v1 offset:1952
	v_add_f64_e32 v[12:13], v[30:31], v[40:41]
	v_add_f64_e32 v[30:31], v[32:33], v[36:37]
	v_fma_f64 v[36:37], v[8:9], v[14:15], v[38:39]
	v_fma_f64 v[14:15], v[6:7], v[14:15], -v[16:17]
	ds_load_b128 v[6:9], v1 offset:1968
	s_wait_loadcnt_dscnt 0x201
	v_mul_f64_e32 v[32:33], v[2:3], v[20:21]
	v_mul_f64_e32 v[20:21], v[4:5], v[20:21]
	s_wait_loadcnt_dscnt 0x100
	v_mul_f64_e32 v[16:17], v[6:7], v[24:25]
	v_mul_f64_e32 v[24:25], v[8:9], v[24:25]
	v_add_f64_e32 v[10:11], v[12:13], v[10:11]
	v_add_f64_e32 v[12:13], v[30:31], v[34:35]
	v_fma_f64 v[4:5], v[4:5], v[18:19], v[32:33]
	v_fma_f64 v[1:2], v[2:3], v[18:19], -v[20:21]
	v_fma_f64 v[8:9], v[8:9], v[22:23], v[16:17]
	v_fma_f64 v[6:7], v[6:7], v[22:23], -v[24:25]
	v_add_f64_e32 v[10:11], v[10:11], v[14:15]
	v_add_f64_e32 v[12:13], v[12:13], v[36:37]
	s_delay_alu instid0(VALU_DEP_2) | instskip(NEXT) | instid1(VALU_DEP_2)
	v_add_f64_e32 v[1:2], v[10:11], v[1:2]
	v_add_f64_e32 v[3:4], v[12:13], v[4:5]
	s_delay_alu instid0(VALU_DEP_2) | instskip(NEXT) | instid1(VALU_DEP_2)
	v_add_f64_e32 v[1:2], v[1:2], v[6:7]
	v_add_f64_e32 v[3:4], v[3:4], v[8:9]
	s_wait_loadcnt 0x0
	s_delay_alu instid0(VALU_DEP_2) | instskip(NEXT) | instid1(VALU_DEP_2)
	v_add_f64_e64 v[1:2], v[26:27], -v[1:2]
	v_add_f64_e64 v[3:4], v[28:29], -v[3:4]
	scratch_store_b128 off, v[1:4], off offset:256
	v_cmpx_lt_u32_e32 14, v0
	s_cbranch_execz .LBB61_369
; %bb.368:
	scratch_load_b128 v[1:4], off, s59
	v_mov_b32_e32 v5, 0
	s_delay_alu instid0(VALU_DEP_1)
	v_dual_mov_b32 v6, v5 :: v_dual_mov_b32 v7, v5
	v_mov_b32_e32 v8, v5
	scratch_store_b128 off, v[5:8], off offset:240
	s_wait_loadcnt 0x0
	ds_store_b128 v166, v[1:4]
.LBB61_369:
	s_wait_alu 0xfffe
	s_or_b32 exec_lo, exec_lo, s0
	s_wait_storecnt_dscnt 0x0
	s_barrier_signal -1
	s_barrier_wait -1
	global_inv scope:SCOPE_SE
	s_clause 0x7
	scratch_load_b128 v[2:5], off, off offset:256
	scratch_load_b128 v[6:9], off, off offset:272
	;; [unrolled: 1-line block ×8, first 2 shown]
	v_mov_b32_e32 v1, 0
	s_clause 0x1
	scratch_load_b128 v[34:37], off, off offset:384
	scratch_load_b128 v[171:174], off, off offset:400
	s_mov_b32 s0, exec_lo
	ds_load_b128 v[38:41], v1 offset:1232
	ds_load_b128 v[167:170], v1 offset:1248
	s_wait_loadcnt_dscnt 0x901
	v_mul_f64_e32 v[175:176], v[40:41], v[4:5]
	v_mul_f64_e32 v[4:5], v[38:39], v[4:5]
	s_wait_loadcnt_dscnt 0x800
	v_mul_f64_e32 v[177:178], v[167:168], v[8:9]
	v_mul_f64_e32 v[8:9], v[169:170], v[8:9]
	s_delay_alu instid0(VALU_DEP_4) | instskip(NEXT) | instid1(VALU_DEP_4)
	v_fma_f64 v[175:176], v[38:39], v[2:3], -v[175:176]
	v_fma_f64 v[179:180], v[40:41], v[2:3], v[4:5]
	ds_load_b128 v[2:5], v1 offset:1264
	scratch_load_b128 v[38:41], off, off offset:416
	v_fma_f64 v[177:178], v[169:170], v[6:7], v[177:178]
	v_fma_f64 v[183:184], v[167:168], v[6:7], -v[8:9]
	ds_load_b128 v[6:9], v1 offset:1280
	scratch_load_b128 v[167:170], off, off offset:432
	s_wait_loadcnt_dscnt 0x901
	v_mul_f64_e32 v[181:182], v[2:3], v[12:13]
	v_mul_f64_e32 v[12:13], v[4:5], v[12:13]
	s_wait_loadcnt_dscnt 0x800
	v_mul_f64_e32 v[185:186], v[6:7], v[16:17]
	v_mul_f64_e32 v[16:17], v[8:9], v[16:17]
	v_add_f64_e32 v[175:176], 0, v[175:176]
	v_add_f64_e32 v[179:180], 0, v[179:180]
	v_fma_f64 v[181:182], v[4:5], v[10:11], v[181:182]
	v_fma_f64 v[187:188], v[2:3], v[10:11], -v[12:13]
	ds_load_b128 v[2:5], v1 offset:1296
	scratch_load_b128 v[10:13], off, off offset:448
	v_add_f64_e32 v[175:176], v[175:176], v[183:184]
	v_add_f64_e32 v[177:178], v[179:180], v[177:178]
	v_fma_f64 v[183:184], v[8:9], v[14:15], v[185:186]
	v_fma_f64 v[185:186], v[6:7], v[14:15], -v[16:17]
	ds_load_b128 v[6:9], v1 offset:1312
	scratch_load_b128 v[14:17], off, off offset:464
	s_wait_loadcnt_dscnt 0x901
	v_mul_f64_e32 v[179:180], v[2:3], v[20:21]
	v_mul_f64_e32 v[20:21], v[4:5], v[20:21]
	v_add_f64_e32 v[175:176], v[175:176], v[187:188]
	v_add_f64_e32 v[177:178], v[177:178], v[181:182]
	s_wait_loadcnt_dscnt 0x800
	v_mul_f64_e32 v[181:182], v[6:7], v[24:25]
	v_mul_f64_e32 v[24:25], v[8:9], v[24:25]
	v_fma_f64 v[179:180], v[4:5], v[18:19], v[179:180]
	v_fma_f64 v[187:188], v[2:3], v[18:19], -v[20:21]
	ds_load_b128 v[2:5], v1 offset:1328
	scratch_load_b128 v[18:21], off, off offset:480
	v_add_f64_e32 v[175:176], v[175:176], v[185:186]
	v_add_f64_e32 v[177:178], v[177:178], v[183:184]
	v_fma_f64 v[181:182], v[8:9], v[22:23], v[181:182]
	v_fma_f64 v[185:186], v[6:7], v[22:23], -v[24:25]
	ds_load_b128 v[6:9], v1 offset:1344
	s_wait_loadcnt_dscnt 0x801
	v_mul_f64_e32 v[183:184], v[2:3], v[28:29]
	v_mul_f64_e32 v[28:29], v[4:5], v[28:29]
	scratch_load_b128 v[22:25], off, off offset:496
	v_add_f64_e32 v[175:176], v[175:176], v[187:188]
	v_add_f64_e32 v[177:178], v[177:178], v[179:180]
	s_wait_loadcnt_dscnt 0x800
	v_mul_f64_e32 v[179:180], v[6:7], v[32:33]
	v_mul_f64_e32 v[32:33], v[8:9], v[32:33]
	v_fma_f64 v[183:184], v[4:5], v[26:27], v[183:184]
	v_fma_f64 v[187:188], v[2:3], v[26:27], -v[28:29]
	ds_load_b128 v[2:5], v1 offset:1360
	scratch_load_b128 v[26:29], off, off offset:512
	v_add_f64_e32 v[175:176], v[175:176], v[185:186]
	v_add_f64_e32 v[177:178], v[177:178], v[181:182]
	v_fma_f64 v[179:180], v[8:9], v[30:31], v[179:180]
	v_fma_f64 v[185:186], v[6:7], v[30:31], -v[32:33]
	ds_load_b128 v[6:9], v1 offset:1376
	s_wait_loadcnt_dscnt 0x801
	v_mul_f64_e32 v[181:182], v[2:3], v[36:37]
	v_mul_f64_e32 v[36:37], v[4:5], v[36:37]
	scratch_load_b128 v[30:33], off, off offset:528
	v_add_f64_e32 v[175:176], v[175:176], v[187:188]
	v_add_f64_e32 v[177:178], v[177:178], v[183:184]
	s_wait_loadcnt_dscnt 0x800
	v_mul_f64_e32 v[183:184], v[6:7], v[173:174]
	v_mul_f64_e32 v[173:174], v[8:9], v[173:174]
	v_fma_f64 v[181:182], v[4:5], v[34:35], v[181:182]
	v_fma_f64 v[187:188], v[2:3], v[34:35], -v[36:37]
	ds_load_b128 v[2:5], v1 offset:1392
	scratch_load_b128 v[34:37], off, off offset:544
	v_add_f64_e32 v[175:176], v[175:176], v[185:186]
	v_add_f64_e32 v[177:178], v[177:178], v[179:180]
	v_fma_f64 v[183:184], v[8:9], v[171:172], v[183:184]
	v_fma_f64 v[185:186], v[6:7], v[171:172], -v[173:174]
	ds_load_b128 v[6:9], v1 offset:1408
	scratch_load_b128 v[171:174], off, off offset:560
	s_wait_loadcnt_dscnt 0x901
	v_mul_f64_e32 v[179:180], v[2:3], v[40:41]
	v_mul_f64_e32 v[40:41], v[4:5], v[40:41]
	v_add_f64_e32 v[175:176], v[175:176], v[187:188]
	v_add_f64_e32 v[177:178], v[177:178], v[181:182]
	s_wait_loadcnt_dscnt 0x800
	v_mul_f64_e32 v[181:182], v[6:7], v[169:170]
	v_mul_f64_e32 v[169:170], v[8:9], v[169:170]
	v_fma_f64 v[179:180], v[4:5], v[38:39], v[179:180]
	v_fma_f64 v[187:188], v[2:3], v[38:39], -v[40:41]
	ds_load_b128 v[2:5], v1 offset:1424
	scratch_load_b128 v[38:41], off, off offset:576
	v_add_f64_e32 v[175:176], v[175:176], v[185:186]
	v_add_f64_e32 v[177:178], v[177:178], v[183:184]
	v_fma_f64 v[181:182], v[8:9], v[167:168], v[181:182]
	v_fma_f64 v[185:186], v[6:7], v[167:168], -v[169:170]
	ds_load_b128 v[6:9], v1 offset:1440
	s_wait_loadcnt_dscnt 0x801
	v_mul_f64_e32 v[183:184], v[2:3], v[12:13]
	v_mul_f64_e32 v[12:13], v[4:5], v[12:13]
	scratch_load_b128 v[167:170], off, off offset:592
	v_add_f64_e32 v[175:176], v[175:176], v[187:188]
	v_add_f64_e32 v[177:178], v[177:178], v[179:180]
	s_wait_loadcnt_dscnt 0x800
	v_mul_f64_e32 v[179:180], v[6:7], v[16:17]
	v_mul_f64_e32 v[16:17], v[8:9], v[16:17]
	v_fma_f64 v[183:184], v[4:5], v[10:11], v[183:184]
	v_fma_f64 v[187:188], v[2:3], v[10:11], -v[12:13]
	ds_load_b128 v[2:5], v1 offset:1456
	scratch_load_b128 v[10:13], off, off offset:608
	v_add_f64_e32 v[175:176], v[175:176], v[185:186]
	v_add_f64_e32 v[177:178], v[177:178], v[181:182]
	v_fma_f64 v[179:180], v[8:9], v[14:15], v[179:180]
	v_fma_f64 v[185:186], v[6:7], v[14:15], -v[16:17]
	ds_load_b128 v[6:9], v1 offset:1472
	s_wait_loadcnt_dscnt 0x801
	v_mul_f64_e32 v[181:182], v[2:3], v[20:21]
	v_mul_f64_e32 v[20:21], v[4:5], v[20:21]
	scratch_load_b128 v[14:17], off, off offset:624
	;; [unrolled: 18-line block ×13, first 2 shown]
	v_add_f64_e32 v[175:176], v[175:176], v[187:188]
	v_add_f64_e32 v[177:178], v[177:178], v[179:180]
	s_wait_loadcnt_dscnt 0x800
	v_mul_f64_e32 v[179:180], v[6:7], v[32:33]
	v_mul_f64_e32 v[32:33], v[8:9], v[32:33]
	v_fma_f64 v[183:184], v[4:5], v[26:27], v[183:184]
	v_fma_f64 v[187:188], v[2:3], v[26:27], -v[28:29]
	ds_load_b128 v[2:5], v1 offset:1840
	scratch_load_b128 v[26:29], off, off offset:992
	v_add_f64_e32 v[175:176], v[175:176], v[185:186]
	v_add_f64_e32 v[177:178], v[177:178], v[181:182]
	v_fma_f64 v[179:180], v[8:9], v[30:31], v[179:180]
	v_fma_f64 v[30:31], v[6:7], v[30:31], -v[32:33]
	ds_load_b128 v[6:9], v1 offset:1856
	s_wait_loadcnt_dscnt 0x801
	v_mul_f64_e32 v[181:182], v[2:3], v[36:37]
	v_mul_f64_e32 v[36:37], v[4:5], v[36:37]
	v_add_f64_e32 v[32:33], v[175:176], v[187:188]
	v_add_f64_e32 v[175:176], v[177:178], v[183:184]
	s_wait_loadcnt_dscnt 0x700
	v_mul_f64_e32 v[177:178], v[6:7], v[173:174]
	v_mul_f64_e32 v[173:174], v[8:9], v[173:174]
	v_fma_f64 v[181:182], v[4:5], v[34:35], v[181:182]
	v_fma_f64 v[34:35], v[2:3], v[34:35], -v[36:37]
	ds_load_b128 v[2:5], v1 offset:1872
	v_add_f64_e32 v[30:31], v[32:33], v[30:31]
	v_add_f64_e32 v[32:33], v[175:176], v[179:180]
	v_fma_f64 v[175:176], v[8:9], v[171:172], v[177:178]
	v_fma_f64 v[171:172], v[6:7], v[171:172], -v[173:174]
	ds_load_b128 v[6:9], v1 offset:1888
	s_wait_loadcnt_dscnt 0x500
	v_mul_f64_e32 v[177:178], v[6:7], v[169:170]
	v_mul_f64_e32 v[169:170], v[8:9], v[169:170]
	v_add_f64_e32 v[34:35], v[30:31], v[34:35]
	v_add_f64_e32 v[173:174], v[32:33], v[181:182]
	scratch_load_b128 v[30:33], off, off offset:240
	v_mul_f64_e32 v[36:37], v[2:3], v[40:41]
	v_mul_f64_e32 v[40:41], v[4:5], v[40:41]
	v_add_f64_e32 v[34:35], v[34:35], v[171:172]
	s_delay_alu instid0(VALU_DEP_3) | instskip(NEXT) | instid1(VALU_DEP_3)
	v_fma_f64 v[36:37], v[4:5], v[38:39], v[36:37]
	v_fma_f64 v[38:39], v[2:3], v[38:39], -v[40:41]
	v_add_f64_e32 v[40:41], v[173:174], v[175:176]
	ds_load_b128 v[2:5], v1 offset:1904
	v_fma_f64 v[173:174], v[8:9], v[167:168], v[177:178]
	v_fma_f64 v[167:168], v[6:7], v[167:168], -v[169:170]
	ds_load_b128 v[6:9], v1 offset:1920
	s_wait_loadcnt_dscnt 0x501
	v_mul_f64_e32 v[171:172], v[2:3], v[12:13]
	v_mul_f64_e32 v[12:13], v[4:5], v[12:13]
	v_add_f64_e32 v[34:35], v[34:35], v[38:39]
	v_add_f64_e32 v[36:37], v[40:41], v[36:37]
	s_wait_loadcnt_dscnt 0x400
	v_mul_f64_e32 v[38:39], v[6:7], v[16:17]
	v_mul_f64_e32 v[16:17], v[8:9], v[16:17]
	v_fma_f64 v[40:41], v[4:5], v[10:11], v[171:172]
	v_fma_f64 v[10:11], v[2:3], v[10:11], -v[12:13]
	ds_load_b128 v[2:5], v1 offset:1936
	v_add_f64_e32 v[12:13], v[34:35], v[167:168]
	v_add_f64_e32 v[34:35], v[36:37], v[173:174]
	v_fma_f64 v[38:39], v[8:9], v[14:15], v[38:39]
	v_fma_f64 v[14:15], v[6:7], v[14:15], -v[16:17]
	ds_load_b128 v[6:9], v1 offset:1952
	s_wait_loadcnt_dscnt 0x301
	v_mul_f64_e32 v[36:37], v[2:3], v[20:21]
	v_mul_f64_e32 v[20:21], v[4:5], v[20:21]
	s_wait_loadcnt_dscnt 0x200
	v_mul_f64_e32 v[16:17], v[6:7], v[24:25]
	v_mul_f64_e32 v[24:25], v[8:9], v[24:25]
	v_add_f64_e32 v[10:11], v[12:13], v[10:11]
	v_add_f64_e32 v[12:13], v[34:35], v[40:41]
	v_fma_f64 v[34:35], v[4:5], v[18:19], v[36:37]
	v_fma_f64 v[18:19], v[2:3], v[18:19], -v[20:21]
	ds_load_b128 v[2:5], v1 offset:1968
	v_fma_f64 v[8:9], v[8:9], v[22:23], v[16:17]
	v_fma_f64 v[6:7], v[6:7], v[22:23], -v[24:25]
	s_wait_loadcnt_dscnt 0x100
	v_mul_f64_e32 v[20:21], v[4:5], v[28:29]
	v_add_f64_e32 v[10:11], v[10:11], v[14:15]
	v_add_f64_e32 v[12:13], v[12:13], v[38:39]
	v_mul_f64_e32 v[14:15], v[2:3], v[28:29]
	s_delay_alu instid0(VALU_DEP_4) | instskip(NEXT) | instid1(VALU_DEP_4)
	v_fma_f64 v[2:3], v[2:3], v[26:27], -v[20:21]
	v_add_f64_e32 v[10:11], v[10:11], v[18:19]
	s_delay_alu instid0(VALU_DEP_4) | instskip(NEXT) | instid1(VALU_DEP_4)
	v_add_f64_e32 v[12:13], v[12:13], v[34:35]
	v_fma_f64 v[4:5], v[4:5], v[26:27], v[14:15]
	s_delay_alu instid0(VALU_DEP_3) | instskip(NEXT) | instid1(VALU_DEP_3)
	v_add_f64_e32 v[6:7], v[10:11], v[6:7]
	v_add_f64_e32 v[8:9], v[12:13], v[8:9]
	s_delay_alu instid0(VALU_DEP_2) | instskip(NEXT) | instid1(VALU_DEP_2)
	v_add_f64_e32 v[2:3], v[6:7], v[2:3]
	v_add_f64_e32 v[4:5], v[8:9], v[4:5]
	s_wait_loadcnt 0x0
	s_delay_alu instid0(VALU_DEP_2) | instskip(NEXT) | instid1(VALU_DEP_2)
	v_add_f64_e64 v[2:3], v[30:31], -v[2:3]
	v_add_f64_e64 v[4:5], v[32:33], -v[4:5]
	scratch_store_b128 off, v[2:5], off offset:240
	v_cmpx_lt_u32_e32 13, v0
	s_cbranch_execz .LBB61_371
; %bb.370:
	scratch_load_b128 v[5:8], off, s64
	v_dual_mov_b32 v2, v1 :: v_dual_mov_b32 v3, v1
	v_mov_b32_e32 v4, v1
	scratch_store_b128 off, v[1:4], off offset:224
	s_wait_loadcnt 0x0
	ds_store_b128 v166, v[5:8]
.LBB61_371:
	s_wait_alu 0xfffe
	s_or_b32 exec_lo, exec_lo, s0
	s_wait_storecnt_dscnt 0x0
	s_barrier_signal -1
	s_barrier_wait -1
	global_inv scope:SCOPE_SE
	s_clause 0x7
	scratch_load_b128 v[2:5], off, off offset:240
	scratch_load_b128 v[6:9], off, off offset:256
	;; [unrolled: 1-line block ×8, first 2 shown]
	ds_load_b128 v[38:41], v1 offset:1216
	ds_load_b128 v[167:170], v1 offset:1232
	s_clause 0x1
	scratch_load_b128 v[34:37], off, off offset:368
	scratch_load_b128 v[171:174], off, off offset:384
	s_mov_b32 s0, exec_lo
	s_wait_loadcnt_dscnt 0x901
	v_mul_f64_e32 v[175:176], v[40:41], v[4:5]
	v_mul_f64_e32 v[4:5], v[38:39], v[4:5]
	s_wait_loadcnt_dscnt 0x800
	v_mul_f64_e32 v[177:178], v[167:168], v[8:9]
	v_mul_f64_e32 v[8:9], v[169:170], v[8:9]
	s_delay_alu instid0(VALU_DEP_4) | instskip(NEXT) | instid1(VALU_DEP_4)
	v_fma_f64 v[175:176], v[38:39], v[2:3], -v[175:176]
	v_fma_f64 v[179:180], v[40:41], v[2:3], v[4:5]
	ds_load_b128 v[2:5], v1 offset:1248
	scratch_load_b128 v[38:41], off, off offset:400
	v_fma_f64 v[177:178], v[169:170], v[6:7], v[177:178]
	v_fma_f64 v[183:184], v[167:168], v[6:7], -v[8:9]
	ds_load_b128 v[6:9], v1 offset:1264
	scratch_load_b128 v[167:170], off, off offset:416
	s_wait_loadcnt_dscnt 0x901
	v_mul_f64_e32 v[181:182], v[2:3], v[12:13]
	v_mul_f64_e32 v[12:13], v[4:5], v[12:13]
	s_wait_loadcnt_dscnt 0x800
	v_mul_f64_e32 v[185:186], v[6:7], v[16:17]
	v_mul_f64_e32 v[16:17], v[8:9], v[16:17]
	v_add_f64_e32 v[175:176], 0, v[175:176]
	v_add_f64_e32 v[179:180], 0, v[179:180]
	v_fma_f64 v[181:182], v[4:5], v[10:11], v[181:182]
	v_fma_f64 v[187:188], v[2:3], v[10:11], -v[12:13]
	ds_load_b128 v[2:5], v1 offset:1280
	scratch_load_b128 v[10:13], off, off offset:432
	v_add_f64_e32 v[175:176], v[175:176], v[183:184]
	v_add_f64_e32 v[177:178], v[179:180], v[177:178]
	v_fma_f64 v[183:184], v[8:9], v[14:15], v[185:186]
	v_fma_f64 v[185:186], v[6:7], v[14:15], -v[16:17]
	ds_load_b128 v[6:9], v1 offset:1296
	scratch_load_b128 v[14:17], off, off offset:448
	s_wait_loadcnt_dscnt 0x901
	v_mul_f64_e32 v[179:180], v[2:3], v[20:21]
	v_mul_f64_e32 v[20:21], v[4:5], v[20:21]
	v_add_f64_e32 v[175:176], v[175:176], v[187:188]
	v_add_f64_e32 v[177:178], v[177:178], v[181:182]
	s_wait_loadcnt_dscnt 0x800
	v_mul_f64_e32 v[181:182], v[6:7], v[24:25]
	v_mul_f64_e32 v[24:25], v[8:9], v[24:25]
	v_fma_f64 v[179:180], v[4:5], v[18:19], v[179:180]
	v_fma_f64 v[187:188], v[2:3], v[18:19], -v[20:21]
	ds_load_b128 v[2:5], v1 offset:1312
	scratch_load_b128 v[18:21], off, off offset:464
	v_add_f64_e32 v[175:176], v[175:176], v[185:186]
	v_add_f64_e32 v[177:178], v[177:178], v[183:184]
	v_fma_f64 v[181:182], v[8:9], v[22:23], v[181:182]
	v_fma_f64 v[185:186], v[6:7], v[22:23], -v[24:25]
	ds_load_b128 v[6:9], v1 offset:1328
	s_wait_loadcnt_dscnt 0x801
	v_mul_f64_e32 v[183:184], v[2:3], v[28:29]
	v_mul_f64_e32 v[28:29], v[4:5], v[28:29]
	scratch_load_b128 v[22:25], off, off offset:480
	v_add_f64_e32 v[175:176], v[175:176], v[187:188]
	v_add_f64_e32 v[177:178], v[177:178], v[179:180]
	s_wait_loadcnt_dscnt 0x800
	v_mul_f64_e32 v[179:180], v[6:7], v[32:33]
	v_mul_f64_e32 v[32:33], v[8:9], v[32:33]
	v_fma_f64 v[183:184], v[4:5], v[26:27], v[183:184]
	v_fma_f64 v[187:188], v[2:3], v[26:27], -v[28:29]
	ds_load_b128 v[2:5], v1 offset:1344
	scratch_load_b128 v[26:29], off, off offset:496
	v_add_f64_e32 v[175:176], v[175:176], v[185:186]
	v_add_f64_e32 v[177:178], v[177:178], v[181:182]
	v_fma_f64 v[179:180], v[8:9], v[30:31], v[179:180]
	v_fma_f64 v[185:186], v[6:7], v[30:31], -v[32:33]
	ds_load_b128 v[6:9], v1 offset:1360
	s_wait_loadcnt_dscnt 0x801
	v_mul_f64_e32 v[181:182], v[2:3], v[36:37]
	v_mul_f64_e32 v[36:37], v[4:5], v[36:37]
	scratch_load_b128 v[30:33], off, off offset:512
	v_add_f64_e32 v[175:176], v[175:176], v[187:188]
	v_add_f64_e32 v[177:178], v[177:178], v[183:184]
	s_wait_loadcnt_dscnt 0x800
	v_mul_f64_e32 v[183:184], v[6:7], v[173:174]
	v_mul_f64_e32 v[173:174], v[8:9], v[173:174]
	v_fma_f64 v[181:182], v[4:5], v[34:35], v[181:182]
	v_fma_f64 v[187:188], v[2:3], v[34:35], -v[36:37]
	ds_load_b128 v[2:5], v1 offset:1376
	scratch_load_b128 v[34:37], off, off offset:528
	v_add_f64_e32 v[175:176], v[175:176], v[185:186]
	v_add_f64_e32 v[177:178], v[177:178], v[179:180]
	v_fma_f64 v[183:184], v[8:9], v[171:172], v[183:184]
	v_fma_f64 v[185:186], v[6:7], v[171:172], -v[173:174]
	ds_load_b128 v[6:9], v1 offset:1392
	scratch_load_b128 v[171:174], off, off offset:544
	s_wait_loadcnt_dscnt 0x901
	v_mul_f64_e32 v[179:180], v[2:3], v[40:41]
	v_mul_f64_e32 v[40:41], v[4:5], v[40:41]
	v_add_f64_e32 v[175:176], v[175:176], v[187:188]
	v_add_f64_e32 v[177:178], v[177:178], v[181:182]
	s_wait_loadcnt_dscnt 0x800
	v_mul_f64_e32 v[181:182], v[6:7], v[169:170]
	v_mul_f64_e32 v[169:170], v[8:9], v[169:170]
	v_fma_f64 v[179:180], v[4:5], v[38:39], v[179:180]
	v_fma_f64 v[187:188], v[2:3], v[38:39], -v[40:41]
	ds_load_b128 v[2:5], v1 offset:1408
	scratch_load_b128 v[38:41], off, off offset:560
	v_add_f64_e32 v[175:176], v[175:176], v[185:186]
	v_add_f64_e32 v[177:178], v[177:178], v[183:184]
	v_fma_f64 v[181:182], v[8:9], v[167:168], v[181:182]
	v_fma_f64 v[185:186], v[6:7], v[167:168], -v[169:170]
	ds_load_b128 v[6:9], v1 offset:1424
	s_wait_loadcnt_dscnt 0x801
	v_mul_f64_e32 v[183:184], v[2:3], v[12:13]
	v_mul_f64_e32 v[12:13], v[4:5], v[12:13]
	scratch_load_b128 v[167:170], off, off offset:576
	v_add_f64_e32 v[175:176], v[175:176], v[187:188]
	v_add_f64_e32 v[177:178], v[177:178], v[179:180]
	s_wait_loadcnt_dscnt 0x800
	v_mul_f64_e32 v[179:180], v[6:7], v[16:17]
	v_mul_f64_e32 v[16:17], v[8:9], v[16:17]
	v_fma_f64 v[183:184], v[4:5], v[10:11], v[183:184]
	v_fma_f64 v[187:188], v[2:3], v[10:11], -v[12:13]
	ds_load_b128 v[2:5], v1 offset:1440
	scratch_load_b128 v[10:13], off, off offset:592
	v_add_f64_e32 v[175:176], v[175:176], v[185:186]
	v_add_f64_e32 v[177:178], v[177:178], v[181:182]
	v_fma_f64 v[179:180], v[8:9], v[14:15], v[179:180]
	v_fma_f64 v[185:186], v[6:7], v[14:15], -v[16:17]
	ds_load_b128 v[6:9], v1 offset:1456
	s_wait_loadcnt_dscnt 0x801
	v_mul_f64_e32 v[181:182], v[2:3], v[20:21]
	v_mul_f64_e32 v[20:21], v[4:5], v[20:21]
	scratch_load_b128 v[14:17], off, off offset:608
	;; [unrolled: 18-line block ×14, first 2 shown]
	v_add_f64_e32 v[175:176], v[175:176], v[187:188]
	v_add_f64_e32 v[177:178], v[177:178], v[183:184]
	s_wait_loadcnt_dscnt 0x800
	v_mul_f64_e32 v[183:184], v[6:7], v[173:174]
	v_mul_f64_e32 v[173:174], v[8:9], v[173:174]
	v_fma_f64 v[181:182], v[4:5], v[34:35], v[181:182]
	v_fma_f64 v[34:35], v[2:3], v[34:35], -v[36:37]
	ds_load_b128 v[2:5], v1 offset:1856
	v_add_f64_e32 v[36:37], v[175:176], v[185:186]
	v_add_f64_e32 v[175:176], v[177:178], v[179:180]
	v_fma_f64 v[179:180], v[8:9], v[171:172], v[183:184]
	v_fma_f64 v[171:172], v[6:7], v[171:172], -v[173:174]
	ds_load_b128 v[6:9], v1 offset:1872
	s_wait_loadcnt_dscnt 0x701
	v_mul_f64_e32 v[177:178], v[2:3], v[40:41]
	v_mul_f64_e32 v[40:41], v[4:5], v[40:41]
	v_add_f64_e32 v[34:35], v[36:37], v[34:35]
	v_add_f64_e32 v[36:37], v[175:176], v[181:182]
	s_delay_alu instid0(VALU_DEP_4) | instskip(NEXT) | instid1(VALU_DEP_4)
	v_fma_f64 v[175:176], v[4:5], v[38:39], v[177:178]
	v_fma_f64 v[38:39], v[2:3], v[38:39], -v[40:41]
	ds_load_b128 v[2:5], v1 offset:1888
	v_add_f64_e32 v[40:41], v[34:35], v[171:172]
	v_add_f64_e32 v[171:172], v[36:37], v[179:180]
	scratch_load_b128 v[34:37], off, off offset:224
	s_wait_loadcnt_dscnt 0x701
	v_mul_f64_e32 v[173:174], v[6:7], v[169:170]
	v_mul_f64_e32 v[169:170], v[8:9], v[169:170]
	v_add_f64_e32 v[38:39], v[40:41], v[38:39]
	v_add_f64_e32 v[40:41], v[171:172], v[175:176]
	s_delay_alu instid0(VALU_DEP_4) | instskip(NEXT) | instid1(VALU_DEP_4)
	v_fma_f64 v[173:174], v[8:9], v[167:168], v[173:174]
	v_fma_f64 v[167:168], v[6:7], v[167:168], -v[169:170]
	ds_load_b128 v[6:9], v1 offset:1904
	s_wait_loadcnt_dscnt 0x601
	v_mul_f64_e32 v[177:178], v[2:3], v[12:13]
	v_mul_f64_e32 v[12:13], v[4:5], v[12:13]
	s_wait_loadcnt_dscnt 0x500
	v_mul_f64_e32 v[169:170], v[6:7], v[16:17]
	v_mul_f64_e32 v[16:17], v[8:9], v[16:17]
	s_delay_alu instid0(VALU_DEP_4) | instskip(NEXT) | instid1(VALU_DEP_4)
	v_fma_f64 v[171:172], v[4:5], v[10:11], v[177:178]
	v_fma_f64 v[10:11], v[2:3], v[10:11], -v[12:13]
	v_add_f64_e32 v[12:13], v[38:39], v[167:168]
	v_add_f64_e32 v[38:39], v[40:41], v[173:174]
	ds_load_b128 v[2:5], v1 offset:1920
	v_fma_f64 v[167:168], v[8:9], v[14:15], v[169:170]
	v_fma_f64 v[14:15], v[6:7], v[14:15], -v[16:17]
	ds_load_b128 v[6:9], v1 offset:1936
	s_wait_loadcnt_dscnt 0x401
	v_mul_f64_e32 v[40:41], v[2:3], v[20:21]
	v_mul_f64_e32 v[20:21], v[4:5], v[20:21]
	v_add_f64_e32 v[10:11], v[12:13], v[10:11]
	v_add_f64_e32 v[12:13], v[38:39], v[171:172]
	s_wait_loadcnt_dscnt 0x300
	v_mul_f64_e32 v[16:17], v[6:7], v[24:25]
	v_mul_f64_e32 v[24:25], v[8:9], v[24:25]
	v_fma_f64 v[38:39], v[4:5], v[18:19], v[40:41]
	v_fma_f64 v[18:19], v[2:3], v[18:19], -v[20:21]
	ds_load_b128 v[2:5], v1 offset:1952
	v_add_f64_e32 v[10:11], v[10:11], v[14:15]
	v_add_f64_e32 v[12:13], v[12:13], v[167:168]
	v_fma_f64 v[16:17], v[8:9], v[22:23], v[16:17]
	v_fma_f64 v[22:23], v[6:7], v[22:23], -v[24:25]
	ds_load_b128 v[6:9], v1 offset:1968
	s_wait_loadcnt_dscnt 0x201
	v_mul_f64_e32 v[14:15], v[2:3], v[28:29]
	v_mul_f64_e32 v[20:21], v[4:5], v[28:29]
	s_wait_loadcnt_dscnt 0x100
	v_mul_f64_e32 v[24:25], v[8:9], v[32:33]
	v_add_f64_e32 v[10:11], v[10:11], v[18:19]
	v_add_f64_e32 v[12:13], v[12:13], v[38:39]
	v_mul_f64_e32 v[18:19], v[6:7], v[32:33]
	v_fma_f64 v[4:5], v[4:5], v[26:27], v[14:15]
	v_fma_f64 v[1:2], v[2:3], v[26:27], -v[20:21]
	v_fma_f64 v[6:7], v[6:7], v[30:31], -v[24:25]
	v_add_f64_e32 v[10:11], v[10:11], v[22:23]
	v_add_f64_e32 v[12:13], v[12:13], v[16:17]
	v_fma_f64 v[8:9], v[8:9], v[30:31], v[18:19]
	s_delay_alu instid0(VALU_DEP_3) | instskip(NEXT) | instid1(VALU_DEP_3)
	v_add_f64_e32 v[1:2], v[10:11], v[1:2]
	v_add_f64_e32 v[3:4], v[12:13], v[4:5]
	s_delay_alu instid0(VALU_DEP_2) | instskip(NEXT) | instid1(VALU_DEP_2)
	v_add_f64_e32 v[1:2], v[1:2], v[6:7]
	v_add_f64_e32 v[3:4], v[3:4], v[8:9]
	s_wait_loadcnt 0x0
	s_delay_alu instid0(VALU_DEP_2) | instskip(NEXT) | instid1(VALU_DEP_2)
	v_add_f64_e64 v[1:2], v[34:35], -v[1:2]
	v_add_f64_e64 v[3:4], v[36:37], -v[3:4]
	scratch_store_b128 off, v[1:4], off offset:224
	v_cmpx_lt_u32_e32 12, v0
	s_cbranch_execz .LBB61_373
; %bb.372:
	scratch_load_b128 v[1:4], off, s65
	v_mov_b32_e32 v5, 0
	s_delay_alu instid0(VALU_DEP_1)
	v_dual_mov_b32 v6, v5 :: v_dual_mov_b32 v7, v5
	v_mov_b32_e32 v8, v5
	scratch_store_b128 off, v[5:8], off offset:208
	s_wait_loadcnt 0x0
	ds_store_b128 v166, v[1:4]
.LBB61_373:
	s_wait_alu 0xfffe
	s_or_b32 exec_lo, exec_lo, s0
	s_wait_storecnt_dscnt 0x0
	s_barrier_signal -1
	s_barrier_wait -1
	global_inv scope:SCOPE_SE
	s_clause 0x7
	scratch_load_b128 v[2:5], off, off offset:224
	scratch_load_b128 v[6:9], off, off offset:240
	scratch_load_b128 v[10:13], off, off offset:256
	scratch_load_b128 v[14:17], off, off offset:272
	scratch_load_b128 v[18:21], off, off offset:288
	scratch_load_b128 v[22:25], off, off offset:304
	scratch_load_b128 v[26:29], off, off offset:320
	scratch_load_b128 v[30:33], off, off offset:336
	v_mov_b32_e32 v1, 0
	s_clause 0x1
	scratch_load_b128 v[34:37], off, off offset:352
	scratch_load_b128 v[171:174], off, off offset:368
	s_mov_b32 s0, exec_lo
	ds_load_b128 v[38:41], v1 offset:1200
	ds_load_b128 v[167:170], v1 offset:1216
	s_wait_loadcnt_dscnt 0x901
	v_mul_f64_e32 v[175:176], v[40:41], v[4:5]
	v_mul_f64_e32 v[4:5], v[38:39], v[4:5]
	s_wait_loadcnt_dscnt 0x800
	v_mul_f64_e32 v[177:178], v[167:168], v[8:9]
	v_mul_f64_e32 v[8:9], v[169:170], v[8:9]
	s_delay_alu instid0(VALU_DEP_4) | instskip(NEXT) | instid1(VALU_DEP_4)
	v_fma_f64 v[175:176], v[38:39], v[2:3], -v[175:176]
	v_fma_f64 v[179:180], v[40:41], v[2:3], v[4:5]
	ds_load_b128 v[2:5], v1 offset:1232
	scratch_load_b128 v[38:41], off, off offset:384
	v_fma_f64 v[177:178], v[169:170], v[6:7], v[177:178]
	v_fma_f64 v[183:184], v[167:168], v[6:7], -v[8:9]
	ds_load_b128 v[6:9], v1 offset:1248
	scratch_load_b128 v[167:170], off, off offset:400
	s_wait_loadcnt_dscnt 0x901
	v_mul_f64_e32 v[181:182], v[2:3], v[12:13]
	v_mul_f64_e32 v[12:13], v[4:5], v[12:13]
	s_wait_loadcnt_dscnt 0x800
	v_mul_f64_e32 v[185:186], v[6:7], v[16:17]
	v_mul_f64_e32 v[16:17], v[8:9], v[16:17]
	v_add_f64_e32 v[175:176], 0, v[175:176]
	v_add_f64_e32 v[179:180], 0, v[179:180]
	v_fma_f64 v[181:182], v[4:5], v[10:11], v[181:182]
	v_fma_f64 v[187:188], v[2:3], v[10:11], -v[12:13]
	ds_load_b128 v[2:5], v1 offset:1264
	scratch_load_b128 v[10:13], off, off offset:416
	v_add_f64_e32 v[175:176], v[175:176], v[183:184]
	v_add_f64_e32 v[177:178], v[179:180], v[177:178]
	v_fma_f64 v[183:184], v[8:9], v[14:15], v[185:186]
	v_fma_f64 v[185:186], v[6:7], v[14:15], -v[16:17]
	ds_load_b128 v[6:9], v1 offset:1280
	scratch_load_b128 v[14:17], off, off offset:432
	s_wait_loadcnt_dscnt 0x901
	v_mul_f64_e32 v[179:180], v[2:3], v[20:21]
	v_mul_f64_e32 v[20:21], v[4:5], v[20:21]
	v_add_f64_e32 v[175:176], v[175:176], v[187:188]
	v_add_f64_e32 v[177:178], v[177:178], v[181:182]
	s_wait_loadcnt_dscnt 0x800
	v_mul_f64_e32 v[181:182], v[6:7], v[24:25]
	v_mul_f64_e32 v[24:25], v[8:9], v[24:25]
	v_fma_f64 v[179:180], v[4:5], v[18:19], v[179:180]
	v_fma_f64 v[187:188], v[2:3], v[18:19], -v[20:21]
	ds_load_b128 v[2:5], v1 offset:1296
	scratch_load_b128 v[18:21], off, off offset:448
	v_add_f64_e32 v[175:176], v[175:176], v[185:186]
	v_add_f64_e32 v[177:178], v[177:178], v[183:184]
	v_fma_f64 v[181:182], v[8:9], v[22:23], v[181:182]
	v_fma_f64 v[185:186], v[6:7], v[22:23], -v[24:25]
	ds_load_b128 v[6:9], v1 offset:1312
	s_wait_loadcnt_dscnt 0x801
	v_mul_f64_e32 v[183:184], v[2:3], v[28:29]
	v_mul_f64_e32 v[28:29], v[4:5], v[28:29]
	scratch_load_b128 v[22:25], off, off offset:464
	v_add_f64_e32 v[175:176], v[175:176], v[187:188]
	v_add_f64_e32 v[177:178], v[177:178], v[179:180]
	s_wait_loadcnt_dscnt 0x800
	v_mul_f64_e32 v[179:180], v[6:7], v[32:33]
	v_mul_f64_e32 v[32:33], v[8:9], v[32:33]
	v_fma_f64 v[183:184], v[4:5], v[26:27], v[183:184]
	v_fma_f64 v[187:188], v[2:3], v[26:27], -v[28:29]
	ds_load_b128 v[2:5], v1 offset:1328
	scratch_load_b128 v[26:29], off, off offset:480
	v_add_f64_e32 v[175:176], v[175:176], v[185:186]
	v_add_f64_e32 v[177:178], v[177:178], v[181:182]
	v_fma_f64 v[179:180], v[8:9], v[30:31], v[179:180]
	v_fma_f64 v[185:186], v[6:7], v[30:31], -v[32:33]
	ds_load_b128 v[6:9], v1 offset:1344
	s_wait_loadcnt_dscnt 0x801
	v_mul_f64_e32 v[181:182], v[2:3], v[36:37]
	v_mul_f64_e32 v[36:37], v[4:5], v[36:37]
	scratch_load_b128 v[30:33], off, off offset:496
	v_add_f64_e32 v[175:176], v[175:176], v[187:188]
	v_add_f64_e32 v[177:178], v[177:178], v[183:184]
	s_wait_loadcnt_dscnt 0x800
	v_mul_f64_e32 v[183:184], v[6:7], v[173:174]
	v_mul_f64_e32 v[173:174], v[8:9], v[173:174]
	v_fma_f64 v[181:182], v[4:5], v[34:35], v[181:182]
	v_fma_f64 v[187:188], v[2:3], v[34:35], -v[36:37]
	ds_load_b128 v[2:5], v1 offset:1360
	scratch_load_b128 v[34:37], off, off offset:512
	v_add_f64_e32 v[175:176], v[175:176], v[185:186]
	v_add_f64_e32 v[177:178], v[177:178], v[179:180]
	v_fma_f64 v[183:184], v[8:9], v[171:172], v[183:184]
	v_fma_f64 v[185:186], v[6:7], v[171:172], -v[173:174]
	ds_load_b128 v[6:9], v1 offset:1376
	scratch_load_b128 v[171:174], off, off offset:528
	s_wait_loadcnt_dscnt 0x901
	v_mul_f64_e32 v[179:180], v[2:3], v[40:41]
	v_mul_f64_e32 v[40:41], v[4:5], v[40:41]
	v_add_f64_e32 v[175:176], v[175:176], v[187:188]
	v_add_f64_e32 v[177:178], v[177:178], v[181:182]
	s_wait_loadcnt_dscnt 0x800
	v_mul_f64_e32 v[181:182], v[6:7], v[169:170]
	v_mul_f64_e32 v[169:170], v[8:9], v[169:170]
	v_fma_f64 v[179:180], v[4:5], v[38:39], v[179:180]
	v_fma_f64 v[187:188], v[2:3], v[38:39], -v[40:41]
	ds_load_b128 v[2:5], v1 offset:1392
	scratch_load_b128 v[38:41], off, off offset:544
	v_add_f64_e32 v[175:176], v[175:176], v[185:186]
	v_add_f64_e32 v[177:178], v[177:178], v[183:184]
	v_fma_f64 v[181:182], v[8:9], v[167:168], v[181:182]
	v_fma_f64 v[185:186], v[6:7], v[167:168], -v[169:170]
	ds_load_b128 v[6:9], v1 offset:1408
	s_wait_loadcnt_dscnt 0x801
	v_mul_f64_e32 v[183:184], v[2:3], v[12:13]
	v_mul_f64_e32 v[12:13], v[4:5], v[12:13]
	scratch_load_b128 v[167:170], off, off offset:560
	v_add_f64_e32 v[175:176], v[175:176], v[187:188]
	v_add_f64_e32 v[177:178], v[177:178], v[179:180]
	s_wait_loadcnt_dscnt 0x800
	v_mul_f64_e32 v[179:180], v[6:7], v[16:17]
	v_mul_f64_e32 v[16:17], v[8:9], v[16:17]
	v_fma_f64 v[183:184], v[4:5], v[10:11], v[183:184]
	v_fma_f64 v[187:188], v[2:3], v[10:11], -v[12:13]
	ds_load_b128 v[2:5], v1 offset:1424
	scratch_load_b128 v[10:13], off, off offset:576
	v_add_f64_e32 v[175:176], v[175:176], v[185:186]
	v_add_f64_e32 v[177:178], v[177:178], v[181:182]
	v_fma_f64 v[179:180], v[8:9], v[14:15], v[179:180]
	v_fma_f64 v[185:186], v[6:7], v[14:15], -v[16:17]
	ds_load_b128 v[6:9], v1 offset:1440
	s_wait_loadcnt_dscnt 0x801
	v_mul_f64_e32 v[181:182], v[2:3], v[20:21]
	v_mul_f64_e32 v[20:21], v[4:5], v[20:21]
	scratch_load_b128 v[14:17], off, off offset:592
	;; [unrolled: 18-line block ×14, first 2 shown]
	v_add_f64_e32 v[175:176], v[175:176], v[187:188]
	v_add_f64_e32 v[177:178], v[177:178], v[183:184]
	s_wait_loadcnt_dscnt 0x800
	v_mul_f64_e32 v[183:184], v[6:7], v[173:174]
	v_mul_f64_e32 v[173:174], v[8:9], v[173:174]
	v_fma_f64 v[181:182], v[4:5], v[34:35], v[181:182]
	v_fma_f64 v[187:188], v[2:3], v[34:35], -v[36:37]
	ds_load_b128 v[2:5], v1 offset:1840
	scratch_load_b128 v[34:37], off, off offset:992
	v_add_f64_e32 v[175:176], v[175:176], v[185:186]
	v_add_f64_e32 v[177:178], v[177:178], v[179:180]
	v_fma_f64 v[183:184], v[8:9], v[171:172], v[183:184]
	v_fma_f64 v[171:172], v[6:7], v[171:172], -v[173:174]
	ds_load_b128 v[6:9], v1 offset:1856
	s_wait_loadcnt_dscnt 0x801
	v_mul_f64_e32 v[179:180], v[2:3], v[40:41]
	v_mul_f64_e32 v[40:41], v[4:5], v[40:41]
	v_add_f64_e32 v[173:174], v[175:176], v[187:188]
	v_add_f64_e32 v[175:176], v[177:178], v[181:182]
	s_wait_loadcnt_dscnt 0x700
	v_mul_f64_e32 v[177:178], v[6:7], v[169:170]
	v_mul_f64_e32 v[169:170], v[8:9], v[169:170]
	v_fma_f64 v[179:180], v[4:5], v[38:39], v[179:180]
	v_fma_f64 v[38:39], v[2:3], v[38:39], -v[40:41]
	ds_load_b128 v[2:5], v1 offset:1872
	v_add_f64_e32 v[40:41], v[173:174], v[171:172]
	v_add_f64_e32 v[171:172], v[175:176], v[183:184]
	v_fma_f64 v[175:176], v[8:9], v[167:168], v[177:178]
	v_fma_f64 v[167:168], v[6:7], v[167:168], -v[169:170]
	ds_load_b128 v[6:9], v1 offset:1888
	s_wait_loadcnt_dscnt 0x500
	v_mul_f64_e32 v[177:178], v[6:7], v[16:17]
	v_mul_f64_e32 v[16:17], v[8:9], v[16:17]
	v_add_f64_e32 v[169:170], v[40:41], v[38:39]
	v_add_f64_e32 v[171:172], v[171:172], v[179:180]
	scratch_load_b128 v[38:41], off, off offset:208
	v_mul_f64_e32 v[173:174], v[2:3], v[12:13]
	v_mul_f64_e32 v[12:13], v[4:5], v[12:13]
	s_delay_alu instid0(VALU_DEP_2) | instskip(NEXT) | instid1(VALU_DEP_2)
	v_fma_f64 v[173:174], v[4:5], v[10:11], v[173:174]
	v_fma_f64 v[10:11], v[2:3], v[10:11], -v[12:13]
	v_add_f64_e32 v[12:13], v[169:170], v[167:168]
	v_add_f64_e32 v[167:168], v[171:172], v[175:176]
	ds_load_b128 v[2:5], v1 offset:1904
	v_fma_f64 v[171:172], v[8:9], v[14:15], v[177:178]
	v_fma_f64 v[14:15], v[6:7], v[14:15], -v[16:17]
	ds_load_b128 v[6:9], v1 offset:1920
	s_wait_loadcnt_dscnt 0x501
	v_mul_f64_e32 v[169:170], v[2:3], v[20:21]
	v_mul_f64_e32 v[20:21], v[4:5], v[20:21]
	s_wait_loadcnt_dscnt 0x400
	v_mul_f64_e32 v[16:17], v[6:7], v[24:25]
	v_mul_f64_e32 v[24:25], v[8:9], v[24:25]
	v_add_f64_e32 v[10:11], v[12:13], v[10:11]
	v_add_f64_e32 v[12:13], v[167:168], v[173:174]
	v_fma_f64 v[167:168], v[4:5], v[18:19], v[169:170]
	v_fma_f64 v[18:19], v[2:3], v[18:19], -v[20:21]
	ds_load_b128 v[2:5], v1 offset:1936
	v_fma_f64 v[16:17], v[8:9], v[22:23], v[16:17]
	v_fma_f64 v[22:23], v[6:7], v[22:23], -v[24:25]
	ds_load_b128 v[6:9], v1 offset:1952
	v_add_f64_e32 v[10:11], v[10:11], v[14:15]
	v_add_f64_e32 v[12:13], v[12:13], v[171:172]
	s_wait_loadcnt_dscnt 0x301
	v_mul_f64_e32 v[14:15], v[2:3], v[28:29]
	v_mul_f64_e32 v[20:21], v[4:5], v[28:29]
	s_wait_loadcnt_dscnt 0x200
	v_mul_f64_e32 v[24:25], v[8:9], v[32:33]
	v_add_f64_e32 v[10:11], v[10:11], v[18:19]
	v_add_f64_e32 v[12:13], v[12:13], v[167:168]
	v_mul_f64_e32 v[18:19], v[6:7], v[32:33]
	v_fma_f64 v[14:15], v[4:5], v[26:27], v[14:15]
	v_fma_f64 v[20:21], v[2:3], v[26:27], -v[20:21]
	ds_load_b128 v[2:5], v1 offset:1968
	v_fma_f64 v[6:7], v[6:7], v[30:31], -v[24:25]
	v_add_f64_e32 v[10:11], v[10:11], v[22:23]
	v_add_f64_e32 v[12:13], v[12:13], v[16:17]
	s_wait_loadcnt_dscnt 0x100
	v_mul_f64_e32 v[16:17], v[2:3], v[36:37]
	v_mul_f64_e32 v[22:23], v[4:5], v[36:37]
	v_fma_f64 v[8:9], v[8:9], v[30:31], v[18:19]
	v_add_f64_e32 v[10:11], v[10:11], v[20:21]
	v_add_f64_e32 v[12:13], v[12:13], v[14:15]
	v_fma_f64 v[4:5], v[4:5], v[34:35], v[16:17]
	v_fma_f64 v[2:3], v[2:3], v[34:35], -v[22:23]
	s_delay_alu instid0(VALU_DEP_4) | instskip(NEXT) | instid1(VALU_DEP_4)
	v_add_f64_e32 v[6:7], v[10:11], v[6:7]
	v_add_f64_e32 v[8:9], v[12:13], v[8:9]
	s_delay_alu instid0(VALU_DEP_2) | instskip(NEXT) | instid1(VALU_DEP_2)
	v_add_f64_e32 v[2:3], v[6:7], v[2:3]
	v_add_f64_e32 v[4:5], v[8:9], v[4:5]
	s_wait_loadcnt 0x0
	s_delay_alu instid0(VALU_DEP_2) | instskip(NEXT) | instid1(VALU_DEP_2)
	v_add_f64_e64 v[2:3], v[38:39], -v[2:3]
	v_add_f64_e64 v[4:5], v[40:41], -v[4:5]
	scratch_store_b128 off, v[2:5], off offset:208
	v_cmpx_lt_u32_e32 11, v0
	s_cbranch_execz .LBB61_375
; %bb.374:
	scratch_load_b128 v[5:8], off, s66
	v_dual_mov_b32 v2, v1 :: v_dual_mov_b32 v3, v1
	v_mov_b32_e32 v4, v1
	scratch_store_b128 off, v[1:4], off offset:192
	s_wait_loadcnt 0x0
	ds_store_b128 v166, v[5:8]
.LBB61_375:
	s_wait_alu 0xfffe
	s_or_b32 exec_lo, exec_lo, s0
	s_wait_storecnt_dscnt 0x0
	s_barrier_signal -1
	s_barrier_wait -1
	global_inv scope:SCOPE_SE
	s_clause 0x7
	scratch_load_b128 v[2:5], off, off offset:208
	scratch_load_b128 v[6:9], off, off offset:224
	;; [unrolled: 1-line block ×8, first 2 shown]
	ds_load_b128 v[38:41], v1 offset:1184
	ds_load_b128 v[167:170], v1 offset:1200
	s_clause 0x1
	scratch_load_b128 v[34:37], off, off offset:336
	scratch_load_b128 v[171:174], off, off offset:352
	s_mov_b32 s0, exec_lo
	s_wait_loadcnt_dscnt 0x901
	v_mul_f64_e32 v[175:176], v[40:41], v[4:5]
	v_mul_f64_e32 v[4:5], v[38:39], v[4:5]
	s_wait_loadcnt_dscnt 0x800
	v_mul_f64_e32 v[177:178], v[167:168], v[8:9]
	v_mul_f64_e32 v[8:9], v[169:170], v[8:9]
	s_delay_alu instid0(VALU_DEP_4) | instskip(NEXT) | instid1(VALU_DEP_4)
	v_fma_f64 v[175:176], v[38:39], v[2:3], -v[175:176]
	v_fma_f64 v[179:180], v[40:41], v[2:3], v[4:5]
	ds_load_b128 v[2:5], v1 offset:1216
	scratch_load_b128 v[38:41], off, off offset:368
	v_fma_f64 v[177:178], v[169:170], v[6:7], v[177:178]
	v_fma_f64 v[183:184], v[167:168], v[6:7], -v[8:9]
	ds_load_b128 v[6:9], v1 offset:1232
	scratch_load_b128 v[167:170], off, off offset:384
	s_wait_loadcnt_dscnt 0x901
	v_mul_f64_e32 v[181:182], v[2:3], v[12:13]
	v_mul_f64_e32 v[12:13], v[4:5], v[12:13]
	s_wait_loadcnt_dscnt 0x800
	v_mul_f64_e32 v[185:186], v[6:7], v[16:17]
	v_mul_f64_e32 v[16:17], v[8:9], v[16:17]
	v_add_f64_e32 v[175:176], 0, v[175:176]
	v_add_f64_e32 v[179:180], 0, v[179:180]
	v_fma_f64 v[181:182], v[4:5], v[10:11], v[181:182]
	v_fma_f64 v[187:188], v[2:3], v[10:11], -v[12:13]
	ds_load_b128 v[2:5], v1 offset:1248
	scratch_load_b128 v[10:13], off, off offset:400
	v_add_f64_e32 v[175:176], v[175:176], v[183:184]
	v_add_f64_e32 v[177:178], v[179:180], v[177:178]
	v_fma_f64 v[183:184], v[8:9], v[14:15], v[185:186]
	v_fma_f64 v[185:186], v[6:7], v[14:15], -v[16:17]
	ds_load_b128 v[6:9], v1 offset:1264
	scratch_load_b128 v[14:17], off, off offset:416
	s_wait_loadcnt_dscnt 0x901
	v_mul_f64_e32 v[179:180], v[2:3], v[20:21]
	v_mul_f64_e32 v[20:21], v[4:5], v[20:21]
	v_add_f64_e32 v[175:176], v[175:176], v[187:188]
	v_add_f64_e32 v[177:178], v[177:178], v[181:182]
	s_wait_loadcnt_dscnt 0x800
	v_mul_f64_e32 v[181:182], v[6:7], v[24:25]
	v_mul_f64_e32 v[24:25], v[8:9], v[24:25]
	v_fma_f64 v[179:180], v[4:5], v[18:19], v[179:180]
	v_fma_f64 v[187:188], v[2:3], v[18:19], -v[20:21]
	ds_load_b128 v[2:5], v1 offset:1280
	scratch_load_b128 v[18:21], off, off offset:432
	v_add_f64_e32 v[175:176], v[175:176], v[185:186]
	v_add_f64_e32 v[177:178], v[177:178], v[183:184]
	v_fma_f64 v[181:182], v[8:9], v[22:23], v[181:182]
	v_fma_f64 v[185:186], v[6:7], v[22:23], -v[24:25]
	ds_load_b128 v[6:9], v1 offset:1296
	s_wait_loadcnt_dscnt 0x801
	v_mul_f64_e32 v[183:184], v[2:3], v[28:29]
	v_mul_f64_e32 v[28:29], v[4:5], v[28:29]
	scratch_load_b128 v[22:25], off, off offset:448
	v_add_f64_e32 v[175:176], v[175:176], v[187:188]
	v_add_f64_e32 v[177:178], v[177:178], v[179:180]
	s_wait_loadcnt_dscnt 0x800
	v_mul_f64_e32 v[179:180], v[6:7], v[32:33]
	v_mul_f64_e32 v[32:33], v[8:9], v[32:33]
	v_fma_f64 v[183:184], v[4:5], v[26:27], v[183:184]
	v_fma_f64 v[187:188], v[2:3], v[26:27], -v[28:29]
	ds_load_b128 v[2:5], v1 offset:1312
	scratch_load_b128 v[26:29], off, off offset:464
	v_add_f64_e32 v[175:176], v[175:176], v[185:186]
	v_add_f64_e32 v[177:178], v[177:178], v[181:182]
	v_fma_f64 v[179:180], v[8:9], v[30:31], v[179:180]
	v_fma_f64 v[185:186], v[6:7], v[30:31], -v[32:33]
	ds_load_b128 v[6:9], v1 offset:1328
	s_wait_loadcnt_dscnt 0x801
	v_mul_f64_e32 v[181:182], v[2:3], v[36:37]
	v_mul_f64_e32 v[36:37], v[4:5], v[36:37]
	scratch_load_b128 v[30:33], off, off offset:480
	v_add_f64_e32 v[175:176], v[175:176], v[187:188]
	v_add_f64_e32 v[177:178], v[177:178], v[183:184]
	s_wait_loadcnt_dscnt 0x800
	v_mul_f64_e32 v[183:184], v[6:7], v[173:174]
	v_mul_f64_e32 v[173:174], v[8:9], v[173:174]
	v_fma_f64 v[181:182], v[4:5], v[34:35], v[181:182]
	v_fma_f64 v[187:188], v[2:3], v[34:35], -v[36:37]
	ds_load_b128 v[2:5], v1 offset:1344
	scratch_load_b128 v[34:37], off, off offset:496
	v_add_f64_e32 v[175:176], v[175:176], v[185:186]
	v_add_f64_e32 v[177:178], v[177:178], v[179:180]
	v_fma_f64 v[183:184], v[8:9], v[171:172], v[183:184]
	v_fma_f64 v[185:186], v[6:7], v[171:172], -v[173:174]
	ds_load_b128 v[6:9], v1 offset:1360
	scratch_load_b128 v[171:174], off, off offset:512
	s_wait_loadcnt_dscnt 0x901
	v_mul_f64_e32 v[179:180], v[2:3], v[40:41]
	v_mul_f64_e32 v[40:41], v[4:5], v[40:41]
	v_add_f64_e32 v[175:176], v[175:176], v[187:188]
	v_add_f64_e32 v[177:178], v[177:178], v[181:182]
	s_wait_loadcnt_dscnt 0x800
	v_mul_f64_e32 v[181:182], v[6:7], v[169:170]
	v_mul_f64_e32 v[169:170], v[8:9], v[169:170]
	v_fma_f64 v[179:180], v[4:5], v[38:39], v[179:180]
	v_fma_f64 v[187:188], v[2:3], v[38:39], -v[40:41]
	ds_load_b128 v[2:5], v1 offset:1376
	scratch_load_b128 v[38:41], off, off offset:528
	v_add_f64_e32 v[175:176], v[175:176], v[185:186]
	v_add_f64_e32 v[177:178], v[177:178], v[183:184]
	v_fma_f64 v[181:182], v[8:9], v[167:168], v[181:182]
	v_fma_f64 v[185:186], v[6:7], v[167:168], -v[169:170]
	ds_load_b128 v[6:9], v1 offset:1392
	s_wait_loadcnt_dscnt 0x801
	v_mul_f64_e32 v[183:184], v[2:3], v[12:13]
	v_mul_f64_e32 v[12:13], v[4:5], v[12:13]
	scratch_load_b128 v[167:170], off, off offset:544
	v_add_f64_e32 v[175:176], v[175:176], v[187:188]
	v_add_f64_e32 v[177:178], v[177:178], v[179:180]
	s_wait_loadcnt_dscnt 0x800
	v_mul_f64_e32 v[179:180], v[6:7], v[16:17]
	v_mul_f64_e32 v[16:17], v[8:9], v[16:17]
	v_fma_f64 v[183:184], v[4:5], v[10:11], v[183:184]
	v_fma_f64 v[187:188], v[2:3], v[10:11], -v[12:13]
	ds_load_b128 v[2:5], v1 offset:1408
	scratch_load_b128 v[10:13], off, off offset:560
	v_add_f64_e32 v[175:176], v[175:176], v[185:186]
	v_add_f64_e32 v[177:178], v[177:178], v[181:182]
	v_fma_f64 v[179:180], v[8:9], v[14:15], v[179:180]
	v_fma_f64 v[185:186], v[6:7], v[14:15], -v[16:17]
	ds_load_b128 v[6:9], v1 offset:1424
	s_wait_loadcnt_dscnt 0x801
	v_mul_f64_e32 v[181:182], v[2:3], v[20:21]
	v_mul_f64_e32 v[20:21], v[4:5], v[20:21]
	scratch_load_b128 v[14:17], off, off offset:576
	;; [unrolled: 18-line block ×6, first 2 shown]
	v_add_f64_e32 v[175:176], v[175:176], v[187:188]
	v_add_f64_e32 v[177:178], v[177:178], v[181:182]
	s_wait_loadcnt_dscnt 0x800
	v_mul_f64_e32 v[181:182], v[6:7], v[16:17]
	v_mul_f64_e32 v[16:17], v[8:9], v[16:17]
	v_fma_f64 v[179:180], v[4:5], v[10:11], v[179:180]
	v_fma_f64 v[187:188], v[2:3], v[10:11], -v[12:13]
	scratch_load_b128 v[10:13], off, off offset:720
	ds_load_b128 v[2:5], v1 offset:1568
	v_add_f64_e32 v[175:176], v[175:176], v[185:186]
	v_add_f64_e32 v[177:178], v[177:178], v[183:184]
	v_fma_f64 v[181:182], v[8:9], v[14:15], v[181:182]
	v_fma_f64 v[185:186], v[6:7], v[14:15], -v[16:17]
	ds_load_b128 v[6:9], v1 offset:1584
	s_wait_loadcnt_dscnt 0x801
	v_mul_f64_e32 v[183:184], v[2:3], v[20:21]
	v_mul_f64_e32 v[20:21], v[4:5], v[20:21]
	scratch_load_b128 v[14:17], off, off offset:736
	v_add_f64_e32 v[175:176], v[175:176], v[187:188]
	v_add_f64_e32 v[177:178], v[177:178], v[179:180]
	s_wait_loadcnt_dscnt 0x800
	v_mul_f64_e32 v[179:180], v[6:7], v[24:25]
	v_mul_f64_e32 v[24:25], v[8:9], v[24:25]
	v_fma_f64 v[183:184], v[4:5], v[18:19], v[183:184]
	v_fma_f64 v[187:188], v[2:3], v[18:19], -v[20:21]
	ds_load_b128 v[2:5], v1 offset:1600
	scratch_load_b128 v[18:21], off, off offset:752
	v_add_f64_e32 v[175:176], v[175:176], v[185:186]
	v_add_f64_e32 v[177:178], v[177:178], v[181:182]
	v_fma_f64 v[179:180], v[8:9], v[22:23], v[179:180]
	v_fma_f64 v[185:186], v[6:7], v[22:23], -v[24:25]
	ds_load_b128 v[6:9], v1 offset:1616
	s_wait_loadcnt_dscnt 0x801
	v_mul_f64_e32 v[181:182], v[2:3], v[28:29]
	v_mul_f64_e32 v[28:29], v[4:5], v[28:29]
	scratch_load_b128 v[22:25], off, off offset:768
	v_add_f64_e32 v[175:176], v[175:176], v[187:188]
	v_add_f64_e32 v[177:178], v[177:178], v[183:184]
	s_wait_loadcnt_dscnt 0x800
	v_mul_f64_e32 v[183:184], v[6:7], v[32:33]
	v_mul_f64_e32 v[32:33], v[8:9], v[32:33]
	v_fma_f64 v[181:182], v[4:5], v[26:27], v[181:182]
	v_fma_f64 v[187:188], v[2:3], v[26:27], -v[28:29]
	ds_load_b128 v[2:5], v1 offset:1632
	scratch_load_b128 v[26:29], off, off offset:784
	v_add_f64_e32 v[175:176], v[175:176], v[185:186]
	v_add_f64_e32 v[177:178], v[177:178], v[179:180]
	v_fma_f64 v[183:184], v[8:9], v[30:31], v[183:184]
	v_fma_f64 v[185:186], v[6:7], v[30:31], -v[32:33]
	ds_load_b128 v[6:9], v1 offset:1648
	s_wait_loadcnt_dscnt 0x801
	v_mul_f64_e32 v[179:180], v[2:3], v[36:37]
	v_mul_f64_e32 v[36:37], v[4:5], v[36:37]
	scratch_load_b128 v[30:33], off, off offset:800
	v_add_f64_e32 v[175:176], v[175:176], v[187:188]
	v_add_f64_e32 v[177:178], v[177:178], v[181:182]
	s_wait_loadcnt_dscnt 0x800
	v_mul_f64_e32 v[181:182], v[6:7], v[173:174]
	v_mul_f64_e32 v[173:174], v[8:9], v[173:174]
	v_fma_f64 v[179:180], v[4:5], v[34:35], v[179:180]
	v_fma_f64 v[187:188], v[2:3], v[34:35], -v[36:37]
	ds_load_b128 v[2:5], v1 offset:1664
	scratch_load_b128 v[34:37], off, off offset:816
	v_add_f64_e32 v[175:176], v[175:176], v[185:186]
	v_add_f64_e32 v[177:178], v[177:178], v[183:184]
	v_fma_f64 v[181:182], v[8:9], v[171:172], v[181:182]
	v_fma_f64 v[185:186], v[6:7], v[171:172], -v[173:174]
	ds_load_b128 v[6:9], v1 offset:1680
	s_wait_loadcnt_dscnt 0x801
	v_mul_f64_e32 v[183:184], v[2:3], v[40:41]
	v_mul_f64_e32 v[40:41], v[4:5], v[40:41]
	scratch_load_b128 v[171:174], off, off offset:832
	v_add_f64_e32 v[175:176], v[175:176], v[187:188]
	v_add_f64_e32 v[177:178], v[177:178], v[179:180]
	s_wait_loadcnt_dscnt 0x800
	v_mul_f64_e32 v[179:180], v[6:7], v[169:170]
	v_mul_f64_e32 v[169:170], v[8:9], v[169:170]
	v_fma_f64 v[183:184], v[4:5], v[38:39], v[183:184]
	v_fma_f64 v[187:188], v[2:3], v[38:39], -v[40:41]
	ds_load_b128 v[2:5], v1 offset:1696
	scratch_load_b128 v[38:41], off, off offset:848
	v_add_f64_e32 v[175:176], v[175:176], v[185:186]
	v_add_f64_e32 v[177:178], v[177:178], v[181:182]
	v_fma_f64 v[179:180], v[8:9], v[167:168], v[179:180]
	v_fma_f64 v[185:186], v[6:7], v[167:168], -v[169:170]
	ds_load_b128 v[6:9], v1 offset:1712
	s_wait_loadcnt_dscnt 0x801
	v_mul_f64_e32 v[181:182], v[2:3], v[12:13]
	v_mul_f64_e32 v[12:13], v[4:5], v[12:13]
	scratch_load_b128 v[167:170], off, off offset:864
	v_add_f64_e32 v[175:176], v[175:176], v[187:188]
	v_add_f64_e32 v[177:178], v[177:178], v[183:184]
	s_wait_loadcnt_dscnt 0x800
	v_mul_f64_e32 v[183:184], v[6:7], v[16:17]
	v_mul_f64_e32 v[16:17], v[8:9], v[16:17]
	v_fma_f64 v[181:182], v[4:5], v[10:11], v[181:182]
	v_fma_f64 v[187:188], v[2:3], v[10:11], -v[12:13]
	scratch_load_b128 v[10:13], off, off offset:880
	ds_load_b128 v[2:5], v1 offset:1728
	v_add_f64_e32 v[175:176], v[175:176], v[185:186]
	v_add_f64_e32 v[177:178], v[177:178], v[179:180]
	v_fma_f64 v[183:184], v[8:9], v[14:15], v[183:184]
	v_fma_f64 v[185:186], v[6:7], v[14:15], -v[16:17]
	ds_load_b128 v[6:9], v1 offset:1744
	s_wait_loadcnt_dscnt 0x801
	v_mul_f64_e32 v[179:180], v[2:3], v[20:21]
	v_mul_f64_e32 v[20:21], v[4:5], v[20:21]
	scratch_load_b128 v[14:17], off, off offset:896
	v_add_f64_e32 v[175:176], v[175:176], v[187:188]
	v_add_f64_e32 v[177:178], v[177:178], v[181:182]
	s_wait_loadcnt_dscnt 0x800
	v_mul_f64_e32 v[181:182], v[6:7], v[24:25]
	v_mul_f64_e32 v[24:25], v[8:9], v[24:25]
	v_fma_f64 v[179:180], v[4:5], v[18:19], v[179:180]
	v_fma_f64 v[187:188], v[2:3], v[18:19], -v[20:21]
	ds_load_b128 v[2:5], v1 offset:1760
	scratch_load_b128 v[18:21], off, off offset:912
	v_add_f64_e32 v[175:176], v[175:176], v[185:186]
	v_add_f64_e32 v[177:178], v[177:178], v[183:184]
	v_fma_f64 v[181:182], v[8:9], v[22:23], v[181:182]
	v_fma_f64 v[185:186], v[6:7], v[22:23], -v[24:25]
	ds_load_b128 v[6:9], v1 offset:1776
	s_wait_loadcnt_dscnt 0x801
	v_mul_f64_e32 v[183:184], v[2:3], v[28:29]
	v_mul_f64_e32 v[28:29], v[4:5], v[28:29]
	scratch_load_b128 v[22:25], off, off offset:928
	v_add_f64_e32 v[175:176], v[175:176], v[187:188]
	v_add_f64_e32 v[177:178], v[177:178], v[179:180]
	s_wait_loadcnt_dscnt 0x800
	v_mul_f64_e32 v[179:180], v[6:7], v[32:33]
	v_mul_f64_e32 v[32:33], v[8:9], v[32:33]
	v_fma_f64 v[183:184], v[4:5], v[26:27], v[183:184]
	v_fma_f64 v[187:188], v[2:3], v[26:27], -v[28:29]
	ds_load_b128 v[2:5], v1 offset:1792
	scratch_load_b128 v[26:29], off, off offset:944
	;; [unrolled: 18-line block ×3, first 2 shown]
	v_add_f64_e32 v[175:176], v[175:176], v[185:186]
	v_add_f64_e32 v[177:178], v[177:178], v[179:180]
	v_fma_f64 v[183:184], v[8:9], v[171:172], v[183:184]
	v_fma_f64 v[185:186], v[6:7], v[171:172], -v[173:174]
	ds_load_b128 v[6:9], v1 offset:1840
	s_wait_loadcnt_dscnt 0x801
	v_mul_f64_e32 v[179:180], v[2:3], v[40:41]
	v_mul_f64_e32 v[40:41], v[4:5], v[40:41]
	scratch_load_b128 v[171:174], off, off offset:992
	v_add_f64_e32 v[175:176], v[175:176], v[187:188]
	v_add_f64_e32 v[177:178], v[177:178], v[181:182]
	v_fma_f64 v[179:180], v[4:5], v[38:39], v[179:180]
	v_fma_f64 v[38:39], v[2:3], v[38:39], -v[40:41]
	ds_load_b128 v[2:5], v1 offset:1856
	v_add_f64_e32 v[40:41], v[175:176], v[185:186]
	v_add_f64_e32 v[175:176], v[177:178], v[183:184]
	s_wait_loadcnt_dscnt 0x700
	v_mul_f64_e32 v[177:178], v[2:3], v[12:13]
	v_mul_f64_e32 v[12:13], v[4:5], v[12:13]
	s_delay_alu instid0(VALU_DEP_4) | instskip(NEXT) | instid1(VALU_DEP_4)
	v_add_f64_e32 v[38:39], v[40:41], v[38:39]
	v_add_f64_e32 v[40:41], v[175:176], v[179:180]
	s_delay_alu instid0(VALU_DEP_4) | instskip(NEXT) | instid1(VALU_DEP_4)
	v_fma_f64 v[175:176], v[4:5], v[10:11], v[177:178]
	v_fma_f64 v[177:178], v[2:3], v[10:11], -v[12:13]
	scratch_load_b128 v[10:13], off, off offset:192
	v_mul_f64_e32 v[181:182], v[6:7], v[169:170]
	v_mul_f64_e32 v[169:170], v[8:9], v[169:170]
	ds_load_b128 v[2:5], v1 offset:1888
	v_fma_f64 v[181:182], v[8:9], v[167:168], v[181:182]
	v_fma_f64 v[167:168], v[6:7], v[167:168], -v[169:170]
	ds_load_b128 v[6:9], v1 offset:1872
	s_wait_loadcnt_dscnt 0x700
	v_mul_f64_e32 v[169:170], v[6:7], v[16:17]
	v_mul_f64_e32 v[16:17], v[8:9], v[16:17]
	v_add_f64_e32 v[40:41], v[40:41], v[181:182]
	v_add_f64_e32 v[38:39], v[38:39], v[167:168]
	s_wait_loadcnt 0x6
	v_mul_f64_e32 v[167:168], v[2:3], v[20:21]
	v_mul_f64_e32 v[20:21], v[4:5], v[20:21]
	v_fma_f64 v[169:170], v[8:9], v[14:15], v[169:170]
	v_fma_f64 v[14:15], v[6:7], v[14:15], -v[16:17]
	ds_load_b128 v[6:9], v1 offset:1904
	v_add_f64_e32 v[16:17], v[38:39], v[177:178]
	v_add_f64_e32 v[38:39], v[40:41], v[175:176]
	v_fma_f64 v[167:168], v[4:5], v[18:19], v[167:168]
	v_fma_f64 v[18:19], v[2:3], v[18:19], -v[20:21]
	ds_load_b128 v[2:5], v1 offset:1920
	s_wait_loadcnt_dscnt 0x501
	v_mul_f64_e32 v[40:41], v[6:7], v[24:25]
	v_mul_f64_e32 v[24:25], v[8:9], v[24:25]
	s_wait_loadcnt_dscnt 0x400
	v_mul_f64_e32 v[20:21], v[2:3], v[28:29]
	v_mul_f64_e32 v[28:29], v[4:5], v[28:29]
	v_add_f64_e32 v[14:15], v[16:17], v[14:15]
	v_add_f64_e32 v[16:17], v[38:39], v[169:170]
	v_fma_f64 v[38:39], v[8:9], v[22:23], v[40:41]
	v_fma_f64 v[22:23], v[6:7], v[22:23], -v[24:25]
	ds_load_b128 v[6:9], v1 offset:1936
	v_fma_f64 v[20:21], v[4:5], v[26:27], v[20:21]
	v_fma_f64 v[26:27], v[2:3], v[26:27], -v[28:29]
	ds_load_b128 v[2:5], v1 offset:1952
	s_wait_loadcnt_dscnt 0x301
	v_mul_f64_e32 v[24:25], v[8:9], v[32:33]
	v_add_f64_e32 v[14:15], v[14:15], v[18:19]
	v_add_f64_e32 v[16:17], v[16:17], v[167:168]
	v_mul_f64_e32 v[18:19], v[6:7], v[32:33]
	s_wait_loadcnt_dscnt 0x200
	v_mul_f64_e32 v[28:29], v[4:5], v[36:37]
	v_fma_f64 v[24:25], v[6:7], v[30:31], -v[24:25]
	v_add_f64_e32 v[14:15], v[14:15], v[22:23]
	v_add_f64_e32 v[16:17], v[16:17], v[38:39]
	v_mul_f64_e32 v[22:23], v[2:3], v[36:37]
	v_fma_f64 v[18:19], v[8:9], v[30:31], v[18:19]
	ds_load_b128 v[6:9], v1 offset:1968
	v_fma_f64 v[1:2], v[2:3], v[34:35], -v[28:29]
	v_add_f64_e32 v[14:15], v[14:15], v[26:27]
	v_add_f64_e32 v[16:17], v[16:17], v[20:21]
	s_wait_loadcnt_dscnt 0x100
	v_mul_f64_e32 v[20:21], v[6:7], v[173:174]
	v_mul_f64_e32 v[26:27], v[8:9], v[173:174]
	v_fma_f64 v[4:5], v[4:5], v[34:35], v[22:23]
	v_add_f64_e32 v[14:15], v[14:15], v[24:25]
	v_add_f64_e32 v[16:17], v[16:17], v[18:19]
	v_fma_f64 v[8:9], v[8:9], v[171:172], v[20:21]
	v_fma_f64 v[6:7], v[6:7], v[171:172], -v[26:27]
	s_delay_alu instid0(VALU_DEP_4) | instskip(NEXT) | instid1(VALU_DEP_4)
	v_add_f64_e32 v[1:2], v[14:15], v[1:2]
	v_add_f64_e32 v[3:4], v[16:17], v[4:5]
	s_delay_alu instid0(VALU_DEP_2) | instskip(NEXT) | instid1(VALU_DEP_2)
	v_add_f64_e32 v[1:2], v[1:2], v[6:7]
	v_add_f64_e32 v[3:4], v[3:4], v[8:9]
	s_wait_loadcnt 0x0
	s_delay_alu instid0(VALU_DEP_2) | instskip(NEXT) | instid1(VALU_DEP_2)
	v_add_f64_e64 v[1:2], v[10:11], -v[1:2]
	v_add_f64_e64 v[3:4], v[12:13], -v[3:4]
	scratch_store_b128 off, v[1:4], off offset:192
	v_cmpx_lt_u32_e32 10, v0
	s_cbranch_execz .LBB61_377
; %bb.376:
	scratch_load_b128 v[1:4], off, s67
	v_mov_b32_e32 v5, 0
	s_delay_alu instid0(VALU_DEP_1)
	v_dual_mov_b32 v6, v5 :: v_dual_mov_b32 v7, v5
	v_mov_b32_e32 v8, v5
	scratch_store_b128 off, v[5:8], off offset:176
	s_wait_loadcnt 0x0
	ds_store_b128 v166, v[1:4]
.LBB61_377:
	s_wait_alu 0xfffe
	s_or_b32 exec_lo, exec_lo, s0
	s_wait_storecnt_dscnt 0x0
	s_barrier_signal -1
	s_barrier_wait -1
	global_inv scope:SCOPE_SE
	s_clause 0x7
	scratch_load_b128 v[2:5], off, off offset:192
	scratch_load_b128 v[6:9], off, off offset:208
	;; [unrolled: 1-line block ×8, first 2 shown]
	v_mov_b32_e32 v1, 0
	s_clause 0x1
	scratch_load_b128 v[34:37], off, off offset:320
	scratch_load_b128 v[171:174], off, off offset:336
	s_mov_b32 s0, exec_lo
	ds_load_b128 v[38:41], v1 offset:1168
	ds_load_b128 v[167:170], v1 offset:1184
	s_wait_loadcnt_dscnt 0x901
	v_mul_f64_e32 v[175:176], v[40:41], v[4:5]
	v_mul_f64_e32 v[4:5], v[38:39], v[4:5]
	s_wait_loadcnt_dscnt 0x800
	v_mul_f64_e32 v[177:178], v[167:168], v[8:9]
	v_mul_f64_e32 v[8:9], v[169:170], v[8:9]
	s_delay_alu instid0(VALU_DEP_4) | instskip(NEXT) | instid1(VALU_DEP_4)
	v_fma_f64 v[175:176], v[38:39], v[2:3], -v[175:176]
	v_fma_f64 v[179:180], v[40:41], v[2:3], v[4:5]
	ds_load_b128 v[2:5], v1 offset:1200
	scratch_load_b128 v[38:41], off, off offset:352
	v_fma_f64 v[177:178], v[169:170], v[6:7], v[177:178]
	v_fma_f64 v[183:184], v[167:168], v[6:7], -v[8:9]
	ds_load_b128 v[6:9], v1 offset:1216
	scratch_load_b128 v[167:170], off, off offset:368
	s_wait_loadcnt_dscnt 0x901
	v_mul_f64_e32 v[181:182], v[2:3], v[12:13]
	v_mul_f64_e32 v[12:13], v[4:5], v[12:13]
	s_wait_loadcnt_dscnt 0x800
	v_mul_f64_e32 v[185:186], v[6:7], v[16:17]
	v_mul_f64_e32 v[16:17], v[8:9], v[16:17]
	v_add_f64_e32 v[175:176], 0, v[175:176]
	v_add_f64_e32 v[179:180], 0, v[179:180]
	v_fma_f64 v[181:182], v[4:5], v[10:11], v[181:182]
	v_fma_f64 v[187:188], v[2:3], v[10:11], -v[12:13]
	ds_load_b128 v[2:5], v1 offset:1232
	scratch_load_b128 v[10:13], off, off offset:384
	v_add_f64_e32 v[175:176], v[175:176], v[183:184]
	v_add_f64_e32 v[177:178], v[179:180], v[177:178]
	v_fma_f64 v[183:184], v[8:9], v[14:15], v[185:186]
	v_fma_f64 v[185:186], v[6:7], v[14:15], -v[16:17]
	ds_load_b128 v[6:9], v1 offset:1248
	scratch_load_b128 v[14:17], off, off offset:400
	s_wait_loadcnt_dscnt 0x901
	v_mul_f64_e32 v[179:180], v[2:3], v[20:21]
	v_mul_f64_e32 v[20:21], v[4:5], v[20:21]
	v_add_f64_e32 v[175:176], v[175:176], v[187:188]
	v_add_f64_e32 v[177:178], v[177:178], v[181:182]
	s_wait_loadcnt_dscnt 0x800
	v_mul_f64_e32 v[181:182], v[6:7], v[24:25]
	v_mul_f64_e32 v[24:25], v[8:9], v[24:25]
	v_fma_f64 v[179:180], v[4:5], v[18:19], v[179:180]
	v_fma_f64 v[187:188], v[2:3], v[18:19], -v[20:21]
	ds_load_b128 v[2:5], v1 offset:1264
	scratch_load_b128 v[18:21], off, off offset:416
	v_add_f64_e32 v[175:176], v[175:176], v[185:186]
	v_add_f64_e32 v[177:178], v[177:178], v[183:184]
	v_fma_f64 v[181:182], v[8:9], v[22:23], v[181:182]
	v_fma_f64 v[185:186], v[6:7], v[22:23], -v[24:25]
	ds_load_b128 v[6:9], v1 offset:1280
	s_wait_loadcnt_dscnt 0x801
	v_mul_f64_e32 v[183:184], v[2:3], v[28:29]
	v_mul_f64_e32 v[28:29], v[4:5], v[28:29]
	scratch_load_b128 v[22:25], off, off offset:432
	v_add_f64_e32 v[175:176], v[175:176], v[187:188]
	v_add_f64_e32 v[177:178], v[177:178], v[179:180]
	s_wait_loadcnt_dscnt 0x800
	v_mul_f64_e32 v[179:180], v[6:7], v[32:33]
	v_mul_f64_e32 v[32:33], v[8:9], v[32:33]
	v_fma_f64 v[183:184], v[4:5], v[26:27], v[183:184]
	v_fma_f64 v[187:188], v[2:3], v[26:27], -v[28:29]
	ds_load_b128 v[2:5], v1 offset:1296
	scratch_load_b128 v[26:29], off, off offset:448
	v_add_f64_e32 v[175:176], v[175:176], v[185:186]
	v_add_f64_e32 v[177:178], v[177:178], v[181:182]
	v_fma_f64 v[179:180], v[8:9], v[30:31], v[179:180]
	v_fma_f64 v[185:186], v[6:7], v[30:31], -v[32:33]
	ds_load_b128 v[6:9], v1 offset:1312
	s_wait_loadcnt_dscnt 0x801
	v_mul_f64_e32 v[181:182], v[2:3], v[36:37]
	v_mul_f64_e32 v[36:37], v[4:5], v[36:37]
	scratch_load_b128 v[30:33], off, off offset:464
	v_add_f64_e32 v[175:176], v[175:176], v[187:188]
	v_add_f64_e32 v[177:178], v[177:178], v[183:184]
	s_wait_loadcnt_dscnt 0x800
	v_mul_f64_e32 v[183:184], v[6:7], v[173:174]
	v_mul_f64_e32 v[173:174], v[8:9], v[173:174]
	v_fma_f64 v[181:182], v[4:5], v[34:35], v[181:182]
	v_fma_f64 v[187:188], v[2:3], v[34:35], -v[36:37]
	ds_load_b128 v[2:5], v1 offset:1328
	scratch_load_b128 v[34:37], off, off offset:480
	v_add_f64_e32 v[175:176], v[175:176], v[185:186]
	v_add_f64_e32 v[177:178], v[177:178], v[179:180]
	v_fma_f64 v[183:184], v[8:9], v[171:172], v[183:184]
	v_fma_f64 v[185:186], v[6:7], v[171:172], -v[173:174]
	ds_load_b128 v[6:9], v1 offset:1344
	scratch_load_b128 v[171:174], off, off offset:496
	s_wait_loadcnt_dscnt 0x901
	v_mul_f64_e32 v[179:180], v[2:3], v[40:41]
	v_mul_f64_e32 v[40:41], v[4:5], v[40:41]
	v_add_f64_e32 v[175:176], v[175:176], v[187:188]
	v_add_f64_e32 v[177:178], v[177:178], v[181:182]
	s_wait_loadcnt_dscnt 0x800
	v_mul_f64_e32 v[181:182], v[6:7], v[169:170]
	v_mul_f64_e32 v[169:170], v[8:9], v[169:170]
	v_fma_f64 v[179:180], v[4:5], v[38:39], v[179:180]
	v_fma_f64 v[187:188], v[2:3], v[38:39], -v[40:41]
	ds_load_b128 v[2:5], v1 offset:1360
	scratch_load_b128 v[38:41], off, off offset:512
	v_add_f64_e32 v[175:176], v[175:176], v[185:186]
	v_add_f64_e32 v[177:178], v[177:178], v[183:184]
	v_fma_f64 v[181:182], v[8:9], v[167:168], v[181:182]
	v_fma_f64 v[185:186], v[6:7], v[167:168], -v[169:170]
	ds_load_b128 v[6:9], v1 offset:1376
	s_wait_loadcnt_dscnt 0x801
	v_mul_f64_e32 v[183:184], v[2:3], v[12:13]
	v_mul_f64_e32 v[12:13], v[4:5], v[12:13]
	scratch_load_b128 v[167:170], off, off offset:528
	v_add_f64_e32 v[175:176], v[175:176], v[187:188]
	v_add_f64_e32 v[177:178], v[177:178], v[179:180]
	s_wait_loadcnt_dscnt 0x800
	v_mul_f64_e32 v[179:180], v[6:7], v[16:17]
	v_mul_f64_e32 v[16:17], v[8:9], v[16:17]
	v_fma_f64 v[183:184], v[4:5], v[10:11], v[183:184]
	v_fma_f64 v[187:188], v[2:3], v[10:11], -v[12:13]
	ds_load_b128 v[2:5], v1 offset:1392
	scratch_load_b128 v[10:13], off, off offset:544
	v_add_f64_e32 v[175:176], v[175:176], v[185:186]
	v_add_f64_e32 v[177:178], v[177:178], v[181:182]
	v_fma_f64 v[179:180], v[8:9], v[14:15], v[179:180]
	v_fma_f64 v[185:186], v[6:7], v[14:15], -v[16:17]
	ds_load_b128 v[6:9], v1 offset:1408
	s_wait_loadcnt_dscnt 0x801
	v_mul_f64_e32 v[181:182], v[2:3], v[20:21]
	v_mul_f64_e32 v[20:21], v[4:5], v[20:21]
	scratch_load_b128 v[14:17], off, off offset:560
	;; [unrolled: 18-line block ×15, first 2 shown]
	v_add_f64_e32 v[175:176], v[175:176], v[187:188]
	v_add_f64_e32 v[177:178], v[177:178], v[181:182]
	s_wait_loadcnt_dscnt 0x800
	v_mul_f64_e32 v[181:182], v[6:7], v[169:170]
	v_mul_f64_e32 v[169:170], v[8:9], v[169:170]
	v_fma_f64 v[179:180], v[4:5], v[38:39], v[179:180]
	v_fma_f64 v[187:188], v[2:3], v[38:39], -v[40:41]
	ds_load_b128 v[2:5], v1 offset:1840
	scratch_load_b128 v[38:41], off, off offset:992
	v_add_f64_e32 v[175:176], v[175:176], v[185:186]
	v_add_f64_e32 v[177:178], v[177:178], v[183:184]
	v_fma_f64 v[181:182], v[8:9], v[167:168], v[181:182]
	v_fma_f64 v[167:168], v[6:7], v[167:168], -v[169:170]
	ds_load_b128 v[6:9], v1 offset:1856
	s_wait_loadcnt_dscnt 0x801
	v_mul_f64_e32 v[183:184], v[2:3], v[12:13]
	v_mul_f64_e32 v[12:13], v[4:5], v[12:13]
	v_add_f64_e32 v[169:170], v[175:176], v[187:188]
	v_add_f64_e32 v[175:176], v[177:178], v[179:180]
	s_wait_loadcnt_dscnt 0x700
	v_mul_f64_e32 v[177:178], v[6:7], v[16:17]
	v_mul_f64_e32 v[16:17], v[8:9], v[16:17]
	v_fma_f64 v[179:180], v[4:5], v[10:11], v[183:184]
	v_fma_f64 v[10:11], v[2:3], v[10:11], -v[12:13]
	ds_load_b128 v[2:5], v1 offset:1872
	v_add_f64_e32 v[12:13], v[169:170], v[167:168]
	v_add_f64_e32 v[167:168], v[175:176], v[181:182]
	v_fma_f64 v[175:176], v[8:9], v[14:15], v[177:178]
	v_fma_f64 v[14:15], v[6:7], v[14:15], -v[16:17]
	ds_load_b128 v[6:9], v1 offset:1888
	s_wait_loadcnt_dscnt 0x500
	v_mul_f64_e32 v[177:178], v[6:7], v[24:25]
	v_mul_f64_e32 v[24:25], v[8:9], v[24:25]
	v_add_f64_e32 v[16:17], v[12:13], v[10:11]
	v_add_f64_e32 v[167:168], v[167:168], v[179:180]
	scratch_load_b128 v[10:13], off, off offset:176
	v_mul_f64_e32 v[169:170], v[2:3], v[20:21]
	v_mul_f64_e32 v[20:21], v[4:5], v[20:21]
	v_add_f64_e32 v[14:15], v[16:17], v[14:15]
	v_add_f64_e32 v[16:17], v[167:168], v[175:176]
	v_fma_f64 v[167:168], v[8:9], v[22:23], v[177:178]
	v_fma_f64 v[169:170], v[4:5], v[18:19], v[169:170]
	v_fma_f64 v[18:19], v[2:3], v[18:19], -v[20:21]
	ds_load_b128 v[2:5], v1 offset:1904
	v_fma_f64 v[22:23], v[6:7], v[22:23], -v[24:25]
	ds_load_b128 v[6:9], v1 offset:1920
	s_wait_loadcnt_dscnt 0x501
	v_mul_f64_e32 v[20:21], v[2:3], v[28:29]
	v_mul_f64_e32 v[28:29], v[4:5], v[28:29]
	s_wait_loadcnt_dscnt 0x400
	v_mul_f64_e32 v[24:25], v[8:9], v[32:33]
	v_add_f64_e32 v[16:17], v[16:17], v[169:170]
	v_add_f64_e32 v[14:15], v[14:15], v[18:19]
	v_mul_f64_e32 v[18:19], v[6:7], v[32:33]
	v_fma_f64 v[20:21], v[4:5], v[26:27], v[20:21]
	v_fma_f64 v[26:27], v[2:3], v[26:27], -v[28:29]
	ds_load_b128 v[2:5], v1 offset:1936
	v_fma_f64 v[24:25], v[6:7], v[30:31], -v[24:25]
	v_add_f64_e32 v[16:17], v[16:17], v[167:168]
	v_add_f64_e32 v[14:15], v[14:15], v[22:23]
	v_fma_f64 v[18:19], v[8:9], v[30:31], v[18:19]
	ds_load_b128 v[6:9], v1 offset:1952
	s_wait_loadcnt_dscnt 0x301
	v_mul_f64_e32 v[22:23], v[2:3], v[36:37]
	v_mul_f64_e32 v[28:29], v[4:5], v[36:37]
	v_add_f64_e32 v[16:17], v[16:17], v[20:21]
	v_add_f64_e32 v[14:15], v[14:15], v[26:27]
	s_wait_loadcnt_dscnt 0x200
	v_mul_f64_e32 v[20:21], v[6:7], v[173:174]
	v_mul_f64_e32 v[26:27], v[8:9], v[173:174]
	v_fma_f64 v[22:23], v[4:5], v[34:35], v[22:23]
	v_fma_f64 v[28:29], v[2:3], v[34:35], -v[28:29]
	ds_load_b128 v[2:5], v1 offset:1968
	v_add_f64_e32 v[16:17], v[16:17], v[18:19]
	v_add_f64_e32 v[14:15], v[14:15], v[24:25]
	s_wait_loadcnt_dscnt 0x100
	v_mul_f64_e32 v[18:19], v[2:3], v[40:41]
	v_mul_f64_e32 v[24:25], v[4:5], v[40:41]
	v_fma_f64 v[8:9], v[8:9], v[171:172], v[20:21]
	v_fma_f64 v[6:7], v[6:7], v[171:172], -v[26:27]
	v_add_f64_e32 v[16:17], v[16:17], v[22:23]
	v_add_f64_e32 v[14:15], v[14:15], v[28:29]
	v_fma_f64 v[4:5], v[4:5], v[38:39], v[18:19]
	v_fma_f64 v[2:3], v[2:3], v[38:39], -v[24:25]
	s_delay_alu instid0(VALU_DEP_4) | instskip(NEXT) | instid1(VALU_DEP_4)
	v_add_f64_e32 v[8:9], v[16:17], v[8:9]
	v_add_f64_e32 v[6:7], v[14:15], v[6:7]
	s_delay_alu instid0(VALU_DEP_2) | instskip(NEXT) | instid1(VALU_DEP_2)
	v_add_f64_e32 v[4:5], v[8:9], v[4:5]
	v_add_f64_e32 v[2:3], v[6:7], v[2:3]
	s_wait_loadcnt 0x0
	s_delay_alu instid0(VALU_DEP_2) | instskip(NEXT) | instid1(VALU_DEP_2)
	v_add_f64_e64 v[4:5], v[12:13], -v[4:5]
	v_add_f64_e64 v[2:3], v[10:11], -v[2:3]
	scratch_store_b128 off, v[2:5], off offset:176
	v_cmpx_lt_u32_e32 9, v0
	s_cbranch_execz .LBB61_379
; %bb.378:
	scratch_load_b128 v[5:8], off, s68
	v_dual_mov_b32 v2, v1 :: v_dual_mov_b32 v3, v1
	v_mov_b32_e32 v4, v1
	scratch_store_b128 off, v[1:4], off offset:160
	s_wait_loadcnt 0x0
	ds_store_b128 v166, v[5:8]
.LBB61_379:
	s_wait_alu 0xfffe
	s_or_b32 exec_lo, exec_lo, s0
	s_wait_storecnt_dscnt 0x0
	s_barrier_signal -1
	s_barrier_wait -1
	global_inv scope:SCOPE_SE
	s_clause 0x7
	scratch_load_b128 v[2:5], off, off offset:176
	scratch_load_b128 v[6:9], off, off offset:192
	scratch_load_b128 v[10:13], off, off offset:208
	scratch_load_b128 v[14:17], off, off offset:224
	scratch_load_b128 v[18:21], off, off offset:240
	scratch_load_b128 v[22:25], off, off offset:256
	scratch_load_b128 v[26:29], off, off offset:272
	scratch_load_b128 v[30:33], off, off offset:288
	ds_load_b128 v[38:41], v1 offset:1152
	ds_load_b128 v[167:170], v1 offset:1168
	s_clause 0x1
	scratch_load_b128 v[34:37], off, off offset:304
	scratch_load_b128 v[171:174], off, off offset:320
	s_mov_b32 s0, exec_lo
	s_wait_loadcnt_dscnt 0x901
	v_mul_f64_e32 v[175:176], v[40:41], v[4:5]
	v_mul_f64_e32 v[4:5], v[38:39], v[4:5]
	s_wait_loadcnt_dscnt 0x800
	v_mul_f64_e32 v[177:178], v[167:168], v[8:9]
	v_mul_f64_e32 v[8:9], v[169:170], v[8:9]
	s_delay_alu instid0(VALU_DEP_4) | instskip(NEXT) | instid1(VALU_DEP_4)
	v_fma_f64 v[175:176], v[38:39], v[2:3], -v[175:176]
	v_fma_f64 v[179:180], v[40:41], v[2:3], v[4:5]
	ds_load_b128 v[2:5], v1 offset:1184
	scratch_load_b128 v[38:41], off, off offset:336
	v_fma_f64 v[177:178], v[169:170], v[6:7], v[177:178]
	v_fma_f64 v[183:184], v[167:168], v[6:7], -v[8:9]
	ds_load_b128 v[6:9], v1 offset:1200
	scratch_load_b128 v[167:170], off, off offset:352
	s_wait_loadcnt_dscnt 0x901
	v_mul_f64_e32 v[181:182], v[2:3], v[12:13]
	v_mul_f64_e32 v[12:13], v[4:5], v[12:13]
	s_wait_loadcnt_dscnt 0x800
	v_mul_f64_e32 v[185:186], v[6:7], v[16:17]
	v_mul_f64_e32 v[16:17], v[8:9], v[16:17]
	v_add_f64_e32 v[175:176], 0, v[175:176]
	v_add_f64_e32 v[179:180], 0, v[179:180]
	v_fma_f64 v[181:182], v[4:5], v[10:11], v[181:182]
	v_fma_f64 v[187:188], v[2:3], v[10:11], -v[12:13]
	ds_load_b128 v[2:5], v1 offset:1216
	scratch_load_b128 v[10:13], off, off offset:368
	v_add_f64_e32 v[175:176], v[175:176], v[183:184]
	v_add_f64_e32 v[177:178], v[179:180], v[177:178]
	v_fma_f64 v[183:184], v[8:9], v[14:15], v[185:186]
	v_fma_f64 v[185:186], v[6:7], v[14:15], -v[16:17]
	ds_load_b128 v[6:9], v1 offset:1232
	scratch_load_b128 v[14:17], off, off offset:384
	s_wait_loadcnt_dscnt 0x901
	v_mul_f64_e32 v[179:180], v[2:3], v[20:21]
	v_mul_f64_e32 v[20:21], v[4:5], v[20:21]
	v_add_f64_e32 v[175:176], v[175:176], v[187:188]
	v_add_f64_e32 v[177:178], v[177:178], v[181:182]
	s_wait_loadcnt_dscnt 0x800
	v_mul_f64_e32 v[181:182], v[6:7], v[24:25]
	v_mul_f64_e32 v[24:25], v[8:9], v[24:25]
	v_fma_f64 v[179:180], v[4:5], v[18:19], v[179:180]
	v_fma_f64 v[187:188], v[2:3], v[18:19], -v[20:21]
	ds_load_b128 v[2:5], v1 offset:1248
	scratch_load_b128 v[18:21], off, off offset:400
	v_add_f64_e32 v[175:176], v[175:176], v[185:186]
	v_add_f64_e32 v[177:178], v[177:178], v[183:184]
	v_fma_f64 v[181:182], v[8:9], v[22:23], v[181:182]
	v_fma_f64 v[185:186], v[6:7], v[22:23], -v[24:25]
	ds_load_b128 v[6:9], v1 offset:1264
	s_wait_loadcnt_dscnt 0x801
	v_mul_f64_e32 v[183:184], v[2:3], v[28:29]
	v_mul_f64_e32 v[28:29], v[4:5], v[28:29]
	scratch_load_b128 v[22:25], off, off offset:416
	v_add_f64_e32 v[175:176], v[175:176], v[187:188]
	v_add_f64_e32 v[177:178], v[177:178], v[179:180]
	s_wait_loadcnt_dscnt 0x800
	v_mul_f64_e32 v[179:180], v[6:7], v[32:33]
	v_mul_f64_e32 v[32:33], v[8:9], v[32:33]
	v_fma_f64 v[183:184], v[4:5], v[26:27], v[183:184]
	v_fma_f64 v[187:188], v[2:3], v[26:27], -v[28:29]
	ds_load_b128 v[2:5], v1 offset:1280
	scratch_load_b128 v[26:29], off, off offset:432
	v_add_f64_e32 v[175:176], v[175:176], v[185:186]
	v_add_f64_e32 v[177:178], v[177:178], v[181:182]
	v_fma_f64 v[179:180], v[8:9], v[30:31], v[179:180]
	v_fma_f64 v[185:186], v[6:7], v[30:31], -v[32:33]
	ds_load_b128 v[6:9], v1 offset:1296
	s_wait_loadcnt_dscnt 0x801
	v_mul_f64_e32 v[181:182], v[2:3], v[36:37]
	v_mul_f64_e32 v[36:37], v[4:5], v[36:37]
	scratch_load_b128 v[30:33], off, off offset:448
	v_add_f64_e32 v[175:176], v[175:176], v[187:188]
	v_add_f64_e32 v[177:178], v[177:178], v[183:184]
	s_wait_loadcnt_dscnt 0x800
	v_mul_f64_e32 v[183:184], v[6:7], v[173:174]
	v_mul_f64_e32 v[173:174], v[8:9], v[173:174]
	v_fma_f64 v[181:182], v[4:5], v[34:35], v[181:182]
	v_fma_f64 v[187:188], v[2:3], v[34:35], -v[36:37]
	ds_load_b128 v[2:5], v1 offset:1312
	scratch_load_b128 v[34:37], off, off offset:464
	v_add_f64_e32 v[175:176], v[175:176], v[185:186]
	v_add_f64_e32 v[177:178], v[177:178], v[179:180]
	v_fma_f64 v[183:184], v[8:9], v[171:172], v[183:184]
	v_fma_f64 v[185:186], v[6:7], v[171:172], -v[173:174]
	ds_load_b128 v[6:9], v1 offset:1328
	scratch_load_b128 v[171:174], off, off offset:480
	s_wait_loadcnt_dscnt 0x901
	v_mul_f64_e32 v[179:180], v[2:3], v[40:41]
	v_mul_f64_e32 v[40:41], v[4:5], v[40:41]
	v_add_f64_e32 v[175:176], v[175:176], v[187:188]
	v_add_f64_e32 v[177:178], v[177:178], v[181:182]
	s_wait_loadcnt_dscnt 0x800
	v_mul_f64_e32 v[181:182], v[6:7], v[169:170]
	v_mul_f64_e32 v[169:170], v[8:9], v[169:170]
	v_fma_f64 v[179:180], v[4:5], v[38:39], v[179:180]
	v_fma_f64 v[187:188], v[2:3], v[38:39], -v[40:41]
	ds_load_b128 v[2:5], v1 offset:1344
	scratch_load_b128 v[38:41], off, off offset:496
	v_add_f64_e32 v[175:176], v[175:176], v[185:186]
	v_add_f64_e32 v[177:178], v[177:178], v[183:184]
	v_fma_f64 v[181:182], v[8:9], v[167:168], v[181:182]
	v_fma_f64 v[185:186], v[6:7], v[167:168], -v[169:170]
	ds_load_b128 v[6:9], v1 offset:1360
	s_wait_loadcnt_dscnt 0x801
	v_mul_f64_e32 v[183:184], v[2:3], v[12:13]
	v_mul_f64_e32 v[12:13], v[4:5], v[12:13]
	scratch_load_b128 v[167:170], off, off offset:512
	v_add_f64_e32 v[175:176], v[175:176], v[187:188]
	v_add_f64_e32 v[177:178], v[177:178], v[179:180]
	s_wait_loadcnt_dscnt 0x800
	v_mul_f64_e32 v[179:180], v[6:7], v[16:17]
	v_mul_f64_e32 v[16:17], v[8:9], v[16:17]
	v_fma_f64 v[183:184], v[4:5], v[10:11], v[183:184]
	v_fma_f64 v[187:188], v[2:3], v[10:11], -v[12:13]
	ds_load_b128 v[2:5], v1 offset:1376
	scratch_load_b128 v[10:13], off, off offset:528
	v_add_f64_e32 v[175:176], v[175:176], v[185:186]
	v_add_f64_e32 v[177:178], v[177:178], v[181:182]
	v_fma_f64 v[179:180], v[8:9], v[14:15], v[179:180]
	v_fma_f64 v[185:186], v[6:7], v[14:15], -v[16:17]
	ds_load_b128 v[6:9], v1 offset:1392
	s_wait_loadcnt_dscnt 0x801
	v_mul_f64_e32 v[181:182], v[2:3], v[20:21]
	v_mul_f64_e32 v[20:21], v[4:5], v[20:21]
	scratch_load_b128 v[14:17], off, off offset:544
	;; [unrolled: 18-line block ×16, first 2 shown]
	v_add_f64_e32 v[175:176], v[175:176], v[187:188]
	v_add_f64_e32 v[177:178], v[177:178], v[179:180]
	s_wait_loadcnt_dscnt 0x800
	v_mul_f64_e32 v[179:180], v[6:7], v[16:17]
	v_mul_f64_e32 v[16:17], v[8:9], v[16:17]
	v_fma_f64 v[183:184], v[4:5], v[10:11], v[183:184]
	v_fma_f64 v[10:11], v[2:3], v[10:11], -v[12:13]
	ds_load_b128 v[2:5], v1 offset:1856
	v_add_f64_e32 v[12:13], v[175:176], v[185:186]
	v_add_f64_e32 v[175:176], v[177:178], v[181:182]
	v_fma_f64 v[179:180], v[8:9], v[14:15], v[179:180]
	v_fma_f64 v[14:15], v[6:7], v[14:15], -v[16:17]
	ds_load_b128 v[6:9], v1 offset:1872
	s_wait_loadcnt_dscnt 0x701
	v_mul_f64_e32 v[177:178], v[2:3], v[20:21]
	v_mul_f64_e32 v[20:21], v[4:5], v[20:21]
	v_add_f64_e32 v[10:11], v[12:13], v[10:11]
	v_add_f64_e32 v[12:13], v[175:176], v[183:184]
	s_delay_alu instid0(VALU_DEP_4) | instskip(NEXT) | instid1(VALU_DEP_4)
	v_fma_f64 v[175:176], v[4:5], v[18:19], v[177:178]
	v_fma_f64 v[18:19], v[2:3], v[18:19], -v[20:21]
	ds_load_b128 v[2:5], v1 offset:1888
	v_add_f64_e32 v[14:15], v[10:11], v[14:15]
	v_add_f64_e32 v[20:21], v[12:13], v[179:180]
	scratch_load_b128 v[10:13], off, off offset:160
	s_wait_loadcnt_dscnt 0x701
	v_mul_f64_e32 v[16:17], v[6:7], v[24:25]
	v_mul_f64_e32 v[24:25], v[8:9], v[24:25]
	v_add_f64_e32 v[14:15], v[14:15], v[18:19]
	v_add_f64_e32 v[18:19], v[20:21], v[175:176]
	s_delay_alu instid0(VALU_DEP_4) | instskip(NEXT) | instid1(VALU_DEP_4)
	v_fma_f64 v[16:17], v[8:9], v[22:23], v[16:17]
	v_fma_f64 v[22:23], v[6:7], v[22:23], -v[24:25]
	ds_load_b128 v[6:9], v1 offset:1904
	s_wait_loadcnt_dscnt 0x601
	v_mul_f64_e32 v[177:178], v[2:3], v[28:29]
	v_mul_f64_e32 v[28:29], v[4:5], v[28:29]
	s_wait_loadcnt_dscnt 0x500
	v_mul_f64_e32 v[20:21], v[6:7], v[32:33]
	v_mul_f64_e32 v[24:25], v[8:9], v[32:33]
	v_add_f64_e32 v[16:17], v[18:19], v[16:17]
	v_add_f64_e32 v[14:15], v[14:15], v[22:23]
	v_fma_f64 v[32:33], v[4:5], v[26:27], v[177:178]
	v_fma_f64 v[26:27], v[2:3], v[26:27], -v[28:29]
	ds_load_b128 v[2:5], v1 offset:1920
	v_fma_f64 v[20:21], v[8:9], v[30:31], v[20:21]
	v_fma_f64 v[24:25], v[6:7], v[30:31], -v[24:25]
	ds_load_b128 v[6:9], v1 offset:1936
	s_wait_loadcnt_dscnt 0x401
	v_mul_f64_e32 v[18:19], v[2:3], v[36:37]
	v_mul_f64_e32 v[22:23], v[4:5], v[36:37]
	v_add_f64_e32 v[16:17], v[16:17], v[32:33]
	v_add_f64_e32 v[14:15], v[14:15], v[26:27]
	s_wait_loadcnt_dscnt 0x300
	v_mul_f64_e32 v[26:27], v[6:7], v[173:174]
	v_mul_f64_e32 v[28:29], v[8:9], v[173:174]
	v_fma_f64 v[18:19], v[4:5], v[34:35], v[18:19]
	v_fma_f64 v[22:23], v[2:3], v[34:35], -v[22:23]
	ds_load_b128 v[2:5], v1 offset:1952
	v_add_f64_e32 v[16:17], v[16:17], v[20:21]
	v_add_f64_e32 v[14:15], v[14:15], v[24:25]
	v_fma_f64 v[26:27], v[8:9], v[171:172], v[26:27]
	v_fma_f64 v[28:29], v[6:7], v[171:172], -v[28:29]
	ds_load_b128 v[6:9], v1 offset:1968
	s_wait_loadcnt_dscnt 0x201
	v_mul_f64_e32 v[20:21], v[2:3], v[40:41]
	v_mul_f64_e32 v[24:25], v[4:5], v[40:41]
	v_add_f64_e32 v[16:17], v[16:17], v[18:19]
	v_add_f64_e32 v[14:15], v[14:15], v[22:23]
	s_wait_loadcnt_dscnt 0x100
	v_mul_f64_e32 v[18:19], v[6:7], v[169:170]
	v_mul_f64_e32 v[22:23], v[8:9], v[169:170]
	v_fma_f64 v[4:5], v[4:5], v[38:39], v[20:21]
	v_fma_f64 v[1:2], v[2:3], v[38:39], -v[24:25]
	v_add_f64_e32 v[16:17], v[16:17], v[26:27]
	v_add_f64_e32 v[14:15], v[14:15], v[28:29]
	v_fma_f64 v[8:9], v[8:9], v[167:168], v[18:19]
	v_fma_f64 v[6:7], v[6:7], v[167:168], -v[22:23]
	s_delay_alu instid0(VALU_DEP_4) | instskip(NEXT) | instid1(VALU_DEP_4)
	v_add_f64_e32 v[3:4], v[16:17], v[4:5]
	v_add_f64_e32 v[1:2], v[14:15], v[1:2]
	s_delay_alu instid0(VALU_DEP_2) | instskip(NEXT) | instid1(VALU_DEP_2)
	v_add_f64_e32 v[3:4], v[3:4], v[8:9]
	v_add_f64_e32 v[1:2], v[1:2], v[6:7]
	s_wait_loadcnt 0x0
	s_delay_alu instid0(VALU_DEP_2) | instskip(NEXT) | instid1(VALU_DEP_2)
	v_add_f64_e64 v[3:4], v[12:13], -v[3:4]
	v_add_f64_e64 v[1:2], v[10:11], -v[1:2]
	scratch_store_b128 off, v[1:4], off offset:160
	v_cmpx_lt_u32_e32 8, v0
	s_cbranch_execz .LBB61_381
; %bb.380:
	scratch_load_b128 v[1:4], off, s69
	v_mov_b32_e32 v5, 0
	s_delay_alu instid0(VALU_DEP_1)
	v_dual_mov_b32 v6, v5 :: v_dual_mov_b32 v7, v5
	v_mov_b32_e32 v8, v5
	scratch_store_b128 off, v[5:8], off offset:144
	s_wait_loadcnt 0x0
	ds_store_b128 v166, v[1:4]
.LBB61_381:
	s_wait_alu 0xfffe
	s_or_b32 exec_lo, exec_lo, s0
	s_wait_storecnt_dscnt 0x0
	s_barrier_signal -1
	s_barrier_wait -1
	global_inv scope:SCOPE_SE
	s_clause 0x7
	scratch_load_b128 v[2:5], off, off offset:160
	scratch_load_b128 v[6:9], off, off offset:176
	;; [unrolled: 1-line block ×8, first 2 shown]
	v_mov_b32_e32 v1, 0
	s_clause 0x1
	scratch_load_b128 v[34:37], off, off offset:288
	scratch_load_b128 v[171:174], off, off offset:304
	s_mov_b32 s0, exec_lo
	ds_load_b128 v[38:41], v1 offset:1136
	ds_load_b128 v[167:170], v1 offset:1152
	s_wait_loadcnt_dscnt 0x901
	v_mul_f64_e32 v[175:176], v[40:41], v[4:5]
	v_mul_f64_e32 v[4:5], v[38:39], v[4:5]
	s_wait_loadcnt_dscnt 0x800
	v_mul_f64_e32 v[177:178], v[167:168], v[8:9]
	v_mul_f64_e32 v[8:9], v[169:170], v[8:9]
	s_delay_alu instid0(VALU_DEP_4) | instskip(NEXT) | instid1(VALU_DEP_4)
	v_fma_f64 v[175:176], v[38:39], v[2:3], -v[175:176]
	v_fma_f64 v[179:180], v[40:41], v[2:3], v[4:5]
	ds_load_b128 v[2:5], v1 offset:1168
	scratch_load_b128 v[38:41], off, off offset:320
	v_fma_f64 v[177:178], v[169:170], v[6:7], v[177:178]
	v_fma_f64 v[183:184], v[167:168], v[6:7], -v[8:9]
	ds_load_b128 v[6:9], v1 offset:1184
	scratch_load_b128 v[167:170], off, off offset:336
	s_wait_loadcnt_dscnt 0x901
	v_mul_f64_e32 v[181:182], v[2:3], v[12:13]
	v_mul_f64_e32 v[12:13], v[4:5], v[12:13]
	s_wait_loadcnt_dscnt 0x800
	v_mul_f64_e32 v[185:186], v[6:7], v[16:17]
	v_mul_f64_e32 v[16:17], v[8:9], v[16:17]
	v_add_f64_e32 v[175:176], 0, v[175:176]
	v_add_f64_e32 v[179:180], 0, v[179:180]
	v_fma_f64 v[181:182], v[4:5], v[10:11], v[181:182]
	v_fma_f64 v[187:188], v[2:3], v[10:11], -v[12:13]
	ds_load_b128 v[2:5], v1 offset:1200
	scratch_load_b128 v[10:13], off, off offset:352
	v_add_f64_e32 v[175:176], v[175:176], v[183:184]
	v_add_f64_e32 v[177:178], v[179:180], v[177:178]
	v_fma_f64 v[183:184], v[8:9], v[14:15], v[185:186]
	v_fma_f64 v[185:186], v[6:7], v[14:15], -v[16:17]
	ds_load_b128 v[6:9], v1 offset:1216
	scratch_load_b128 v[14:17], off, off offset:368
	s_wait_loadcnt_dscnt 0x901
	v_mul_f64_e32 v[179:180], v[2:3], v[20:21]
	v_mul_f64_e32 v[20:21], v[4:5], v[20:21]
	v_add_f64_e32 v[175:176], v[175:176], v[187:188]
	v_add_f64_e32 v[177:178], v[177:178], v[181:182]
	s_wait_loadcnt_dscnt 0x800
	v_mul_f64_e32 v[181:182], v[6:7], v[24:25]
	v_mul_f64_e32 v[24:25], v[8:9], v[24:25]
	v_fma_f64 v[179:180], v[4:5], v[18:19], v[179:180]
	v_fma_f64 v[187:188], v[2:3], v[18:19], -v[20:21]
	ds_load_b128 v[2:5], v1 offset:1232
	scratch_load_b128 v[18:21], off, off offset:384
	v_add_f64_e32 v[175:176], v[175:176], v[185:186]
	v_add_f64_e32 v[177:178], v[177:178], v[183:184]
	v_fma_f64 v[181:182], v[8:9], v[22:23], v[181:182]
	v_fma_f64 v[185:186], v[6:7], v[22:23], -v[24:25]
	ds_load_b128 v[6:9], v1 offset:1248
	s_wait_loadcnt_dscnt 0x801
	v_mul_f64_e32 v[183:184], v[2:3], v[28:29]
	v_mul_f64_e32 v[28:29], v[4:5], v[28:29]
	scratch_load_b128 v[22:25], off, off offset:400
	v_add_f64_e32 v[175:176], v[175:176], v[187:188]
	v_add_f64_e32 v[177:178], v[177:178], v[179:180]
	s_wait_loadcnt_dscnt 0x800
	v_mul_f64_e32 v[179:180], v[6:7], v[32:33]
	v_mul_f64_e32 v[32:33], v[8:9], v[32:33]
	v_fma_f64 v[183:184], v[4:5], v[26:27], v[183:184]
	v_fma_f64 v[187:188], v[2:3], v[26:27], -v[28:29]
	ds_load_b128 v[2:5], v1 offset:1264
	scratch_load_b128 v[26:29], off, off offset:416
	v_add_f64_e32 v[175:176], v[175:176], v[185:186]
	v_add_f64_e32 v[177:178], v[177:178], v[181:182]
	v_fma_f64 v[179:180], v[8:9], v[30:31], v[179:180]
	v_fma_f64 v[185:186], v[6:7], v[30:31], -v[32:33]
	ds_load_b128 v[6:9], v1 offset:1280
	s_wait_loadcnt_dscnt 0x801
	v_mul_f64_e32 v[181:182], v[2:3], v[36:37]
	v_mul_f64_e32 v[36:37], v[4:5], v[36:37]
	scratch_load_b128 v[30:33], off, off offset:432
	v_add_f64_e32 v[175:176], v[175:176], v[187:188]
	v_add_f64_e32 v[177:178], v[177:178], v[183:184]
	s_wait_loadcnt_dscnt 0x800
	v_mul_f64_e32 v[183:184], v[6:7], v[173:174]
	v_mul_f64_e32 v[173:174], v[8:9], v[173:174]
	v_fma_f64 v[181:182], v[4:5], v[34:35], v[181:182]
	v_fma_f64 v[187:188], v[2:3], v[34:35], -v[36:37]
	ds_load_b128 v[2:5], v1 offset:1296
	scratch_load_b128 v[34:37], off, off offset:448
	v_add_f64_e32 v[175:176], v[175:176], v[185:186]
	v_add_f64_e32 v[177:178], v[177:178], v[179:180]
	v_fma_f64 v[183:184], v[8:9], v[171:172], v[183:184]
	v_fma_f64 v[185:186], v[6:7], v[171:172], -v[173:174]
	ds_load_b128 v[6:9], v1 offset:1312
	scratch_load_b128 v[171:174], off, off offset:464
	s_wait_loadcnt_dscnt 0x901
	v_mul_f64_e32 v[179:180], v[2:3], v[40:41]
	v_mul_f64_e32 v[40:41], v[4:5], v[40:41]
	v_add_f64_e32 v[175:176], v[175:176], v[187:188]
	v_add_f64_e32 v[177:178], v[177:178], v[181:182]
	s_wait_loadcnt_dscnt 0x800
	v_mul_f64_e32 v[181:182], v[6:7], v[169:170]
	v_mul_f64_e32 v[169:170], v[8:9], v[169:170]
	v_fma_f64 v[179:180], v[4:5], v[38:39], v[179:180]
	v_fma_f64 v[187:188], v[2:3], v[38:39], -v[40:41]
	ds_load_b128 v[2:5], v1 offset:1328
	scratch_load_b128 v[38:41], off, off offset:480
	v_add_f64_e32 v[175:176], v[175:176], v[185:186]
	v_add_f64_e32 v[177:178], v[177:178], v[183:184]
	v_fma_f64 v[181:182], v[8:9], v[167:168], v[181:182]
	v_fma_f64 v[185:186], v[6:7], v[167:168], -v[169:170]
	ds_load_b128 v[6:9], v1 offset:1344
	s_wait_loadcnt_dscnt 0x801
	v_mul_f64_e32 v[183:184], v[2:3], v[12:13]
	v_mul_f64_e32 v[12:13], v[4:5], v[12:13]
	scratch_load_b128 v[167:170], off, off offset:496
	v_add_f64_e32 v[175:176], v[175:176], v[187:188]
	v_add_f64_e32 v[177:178], v[177:178], v[179:180]
	s_wait_loadcnt_dscnt 0x800
	v_mul_f64_e32 v[179:180], v[6:7], v[16:17]
	v_mul_f64_e32 v[16:17], v[8:9], v[16:17]
	v_fma_f64 v[183:184], v[4:5], v[10:11], v[183:184]
	v_fma_f64 v[187:188], v[2:3], v[10:11], -v[12:13]
	ds_load_b128 v[2:5], v1 offset:1360
	scratch_load_b128 v[10:13], off, off offset:512
	v_add_f64_e32 v[175:176], v[175:176], v[185:186]
	v_add_f64_e32 v[177:178], v[177:178], v[181:182]
	v_fma_f64 v[179:180], v[8:9], v[14:15], v[179:180]
	v_fma_f64 v[185:186], v[6:7], v[14:15], -v[16:17]
	ds_load_b128 v[6:9], v1 offset:1376
	s_wait_loadcnt_dscnt 0x801
	v_mul_f64_e32 v[181:182], v[2:3], v[20:21]
	v_mul_f64_e32 v[20:21], v[4:5], v[20:21]
	scratch_load_b128 v[14:17], off, off offset:528
	;; [unrolled: 18-line block ×16, first 2 shown]
	v_add_f64_e32 v[175:176], v[175:176], v[187:188]
	v_add_f64_e32 v[177:178], v[177:178], v[179:180]
	s_wait_loadcnt_dscnt 0x800
	v_mul_f64_e32 v[179:180], v[6:7], v[16:17]
	v_mul_f64_e32 v[16:17], v[8:9], v[16:17]
	v_fma_f64 v[183:184], v[4:5], v[10:11], v[183:184]
	v_fma_f64 v[187:188], v[2:3], v[10:11], -v[12:13]
	ds_load_b128 v[2:5], v1 offset:1840
	scratch_load_b128 v[10:13], off, off offset:992
	v_add_f64_e32 v[175:176], v[175:176], v[185:186]
	v_add_f64_e32 v[177:178], v[177:178], v[181:182]
	v_fma_f64 v[179:180], v[8:9], v[14:15], v[179:180]
	v_fma_f64 v[14:15], v[6:7], v[14:15], -v[16:17]
	ds_load_b128 v[6:9], v1 offset:1856
	s_wait_loadcnt_dscnt 0x801
	v_mul_f64_e32 v[181:182], v[2:3], v[20:21]
	v_mul_f64_e32 v[20:21], v[4:5], v[20:21]
	v_add_f64_e32 v[16:17], v[175:176], v[187:188]
	v_add_f64_e32 v[175:176], v[177:178], v[183:184]
	s_wait_loadcnt_dscnt 0x700
	v_mul_f64_e32 v[177:178], v[6:7], v[24:25]
	v_mul_f64_e32 v[24:25], v[8:9], v[24:25]
	v_fma_f64 v[181:182], v[4:5], v[18:19], v[181:182]
	v_fma_f64 v[18:19], v[2:3], v[18:19], -v[20:21]
	ds_load_b128 v[2:5], v1 offset:1872
	v_add_f64_e32 v[14:15], v[16:17], v[14:15]
	v_add_f64_e32 v[16:17], v[175:176], v[179:180]
	v_fma_f64 v[175:176], v[8:9], v[22:23], v[177:178]
	v_fma_f64 v[22:23], v[6:7], v[22:23], -v[24:25]
	ds_load_b128 v[6:9], v1 offset:1888
	s_wait_loadcnt_dscnt 0x500
	v_mul_f64_e32 v[177:178], v[6:7], v[32:33]
	v_mul_f64_e32 v[32:33], v[8:9], v[32:33]
	v_add_f64_e32 v[18:19], v[14:15], v[18:19]
	v_add_f64_e32 v[24:25], v[16:17], v[181:182]
	scratch_load_b128 v[14:17], off, off offset:144
	v_mul_f64_e32 v[20:21], v[2:3], v[28:29]
	v_mul_f64_e32 v[28:29], v[4:5], v[28:29]
	v_add_f64_e32 v[18:19], v[18:19], v[22:23]
	v_add_f64_e32 v[22:23], v[24:25], v[175:176]
	s_delay_alu instid0(VALU_DEP_4) | instskip(NEXT) | instid1(VALU_DEP_4)
	v_fma_f64 v[20:21], v[4:5], v[26:27], v[20:21]
	v_fma_f64 v[26:27], v[2:3], v[26:27], -v[28:29]
	ds_load_b128 v[2:5], v1 offset:1904
	s_wait_loadcnt_dscnt 0x500
	v_mul_f64_e32 v[24:25], v[2:3], v[36:37]
	v_mul_f64_e32 v[28:29], v[4:5], v[36:37]
	v_fma_f64 v[36:37], v[8:9], v[30:31], v[177:178]
	v_fma_f64 v[30:31], v[6:7], v[30:31], -v[32:33]
	ds_load_b128 v[6:9], v1 offset:1920
	v_add_f64_e32 v[20:21], v[22:23], v[20:21]
	v_add_f64_e32 v[18:19], v[18:19], v[26:27]
	v_fma_f64 v[24:25], v[4:5], v[34:35], v[24:25]
	v_fma_f64 v[28:29], v[2:3], v[34:35], -v[28:29]
	ds_load_b128 v[2:5], v1 offset:1936
	s_wait_loadcnt_dscnt 0x401
	v_mul_f64_e32 v[22:23], v[6:7], v[173:174]
	v_mul_f64_e32 v[26:27], v[8:9], v[173:174]
	v_add_f64_e32 v[20:21], v[20:21], v[36:37]
	v_add_f64_e32 v[18:19], v[18:19], v[30:31]
	s_wait_loadcnt_dscnt 0x300
	v_mul_f64_e32 v[30:31], v[2:3], v[40:41]
	v_mul_f64_e32 v[32:33], v[4:5], v[40:41]
	v_fma_f64 v[22:23], v[8:9], v[171:172], v[22:23]
	v_fma_f64 v[26:27], v[6:7], v[171:172], -v[26:27]
	ds_load_b128 v[6:9], v1 offset:1952
	v_add_f64_e32 v[20:21], v[20:21], v[24:25]
	v_add_f64_e32 v[18:19], v[18:19], v[28:29]
	v_fma_f64 v[30:31], v[4:5], v[38:39], v[30:31]
	v_fma_f64 v[32:33], v[2:3], v[38:39], -v[32:33]
	ds_load_b128 v[2:5], v1 offset:1968
	s_wait_loadcnt_dscnt 0x201
	v_mul_f64_e32 v[24:25], v[6:7], v[169:170]
	v_mul_f64_e32 v[28:29], v[8:9], v[169:170]
	v_add_f64_e32 v[20:21], v[20:21], v[22:23]
	v_add_f64_e32 v[18:19], v[18:19], v[26:27]
	s_wait_loadcnt_dscnt 0x100
	v_mul_f64_e32 v[22:23], v[2:3], v[12:13]
	v_mul_f64_e32 v[12:13], v[4:5], v[12:13]
	v_fma_f64 v[8:9], v[8:9], v[167:168], v[24:25]
	v_fma_f64 v[6:7], v[6:7], v[167:168], -v[28:29]
	v_add_f64_e32 v[20:21], v[20:21], v[30:31]
	v_add_f64_e32 v[18:19], v[18:19], v[32:33]
	v_fma_f64 v[4:5], v[4:5], v[10:11], v[22:23]
	v_fma_f64 v[2:3], v[2:3], v[10:11], -v[12:13]
	s_delay_alu instid0(VALU_DEP_4) | instskip(NEXT) | instid1(VALU_DEP_4)
	v_add_f64_e32 v[8:9], v[20:21], v[8:9]
	v_add_f64_e32 v[6:7], v[18:19], v[6:7]
	s_delay_alu instid0(VALU_DEP_2) | instskip(NEXT) | instid1(VALU_DEP_2)
	v_add_f64_e32 v[4:5], v[8:9], v[4:5]
	v_add_f64_e32 v[2:3], v[6:7], v[2:3]
	s_wait_loadcnt 0x0
	s_delay_alu instid0(VALU_DEP_2) | instskip(NEXT) | instid1(VALU_DEP_2)
	v_add_f64_e64 v[4:5], v[16:17], -v[4:5]
	v_add_f64_e64 v[2:3], v[14:15], -v[2:3]
	scratch_store_b128 off, v[2:5], off offset:144
	v_cmpx_lt_u32_e32 7, v0
	s_cbranch_execz .LBB61_383
; %bb.382:
	scratch_load_b128 v[5:8], off, s70
	v_dual_mov_b32 v2, v1 :: v_dual_mov_b32 v3, v1
	v_mov_b32_e32 v4, v1
	scratch_store_b128 off, v[1:4], off offset:128
	s_wait_loadcnt 0x0
	ds_store_b128 v166, v[5:8]
.LBB61_383:
	s_wait_alu 0xfffe
	s_or_b32 exec_lo, exec_lo, s0
	s_wait_storecnt_dscnt 0x0
	s_barrier_signal -1
	s_barrier_wait -1
	global_inv scope:SCOPE_SE
	s_clause 0x7
	scratch_load_b128 v[2:5], off, off offset:144
	scratch_load_b128 v[6:9], off, off offset:160
	;; [unrolled: 1-line block ×8, first 2 shown]
	ds_load_b128 v[38:41], v1 offset:1120
	ds_load_b128 v[167:170], v1 offset:1136
	s_clause 0x1
	scratch_load_b128 v[34:37], off, off offset:272
	scratch_load_b128 v[171:174], off, off offset:288
	s_mov_b32 s0, exec_lo
	s_wait_loadcnt_dscnt 0x901
	v_mul_f64_e32 v[175:176], v[40:41], v[4:5]
	v_mul_f64_e32 v[4:5], v[38:39], v[4:5]
	s_wait_loadcnt_dscnt 0x800
	v_mul_f64_e32 v[177:178], v[167:168], v[8:9]
	v_mul_f64_e32 v[8:9], v[169:170], v[8:9]
	s_delay_alu instid0(VALU_DEP_4) | instskip(NEXT) | instid1(VALU_DEP_4)
	v_fma_f64 v[175:176], v[38:39], v[2:3], -v[175:176]
	v_fma_f64 v[179:180], v[40:41], v[2:3], v[4:5]
	ds_load_b128 v[2:5], v1 offset:1152
	scratch_load_b128 v[38:41], off, off offset:304
	v_fma_f64 v[177:178], v[169:170], v[6:7], v[177:178]
	v_fma_f64 v[183:184], v[167:168], v[6:7], -v[8:9]
	ds_load_b128 v[6:9], v1 offset:1168
	scratch_load_b128 v[167:170], off, off offset:320
	s_wait_loadcnt_dscnt 0x901
	v_mul_f64_e32 v[181:182], v[2:3], v[12:13]
	v_mul_f64_e32 v[12:13], v[4:5], v[12:13]
	s_wait_loadcnt_dscnt 0x800
	v_mul_f64_e32 v[185:186], v[6:7], v[16:17]
	v_mul_f64_e32 v[16:17], v[8:9], v[16:17]
	v_add_f64_e32 v[175:176], 0, v[175:176]
	v_add_f64_e32 v[179:180], 0, v[179:180]
	v_fma_f64 v[181:182], v[4:5], v[10:11], v[181:182]
	v_fma_f64 v[187:188], v[2:3], v[10:11], -v[12:13]
	ds_load_b128 v[2:5], v1 offset:1184
	scratch_load_b128 v[10:13], off, off offset:336
	v_add_f64_e32 v[175:176], v[175:176], v[183:184]
	v_add_f64_e32 v[177:178], v[179:180], v[177:178]
	v_fma_f64 v[183:184], v[8:9], v[14:15], v[185:186]
	v_fma_f64 v[185:186], v[6:7], v[14:15], -v[16:17]
	ds_load_b128 v[6:9], v1 offset:1200
	scratch_load_b128 v[14:17], off, off offset:352
	s_wait_loadcnt_dscnt 0x901
	v_mul_f64_e32 v[179:180], v[2:3], v[20:21]
	v_mul_f64_e32 v[20:21], v[4:5], v[20:21]
	v_add_f64_e32 v[175:176], v[175:176], v[187:188]
	v_add_f64_e32 v[177:178], v[177:178], v[181:182]
	s_wait_loadcnt_dscnt 0x800
	v_mul_f64_e32 v[181:182], v[6:7], v[24:25]
	v_mul_f64_e32 v[24:25], v[8:9], v[24:25]
	v_fma_f64 v[179:180], v[4:5], v[18:19], v[179:180]
	v_fma_f64 v[187:188], v[2:3], v[18:19], -v[20:21]
	ds_load_b128 v[2:5], v1 offset:1216
	scratch_load_b128 v[18:21], off, off offset:368
	v_add_f64_e32 v[175:176], v[175:176], v[185:186]
	v_add_f64_e32 v[177:178], v[177:178], v[183:184]
	v_fma_f64 v[181:182], v[8:9], v[22:23], v[181:182]
	v_fma_f64 v[185:186], v[6:7], v[22:23], -v[24:25]
	ds_load_b128 v[6:9], v1 offset:1232
	s_wait_loadcnt_dscnt 0x801
	v_mul_f64_e32 v[183:184], v[2:3], v[28:29]
	v_mul_f64_e32 v[28:29], v[4:5], v[28:29]
	scratch_load_b128 v[22:25], off, off offset:384
	v_add_f64_e32 v[175:176], v[175:176], v[187:188]
	v_add_f64_e32 v[177:178], v[177:178], v[179:180]
	s_wait_loadcnt_dscnt 0x800
	v_mul_f64_e32 v[179:180], v[6:7], v[32:33]
	v_mul_f64_e32 v[32:33], v[8:9], v[32:33]
	v_fma_f64 v[183:184], v[4:5], v[26:27], v[183:184]
	v_fma_f64 v[187:188], v[2:3], v[26:27], -v[28:29]
	ds_load_b128 v[2:5], v1 offset:1248
	scratch_load_b128 v[26:29], off, off offset:400
	v_add_f64_e32 v[175:176], v[175:176], v[185:186]
	v_add_f64_e32 v[177:178], v[177:178], v[181:182]
	v_fma_f64 v[179:180], v[8:9], v[30:31], v[179:180]
	v_fma_f64 v[185:186], v[6:7], v[30:31], -v[32:33]
	ds_load_b128 v[6:9], v1 offset:1264
	s_wait_loadcnt_dscnt 0x801
	v_mul_f64_e32 v[181:182], v[2:3], v[36:37]
	v_mul_f64_e32 v[36:37], v[4:5], v[36:37]
	scratch_load_b128 v[30:33], off, off offset:416
	v_add_f64_e32 v[175:176], v[175:176], v[187:188]
	v_add_f64_e32 v[177:178], v[177:178], v[183:184]
	s_wait_loadcnt_dscnt 0x800
	v_mul_f64_e32 v[183:184], v[6:7], v[173:174]
	v_mul_f64_e32 v[173:174], v[8:9], v[173:174]
	v_fma_f64 v[181:182], v[4:5], v[34:35], v[181:182]
	v_fma_f64 v[187:188], v[2:3], v[34:35], -v[36:37]
	ds_load_b128 v[2:5], v1 offset:1280
	scratch_load_b128 v[34:37], off, off offset:432
	v_add_f64_e32 v[175:176], v[175:176], v[185:186]
	v_add_f64_e32 v[177:178], v[177:178], v[179:180]
	v_fma_f64 v[183:184], v[8:9], v[171:172], v[183:184]
	v_fma_f64 v[185:186], v[6:7], v[171:172], -v[173:174]
	ds_load_b128 v[6:9], v1 offset:1296
	scratch_load_b128 v[171:174], off, off offset:448
	s_wait_loadcnt_dscnt 0x901
	v_mul_f64_e32 v[179:180], v[2:3], v[40:41]
	v_mul_f64_e32 v[40:41], v[4:5], v[40:41]
	v_add_f64_e32 v[175:176], v[175:176], v[187:188]
	v_add_f64_e32 v[177:178], v[177:178], v[181:182]
	s_wait_loadcnt_dscnt 0x800
	v_mul_f64_e32 v[181:182], v[6:7], v[169:170]
	v_mul_f64_e32 v[169:170], v[8:9], v[169:170]
	v_fma_f64 v[179:180], v[4:5], v[38:39], v[179:180]
	v_fma_f64 v[187:188], v[2:3], v[38:39], -v[40:41]
	ds_load_b128 v[2:5], v1 offset:1312
	scratch_load_b128 v[38:41], off, off offset:464
	v_add_f64_e32 v[175:176], v[175:176], v[185:186]
	v_add_f64_e32 v[177:178], v[177:178], v[183:184]
	v_fma_f64 v[181:182], v[8:9], v[167:168], v[181:182]
	v_fma_f64 v[185:186], v[6:7], v[167:168], -v[169:170]
	ds_load_b128 v[6:9], v1 offset:1328
	s_wait_loadcnt_dscnt 0x801
	v_mul_f64_e32 v[183:184], v[2:3], v[12:13]
	v_mul_f64_e32 v[12:13], v[4:5], v[12:13]
	scratch_load_b128 v[167:170], off, off offset:480
	v_add_f64_e32 v[175:176], v[175:176], v[187:188]
	v_add_f64_e32 v[177:178], v[177:178], v[179:180]
	s_wait_loadcnt_dscnt 0x800
	v_mul_f64_e32 v[179:180], v[6:7], v[16:17]
	v_mul_f64_e32 v[16:17], v[8:9], v[16:17]
	v_fma_f64 v[183:184], v[4:5], v[10:11], v[183:184]
	v_fma_f64 v[187:188], v[2:3], v[10:11], -v[12:13]
	ds_load_b128 v[2:5], v1 offset:1344
	scratch_load_b128 v[10:13], off, off offset:496
	v_add_f64_e32 v[175:176], v[175:176], v[185:186]
	v_add_f64_e32 v[177:178], v[177:178], v[181:182]
	v_fma_f64 v[179:180], v[8:9], v[14:15], v[179:180]
	v_fma_f64 v[185:186], v[6:7], v[14:15], -v[16:17]
	ds_load_b128 v[6:9], v1 offset:1360
	s_wait_loadcnt_dscnt 0x801
	v_mul_f64_e32 v[181:182], v[2:3], v[20:21]
	v_mul_f64_e32 v[20:21], v[4:5], v[20:21]
	scratch_load_b128 v[14:17], off, off offset:512
	;; [unrolled: 18-line block ×17, first 2 shown]
	v_add_f64_e32 v[175:176], v[175:176], v[187:188]
	v_add_f64_e32 v[177:178], v[177:178], v[183:184]
	s_wait_loadcnt_dscnt 0x800
	v_mul_f64_e32 v[183:184], v[6:7], v[24:25]
	v_mul_f64_e32 v[24:25], v[8:9], v[24:25]
	v_fma_f64 v[181:182], v[4:5], v[18:19], v[181:182]
	v_fma_f64 v[18:19], v[2:3], v[18:19], -v[20:21]
	ds_load_b128 v[2:5], v1 offset:1856
	v_add_f64_e32 v[20:21], v[175:176], v[185:186]
	v_add_f64_e32 v[175:176], v[177:178], v[179:180]
	v_fma_f64 v[179:180], v[8:9], v[22:23], v[183:184]
	v_fma_f64 v[22:23], v[6:7], v[22:23], -v[24:25]
	ds_load_b128 v[6:9], v1 offset:1872
	s_wait_loadcnt_dscnt 0x701
	v_mul_f64_e32 v[177:178], v[2:3], v[28:29]
	v_mul_f64_e32 v[28:29], v[4:5], v[28:29]
	v_add_f64_e32 v[18:19], v[20:21], v[18:19]
	v_add_f64_e32 v[20:21], v[175:176], v[181:182]
	s_delay_alu instid0(VALU_DEP_4) | instskip(NEXT) | instid1(VALU_DEP_4)
	v_fma_f64 v[175:176], v[4:5], v[26:27], v[177:178]
	v_fma_f64 v[26:27], v[2:3], v[26:27], -v[28:29]
	ds_load_b128 v[2:5], v1 offset:1888
	v_add_f64_e32 v[22:23], v[18:19], v[22:23]
	v_add_f64_e32 v[28:29], v[20:21], v[179:180]
	scratch_load_b128 v[18:21], off, off offset:128
	s_wait_loadcnt_dscnt 0x701
	v_mul_f64_e32 v[24:25], v[6:7], v[32:33]
	v_mul_f64_e32 v[32:33], v[8:9], v[32:33]
	v_add_f64_e32 v[22:23], v[22:23], v[26:27]
	v_add_f64_e32 v[26:27], v[28:29], v[175:176]
	s_delay_alu instid0(VALU_DEP_4) | instskip(NEXT) | instid1(VALU_DEP_4)
	v_fma_f64 v[24:25], v[8:9], v[30:31], v[24:25]
	v_fma_f64 v[30:31], v[6:7], v[30:31], -v[32:33]
	ds_load_b128 v[6:9], v1 offset:1904
	s_wait_loadcnt_dscnt 0x601
	v_mul_f64_e32 v[177:178], v[2:3], v[36:37]
	v_mul_f64_e32 v[36:37], v[4:5], v[36:37]
	s_wait_loadcnt_dscnt 0x500
	v_mul_f64_e32 v[28:29], v[6:7], v[173:174]
	v_mul_f64_e32 v[32:33], v[8:9], v[173:174]
	v_add_f64_e32 v[24:25], v[26:27], v[24:25]
	v_add_f64_e32 v[22:23], v[22:23], v[30:31]
	v_fma_f64 v[173:174], v[4:5], v[34:35], v[177:178]
	v_fma_f64 v[34:35], v[2:3], v[34:35], -v[36:37]
	ds_load_b128 v[2:5], v1 offset:1920
	v_fma_f64 v[28:29], v[8:9], v[171:172], v[28:29]
	v_fma_f64 v[32:33], v[6:7], v[171:172], -v[32:33]
	ds_load_b128 v[6:9], v1 offset:1936
	s_wait_loadcnt_dscnt 0x401
	v_mul_f64_e32 v[26:27], v[2:3], v[40:41]
	v_mul_f64_e32 v[30:31], v[4:5], v[40:41]
	v_add_f64_e32 v[24:25], v[24:25], v[173:174]
	v_add_f64_e32 v[22:23], v[22:23], v[34:35]
	s_wait_loadcnt_dscnt 0x300
	v_mul_f64_e32 v[34:35], v[6:7], v[169:170]
	v_mul_f64_e32 v[36:37], v[8:9], v[169:170]
	v_fma_f64 v[26:27], v[4:5], v[38:39], v[26:27]
	v_fma_f64 v[30:31], v[2:3], v[38:39], -v[30:31]
	ds_load_b128 v[2:5], v1 offset:1952
	v_add_f64_e32 v[24:25], v[24:25], v[28:29]
	v_add_f64_e32 v[22:23], v[22:23], v[32:33]
	v_fma_f64 v[32:33], v[8:9], v[167:168], v[34:35]
	v_fma_f64 v[34:35], v[6:7], v[167:168], -v[36:37]
	ds_load_b128 v[6:9], v1 offset:1968
	s_wait_loadcnt_dscnt 0x201
	v_mul_f64_e32 v[28:29], v[2:3], v[12:13]
	v_mul_f64_e32 v[12:13], v[4:5], v[12:13]
	v_add_f64_e32 v[24:25], v[24:25], v[26:27]
	v_add_f64_e32 v[22:23], v[22:23], v[30:31]
	s_wait_loadcnt_dscnt 0x100
	v_mul_f64_e32 v[26:27], v[6:7], v[16:17]
	v_mul_f64_e32 v[16:17], v[8:9], v[16:17]
	v_fma_f64 v[4:5], v[4:5], v[10:11], v[28:29]
	v_fma_f64 v[1:2], v[2:3], v[10:11], -v[12:13]
	v_add_f64_e32 v[12:13], v[24:25], v[32:33]
	v_add_f64_e32 v[10:11], v[22:23], v[34:35]
	v_fma_f64 v[8:9], v[8:9], v[14:15], v[26:27]
	v_fma_f64 v[6:7], v[6:7], v[14:15], -v[16:17]
	s_delay_alu instid0(VALU_DEP_4) | instskip(NEXT) | instid1(VALU_DEP_4)
	v_add_f64_e32 v[3:4], v[12:13], v[4:5]
	v_add_f64_e32 v[1:2], v[10:11], v[1:2]
	s_delay_alu instid0(VALU_DEP_2) | instskip(NEXT) | instid1(VALU_DEP_2)
	v_add_f64_e32 v[3:4], v[3:4], v[8:9]
	v_add_f64_e32 v[1:2], v[1:2], v[6:7]
	s_wait_loadcnt 0x0
	s_delay_alu instid0(VALU_DEP_2) | instskip(NEXT) | instid1(VALU_DEP_2)
	v_add_f64_e64 v[3:4], v[20:21], -v[3:4]
	v_add_f64_e64 v[1:2], v[18:19], -v[1:2]
	scratch_store_b128 off, v[1:4], off offset:128
	v_cmpx_lt_u32_e32 6, v0
	s_cbranch_execz .LBB61_385
; %bb.384:
	scratch_load_b128 v[1:4], off, s71
	v_mov_b32_e32 v5, 0
	s_delay_alu instid0(VALU_DEP_1)
	v_dual_mov_b32 v6, v5 :: v_dual_mov_b32 v7, v5
	v_mov_b32_e32 v8, v5
	scratch_store_b128 off, v[5:8], off offset:112
	s_wait_loadcnt 0x0
	ds_store_b128 v166, v[1:4]
.LBB61_385:
	s_wait_alu 0xfffe
	s_or_b32 exec_lo, exec_lo, s0
	s_wait_storecnt_dscnt 0x0
	s_barrier_signal -1
	s_barrier_wait -1
	global_inv scope:SCOPE_SE
	s_clause 0x7
	scratch_load_b128 v[2:5], off, off offset:128
	scratch_load_b128 v[6:9], off, off offset:144
	;; [unrolled: 1-line block ×8, first 2 shown]
	v_mov_b32_e32 v1, 0
	s_clause 0x1
	scratch_load_b128 v[34:37], off, off offset:256
	scratch_load_b128 v[171:174], off, off offset:272
	s_mov_b32 s0, exec_lo
	ds_load_b128 v[38:41], v1 offset:1104
	ds_load_b128 v[167:170], v1 offset:1120
	s_wait_loadcnt_dscnt 0x901
	v_mul_f64_e32 v[175:176], v[40:41], v[4:5]
	v_mul_f64_e32 v[4:5], v[38:39], v[4:5]
	s_wait_loadcnt_dscnt 0x800
	v_mul_f64_e32 v[177:178], v[167:168], v[8:9]
	v_mul_f64_e32 v[8:9], v[169:170], v[8:9]
	s_delay_alu instid0(VALU_DEP_4) | instskip(NEXT) | instid1(VALU_DEP_4)
	v_fma_f64 v[175:176], v[38:39], v[2:3], -v[175:176]
	v_fma_f64 v[179:180], v[40:41], v[2:3], v[4:5]
	ds_load_b128 v[2:5], v1 offset:1136
	scratch_load_b128 v[38:41], off, off offset:288
	v_fma_f64 v[177:178], v[169:170], v[6:7], v[177:178]
	v_fma_f64 v[183:184], v[167:168], v[6:7], -v[8:9]
	ds_load_b128 v[6:9], v1 offset:1152
	scratch_load_b128 v[167:170], off, off offset:304
	s_wait_loadcnt_dscnt 0x901
	v_mul_f64_e32 v[181:182], v[2:3], v[12:13]
	v_mul_f64_e32 v[12:13], v[4:5], v[12:13]
	s_wait_loadcnt_dscnt 0x800
	v_mul_f64_e32 v[185:186], v[6:7], v[16:17]
	v_mul_f64_e32 v[16:17], v[8:9], v[16:17]
	v_add_f64_e32 v[175:176], 0, v[175:176]
	v_add_f64_e32 v[179:180], 0, v[179:180]
	v_fma_f64 v[181:182], v[4:5], v[10:11], v[181:182]
	v_fma_f64 v[187:188], v[2:3], v[10:11], -v[12:13]
	ds_load_b128 v[2:5], v1 offset:1168
	scratch_load_b128 v[10:13], off, off offset:320
	v_add_f64_e32 v[175:176], v[175:176], v[183:184]
	v_add_f64_e32 v[177:178], v[179:180], v[177:178]
	v_fma_f64 v[183:184], v[8:9], v[14:15], v[185:186]
	v_fma_f64 v[185:186], v[6:7], v[14:15], -v[16:17]
	ds_load_b128 v[6:9], v1 offset:1184
	scratch_load_b128 v[14:17], off, off offset:336
	s_wait_loadcnt_dscnt 0x901
	v_mul_f64_e32 v[179:180], v[2:3], v[20:21]
	v_mul_f64_e32 v[20:21], v[4:5], v[20:21]
	v_add_f64_e32 v[175:176], v[175:176], v[187:188]
	v_add_f64_e32 v[177:178], v[177:178], v[181:182]
	s_wait_loadcnt_dscnt 0x800
	v_mul_f64_e32 v[181:182], v[6:7], v[24:25]
	v_mul_f64_e32 v[24:25], v[8:9], v[24:25]
	v_fma_f64 v[179:180], v[4:5], v[18:19], v[179:180]
	v_fma_f64 v[187:188], v[2:3], v[18:19], -v[20:21]
	ds_load_b128 v[2:5], v1 offset:1200
	scratch_load_b128 v[18:21], off, off offset:352
	v_add_f64_e32 v[175:176], v[175:176], v[185:186]
	v_add_f64_e32 v[177:178], v[177:178], v[183:184]
	v_fma_f64 v[181:182], v[8:9], v[22:23], v[181:182]
	v_fma_f64 v[185:186], v[6:7], v[22:23], -v[24:25]
	ds_load_b128 v[6:9], v1 offset:1216
	s_wait_loadcnt_dscnt 0x801
	v_mul_f64_e32 v[183:184], v[2:3], v[28:29]
	v_mul_f64_e32 v[28:29], v[4:5], v[28:29]
	scratch_load_b128 v[22:25], off, off offset:368
	v_add_f64_e32 v[175:176], v[175:176], v[187:188]
	v_add_f64_e32 v[177:178], v[177:178], v[179:180]
	s_wait_loadcnt_dscnt 0x800
	v_mul_f64_e32 v[179:180], v[6:7], v[32:33]
	v_mul_f64_e32 v[32:33], v[8:9], v[32:33]
	v_fma_f64 v[183:184], v[4:5], v[26:27], v[183:184]
	v_fma_f64 v[187:188], v[2:3], v[26:27], -v[28:29]
	ds_load_b128 v[2:5], v1 offset:1232
	scratch_load_b128 v[26:29], off, off offset:384
	v_add_f64_e32 v[175:176], v[175:176], v[185:186]
	v_add_f64_e32 v[177:178], v[177:178], v[181:182]
	v_fma_f64 v[179:180], v[8:9], v[30:31], v[179:180]
	v_fma_f64 v[185:186], v[6:7], v[30:31], -v[32:33]
	ds_load_b128 v[6:9], v1 offset:1248
	s_wait_loadcnt_dscnt 0x801
	v_mul_f64_e32 v[181:182], v[2:3], v[36:37]
	v_mul_f64_e32 v[36:37], v[4:5], v[36:37]
	scratch_load_b128 v[30:33], off, off offset:400
	v_add_f64_e32 v[175:176], v[175:176], v[187:188]
	v_add_f64_e32 v[177:178], v[177:178], v[183:184]
	s_wait_loadcnt_dscnt 0x800
	v_mul_f64_e32 v[183:184], v[6:7], v[173:174]
	v_mul_f64_e32 v[173:174], v[8:9], v[173:174]
	v_fma_f64 v[181:182], v[4:5], v[34:35], v[181:182]
	v_fma_f64 v[187:188], v[2:3], v[34:35], -v[36:37]
	ds_load_b128 v[2:5], v1 offset:1264
	scratch_load_b128 v[34:37], off, off offset:416
	v_add_f64_e32 v[175:176], v[175:176], v[185:186]
	v_add_f64_e32 v[177:178], v[177:178], v[179:180]
	v_fma_f64 v[183:184], v[8:9], v[171:172], v[183:184]
	v_fma_f64 v[185:186], v[6:7], v[171:172], -v[173:174]
	ds_load_b128 v[6:9], v1 offset:1280
	scratch_load_b128 v[171:174], off, off offset:432
	s_wait_loadcnt_dscnt 0x901
	v_mul_f64_e32 v[179:180], v[2:3], v[40:41]
	v_mul_f64_e32 v[40:41], v[4:5], v[40:41]
	v_add_f64_e32 v[175:176], v[175:176], v[187:188]
	v_add_f64_e32 v[177:178], v[177:178], v[181:182]
	s_wait_loadcnt_dscnt 0x800
	v_mul_f64_e32 v[181:182], v[6:7], v[169:170]
	v_mul_f64_e32 v[169:170], v[8:9], v[169:170]
	v_fma_f64 v[179:180], v[4:5], v[38:39], v[179:180]
	v_fma_f64 v[187:188], v[2:3], v[38:39], -v[40:41]
	ds_load_b128 v[2:5], v1 offset:1296
	scratch_load_b128 v[38:41], off, off offset:448
	v_add_f64_e32 v[175:176], v[175:176], v[185:186]
	v_add_f64_e32 v[177:178], v[177:178], v[183:184]
	v_fma_f64 v[181:182], v[8:9], v[167:168], v[181:182]
	v_fma_f64 v[185:186], v[6:7], v[167:168], -v[169:170]
	ds_load_b128 v[6:9], v1 offset:1312
	s_wait_loadcnt_dscnt 0x801
	v_mul_f64_e32 v[183:184], v[2:3], v[12:13]
	v_mul_f64_e32 v[12:13], v[4:5], v[12:13]
	scratch_load_b128 v[167:170], off, off offset:464
	v_add_f64_e32 v[175:176], v[175:176], v[187:188]
	v_add_f64_e32 v[177:178], v[177:178], v[179:180]
	s_wait_loadcnt_dscnt 0x800
	v_mul_f64_e32 v[179:180], v[6:7], v[16:17]
	v_mul_f64_e32 v[16:17], v[8:9], v[16:17]
	v_fma_f64 v[183:184], v[4:5], v[10:11], v[183:184]
	v_fma_f64 v[187:188], v[2:3], v[10:11], -v[12:13]
	ds_load_b128 v[2:5], v1 offset:1328
	scratch_load_b128 v[10:13], off, off offset:480
	v_add_f64_e32 v[175:176], v[175:176], v[185:186]
	v_add_f64_e32 v[177:178], v[177:178], v[181:182]
	v_fma_f64 v[179:180], v[8:9], v[14:15], v[179:180]
	v_fma_f64 v[185:186], v[6:7], v[14:15], -v[16:17]
	ds_load_b128 v[6:9], v1 offset:1344
	s_wait_loadcnt_dscnt 0x801
	v_mul_f64_e32 v[181:182], v[2:3], v[20:21]
	v_mul_f64_e32 v[20:21], v[4:5], v[20:21]
	scratch_load_b128 v[14:17], off, off offset:496
	;; [unrolled: 18-line block ×17, first 2 shown]
	v_add_f64_e32 v[175:176], v[175:176], v[187:188]
	v_add_f64_e32 v[177:178], v[177:178], v[183:184]
	s_wait_loadcnt_dscnt 0x800
	v_mul_f64_e32 v[183:184], v[6:7], v[24:25]
	v_mul_f64_e32 v[24:25], v[8:9], v[24:25]
	v_fma_f64 v[181:182], v[4:5], v[18:19], v[181:182]
	v_fma_f64 v[187:188], v[2:3], v[18:19], -v[20:21]
	ds_load_b128 v[2:5], v1 offset:1840
	scratch_load_b128 v[18:21], off, off offset:992
	v_add_f64_e32 v[175:176], v[175:176], v[185:186]
	v_add_f64_e32 v[177:178], v[177:178], v[179:180]
	v_fma_f64 v[183:184], v[8:9], v[22:23], v[183:184]
	v_fma_f64 v[22:23], v[6:7], v[22:23], -v[24:25]
	ds_load_b128 v[6:9], v1 offset:1856
	s_wait_loadcnt_dscnt 0x801
	v_mul_f64_e32 v[179:180], v[2:3], v[28:29]
	v_mul_f64_e32 v[28:29], v[4:5], v[28:29]
	v_add_f64_e32 v[24:25], v[175:176], v[187:188]
	v_add_f64_e32 v[175:176], v[177:178], v[181:182]
	s_wait_loadcnt_dscnt 0x700
	v_mul_f64_e32 v[177:178], v[6:7], v[32:33]
	v_mul_f64_e32 v[32:33], v[8:9], v[32:33]
	v_fma_f64 v[179:180], v[4:5], v[26:27], v[179:180]
	v_fma_f64 v[26:27], v[2:3], v[26:27], -v[28:29]
	ds_load_b128 v[2:5], v1 offset:1872
	v_add_f64_e32 v[22:23], v[24:25], v[22:23]
	v_add_f64_e32 v[24:25], v[175:176], v[183:184]
	v_fma_f64 v[175:176], v[8:9], v[30:31], v[177:178]
	v_fma_f64 v[30:31], v[6:7], v[30:31], -v[32:33]
	ds_load_b128 v[6:9], v1 offset:1888
	s_wait_loadcnt_dscnt 0x500
	v_mul_f64_e32 v[177:178], v[6:7], v[173:174]
	v_mul_f64_e32 v[173:174], v[8:9], v[173:174]
	v_add_f64_e32 v[26:27], v[22:23], v[26:27]
	v_add_f64_e32 v[32:33], v[24:25], v[179:180]
	scratch_load_b128 v[22:25], off, off offset:112
	v_mul_f64_e32 v[28:29], v[2:3], v[36:37]
	v_mul_f64_e32 v[36:37], v[4:5], v[36:37]
	v_add_f64_e32 v[26:27], v[26:27], v[30:31]
	v_add_f64_e32 v[30:31], v[32:33], v[175:176]
	s_delay_alu instid0(VALU_DEP_4) | instskip(NEXT) | instid1(VALU_DEP_4)
	v_fma_f64 v[28:29], v[4:5], v[34:35], v[28:29]
	v_fma_f64 v[34:35], v[2:3], v[34:35], -v[36:37]
	ds_load_b128 v[2:5], v1 offset:1904
	s_wait_loadcnt_dscnt 0x500
	v_mul_f64_e32 v[32:33], v[2:3], v[40:41]
	v_mul_f64_e32 v[36:37], v[4:5], v[40:41]
	v_fma_f64 v[40:41], v[8:9], v[171:172], v[177:178]
	v_fma_f64 v[171:172], v[6:7], v[171:172], -v[173:174]
	ds_load_b128 v[6:9], v1 offset:1920
	v_add_f64_e32 v[28:29], v[30:31], v[28:29]
	v_add_f64_e32 v[26:27], v[26:27], v[34:35]
	v_fma_f64 v[32:33], v[4:5], v[38:39], v[32:33]
	v_fma_f64 v[36:37], v[2:3], v[38:39], -v[36:37]
	ds_load_b128 v[2:5], v1 offset:1936
	s_wait_loadcnt_dscnt 0x401
	v_mul_f64_e32 v[30:31], v[6:7], v[169:170]
	v_mul_f64_e32 v[34:35], v[8:9], v[169:170]
	v_add_f64_e32 v[28:29], v[28:29], v[40:41]
	v_add_f64_e32 v[26:27], v[26:27], v[171:172]
	s_wait_loadcnt_dscnt 0x300
	v_mul_f64_e32 v[38:39], v[2:3], v[12:13]
	v_mul_f64_e32 v[12:13], v[4:5], v[12:13]
	v_fma_f64 v[30:31], v[8:9], v[167:168], v[30:31]
	v_fma_f64 v[34:35], v[6:7], v[167:168], -v[34:35]
	ds_load_b128 v[6:9], v1 offset:1952
	v_add_f64_e32 v[28:29], v[28:29], v[32:33]
	v_add_f64_e32 v[26:27], v[26:27], v[36:37]
	v_fma_f64 v[36:37], v[4:5], v[10:11], v[38:39]
	v_fma_f64 v[10:11], v[2:3], v[10:11], -v[12:13]
	ds_load_b128 v[2:5], v1 offset:1968
	s_wait_loadcnt_dscnt 0x201
	v_mul_f64_e32 v[32:33], v[6:7], v[16:17]
	v_mul_f64_e32 v[16:17], v[8:9], v[16:17]
	v_add_f64_e32 v[12:13], v[26:27], v[34:35]
	v_add_f64_e32 v[26:27], v[28:29], v[30:31]
	s_wait_loadcnt_dscnt 0x100
	v_mul_f64_e32 v[28:29], v[2:3], v[20:21]
	v_mul_f64_e32 v[20:21], v[4:5], v[20:21]
	v_fma_f64 v[8:9], v[8:9], v[14:15], v[32:33]
	v_fma_f64 v[6:7], v[6:7], v[14:15], -v[16:17]
	v_add_f64_e32 v[10:11], v[12:13], v[10:11]
	v_add_f64_e32 v[12:13], v[26:27], v[36:37]
	v_fma_f64 v[4:5], v[4:5], v[18:19], v[28:29]
	v_fma_f64 v[2:3], v[2:3], v[18:19], -v[20:21]
	s_delay_alu instid0(VALU_DEP_4) | instskip(NEXT) | instid1(VALU_DEP_4)
	v_add_f64_e32 v[6:7], v[10:11], v[6:7]
	v_add_f64_e32 v[8:9], v[12:13], v[8:9]
	s_delay_alu instid0(VALU_DEP_2) | instskip(NEXT) | instid1(VALU_DEP_2)
	v_add_f64_e32 v[2:3], v[6:7], v[2:3]
	v_add_f64_e32 v[4:5], v[8:9], v[4:5]
	s_wait_loadcnt 0x0
	s_delay_alu instid0(VALU_DEP_2) | instskip(NEXT) | instid1(VALU_DEP_2)
	v_add_f64_e64 v[2:3], v[22:23], -v[2:3]
	v_add_f64_e64 v[4:5], v[24:25], -v[4:5]
	scratch_store_b128 off, v[2:5], off offset:112
	v_cmpx_lt_u32_e32 5, v0
	s_cbranch_execz .LBB61_387
; %bb.386:
	scratch_load_b128 v[5:8], off, s72
	v_dual_mov_b32 v2, v1 :: v_dual_mov_b32 v3, v1
	v_mov_b32_e32 v4, v1
	scratch_store_b128 off, v[1:4], off offset:96
	s_wait_loadcnt 0x0
	ds_store_b128 v166, v[5:8]
.LBB61_387:
	s_wait_alu 0xfffe
	s_or_b32 exec_lo, exec_lo, s0
	s_wait_storecnt_dscnt 0x0
	s_barrier_signal -1
	s_barrier_wait -1
	global_inv scope:SCOPE_SE
	s_clause 0x7
	scratch_load_b128 v[2:5], off, off offset:112
	scratch_load_b128 v[6:9], off, off offset:128
	;; [unrolled: 1-line block ×8, first 2 shown]
	ds_load_b128 v[38:41], v1 offset:1088
	ds_load_b128 v[167:170], v1 offset:1104
	s_clause 0x1
	scratch_load_b128 v[34:37], off, off offset:240
	scratch_load_b128 v[171:174], off, off offset:256
	s_mov_b32 s0, exec_lo
	s_wait_loadcnt_dscnt 0x901
	v_mul_f64_e32 v[175:176], v[40:41], v[4:5]
	v_mul_f64_e32 v[4:5], v[38:39], v[4:5]
	s_wait_loadcnt_dscnt 0x800
	v_mul_f64_e32 v[177:178], v[167:168], v[8:9]
	v_mul_f64_e32 v[8:9], v[169:170], v[8:9]
	s_delay_alu instid0(VALU_DEP_4) | instskip(NEXT) | instid1(VALU_DEP_4)
	v_fma_f64 v[175:176], v[38:39], v[2:3], -v[175:176]
	v_fma_f64 v[179:180], v[40:41], v[2:3], v[4:5]
	ds_load_b128 v[2:5], v1 offset:1120
	scratch_load_b128 v[38:41], off, off offset:272
	v_fma_f64 v[177:178], v[169:170], v[6:7], v[177:178]
	v_fma_f64 v[183:184], v[167:168], v[6:7], -v[8:9]
	ds_load_b128 v[6:9], v1 offset:1136
	scratch_load_b128 v[167:170], off, off offset:288
	s_wait_loadcnt_dscnt 0x901
	v_mul_f64_e32 v[181:182], v[2:3], v[12:13]
	v_mul_f64_e32 v[12:13], v[4:5], v[12:13]
	s_wait_loadcnt_dscnt 0x800
	v_mul_f64_e32 v[185:186], v[6:7], v[16:17]
	v_mul_f64_e32 v[16:17], v[8:9], v[16:17]
	v_add_f64_e32 v[175:176], 0, v[175:176]
	v_add_f64_e32 v[179:180], 0, v[179:180]
	v_fma_f64 v[181:182], v[4:5], v[10:11], v[181:182]
	v_fma_f64 v[187:188], v[2:3], v[10:11], -v[12:13]
	ds_load_b128 v[2:5], v1 offset:1152
	scratch_load_b128 v[10:13], off, off offset:304
	v_add_f64_e32 v[175:176], v[175:176], v[183:184]
	v_add_f64_e32 v[177:178], v[179:180], v[177:178]
	v_fma_f64 v[183:184], v[8:9], v[14:15], v[185:186]
	v_fma_f64 v[185:186], v[6:7], v[14:15], -v[16:17]
	ds_load_b128 v[6:9], v1 offset:1168
	scratch_load_b128 v[14:17], off, off offset:320
	s_wait_loadcnt_dscnt 0x901
	v_mul_f64_e32 v[179:180], v[2:3], v[20:21]
	v_mul_f64_e32 v[20:21], v[4:5], v[20:21]
	v_add_f64_e32 v[175:176], v[175:176], v[187:188]
	v_add_f64_e32 v[177:178], v[177:178], v[181:182]
	s_wait_loadcnt_dscnt 0x800
	v_mul_f64_e32 v[181:182], v[6:7], v[24:25]
	v_mul_f64_e32 v[24:25], v[8:9], v[24:25]
	v_fma_f64 v[179:180], v[4:5], v[18:19], v[179:180]
	v_fma_f64 v[187:188], v[2:3], v[18:19], -v[20:21]
	ds_load_b128 v[2:5], v1 offset:1184
	scratch_load_b128 v[18:21], off, off offset:336
	v_add_f64_e32 v[175:176], v[175:176], v[185:186]
	v_add_f64_e32 v[177:178], v[177:178], v[183:184]
	v_fma_f64 v[181:182], v[8:9], v[22:23], v[181:182]
	v_fma_f64 v[185:186], v[6:7], v[22:23], -v[24:25]
	ds_load_b128 v[6:9], v1 offset:1200
	s_wait_loadcnt_dscnt 0x801
	v_mul_f64_e32 v[183:184], v[2:3], v[28:29]
	v_mul_f64_e32 v[28:29], v[4:5], v[28:29]
	scratch_load_b128 v[22:25], off, off offset:352
	v_add_f64_e32 v[175:176], v[175:176], v[187:188]
	v_add_f64_e32 v[177:178], v[177:178], v[179:180]
	s_wait_loadcnt_dscnt 0x800
	v_mul_f64_e32 v[179:180], v[6:7], v[32:33]
	v_mul_f64_e32 v[32:33], v[8:9], v[32:33]
	v_fma_f64 v[183:184], v[4:5], v[26:27], v[183:184]
	v_fma_f64 v[187:188], v[2:3], v[26:27], -v[28:29]
	ds_load_b128 v[2:5], v1 offset:1216
	scratch_load_b128 v[26:29], off, off offset:368
	v_add_f64_e32 v[175:176], v[175:176], v[185:186]
	v_add_f64_e32 v[177:178], v[177:178], v[181:182]
	v_fma_f64 v[179:180], v[8:9], v[30:31], v[179:180]
	v_fma_f64 v[185:186], v[6:7], v[30:31], -v[32:33]
	ds_load_b128 v[6:9], v1 offset:1232
	s_wait_loadcnt_dscnt 0x801
	v_mul_f64_e32 v[181:182], v[2:3], v[36:37]
	v_mul_f64_e32 v[36:37], v[4:5], v[36:37]
	scratch_load_b128 v[30:33], off, off offset:384
	v_add_f64_e32 v[175:176], v[175:176], v[187:188]
	v_add_f64_e32 v[177:178], v[177:178], v[183:184]
	s_wait_loadcnt_dscnt 0x800
	v_mul_f64_e32 v[183:184], v[6:7], v[173:174]
	v_mul_f64_e32 v[173:174], v[8:9], v[173:174]
	v_fma_f64 v[181:182], v[4:5], v[34:35], v[181:182]
	v_fma_f64 v[187:188], v[2:3], v[34:35], -v[36:37]
	ds_load_b128 v[2:5], v1 offset:1248
	scratch_load_b128 v[34:37], off, off offset:400
	v_add_f64_e32 v[175:176], v[175:176], v[185:186]
	v_add_f64_e32 v[177:178], v[177:178], v[179:180]
	v_fma_f64 v[183:184], v[8:9], v[171:172], v[183:184]
	v_fma_f64 v[185:186], v[6:7], v[171:172], -v[173:174]
	ds_load_b128 v[6:9], v1 offset:1264
	scratch_load_b128 v[171:174], off, off offset:416
	s_wait_loadcnt_dscnt 0x901
	v_mul_f64_e32 v[179:180], v[2:3], v[40:41]
	v_mul_f64_e32 v[40:41], v[4:5], v[40:41]
	v_add_f64_e32 v[175:176], v[175:176], v[187:188]
	v_add_f64_e32 v[177:178], v[177:178], v[181:182]
	s_wait_loadcnt_dscnt 0x800
	v_mul_f64_e32 v[181:182], v[6:7], v[169:170]
	v_mul_f64_e32 v[169:170], v[8:9], v[169:170]
	v_fma_f64 v[179:180], v[4:5], v[38:39], v[179:180]
	v_fma_f64 v[187:188], v[2:3], v[38:39], -v[40:41]
	ds_load_b128 v[2:5], v1 offset:1280
	scratch_load_b128 v[38:41], off, off offset:432
	v_add_f64_e32 v[175:176], v[175:176], v[185:186]
	v_add_f64_e32 v[177:178], v[177:178], v[183:184]
	v_fma_f64 v[181:182], v[8:9], v[167:168], v[181:182]
	v_fma_f64 v[185:186], v[6:7], v[167:168], -v[169:170]
	ds_load_b128 v[6:9], v1 offset:1296
	s_wait_loadcnt_dscnt 0x801
	v_mul_f64_e32 v[183:184], v[2:3], v[12:13]
	v_mul_f64_e32 v[12:13], v[4:5], v[12:13]
	scratch_load_b128 v[167:170], off, off offset:448
	v_add_f64_e32 v[175:176], v[175:176], v[187:188]
	v_add_f64_e32 v[177:178], v[177:178], v[179:180]
	s_wait_loadcnt_dscnt 0x800
	v_mul_f64_e32 v[179:180], v[6:7], v[16:17]
	v_mul_f64_e32 v[16:17], v[8:9], v[16:17]
	v_fma_f64 v[183:184], v[4:5], v[10:11], v[183:184]
	v_fma_f64 v[187:188], v[2:3], v[10:11], -v[12:13]
	ds_load_b128 v[2:5], v1 offset:1312
	scratch_load_b128 v[10:13], off, off offset:464
	v_add_f64_e32 v[175:176], v[175:176], v[185:186]
	v_add_f64_e32 v[177:178], v[177:178], v[181:182]
	v_fma_f64 v[179:180], v[8:9], v[14:15], v[179:180]
	v_fma_f64 v[185:186], v[6:7], v[14:15], -v[16:17]
	ds_load_b128 v[6:9], v1 offset:1328
	s_wait_loadcnt_dscnt 0x801
	v_mul_f64_e32 v[181:182], v[2:3], v[20:21]
	v_mul_f64_e32 v[20:21], v[4:5], v[20:21]
	scratch_load_b128 v[14:17], off, off offset:480
	;; [unrolled: 18-line block ×18, first 2 shown]
	v_add_f64_e32 v[175:176], v[175:176], v[187:188]
	v_add_f64_e32 v[177:178], v[177:178], v[181:182]
	s_wait_loadcnt_dscnt 0x800
	v_mul_f64_e32 v[181:182], v[6:7], v[32:33]
	v_mul_f64_e32 v[32:33], v[8:9], v[32:33]
	v_fma_f64 v[179:180], v[4:5], v[26:27], v[179:180]
	v_fma_f64 v[26:27], v[2:3], v[26:27], -v[28:29]
	ds_load_b128 v[2:5], v1 offset:1856
	v_add_f64_e32 v[28:29], v[175:176], v[185:186]
	v_add_f64_e32 v[175:176], v[177:178], v[183:184]
	v_fma_f64 v[181:182], v[8:9], v[30:31], v[181:182]
	v_fma_f64 v[30:31], v[6:7], v[30:31], -v[32:33]
	ds_load_b128 v[6:9], v1 offset:1872
	s_wait_loadcnt_dscnt 0x701
	v_mul_f64_e32 v[177:178], v[2:3], v[36:37]
	v_mul_f64_e32 v[36:37], v[4:5], v[36:37]
	v_add_f64_e32 v[26:27], v[28:29], v[26:27]
	v_add_f64_e32 v[28:29], v[175:176], v[179:180]
	s_delay_alu instid0(VALU_DEP_4) | instskip(NEXT) | instid1(VALU_DEP_4)
	v_fma_f64 v[175:176], v[4:5], v[34:35], v[177:178]
	v_fma_f64 v[34:35], v[2:3], v[34:35], -v[36:37]
	ds_load_b128 v[2:5], v1 offset:1888
	v_add_f64_e32 v[30:31], v[26:27], v[30:31]
	v_add_f64_e32 v[36:37], v[28:29], v[181:182]
	scratch_load_b128 v[26:29], off, off offset:96
	s_wait_loadcnt_dscnt 0x701
	v_mul_f64_e32 v[32:33], v[6:7], v[173:174]
	v_mul_f64_e32 v[173:174], v[8:9], v[173:174]
	v_add_f64_e32 v[30:31], v[30:31], v[34:35]
	v_add_f64_e32 v[34:35], v[36:37], v[175:176]
	s_delay_alu instid0(VALU_DEP_4) | instskip(NEXT) | instid1(VALU_DEP_4)
	v_fma_f64 v[32:33], v[8:9], v[171:172], v[32:33]
	v_fma_f64 v[171:172], v[6:7], v[171:172], -v[173:174]
	ds_load_b128 v[6:9], v1 offset:1904
	s_wait_loadcnt_dscnt 0x601
	v_mul_f64_e32 v[177:178], v[2:3], v[40:41]
	v_mul_f64_e32 v[40:41], v[4:5], v[40:41]
	s_wait_loadcnt_dscnt 0x500
	v_mul_f64_e32 v[36:37], v[6:7], v[169:170]
	v_mul_f64_e32 v[169:170], v[8:9], v[169:170]
	v_add_f64_e32 v[32:33], v[34:35], v[32:33]
	v_add_f64_e32 v[30:31], v[30:31], v[171:172]
	v_fma_f64 v[173:174], v[4:5], v[38:39], v[177:178]
	v_fma_f64 v[38:39], v[2:3], v[38:39], -v[40:41]
	ds_load_b128 v[2:5], v1 offset:1920
	v_fma_f64 v[36:37], v[8:9], v[167:168], v[36:37]
	v_fma_f64 v[40:41], v[6:7], v[167:168], -v[169:170]
	ds_load_b128 v[6:9], v1 offset:1936
	s_wait_loadcnt_dscnt 0x401
	v_mul_f64_e32 v[34:35], v[2:3], v[12:13]
	v_mul_f64_e32 v[12:13], v[4:5], v[12:13]
	v_add_f64_e32 v[32:33], v[32:33], v[173:174]
	v_add_f64_e32 v[30:31], v[30:31], v[38:39]
	s_wait_loadcnt_dscnt 0x300
	v_mul_f64_e32 v[38:39], v[6:7], v[16:17]
	v_mul_f64_e32 v[16:17], v[8:9], v[16:17]
	v_fma_f64 v[34:35], v[4:5], v[10:11], v[34:35]
	v_fma_f64 v[10:11], v[2:3], v[10:11], -v[12:13]
	ds_load_b128 v[2:5], v1 offset:1952
	v_add_f64_e32 v[12:13], v[30:31], v[40:41]
	v_add_f64_e32 v[30:31], v[32:33], v[36:37]
	v_fma_f64 v[36:37], v[8:9], v[14:15], v[38:39]
	v_fma_f64 v[14:15], v[6:7], v[14:15], -v[16:17]
	ds_load_b128 v[6:9], v1 offset:1968
	s_wait_loadcnt_dscnt 0x201
	v_mul_f64_e32 v[32:33], v[2:3], v[20:21]
	v_mul_f64_e32 v[20:21], v[4:5], v[20:21]
	s_wait_loadcnt_dscnt 0x100
	v_mul_f64_e32 v[16:17], v[6:7], v[24:25]
	v_mul_f64_e32 v[24:25], v[8:9], v[24:25]
	v_add_f64_e32 v[10:11], v[12:13], v[10:11]
	v_add_f64_e32 v[12:13], v[30:31], v[34:35]
	v_fma_f64 v[4:5], v[4:5], v[18:19], v[32:33]
	v_fma_f64 v[1:2], v[2:3], v[18:19], -v[20:21]
	v_fma_f64 v[8:9], v[8:9], v[22:23], v[16:17]
	v_fma_f64 v[6:7], v[6:7], v[22:23], -v[24:25]
	v_add_f64_e32 v[10:11], v[10:11], v[14:15]
	v_add_f64_e32 v[12:13], v[12:13], v[36:37]
	s_delay_alu instid0(VALU_DEP_2) | instskip(NEXT) | instid1(VALU_DEP_2)
	v_add_f64_e32 v[1:2], v[10:11], v[1:2]
	v_add_f64_e32 v[3:4], v[12:13], v[4:5]
	s_delay_alu instid0(VALU_DEP_2) | instskip(NEXT) | instid1(VALU_DEP_2)
	v_add_f64_e32 v[1:2], v[1:2], v[6:7]
	v_add_f64_e32 v[3:4], v[3:4], v[8:9]
	s_wait_loadcnt 0x0
	s_delay_alu instid0(VALU_DEP_2) | instskip(NEXT) | instid1(VALU_DEP_2)
	v_add_f64_e64 v[1:2], v[26:27], -v[1:2]
	v_add_f64_e64 v[3:4], v[28:29], -v[3:4]
	scratch_store_b128 off, v[1:4], off offset:96
	v_cmpx_lt_u32_e32 4, v0
	s_cbranch_execz .LBB61_389
; %bb.388:
	scratch_load_b128 v[1:4], off, s60
	v_mov_b32_e32 v5, 0
	s_delay_alu instid0(VALU_DEP_1)
	v_dual_mov_b32 v6, v5 :: v_dual_mov_b32 v7, v5
	v_mov_b32_e32 v8, v5
	scratch_store_b128 off, v[5:8], off offset:80
	s_wait_loadcnt 0x0
	ds_store_b128 v166, v[1:4]
.LBB61_389:
	s_wait_alu 0xfffe
	s_or_b32 exec_lo, exec_lo, s0
	s_wait_storecnt_dscnt 0x0
	s_barrier_signal -1
	s_barrier_wait -1
	global_inv scope:SCOPE_SE
	s_clause 0x7
	scratch_load_b128 v[2:5], off, off offset:96
	scratch_load_b128 v[6:9], off, off offset:112
	scratch_load_b128 v[10:13], off, off offset:128
	scratch_load_b128 v[14:17], off, off offset:144
	scratch_load_b128 v[18:21], off, off offset:160
	scratch_load_b128 v[22:25], off, off offset:176
	scratch_load_b128 v[26:29], off, off offset:192
	scratch_load_b128 v[30:33], off, off offset:208
	v_mov_b32_e32 v1, 0
	s_clause 0x1
	scratch_load_b128 v[34:37], off, off offset:224
	scratch_load_b128 v[171:174], off, off offset:240
	s_mov_b32 s0, exec_lo
	ds_load_b128 v[38:41], v1 offset:1072
	ds_load_b128 v[167:170], v1 offset:1088
	s_wait_loadcnt_dscnt 0x901
	v_mul_f64_e32 v[175:176], v[40:41], v[4:5]
	v_mul_f64_e32 v[4:5], v[38:39], v[4:5]
	s_wait_loadcnt_dscnt 0x800
	v_mul_f64_e32 v[177:178], v[167:168], v[8:9]
	v_mul_f64_e32 v[8:9], v[169:170], v[8:9]
	s_delay_alu instid0(VALU_DEP_4) | instskip(NEXT) | instid1(VALU_DEP_4)
	v_fma_f64 v[175:176], v[38:39], v[2:3], -v[175:176]
	v_fma_f64 v[179:180], v[40:41], v[2:3], v[4:5]
	ds_load_b128 v[2:5], v1 offset:1104
	scratch_load_b128 v[38:41], off, off offset:256
	v_fma_f64 v[177:178], v[169:170], v[6:7], v[177:178]
	v_fma_f64 v[183:184], v[167:168], v[6:7], -v[8:9]
	ds_load_b128 v[6:9], v1 offset:1120
	scratch_load_b128 v[167:170], off, off offset:272
	s_wait_loadcnt_dscnt 0x901
	v_mul_f64_e32 v[181:182], v[2:3], v[12:13]
	v_mul_f64_e32 v[12:13], v[4:5], v[12:13]
	s_wait_loadcnt_dscnt 0x800
	v_mul_f64_e32 v[185:186], v[6:7], v[16:17]
	v_mul_f64_e32 v[16:17], v[8:9], v[16:17]
	v_add_f64_e32 v[175:176], 0, v[175:176]
	v_add_f64_e32 v[179:180], 0, v[179:180]
	v_fma_f64 v[181:182], v[4:5], v[10:11], v[181:182]
	v_fma_f64 v[187:188], v[2:3], v[10:11], -v[12:13]
	ds_load_b128 v[2:5], v1 offset:1136
	scratch_load_b128 v[10:13], off, off offset:288
	v_add_f64_e32 v[175:176], v[175:176], v[183:184]
	v_add_f64_e32 v[177:178], v[179:180], v[177:178]
	v_fma_f64 v[183:184], v[8:9], v[14:15], v[185:186]
	v_fma_f64 v[185:186], v[6:7], v[14:15], -v[16:17]
	ds_load_b128 v[6:9], v1 offset:1152
	scratch_load_b128 v[14:17], off, off offset:304
	s_wait_loadcnt_dscnt 0x901
	v_mul_f64_e32 v[179:180], v[2:3], v[20:21]
	v_mul_f64_e32 v[20:21], v[4:5], v[20:21]
	v_add_f64_e32 v[175:176], v[175:176], v[187:188]
	v_add_f64_e32 v[177:178], v[177:178], v[181:182]
	s_wait_loadcnt_dscnt 0x800
	v_mul_f64_e32 v[181:182], v[6:7], v[24:25]
	v_mul_f64_e32 v[24:25], v[8:9], v[24:25]
	v_fma_f64 v[179:180], v[4:5], v[18:19], v[179:180]
	v_fma_f64 v[187:188], v[2:3], v[18:19], -v[20:21]
	ds_load_b128 v[2:5], v1 offset:1168
	scratch_load_b128 v[18:21], off, off offset:320
	v_add_f64_e32 v[175:176], v[175:176], v[185:186]
	v_add_f64_e32 v[177:178], v[177:178], v[183:184]
	v_fma_f64 v[181:182], v[8:9], v[22:23], v[181:182]
	v_fma_f64 v[185:186], v[6:7], v[22:23], -v[24:25]
	ds_load_b128 v[6:9], v1 offset:1184
	s_wait_loadcnt_dscnt 0x801
	v_mul_f64_e32 v[183:184], v[2:3], v[28:29]
	v_mul_f64_e32 v[28:29], v[4:5], v[28:29]
	scratch_load_b128 v[22:25], off, off offset:336
	v_add_f64_e32 v[175:176], v[175:176], v[187:188]
	v_add_f64_e32 v[177:178], v[177:178], v[179:180]
	s_wait_loadcnt_dscnt 0x800
	v_mul_f64_e32 v[179:180], v[6:7], v[32:33]
	v_mul_f64_e32 v[32:33], v[8:9], v[32:33]
	v_fma_f64 v[183:184], v[4:5], v[26:27], v[183:184]
	v_fma_f64 v[187:188], v[2:3], v[26:27], -v[28:29]
	ds_load_b128 v[2:5], v1 offset:1200
	scratch_load_b128 v[26:29], off, off offset:352
	v_add_f64_e32 v[175:176], v[175:176], v[185:186]
	v_add_f64_e32 v[177:178], v[177:178], v[181:182]
	v_fma_f64 v[179:180], v[8:9], v[30:31], v[179:180]
	v_fma_f64 v[185:186], v[6:7], v[30:31], -v[32:33]
	ds_load_b128 v[6:9], v1 offset:1216
	s_wait_loadcnt_dscnt 0x801
	v_mul_f64_e32 v[181:182], v[2:3], v[36:37]
	v_mul_f64_e32 v[36:37], v[4:5], v[36:37]
	scratch_load_b128 v[30:33], off, off offset:368
	v_add_f64_e32 v[175:176], v[175:176], v[187:188]
	v_add_f64_e32 v[177:178], v[177:178], v[183:184]
	s_wait_loadcnt_dscnt 0x800
	v_mul_f64_e32 v[183:184], v[6:7], v[173:174]
	v_mul_f64_e32 v[173:174], v[8:9], v[173:174]
	v_fma_f64 v[181:182], v[4:5], v[34:35], v[181:182]
	v_fma_f64 v[187:188], v[2:3], v[34:35], -v[36:37]
	ds_load_b128 v[2:5], v1 offset:1232
	scratch_load_b128 v[34:37], off, off offset:384
	v_add_f64_e32 v[175:176], v[175:176], v[185:186]
	v_add_f64_e32 v[177:178], v[177:178], v[179:180]
	v_fma_f64 v[183:184], v[8:9], v[171:172], v[183:184]
	v_fma_f64 v[185:186], v[6:7], v[171:172], -v[173:174]
	ds_load_b128 v[6:9], v1 offset:1248
	scratch_load_b128 v[171:174], off, off offset:400
	s_wait_loadcnt_dscnt 0x901
	v_mul_f64_e32 v[179:180], v[2:3], v[40:41]
	v_mul_f64_e32 v[40:41], v[4:5], v[40:41]
	v_add_f64_e32 v[175:176], v[175:176], v[187:188]
	v_add_f64_e32 v[177:178], v[177:178], v[181:182]
	s_wait_loadcnt_dscnt 0x800
	v_mul_f64_e32 v[181:182], v[6:7], v[169:170]
	v_mul_f64_e32 v[169:170], v[8:9], v[169:170]
	v_fma_f64 v[179:180], v[4:5], v[38:39], v[179:180]
	v_fma_f64 v[187:188], v[2:3], v[38:39], -v[40:41]
	ds_load_b128 v[2:5], v1 offset:1264
	scratch_load_b128 v[38:41], off, off offset:416
	v_add_f64_e32 v[175:176], v[175:176], v[185:186]
	v_add_f64_e32 v[177:178], v[177:178], v[183:184]
	v_fma_f64 v[181:182], v[8:9], v[167:168], v[181:182]
	v_fma_f64 v[185:186], v[6:7], v[167:168], -v[169:170]
	ds_load_b128 v[6:9], v1 offset:1280
	s_wait_loadcnt_dscnt 0x801
	v_mul_f64_e32 v[183:184], v[2:3], v[12:13]
	v_mul_f64_e32 v[12:13], v[4:5], v[12:13]
	scratch_load_b128 v[167:170], off, off offset:432
	v_add_f64_e32 v[175:176], v[175:176], v[187:188]
	v_add_f64_e32 v[177:178], v[177:178], v[179:180]
	s_wait_loadcnt_dscnt 0x800
	v_mul_f64_e32 v[179:180], v[6:7], v[16:17]
	v_mul_f64_e32 v[16:17], v[8:9], v[16:17]
	v_fma_f64 v[183:184], v[4:5], v[10:11], v[183:184]
	v_fma_f64 v[187:188], v[2:3], v[10:11], -v[12:13]
	ds_load_b128 v[2:5], v1 offset:1296
	scratch_load_b128 v[10:13], off, off offset:448
	v_add_f64_e32 v[175:176], v[175:176], v[185:186]
	v_add_f64_e32 v[177:178], v[177:178], v[181:182]
	v_fma_f64 v[179:180], v[8:9], v[14:15], v[179:180]
	v_fma_f64 v[185:186], v[6:7], v[14:15], -v[16:17]
	ds_load_b128 v[6:9], v1 offset:1312
	s_wait_loadcnt_dscnt 0x801
	v_mul_f64_e32 v[181:182], v[2:3], v[20:21]
	v_mul_f64_e32 v[20:21], v[4:5], v[20:21]
	scratch_load_b128 v[14:17], off, off offset:464
	;; [unrolled: 18-line block ×18, first 2 shown]
	v_add_f64_e32 v[175:176], v[175:176], v[187:188]
	v_add_f64_e32 v[177:178], v[177:178], v[181:182]
	s_wait_loadcnt_dscnt 0x800
	v_mul_f64_e32 v[181:182], v[6:7], v[32:33]
	v_mul_f64_e32 v[32:33], v[8:9], v[32:33]
	v_fma_f64 v[179:180], v[4:5], v[26:27], v[179:180]
	v_fma_f64 v[187:188], v[2:3], v[26:27], -v[28:29]
	ds_load_b128 v[2:5], v1 offset:1840
	scratch_load_b128 v[26:29], off, off offset:992
	v_add_f64_e32 v[175:176], v[175:176], v[185:186]
	v_add_f64_e32 v[177:178], v[177:178], v[183:184]
	v_fma_f64 v[181:182], v[8:9], v[30:31], v[181:182]
	v_fma_f64 v[30:31], v[6:7], v[30:31], -v[32:33]
	ds_load_b128 v[6:9], v1 offset:1856
	s_wait_loadcnt_dscnt 0x801
	v_mul_f64_e32 v[183:184], v[2:3], v[36:37]
	v_mul_f64_e32 v[36:37], v[4:5], v[36:37]
	v_add_f64_e32 v[32:33], v[175:176], v[187:188]
	v_add_f64_e32 v[175:176], v[177:178], v[179:180]
	s_wait_loadcnt_dscnt 0x700
	v_mul_f64_e32 v[177:178], v[6:7], v[173:174]
	v_mul_f64_e32 v[173:174], v[8:9], v[173:174]
	v_fma_f64 v[179:180], v[4:5], v[34:35], v[183:184]
	v_fma_f64 v[34:35], v[2:3], v[34:35], -v[36:37]
	ds_load_b128 v[2:5], v1 offset:1872
	v_add_f64_e32 v[30:31], v[32:33], v[30:31]
	v_add_f64_e32 v[32:33], v[175:176], v[181:182]
	v_fma_f64 v[175:176], v[8:9], v[171:172], v[177:178]
	v_fma_f64 v[171:172], v[6:7], v[171:172], -v[173:174]
	ds_load_b128 v[6:9], v1 offset:1888
	s_wait_loadcnt_dscnt 0x500
	v_mul_f64_e32 v[177:178], v[6:7], v[169:170]
	v_mul_f64_e32 v[169:170], v[8:9], v[169:170]
	v_add_f64_e32 v[34:35], v[30:31], v[34:35]
	v_add_f64_e32 v[173:174], v[32:33], v[179:180]
	scratch_load_b128 v[30:33], off, off offset:80
	v_mul_f64_e32 v[36:37], v[2:3], v[40:41]
	v_mul_f64_e32 v[40:41], v[4:5], v[40:41]
	v_add_f64_e32 v[34:35], v[34:35], v[171:172]
	s_delay_alu instid0(VALU_DEP_3) | instskip(NEXT) | instid1(VALU_DEP_3)
	v_fma_f64 v[36:37], v[4:5], v[38:39], v[36:37]
	v_fma_f64 v[38:39], v[2:3], v[38:39], -v[40:41]
	v_add_f64_e32 v[40:41], v[173:174], v[175:176]
	ds_load_b128 v[2:5], v1 offset:1904
	v_fma_f64 v[173:174], v[8:9], v[167:168], v[177:178]
	v_fma_f64 v[167:168], v[6:7], v[167:168], -v[169:170]
	ds_load_b128 v[6:9], v1 offset:1920
	s_wait_loadcnt_dscnt 0x501
	v_mul_f64_e32 v[171:172], v[2:3], v[12:13]
	v_mul_f64_e32 v[12:13], v[4:5], v[12:13]
	v_add_f64_e32 v[34:35], v[34:35], v[38:39]
	v_add_f64_e32 v[36:37], v[40:41], v[36:37]
	s_wait_loadcnt_dscnt 0x400
	v_mul_f64_e32 v[38:39], v[6:7], v[16:17]
	v_mul_f64_e32 v[16:17], v[8:9], v[16:17]
	v_fma_f64 v[40:41], v[4:5], v[10:11], v[171:172]
	v_fma_f64 v[10:11], v[2:3], v[10:11], -v[12:13]
	ds_load_b128 v[2:5], v1 offset:1936
	v_add_f64_e32 v[12:13], v[34:35], v[167:168]
	v_add_f64_e32 v[34:35], v[36:37], v[173:174]
	v_fma_f64 v[38:39], v[8:9], v[14:15], v[38:39]
	v_fma_f64 v[14:15], v[6:7], v[14:15], -v[16:17]
	ds_load_b128 v[6:9], v1 offset:1952
	s_wait_loadcnt_dscnt 0x301
	v_mul_f64_e32 v[36:37], v[2:3], v[20:21]
	v_mul_f64_e32 v[20:21], v[4:5], v[20:21]
	s_wait_loadcnt_dscnt 0x200
	v_mul_f64_e32 v[16:17], v[6:7], v[24:25]
	v_mul_f64_e32 v[24:25], v[8:9], v[24:25]
	v_add_f64_e32 v[10:11], v[12:13], v[10:11]
	v_add_f64_e32 v[12:13], v[34:35], v[40:41]
	v_fma_f64 v[34:35], v[4:5], v[18:19], v[36:37]
	v_fma_f64 v[18:19], v[2:3], v[18:19], -v[20:21]
	ds_load_b128 v[2:5], v1 offset:1968
	v_fma_f64 v[8:9], v[8:9], v[22:23], v[16:17]
	v_fma_f64 v[6:7], v[6:7], v[22:23], -v[24:25]
	s_wait_loadcnt_dscnt 0x100
	v_mul_f64_e32 v[20:21], v[4:5], v[28:29]
	v_add_f64_e32 v[10:11], v[10:11], v[14:15]
	v_add_f64_e32 v[12:13], v[12:13], v[38:39]
	v_mul_f64_e32 v[14:15], v[2:3], v[28:29]
	s_delay_alu instid0(VALU_DEP_4) | instskip(NEXT) | instid1(VALU_DEP_4)
	v_fma_f64 v[2:3], v[2:3], v[26:27], -v[20:21]
	v_add_f64_e32 v[10:11], v[10:11], v[18:19]
	s_delay_alu instid0(VALU_DEP_4) | instskip(NEXT) | instid1(VALU_DEP_4)
	v_add_f64_e32 v[12:13], v[12:13], v[34:35]
	v_fma_f64 v[4:5], v[4:5], v[26:27], v[14:15]
	s_delay_alu instid0(VALU_DEP_3) | instskip(NEXT) | instid1(VALU_DEP_3)
	v_add_f64_e32 v[6:7], v[10:11], v[6:7]
	v_add_f64_e32 v[8:9], v[12:13], v[8:9]
	s_delay_alu instid0(VALU_DEP_2) | instskip(NEXT) | instid1(VALU_DEP_2)
	v_add_f64_e32 v[2:3], v[6:7], v[2:3]
	v_add_f64_e32 v[4:5], v[8:9], v[4:5]
	s_wait_loadcnt 0x0
	s_delay_alu instid0(VALU_DEP_2) | instskip(NEXT) | instid1(VALU_DEP_2)
	v_add_f64_e64 v[2:3], v[30:31], -v[2:3]
	v_add_f64_e64 v[4:5], v[32:33], -v[4:5]
	scratch_store_b128 off, v[2:5], off offset:80
	v_cmpx_lt_u32_e32 3, v0
	s_cbranch_execz .LBB61_391
; %bb.390:
	scratch_load_b128 v[5:8], off, s61
	v_dual_mov_b32 v2, v1 :: v_dual_mov_b32 v3, v1
	v_mov_b32_e32 v4, v1
	scratch_store_b128 off, v[1:4], off offset:64
	s_wait_loadcnt 0x0
	ds_store_b128 v166, v[5:8]
.LBB61_391:
	s_wait_alu 0xfffe
	s_or_b32 exec_lo, exec_lo, s0
	s_wait_storecnt_dscnt 0x0
	s_barrier_signal -1
	s_barrier_wait -1
	global_inv scope:SCOPE_SE
	s_clause 0x7
	scratch_load_b128 v[2:5], off, off offset:80
	scratch_load_b128 v[6:9], off, off offset:96
	;; [unrolled: 1-line block ×8, first 2 shown]
	ds_load_b128 v[38:41], v1 offset:1056
	ds_load_b128 v[167:170], v1 offset:1072
	s_clause 0x1
	scratch_load_b128 v[34:37], off, off offset:208
	scratch_load_b128 v[171:174], off, off offset:224
	s_mov_b32 s0, exec_lo
	s_wait_loadcnt_dscnt 0x901
	v_mul_f64_e32 v[175:176], v[40:41], v[4:5]
	v_mul_f64_e32 v[4:5], v[38:39], v[4:5]
	s_wait_loadcnt_dscnt 0x800
	v_mul_f64_e32 v[177:178], v[167:168], v[8:9]
	v_mul_f64_e32 v[8:9], v[169:170], v[8:9]
	s_delay_alu instid0(VALU_DEP_4) | instskip(NEXT) | instid1(VALU_DEP_4)
	v_fma_f64 v[175:176], v[38:39], v[2:3], -v[175:176]
	v_fma_f64 v[179:180], v[40:41], v[2:3], v[4:5]
	ds_load_b128 v[2:5], v1 offset:1088
	scratch_load_b128 v[38:41], off, off offset:240
	v_fma_f64 v[177:178], v[169:170], v[6:7], v[177:178]
	v_fma_f64 v[183:184], v[167:168], v[6:7], -v[8:9]
	ds_load_b128 v[6:9], v1 offset:1104
	scratch_load_b128 v[167:170], off, off offset:256
	s_wait_loadcnt_dscnt 0x901
	v_mul_f64_e32 v[181:182], v[2:3], v[12:13]
	v_mul_f64_e32 v[12:13], v[4:5], v[12:13]
	s_wait_loadcnt_dscnt 0x800
	v_mul_f64_e32 v[185:186], v[6:7], v[16:17]
	v_mul_f64_e32 v[16:17], v[8:9], v[16:17]
	v_add_f64_e32 v[175:176], 0, v[175:176]
	v_add_f64_e32 v[179:180], 0, v[179:180]
	v_fma_f64 v[181:182], v[4:5], v[10:11], v[181:182]
	v_fma_f64 v[187:188], v[2:3], v[10:11], -v[12:13]
	ds_load_b128 v[2:5], v1 offset:1120
	scratch_load_b128 v[10:13], off, off offset:272
	v_add_f64_e32 v[175:176], v[175:176], v[183:184]
	v_add_f64_e32 v[177:178], v[179:180], v[177:178]
	v_fma_f64 v[183:184], v[8:9], v[14:15], v[185:186]
	v_fma_f64 v[185:186], v[6:7], v[14:15], -v[16:17]
	ds_load_b128 v[6:9], v1 offset:1136
	scratch_load_b128 v[14:17], off, off offset:288
	s_wait_loadcnt_dscnt 0x901
	v_mul_f64_e32 v[179:180], v[2:3], v[20:21]
	v_mul_f64_e32 v[20:21], v[4:5], v[20:21]
	v_add_f64_e32 v[175:176], v[175:176], v[187:188]
	v_add_f64_e32 v[177:178], v[177:178], v[181:182]
	s_wait_loadcnt_dscnt 0x800
	v_mul_f64_e32 v[181:182], v[6:7], v[24:25]
	v_mul_f64_e32 v[24:25], v[8:9], v[24:25]
	v_fma_f64 v[179:180], v[4:5], v[18:19], v[179:180]
	v_fma_f64 v[187:188], v[2:3], v[18:19], -v[20:21]
	ds_load_b128 v[2:5], v1 offset:1152
	scratch_load_b128 v[18:21], off, off offset:304
	v_add_f64_e32 v[175:176], v[175:176], v[185:186]
	v_add_f64_e32 v[177:178], v[177:178], v[183:184]
	v_fma_f64 v[181:182], v[8:9], v[22:23], v[181:182]
	v_fma_f64 v[185:186], v[6:7], v[22:23], -v[24:25]
	ds_load_b128 v[6:9], v1 offset:1168
	s_wait_loadcnt_dscnt 0x801
	v_mul_f64_e32 v[183:184], v[2:3], v[28:29]
	v_mul_f64_e32 v[28:29], v[4:5], v[28:29]
	scratch_load_b128 v[22:25], off, off offset:320
	v_add_f64_e32 v[175:176], v[175:176], v[187:188]
	v_add_f64_e32 v[177:178], v[177:178], v[179:180]
	s_wait_loadcnt_dscnt 0x800
	v_mul_f64_e32 v[179:180], v[6:7], v[32:33]
	v_mul_f64_e32 v[32:33], v[8:9], v[32:33]
	v_fma_f64 v[183:184], v[4:5], v[26:27], v[183:184]
	v_fma_f64 v[187:188], v[2:3], v[26:27], -v[28:29]
	ds_load_b128 v[2:5], v1 offset:1184
	scratch_load_b128 v[26:29], off, off offset:336
	v_add_f64_e32 v[175:176], v[175:176], v[185:186]
	v_add_f64_e32 v[177:178], v[177:178], v[181:182]
	v_fma_f64 v[179:180], v[8:9], v[30:31], v[179:180]
	v_fma_f64 v[185:186], v[6:7], v[30:31], -v[32:33]
	ds_load_b128 v[6:9], v1 offset:1200
	s_wait_loadcnt_dscnt 0x801
	v_mul_f64_e32 v[181:182], v[2:3], v[36:37]
	v_mul_f64_e32 v[36:37], v[4:5], v[36:37]
	scratch_load_b128 v[30:33], off, off offset:352
	v_add_f64_e32 v[175:176], v[175:176], v[187:188]
	v_add_f64_e32 v[177:178], v[177:178], v[183:184]
	s_wait_loadcnt_dscnt 0x800
	v_mul_f64_e32 v[183:184], v[6:7], v[173:174]
	v_mul_f64_e32 v[173:174], v[8:9], v[173:174]
	v_fma_f64 v[181:182], v[4:5], v[34:35], v[181:182]
	v_fma_f64 v[187:188], v[2:3], v[34:35], -v[36:37]
	ds_load_b128 v[2:5], v1 offset:1216
	scratch_load_b128 v[34:37], off, off offset:368
	v_add_f64_e32 v[175:176], v[175:176], v[185:186]
	v_add_f64_e32 v[177:178], v[177:178], v[179:180]
	v_fma_f64 v[183:184], v[8:9], v[171:172], v[183:184]
	v_fma_f64 v[185:186], v[6:7], v[171:172], -v[173:174]
	ds_load_b128 v[6:9], v1 offset:1232
	scratch_load_b128 v[171:174], off, off offset:384
	s_wait_loadcnt_dscnt 0x901
	v_mul_f64_e32 v[179:180], v[2:3], v[40:41]
	v_mul_f64_e32 v[40:41], v[4:5], v[40:41]
	v_add_f64_e32 v[175:176], v[175:176], v[187:188]
	v_add_f64_e32 v[177:178], v[177:178], v[181:182]
	s_wait_loadcnt_dscnt 0x800
	v_mul_f64_e32 v[181:182], v[6:7], v[169:170]
	v_mul_f64_e32 v[169:170], v[8:9], v[169:170]
	v_fma_f64 v[179:180], v[4:5], v[38:39], v[179:180]
	v_fma_f64 v[187:188], v[2:3], v[38:39], -v[40:41]
	ds_load_b128 v[2:5], v1 offset:1248
	scratch_load_b128 v[38:41], off, off offset:400
	v_add_f64_e32 v[175:176], v[175:176], v[185:186]
	v_add_f64_e32 v[177:178], v[177:178], v[183:184]
	v_fma_f64 v[181:182], v[8:9], v[167:168], v[181:182]
	v_fma_f64 v[185:186], v[6:7], v[167:168], -v[169:170]
	ds_load_b128 v[6:9], v1 offset:1264
	s_wait_loadcnt_dscnt 0x801
	v_mul_f64_e32 v[183:184], v[2:3], v[12:13]
	v_mul_f64_e32 v[12:13], v[4:5], v[12:13]
	scratch_load_b128 v[167:170], off, off offset:416
	v_add_f64_e32 v[175:176], v[175:176], v[187:188]
	v_add_f64_e32 v[177:178], v[177:178], v[179:180]
	s_wait_loadcnt_dscnt 0x800
	v_mul_f64_e32 v[179:180], v[6:7], v[16:17]
	v_mul_f64_e32 v[16:17], v[8:9], v[16:17]
	v_fma_f64 v[183:184], v[4:5], v[10:11], v[183:184]
	v_fma_f64 v[187:188], v[2:3], v[10:11], -v[12:13]
	ds_load_b128 v[2:5], v1 offset:1280
	scratch_load_b128 v[10:13], off, off offset:432
	v_add_f64_e32 v[175:176], v[175:176], v[185:186]
	v_add_f64_e32 v[177:178], v[177:178], v[181:182]
	v_fma_f64 v[179:180], v[8:9], v[14:15], v[179:180]
	v_fma_f64 v[185:186], v[6:7], v[14:15], -v[16:17]
	ds_load_b128 v[6:9], v1 offset:1296
	s_wait_loadcnt_dscnt 0x801
	v_mul_f64_e32 v[181:182], v[2:3], v[20:21]
	v_mul_f64_e32 v[20:21], v[4:5], v[20:21]
	scratch_load_b128 v[14:17], off, off offset:448
	;; [unrolled: 18-line block ×19, first 2 shown]
	v_add_f64_e32 v[175:176], v[175:176], v[187:188]
	v_add_f64_e32 v[177:178], v[177:178], v[179:180]
	s_wait_loadcnt_dscnt 0x800
	v_mul_f64_e32 v[179:180], v[6:7], v[173:174]
	v_mul_f64_e32 v[173:174], v[8:9], v[173:174]
	v_fma_f64 v[183:184], v[4:5], v[34:35], v[183:184]
	v_fma_f64 v[34:35], v[2:3], v[34:35], -v[36:37]
	ds_load_b128 v[2:5], v1 offset:1856
	v_add_f64_e32 v[36:37], v[175:176], v[185:186]
	v_add_f64_e32 v[175:176], v[177:178], v[181:182]
	v_fma_f64 v[179:180], v[8:9], v[171:172], v[179:180]
	v_fma_f64 v[171:172], v[6:7], v[171:172], -v[173:174]
	ds_load_b128 v[6:9], v1 offset:1872
	s_wait_loadcnt_dscnt 0x701
	v_mul_f64_e32 v[177:178], v[2:3], v[40:41]
	v_mul_f64_e32 v[40:41], v[4:5], v[40:41]
	v_add_f64_e32 v[34:35], v[36:37], v[34:35]
	v_add_f64_e32 v[36:37], v[175:176], v[183:184]
	s_delay_alu instid0(VALU_DEP_4) | instskip(NEXT) | instid1(VALU_DEP_4)
	v_fma_f64 v[175:176], v[4:5], v[38:39], v[177:178]
	v_fma_f64 v[38:39], v[2:3], v[38:39], -v[40:41]
	ds_load_b128 v[2:5], v1 offset:1888
	v_add_f64_e32 v[40:41], v[34:35], v[171:172]
	v_add_f64_e32 v[171:172], v[36:37], v[179:180]
	scratch_load_b128 v[34:37], off, off offset:64
	s_wait_loadcnt_dscnt 0x701
	v_mul_f64_e32 v[173:174], v[6:7], v[169:170]
	v_mul_f64_e32 v[169:170], v[8:9], v[169:170]
	v_add_f64_e32 v[38:39], v[40:41], v[38:39]
	v_add_f64_e32 v[40:41], v[171:172], v[175:176]
	s_delay_alu instid0(VALU_DEP_4) | instskip(NEXT) | instid1(VALU_DEP_4)
	v_fma_f64 v[173:174], v[8:9], v[167:168], v[173:174]
	v_fma_f64 v[167:168], v[6:7], v[167:168], -v[169:170]
	ds_load_b128 v[6:9], v1 offset:1904
	s_wait_loadcnt_dscnt 0x601
	v_mul_f64_e32 v[177:178], v[2:3], v[12:13]
	v_mul_f64_e32 v[12:13], v[4:5], v[12:13]
	s_wait_loadcnt_dscnt 0x500
	v_mul_f64_e32 v[169:170], v[6:7], v[16:17]
	v_mul_f64_e32 v[16:17], v[8:9], v[16:17]
	s_delay_alu instid0(VALU_DEP_4) | instskip(NEXT) | instid1(VALU_DEP_4)
	v_fma_f64 v[171:172], v[4:5], v[10:11], v[177:178]
	v_fma_f64 v[10:11], v[2:3], v[10:11], -v[12:13]
	v_add_f64_e32 v[12:13], v[38:39], v[167:168]
	v_add_f64_e32 v[38:39], v[40:41], v[173:174]
	ds_load_b128 v[2:5], v1 offset:1920
	v_fma_f64 v[167:168], v[8:9], v[14:15], v[169:170]
	v_fma_f64 v[14:15], v[6:7], v[14:15], -v[16:17]
	ds_load_b128 v[6:9], v1 offset:1936
	s_wait_loadcnt_dscnt 0x401
	v_mul_f64_e32 v[40:41], v[2:3], v[20:21]
	v_mul_f64_e32 v[20:21], v[4:5], v[20:21]
	v_add_f64_e32 v[10:11], v[12:13], v[10:11]
	v_add_f64_e32 v[12:13], v[38:39], v[171:172]
	s_wait_loadcnt_dscnt 0x300
	v_mul_f64_e32 v[16:17], v[6:7], v[24:25]
	v_mul_f64_e32 v[24:25], v[8:9], v[24:25]
	v_fma_f64 v[38:39], v[4:5], v[18:19], v[40:41]
	v_fma_f64 v[18:19], v[2:3], v[18:19], -v[20:21]
	ds_load_b128 v[2:5], v1 offset:1952
	v_add_f64_e32 v[10:11], v[10:11], v[14:15]
	v_add_f64_e32 v[12:13], v[12:13], v[167:168]
	v_fma_f64 v[16:17], v[8:9], v[22:23], v[16:17]
	v_fma_f64 v[22:23], v[6:7], v[22:23], -v[24:25]
	ds_load_b128 v[6:9], v1 offset:1968
	s_wait_loadcnt_dscnt 0x201
	v_mul_f64_e32 v[14:15], v[2:3], v[28:29]
	v_mul_f64_e32 v[20:21], v[4:5], v[28:29]
	s_wait_loadcnt_dscnt 0x100
	v_mul_f64_e32 v[24:25], v[8:9], v[32:33]
	v_add_f64_e32 v[10:11], v[10:11], v[18:19]
	v_add_f64_e32 v[12:13], v[12:13], v[38:39]
	v_mul_f64_e32 v[18:19], v[6:7], v[32:33]
	v_fma_f64 v[4:5], v[4:5], v[26:27], v[14:15]
	v_fma_f64 v[1:2], v[2:3], v[26:27], -v[20:21]
	v_fma_f64 v[6:7], v[6:7], v[30:31], -v[24:25]
	v_add_f64_e32 v[10:11], v[10:11], v[22:23]
	v_add_f64_e32 v[12:13], v[12:13], v[16:17]
	v_fma_f64 v[8:9], v[8:9], v[30:31], v[18:19]
	s_delay_alu instid0(VALU_DEP_3) | instskip(NEXT) | instid1(VALU_DEP_3)
	v_add_f64_e32 v[1:2], v[10:11], v[1:2]
	v_add_f64_e32 v[3:4], v[12:13], v[4:5]
	s_delay_alu instid0(VALU_DEP_2) | instskip(NEXT) | instid1(VALU_DEP_2)
	v_add_f64_e32 v[1:2], v[1:2], v[6:7]
	v_add_f64_e32 v[3:4], v[3:4], v[8:9]
	s_wait_loadcnt 0x0
	s_delay_alu instid0(VALU_DEP_2) | instskip(NEXT) | instid1(VALU_DEP_2)
	v_add_f64_e64 v[1:2], v[34:35], -v[1:2]
	v_add_f64_e64 v[3:4], v[36:37], -v[3:4]
	scratch_store_b128 off, v[1:4], off offset:64
	v_cmpx_lt_u32_e32 2, v0
	s_cbranch_execz .LBB61_393
; %bb.392:
	scratch_load_b128 v[1:4], off, s62
	v_mov_b32_e32 v5, 0
	s_delay_alu instid0(VALU_DEP_1)
	v_dual_mov_b32 v6, v5 :: v_dual_mov_b32 v7, v5
	v_mov_b32_e32 v8, v5
	scratch_store_b128 off, v[5:8], off offset:48
	s_wait_loadcnt 0x0
	ds_store_b128 v166, v[1:4]
.LBB61_393:
	s_wait_alu 0xfffe
	s_or_b32 exec_lo, exec_lo, s0
	s_wait_storecnt_dscnt 0x0
	s_barrier_signal -1
	s_barrier_wait -1
	global_inv scope:SCOPE_SE
	s_clause 0x7
	scratch_load_b128 v[2:5], off, off offset:64
	scratch_load_b128 v[6:9], off, off offset:80
	;; [unrolled: 1-line block ×8, first 2 shown]
	v_mov_b32_e32 v1, 0
	s_clause 0x1
	scratch_load_b128 v[34:37], off, off offset:192
	scratch_load_b128 v[171:174], off, off offset:208
	s_mov_b32 s0, exec_lo
	ds_load_b128 v[38:41], v1 offset:1040
	ds_load_b128 v[167:170], v1 offset:1056
	s_wait_loadcnt_dscnt 0x901
	v_mul_f64_e32 v[175:176], v[40:41], v[4:5]
	v_mul_f64_e32 v[4:5], v[38:39], v[4:5]
	s_wait_loadcnt_dscnt 0x800
	v_mul_f64_e32 v[177:178], v[167:168], v[8:9]
	v_mul_f64_e32 v[8:9], v[169:170], v[8:9]
	s_delay_alu instid0(VALU_DEP_4) | instskip(NEXT) | instid1(VALU_DEP_4)
	v_fma_f64 v[175:176], v[38:39], v[2:3], -v[175:176]
	v_fma_f64 v[179:180], v[40:41], v[2:3], v[4:5]
	ds_load_b128 v[2:5], v1 offset:1072
	scratch_load_b128 v[38:41], off, off offset:224
	v_fma_f64 v[177:178], v[169:170], v[6:7], v[177:178]
	v_fma_f64 v[183:184], v[167:168], v[6:7], -v[8:9]
	ds_load_b128 v[6:9], v1 offset:1088
	scratch_load_b128 v[167:170], off, off offset:240
	s_wait_loadcnt_dscnt 0x901
	v_mul_f64_e32 v[181:182], v[2:3], v[12:13]
	v_mul_f64_e32 v[12:13], v[4:5], v[12:13]
	s_wait_loadcnt_dscnt 0x800
	v_mul_f64_e32 v[185:186], v[6:7], v[16:17]
	v_mul_f64_e32 v[16:17], v[8:9], v[16:17]
	v_add_f64_e32 v[175:176], 0, v[175:176]
	v_add_f64_e32 v[179:180], 0, v[179:180]
	v_fma_f64 v[181:182], v[4:5], v[10:11], v[181:182]
	v_fma_f64 v[187:188], v[2:3], v[10:11], -v[12:13]
	ds_load_b128 v[2:5], v1 offset:1104
	scratch_load_b128 v[10:13], off, off offset:256
	v_add_f64_e32 v[175:176], v[175:176], v[183:184]
	v_add_f64_e32 v[177:178], v[179:180], v[177:178]
	v_fma_f64 v[183:184], v[8:9], v[14:15], v[185:186]
	v_fma_f64 v[185:186], v[6:7], v[14:15], -v[16:17]
	ds_load_b128 v[6:9], v1 offset:1120
	scratch_load_b128 v[14:17], off, off offset:272
	s_wait_loadcnt_dscnt 0x901
	v_mul_f64_e32 v[179:180], v[2:3], v[20:21]
	v_mul_f64_e32 v[20:21], v[4:5], v[20:21]
	v_add_f64_e32 v[175:176], v[175:176], v[187:188]
	v_add_f64_e32 v[177:178], v[177:178], v[181:182]
	s_wait_loadcnt_dscnt 0x800
	v_mul_f64_e32 v[181:182], v[6:7], v[24:25]
	v_mul_f64_e32 v[24:25], v[8:9], v[24:25]
	v_fma_f64 v[179:180], v[4:5], v[18:19], v[179:180]
	v_fma_f64 v[187:188], v[2:3], v[18:19], -v[20:21]
	ds_load_b128 v[2:5], v1 offset:1136
	scratch_load_b128 v[18:21], off, off offset:288
	v_add_f64_e32 v[175:176], v[175:176], v[185:186]
	v_add_f64_e32 v[177:178], v[177:178], v[183:184]
	v_fma_f64 v[181:182], v[8:9], v[22:23], v[181:182]
	v_fma_f64 v[185:186], v[6:7], v[22:23], -v[24:25]
	ds_load_b128 v[6:9], v1 offset:1152
	s_wait_loadcnt_dscnt 0x801
	v_mul_f64_e32 v[183:184], v[2:3], v[28:29]
	v_mul_f64_e32 v[28:29], v[4:5], v[28:29]
	scratch_load_b128 v[22:25], off, off offset:304
	v_add_f64_e32 v[175:176], v[175:176], v[187:188]
	v_add_f64_e32 v[177:178], v[177:178], v[179:180]
	s_wait_loadcnt_dscnt 0x800
	v_mul_f64_e32 v[179:180], v[6:7], v[32:33]
	v_mul_f64_e32 v[32:33], v[8:9], v[32:33]
	v_fma_f64 v[183:184], v[4:5], v[26:27], v[183:184]
	v_fma_f64 v[187:188], v[2:3], v[26:27], -v[28:29]
	ds_load_b128 v[2:5], v1 offset:1168
	scratch_load_b128 v[26:29], off, off offset:320
	v_add_f64_e32 v[175:176], v[175:176], v[185:186]
	v_add_f64_e32 v[177:178], v[177:178], v[181:182]
	v_fma_f64 v[179:180], v[8:9], v[30:31], v[179:180]
	v_fma_f64 v[185:186], v[6:7], v[30:31], -v[32:33]
	ds_load_b128 v[6:9], v1 offset:1184
	s_wait_loadcnt_dscnt 0x801
	v_mul_f64_e32 v[181:182], v[2:3], v[36:37]
	v_mul_f64_e32 v[36:37], v[4:5], v[36:37]
	scratch_load_b128 v[30:33], off, off offset:336
	v_add_f64_e32 v[175:176], v[175:176], v[187:188]
	v_add_f64_e32 v[177:178], v[177:178], v[183:184]
	s_wait_loadcnt_dscnt 0x800
	v_mul_f64_e32 v[183:184], v[6:7], v[173:174]
	v_mul_f64_e32 v[173:174], v[8:9], v[173:174]
	v_fma_f64 v[181:182], v[4:5], v[34:35], v[181:182]
	v_fma_f64 v[187:188], v[2:3], v[34:35], -v[36:37]
	ds_load_b128 v[2:5], v1 offset:1200
	scratch_load_b128 v[34:37], off, off offset:352
	v_add_f64_e32 v[175:176], v[175:176], v[185:186]
	v_add_f64_e32 v[177:178], v[177:178], v[179:180]
	v_fma_f64 v[183:184], v[8:9], v[171:172], v[183:184]
	v_fma_f64 v[185:186], v[6:7], v[171:172], -v[173:174]
	ds_load_b128 v[6:9], v1 offset:1216
	scratch_load_b128 v[171:174], off, off offset:368
	s_wait_loadcnt_dscnt 0x901
	v_mul_f64_e32 v[179:180], v[2:3], v[40:41]
	v_mul_f64_e32 v[40:41], v[4:5], v[40:41]
	v_add_f64_e32 v[175:176], v[175:176], v[187:188]
	v_add_f64_e32 v[177:178], v[177:178], v[181:182]
	s_wait_loadcnt_dscnt 0x800
	v_mul_f64_e32 v[181:182], v[6:7], v[169:170]
	v_mul_f64_e32 v[169:170], v[8:9], v[169:170]
	v_fma_f64 v[179:180], v[4:5], v[38:39], v[179:180]
	v_fma_f64 v[187:188], v[2:3], v[38:39], -v[40:41]
	ds_load_b128 v[2:5], v1 offset:1232
	scratch_load_b128 v[38:41], off, off offset:384
	v_add_f64_e32 v[175:176], v[175:176], v[185:186]
	v_add_f64_e32 v[177:178], v[177:178], v[183:184]
	v_fma_f64 v[181:182], v[8:9], v[167:168], v[181:182]
	v_fma_f64 v[185:186], v[6:7], v[167:168], -v[169:170]
	ds_load_b128 v[6:9], v1 offset:1248
	s_wait_loadcnt_dscnt 0x801
	v_mul_f64_e32 v[183:184], v[2:3], v[12:13]
	v_mul_f64_e32 v[12:13], v[4:5], v[12:13]
	scratch_load_b128 v[167:170], off, off offset:400
	v_add_f64_e32 v[175:176], v[175:176], v[187:188]
	v_add_f64_e32 v[177:178], v[177:178], v[179:180]
	s_wait_loadcnt_dscnt 0x800
	v_mul_f64_e32 v[179:180], v[6:7], v[16:17]
	v_mul_f64_e32 v[16:17], v[8:9], v[16:17]
	v_fma_f64 v[183:184], v[4:5], v[10:11], v[183:184]
	v_fma_f64 v[187:188], v[2:3], v[10:11], -v[12:13]
	ds_load_b128 v[2:5], v1 offset:1264
	scratch_load_b128 v[10:13], off, off offset:416
	v_add_f64_e32 v[175:176], v[175:176], v[185:186]
	v_add_f64_e32 v[177:178], v[177:178], v[181:182]
	v_fma_f64 v[179:180], v[8:9], v[14:15], v[179:180]
	v_fma_f64 v[185:186], v[6:7], v[14:15], -v[16:17]
	ds_load_b128 v[6:9], v1 offset:1280
	s_wait_loadcnt_dscnt 0x801
	v_mul_f64_e32 v[181:182], v[2:3], v[20:21]
	v_mul_f64_e32 v[20:21], v[4:5], v[20:21]
	scratch_load_b128 v[14:17], off, off offset:432
	;; [unrolled: 18-line block ×19, first 2 shown]
	v_add_f64_e32 v[175:176], v[175:176], v[187:188]
	v_add_f64_e32 v[177:178], v[177:178], v[179:180]
	s_wait_loadcnt_dscnt 0x800
	v_mul_f64_e32 v[179:180], v[6:7], v[173:174]
	v_mul_f64_e32 v[173:174], v[8:9], v[173:174]
	v_fma_f64 v[183:184], v[4:5], v[34:35], v[183:184]
	v_fma_f64 v[187:188], v[2:3], v[34:35], -v[36:37]
	ds_load_b128 v[2:5], v1 offset:1840
	scratch_load_b128 v[34:37], off, off offset:992
	v_add_f64_e32 v[175:176], v[175:176], v[185:186]
	v_add_f64_e32 v[177:178], v[177:178], v[181:182]
	v_fma_f64 v[179:180], v[8:9], v[171:172], v[179:180]
	v_fma_f64 v[171:172], v[6:7], v[171:172], -v[173:174]
	ds_load_b128 v[6:9], v1 offset:1856
	s_wait_loadcnt_dscnt 0x801
	v_mul_f64_e32 v[181:182], v[2:3], v[40:41]
	v_mul_f64_e32 v[40:41], v[4:5], v[40:41]
	v_add_f64_e32 v[173:174], v[175:176], v[187:188]
	v_add_f64_e32 v[175:176], v[177:178], v[183:184]
	s_wait_loadcnt_dscnt 0x700
	v_mul_f64_e32 v[177:178], v[6:7], v[169:170]
	v_mul_f64_e32 v[169:170], v[8:9], v[169:170]
	v_fma_f64 v[181:182], v[4:5], v[38:39], v[181:182]
	v_fma_f64 v[38:39], v[2:3], v[38:39], -v[40:41]
	ds_load_b128 v[2:5], v1 offset:1872
	v_add_f64_e32 v[40:41], v[173:174], v[171:172]
	v_add_f64_e32 v[171:172], v[175:176], v[179:180]
	v_fma_f64 v[175:176], v[8:9], v[167:168], v[177:178]
	v_fma_f64 v[167:168], v[6:7], v[167:168], -v[169:170]
	ds_load_b128 v[6:9], v1 offset:1888
	s_wait_loadcnt_dscnt 0x500
	v_mul_f64_e32 v[177:178], v[6:7], v[16:17]
	v_mul_f64_e32 v[16:17], v[8:9], v[16:17]
	v_add_f64_e32 v[169:170], v[40:41], v[38:39]
	v_add_f64_e32 v[171:172], v[171:172], v[181:182]
	scratch_load_b128 v[38:41], off, off offset:48
	v_mul_f64_e32 v[173:174], v[2:3], v[12:13]
	v_mul_f64_e32 v[12:13], v[4:5], v[12:13]
	s_delay_alu instid0(VALU_DEP_2) | instskip(NEXT) | instid1(VALU_DEP_2)
	v_fma_f64 v[173:174], v[4:5], v[10:11], v[173:174]
	v_fma_f64 v[10:11], v[2:3], v[10:11], -v[12:13]
	v_add_f64_e32 v[12:13], v[169:170], v[167:168]
	v_add_f64_e32 v[167:168], v[171:172], v[175:176]
	ds_load_b128 v[2:5], v1 offset:1904
	v_fma_f64 v[171:172], v[8:9], v[14:15], v[177:178]
	v_fma_f64 v[14:15], v[6:7], v[14:15], -v[16:17]
	ds_load_b128 v[6:9], v1 offset:1920
	s_wait_loadcnt_dscnt 0x501
	v_mul_f64_e32 v[169:170], v[2:3], v[20:21]
	v_mul_f64_e32 v[20:21], v[4:5], v[20:21]
	s_wait_loadcnt_dscnt 0x400
	v_mul_f64_e32 v[16:17], v[6:7], v[24:25]
	v_mul_f64_e32 v[24:25], v[8:9], v[24:25]
	v_add_f64_e32 v[10:11], v[12:13], v[10:11]
	v_add_f64_e32 v[12:13], v[167:168], v[173:174]
	v_fma_f64 v[167:168], v[4:5], v[18:19], v[169:170]
	v_fma_f64 v[18:19], v[2:3], v[18:19], -v[20:21]
	ds_load_b128 v[2:5], v1 offset:1936
	v_fma_f64 v[16:17], v[8:9], v[22:23], v[16:17]
	v_fma_f64 v[22:23], v[6:7], v[22:23], -v[24:25]
	ds_load_b128 v[6:9], v1 offset:1952
	v_add_f64_e32 v[10:11], v[10:11], v[14:15]
	v_add_f64_e32 v[12:13], v[12:13], v[171:172]
	s_wait_loadcnt_dscnt 0x301
	v_mul_f64_e32 v[14:15], v[2:3], v[28:29]
	v_mul_f64_e32 v[20:21], v[4:5], v[28:29]
	s_wait_loadcnt_dscnt 0x200
	v_mul_f64_e32 v[24:25], v[8:9], v[32:33]
	v_add_f64_e32 v[10:11], v[10:11], v[18:19]
	v_add_f64_e32 v[12:13], v[12:13], v[167:168]
	v_mul_f64_e32 v[18:19], v[6:7], v[32:33]
	v_fma_f64 v[14:15], v[4:5], v[26:27], v[14:15]
	v_fma_f64 v[20:21], v[2:3], v[26:27], -v[20:21]
	ds_load_b128 v[2:5], v1 offset:1968
	v_fma_f64 v[6:7], v[6:7], v[30:31], -v[24:25]
	v_add_f64_e32 v[10:11], v[10:11], v[22:23]
	v_add_f64_e32 v[12:13], v[12:13], v[16:17]
	s_wait_loadcnt_dscnt 0x100
	v_mul_f64_e32 v[16:17], v[2:3], v[36:37]
	v_mul_f64_e32 v[22:23], v[4:5], v[36:37]
	v_fma_f64 v[8:9], v[8:9], v[30:31], v[18:19]
	v_add_f64_e32 v[10:11], v[10:11], v[20:21]
	v_add_f64_e32 v[12:13], v[12:13], v[14:15]
	v_fma_f64 v[4:5], v[4:5], v[34:35], v[16:17]
	v_fma_f64 v[2:3], v[2:3], v[34:35], -v[22:23]
	s_delay_alu instid0(VALU_DEP_4) | instskip(NEXT) | instid1(VALU_DEP_4)
	v_add_f64_e32 v[6:7], v[10:11], v[6:7]
	v_add_f64_e32 v[8:9], v[12:13], v[8:9]
	s_delay_alu instid0(VALU_DEP_2) | instskip(NEXT) | instid1(VALU_DEP_2)
	v_add_f64_e32 v[2:3], v[6:7], v[2:3]
	v_add_f64_e32 v[4:5], v[8:9], v[4:5]
	s_wait_loadcnt 0x0
	s_delay_alu instid0(VALU_DEP_2) | instskip(NEXT) | instid1(VALU_DEP_2)
	v_add_f64_e64 v[2:3], v[38:39], -v[2:3]
	v_add_f64_e64 v[4:5], v[40:41], -v[4:5]
	scratch_store_b128 off, v[2:5], off offset:48
	v_cmpx_lt_u32_e32 1, v0
	s_cbranch_execz .LBB61_395
; %bb.394:
	scratch_load_b128 v[5:8], off, s63
	v_dual_mov_b32 v2, v1 :: v_dual_mov_b32 v3, v1
	v_mov_b32_e32 v4, v1
	scratch_store_b128 off, v[1:4], off offset:32
	s_wait_loadcnt 0x0
	ds_store_b128 v166, v[5:8]
.LBB61_395:
	s_wait_alu 0xfffe
	s_or_b32 exec_lo, exec_lo, s0
	s_wait_storecnt_dscnt 0x0
	s_barrier_signal -1
	s_barrier_wait -1
	global_inv scope:SCOPE_SE
	s_clause 0x7
	scratch_load_b128 v[2:5], off, off offset:48
	scratch_load_b128 v[6:9], off, off offset:64
	;; [unrolled: 1-line block ×8, first 2 shown]
	ds_load_b128 v[38:41], v1 offset:1024
	ds_load_b128 v[167:170], v1 offset:1040
	s_clause 0x1
	scratch_load_b128 v[34:37], off, off offset:176
	scratch_load_b128 v[171:174], off, off offset:192
	s_mov_b32 s0, exec_lo
	s_wait_loadcnt_dscnt 0x901
	v_mul_f64_e32 v[175:176], v[40:41], v[4:5]
	v_mul_f64_e32 v[4:5], v[38:39], v[4:5]
	s_wait_loadcnt_dscnt 0x800
	v_mul_f64_e32 v[177:178], v[167:168], v[8:9]
	v_mul_f64_e32 v[8:9], v[169:170], v[8:9]
	s_delay_alu instid0(VALU_DEP_4) | instskip(NEXT) | instid1(VALU_DEP_4)
	v_fma_f64 v[175:176], v[38:39], v[2:3], -v[175:176]
	v_fma_f64 v[179:180], v[40:41], v[2:3], v[4:5]
	ds_load_b128 v[2:5], v1 offset:1056
	scratch_load_b128 v[38:41], off, off offset:208
	v_fma_f64 v[177:178], v[169:170], v[6:7], v[177:178]
	v_fma_f64 v[183:184], v[167:168], v[6:7], -v[8:9]
	ds_load_b128 v[6:9], v1 offset:1072
	scratch_load_b128 v[167:170], off, off offset:224
	s_wait_loadcnt_dscnt 0x901
	v_mul_f64_e32 v[181:182], v[2:3], v[12:13]
	v_mul_f64_e32 v[12:13], v[4:5], v[12:13]
	s_wait_loadcnt_dscnt 0x800
	v_mul_f64_e32 v[185:186], v[6:7], v[16:17]
	v_mul_f64_e32 v[16:17], v[8:9], v[16:17]
	v_add_f64_e32 v[175:176], 0, v[175:176]
	v_add_f64_e32 v[179:180], 0, v[179:180]
	v_fma_f64 v[181:182], v[4:5], v[10:11], v[181:182]
	v_fma_f64 v[187:188], v[2:3], v[10:11], -v[12:13]
	ds_load_b128 v[2:5], v1 offset:1088
	scratch_load_b128 v[10:13], off, off offset:240
	v_add_f64_e32 v[175:176], v[175:176], v[183:184]
	v_add_f64_e32 v[177:178], v[179:180], v[177:178]
	v_fma_f64 v[183:184], v[8:9], v[14:15], v[185:186]
	v_fma_f64 v[185:186], v[6:7], v[14:15], -v[16:17]
	ds_load_b128 v[6:9], v1 offset:1104
	scratch_load_b128 v[14:17], off, off offset:256
	s_wait_loadcnt_dscnt 0x901
	v_mul_f64_e32 v[179:180], v[2:3], v[20:21]
	v_mul_f64_e32 v[20:21], v[4:5], v[20:21]
	v_add_f64_e32 v[175:176], v[175:176], v[187:188]
	v_add_f64_e32 v[177:178], v[177:178], v[181:182]
	s_wait_loadcnt_dscnt 0x800
	v_mul_f64_e32 v[181:182], v[6:7], v[24:25]
	v_mul_f64_e32 v[24:25], v[8:9], v[24:25]
	v_fma_f64 v[179:180], v[4:5], v[18:19], v[179:180]
	v_fma_f64 v[187:188], v[2:3], v[18:19], -v[20:21]
	ds_load_b128 v[2:5], v1 offset:1120
	scratch_load_b128 v[18:21], off, off offset:272
	v_add_f64_e32 v[175:176], v[175:176], v[185:186]
	v_add_f64_e32 v[177:178], v[177:178], v[183:184]
	v_fma_f64 v[181:182], v[8:9], v[22:23], v[181:182]
	v_fma_f64 v[185:186], v[6:7], v[22:23], -v[24:25]
	ds_load_b128 v[6:9], v1 offset:1136
	s_wait_loadcnt_dscnt 0x801
	v_mul_f64_e32 v[183:184], v[2:3], v[28:29]
	v_mul_f64_e32 v[28:29], v[4:5], v[28:29]
	scratch_load_b128 v[22:25], off, off offset:288
	v_add_f64_e32 v[175:176], v[175:176], v[187:188]
	v_add_f64_e32 v[177:178], v[177:178], v[179:180]
	s_wait_loadcnt_dscnt 0x800
	v_mul_f64_e32 v[179:180], v[6:7], v[32:33]
	v_mul_f64_e32 v[32:33], v[8:9], v[32:33]
	v_fma_f64 v[183:184], v[4:5], v[26:27], v[183:184]
	v_fma_f64 v[187:188], v[2:3], v[26:27], -v[28:29]
	ds_load_b128 v[2:5], v1 offset:1152
	scratch_load_b128 v[26:29], off, off offset:304
	v_add_f64_e32 v[175:176], v[175:176], v[185:186]
	v_add_f64_e32 v[177:178], v[177:178], v[181:182]
	v_fma_f64 v[179:180], v[8:9], v[30:31], v[179:180]
	v_fma_f64 v[185:186], v[6:7], v[30:31], -v[32:33]
	ds_load_b128 v[6:9], v1 offset:1168
	s_wait_loadcnt_dscnt 0x801
	v_mul_f64_e32 v[181:182], v[2:3], v[36:37]
	v_mul_f64_e32 v[36:37], v[4:5], v[36:37]
	scratch_load_b128 v[30:33], off, off offset:320
	v_add_f64_e32 v[175:176], v[175:176], v[187:188]
	v_add_f64_e32 v[177:178], v[177:178], v[183:184]
	s_wait_loadcnt_dscnt 0x800
	v_mul_f64_e32 v[183:184], v[6:7], v[173:174]
	v_mul_f64_e32 v[173:174], v[8:9], v[173:174]
	v_fma_f64 v[181:182], v[4:5], v[34:35], v[181:182]
	v_fma_f64 v[187:188], v[2:3], v[34:35], -v[36:37]
	ds_load_b128 v[2:5], v1 offset:1184
	scratch_load_b128 v[34:37], off, off offset:336
	v_add_f64_e32 v[175:176], v[175:176], v[185:186]
	v_add_f64_e32 v[177:178], v[177:178], v[179:180]
	v_fma_f64 v[183:184], v[8:9], v[171:172], v[183:184]
	v_fma_f64 v[185:186], v[6:7], v[171:172], -v[173:174]
	ds_load_b128 v[6:9], v1 offset:1200
	scratch_load_b128 v[171:174], off, off offset:352
	s_wait_loadcnt_dscnt 0x901
	v_mul_f64_e32 v[179:180], v[2:3], v[40:41]
	v_mul_f64_e32 v[40:41], v[4:5], v[40:41]
	v_add_f64_e32 v[175:176], v[175:176], v[187:188]
	v_add_f64_e32 v[177:178], v[177:178], v[181:182]
	s_wait_loadcnt_dscnt 0x800
	v_mul_f64_e32 v[181:182], v[6:7], v[169:170]
	v_mul_f64_e32 v[169:170], v[8:9], v[169:170]
	v_fma_f64 v[179:180], v[4:5], v[38:39], v[179:180]
	v_fma_f64 v[187:188], v[2:3], v[38:39], -v[40:41]
	ds_load_b128 v[2:5], v1 offset:1216
	scratch_load_b128 v[38:41], off, off offset:368
	v_add_f64_e32 v[175:176], v[175:176], v[185:186]
	v_add_f64_e32 v[177:178], v[177:178], v[183:184]
	v_fma_f64 v[181:182], v[8:9], v[167:168], v[181:182]
	v_fma_f64 v[185:186], v[6:7], v[167:168], -v[169:170]
	ds_load_b128 v[6:9], v1 offset:1232
	s_wait_loadcnt_dscnt 0x801
	v_mul_f64_e32 v[183:184], v[2:3], v[12:13]
	v_mul_f64_e32 v[12:13], v[4:5], v[12:13]
	scratch_load_b128 v[167:170], off, off offset:384
	v_add_f64_e32 v[175:176], v[175:176], v[187:188]
	v_add_f64_e32 v[177:178], v[177:178], v[179:180]
	s_wait_loadcnt_dscnt 0x800
	v_mul_f64_e32 v[179:180], v[6:7], v[16:17]
	v_mul_f64_e32 v[16:17], v[8:9], v[16:17]
	v_fma_f64 v[183:184], v[4:5], v[10:11], v[183:184]
	v_fma_f64 v[187:188], v[2:3], v[10:11], -v[12:13]
	ds_load_b128 v[2:5], v1 offset:1248
	scratch_load_b128 v[10:13], off, off offset:400
	v_add_f64_e32 v[175:176], v[175:176], v[185:186]
	v_add_f64_e32 v[177:178], v[177:178], v[181:182]
	v_fma_f64 v[179:180], v[8:9], v[14:15], v[179:180]
	v_fma_f64 v[185:186], v[6:7], v[14:15], -v[16:17]
	ds_load_b128 v[6:9], v1 offset:1264
	s_wait_loadcnt_dscnt 0x801
	v_mul_f64_e32 v[181:182], v[2:3], v[20:21]
	v_mul_f64_e32 v[20:21], v[4:5], v[20:21]
	scratch_load_b128 v[14:17], off, off offset:416
	;; [unrolled: 18-line block ×11, first 2 shown]
	v_add_f64_e32 v[175:176], v[175:176], v[187:188]
	v_add_f64_e32 v[177:178], v[177:178], v[183:184]
	s_wait_loadcnt_dscnt 0x800
	v_mul_f64_e32 v[183:184], v[6:7], v[16:17]
	v_mul_f64_e32 v[16:17], v[8:9], v[16:17]
	v_fma_f64 v[181:182], v[4:5], v[10:11], v[181:182]
	v_fma_f64 v[187:188], v[2:3], v[10:11], -v[12:13]
	scratch_load_b128 v[10:13], off, off offset:720
	ds_load_b128 v[2:5], v1 offset:1568
	v_add_f64_e32 v[175:176], v[175:176], v[185:186]
	v_add_f64_e32 v[177:178], v[177:178], v[179:180]
	v_fma_f64 v[183:184], v[8:9], v[14:15], v[183:184]
	v_fma_f64 v[185:186], v[6:7], v[14:15], -v[16:17]
	ds_load_b128 v[6:9], v1 offset:1584
	s_wait_loadcnt_dscnt 0x801
	v_mul_f64_e32 v[179:180], v[2:3], v[20:21]
	v_mul_f64_e32 v[20:21], v[4:5], v[20:21]
	scratch_load_b128 v[14:17], off, off offset:736
	v_add_f64_e32 v[175:176], v[175:176], v[187:188]
	v_add_f64_e32 v[177:178], v[177:178], v[181:182]
	s_wait_loadcnt_dscnt 0x800
	v_mul_f64_e32 v[181:182], v[6:7], v[24:25]
	v_mul_f64_e32 v[24:25], v[8:9], v[24:25]
	v_fma_f64 v[179:180], v[4:5], v[18:19], v[179:180]
	v_fma_f64 v[187:188], v[2:3], v[18:19], -v[20:21]
	ds_load_b128 v[2:5], v1 offset:1600
	scratch_load_b128 v[18:21], off, off offset:752
	v_add_f64_e32 v[175:176], v[175:176], v[185:186]
	v_add_f64_e32 v[177:178], v[177:178], v[183:184]
	v_fma_f64 v[181:182], v[8:9], v[22:23], v[181:182]
	v_fma_f64 v[185:186], v[6:7], v[22:23], -v[24:25]
	ds_load_b128 v[6:9], v1 offset:1616
	s_wait_loadcnt_dscnt 0x801
	v_mul_f64_e32 v[183:184], v[2:3], v[28:29]
	v_mul_f64_e32 v[28:29], v[4:5], v[28:29]
	scratch_load_b128 v[22:25], off, off offset:768
	v_add_f64_e32 v[175:176], v[175:176], v[187:188]
	v_add_f64_e32 v[177:178], v[177:178], v[179:180]
	s_wait_loadcnt_dscnt 0x800
	v_mul_f64_e32 v[179:180], v[6:7], v[32:33]
	v_mul_f64_e32 v[32:33], v[8:9], v[32:33]
	v_fma_f64 v[183:184], v[4:5], v[26:27], v[183:184]
	v_fma_f64 v[187:188], v[2:3], v[26:27], -v[28:29]
	ds_load_b128 v[2:5], v1 offset:1632
	scratch_load_b128 v[26:29], off, off offset:784
	;; [unrolled: 18-line block ×4, first 2 shown]
	v_add_f64_e32 v[175:176], v[175:176], v[185:186]
	v_add_f64_e32 v[177:178], v[177:178], v[183:184]
	v_fma_f64 v[181:182], v[8:9], v[167:168], v[181:182]
	v_fma_f64 v[185:186], v[6:7], v[167:168], -v[169:170]
	ds_load_b128 v[6:9], v1 offset:1712
	s_wait_loadcnt_dscnt 0x801
	v_mul_f64_e32 v[183:184], v[2:3], v[12:13]
	v_mul_f64_e32 v[12:13], v[4:5], v[12:13]
	scratch_load_b128 v[167:170], off, off offset:864
	v_add_f64_e32 v[175:176], v[175:176], v[187:188]
	v_add_f64_e32 v[177:178], v[177:178], v[179:180]
	s_wait_loadcnt_dscnt 0x800
	v_mul_f64_e32 v[179:180], v[6:7], v[16:17]
	v_mul_f64_e32 v[16:17], v[8:9], v[16:17]
	v_fma_f64 v[183:184], v[4:5], v[10:11], v[183:184]
	v_fma_f64 v[187:188], v[2:3], v[10:11], -v[12:13]
	scratch_load_b128 v[10:13], off, off offset:880
	ds_load_b128 v[2:5], v1 offset:1728
	v_add_f64_e32 v[175:176], v[175:176], v[185:186]
	v_add_f64_e32 v[177:178], v[177:178], v[181:182]
	v_fma_f64 v[179:180], v[8:9], v[14:15], v[179:180]
	v_fma_f64 v[185:186], v[6:7], v[14:15], -v[16:17]
	ds_load_b128 v[6:9], v1 offset:1744
	s_wait_loadcnt_dscnt 0x801
	v_mul_f64_e32 v[181:182], v[2:3], v[20:21]
	v_mul_f64_e32 v[20:21], v[4:5], v[20:21]
	scratch_load_b128 v[14:17], off, off offset:896
	v_add_f64_e32 v[175:176], v[175:176], v[187:188]
	v_add_f64_e32 v[177:178], v[177:178], v[183:184]
	s_wait_loadcnt_dscnt 0x800
	v_mul_f64_e32 v[183:184], v[6:7], v[24:25]
	v_mul_f64_e32 v[24:25], v[8:9], v[24:25]
	v_fma_f64 v[181:182], v[4:5], v[18:19], v[181:182]
	v_fma_f64 v[187:188], v[2:3], v[18:19], -v[20:21]
	ds_load_b128 v[2:5], v1 offset:1760
	scratch_load_b128 v[18:21], off, off offset:912
	v_add_f64_e32 v[175:176], v[175:176], v[185:186]
	v_add_f64_e32 v[177:178], v[177:178], v[179:180]
	v_fma_f64 v[183:184], v[8:9], v[22:23], v[183:184]
	v_fma_f64 v[185:186], v[6:7], v[22:23], -v[24:25]
	ds_load_b128 v[6:9], v1 offset:1776
	s_wait_loadcnt_dscnt 0x801
	v_mul_f64_e32 v[179:180], v[2:3], v[28:29]
	v_mul_f64_e32 v[28:29], v[4:5], v[28:29]
	scratch_load_b128 v[22:25], off, off offset:928
	v_add_f64_e32 v[175:176], v[175:176], v[187:188]
	v_add_f64_e32 v[177:178], v[177:178], v[181:182]
	s_wait_loadcnt_dscnt 0x800
	v_mul_f64_e32 v[181:182], v[6:7], v[32:33]
	v_mul_f64_e32 v[32:33], v[8:9], v[32:33]
	v_fma_f64 v[179:180], v[4:5], v[26:27], v[179:180]
	v_fma_f64 v[187:188], v[2:3], v[26:27], -v[28:29]
	ds_load_b128 v[2:5], v1 offset:1792
	scratch_load_b128 v[26:29], off, off offset:944
	;; [unrolled: 18-line block ×3, first 2 shown]
	v_add_f64_e32 v[175:176], v[175:176], v[185:186]
	v_add_f64_e32 v[177:178], v[177:178], v[181:182]
	v_fma_f64 v[179:180], v[8:9], v[171:172], v[179:180]
	v_fma_f64 v[185:186], v[6:7], v[171:172], -v[173:174]
	ds_load_b128 v[6:9], v1 offset:1840
	s_wait_loadcnt_dscnt 0x801
	v_mul_f64_e32 v[181:182], v[2:3], v[40:41]
	v_mul_f64_e32 v[40:41], v[4:5], v[40:41]
	scratch_load_b128 v[171:174], off, off offset:992
	v_add_f64_e32 v[175:176], v[175:176], v[187:188]
	v_add_f64_e32 v[177:178], v[177:178], v[183:184]
	v_fma_f64 v[181:182], v[4:5], v[38:39], v[181:182]
	v_fma_f64 v[38:39], v[2:3], v[38:39], -v[40:41]
	ds_load_b128 v[2:5], v1 offset:1856
	v_add_f64_e32 v[40:41], v[175:176], v[185:186]
	v_add_f64_e32 v[175:176], v[177:178], v[179:180]
	s_wait_loadcnt_dscnt 0x700
	v_mul_f64_e32 v[177:178], v[2:3], v[12:13]
	v_mul_f64_e32 v[12:13], v[4:5], v[12:13]
	s_delay_alu instid0(VALU_DEP_4) | instskip(NEXT) | instid1(VALU_DEP_4)
	v_add_f64_e32 v[38:39], v[40:41], v[38:39]
	v_add_f64_e32 v[40:41], v[175:176], v[181:182]
	s_delay_alu instid0(VALU_DEP_4) | instskip(NEXT) | instid1(VALU_DEP_4)
	v_fma_f64 v[175:176], v[4:5], v[10:11], v[177:178]
	v_fma_f64 v[177:178], v[2:3], v[10:11], -v[12:13]
	scratch_load_b128 v[10:13], off, off offset:32
	v_mul_f64_e32 v[183:184], v[6:7], v[169:170]
	v_mul_f64_e32 v[169:170], v[8:9], v[169:170]
	ds_load_b128 v[2:5], v1 offset:1888
	v_fma_f64 v[179:180], v[8:9], v[167:168], v[183:184]
	v_fma_f64 v[167:168], v[6:7], v[167:168], -v[169:170]
	ds_load_b128 v[6:9], v1 offset:1872
	s_wait_loadcnt_dscnt 0x700
	v_mul_f64_e32 v[169:170], v[6:7], v[16:17]
	v_mul_f64_e32 v[16:17], v[8:9], v[16:17]
	v_add_f64_e32 v[40:41], v[40:41], v[179:180]
	v_add_f64_e32 v[38:39], v[38:39], v[167:168]
	s_wait_loadcnt 0x6
	v_mul_f64_e32 v[167:168], v[2:3], v[20:21]
	v_mul_f64_e32 v[20:21], v[4:5], v[20:21]
	v_fma_f64 v[169:170], v[8:9], v[14:15], v[169:170]
	v_fma_f64 v[14:15], v[6:7], v[14:15], -v[16:17]
	ds_load_b128 v[6:9], v1 offset:1904
	v_add_f64_e32 v[16:17], v[38:39], v[177:178]
	v_add_f64_e32 v[38:39], v[40:41], v[175:176]
	v_fma_f64 v[167:168], v[4:5], v[18:19], v[167:168]
	v_fma_f64 v[18:19], v[2:3], v[18:19], -v[20:21]
	ds_load_b128 v[2:5], v1 offset:1920
	s_wait_loadcnt_dscnt 0x501
	v_mul_f64_e32 v[40:41], v[6:7], v[24:25]
	v_mul_f64_e32 v[24:25], v[8:9], v[24:25]
	s_wait_loadcnt_dscnt 0x400
	v_mul_f64_e32 v[20:21], v[2:3], v[28:29]
	v_mul_f64_e32 v[28:29], v[4:5], v[28:29]
	v_add_f64_e32 v[14:15], v[16:17], v[14:15]
	v_add_f64_e32 v[16:17], v[38:39], v[169:170]
	v_fma_f64 v[38:39], v[8:9], v[22:23], v[40:41]
	v_fma_f64 v[22:23], v[6:7], v[22:23], -v[24:25]
	ds_load_b128 v[6:9], v1 offset:1936
	v_fma_f64 v[20:21], v[4:5], v[26:27], v[20:21]
	v_fma_f64 v[26:27], v[2:3], v[26:27], -v[28:29]
	ds_load_b128 v[2:5], v1 offset:1952
	s_wait_loadcnt_dscnt 0x301
	v_mul_f64_e32 v[24:25], v[8:9], v[32:33]
	v_add_f64_e32 v[14:15], v[14:15], v[18:19]
	v_add_f64_e32 v[16:17], v[16:17], v[167:168]
	v_mul_f64_e32 v[18:19], v[6:7], v[32:33]
	s_wait_loadcnt_dscnt 0x200
	v_mul_f64_e32 v[28:29], v[4:5], v[36:37]
	v_fma_f64 v[24:25], v[6:7], v[30:31], -v[24:25]
	v_add_f64_e32 v[14:15], v[14:15], v[22:23]
	v_add_f64_e32 v[16:17], v[16:17], v[38:39]
	v_mul_f64_e32 v[22:23], v[2:3], v[36:37]
	v_fma_f64 v[18:19], v[8:9], v[30:31], v[18:19]
	ds_load_b128 v[6:9], v1 offset:1968
	v_fma_f64 v[1:2], v[2:3], v[34:35], -v[28:29]
	v_add_f64_e32 v[14:15], v[14:15], v[26:27]
	v_add_f64_e32 v[16:17], v[16:17], v[20:21]
	s_wait_loadcnt_dscnt 0x100
	v_mul_f64_e32 v[20:21], v[6:7], v[173:174]
	v_mul_f64_e32 v[26:27], v[8:9], v[173:174]
	v_fma_f64 v[4:5], v[4:5], v[34:35], v[22:23]
	v_add_f64_e32 v[14:15], v[14:15], v[24:25]
	v_add_f64_e32 v[16:17], v[16:17], v[18:19]
	v_fma_f64 v[8:9], v[8:9], v[171:172], v[20:21]
	v_fma_f64 v[6:7], v[6:7], v[171:172], -v[26:27]
	s_delay_alu instid0(VALU_DEP_4) | instskip(NEXT) | instid1(VALU_DEP_4)
	v_add_f64_e32 v[1:2], v[14:15], v[1:2]
	v_add_f64_e32 v[3:4], v[16:17], v[4:5]
	s_delay_alu instid0(VALU_DEP_2) | instskip(NEXT) | instid1(VALU_DEP_2)
	v_add_f64_e32 v[1:2], v[1:2], v[6:7]
	v_add_f64_e32 v[3:4], v[3:4], v[8:9]
	s_wait_loadcnt 0x0
	s_delay_alu instid0(VALU_DEP_2) | instskip(NEXT) | instid1(VALU_DEP_2)
	v_add_f64_e64 v[1:2], v[10:11], -v[1:2]
	v_add_f64_e64 v[3:4], v[12:13], -v[3:4]
	scratch_store_b128 off, v[1:4], off offset:32
	v_cmpx_ne_u32_e32 0, v0
	s_cbranch_execz .LBB61_397
; %bb.396:
	scratch_load_b128 v[0:3], off, off offset:16
	v_mov_b32_e32 v4, 0
	s_delay_alu instid0(VALU_DEP_1)
	v_dual_mov_b32 v5, v4 :: v_dual_mov_b32 v6, v4
	v_mov_b32_e32 v7, v4
	scratch_store_b128 off, v[4:7], off offset:16
	s_wait_loadcnt 0x0
	ds_store_b128 v166, v[0:3]
.LBB61_397:
	s_wait_alu 0xfffe
	s_or_b32 exec_lo, exec_lo, s0
	s_wait_storecnt_dscnt 0x0
	s_barrier_signal -1
	s_barrier_wait -1
	global_inv scope:SCOPE_SE
	s_clause 0x7
	scratch_load_b128 v[0:3], off, off offset:32
	scratch_load_b128 v[4:7], off, off offset:48
	;; [unrolled: 1-line block ×8, first 2 shown]
	v_mov_b32_e32 v40, 0
	s_clause 0x1
	scratch_load_b128 v[32:35], off, off offset:160
	scratch_load_b128 v[170:173], off, off offset:176
	s_and_b32 vcc_lo, exec_lo, s20
	ds_load_b128 v[36:39], v40 offset:1008
	ds_load_b128 v[166:169], v40 offset:1024
	s_wait_loadcnt_dscnt 0x901
	v_mul_f64_e32 v[174:175], v[38:39], v[2:3]
	v_mul_f64_e32 v[2:3], v[36:37], v[2:3]
	s_wait_loadcnt_dscnt 0x800
	v_mul_f64_e32 v[176:177], v[166:167], v[6:7]
	v_mul_f64_e32 v[6:7], v[168:169], v[6:7]
	s_delay_alu instid0(VALU_DEP_4) | instskip(NEXT) | instid1(VALU_DEP_4)
	v_fma_f64 v[174:175], v[36:37], v[0:1], -v[174:175]
	v_fma_f64 v[178:179], v[38:39], v[0:1], v[2:3]
	ds_load_b128 v[0:3], v40 offset:1040
	scratch_load_b128 v[36:39], off, off offset:192
	v_fma_f64 v[176:177], v[168:169], v[4:5], v[176:177]
	v_fma_f64 v[182:183], v[166:167], v[4:5], -v[6:7]
	ds_load_b128 v[4:7], v40 offset:1056
	scratch_load_b128 v[166:169], off, off offset:208
	s_wait_loadcnt_dscnt 0x901
	v_mul_f64_e32 v[180:181], v[0:1], v[10:11]
	v_mul_f64_e32 v[10:11], v[2:3], v[10:11]
	s_wait_loadcnt_dscnt 0x800
	v_mul_f64_e32 v[184:185], v[4:5], v[14:15]
	v_mul_f64_e32 v[14:15], v[6:7], v[14:15]
	v_add_f64_e32 v[174:175], 0, v[174:175]
	v_add_f64_e32 v[178:179], 0, v[178:179]
	v_fma_f64 v[180:181], v[2:3], v[8:9], v[180:181]
	v_fma_f64 v[186:187], v[0:1], v[8:9], -v[10:11]
	ds_load_b128 v[0:3], v40 offset:1072
	scratch_load_b128 v[8:11], off, off offset:224
	v_add_f64_e32 v[174:175], v[174:175], v[182:183]
	v_add_f64_e32 v[176:177], v[178:179], v[176:177]
	v_fma_f64 v[182:183], v[6:7], v[12:13], v[184:185]
	v_fma_f64 v[184:185], v[4:5], v[12:13], -v[14:15]
	ds_load_b128 v[4:7], v40 offset:1088
	scratch_load_b128 v[12:15], off, off offset:240
	s_wait_loadcnt_dscnt 0x901
	v_mul_f64_e32 v[178:179], v[0:1], v[18:19]
	v_mul_f64_e32 v[18:19], v[2:3], v[18:19]
	v_add_f64_e32 v[174:175], v[174:175], v[186:187]
	v_add_f64_e32 v[176:177], v[176:177], v[180:181]
	s_wait_loadcnt_dscnt 0x800
	v_mul_f64_e32 v[180:181], v[4:5], v[22:23]
	v_mul_f64_e32 v[22:23], v[6:7], v[22:23]
	v_fma_f64 v[178:179], v[2:3], v[16:17], v[178:179]
	v_fma_f64 v[186:187], v[0:1], v[16:17], -v[18:19]
	ds_load_b128 v[0:3], v40 offset:1104
	scratch_load_b128 v[16:19], off, off offset:256
	v_add_f64_e32 v[174:175], v[174:175], v[184:185]
	v_add_f64_e32 v[176:177], v[176:177], v[182:183]
	v_fma_f64 v[180:181], v[6:7], v[20:21], v[180:181]
	v_fma_f64 v[184:185], v[4:5], v[20:21], -v[22:23]
	ds_load_b128 v[4:7], v40 offset:1120
	s_wait_loadcnt_dscnt 0x801
	v_mul_f64_e32 v[182:183], v[0:1], v[26:27]
	v_mul_f64_e32 v[26:27], v[2:3], v[26:27]
	scratch_load_b128 v[20:23], off, off offset:272
	v_add_f64_e32 v[174:175], v[174:175], v[186:187]
	v_add_f64_e32 v[176:177], v[176:177], v[178:179]
	s_wait_loadcnt_dscnt 0x800
	v_mul_f64_e32 v[178:179], v[4:5], v[30:31]
	v_mul_f64_e32 v[30:31], v[6:7], v[30:31]
	v_fma_f64 v[182:183], v[2:3], v[24:25], v[182:183]
	v_fma_f64 v[186:187], v[0:1], v[24:25], -v[26:27]
	ds_load_b128 v[0:3], v40 offset:1136
	scratch_load_b128 v[24:27], off, off offset:288
	v_add_f64_e32 v[174:175], v[174:175], v[184:185]
	v_add_f64_e32 v[176:177], v[176:177], v[180:181]
	v_fma_f64 v[178:179], v[6:7], v[28:29], v[178:179]
	v_fma_f64 v[184:185], v[4:5], v[28:29], -v[30:31]
	ds_load_b128 v[4:7], v40 offset:1152
	s_wait_loadcnt_dscnt 0x801
	v_mul_f64_e32 v[180:181], v[0:1], v[34:35]
	v_mul_f64_e32 v[34:35], v[2:3], v[34:35]
	scratch_load_b128 v[28:31], off, off offset:304
	v_add_f64_e32 v[174:175], v[174:175], v[186:187]
	v_add_f64_e32 v[176:177], v[176:177], v[182:183]
	s_wait_loadcnt_dscnt 0x800
	v_mul_f64_e32 v[182:183], v[4:5], v[172:173]
	v_mul_f64_e32 v[172:173], v[6:7], v[172:173]
	v_fma_f64 v[180:181], v[2:3], v[32:33], v[180:181]
	v_fma_f64 v[186:187], v[0:1], v[32:33], -v[34:35]
	ds_load_b128 v[0:3], v40 offset:1168
	scratch_load_b128 v[32:35], off, off offset:320
	v_add_f64_e32 v[174:175], v[174:175], v[184:185]
	v_add_f64_e32 v[176:177], v[176:177], v[178:179]
	v_fma_f64 v[182:183], v[6:7], v[170:171], v[182:183]
	v_fma_f64 v[184:185], v[4:5], v[170:171], -v[172:173]
	ds_load_b128 v[4:7], v40 offset:1184
	scratch_load_b128 v[170:173], off, off offset:336
	s_wait_loadcnt_dscnt 0x901
	v_mul_f64_e32 v[178:179], v[0:1], v[38:39]
	v_mul_f64_e32 v[38:39], v[2:3], v[38:39]
	v_add_f64_e32 v[174:175], v[174:175], v[186:187]
	v_add_f64_e32 v[176:177], v[176:177], v[180:181]
	s_wait_loadcnt_dscnt 0x800
	v_mul_f64_e32 v[180:181], v[4:5], v[168:169]
	v_mul_f64_e32 v[168:169], v[6:7], v[168:169]
	v_fma_f64 v[178:179], v[2:3], v[36:37], v[178:179]
	v_fma_f64 v[186:187], v[0:1], v[36:37], -v[38:39]
	ds_load_b128 v[0:3], v40 offset:1200
	scratch_load_b128 v[36:39], off, off offset:352
	v_add_f64_e32 v[174:175], v[174:175], v[184:185]
	v_add_f64_e32 v[176:177], v[176:177], v[182:183]
	v_fma_f64 v[180:181], v[6:7], v[166:167], v[180:181]
	v_fma_f64 v[184:185], v[4:5], v[166:167], -v[168:169]
	ds_load_b128 v[4:7], v40 offset:1216
	s_wait_loadcnt_dscnt 0x801
	v_mul_f64_e32 v[182:183], v[0:1], v[10:11]
	v_mul_f64_e32 v[10:11], v[2:3], v[10:11]
	scratch_load_b128 v[166:169], off, off offset:368
	v_add_f64_e32 v[174:175], v[174:175], v[186:187]
	v_add_f64_e32 v[176:177], v[176:177], v[178:179]
	s_wait_loadcnt_dscnt 0x800
	v_mul_f64_e32 v[178:179], v[4:5], v[14:15]
	v_mul_f64_e32 v[14:15], v[6:7], v[14:15]
	v_fma_f64 v[182:183], v[2:3], v[8:9], v[182:183]
	v_fma_f64 v[186:187], v[0:1], v[8:9], -v[10:11]
	ds_load_b128 v[0:3], v40 offset:1232
	scratch_load_b128 v[8:11], off, off offset:384
	v_add_f64_e32 v[174:175], v[174:175], v[184:185]
	v_add_f64_e32 v[176:177], v[176:177], v[180:181]
	v_fma_f64 v[178:179], v[6:7], v[12:13], v[178:179]
	v_fma_f64 v[184:185], v[4:5], v[12:13], -v[14:15]
	ds_load_b128 v[4:7], v40 offset:1248
	s_wait_loadcnt_dscnt 0x801
	v_mul_f64_e32 v[180:181], v[0:1], v[18:19]
	v_mul_f64_e32 v[18:19], v[2:3], v[18:19]
	scratch_load_b128 v[12:15], off, off offset:400
	;; [unrolled: 18-line block ×20, first 2 shown]
	v_add_f64_e32 v[174:175], v[174:175], v[186:187]
	v_add_f64_e32 v[176:177], v[176:177], v[182:183]
	s_wait_loadcnt_dscnt 0x800
	v_mul_f64_e32 v[182:183], v[4:5], v[168:169]
	v_mul_f64_e32 v[168:169], v[6:7], v[168:169]
	v_fma_f64 v[180:181], v[2:3], v[36:37], v[180:181]
	v_fma_f64 v[186:187], v[0:1], v[36:37], -v[38:39]
	ds_load_b128 v[0:3], v40 offset:1840
	scratch_load_b128 v[36:39], off, off offset:992
	v_add_f64_e32 v[174:175], v[174:175], v[184:185]
	v_add_f64_e32 v[176:177], v[176:177], v[178:179]
	v_fma_f64 v[182:183], v[6:7], v[166:167], v[182:183]
	v_fma_f64 v[166:167], v[4:5], v[166:167], -v[168:169]
	ds_load_b128 v[4:7], v40 offset:1856
	s_wait_loadcnt_dscnt 0x801
	v_mul_f64_e32 v[178:179], v[0:1], v[10:11]
	v_mul_f64_e32 v[10:11], v[2:3], v[10:11]
	v_add_f64_e32 v[168:169], v[174:175], v[186:187]
	v_add_f64_e32 v[174:175], v[176:177], v[180:181]
	s_wait_loadcnt_dscnt 0x700
	v_mul_f64_e32 v[176:177], v[4:5], v[14:15]
	v_mul_f64_e32 v[14:15], v[6:7], v[14:15]
	v_fma_f64 v[178:179], v[2:3], v[8:9], v[178:179]
	v_fma_f64 v[8:9], v[0:1], v[8:9], -v[10:11]
	ds_load_b128 v[0:3], v40 offset:1872
	v_add_f64_e32 v[10:11], v[168:169], v[166:167]
	v_add_f64_e32 v[166:167], v[174:175], v[182:183]
	v_fma_f64 v[174:175], v[6:7], v[12:13], v[176:177]
	v_fma_f64 v[12:13], v[4:5], v[12:13], -v[14:15]
	ds_load_b128 v[4:7], v40 offset:1888
	s_wait_loadcnt_dscnt 0x500
	v_mul_f64_e32 v[176:177], v[4:5], v[22:23]
	v_mul_f64_e32 v[22:23], v[6:7], v[22:23]
	v_add_f64_e32 v[14:15], v[10:11], v[8:9]
	v_add_f64_e32 v[166:167], v[166:167], v[178:179]
	scratch_load_b128 v[8:11], off, off offset:16
	v_mul_f64_e32 v[168:169], v[0:1], v[18:19]
	v_mul_f64_e32 v[18:19], v[2:3], v[18:19]
	v_add_f64_e32 v[12:13], v[14:15], v[12:13]
	v_add_f64_e32 v[14:15], v[166:167], v[174:175]
	v_fma_f64 v[166:167], v[6:7], v[20:21], v[176:177]
	v_fma_f64 v[168:169], v[2:3], v[16:17], v[168:169]
	v_fma_f64 v[16:17], v[0:1], v[16:17], -v[18:19]
	ds_load_b128 v[0:3], v40 offset:1904
	v_fma_f64 v[20:21], v[4:5], v[20:21], -v[22:23]
	ds_load_b128 v[4:7], v40 offset:1920
	s_wait_loadcnt_dscnt 0x501
	v_mul_f64_e32 v[18:19], v[0:1], v[26:27]
	v_mul_f64_e32 v[26:27], v[2:3], v[26:27]
	s_wait_loadcnt_dscnt 0x400
	v_mul_f64_e32 v[22:23], v[6:7], v[30:31]
	v_add_f64_e32 v[14:15], v[14:15], v[168:169]
	v_add_f64_e32 v[12:13], v[12:13], v[16:17]
	v_mul_f64_e32 v[16:17], v[4:5], v[30:31]
	v_fma_f64 v[18:19], v[2:3], v[24:25], v[18:19]
	v_fma_f64 v[24:25], v[0:1], v[24:25], -v[26:27]
	ds_load_b128 v[0:3], v40 offset:1936
	v_fma_f64 v[22:23], v[4:5], v[28:29], -v[22:23]
	v_add_f64_e32 v[14:15], v[14:15], v[166:167]
	v_add_f64_e32 v[12:13], v[12:13], v[20:21]
	v_fma_f64 v[16:17], v[6:7], v[28:29], v[16:17]
	ds_load_b128 v[4:7], v40 offset:1952
	s_wait_loadcnt_dscnt 0x301
	v_mul_f64_e32 v[20:21], v[0:1], v[34:35]
	v_mul_f64_e32 v[26:27], v[2:3], v[34:35]
	v_add_f64_e32 v[14:15], v[14:15], v[18:19]
	v_add_f64_e32 v[12:13], v[12:13], v[24:25]
	s_wait_loadcnt_dscnt 0x200
	v_mul_f64_e32 v[18:19], v[4:5], v[172:173]
	v_mul_f64_e32 v[24:25], v[6:7], v[172:173]
	v_fma_f64 v[20:21], v[2:3], v[32:33], v[20:21]
	v_fma_f64 v[26:27], v[0:1], v[32:33], -v[26:27]
	ds_load_b128 v[0:3], v40 offset:1968
	v_add_f64_e32 v[14:15], v[14:15], v[16:17]
	v_add_f64_e32 v[12:13], v[12:13], v[22:23]
	s_wait_loadcnt_dscnt 0x100
	v_mul_f64_e32 v[16:17], v[0:1], v[38:39]
	v_mul_f64_e32 v[22:23], v[2:3], v[38:39]
	v_fma_f64 v[6:7], v[6:7], v[170:171], v[18:19]
	v_fma_f64 v[4:5], v[4:5], v[170:171], -v[24:25]
	v_add_f64_e32 v[14:15], v[14:15], v[20:21]
	v_add_f64_e32 v[12:13], v[12:13], v[26:27]
	v_fma_f64 v[2:3], v[2:3], v[36:37], v[16:17]
	v_fma_f64 v[0:1], v[0:1], v[36:37], -v[22:23]
	s_delay_alu instid0(VALU_DEP_4) | instskip(NEXT) | instid1(VALU_DEP_4)
	v_add_f64_e32 v[6:7], v[14:15], v[6:7]
	v_add_f64_e32 v[4:5], v[12:13], v[4:5]
	s_delay_alu instid0(VALU_DEP_2) | instskip(NEXT) | instid1(VALU_DEP_2)
	v_add_f64_e32 v[2:3], v[6:7], v[2:3]
	v_add_f64_e32 v[0:1], v[4:5], v[0:1]
	s_wait_loadcnt 0x0
	s_delay_alu instid0(VALU_DEP_2) | instskip(NEXT) | instid1(VALU_DEP_2)
	v_add_f64_e64 v[2:3], v[10:11], -v[2:3]
	v_add_f64_e64 v[0:1], v[8:9], -v[0:1]
	scratch_store_b128 off, v[0:3], off offset:16
	s_wait_alu 0xfffe
	s_cbranch_vccz .LBB61_520
; %bb.398:
	global_load_b32 v0, v40, s[16:17] offset:240
	s_wait_loadcnt 0x0
	v_cmp_ne_u32_e32 vcc_lo, 61, v0
	s_cbranch_vccz .LBB61_400
; %bb.399:
	v_lshlrev_b32_e32 v0, 4, v0
	s_delay_alu instid0(VALU_DEP_1)
	v_add_nc_u32_e32 v8, 16, v0
	s_clause 0x1
	scratch_load_b128 v[0:3], v8, off offset:-16
	scratch_load_b128 v[4:7], off, s49
	s_wait_loadcnt 0x1
	scratch_store_b128 off, v[0:3], s49
	s_wait_loadcnt 0x0
	scratch_store_b128 v8, v[4:7], off offset:-16
.LBB61_400:
	v_mov_b32_e32 v0, 0
	global_load_b32 v1, v0, s[16:17] offset:236
	s_wait_loadcnt 0x0
	v_cmp_eq_u32_e32 vcc_lo, 60, v1
	s_cbranch_vccnz .LBB61_402
; %bb.401:
	v_lshlrev_b32_e32 v1, 4, v1
	s_delay_alu instid0(VALU_DEP_1)
	v_add_nc_u32_e32 v9, 16, v1
	s_clause 0x1
	scratch_load_b128 v[1:4], v9, off offset:-16
	scratch_load_b128 v[5:8], off, s39
	s_wait_loadcnt 0x1
	scratch_store_b128 off, v[1:4], s39
	s_wait_loadcnt 0x0
	scratch_store_b128 v9, v[5:8], off offset:-16
.LBB61_402:
	global_load_b32 v0, v0, s[16:17] offset:232
	s_wait_loadcnt 0x0
	v_cmp_eq_u32_e32 vcc_lo, 59, v0
	s_cbranch_vccnz .LBB61_404
; %bb.403:
	v_lshlrev_b32_e32 v0, 4, v0
	s_delay_alu instid0(VALU_DEP_1)
	v_add_nc_u32_e32 v8, 16, v0
	s_clause 0x1
	scratch_load_b128 v[0:3], v8, off offset:-16
	scratch_load_b128 v[4:7], off, s44
	s_wait_loadcnt 0x1
	scratch_store_b128 off, v[0:3], s44
	s_wait_loadcnt 0x0
	scratch_store_b128 v8, v[4:7], off offset:-16
.LBB61_404:
	v_mov_b32_e32 v0, 0
	global_load_b32 v1, v0, s[16:17] offset:228
	s_wait_loadcnt 0x0
	v_cmp_eq_u32_e32 vcc_lo, 58, v1
	s_cbranch_vccnz .LBB61_406
; %bb.405:
	v_lshlrev_b32_e32 v1, 4, v1
	s_delay_alu instid0(VALU_DEP_1)
	v_add_nc_u32_e32 v9, 16, v1
	s_clause 0x1
	scratch_load_b128 v[1:4], v9, off offset:-16
	scratch_load_b128 v[5:8], off, s35
	s_wait_loadcnt 0x1
	scratch_store_b128 off, v[1:4], s35
	s_wait_loadcnt 0x0
	scratch_store_b128 v9, v[5:8], off offset:-16
.LBB61_406:
	global_load_b32 v0, v0, s[16:17] offset:224
	s_wait_loadcnt 0x0
	v_cmp_eq_u32_e32 vcc_lo, 57, v0
	s_cbranch_vccnz .LBB61_408
; %bb.407:
	v_lshlrev_b32_e32 v0, 4, v0
	s_delay_alu instid0(VALU_DEP_1)
	v_add_nc_u32_e32 v8, 16, v0
	s_clause 0x1
	scratch_load_b128 v[0:3], v8, off offset:-16
	scratch_load_b128 v[4:7], off, s43
	s_wait_loadcnt 0x1
	scratch_store_b128 off, v[0:3], s43
	s_wait_loadcnt 0x0
	scratch_store_b128 v8, v[4:7], off offset:-16
.LBB61_408:
	;; [unrolled: 33-line block ×29, first 2 shown]
	v_mov_b32_e32 v0, 0
	global_load_b32 v1, v0, s[16:17] offset:4
	s_wait_loadcnt 0x0
	v_cmp_eq_u32_e32 vcc_lo, 2, v1
	s_cbranch_vccnz .LBB61_518
; %bb.517:
	v_lshlrev_b32_e32 v1, 4, v1
	s_delay_alu instid0(VALU_DEP_1)
	v_add_nc_u32_e32 v9, 16, v1
	s_clause 0x1
	scratch_load_b128 v[1:4], v9, off offset:-16
	scratch_load_b128 v[5:8], off, s63
	s_wait_loadcnt 0x1
	scratch_store_b128 off, v[1:4], s63
	s_wait_loadcnt 0x0
	scratch_store_b128 v9, v[5:8], off offset:-16
.LBB61_518:
	global_load_b32 v0, v0, s[16:17]
	s_wait_loadcnt 0x0
	v_cmp_eq_u32_e32 vcc_lo, 1, v0
	s_cbranch_vccnz .LBB61_520
; %bb.519:
	v_lshlrev_b32_e32 v0, 4, v0
	s_delay_alu instid0(VALU_DEP_1)
	v_add_nc_u32_e32 v8, 16, v0
	scratch_load_b128 v[0:3], v8, off offset:-16
	scratch_load_b128 v[4:7], off, off offset:16
	s_wait_loadcnt 0x1
	scratch_store_b128 off, v[0:3], off offset:16
	s_wait_loadcnt 0x0
	scratch_store_b128 v8, v[4:7], off offset:-16
.LBB61_520:
	scratch_load_b128 v[0:3], off, off offset:16
	s_clause 0xe
	scratch_load_b128 v[4:7], off, s63
	scratch_load_b128 v[8:11], off, s62
	;; [unrolled: 1-line block ×15, first 2 shown]
	s_wait_loadcnt 0xf
	global_store_b128 v[42:43], v[0:3], off
	scratch_load_b128 v[0:3], off, s57
	s_wait_loadcnt 0xf
	global_store_b128 v[44:45], v[4:7], off
	s_clause 0x1
	scratch_load_b128 v[4:7], off, s55
	scratch_load_b128 v[40:43], off, s56
	s_wait_loadcnt 0x10
	global_store_b128 v[46:47], v[8:11], off
	scratch_load_b128 v[8:11], off, s54
	s_wait_loadcnt 0x10
	global_store_b128 v[48:49], v[12:15], off
	s_clause 0x1
	scratch_load_b128 v[12:15], off, s52
	scratch_load_b128 v[44:47], off, s53
	;; [unrolled: 8-line block ×6, first 2 shown]
	s_wait_loadcnt 0x15
	global_store_b128 v[66:67], v[174:177], off
	s_wait_loadcnt 0x14
	global_store_b128 v[68:69], v[178:181], off
	s_clause 0x1
	scratch_load_b128 v[64:67], off, s11
	scratch_load_b128 v[174:177], off, s12
	s_wait_loadcnt 0x15
	global_store_b128 v[70:71], v[182:185], off
	s_clause 0x1
	scratch_load_b128 v[68:71], off, s9
	scratch_load_b128 v[178:181], off, s10
	s_wait_loadcnt 0x15
	global_store_b128 v[72:73], v[0:3], off
	s_clause 0x1
	scratch_load_b128 v[0:3], off, s5
	scratch_load_b128 v[182:185], off, s8
	s_wait_loadcnt 0x16
	global_store_b128 v[74:75], v[4:7], off
	s_wait_loadcnt 0x15
	global_store_b128 v[76:77], v[40:43], off
	s_clause 0x1
	scratch_load_b128 v[4:7], off, s4
	scratch_load_b128 v[40:43], off, s51
	s_wait_loadcnt 0x16
	global_store_b128 v[78:79], v[8:11], off
	s_clause 0x1
	scratch_load_b128 v[8:11], off, s47
	scratch_load_b128 v[72:75], off, s48
	s_wait_loadcnt 0x17
	global_store_b128 v[80:81], v[12:15], off
	s_clause 0x1
	scratch_load_b128 v[12:15], off, s41
	scratch_load_b128 v[76:79], off, s42
	;; [unrolled: 17-line block ×4, first 2 shown]
	s_wait_loadcnt 0x1c
	global_store_b128 v[96:97], v[36:39], off
	s_wait_loadcnt 0x1b
	global_store_b128 v[102:103], v[56:59], off
	s_clause 0x1
	scratch_load_b128 v[36:39], off, s35
	scratch_load_b128 v[56:59], off, s44
	s_wait_loadcnt 0x1c
	global_store_b128 v[100:101], v[60:63], off
	s_clause 0x1
	scratch_load_b128 v[60:63], off, s39
	scratch_load_b128 v[96:99], off, s49
	s_wait_loadcnt 0x1d
	global_store_b128 v[104:105], v[166:169], off
	s_wait_loadcnt 0x1c
	global_store_b128 v[106:107], v[170:173], off
	;; [unrolled: 2-line block ×29, first 2 shown]
	s_wait_loadcnt 0x0
	s_clause 0x1
	global_store_b128 v[162:163], v[96:99], off
	global_store_b128 v[164:165], v[186:189], off
	s_nop 0
	s_sendmsg sendmsg(MSG_DEALLOC_VGPRS)
	s_endpgm
	.section	.rodata,"a",@progbits
	.p2align	6, 0x0
	.amdhsa_kernel _ZN9rocsolver6v33100L18getri_kernel_smallILi62E19rocblas_complex_numIdEPS3_EEvT1_iilPiilS6_bb
		.amdhsa_group_segment_fixed_size 1992
		.amdhsa_private_segment_fixed_size 1024
		.amdhsa_kernarg_size 60
		.amdhsa_user_sgpr_count 2
		.amdhsa_user_sgpr_dispatch_ptr 0
		.amdhsa_user_sgpr_queue_ptr 0
		.amdhsa_user_sgpr_kernarg_segment_ptr 1
		.amdhsa_user_sgpr_dispatch_id 0
		.amdhsa_user_sgpr_private_segment_size 0
		.amdhsa_wavefront_size32 1
		.amdhsa_uses_dynamic_stack 0
		.amdhsa_enable_private_segment 1
		.amdhsa_system_sgpr_workgroup_id_x 1
		.amdhsa_system_sgpr_workgroup_id_y 0
		.amdhsa_system_sgpr_workgroup_id_z 0
		.amdhsa_system_sgpr_workgroup_info 0
		.amdhsa_system_vgpr_workitem_id 0
		.amdhsa_next_free_vgpr 210
		.amdhsa_next_free_sgpr 81
		.amdhsa_reserve_vcc 1
		.amdhsa_float_round_mode_32 0
		.amdhsa_float_round_mode_16_64 0
		.amdhsa_float_denorm_mode_32 3
		.amdhsa_float_denorm_mode_16_64 3
		.amdhsa_fp16_overflow 0
		.amdhsa_workgroup_processor_mode 1
		.amdhsa_memory_ordered 1
		.amdhsa_forward_progress 1
		.amdhsa_inst_pref_size 255
		.amdhsa_round_robin_scheduling 0
		.amdhsa_exception_fp_ieee_invalid_op 0
		.amdhsa_exception_fp_denorm_src 0
		.amdhsa_exception_fp_ieee_div_zero 0
		.amdhsa_exception_fp_ieee_overflow 0
		.amdhsa_exception_fp_ieee_underflow 0
		.amdhsa_exception_fp_ieee_inexact 0
		.amdhsa_exception_int_div_zero 0
	.end_amdhsa_kernel
	.section	.text._ZN9rocsolver6v33100L18getri_kernel_smallILi62E19rocblas_complex_numIdEPS3_EEvT1_iilPiilS6_bb,"axG",@progbits,_ZN9rocsolver6v33100L18getri_kernel_smallILi62E19rocblas_complex_numIdEPS3_EEvT1_iilPiilS6_bb,comdat
.Lfunc_end61:
	.size	_ZN9rocsolver6v33100L18getri_kernel_smallILi62E19rocblas_complex_numIdEPS3_EEvT1_iilPiilS6_bb, .Lfunc_end61-_ZN9rocsolver6v33100L18getri_kernel_smallILi62E19rocblas_complex_numIdEPS3_EEvT1_iilPiilS6_bb
                                        ; -- End function
	.set _ZN9rocsolver6v33100L18getri_kernel_smallILi62E19rocblas_complex_numIdEPS3_EEvT1_iilPiilS6_bb.num_vgpr, 210
	.set _ZN9rocsolver6v33100L18getri_kernel_smallILi62E19rocblas_complex_numIdEPS3_EEvT1_iilPiilS6_bb.num_agpr, 0
	.set _ZN9rocsolver6v33100L18getri_kernel_smallILi62E19rocblas_complex_numIdEPS3_EEvT1_iilPiilS6_bb.numbered_sgpr, 81
	.set _ZN9rocsolver6v33100L18getri_kernel_smallILi62E19rocblas_complex_numIdEPS3_EEvT1_iilPiilS6_bb.num_named_barrier, 0
	.set _ZN9rocsolver6v33100L18getri_kernel_smallILi62E19rocblas_complex_numIdEPS3_EEvT1_iilPiilS6_bb.private_seg_size, 1024
	.set _ZN9rocsolver6v33100L18getri_kernel_smallILi62E19rocblas_complex_numIdEPS3_EEvT1_iilPiilS6_bb.uses_vcc, 1
	.set _ZN9rocsolver6v33100L18getri_kernel_smallILi62E19rocblas_complex_numIdEPS3_EEvT1_iilPiilS6_bb.uses_flat_scratch, 1
	.set _ZN9rocsolver6v33100L18getri_kernel_smallILi62E19rocblas_complex_numIdEPS3_EEvT1_iilPiilS6_bb.has_dyn_sized_stack, 0
	.set _ZN9rocsolver6v33100L18getri_kernel_smallILi62E19rocblas_complex_numIdEPS3_EEvT1_iilPiilS6_bb.has_recursion, 0
	.set _ZN9rocsolver6v33100L18getri_kernel_smallILi62E19rocblas_complex_numIdEPS3_EEvT1_iilPiilS6_bb.has_indirect_call, 0
	.section	.AMDGPU.csdata,"",@progbits
; Kernel info:
; codeLenInByte = 148024
; TotalNumSgprs: 83
; NumVgprs: 210
; ScratchSize: 1024
; MemoryBound: 0
; FloatMode: 240
; IeeeMode: 1
; LDSByteSize: 1992 bytes/workgroup (compile time only)
; SGPRBlocks: 0
; VGPRBlocks: 26
; NumSGPRsForWavesPerEU: 83
; NumVGPRsForWavesPerEU: 210
; Occupancy: 7
; WaveLimiterHint : 1
; COMPUTE_PGM_RSRC2:SCRATCH_EN: 1
; COMPUTE_PGM_RSRC2:USER_SGPR: 2
; COMPUTE_PGM_RSRC2:TRAP_HANDLER: 0
; COMPUTE_PGM_RSRC2:TGID_X_EN: 1
; COMPUTE_PGM_RSRC2:TGID_Y_EN: 0
; COMPUTE_PGM_RSRC2:TGID_Z_EN: 0
; COMPUTE_PGM_RSRC2:TIDIG_COMP_CNT: 0
	.section	.text._ZN9rocsolver6v33100L18getri_kernel_smallILi63E19rocblas_complex_numIdEPS3_EEvT1_iilPiilS6_bb,"axG",@progbits,_ZN9rocsolver6v33100L18getri_kernel_smallILi63E19rocblas_complex_numIdEPS3_EEvT1_iilPiilS6_bb,comdat
	.globl	_ZN9rocsolver6v33100L18getri_kernel_smallILi63E19rocblas_complex_numIdEPS3_EEvT1_iilPiilS6_bb ; -- Begin function _ZN9rocsolver6v33100L18getri_kernel_smallILi63E19rocblas_complex_numIdEPS3_EEvT1_iilPiilS6_bb
	.p2align	8
	.type	_ZN9rocsolver6v33100L18getri_kernel_smallILi63E19rocblas_complex_numIdEPS3_EEvT1_iilPiilS6_bb,@function
_ZN9rocsolver6v33100L18getri_kernel_smallILi63E19rocblas_complex_numIdEPS3_EEvT1_iilPiilS6_bb: ; @_ZN9rocsolver6v33100L18getri_kernel_smallILi63E19rocblas_complex_numIdEPS3_EEvT1_iilPiilS6_bb
; %bb.0:
	s_mov_b32 s2, exec_lo
	v_cmpx_gt_u32_e32 63, v0
	s_cbranch_execz .LBB62_278
; %bb.1:
	s_clause 0x2
	s_load_b32 s2, s[0:1], 0x38
	s_load_b128 s[12:15], s[0:1], 0x10
	s_load_b128 s[4:7], s[0:1], 0x28
	s_mov_b32 s18, ttmp9
                                        ; implicit-def: $sgpr16_sgpr17
	s_wait_kmcnt 0x0
	s_bitcmp1_b32 s2, 8
	s_cselect_b32 s20, -1, 0
	s_bfe_u32 s2, s2, 0x10008
	s_ashr_i32 s19, ttmp9, 31
	s_cmp_eq_u32 s2, 0
	s_cbranch_scc1 .LBB62_3
; %bb.2:
	s_load_b32 s2, s[0:1], 0x20
	s_mul_u64 s[4:5], s[4:5], s[18:19]
	s_delay_alu instid0(SALU_CYCLE_1) | instskip(NEXT) | instid1(SALU_CYCLE_1)
	s_lshl_b64 s[4:5], s[4:5], 2
	s_add_nc_u64 s[4:5], s[14:15], s[4:5]
	s_wait_kmcnt 0x0
	s_ashr_i32 s3, s2, 31
	s_delay_alu instid0(SALU_CYCLE_1) | instskip(NEXT) | instid1(SALU_CYCLE_1)
	s_lshl_b64 s[2:3], s[2:3], 2
	s_add_nc_u64 s[16:17], s[4:5], s[2:3]
.LBB62_3:
	s_clause 0x1
	s_load_b128 s[8:11], s[0:1], 0x0
	s_load_b32 s2, s[0:1], 0x38
	s_mul_u64 s[0:1], s[12:13], s[18:19]
	v_lshlrev_b32_e32 v13, 4, v0
	s_lshl_b64 s[0:1], s[0:1], 4
	s_movk_i32 s25, 0x160
	s_movk_i32 s28, 0x190
	s_movk_i32 s23, 0x140
	s_movk_i32 s24, 0x150
	s_add_co_i32 s52, s25, 16
	s_add_co_i32 s48, s28, 16
	s_movk_i32 s15, 0x110
	s_movk_i32 s22, 0x130
	s_add_co_i32 s54, s23, 16
	s_add_co_i32 s53, s24, 16
	s_movk_i32 s14, 0x100
	s_movk_i32 s21, 0x120
	s_add_co_i32 s61, s15, 16
	s_add_co_i32 s55, s22, 16
	s_movk_i32 s12, 0xe0
	s_wait_kmcnt 0x0
	v_add3_u32 v5, s11, s11, v0
	s_ashr_i32 s5, s10, 31
	s_mov_b32 s4, s10
	s_add_nc_u64 s[0:1], s[8:9], s[0:1]
	s_lshl_b64 s[4:5], s[4:5], 4
	v_ashrrev_i32_e32 v6, 31, v5
	s_add_nc_u64 s[0:1], s[0:1], s[4:5]
	s_ashr_i32 s9, s11, 31
	v_add_co_u32 v42, s3, s0, v13
	s_mov_b32 s8, s11
	v_add_nc_u32_e32 v9, s11, v5
	v_lshlrev_b64_e32 v[5:6], 4, v[5:6]
	global_load_b128 v[1:4], v13, s[0:1]
	v_add_co_ci_u32_e64 v43, null, s1, 0, s3
	s_lshl_b64 s[8:9], s[8:9], 4
	v_ashrrev_i32_e32 v10, 31, v9
	v_add_co_u32 v44, vcc_lo, v42, s8
	s_delay_alu instid0(VALU_DEP_1)
	v_add_co_ci_u32_e64 v45, null, s9, v43, vcc_lo
	v_add_co_u32 v46, vcc_lo, s0, v5
	s_wait_alu 0xfffd
	v_add_co_ci_u32_e64 v47, null, s1, v6, vcc_lo
	s_clause 0x1
	global_load_b128 v[5:8], v[44:45], off
	global_load_b128 v[14:17], v[46:47], off
	v_lshlrev_b64_e32 v[10:11], 4, v[9:10]
	v_add_nc_u32_e32 v9, s11, v9
	s_add_co_i32 s62, s14, 16
	s_add_co_i32 s60, s21, 16
	s_movk_i32 s9, 0xb0
	s_movk_i32 s13, 0xf0
	v_add_nc_u32_e32 v22, s11, v9
	v_add_co_u32 v48, vcc_lo, s0, v10
	v_ashrrev_i32_e32 v10, 31, v9
	s_wait_alu 0xfffd
	v_add_co_ci_u32_e64 v49, null, s1, v11, vcc_lo
	v_add_nc_u32_e32 v24, s11, v22
	v_ashrrev_i32_e32 v23, 31, v22
	v_lshlrev_b64_e32 v[9:10], 4, v[9:10]
	global_load_b128 v[18:21], v[48:49], off
	s_add_co_i32 s65, s12, 16
	v_add_nc_u32_e32 v26, s11, v24
	v_ashrrev_i32_e32 v25, 31, v24
	v_lshlrev_b64_e32 v[22:23], 4, v[22:23]
	v_add_co_u32 v52, vcc_lo, s0, v9
	s_delay_alu instid0(VALU_DEP_4)
	v_add_nc_u32_e32 v28, s11, v26
	s_wait_alu 0xfffd
	v_add_co_ci_u32_e64 v53, null, s1, v10, vcc_lo
	v_lshlrev_b64_e32 v[30:31], 4, v[24:25]
	v_ashrrev_i32_e32 v27, 31, v26
	v_add_nc_u32_e32 v32, s11, v28
	global_load_b128 v[9:12], v[52:53], off
	v_ashrrev_i32_e32 v29, 31, v28
	v_add_co_u32 v56, vcc_lo, s0, v22
	v_add_nc_u32_e32 v34, s11, v32
	v_ashrrev_i32_e32 v33, 31, v32
	s_wait_alu 0xfffd
	v_add_co_ci_u32_e64 v57, null, s1, v23, vcc_lo
	v_lshlrev_b64_e32 v[26:27], 4, v[26:27]
	v_add_nc_u32_e32 v38, s11, v34
	v_add_co_u32 v70, vcc_lo, s0, v30
	v_ashrrev_i32_e32 v35, 31, v34
	s_wait_alu 0xfffd
	v_add_co_ci_u32_e64 v71, null, s1, v31, vcc_lo
	v_add_nc_u32_e32 v50, s11, v38
	v_lshlrev_b64_e32 v[30:31], 4, v[28:29]
	v_ashrrev_i32_e32 v39, 31, v38
	v_lshlrev_b64_e32 v[32:33], 4, v[32:33]
	v_add_co_u32 v64, vcc_lo, s0, v26
	v_add_nc_u32_e32 v58, s11, v50
	v_ashrrev_i32_e32 v51, 31, v50
	v_lshlrev_b64_e32 v[40:41], 4, v[34:35]
	s_wait_alu 0xfffd
	v_add_co_ci_u32_e64 v65, null, s1, v27, vcc_lo
	v_add_co_u32 v60, vcc_lo, s0, v30
	v_lshlrev_b64_e32 v[38:39], 4, v[38:39]
	v_add_nc_u32_e32 v68, s11, v58
	s_wait_alu 0xfffd
	v_add_co_ci_u32_e64 v61, null, s1, v31, vcc_lo
	v_add_co_u32 v54, vcc_lo, s0, v32
	v_lshlrev_b64_e32 v[62:63], 4, v[50:51]
	s_wait_alu 0xfffd
	v_add_co_ci_u32_e64 v55, null, s1, v33, vcc_lo
	v_add_co_u32 v74, vcc_lo, s0, v40
	v_ashrrev_i32_e32 v59, 31, v58
	v_ashrrev_i32_e32 v69, 31, v68
	v_add_nc_u32_e32 v72, s11, v68
	s_wait_alu 0xfffd
	v_add_co_ci_u32_e64 v75, null, s1, v41, vcc_lo
	v_add_co_u32 v50, vcc_lo, s0, v38
	s_wait_alu 0xfffd
	v_add_co_ci_u32_e64 v51, null, s1, v39, vcc_lo
	v_add_co_u32 v66, vcc_lo, s0, v62
	v_lshlrev_b64_e32 v[58:59], 4, v[58:59]
	s_wait_alu 0xfffd
	v_add_co_ci_u32_e64 v67, null, s1, v63, vcc_lo
	v_lshlrev_b64_e32 v[62:63], 4, v[68:69]
	v_add_nc_u32_e32 v68, s11, v72
	v_ashrrev_i32_e32 v73, 31, v72
	v_add_co_u32 v58, vcc_lo, s0, v58
	s_wait_alu 0xfffd
	v_add_co_ci_u32_e64 v59, null, s1, v59, vcc_lo
	v_ashrrev_i32_e32 v69, 31, v68
	v_add_nc_u32_e32 v76, s11, v68
	v_add_co_u32 v82, vcc_lo, s0, v62
	s_wait_alu 0xfffd
	v_add_co_ci_u32_e64 v83, null, s1, v63, vcc_lo
	v_lshlrev_b64_e32 v[62:63], 4, v[68:69]
	v_add_nc_u32_e32 v68, s11, v76
	v_ashrrev_i32_e32 v77, 31, v76
	v_lshlrev_b64_e32 v[72:73], 4, v[72:73]
	s_clause 0x1
	global_load_b128 v[22:25], v[56:57], off
	global_load_b128 v[26:29], v[70:71], off
	v_add_nc_u32_e32 v80, s11, v68
	v_lshlrev_b64_e32 v[78:79], 4, v[76:77]
	v_ashrrev_i32_e32 v69, 31, v68
	v_add_co_u32 v72, vcc_lo, s0, v72
	s_delay_alu instid0(VALU_DEP_4)
	v_add_nc_u32_e32 v84, s11, v80
	v_ashrrev_i32_e32 v81, 31, v80
	s_wait_alu 0xfffd
	v_add_co_ci_u32_e64 v73, null, s1, v73, vcc_lo
	v_add_co_u32 v76, vcc_lo, s0, v62
	s_wait_alu 0xfffd
	v_add_co_ci_u32_e64 v77, null, s1, v63, vcc_lo
	v_lshlrev_b64_e32 v[68:69], 4, v[68:69]
	v_add_co_u32 v62, vcc_lo, s0, v78
	v_add_nc_u32_e32 v86, s11, v84
	s_wait_alu 0xfffd
	v_add_co_ci_u32_e64 v63, null, s1, v79, vcc_lo
	v_lshlrev_b64_e32 v[78:79], 4, v[80:81]
	s_clause 0x1
	global_load_b128 v[30:33], v[64:65], off
	global_load_b128 v[34:37], v[60:61], off
	v_ashrrev_i32_e32 v87, 31, v86
	v_add_nc_u32_e32 v90, s11, v86
	v_add_co_u32 v88, vcc_lo, s0, v68
	v_ashrrev_i32_e32 v85, 31, v84
	s_wait_alu 0xfffd
	v_add_co_ci_u32_e64 v89, null, s1, v69, vcc_lo
	v_add_co_u32 v80, vcc_lo, s0, v78
	s_wait_alu 0xfffd
	v_add_co_ci_u32_e64 v81, null, s1, v79, vcc_lo
	v_lshlrev_b64_e32 v[78:79], 4, v[86:87]
	v_add_nc_u32_e32 v86, s11, v90
	v_lshlrev_b64_e32 v[68:69], 4, v[84:85]
	v_ashrrev_i32_e32 v91, 31, v90
	s_clause 0x3
	global_load_b128 v[38:41], v[54:55], off
	global_load_b128 v[130:133], v[74:75], off
	;; [unrolled: 1-line block ×4, first 2 shown]
	v_add_nc_u32_e32 v92, s11, v86
	v_ashrrev_i32_e32 v87, 31, v86
	v_lshlrev_b64_e32 v[90:91], 4, v[90:91]
	v_add_co_u32 v84, vcc_lo, s0, v68
	s_wait_alu 0xfffd
	v_add_co_ci_u32_e64 v85, null, s1, v69, vcc_lo
	v_add_co_u32 v68, vcc_lo, s0, v78
	v_ashrrev_i32_e32 v93, 31, v92
	v_add_nc_u32_e32 v96, s11, v92
	s_wait_alu 0xfffd
	v_add_co_ci_u32_e64 v69, null, s1, v79, vcc_lo
	v_lshlrev_b64_e32 v[78:79], 4, v[86:87]
	s_clause 0x1
	global_load_b128 v[142:145], v[58:59], off
	global_load_b128 v[146:149], v[82:83], off
	v_add_co_u32 v94, vcc_lo, s0, v90
	s_wait_alu 0xfffd
	v_add_co_ci_u32_e64 v95, null, s1, v91, vcc_lo
	v_lshlrev_b64_e32 v[90:91], 4, v[92:93]
	v_ashrrev_i32_e32 v97, 31, v96
	v_add_nc_u32_e32 v92, s11, v96
	v_add_co_u32 v86, vcc_lo, s0, v78
	s_wait_alu 0xfffd
	v_add_co_ci_u32_e64 v87, null, s1, v79, vcc_lo
	v_lshlrev_b64_e32 v[78:79], 4, v[96:97]
	v_add_nc_u32_e32 v96, s11, v92
	v_ashrrev_i32_e32 v93, 31, v92
	s_clause 0x1
	global_load_b128 v[150:153], v[72:73], off
	global_load_b128 v[154:157], v[76:77], off
	v_add_co_u32 v90, vcc_lo, s0, v90
	v_add_nc_u32_e32 v98, s11, v96
	v_ashrrev_i32_e32 v97, 31, v96
	v_lshlrev_b64_e32 v[92:93], 4, v[92:93]
	s_wait_alu 0xfffd
	v_add_co_ci_u32_e64 v91, null, s1, v91, vcc_lo
	v_add_nc_u32_e32 v102, s11, v98
	v_ashrrev_i32_e32 v99, 31, v98
	v_lshlrev_b64_e32 v[96:97], 4, v[96:97]
	v_add_co_u32 v78, vcc_lo, s0, v78
	s_delay_alu instid0(VALU_DEP_4)
	v_add_nc_u32_e32 v104, s11, v102
	v_ashrrev_i32_e32 v103, 31, v102
	v_lshlrev_b64_e32 v[98:99], 4, v[98:99]
	s_wait_alu 0xfffd
	v_add_co_ci_u32_e64 v79, null, s1, v79, vcc_lo
	v_ashrrev_i32_e32 v105, 31, v104
	v_add_co_u32 v100, vcc_lo, s0, v92
	v_lshlrev_b64_e32 v[102:103], 4, v[102:103]
	s_clause 0x1
	global_load_b128 v[158:161], v[62:63], off
	global_load_b128 v[162:165], v[88:89], off
	s_wait_alu 0xfffd
	v_add_co_ci_u32_e64 v101, null, s1, v93, vcc_lo
	v_add_co_u32 v92, vcc_lo, s0, v96
	v_add_nc_u32_e32 v106, s11, v104
	v_lshlrev_b64_e32 v[104:105], 4, v[104:105]
	s_wait_alu 0xfffd
	v_add_co_ci_u32_e64 v93, null, s1, v97, vcc_lo
	v_add_co_u32 v96, vcc_lo, s0, v98
	s_wait_alu 0xfffd
	v_add_co_ci_u32_e64 v97, null, s1, v99, vcc_lo
	v_add_co_u32 v98, vcc_lo, s0, v102
	v_ashrrev_i32_e32 v107, 31, v106
	s_wait_alu 0xfffd
	v_add_co_ci_u32_e64 v99, null, s1, v103, vcc_lo
	v_add_co_u32 v104, vcc_lo, s0, v104
	s_wait_alu 0xfffd
	v_add_co_ci_u32_e64 v105, null, s1, v105, vcc_lo
	s_clause 0x3
	global_load_b128 v[166:169], v[80:81], off
	global_load_b128 v[170:173], v[84:85], off
	;; [unrolled: 1-line block ×4, first 2 shown]
	v_lshlrev_b64_e32 v[102:103], 4, v[106:107]
	s_clause 0x6
	global_load_b128 v[182:185], v[86:87], off
	global_load_b128 v[186:189], v[90:91], off
	;; [unrolled: 1-line block ×7, first 2 shown]
	v_add_co_u32 v102, vcc_lo, s0, v102
	s_wait_alu 0xfffd
	v_add_co_ci_u32_e64 v103, null, s1, v103, vcc_lo
	v_add_nc_u32_e32 v108, s11, v106
	s_movk_i32 s4, 0x80
	s_movk_i32 s10, 0xc0
	s_wait_alu 0xfffe
	s_add_co_i32 s67, s9, 16
	s_add_co_i32 s63, s13, 16
	v_ashrrev_i32_e32 v109, 31, v108
	s_movk_i32 s3, 0x70
	s_movk_i32 s5, 0x90
	;; [unrolled: 1-line block ×4, first 2 shown]
	v_lshlrev_b64_e32 v[106:107], 4, v[108:109]
	s_movk_i32 s27, 0x180
	s_movk_i32 s29, 0x1a0
	;; [unrolled: 1-line block ×5, first 2 shown]
	v_add_co_u32 v106, vcc_lo, s0, v106
	s_wait_alu 0xfffd
	v_add_co_ci_u32_e64 v107, null, s1, v107, vcc_lo
	s_movk_i32 s34, 0x1e0
	s_movk_i32 s35, 0x1f0
	;; [unrolled: 1-line block ×17, first 2 shown]
	s_add_co_i32 s70, s4, 16
	s_add_co_i32 s66, s10, 16
	s_wait_alu 0xfffe
	s_add_co_i32 s71, s3, 16
	s_add_co_i32 s69, s5, 16
	s_add_co_i32 s68, s8, 16
	s_add_co_i32 s51, s26, 16
	s_add_co_i32 s50, s27, 16
	s_add_co_i32 s49, s29, 16
	s_add_co_i32 s47, s30, 16
	s_add_co_i32 s46, s31, 16
	s_add_co_i32 s45, s33, 16
	s_add_co_i32 s44, s34, 16
	s_add_co_i32 s43, s35, 16
	s_add_co_i32 s42, s36, 16
	s_add_co_i32 s41, s37, 16
	s_add_co_i32 s40, s38, 16
	s_add_co_i32 s39, s39, 16
	s_add_co_i32 s38, s74, 16
	s_add_co_i32 s36, s75, 16
	s_add_co_i32 s37, s76, 16
	s_add_co_i32 s33, s77, 16
	s_add_co_i32 s31, s78, 16
	s_add_co_i32 s30, s79, 16
	s_add_co_i32 s26, s80, 16
	s_add_co_i32 s34, s81, 16
	s_add_co_i32 s35, s82, 16
	s_add_co_i32 s29, s83, 16
	s_add_co_i32 s27, s84, 16
	s_mov_b32 s59, 32
	s_mov_b32 s58, 48
	;; [unrolled: 1-line block ×3, first 2 shown]
	s_movk_i32 s56, 0x50
	s_wait_loadcnt 0x1d
	scratch_store_b128 off, v[1:4], off offset:16
	global_load_b128 v[1:4], v[104:105], off
	s_wait_loadcnt 0x1d
	scratch_store_b128 off, v[5:8], off offset:32
	global_load_b128 v[5:8], v[102:103], off
	;; [unrolled: 3-line block ×3, first 2 shown]
	s_wait_loadcnt 0x1d
	scratch_store_b128 off, v[18:21], off offset:64
	v_add_nc_u32_e32 v18, s11, v108
	s_delay_alu instid0(VALU_DEP_1) | instskip(SKIP_1) | instid1(VALU_DEP_2)
	v_add_nc_u32_e32 v20, s11, v18
	v_ashrrev_i32_e32 v19, 31, v18
	v_ashrrev_i32_e32 v21, 31, v20
	s_wait_loadcnt 0x1c
	scratch_store_b128 off, v[9:12], off offset:80
	v_add_nc_u32_e32 v9, s11, v20
	v_lshlrev_b64_e32 v[11:12], 4, v[18:19]
	v_lshlrev_b64_e32 v[18:19], 4, v[20:21]
	s_delay_alu instid0(VALU_DEP_3) | instskip(NEXT) | instid1(VALU_DEP_3)
	v_ashrrev_i32_e32 v10, 31, v9
	v_add_co_u32 v108, vcc_lo, s0, v11
	v_add_nc_u32_e32 v11, s11, v9
	s_delay_alu instid0(VALU_DEP_3)
	v_lshlrev_b64_e32 v[9:10], 4, v[9:10]
	s_wait_alu 0xfffd
	v_add_co_ci_u32_e64 v109, null, s1, v12, vcc_lo
	v_add_co_u32 v110, vcc_lo, s0, v18
	v_add_nc_u32_e32 v20, s11, v11
	v_ashrrev_i32_e32 v12, 31, v11
	s_wait_alu 0xfffd
	v_add_co_ci_u32_e64 v111, null, s1, v19, vcc_lo
	v_add_co_u32 v112, vcc_lo, s0, v9
	v_ashrrev_i32_e32 v21, 31, v20
	v_add_nc_u32_e32 v9, s11, v20
	v_lshlrev_b64_e32 v[11:12], 4, v[11:12]
	s_wait_alu 0xfffd
	v_add_co_ci_u32_e64 v113, null, s1, v10, vcc_lo
	v_lshlrev_b64_e32 v[18:19], 4, v[20:21]
	v_add_nc_u32_e32 v20, s11, v9
	v_ashrrev_i32_e32 v10, 31, v9
	v_add_co_u32 v114, vcc_lo, s0, v11
	s_wait_alu 0xfffd
	v_add_co_ci_u32_e64 v115, null, s1, v12, vcc_lo
	v_add_nc_u32_e32 v11, s11, v20
	v_ashrrev_i32_e32 v21, 31, v20
	v_add_co_u32 v116, vcc_lo, s0, v18
	v_lshlrev_b64_e32 v[9:10], 4, v[9:10]
	s_wait_alu 0xfffd
	v_add_co_ci_u32_e64 v117, null, s1, v19, vcc_lo
	v_lshlrev_b64_e32 v[18:19], 4, v[20:21]
	v_add_nc_u32_e32 v20, s11, v11
	v_ashrrev_i32_e32 v12, 31, v11
	v_add_co_u32 v118, vcc_lo, s0, v9
	s_wait_alu 0xfffd
	v_add_co_ci_u32_e64 v119, null, s1, v10, vcc_lo
	v_ashrrev_i32_e32 v21, 31, v20
	v_add_nc_u32_e32 v9, s11, v20
	v_add_co_u32 v120, vcc_lo, s0, v18
	s_wait_alu 0xfffd
	v_add_co_ci_u32_e64 v121, null, s1, v19, vcc_lo
	v_lshlrev_b64_e32 v[18:19], 4, v[20:21]
	v_add_nc_u32_e32 v20, s11, v9
	v_lshlrev_b64_e32 v[11:12], 4, v[11:12]
	v_ashrrev_i32_e32 v10, 31, v9
	s_delay_alu instid0(VALU_DEP_3) | instskip(NEXT) | instid1(VALU_DEP_3)
	v_ashrrev_i32_e32 v21, 31, v20
	v_add_co_u32 v122, vcc_lo, s0, v11
	s_delay_alu instid0(VALU_DEP_3)
	v_lshlrev_b64_e32 v[9:10], 4, v[9:10]
	s_wait_alu 0xfffd
	v_add_co_ci_u32_e64 v123, null, s1, v12, vcc_lo
	v_lshlrev_b64_e32 v[11:12], 4, v[20:21]
	v_add_co_u32 v124, vcc_lo, s0, v18
	s_wait_loadcnt 0x1b
	scratch_store_b128 off, v[22:25], off offset:96
	v_add_nc_u32_e32 v22, s11, v20
	s_wait_loadcnt 0x1a
	scratch_store_b128 off, v[26:29], off offset:112
	s_wait_alu 0xfffd
	v_add_co_ci_u32_e64 v125, null, s1, v19, vcc_lo
	v_add_co_u32 v126, vcc_lo, s0, v9
	v_add_nc_u32_e32 v24, s11, v22
	s_wait_alu 0xfffd
	v_add_co_ci_u32_e64 v127, null, s1, v10, vcc_lo
	v_add_co_u32 v128, vcc_lo, s0, v11
	s_wait_alu 0xfffd
	v_add_co_ci_u32_e64 v129, null, s1, v12, vcc_lo
	v_ashrrev_i32_e32 v23, 31, v22
	v_ashrrev_i32_e32 v25, 31, v24
	s_delay_alu instid0(VALU_DEP_2)
	v_lshlrev_b64_e32 v[22:23], 4, v[22:23]
	s_wait_loadcnt 0x19
	scratch_store_b128 off, v[30:33], off offset:128
	v_add_nc_u32_e32 v30, s11, v24
	s_wait_loadcnt 0x18
	scratch_store_b128 off, v[34:37], off offset:144
	v_lshlrev_b64_e32 v[24:25], 4, v[24:25]
	v_add_nc_u32_e32 v32, s11, v30
	v_ashrrev_i32_e32 v31, 31, v30
	s_delay_alu instid0(VALU_DEP_2) | instskip(NEXT) | instid1(VALU_DEP_2)
	v_ashrrev_i32_e32 v33, 31, v32
	v_lshlrev_b64_e32 v[30:31], 4, v[30:31]
	s_wait_loadcnt 0x17
	scratch_store_b128 off, v[38:41], off offset:160
	v_add_nc_u32_e32 v38, s11, v32
	s_wait_loadcnt 0x16
	scratch_store_b128 off, v[130:133], off offset:176
	s_wait_loadcnt 0x15
	scratch_store_b128 off, v[134:137], off offset:192
	s_clause 0x1
	global_load_b128 v[9:12], v[108:109], off
	global_load_b128 v[18:21], v[110:111], off
	s_wait_loadcnt 0x16
	scratch_store_b128 off, v[138:141], off offset:208
	s_wait_loadcnt 0x15
	scratch_store_b128 off, v[142:145], off offset:224
	;; [unrolled: 2-line block ×3, first 2 shown]
	v_add_nc_u32_e32 v40, s11, v38
	v_add_co_u32 v130, vcc_lo, s0, v22
	s_wait_alu 0xfffd
	v_add_co_ci_u32_e64 v131, null, s1, v23, vcc_lo
	s_delay_alu instid0(VALU_DEP_3) | instskip(SKIP_3) | instid1(VALU_DEP_3)
	v_add_nc_u32_e32 v142, s11, v40
	v_add_co_u32 v132, vcc_lo, s0, v24
	s_wait_alu 0xfffd
	v_add_co_ci_u32_e64 v133, null, s1, v25, vcc_lo
	v_add_nc_u32_e32 v144, s11, v142
	s_clause 0x1
	global_load_b128 v[22:25], v[112:113], off
	global_load_b128 v[26:29], v[114:115], off
	v_ashrrev_i32_e32 v39, 31, v38
	s_wait_loadcnt 0x15
	scratch_store_b128 off, v[150:153], off offset:256
	v_ashrrev_i32_e32 v41, 31, v40
	v_add_nc_u32_e32 v146, s11, v144
	v_lshlrev_b64_e32 v[32:33], 4, v[32:33]
	s_wait_loadcnt 0x14
	scratch_store_b128 off, v[154:157], off offset:272
	s_wait_loadcnt 0x13
	scratch_store_b128 off, v[158:161], off offset:288
	v_add_nc_u32_e32 v148, s11, v146
	v_lshlrev_b64_e32 v[38:39], 4, v[38:39]
	v_add_co_u32 v134, vcc_lo, s0, v30
	v_lshlrev_b64_e32 v[40:41], 4, v[40:41]
	s_delay_alu instid0(VALU_DEP_4) | instskip(SKIP_3) | instid1(VALU_DEP_3)
	v_add_nc_u32_e32 v150, s11, v148
	s_wait_alu 0xfffd
	v_add_co_ci_u32_e64 v135, null, s1, v31, vcc_lo
	v_add_co_u32 v136, vcc_lo, s0, v32
	v_add_nc_u32_e32 v152, s11, v150
	v_ashrrev_i32_e32 v143, 31, v142
	s_wait_alu 0xfffd
	v_add_co_ci_u32_e64 v137, null, s1, v33, vcc_lo
	v_add_co_u32 v138, vcc_lo, s0, v38
	v_add_nc_u32_e32 v154, s11, v152
	v_ashrrev_i32_e32 v145, 31, v144
	s_wait_alu 0xfffd
	v_add_co_ci_u32_e64 v139, null, s1, v39, vcc_lo
	v_add_co_u32 v140, vcc_lo, s0, v40
	v_add_nc_u32_e32 v156, s11, v154
	s_clause 0x1
	global_load_b128 v[30:33], v[116:117], off
	global_load_b128 v[34:37], v[118:119], off
	s_wait_loadcnt 0x14
	scratch_store_b128 off, v[162:165], off offset:304
	s_wait_loadcnt 0x13
	scratch_store_b128 off, v[166:169], off offset:320
	;; [unrolled: 2-line block ×3, first 2 shown]
	v_ashrrev_i32_e32 v147, 31, v146
	v_add_nc_u32_e32 v158, s11, v156
	s_wait_alu 0xfffd
	v_add_co_ci_u32_e64 v141, null, s1, v41, vcc_lo
	s_clause 0x1
	global_load_b128 v[38:41], v[120:121], off
	global_load_b128 v[168:171], v[122:123], off
	v_lshlrev_b64_e32 v[142:143], 4, v[142:143]
	s_wait_loadcnt 0x13
	scratch_store_b128 off, v[174:177], off offset:352
	s_wait_loadcnt 0x12
	scratch_store_b128 off, v[178:181], off offset:368
	;; [unrolled: 2-line block ×3, first 2 shown]
	v_ashrrev_i32_e32 v149, 31, v148
	s_clause 0x1
	global_load_b128 v[172:175], v[124:125], off
	global_load_b128 v[176:179], v[126:127], off
	s_wait_loadcnt 0x12
	scratch_store_b128 off, v[186:189], off offset:400
	s_wait_loadcnt 0x11
	scratch_store_b128 off, v[190:193], off offset:416
	;; [unrolled: 2-line block ×3, first 2 shown]
	v_lshlrev_b64_e32 v[144:145], 4, v[144:145]
	s_clause 0x1
	global_load_b128 v[180:183], v[128:129], off
	global_load_b128 v[184:187], v[130:131], off
	s_wait_loadcnt 0x11
	scratch_store_b128 off, v[198:201], off offset:448
	s_wait_loadcnt 0x10
	scratch_store_b128 off, v[202:205], off offset:464
	s_wait_loadcnt 0xf
	scratch_store_b128 off, v[206:209], off offset:480
	v_ashrrev_i32_e32 v151, 31, v150
	s_clause 0x1
	global_load_b128 v[188:191], v[132:133], off
	global_load_b128 v[192:195], v[134:135], off
	v_lshlrev_b64_e32 v[146:147], 4, v[146:147]
	v_ashrrev_i32_e32 v153, 31, v152
	v_add_co_u32 v142, vcc_lo, s0, v142
	v_lshlrev_b64_e32 v[148:149], 4, v[148:149]
	v_ashrrev_i32_e32 v155, 31, v154
	s_wait_alu 0xfffd
	v_add_co_ci_u32_e64 v143, null, s1, v143, vcc_lo
	v_add_co_u32 v144, vcc_lo, s0, v144
	v_lshlrev_b64_e32 v[150:151], 4, v[150:151]
	v_ashrrev_i32_e32 v157, 31, v156
	s_wait_alu 0xfffd
	v_add_co_ci_u32_e64 v145, null, s1, v145, vcc_lo
	;; [unrolled: 5-line block ×3, first 2 shown]
	v_add_co_u32 v148, vcc_lo, s0, v148
	v_lshlrev_b64_e32 v[154:155], 4, v[154:155]
	s_wait_alu 0xfffd
	v_add_co_ci_u32_e64 v149, null, s1, v149, vcc_lo
	v_add_co_u32 v150, vcc_lo, s0, v150
	v_lshlrev_b64_e32 v[156:157], 4, v[156:157]
	s_wait_alu 0xfffd
	v_add_co_ci_u32_e64 v151, null, s1, v151, vcc_lo
	v_add_co_u32 v152, vcc_lo, s0, v152
	s_wait_alu 0xfffd
	v_add_co_ci_u32_e64 v153, null, s1, v153, vcc_lo
	v_add_co_u32 v154, vcc_lo, s0, v154
	;; [unrolled: 3-line block ×3, first 2 shown]
	s_wait_alu 0xfffd
	v_add_co_ci_u32_e64 v157, null, s1, v157, vcc_lo
	s_wait_loadcnt 0x10
	scratch_store_b128 off, v[1:4], off offset:496
	v_add_nc_u32_e32 v1, s11, v158
	v_lshlrev_b64_e32 v[158:159], 4, v[158:159]
	s_delay_alu instid0(VALU_DEP_2) | instskip(SKIP_1) | instid1(VALU_DEP_3)
	v_add_nc_u32_e32 v3, s11, v1
	v_ashrrev_i32_e32 v2, 31, v1
	v_add_co_u32 v158, vcc_lo, s0, v158
	s_wait_alu 0xfffd
	s_delay_alu instid0(VALU_DEP_4)
	v_add_co_ci_u32_e64 v159, null, s1, v159, vcc_lo
	v_ashrrev_i32_e32 v4, 31, v3
	v_lshlrev_b64_e32 v[1:2], 4, v[1:2]
	s_wait_loadcnt 0xf
	scratch_store_b128 off, v[5:8], off offset:512
	v_add_nc_u32_e32 v5, s11, v3
	s_wait_loadcnt 0xe
	scratch_store_b128 off, v[14:17], off offset:528
	v_lshlrev_b64_e32 v[3:4], 4, v[3:4]
	v_add_co_u32 v160, vcc_lo, s0, v1
	v_add_nc_u32_e32 v7, s11, v5
	v_ashrrev_i32_e32 v6, 31, v5
	s_wait_alu 0xfffd
	v_add_co_ci_u32_e64 v161, null, s1, v2, vcc_lo
	v_add_co_u32 v162, vcc_lo, s0, v3
	v_ashrrev_i32_e32 v8, 31, v7
	v_lshlrev_b64_e32 v[1:2], 4, v[5:6]
	s_wait_alu 0xfffd
	v_add_co_ci_u32_e64 v163, null, s1, v4, vcc_lo
	s_movk_i32 s11, 0xd0
	v_lshlrev_b64_e32 v[3:4], 4, v[7:8]
	global_load_b128 v[5:8], v[138:139], off
	v_add_co_u32 v164, vcc_lo, s0, v1
	s_wait_alu 0xfffd
	v_add_co_ci_u32_e64 v165, null, s1, v2, vcc_lo
	v_add_co_u32 v166, vcc_lo, s0, v3
	s_wait_alu 0xfffd
	v_add_co_ci_u32_e64 v167, null, s1, v4, vcc_lo
	global_load_b128 v[1:4], v[136:137], off
	s_movk_i32 s0, 0x50
	s_movk_i32 s1, 0x60
	s_wait_alu 0xfffe
	s_add_co_i32 s73, s0, 16
	s_add_co_i32 s72, s1, 16
	s_movk_i32 s0, 0x2f0
	s_movk_i32 s1, 0x300
	s_wait_alu 0xfffe
	s_add_co_i32 s28, s0, 16
	s_add_co_i32 s25, s1, 16
	;; [unrolled: 5-line block ×5, first 2 shown]
	s_movk_i32 s0, 0x370
	s_movk_i32 s1, 0x380
	s_add_co_i32 s64, s11, 16
	s_wait_alu 0xfffe
	s_add_co_i32 s11, s0, 16
	s_add_co_i32 s12, s1, 16
	s_movk_i32 s0, 0x390
	s_movk_i32 s1, 0x3a0
	s_wait_alu 0xfffe
	s_add_co_i32 s13, s0, 16
	s_add_co_i32 s9, s1, 16
	s_movk_i32 s0, 0x3b0
	s_movk_i32 s1, 0x3c0
	;; [unrolled: 5-line block ×3, first 2 shown]
	s_wait_alu 0xfffe
	s_add_co_i32 s5, s0, 16
	s_add_co_i32 s8, s1, 16
	s_bitcmp0_b32 s2, 0
	s_mov_b32 s1, -1
	s_wait_loadcnt 0xf
	scratch_store_b128 off, v[9:12], off offset:544
	s_wait_loadcnt 0xe
	scratch_store_b128 off, v[18:21], off offset:560
	;; [unrolled: 2-line block ×3, first 2 shown]
	s_clause 0x1
	global_load_b128 v[9:12], v[140:141], off
	global_load_b128 v[14:17], v[142:143], off
	s_wait_loadcnt 0xe
	scratch_store_b128 off, v[26:29], off offset:592
	s_wait_loadcnt 0xd
	scratch_store_b128 off, v[30:33], off offset:608
	s_clause 0x1
	global_load_b128 v[18:21], v[144:145], off
	global_load_b128 v[22:25], v[146:147], off
	s_wait_loadcnt 0xe
	scratch_store_b128 off, v[34:37], off offset:624
	s_wait_loadcnt 0xd
	scratch_store_b128 off, v[38:41], off offset:640
	;; [unrolled: 7-line block ×5, first 2 shown]
	s_clause 0x1
	global_load_b128 v[176:179], v[160:161], off
	global_load_b128 v[180:183], v[162:163], off
	s_wait_loadcnt 0xe
	scratch_store_b128 off, v[192:195], off offset:752
	global_load_b128 v[184:187], v[164:165], off
	s_wait_loadcnt 0xd
	scratch_store_b128 off, v[1:4], off offset:768
	global_load_b128 v[1:4], v[166:167], off
	scratch_store_b128 off, v[5:8], off offset:784
	s_wait_loadcnt 0xd
	scratch_store_b128 off, v[9:12], off offset:800
	s_wait_loadcnt 0xc
	;; [unrolled: 2-line block ×14, first 2 shown]
	scratch_store_b128 off, v[1:4], off offset:1008
	s_cbranch_scc1 .LBB62_276
; %bb.4:
	v_cmp_eq_u32_e64 s0, 0, v0
	s_and_saveexec_b32 s1, s0
; %bb.5:
	v_mov_b32_e32 v1, 0
	ds_store_b32 v1, v1 offset:2016
; %bb.6:
	s_wait_alu 0xfffe
	s_or_b32 exec_lo, exec_lo, s1
	s_wait_storecnt_dscnt 0x0
	s_barrier_signal -1
	s_barrier_wait -1
	global_inv scope:SCOPE_SE
	scratch_load_b128 v[1:4], v13, off offset:16
	s_wait_loadcnt 0x0
	v_cmp_eq_f64_e32 vcc_lo, 0, v[1:2]
	v_cmp_eq_f64_e64 s1, 0, v[3:4]
	s_and_b32 s1, vcc_lo, s1
	s_wait_alu 0xfffe
	s_and_saveexec_b32 s2, s1
	s_cbranch_execz .LBB62_10
; %bb.7:
	v_mov_b32_e32 v1, 0
	s_mov_b32 s3, 0
	ds_load_b32 v2, v1 offset:2016
	s_wait_dscnt 0x0
	v_readfirstlane_b32 s1, v2
	v_add_nc_u32_e32 v2, 1, v0
	s_cmp_eq_u32 s1, 0
	s_delay_alu instid0(VALU_DEP_1) | instskip(SKIP_1) | instid1(SALU_CYCLE_1)
	v_cmp_gt_i32_e32 vcc_lo, s1, v2
	s_cselect_b32 s74, -1, 0
	s_or_b32 s74, s74, vcc_lo
	s_delay_alu instid0(SALU_CYCLE_1)
	s_and_b32 exec_lo, exec_lo, s74
	s_cbranch_execz .LBB62_10
; %bb.8:
	v_mov_b32_e32 v3, s1
.LBB62_9:                               ; =>This Inner Loop Header: Depth=1
	ds_cmpstore_rtn_b32 v3, v1, v2, v3 offset:2016
	s_wait_dscnt 0x0
	v_cmp_ne_u32_e32 vcc_lo, 0, v3
	v_cmp_le_i32_e64 s1, v3, v2
	s_and_b32 s1, vcc_lo, s1
	s_wait_alu 0xfffe
	s_and_b32 s1, exec_lo, s1
	s_wait_alu 0xfffe
	s_or_b32 s3, s1, s3
	s_wait_alu 0xfffe
	s_and_not1_b32 exec_lo, exec_lo, s3
	s_cbranch_execnz .LBB62_9
.LBB62_10:
	s_wait_alu 0xfffe
	s_or_b32 exec_lo, exec_lo, s2
	v_mov_b32_e32 v1, 0
	s_barrier_signal -1
	s_barrier_wait -1
	global_inv scope:SCOPE_SE
	ds_load_b32 v2, v1 offset:2016
	s_and_saveexec_b32 s1, s0
	s_cbranch_execz .LBB62_12
; %bb.11:
	s_lshl_b64 s[2:3], s[18:19], 2
	s_wait_alu 0xfffe
	s_add_nc_u64 s[2:3], s[6:7], s[2:3]
	s_wait_dscnt 0x0
	global_store_b32 v1, v2, s[2:3]
.LBB62_12:
	s_wait_alu 0xfffe
	s_or_b32 exec_lo, exec_lo, s1
	s_wait_dscnt 0x0
	v_cmp_ne_u32_e32 vcc_lo, 0, v2
	s_mov_b32 s1, 0
	s_cbranch_vccnz .LBB62_276
; %bb.13:
	v_add_nc_u32_e32 v14, 16, v13
                                        ; implicit-def: $vgpr1_vgpr2
                                        ; implicit-def: $vgpr9_vgpr10
	scratch_load_b128 v[5:8], v14, off
	s_wait_loadcnt 0x0
	v_cmp_ngt_f64_e64 s1, |v[5:6]|, |v[7:8]|
	s_wait_alu 0xfffe
	s_and_saveexec_b32 s2, s1
	s_wait_alu 0xfffe
	s_xor_b32 s1, exec_lo, s2
	s_cbranch_execz .LBB62_15
; %bb.14:
	v_div_scale_f64 v[1:2], null, v[7:8], v[7:8], v[5:6]
	v_div_scale_f64 v[11:12], vcc_lo, v[5:6], v[7:8], v[5:6]
	s_delay_alu instid0(VALU_DEP_2) | instskip(NEXT) | instid1(TRANS32_DEP_1)
	v_rcp_f64_e32 v[3:4], v[1:2]
	v_fma_f64 v[9:10], -v[1:2], v[3:4], 1.0
	s_delay_alu instid0(VALU_DEP_1) | instskip(NEXT) | instid1(VALU_DEP_1)
	v_fma_f64 v[3:4], v[3:4], v[9:10], v[3:4]
	v_fma_f64 v[9:10], -v[1:2], v[3:4], 1.0
	s_delay_alu instid0(VALU_DEP_1) | instskip(NEXT) | instid1(VALU_DEP_1)
	v_fma_f64 v[3:4], v[3:4], v[9:10], v[3:4]
	v_mul_f64_e32 v[9:10], v[11:12], v[3:4]
	s_delay_alu instid0(VALU_DEP_1) | instskip(SKIP_1) | instid1(VALU_DEP_1)
	v_fma_f64 v[1:2], -v[1:2], v[9:10], v[11:12]
	s_wait_alu 0xfffd
	v_div_fmas_f64 v[1:2], v[1:2], v[3:4], v[9:10]
	s_delay_alu instid0(VALU_DEP_1) | instskip(NEXT) | instid1(VALU_DEP_1)
	v_div_fixup_f64 v[1:2], v[1:2], v[7:8], v[5:6]
	v_fma_f64 v[3:4], v[5:6], v[1:2], v[7:8]
	s_delay_alu instid0(VALU_DEP_1) | instskip(SKIP_1) | instid1(VALU_DEP_2)
	v_div_scale_f64 v[5:6], null, v[3:4], v[3:4], 1.0
	v_div_scale_f64 v[11:12], vcc_lo, 1.0, v[3:4], 1.0
	v_rcp_f64_e32 v[7:8], v[5:6]
	s_delay_alu instid0(TRANS32_DEP_1) | instskip(NEXT) | instid1(VALU_DEP_1)
	v_fma_f64 v[9:10], -v[5:6], v[7:8], 1.0
	v_fma_f64 v[7:8], v[7:8], v[9:10], v[7:8]
	s_delay_alu instid0(VALU_DEP_1) | instskip(NEXT) | instid1(VALU_DEP_1)
	v_fma_f64 v[9:10], -v[5:6], v[7:8], 1.0
	v_fma_f64 v[7:8], v[7:8], v[9:10], v[7:8]
	s_delay_alu instid0(VALU_DEP_1) | instskip(NEXT) | instid1(VALU_DEP_1)
	v_mul_f64_e32 v[9:10], v[11:12], v[7:8]
	v_fma_f64 v[5:6], -v[5:6], v[9:10], v[11:12]
	s_wait_alu 0xfffd
	s_delay_alu instid0(VALU_DEP_1) | instskip(NEXT) | instid1(VALU_DEP_1)
	v_div_fmas_f64 v[5:6], v[5:6], v[7:8], v[9:10]
	v_div_fixup_f64 v[3:4], v[5:6], v[3:4], 1.0
                                        ; implicit-def: $vgpr5_vgpr6
	s_delay_alu instid0(VALU_DEP_1) | instskip(SKIP_1) | instid1(VALU_DEP_2)
	v_mul_f64_e32 v[1:2], v[1:2], v[3:4]
	v_xor_b32_e32 v4, 0x80000000, v4
	v_xor_b32_e32 v10, 0x80000000, v2
	s_delay_alu instid0(VALU_DEP_3)
	v_mov_b32_e32 v9, v1
.LBB62_15:
	s_wait_alu 0xfffe
	s_and_not1_saveexec_b32 s1, s1
	s_cbranch_execz .LBB62_17
; %bb.16:
	v_div_scale_f64 v[1:2], null, v[5:6], v[5:6], v[7:8]
	v_div_scale_f64 v[11:12], vcc_lo, v[7:8], v[5:6], v[7:8]
	s_delay_alu instid0(VALU_DEP_2) | instskip(NEXT) | instid1(TRANS32_DEP_1)
	v_rcp_f64_e32 v[3:4], v[1:2]
	v_fma_f64 v[9:10], -v[1:2], v[3:4], 1.0
	s_delay_alu instid0(VALU_DEP_1) | instskip(NEXT) | instid1(VALU_DEP_1)
	v_fma_f64 v[3:4], v[3:4], v[9:10], v[3:4]
	v_fma_f64 v[9:10], -v[1:2], v[3:4], 1.0
	s_delay_alu instid0(VALU_DEP_1) | instskip(NEXT) | instid1(VALU_DEP_1)
	v_fma_f64 v[3:4], v[3:4], v[9:10], v[3:4]
	v_mul_f64_e32 v[9:10], v[11:12], v[3:4]
	s_delay_alu instid0(VALU_DEP_1) | instskip(SKIP_1) | instid1(VALU_DEP_1)
	v_fma_f64 v[1:2], -v[1:2], v[9:10], v[11:12]
	s_wait_alu 0xfffd
	v_div_fmas_f64 v[1:2], v[1:2], v[3:4], v[9:10]
	s_delay_alu instid0(VALU_DEP_1) | instskip(NEXT) | instid1(VALU_DEP_1)
	v_div_fixup_f64 v[3:4], v[1:2], v[5:6], v[7:8]
	v_fma_f64 v[1:2], v[7:8], v[3:4], v[5:6]
	s_delay_alu instid0(VALU_DEP_1) | instskip(NEXT) | instid1(VALU_DEP_1)
	v_div_scale_f64 v[5:6], null, v[1:2], v[1:2], 1.0
	v_rcp_f64_e32 v[7:8], v[5:6]
	s_delay_alu instid0(TRANS32_DEP_1) | instskip(NEXT) | instid1(VALU_DEP_1)
	v_fma_f64 v[9:10], -v[5:6], v[7:8], 1.0
	v_fma_f64 v[7:8], v[7:8], v[9:10], v[7:8]
	s_delay_alu instid0(VALU_DEP_1) | instskip(NEXT) | instid1(VALU_DEP_1)
	v_fma_f64 v[9:10], -v[5:6], v[7:8], 1.0
	v_fma_f64 v[7:8], v[7:8], v[9:10], v[7:8]
	v_div_scale_f64 v[9:10], vcc_lo, 1.0, v[1:2], 1.0
	s_delay_alu instid0(VALU_DEP_1) | instskip(NEXT) | instid1(VALU_DEP_1)
	v_mul_f64_e32 v[11:12], v[9:10], v[7:8]
	v_fma_f64 v[5:6], -v[5:6], v[11:12], v[9:10]
	s_wait_alu 0xfffd
	s_delay_alu instid0(VALU_DEP_1) | instskip(NEXT) | instid1(VALU_DEP_1)
	v_div_fmas_f64 v[5:6], v[5:6], v[7:8], v[11:12]
	v_div_fixup_f64 v[1:2], v[5:6], v[1:2], 1.0
	s_delay_alu instid0(VALU_DEP_1)
	v_mul_f64_e64 v[3:4], v[3:4], -v[1:2]
	v_xor_b32_e32 v10, 0x80000000, v2
	v_mov_b32_e32 v9, v1
.LBB62_17:
	s_wait_alu 0xfffe
	s_or_b32 exec_lo, exec_lo, s1
	scratch_store_b128 v14, v[1:4], off
	scratch_load_b128 v[15:18], off, s59
	v_xor_b32_e32 v12, 0x80000000, v4
	v_mov_b32_e32 v11, v3
	v_add_nc_u32_e32 v5, 0x3f0, v13
	ds_store_b128 v13, v[9:12]
	s_wait_loadcnt 0x0
	ds_store_b128 v13, v[15:18] offset:1008
	s_wait_storecnt_dscnt 0x0
	s_barrier_signal -1
	s_barrier_wait -1
	global_inv scope:SCOPE_SE
	s_and_saveexec_b32 s1, s0
	s_cbranch_execz .LBB62_19
; %bb.18:
	scratch_load_b128 v[1:4], v14, off
	ds_load_b128 v[6:9], v5
	v_mov_b32_e32 v10, 0
	ds_load_b128 v[15:18], v10 offset:16
	s_wait_loadcnt_dscnt 0x1
	v_mul_f64_e32 v[10:11], v[6:7], v[3:4]
	v_mul_f64_e32 v[3:4], v[8:9], v[3:4]
	s_delay_alu instid0(VALU_DEP_2) | instskip(NEXT) | instid1(VALU_DEP_2)
	v_fma_f64 v[8:9], v[8:9], v[1:2], v[10:11]
	v_fma_f64 v[1:2], v[6:7], v[1:2], -v[3:4]
	s_delay_alu instid0(VALU_DEP_2) | instskip(NEXT) | instid1(VALU_DEP_2)
	v_add_f64_e32 v[3:4], 0, v[8:9]
	v_add_f64_e32 v[1:2], 0, v[1:2]
	s_wait_dscnt 0x0
	s_delay_alu instid0(VALU_DEP_2) | instskip(NEXT) | instid1(VALU_DEP_2)
	v_mul_f64_e32 v[6:7], v[3:4], v[17:18]
	v_mul_f64_e32 v[8:9], v[1:2], v[17:18]
	s_delay_alu instid0(VALU_DEP_2) | instskip(NEXT) | instid1(VALU_DEP_2)
	v_fma_f64 v[1:2], v[1:2], v[15:16], -v[6:7]
	v_fma_f64 v[3:4], v[3:4], v[15:16], v[8:9]
	scratch_store_b128 off, v[1:4], off offset:32
.LBB62_19:
	s_wait_alu 0xfffe
	s_or_b32 exec_lo, exec_lo, s1
	s_wait_loadcnt 0x0
	s_wait_storecnt 0x0
	s_barrier_signal -1
	s_barrier_wait -1
	global_inv scope:SCOPE_SE
	scratch_load_b128 v[1:4], off, s58
	v_cmp_gt_u32_e32 vcc_lo, 2, v0
	s_wait_loadcnt 0x0
	ds_store_b128 v5, v[1:4]
	s_wait_dscnt 0x0
	s_barrier_signal -1
	s_barrier_wait -1
	global_inv scope:SCOPE_SE
	s_and_saveexec_b32 s1, vcc_lo
	s_cbranch_execz .LBB62_23
; %bb.20:
	scratch_load_b128 v[1:4], v14, off
	ds_load_b128 v[6:9], v5
	s_wait_loadcnt_dscnt 0x0
	v_mul_f64_e32 v[10:11], v[8:9], v[3:4]
	v_mul_f64_e32 v[3:4], v[6:7], v[3:4]
	s_delay_alu instid0(VALU_DEP_2) | instskip(NEXT) | instid1(VALU_DEP_2)
	v_fma_f64 v[6:7], v[6:7], v[1:2], -v[10:11]
	v_fma_f64 v[3:4], v[8:9], v[1:2], v[3:4]
	s_delay_alu instid0(VALU_DEP_2) | instskip(NEXT) | instid1(VALU_DEP_2)
	v_add_f64_e32 v[1:2], 0, v[6:7]
	v_add_f64_e32 v[3:4], 0, v[3:4]
	s_and_saveexec_b32 s2, s0
	s_cbranch_execz .LBB62_22
; %bb.21:
	scratch_load_b128 v[6:9], off, off offset:32
	v_mov_b32_e32 v10, 0
	ds_load_b128 v[15:18], v10 offset:1024
	s_wait_loadcnt_dscnt 0x0
	v_mul_f64_e32 v[10:11], v[15:16], v[8:9]
	v_mul_f64_e32 v[8:9], v[17:18], v[8:9]
	s_delay_alu instid0(VALU_DEP_2) | instskip(NEXT) | instid1(VALU_DEP_2)
	v_fma_f64 v[10:11], v[17:18], v[6:7], v[10:11]
	v_fma_f64 v[6:7], v[15:16], v[6:7], -v[8:9]
	s_delay_alu instid0(VALU_DEP_2) | instskip(NEXT) | instid1(VALU_DEP_2)
	v_add_f64_e32 v[3:4], v[3:4], v[10:11]
	v_add_f64_e32 v[1:2], v[1:2], v[6:7]
.LBB62_22:
	s_wait_alu 0xfffe
	s_or_b32 exec_lo, exec_lo, s2
	v_mov_b32_e32 v6, 0
	ds_load_b128 v[6:9], v6 offset:32
	s_wait_dscnt 0x0
	v_mul_f64_e32 v[10:11], v[3:4], v[8:9]
	v_mul_f64_e32 v[8:9], v[1:2], v[8:9]
	s_delay_alu instid0(VALU_DEP_2) | instskip(NEXT) | instid1(VALU_DEP_2)
	v_fma_f64 v[1:2], v[1:2], v[6:7], -v[10:11]
	v_fma_f64 v[3:4], v[3:4], v[6:7], v[8:9]
	scratch_store_b128 off, v[1:4], off offset:48
.LBB62_23:
	s_wait_alu 0xfffe
	s_or_b32 exec_lo, exec_lo, s1
	s_wait_loadcnt 0x0
	s_wait_storecnt 0x0
	s_barrier_signal -1
	s_barrier_wait -1
	global_inv scope:SCOPE_SE
	scratch_load_b128 v[1:4], off, s57
	v_add_nc_u32_e32 v6, -1, v0
	s_mov_b32 s2, exec_lo
	s_wait_loadcnt 0x0
	ds_store_b128 v5, v[1:4]
	s_wait_dscnt 0x0
	s_barrier_signal -1
	s_barrier_wait -1
	global_inv scope:SCOPE_SE
	v_cmpx_gt_u32_e32 3, v0
	s_cbranch_execz .LBB62_27
; %bb.24:
	v_dual_mov_b32 v1, 0 :: v_dual_add_nc_u32 v8, 0x3f0, v13
	v_mov_b32_e32 v3, 0
	v_dual_mov_b32 v2, 0 :: v_dual_add_nc_u32 v7, -1, v0
	v_mov_b32_e32 v4, 0
	v_or_b32_e32 v9, 8, v14
	s_mov_b32 s3, 0
.LBB62_25:                              ; =>This Inner Loop Header: Depth=1
	scratch_load_b128 v[15:18], v9, off offset:-8
	ds_load_b128 v[19:22], v8
	v_add_nc_u32_e32 v7, 1, v7
	v_add_nc_u32_e32 v8, 16, v8
	;; [unrolled: 1-line block ×3, first 2 shown]
	s_delay_alu instid0(VALU_DEP_3)
	v_cmp_lt_u32_e64 s1, 1, v7
	s_wait_alu 0xfffe
	s_or_b32 s3, s1, s3
	s_wait_loadcnt_dscnt 0x0
	v_mul_f64_e32 v[10:11], v[21:22], v[17:18]
	v_mul_f64_e32 v[17:18], v[19:20], v[17:18]
	s_delay_alu instid0(VALU_DEP_2) | instskip(NEXT) | instid1(VALU_DEP_2)
	v_fma_f64 v[10:11], v[19:20], v[15:16], -v[10:11]
	v_fma_f64 v[15:16], v[21:22], v[15:16], v[17:18]
	s_delay_alu instid0(VALU_DEP_2) | instskip(NEXT) | instid1(VALU_DEP_2)
	v_add_f64_e32 v[3:4], v[3:4], v[10:11]
	v_add_f64_e32 v[1:2], v[1:2], v[15:16]
	s_wait_alu 0xfffe
	s_and_not1_b32 exec_lo, exec_lo, s3
	s_cbranch_execnz .LBB62_25
; %bb.26:
	s_or_b32 exec_lo, exec_lo, s3
	v_mov_b32_e32 v7, 0
	ds_load_b128 v[7:10], v7 offset:48
	s_wait_dscnt 0x0
	v_mul_f64_e32 v[11:12], v[1:2], v[9:10]
	v_mul_f64_e32 v[15:16], v[3:4], v[9:10]
	s_delay_alu instid0(VALU_DEP_2) | instskip(NEXT) | instid1(VALU_DEP_2)
	v_fma_f64 v[9:10], v[3:4], v[7:8], -v[11:12]
	v_fma_f64 v[11:12], v[1:2], v[7:8], v[15:16]
	scratch_store_b128 off, v[9:12], off offset:64
.LBB62_27:
	s_wait_alu 0xfffe
	s_or_b32 exec_lo, exec_lo, s2
	s_wait_loadcnt 0x0
	s_wait_storecnt 0x0
	s_barrier_signal -1
	s_barrier_wait -1
	global_inv scope:SCOPE_SE
	scratch_load_b128 v[1:4], off, s56
	v_cmp_gt_u32_e64 s1, 4, v0
	s_wait_loadcnt 0x0
	ds_store_b128 v5, v[1:4]
	s_wait_dscnt 0x0
	s_barrier_signal -1
	s_barrier_wait -1
	global_inv scope:SCOPE_SE
	s_and_saveexec_b32 s3, s1
	s_cbranch_execz .LBB62_31
; %bb.28:
	v_dual_mov_b32 v1, 0 :: v_dual_add_nc_u32 v8, 0x3f0, v13
	v_mov_b32_e32 v3, 0
	v_dual_mov_b32 v2, 0 :: v_dual_add_nc_u32 v7, -1, v0
	v_mov_b32_e32 v4, 0
	v_or_b32_e32 v9, 8, v14
	s_mov_b32 s74, 0
.LBB62_29:                              ; =>This Inner Loop Header: Depth=1
	scratch_load_b128 v[15:18], v9, off offset:-8
	ds_load_b128 v[19:22], v8
	v_add_nc_u32_e32 v7, 1, v7
	v_add_nc_u32_e32 v8, 16, v8
	v_add_nc_u32_e32 v9, 16, v9
	s_delay_alu instid0(VALU_DEP_3) | instskip(SKIP_4) | instid1(VALU_DEP_2)
	v_cmp_lt_u32_e64 s2, 2, v7
	s_or_b32 s74, s2, s74
	s_wait_loadcnt_dscnt 0x0
	v_mul_f64_e32 v[10:11], v[21:22], v[17:18]
	v_mul_f64_e32 v[17:18], v[19:20], v[17:18]
	v_fma_f64 v[10:11], v[19:20], v[15:16], -v[10:11]
	s_delay_alu instid0(VALU_DEP_2) | instskip(NEXT) | instid1(VALU_DEP_2)
	v_fma_f64 v[15:16], v[21:22], v[15:16], v[17:18]
	v_add_f64_e32 v[3:4], v[3:4], v[10:11]
	s_delay_alu instid0(VALU_DEP_2)
	v_add_f64_e32 v[1:2], v[1:2], v[15:16]
	s_and_not1_b32 exec_lo, exec_lo, s74
	s_cbranch_execnz .LBB62_29
; %bb.30:
	s_or_b32 exec_lo, exec_lo, s74
	v_mov_b32_e32 v7, 0
	ds_load_b128 v[7:10], v7 offset:64
	s_wait_dscnt 0x0
	v_mul_f64_e32 v[11:12], v[1:2], v[9:10]
	v_mul_f64_e32 v[15:16], v[3:4], v[9:10]
	s_delay_alu instid0(VALU_DEP_2) | instskip(NEXT) | instid1(VALU_DEP_2)
	v_fma_f64 v[9:10], v[3:4], v[7:8], -v[11:12]
	v_fma_f64 v[11:12], v[1:2], v[7:8], v[15:16]
	scratch_store_b128 off, v[9:12], off offset:80
.LBB62_31:
	s_wait_alu 0xfffe
	s_or_b32 exec_lo, exec_lo, s3
	s_wait_loadcnt 0x0
	s_wait_storecnt 0x0
	s_barrier_signal -1
	s_barrier_wait -1
	global_inv scope:SCOPE_SE
	scratch_load_b128 v[1:4], off, s73
	s_mov_b32 s3, exec_lo
	s_wait_loadcnt 0x0
	ds_store_b128 v5, v[1:4]
	s_wait_dscnt 0x0
	s_barrier_signal -1
	s_barrier_wait -1
	global_inv scope:SCOPE_SE
	v_cmpx_gt_u32_e32 5, v0
	s_cbranch_execz .LBB62_35
; %bb.32:
	v_dual_mov_b32 v1, 0 :: v_dual_add_nc_u32 v8, 0x3f0, v13
	v_mov_b32_e32 v3, 0
	v_dual_mov_b32 v2, 0 :: v_dual_add_nc_u32 v7, -1, v0
	v_mov_b32_e32 v4, 0
	v_or_b32_e32 v9, 8, v14
	s_mov_b32 s74, 0
.LBB62_33:                              ; =>This Inner Loop Header: Depth=1
	scratch_load_b128 v[15:18], v9, off offset:-8
	ds_load_b128 v[19:22], v8
	v_add_nc_u32_e32 v7, 1, v7
	v_add_nc_u32_e32 v8, 16, v8
	;; [unrolled: 1-line block ×3, first 2 shown]
	s_delay_alu instid0(VALU_DEP_3) | instskip(SKIP_4) | instid1(VALU_DEP_2)
	v_cmp_lt_u32_e64 s2, 3, v7
	s_or_b32 s74, s2, s74
	s_wait_loadcnt_dscnt 0x0
	v_mul_f64_e32 v[10:11], v[21:22], v[17:18]
	v_mul_f64_e32 v[17:18], v[19:20], v[17:18]
	v_fma_f64 v[10:11], v[19:20], v[15:16], -v[10:11]
	s_delay_alu instid0(VALU_DEP_2) | instskip(NEXT) | instid1(VALU_DEP_2)
	v_fma_f64 v[15:16], v[21:22], v[15:16], v[17:18]
	v_add_f64_e32 v[3:4], v[3:4], v[10:11]
	s_delay_alu instid0(VALU_DEP_2)
	v_add_f64_e32 v[1:2], v[1:2], v[15:16]
	s_and_not1_b32 exec_lo, exec_lo, s74
	s_cbranch_execnz .LBB62_33
; %bb.34:
	s_or_b32 exec_lo, exec_lo, s74
	v_mov_b32_e32 v7, 0
	ds_load_b128 v[7:10], v7 offset:80
	s_wait_dscnt 0x0
	v_mul_f64_e32 v[11:12], v[1:2], v[9:10]
	v_mul_f64_e32 v[15:16], v[3:4], v[9:10]
	s_delay_alu instid0(VALU_DEP_2) | instskip(NEXT) | instid1(VALU_DEP_2)
	v_fma_f64 v[9:10], v[3:4], v[7:8], -v[11:12]
	v_fma_f64 v[11:12], v[1:2], v[7:8], v[15:16]
	scratch_store_b128 off, v[9:12], off offset:96
.LBB62_35:
	s_wait_alu 0xfffe
	s_or_b32 exec_lo, exec_lo, s3
	s_wait_loadcnt 0x0
	s_wait_storecnt 0x0
	s_barrier_signal -1
	s_barrier_wait -1
	global_inv scope:SCOPE_SE
	scratch_load_b128 v[1:4], off, s72
	v_cmp_gt_u32_e64 s2, 6, v0
	s_wait_loadcnt 0x0
	ds_store_b128 v5, v[1:4]
	s_wait_dscnt 0x0
	s_barrier_signal -1
	s_barrier_wait -1
	global_inv scope:SCOPE_SE
	s_and_saveexec_b32 s74, s2
	s_cbranch_execz .LBB62_39
; %bb.36:
	v_dual_mov_b32 v1, 0 :: v_dual_add_nc_u32 v8, 0x3f0, v13
	v_mov_b32_e32 v3, 0
	v_dual_mov_b32 v2, 0 :: v_dual_add_nc_u32 v7, -1, v0
	v_mov_b32_e32 v4, 0
	v_or_b32_e32 v9, 8, v14
	s_mov_b32 s75, 0
.LBB62_37:                              ; =>This Inner Loop Header: Depth=1
	scratch_load_b128 v[15:18], v9, off offset:-8
	ds_load_b128 v[19:22], v8
	v_add_nc_u32_e32 v7, 1, v7
	v_add_nc_u32_e32 v8, 16, v8
	;; [unrolled: 1-line block ×3, first 2 shown]
	s_delay_alu instid0(VALU_DEP_3) | instskip(SKIP_4) | instid1(VALU_DEP_2)
	v_cmp_lt_u32_e64 s3, 4, v7
	s_or_b32 s75, s3, s75
	s_wait_loadcnt_dscnt 0x0
	v_mul_f64_e32 v[10:11], v[21:22], v[17:18]
	v_mul_f64_e32 v[17:18], v[19:20], v[17:18]
	v_fma_f64 v[10:11], v[19:20], v[15:16], -v[10:11]
	s_delay_alu instid0(VALU_DEP_2) | instskip(NEXT) | instid1(VALU_DEP_2)
	v_fma_f64 v[15:16], v[21:22], v[15:16], v[17:18]
	v_add_f64_e32 v[3:4], v[3:4], v[10:11]
	s_delay_alu instid0(VALU_DEP_2)
	v_add_f64_e32 v[1:2], v[1:2], v[15:16]
	s_and_not1_b32 exec_lo, exec_lo, s75
	s_cbranch_execnz .LBB62_37
; %bb.38:
	s_or_b32 exec_lo, exec_lo, s75
	v_mov_b32_e32 v7, 0
	ds_load_b128 v[7:10], v7 offset:96
	s_wait_dscnt 0x0
	v_mul_f64_e32 v[11:12], v[1:2], v[9:10]
	v_mul_f64_e32 v[15:16], v[3:4], v[9:10]
	s_delay_alu instid0(VALU_DEP_2) | instskip(NEXT) | instid1(VALU_DEP_2)
	v_fma_f64 v[9:10], v[3:4], v[7:8], -v[11:12]
	v_fma_f64 v[11:12], v[1:2], v[7:8], v[15:16]
	scratch_store_b128 off, v[9:12], off offset:112
.LBB62_39:
	s_or_b32 exec_lo, exec_lo, s74
	s_wait_loadcnt 0x0
	s_wait_storecnt 0x0
	s_barrier_signal -1
	s_barrier_wait -1
	global_inv scope:SCOPE_SE
	scratch_load_b128 v[1:4], off, s71
	s_mov_b32 s74, exec_lo
	s_wait_loadcnt 0x0
	ds_store_b128 v5, v[1:4]
	s_wait_dscnt 0x0
	s_barrier_signal -1
	s_barrier_wait -1
	global_inv scope:SCOPE_SE
	v_cmpx_gt_u32_e32 7, v0
	s_cbranch_execz .LBB62_43
; %bb.40:
	v_dual_mov_b32 v1, 0 :: v_dual_add_nc_u32 v8, 0x3f0, v13
	v_mov_b32_e32 v3, 0
	v_dual_mov_b32 v2, 0 :: v_dual_add_nc_u32 v7, -1, v0
	v_mov_b32_e32 v4, 0
	v_or_b32_e32 v9, 8, v14
	s_mov_b32 s75, 0
.LBB62_41:                              ; =>This Inner Loop Header: Depth=1
	scratch_load_b128 v[15:18], v9, off offset:-8
	ds_load_b128 v[19:22], v8
	v_add_nc_u32_e32 v7, 1, v7
	v_add_nc_u32_e32 v8, 16, v8
	;; [unrolled: 1-line block ×3, first 2 shown]
	s_delay_alu instid0(VALU_DEP_3) | instskip(SKIP_4) | instid1(VALU_DEP_2)
	v_cmp_lt_u32_e64 s3, 5, v7
	s_or_b32 s75, s3, s75
	s_wait_loadcnt_dscnt 0x0
	v_mul_f64_e32 v[10:11], v[21:22], v[17:18]
	v_mul_f64_e32 v[17:18], v[19:20], v[17:18]
	v_fma_f64 v[10:11], v[19:20], v[15:16], -v[10:11]
	s_delay_alu instid0(VALU_DEP_2) | instskip(NEXT) | instid1(VALU_DEP_2)
	v_fma_f64 v[15:16], v[21:22], v[15:16], v[17:18]
	v_add_f64_e32 v[3:4], v[3:4], v[10:11]
	s_delay_alu instid0(VALU_DEP_2)
	v_add_f64_e32 v[1:2], v[1:2], v[15:16]
	s_and_not1_b32 exec_lo, exec_lo, s75
	s_cbranch_execnz .LBB62_41
; %bb.42:
	s_or_b32 exec_lo, exec_lo, s75
	v_mov_b32_e32 v7, 0
	ds_load_b128 v[7:10], v7 offset:112
	s_wait_dscnt 0x0
	v_mul_f64_e32 v[11:12], v[1:2], v[9:10]
	v_mul_f64_e32 v[15:16], v[3:4], v[9:10]
	s_delay_alu instid0(VALU_DEP_2) | instskip(NEXT) | instid1(VALU_DEP_2)
	v_fma_f64 v[9:10], v[3:4], v[7:8], -v[11:12]
	v_fma_f64 v[11:12], v[1:2], v[7:8], v[15:16]
	scratch_store_b128 off, v[9:12], off offset:128
.LBB62_43:
	s_or_b32 exec_lo, exec_lo, s74
	s_wait_loadcnt 0x0
	s_wait_storecnt 0x0
	s_barrier_signal -1
	s_barrier_wait -1
	global_inv scope:SCOPE_SE
	scratch_load_b128 v[1:4], off, s70
	s_mov_b32 s74, exec_lo
	s_wait_loadcnt 0x0
	ds_store_b128 v5, v[1:4]
	s_wait_dscnt 0x0
	s_barrier_signal -1
	s_barrier_wait -1
	global_inv scope:SCOPE_SE
	v_cmpx_gt_u32_e32 8, v0
	s_cbranch_execz .LBB62_59
; %bb.44:
	scratch_load_b128 v[1:4], v14, off
	ds_load_b128 v[7:10], v5
	s_mov_b32 s75, exec_lo
	s_wait_loadcnt_dscnt 0x0
	v_mul_f64_e32 v[11:12], v[9:10], v[3:4]
	v_mul_f64_e32 v[3:4], v[7:8], v[3:4]
	s_delay_alu instid0(VALU_DEP_2) | instskip(NEXT) | instid1(VALU_DEP_2)
	v_fma_f64 v[7:8], v[7:8], v[1:2], -v[11:12]
	v_fma_f64 v[1:2], v[9:10], v[1:2], v[3:4]
	s_delay_alu instid0(VALU_DEP_2) | instskip(NEXT) | instid1(VALU_DEP_2)
	v_add_f64_e32 v[3:4], 0, v[7:8]
	v_add_f64_e32 v[1:2], 0, v[1:2]
	v_cmpx_ne_u32_e32 7, v0
	s_cbranch_execz .LBB62_58
; %bb.45:
	scratch_load_b128 v[7:10], v14, off offset:16
	ds_load_b128 v[15:18], v5 offset:16
	s_wait_loadcnt_dscnt 0x0
	v_mul_f64_e32 v[11:12], v[17:18], v[9:10]
	v_mul_f64_e32 v[9:10], v[15:16], v[9:10]
	s_delay_alu instid0(VALU_DEP_2) | instskip(NEXT) | instid1(VALU_DEP_2)
	v_fma_f64 v[11:12], v[15:16], v[7:8], -v[11:12]
	v_fma_f64 v[7:8], v[17:18], v[7:8], v[9:10]
	s_delay_alu instid0(VALU_DEP_2) | instskip(NEXT) | instid1(VALU_DEP_2)
	v_add_f64_e32 v[3:4], v[3:4], v[11:12]
	v_add_f64_e32 v[1:2], v[1:2], v[7:8]
	s_and_saveexec_b32 s3, s2
	s_cbranch_execz .LBB62_57
; %bb.46:
	scratch_load_b128 v[7:10], v14, off offset:32
	ds_load_b128 v[15:18], v5 offset:32
	s_mov_b32 s76, exec_lo
	s_wait_loadcnt_dscnt 0x0
	v_mul_f64_e32 v[11:12], v[17:18], v[9:10]
	v_mul_f64_e32 v[9:10], v[15:16], v[9:10]
	s_delay_alu instid0(VALU_DEP_2) | instskip(NEXT) | instid1(VALU_DEP_2)
	v_fma_f64 v[11:12], v[15:16], v[7:8], -v[11:12]
	v_fma_f64 v[7:8], v[17:18], v[7:8], v[9:10]
	s_delay_alu instid0(VALU_DEP_2) | instskip(NEXT) | instid1(VALU_DEP_2)
	v_add_f64_e32 v[3:4], v[3:4], v[11:12]
	v_add_f64_e32 v[1:2], v[1:2], v[7:8]
	v_cmpx_ne_u32_e32 5, v0
	s_cbranch_execz .LBB62_56
; %bb.47:
	scratch_load_b128 v[7:10], v14, off offset:48
	ds_load_b128 v[15:18], v5 offset:48
	s_wait_loadcnt_dscnt 0x0
	v_mul_f64_e32 v[11:12], v[17:18], v[9:10]
	v_mul_f64_e32 v[9:10], v[15:16], v[9:10]
	s_delay_alu instid0(VALU_DEP_2) | instskip(NEXT) | instid1(VALU_DEP_2)
	v_fma_f64 v[11:12], v[15:16], v[7:8], -v[11:12]
	v_fma_f64 v[7:8], v[17:18], v[7:8], v[9:10]
	s_delay_alu instid0(VALU_DEP_2) | instskip(NEXT) | instid1(VALU_DEP_2)
	v_add_f64_e32 v[3:4], v[3:4], v[11:12]
	v_add_f64_e32 v[1:2], v[1:2], v[7:8]
	s_and_saveexec_b32 s2, s1
	s_cbranch_execz .LBB62_55
; %bb.48:
	scratch_load_b128 v[7:10], v14, off offset:64
	ds_load_b128 v[15:18], v5 offset:64
	s_mov_b32 s77, exec_lo
	s_wait_loadcnt_dscnt 0x0
	v_mul_f64_e32 v[11:12], v[17:18], v[9:10]
	v_mul_f64_e32 v[9:10], v[15:16], v[9:10]
	s_delay_alu instid0(VALU_DEP_2) | instskip(NEXT) | instid1(VALU_DEP_2)
	v_fma_f64 v[11:12], v[15:16], v[7:8], -v[11:12]
	v_fma_f64 v[7:8], v[17:18], v[7:8], v[9:10]
	s_delay_alu instid0(VALU_DEP_2) | instskip(NEXT) | instid1(VALU_DEP_2)
	v_add_f64_e32 v[3:4], v[3:4], v[11:12]
	v_add_f64_e32 v[1:2], v[1:2], v[7:8]
	v_cmpx_ne_u32_e32 3, v0
	s_cbranch_execz .LBB62_54
; %bb.49:
	scratch_load_b128 v[7:10], v14, off offset:80
	ds_load_b128 v[15:18], v5 offset:80
	s_wait_loadcnt_dscnt 0x0
	v_mul_f64_e32 v[11:12], v[17:18], v[9:10]
	v_mul_f64_e32 v[9:10], v[15:16], v[9:10]
	s_delay_alu instid0(VALU_DEP_2) | instskip(NEXT) | instid1(VALU_DEP_2)
	v_fma_f64 v[11:12], v[15:16], v[7:8], -v[11:12]
	v_fma_f64 v[7:8], v[17:18], v[7:8], v[9:10]
	s_delay_alu instid0(VALU_DEP_2) | instskip(NEXT) | instid1(VALU_DEP_2)
	v_add_f64_e32 v[3:4], v[3:4], v[11:12]
	v_add_f64_e32 v[1:2], v[1:2], v[7:8]
	s_and_saveexec_b32 s1, vcc_lo
	s_cbranch_execz .LBB62_53
; %bb.50:
	scratch_load_b128 v[7:10], v14, off offset:96
	ds_load_b128 v[15:18], v5 offset:96
	s_wait_loadcnt_dscnt 0x0
	v_mul_f64_e32 v[11:12], v[17:18], v[9:10]
	v_mul_f64_e32 v[9:10], v[15:16], v[9:10]
	s_delay_alu instid0(VALU_DEP_2) | instskip(NEXT) | instid1(VALU_DEP_2)
	v_fma_f64 v[11:12], v[15:16], v[7:8], -v[11:12]
	v_fma_f64 v[7:8], v[17:18], v[7:8], v[9:10]
	s_delay_alu instid0(VALU_DEP_2) | instskip(NEXT) | instid1(VALU_DEP_2)
	v_add_f64_e32 v[3:4], v[3:4], v[11:12]
	v_add_f64_e32 v[1:2], v[1:2], v[7:8]
	s_and_saveexec_b32 s78, s0
	s_cbranch_execz .LBB62_52
; %bb.51:
	scratch_load_b128 v[7:10], v14, off offset:112
	ds_load_b128 v[15:18], v5 offset:112
	s_wait_loadcnt_dscnt 0x0
	v_mul_f64_e32 v[11:12], v[17:18], v[9:10]
	v_mul_f64_e32 v[9:10], v[15:16], v[9:10]
	s_delay_alu instid0(VALU_DEP_2) | instskip(NEXT) | instid1(VALU_DEP_2)
	v_fma_f64 v[11:12], v[15:16], v[7:8], -v[11:12]
	v_fma_f64 v[7:8], v[17:18], v[7:8], v[9:10]
	s_delay_alu instid0(VALU_DEP_2) | instskip(NEXT) | instid1(VALU_DEP_2)
	v_add_f64_e32 v[3:4], v[3:4], v[11:12]
	v_add_f64_e32 v[1:2], v[1:2], v[7:8]
.LBB62_52:
	s_or_b32 exec_lo, exec_lo, s78
.LBB62_53:
	s_wait_alu 0xfffe
	s_or_b32 exec_lo, exec_lo, s1
.LBB62_54:
	s_delay_alu instid0(SALU_CYCLE_1)
	s_or_b32 exec_lo, exec_lo, s77
.LBB62_55:
	s_wait_alu 0xfffe
	s_or_b32 exec_lo, exec_lo, s2
.LBB62_56:
	s_delay_alu instid0(SALU_CYCLE_1)
	s_or_b32 exec_lo, exec_lo, s76
.LBB62_57:
	s_wait_alu 0xfffe
	s_or_b32 exec_lo, exec_lo, s3
.LBB62_58:
	s_delay_alu instid0(SALU_CYCLE_1)
	s_or_b32 exec_lo, exec_lo, s75
	v_mov_b32_e32 v7, 0
	ds_load_b128 v[7:10], v7 offset:128
	s_wait_dscnt 0x0
	v_mul_f64_e32 v[11:12], v[1:2], v[9:10]
	v_mul_f64_e32 v[15:16], v[3:4], v[9:10]
	s_delay_alu instid0(VALU_DEP_2) | instskip(NEXT) | instid1(VALU_DEP_2)
	v_fma_f64 v[9:10], v[3:4], v[7:8], -v[11:12]
	v_fma_f64 v[11:12], v[1:2], v[7:8], v[15:16]
	scratch_store_b128 off, v[9:12], off offset:144
.LBB62_59:
	s_or_b32 exec_lo, exec_lo, s74
	s_wait_loadcnt 0x0
	s_wait_storecnt 0x0
	s_barrier_signal -1
	s_barrier_wait -1
	global_inv scope:SCOPE_SE
	scratch_load_b128 v[1:4], off, s69
	s_mov_b32 s0, exec_lo
	s_wait_loadcnt 0x0
	ds_store_b128 v5, v[1:4]
	s_wait_dscnt 0x0
	s_barrier_signal -1
	s_barrier_wait -1
	global_inv scope:SCOPE_SE
	v_cmpx_gt_u32_e32 9, v0
	s_cbranch_execz .LBB62_63
; %bb.60:
	v_dual_mov_b32 v1, 0 :: v_dual_add_nc_u32 v8, 0x3f0, v13
	v_mov_b32_e32 v3, 0
	v_dual_mov_b32 v2, 0 :: v_dual_add_nc_u32 v7, -1, v0
	v_mov_b32_e32 v4, 0
	v_or_b32_e32 v9, 8, v14
	s_mov_b32 s1, 0
.LBB62_61:                              ; =>This Inner Loop Header: Depth=1
	scratch_load_b128 v[15:18], v9, off offset:-8
	ds_load_b128 v[19:22], v8
	v_add_nc_u32_e32 v7, 1, v7
	v_add_nc_u32_e32 v8, 16, v8
	v_add_nc_u32_e32 v9, 16, v9
	s_delay_alu instid0(VALU_DEP_3)
	v_cmp_lt_u32_e32 vcc_lo, 7, v7
	s_wait_alu 0xfffe
	s_or_b32 s1, vcc_lo, s1
	s_wait_loadcnt_dscnt 0x0
	v_mul_f64_e32 v[10:11], v[21:22], v[17:18]
	v_mul_f64_e32 v[17:18], v[19:20], v[17:18]
	s_delay_alu instid0(VALU_DEP_2) | instskip(NEXT) | instid1(VALU_DEP_2)
	v_fma_f64 v[10:11], v[19:20], v[15:16], -v[10:11]
	v_fma_f64 v[15:16], v[21:22], v[15:16], v[17:18]
	s_delay_alu instid0(VALU_DEP_2) | instskip(NEXT) | instid1(VALU_DEP_2)
	v_add_f64_e32 v[3:4], v[3:4], v[10:11]
	v_add_f64_e32 v[1:2], v[1:2], v[15:16]
	s_wait_alu 0xfffe
	s_and_not1_b32 exec_lo, exec_lo, s1
	s_cbranch_execnz .LBB62_61
; %bb.62:
	s_or_b32 exec_lo, exec_lo, s1
	v_mov_b32_e32 v7, 0
	ds_load_b128 v[7:10], v7 offset:144
	s_wait_dscnt 0x0
	v_mul_f64_e32 v[11:12], v[1:2], v[9:10]
	v_mul_f64_e32 v[15:16], v[3:4], v[9:10]
	s_delay_alu instid0(VALU_DEP_2) | instskip(NEXT) | instid1(VALU_DEP_2)
	v_fma_f64 v[9:10], v[3:4], v[7:8], -v[11:12]
	v_fma_f64 v[11:12], v[1:2], v[7:8], v[15:16]
	scratch_store_b128 off, v[9:12], off offset:160
.LBB62_63:
	s_wait_alu 0xfffe
	s_or_b32 exec_lo, exec_lo, s0
	s_wait_loadcnt 0x0
	s_wait_storecnt 0x0
	s_barrier_signal -1
	s_barrier_wait -1
	global_inv scope:SCOPE_SE
	scratch_load_b128 v[1:4], off, s68
	s_mov_b32 s0, exec_lo
	s_wait_loadcnt 0x0
	ds_store_b128 v5, v[1:4]
	s_wait_dscnt 0x0
	s_barrier_signal -1
	s_barrier_wait -1
	global_inv scope:SCOPE_SE
	v_cmpx_gt_u32_e32 10, v0
	s_cbranch_execz .LBB62_67
; %bb.64:
	v_dual_mov_b32 v1, 0 :: v_dual_add_nc_u32 v8, 0x3f0, v13
	v_mov_b32_e32 v3, 0
	v_dual_mov_b32 v2, 0 :: v_dual_add_nc_u32 v7, -1, v0
	v_mov_b32_e32 v4, 0
	v_or_b32_e32 v9, 8, v14
	s_mov_b32 s1, 0
.LBB62_65:                              ; =>This Inner Loop Header: Depth=1
	scratch_load_b128 v[15:18], v9, off offset:-8
	ds_load_b128 v[19:22], v8
	v_add_nc_u32_e32 v7, 1, v7
	v_add_nc_u32_e32 v8, 16, v8
	v_add_nc_u32_e32 v9, 16, v9
	s_delay_alu instid0(VALU_DEP_3)
	v_cmp_lt_u32_e32 vcc_lo, 8, v7
	s_wait_alu 0xfffe
	s_or_b32 s1, vcc_lo, s1
	s_wait_loadcnt_dscnt 0x0
	v_mul_f64_e32 v[10:11], v[21:22], v[17:18]
	v_mul_f64_e32 v[17:18], v[19:20], v[17:18]
	s_delay_alu instid0(VALU_DEP_2) | instskip(NEXT) | instid1(VALU_DEP_2)
	v_fma_f64 v[10:11], v[19:20], v[15:16], -v[10:11]
	v_fma_f64 v[15:16], v[21:22], v[15:16], v[17:18]
	s_delay_alu instid0(VALU_DEP_2) | instskip(NEXT) | instid1(VALU_DEP_2)
	v_add_f64_e32 v[3:4], v[3:4], v[10:11]
	v_add_f64_e32 v[1:2], v[1:2], v[15:16]
	s_wait_alu 0xfffe
	s_and_not1_b32 exec_lo, exec_lo, s1
	s_cbranch_execnz .LBB62_65
; %bb.66:
	s_or_b32 exec_lo, exec_lo, s1
	v_mov_b32_e32 v7, 0
	ds_load_b128 v[7:10], v7 offset:160
	s_wait_dscnt 0x0
	v_mul_f64_e32 v[11:12], v[1:2], v[9:10]
	v_mul_f64_e32 v[15:16], v[3:4], v[9:10]
	s_delay_alu instid0(VALU_DEP_2) | instskip(NEXT) | instid1(VALU_DEP_2)
	v_fma_f64 v[9:10], v[3:4], v[7:8], -v[11:12]
	v_fma_f64 v[11:12], v[1:2], v[7:8], v[15:16]
	scratch_store_b128 off, v[9:12], off offset:176
.LBB62_67:
	s_wait_alu 0xfffe
	;; [unrolled: 58-line block ×10, first 2 shown]
	s_or_b32 exec_lo, exec_lo, s0
	s_wait_loadcnt 0x0
	s_wait_storecnt 0x0
	s_barrier_signal -1
	s_barrier_wait -1
	global_inv scope:SCOPE_SE
	scratch_load_b128 v[1:4], off, s55
	s_mov_b32 s0, exec_lo
	s_wait_loadcnt 0x0
	ds_store_b128 v5, v[1:4]
	s_wait_dscnt 0x0
	s_barrier_signal -1
	s_barrier_wait -1
	global_inv scope:SCOPE_SE
	v_cmpx_gt_u32_e32 19, v0
	s_cbranch_execz .LBB62_103
; %bb.100:
	v_dual_mov_b32 v1, 0 :: v_dual_add_nc_u32 v8, 0x3f0, v13
	v_mov_b32_e32 v3, 0
	v_dual_mov_b32 v2, 0 :: v_dual_add_nc_u32 v7, -1, v0
	v_mov_b32_e32 v4, 0
	v_or_b32_e32 v9, 8, v14
	s_mov_b32 s1, 0
.LBB62_101:                             ; =>This Inner Loop Header: Depth=1
	scratch_load_b128 v[15:18], v9, off offset:-8
	ds_load_b128 v[19:22], v8
	v_add_nc_u32_e32 v7, 1, v7
	v_add_nc_u32_e32 v8, 16, v8
	v_add_nc_u32_e32 v9, 16, v9
	s_delay_alu instid0(VALU_DEP_3)
	v_cmp_lt_u32_e32 vcc_lo, 17, v7
	s_wait_alu 0xfffe
	s_or_b32 s1, vcc_lo, s1
	s_wait_loadcnt_dscnt 0x0
	v_mul_f64_e32 v[10:11], v[21:22], v[17:18]
	v_mul_f64_e32 v[17:18], v[19:20], v[17:18]
	s_delay_alu instid0(VALU_DEP_2) | instskip(NEXT) | instid1(VALU_DEP_2)
	v_fma_f64 v[10:11], v[19:20], v[15:16], -v[10:11]
	v_fma_f64 v[15:16], v[21:22], v[15:16], v[17:18]
	s_delay_alu instid0(VALU_DEP_2) | instskip(NEXT) | instid1(VALU_DEP_2)
	v_add_f64_e32 v[3:4], v[3:4], v[10:11]
	v_add_f64_e32 v[1:2], v[1:2], v[15:16]
	s_wait_alu 0xfffe
	s_and_not1_b32 exec_lo, exec_lo, s1
	s_cbranch_execnz .LBB62_101
; %bb.102:
	s_or_b32 exec_lo, exec_lo, s1
	v_mov_b32_e32 v7, 0
	ds_load_b128 v[7:10], v7 offset:304
	s_wait_dscnt 0x0
	v_mul_f64_e32 v[11:12], v[1:2], v[9:10]
	v_mul_f64_e32 v[15:16], v[3:4], v[9:10]
	s_delay_alu instid0(VALU_DEP_2) | instskip(NEXT) | instid1(VALU_DEP_2)
	v_fma_f64 v[9:10], v[3:4], v[7:8], -v[11:12]
	v_fma_f64 v[11:12], v[1:2], v[7:8], v[15:16]
	scratch_store_b128 off, v[9:12], off offset:320
.LBB62_103:
	s_wait_alu 0xfffe
	s_or_b32 exec_lo, exec_lo, s0
	s_wait_loadcnt 0x0
	s_wait_storecnt 0x0
	s_barrier_signal -1
	s_barrier_wait -1
	global_inv scope:SCOPE_SE
	scratch_load_b128 v[1:4], off, s54
	s_mov_b32 s0, exec_lo
	s_wait_loadcnt 0x0
	ds_store_b128 v5, v[1:4]
	s_wait_dscnt 0x0
	s_barrier_signal -1
	s_barrier_wait -1
	global_inv scope:SCOPE_SE
	v_cmpx_gt_u32_e32 20, v0
	s_cbranch_execz .LBB62_107
; %bb.104:
	v_dual_mov_b32 v1, 0 :: v_dual_add_nc_u32 v8, 0x3f0, v13
	v_mov_b32_e32 v3, 0
	v_dual_mov_b32 v2, 0 :: v_dual_add_nc_u32 v7, -1, v0
	v_mov_b32_e32 v4, 0
	v_or_b32_e32 v9, 8, v14
	s_mov_b32 s1, 0
.LBB62_105:                             ; =>This Inner Loop Header: Depth=1
	scratch_load_b128 v[15:18], v9, off offset:-8
	ds_load_b128 v[19:22], v8
	v_add_nc_u32_e32 v7, 1, v7
	v_add_nc_u32_e32 v8, 16, v8
	v_add_nc_u32_e32 v9, 16, v9
	s_delay_alu instid0(VALU_DEP_3)
	v_cmp_lt_u32_e32 vcc_lo, 18, v7
	s_wait_alu 0xfffe
	s_or_b32 s1, vcc_lo, s1
	s_wait_loadcnt_dscnt 0x0
	v_mul_f64_e32 v[10:11], v[21:22], v[17:18]
	v_mul_f64_e32 v[17:18], v[19:20], v[17:18]
	s_delay_alu instid0(VALU_DEP_2) | instskip(NEXT) | instid1(VALU_DEP_2)
	v_fma_f64 v[10:11], v[19:20], v[15:16], -v[10:11]
	v_fma_f64 v[15:16], v[21:22], v[15:16], v[17:18]
	s_delay_alu instid0(VALU_DEP_2) | instskip(NEXT) | instid1(VALU_DEP_2)
	v_add_f64_e32 v[3:4], v[3:4], v[10:11]
	v_add_f64_e32 v[1:2], v[1:2], v[15:16]
	s_wait_alu 0xfffe
	s_and_not1_b32 exec_lo, exec_lo, s1
	s_cbranch_execnz .LBB62_105
; %bb.106:
	s_or_b32 exec_lo, exec_lo, s1
	v_mov_b32_e32 v7, 0
	ds_load_b128 v[7:10], v7 offset:320
	s_wait_dscnt 0x0
	v_mul_f64_e32 v[11:12], v[1:2], v[9:10]
	v_mul_f64_e32 v[15:16], v[3:4], v[9:10]
	s_delay_alu instid0(VALU_DEP_2) | instskip(NEXT) | instid1(VALU_DEP_2)
	v_fma_f64 v[9:10], v[3:4], v[7:8], -v[11:12]
	v_fma_f64 v[11:12], v[1:2], v[7:8], v[15:16]
	scratch_store_b128 off, v[9:12], off offset:336
.LBB62_107:
	s_wait_alu 0xfffe
	;; [unrolled: 58-line block ×43, first 2 shown]
	s_or_b32 exec_lo, exec_lo, s0
	s_wait_loadcnt 0x0
	s_wait_storecnt 0x0
	s_barrier_signal -1
	s_barrier_wait -1
	global_inv scope:SCOPE_SE
	scratch_load_b128 v[1:4], off, s8
	s_mov_b32 s0, exec_lo
	s_wait_loadcnt 0x0
	ds_store_b128 v5, v[1:4]
	s_wait_dscnt 0x0
	s_barrier_signal -1
	s_barrier_wait -1
	global_inv scope:SCOPE_SE
	v_cmpx_ne_u32_e32 62, v0
	s_cbranch_execz .LBB62_275
; %bb.272:
	v_mov_b32_e32 v1, 0
	v_dual_mov_b32 v2, 0 :: v_dual_mov_b32 v3, 0
	v_mov_b32_e32 v4, 0
	v_or_b32_e32 v7, 8, v14
	s_mov_b32 s1, 0
.LBB62_273:                             ; =>This Inner Loop Header: Depth=1
	scratch_load_b128 v[8:11], v7, off offset:-8
	ds_load_b128 v[12:15], v5
	v_add_nc_u32_e32 v6, 1, v6
	v_add_nc_u32_e32 v5, 16, v5
	;; [unrolled: 1-line block ×3, first 2 shown]
	s_delay_alu instid0(VALU_DEP_3)
	v_cmp_lt_u32_e32 vcc_lo, 60, v6
	s_wait_alu 0xfffe
	s_or_b32 s1, vcc_lo, s1
	s_wait_loadcnt_dscnt 0x0
	v_mul_f64_e32 v[16:17], v[14:15], v[10:11]
	v_mul_f64_e32 v[10:11], v[12:13], v[10:11]
	s_delay_alu instid0(VALU_DEP_2) | instskip(NEXT) | instid1(VALU_DEP_2)
	v_fma_f64 v[12:13], v[12:13], v[8:9], -v[16:17]
	v_fma_f64 v[8:9], v[14:15], v[8:9], v[10:11]
	s_delay_alu instid0(VALU_DEP_2) | instskip(NEXT) | instid1(VALU_DEP_2)
	v_add_f64_e32 v[3:4], v[3:4], v[12:13]
	v_add_f64_e32 v[1:2], v[1:2], v[8:9]
	s_wait_alu 0xfffe
	s_and_not1_b32 exec_lo, exec_lo, s1
	s_cbranch_execnz .LBB62_273
; %bb.274:
	s_or_b32 exec_lo, exec_lo, s1
	v_mov_b32_e32 v5, 0
	ds_load_b128 v[5:8], v5 offset:992
	s_wait_dscnt 0x0
	v_mul_f64_e32 v[9:10], v[1:2], v[7:8]
	v_mul_f64_e32 v[7:8], v[3:4], v[7:8]
	s_delay_alu instid0(VALU_DEP_2) | instskip(NEXT) | instid1(VALU_DEP_2)
	v_fma_f64 v[3:4], v[3:4], v[5:6], -v[9:10]
	v_fma_f64 v[5:6], v[1:2], v[5:6], v[7:8]
	scratch_store_b128 off, v[3:6], off offset:1008
.LBB62_275:
	s_wait_alu 0xfffe
	s_or_b32 exec_lo, exec_lo, s0
	s_mov_b32 s1, -1
	s_wait_loadcnt 0x0
	s_wait_storecnt 0x0
	s_barrier_signal -1
	s_barrier_wait -1
	global_inv scope:SCOPE_SE
.LBB62_276:
	s_wait_alu 0xfffe
	s_and_b32 vcc_lo, exec_lo, s1
	s_wait_alu 0xfffe
	s_cbranch_vccz .LBB62_278
; %bb.277:
	v_mov_b32_e32 v1, 0
	s_lshl_b64 s[0:1], s[18:19], 2
	s_wait_alu 0xfffe
	s_add_nc_u64 s[0:1], s[6:7], s[0:1]
	global_load_b32 v1, v1, s[0:1]
	s_wait_loadcnt 0x0
	v_cmp_ne_u32_e32 vcc_lo, 0, v1
	s_cbranch_vccz .LBB62_279
.LBB62_278:
	s_nop 0
	s_sendmsg sendmsg(MSG_DEALLOC_VGPRS)
	s_endpgm
.LBB62_279:
	v_lshl_add_u32 v168, v0, 4, 0x3f0
	s_mov_b32 s0, exec_lo
	v_cmpx_eq_u32_e32 62, v0
	s_cbranch_execz .LBB62_281
; %bb.280:
	scratch_load_b128 v[1:4], off, s5
	v_mov_b32_e32 v5, 0
	s_delay_alu instid0(VALU_DEP_1)
	v_dual_mov_b32 v6, v5 :: v_dual_mov_b32 v7, v5
	v_mov_b32_e32 v8, v5
	scratch_store_b128 off, v[5:8], off offset:992
	s_wait_loadcnt 0x0
	ds_store_b128 v168, v[1:4]
.LBB62_281:
	s_wait_alu 0xfffe
	s_or_b32 exec_lo, exec_lo, s0
	s_wait_storecnt_dscnt 0x0
	s_barrier_signal -1
	s_barrier_wait -1
	global_inv scope:SCOPE_SE
	s_clause 0x1
	scratch_load_b128 v[2:5], off, off offset:1008
	scratch_load_b128 v[6:9], off, off offset:992
	v_mov_b32_e32 v1, 0
	s_mov_b32 s0, exec_lo
	ds_load_b128 v[10:13], v1 offset:2000
	s_wait_loadcnt_dscnt 0x100
	v_mul_f64_e32 v[14:15], v[12:13], v[4:5]
	v_mul_f64_e32 v[4:5], v[10:11], v[4:5]
	s_delay_alu instid0(VALU_DEP_2) | instskip(NEXT) | instid1(VALU_DEP_2)
	v_fma_f64 v[10:11], v[10:11], v[2:3], -v[14:15]
	v_fma_f64 v[2:3], v[12:13], v[2:3], v[4:5]
	s_delay_alu instid0(VALU_DEP_2) | instskip(NEXT) | instid1(VALU_DEP_2)
	v_add_f64_e32 v[4:5], 0, v[10:11]
	v_add_f64_e32 v[10:11], 0, v[2:3]
	s_wait_loadcnt 0x0
	s_delay_alu instid0(VALU_DEP_2) | instskip(NEXT) | instid1(VALU_DEP_2)
	v_add_f64_e64 v[2:3], v[6:7], -v[4:5]
	v_add_f64_e64 v[4:5], v[8:9], -v[10:11]
	scratch_store_b128 off, v[2:5], off offset:992
	v_cmpx_lt_u32_e32 60, v0
	s_cbranch_execz .LBB62_283
; %bb.282:
	scratch_load_b128 v[5:8], off, s4
	v_dual_mov_b32 v2, v1 :: v_dual_mov_b32 v3, v1
	v_mov_b32_e32 v4, v1
	scratch_store_b128 off, v[1:4], off offset:976
	s_wait_loadcnt 0x0
	ds_store_b128 v168, v[5:8]
.LBB62_283:
	s_wait_alu 0xfffe
	s_or_b32 exec_lo, exec_lo, s0
	s_wait_storecnt_dscnt 0x0
	s_barrier_signal -1
	s_barrier_wait -1
	global_inv scope:SCOPE_SE
	s_clause 0x2
	scratch_load_b128 v[2:5], off, off offset:992
	scratch_load_b128 v[6:9], off, off offset:1008
	;; [unrolled: 1-line block ×3, first 2 shown]
	ds_load_b128 v[14:17], v1 offset:1984
	ds_load_b128 v[18:21], v1 offset:2000
	s_mov_b32 s0, exec_lo
	s_wait_loadcnt_dscnt 0x201
	v_mul_f64_e32 v[22:23], v[16:17], v[4:5]
	v_mul_f64_e32 v[4:5], v[14:15], v[4:5]
	s_wait_loadcnt_dscnt 0x100
	v_mul_f64_e32 v[24:25], v[18:19], v[8:9]
	v_mul_f64_e32 v[8:9], v[20:21], v[8:9]
	s_delay_alu instid0(VALU_DEP_4) | instskip(NEXT) | instid1(VALU_DEP_4)
	v_fma_f64 v[14:15], v[14:15], v[2:3], -v[22:23]
	v_fma_f64 v[1:2], v[16:17], v[2:3], v[4:5]
	s_delay_alu instid0(VALU_DEP_4) | instskip(NEXT) | instid1(VALU_DEP_4)
	v_fma_f64 v[3:4], v[20:21], v[6:7], v[24:25]
	v_fma_f64 v[5:6], v[18:19], v[6:7], -v[8:9]
	s_delay_alu instid0(VALU_DEP_4) | instskip(NEXT) | instid1(VALU_DEP_4)
	v_add_f64_e32 v[7:8], 0, v[14:15]
	v_add_f64_e32 v[1:2], 0, v[1:2]
	s_delay_alu instid0(VALU_DEP_2) | instskip(NEXT) | instid1(VALU_DEP_2)
	v_add_f64_e32 v[5:6], v[7:8], v[5:6]
	v_add_f64_e32 v[3:4], v[1:2], v[3:4]
	s_wait_loadcnt 0x0
	s_delay_alu instid0(VALU_DEP_2) | instskip(NEXT) | instid1(VALU_DEP_2)
	v_add_f64_e64 v[1:2], v[10:11], -v[5:6]
	v_add_f64_e64 v[3:4], v[12:13], -v[3:4]
	scratch_store_b128 off, v[1:4], off offset:976
	v_cmpx_lt_u32_e32 59, v0
	s_cbranch_execz .LBB62_285
; %bb.284:
	scratch_load_b128 v[1:4], off, s10
	v_mov_b32_e32 v5, 0
	s_delay_alu instid0(VALU_DEP_1)
	v_dual_mov_b32 v6, v5 :: v_dual_mov_b32 v7, v5
	v_mov_b32_e32 v8, v5
	scratch_store_b128 off, v[5:8], off offset:960
	s_wait_loadcnt 0x0
	ds_store_b128 v168, v[1:4]
.LBB62_285:
	s_wait_alu 0xfffe
	s_or_b32 exec_lo, exec_lo, s0
	s_wait_storecnt_dscnt 0x0
	s_barrier_signal -1
	s_barrier_wait -1
	global_inv scope:SCOPE_SE
	s_clause 0x3
	scratch_load_b128 v[2:5], off, off offset:976
	scratch_load_b128 v[6:9], off, off offset:992
	;; [unrolled: 1-line block ×4, first 2 shown]
	v_mov_b32_e32 v1, 0
	ds_load_b128 v[18:21], v1 offset:1968
	ds_load_b128 v[22:25], v1 offset:1984
	s_mov_b32 s0, exec_lo
	s_wait_loadcnt_dscnt 0x301
	v_mul_f64_e32 v[26:27], v[20:21], v[4:5]
	v_mul_f64_e32 v[4:5], v[18:19], v[4:5]
	s_wait_loadcnt_dscnt 0x200
	v_mul_f64_e32 v[28:29], v[22:23], v[8:9]
	v_mul_f64_e32 v[8:9], v[24:25], v[8:9]
	s_delay_alu instid0(VALU_DEP_4) | instskip(NEXT) | instid1(VALU_DEP_4)
	v_fma_f64 v[18:19], v[18:19], v[2:3], -v[26:27]
	v_fma_f64 v[20:21], v[20:21], v[2:3], v[4:5]
	ds_load_b128 v[2:5], v1 offset:2000
	v_fma_f64 v[24:25], v[24:25], v[6:7], v[28:29]
	v_fma_f64 v[6:7], v[22:23], v[6:7], -v[8:9]
	s_wait_loadcnt_dscnt 0x100
	v_mul_f64_e32 v[26:27], v[2:3], v[12:13]
	v_mul_f64_e32 v[12:13], v[4:5], v[12:13]
	v_add_f64_e32 v[8:9], 0, v[18:19]
	v_add_f64_e32 v[18:19], 0, v[20:21]
	s_delay_alu instid0(VALU_DEP_4) | instskip(NEXT) | instid1(VALU_DEP_4)
	v_fma_f64 v[4:5], v[4:5], v[10:11], v[26:27]
	v_fma_f64 v[2:3], v[2:3], v[10:11], -v[12:13]
	s_delay_alu instid0(VALU_DEP_4) | instskip(NEXT) | instid1(VALU_DEP_4)
	v_add_f64_e32 v[6:7], v[8:9], v[6:7]
	v_add_f64_e32 v[8:9], v[18:19], v[24:25]
	s_delay_alu instid0(VALU_DEP_2) | instskip(NEXT) | instid1(VALU_DEP_2)
	v_add_f64_e32 v[2:3], v[6:7], v[2:3]
	v_add_f64_e32 v[4:5], v[8:9], v[4:5]
	s_wait_loadcnt 0x0
	s_delay_alu instid0(VALU_DEP_2) | instskip(NEXT) | instid1(VALU_DEP_2)
	v_add_f64_e64 v[2:3], v[14:15], -v[2:3]
	v_add_f64_e64 v[4:5], v[16:17], -v[4:5]
	scratch_store_b128 off, v[2:5], off offset:960
	v_cmpx_lt_u32_e32 58, v0
	s_cbranch_execz .LBB62_287
; %bb.286:
	scratch_load_b128 v[5:8], off, s9
	v_dual_mov_b32 v2, v1 :: v_dual_mov_b32 v3, v1
	v_mov_b32_e32 v4, v1
	scratch_store_b128 off, v[1:4], off offset:944
	s_wait_loadcnt 0x0
	ds_store_b128 v168, v[5:8]
.LBB62_287:
	s_wait_alu 0xfffe
	s_or_b32 exec_lo, exec_lo, s0
	s_wait_storecnt_dscnt 0x0
	s_barrier_signal -1
	s_barrier_wait -1
	global_inv scope:SCOPE_SE
	s_clause 0x4
	scratch_load_b128 v[2:5], off, off offset:960
	scratch_load_b128 v[6:9], off, off offset:976
	;; [unrolled: 1-line block ×5, first 2 shown]
	ds_load_b128 v[22:25], v1 offset:1952
	ds_load_b128 v[26:29], v1 offset:1968
	s_mov_b32 s0, exec_lo
	s_wait_loadcnt_dscnt 0x401
	v_mul_f64_e32 v[30:31], v[24:25], v[4:5]
	v_mul_f64_e32 v[4:5], v[22:23], v[4:5]
	s_wait_loadcnt_dscnt 0x300
	v_mul_f64_e32 v[32:33], v[26:27], v[8:9]
	v_mul_f64_e32 v[8:9], v[28:29], v[8:9]
	s_delay_alu instid0(VALU_DEP_4) | instskip(NEXT) | instid1(VALU_DEP_4)
	v_fma_f64 v[30:31], v[22:23], v[2:3], -v[30:31]
	v_fma_f64 v[34:35], v[24:25], v[2:3], v[4:5]
	ds_load_b128 v[2:5], v1 offset:1984
	ds_load_b128 v[22:25], v1 offset:2000
	v_fma_f64 v[28:29], v[28:29], v[6:7], v[32:33]
	v_fma_f64 v[6:7], v[26:27], v[6:7], -v[8:9]
	s_wait_loadcnt_dscnt 0x201
	v_mul_f64_e32 v[36:37], v[2:3], v[12:13]
	v_mul_f64_e32 v[12:13], v[4:5], v[12:13]
	v_add_f64_e32 v[8:9], 0, v[30:31]
	v_add_f64_e32 v[26:27], 0, v[34:35]
	s_wait_loadcnt_dscnt 0x100
	v_mul_f64_e32 v[30:31], v[22:23], v[16:17]
	v_mul_f64_e32 v[16:17], v[24:25], v[16:17]
	v_fma_f64 v[4:5], v[4:5], v[10:11], v[36:37]
	v_fma_f64 v[1:2], v[2:3], v[10:11], -v[12:13]
	v_add_f64_e32 v[6:7], v[8:9], v[6:7]
	v_add_f64_e32 v[8:9], v[26:27], v[28:29]
	v_fma_f64 v[10:11], v[24:25], v[14:15], v[30:31]
	v_fma_f64 v[12:13], v[22:23], v[14:15], -v[16:17]
	s_delay_alu instid0(VALU_DEP_4) | instskip(NEXT) | instid1(VALU_DEP_4)
	v_add_f64_e32 v[1:2], v[6:7], v[1:2]
	v_add_f64_e32 v[3:4], v[8:9], v[4:5]
	s_delay_alu instid0(VALU_DEP_2) | instskip(NEXT) | instid1(VALU_DEP_2)
	v_add_f64_e32 v[1:2], v[1:2], v[12:13]
	v_add_f64_e32 v[3:4], v[3:4], v[10:11]
	s_wait_loadcnt 0x0
	s_delay_alu instid0(VALU_DEP_2) | instskip(NEXT) | instid1(VALU_DEP_2)
	v_add_f64_e64 v[1:2], v[18:19], -v[1:2]
	v_add_f64_e64 v[3:4], v[20:21], -v[3:4]
	scratch_store_b128 off, v[1:4], off offset:944
	v_cmpx_lt_u32_e32 57, v0
	s_cbranch_execz .LBB62_289
; %bb.288:
	scratch_load_b128 v[1:4], off, s13
	v_mov_b32_e32 v5, 0
	s_delay_alu instid0(VALU_DEP_1)
	v_dual_mov_b32 v6, v5 :: v_dual_mov_b32 v7, v5
	v_mov_b32_e32 v8, v5
	scratch_store_b128 off, v[5:8], off offset:928
	s_wait_loadcnt 0x0
	ds_store_b128 v168, v[1:4]
.LBB62_289:
	s_wait_alu 0xfffe
	s_or_b32 exec_lo, exec_lo, s0
	s_wait_storecnt_dscnt 0x0
	s_barrier_signal -1
	s_barrier_wait -1
	global_inv scope:SCOPE_SE
	s_clause 0x5
	scratch_load_b128 v[2:5], off, off offset:944
	scratch_load_b128 v[6:9], off, off offset:960
	;; [unrolled: 1-line block ×6, first 2 shown]
	v_mov_b32_e32 v1, 0
	ds_load_b128 v[26:29], v1 offset:1936
	ds_load_b128 v[30:33], v1 offset:1952
	s_mov_b32 s0, exec_lo
	s_wait_loadcnt_dscnt 0x501
	v_mul_f64_e32 v[34:35], v[28:29], v[4:5]
	v_mul_f64_e32 v[4:5], v[26:27], v[4:5]
	s_wait_loadcnt_dscnt 0x400
	v_mul_f64_e32 v[36:37], v[30:31], v[8:9]
	v_mul_f64_e32 v[8:9], v[32:33], v[8:9]
	s_delay_alu instid0(VALU_DEP_4) | instskip(NEXT) | instid1(VALU_DEP_4)
	v_fma_f64 v[34:35], v[26:27], v[2:3], -v[34:35]
	v_fma_f64 v[38:39], v[28:29], v[2:3], v[4:5]
	ds_load_b128 v[2:5], v1 offset:1968
	ds_load_b128 v[26:29], v1 offset:1984
	v_fma_f64 v[32:33], v[32:33], v[6:7], v[36:37]
	v_fma_f64 v[6:7], v[30:31], v[6:7], -v[8:9]
	s_wait_loadcnt_dscnt 0x301
	v_mul_f64_e32 v[40:41], v[2:3], v[12:13]
	v_mul_f64_e32 v[12:13], v[4:5], v[12:13]
	v_add_f64_e32 v[8:9], 0, v[34:35]
	v_add_f64_e32 v[30:31], 0, v[38:39]
	s_wait_loadcnt_dscnt 0x200
	v_mul_f64_e32 v[34:35], v[26:27], v[16:17]
	v_mul_f64_e32 v[16:17], v[28:29], v[16:17]
	v_fma_f64 v[36:37], v[4:5], v[10:11], v[40:41]
	v_fma_f64 v[10:11], v[2:3], v[10:11], -v[12:13]
	ds_load_b128 v[2:5], v1 offset:2000
	v_add_f64_e32 v[6:7], v[8:9], v[6:7]
	v_add_f64_e32 v[8:9], v[30:31], v[32:33]
	v_fma_f64 v[28:29], v[28:29], v[14:15], v[34:35]
	v_fma_f64 v[14:15], v[26:27], v[14:15], -v[16:17]
	s_wait_loadcnt_dscnt 0x100
	v_mul_f64_e32 v[12:13], v[2:3], v[20:21]
	v_mul_f64_e32 v[20:21], v[4:5], v[20:21]
	v_add_f64_e32 v[6:7], v[6:7], v[10:11]
	v_add_f64_e32 v[8:9], v[8:9], v[36:37]
	s_delay_alu instid0(VALU_DEP_4) | instskip(NEXT) | instid1(VALU_DEP_4)
	v_fma_f64 v[4:5], v[4:5], v[18:19], v[12:13]
	v_fma_f64 v[2:3], v[2:3], v[18:19], -v[20:21]
	s_delay_alu instid0(VALU_DEP_4) | instskip(NEXT) | instid1(VALU_DEP_4)
	v_add_f64_e32 v[6:7], v[6:7], v[14:15]
	v_add_f64_e32 v[8:9], v[8:9], v[28:29]
	s_delay_alu instid0(VALU_DEP_2) | instskip(NEXT) | instid1(VALU_DEP_2)
	v_add_f64_e32 v[2:3], v[6:7], v[2:3]
	v_add_f64_e32 v[4:5], v[8:9], v[4:5]
	s_wait_loadcnt 0x0
	s_delay_alu instid0(VALU_DEP_2) | instskip(NEXT) | instid1(VALU_DEP_2)
	v_add_f64_e64 v[2:3], v[22:23], -v[2:3]
	v_add_f64_e64 v[4:5], v[24:25], -v[4:5]
	scratch_store_b128 off, v[2:5], off offset:928
	v_cmpx_lt_u32_e32 56, v0
	s_cbranch_execz .LBB62_291
; %bb.290:
	scratch_load_b128 v[5:8], off, s12
	v_dual_mov_b32 v2, v1 :: v_dual_mov_b32 v3, v1
	v_mov_b32_e32 v4, v1
	scratch_store_b128 off, v[1:4], off offset:912
	s_wait_loadcnt 0x0
	ds_store_b128 v168, v[5:8]
.LBB62_291:
	s_wait_alu 0xfffe
	s_or_b32 exec_lo, exec_lo, s0
	s_wait_storecnt_dscnt 0x0
	s_barrier_signal -1
	s_barrier_wait -1
	global_inv scope:SCOPE_SE
	s_clause 0x5
	scratch_load_b128 v[2:5], off, off offset:928
	scratch_load_b128 v[6:9], off, off offset:944
	;; [unrolled: 1-line block ×6, first 2 shown]
	ds_load_b128 v[26:29], v1 offset:1920
	ds_load_b128 v[34:37], v1 offset:1936
	scratch_load_b128 v[30:33], off, off offset:912
	s_mov_b32 s0, exec_lo
	s_wait_loadcnt_dscnt 0x601
	v_mul_f64_e32 v[38:39], v[28:29], v[4:5]
	v_mul_f64_e32 v[4:5], v[26:27], v[4:5]
	s_wait_loadcnt_dscnt 0x500
	v_mul_f64_e32 v[40:41], v[34:35], v[8:9]
	v_mul_f64_e32 v[8:9], v[36:37], v[8:9]
	s_delay_alu instid0(VALU_DEP_4) | instskip(NEXT) | instid1(VALU_DEP_4)
	v_fma_f64 v[38:39], v[26:27], v[2:3], -v[38:39]
	v_fma_f64 v[169:170], v[28:29], v[2:3], v[4:5]
	ds_load_b128 v[2:5], v1 offset:1952
	ds_load_b128 v[26:29], v1 offset:1968
	v_fma_f64 v[36:37], v[36:37], v[6:7], v[40:41]
	v_fma_f64 v[6:7], v[34:35], v[6:7], -v[8:9]
	s_wait_loadcnt_dscnt 0x401
	v_mul_f64_e32 v[171:172], v[2:3], v[12:13]
	v_mul_f64_e32 v[12:13], v[4:5], v[12:13]
	v_add_f64_e32 v[8:9], 0, v[38:39]
	v_add_f64_e32 v[34:35], 0, v[169:170]
	s_wait_loadcnt_dscnt 0x300
	v_mul_f64_e32 v[38:39], v[26:27], v[16:17]
	v_mul_f64_e32 v[16:17], v[28:29], v[16:17]
	v_fma_f64 v[40:41], v[4:5], v[10:11], v[171:172]
	v_fma_f64 v[10:11], v[2:3], v[10:11], -v[12:13]
	v_add_f64_e32 v[12:13], v[8:9], v[6:7]
	v_add_f64_e32 v[34:35], v[34:35], v[36:37]
	ds_load_b128 v[2:5], v1 offset:1984
	ds_load_b128 v[6:9], v1 offset:2000
	v_fma_f64 v[28:29], v[28:29], v[14:15], v[38:39]
	v_fma_f64 v[14:15], v[26:27], v[14:15], -v[16:17]
	s_wait_loadcnt_dscnt 0x201
	v_mul_f64_e32 v[36:37], v[2:3], v[20:21]
	v_mul_f64_e32 v[20:21], v[4:5], v[20:21]
	s_wait_loadcnt_dscnt 0x100
	v_mul_f64_e32 v[16:17], v[6:7], v[24:25]
	v_mul_f64_e32 v[24:25], v[8:9], v[24:25]
	v_add_f64_e32 v[10:11], v[12:13], v[10:11]
	v_add_f64_e32 v[12:13], v[34:35], v[40:41]
	v_fma_f64 v[4:5], v[4:5], v[18:19], v[36:37]
	v_fma_f64 v[1:2], v[2:3], v[18:19], -v[20:21]
	v_fma_f64 v[8:9], v[8:9], v[22:23], v[16:17]
	v_fma_f64 v[6:7], v[6:7], v[22:23], -v[24:25]
	v_add_f64_e32 v[10:11], v[10:11], v[14:15]
	v_add_f64_e32 v[12:13], v[12:13], v[28:29]
	s_delay_alu instid0(VALU_DEP_2) | instskip(NEXT) | instid1(VALU_DEP_2)
	v_add_f64_e32 v[1:2], v[10:11], v[1:2]
	v_add_f64_e32 v[3:4], v[12:13], v[4:5]
	s_delay_alu instid0(VALU_DEP_2) | instskip(NEXT) | instid1(VALU_DEP_2)
	v_add_f64_e32 v[1:2], v[1:2], v[6:7]
	v_add_f64_e32 v[3:4], v[3:4], v[8:9]
	s_wait_loadcnt 0x0
	s_delay_alu instid0(VALU_DEP_2) | instskip(NEXT) | instid1(VALU_DEP_2)
	v_add_f64_e64 v[1:2], v[30:31], -v[1:2]
	v_add_f64_e64 v[3:4], v[32:33], -v[3:4]
	scratch_store_b128 off, v[1:4], off offset:912
	v_cmpx_lt_u32_e32 55, v0
	s_cbranch_execz .LBB62_293
; %bb.292:
	scratch_load_b128 v[1:4], off, s11
	v_mov_b32_e32 v5, 0
	s_delay_alu instid0(VALU_DEP_1)
	v_dual_mov_b32 v6, v5 :: v_dual_mov_b32 v7, v5
	v_mov_b32_e32 v8, v5
	scratch_store_b128 off, v[5:8], off offset:896
	s_wait_loadcnt 0x0
	ds_store_b128 v168, v[1:4]
.LBB62_293:
	s_wait_alu 0xfffe
	s_or_b32 exec_lo, exec_lo, s0
	s_wait_storecnt_dscnt 0x0
	s_barrier_signal -1
	s_barrier_wait -1
	global_inv scope:SCOPE_SE
	s_clause 0x6
	scratch_load_b128 v[2:5], off, off offset:912
	scratch_load_b128 v[6:9], off, off offset:928
	;; [unrolled: 1-line block ×7, first 2 shown]
	v_mov_b32_e32 v1, 0
	scratch_load_b128 v[34:37], off, off offset:896
	s_mov_b32 s0, exec_lo
	ds_load_b128 v[30:33], v1 offset:1904
	ds_load_b128 v[38:41], v1 offset:1920
	s_wait_loadcnt_dscnt 0x701
	v_mul_f64_e32 v[169:170], v[32:33], v[4:5]
	v_mul_f64_e32 v[4:5], v[30:31], v[4:5]
	s_wait_loadcnt_dscnt 0x600
	v_mul_f64_e32 v[171:172], v[38:39], v[8:9]
	v_mul_f64_e32 v[8:9], v[40:41], v[8:9]
	s_delay_alu instid0(VALU_DEP_4) | instskip(NEXT) | instid1(VALU_DEP_4)
	v_fma_f64 v[169:170], v[30:31], v[2:3], -v[169:170]
	v_fma_f64 v[173:174], v[32:33], v[2:3], v[4:5]
	ds_load_b128 v[2:5], v1 offset:1936
	ds_load_b128 v[30:33], v1 offset:1952
	v_fma_f64 v[40:41], v[40:41], v[6:7], v[171:172]
	v_fma_f64 v[6:7], v[38:39], v[6:7], -v[8:9]
	s_wait_loadcnt_dscnt 0x501
	v_mul_f64_e32 v[175:176], v[2:3], v[12:13]
	v_mul_f64_e32 v[12:13], v[4:5], v[12:13]
	v_add_f64_e32 v[8:9], 0, v[169:170]
	v_add_f64_e32 v[38:39], 0, v[173:174]
	s_wait_loadcnt_dscnt 0x400
	v_mul_f64_e32 v[169:170], v[30:31], v[16:17]
	v_mul_f64_e32 v[16:17], v[32:33], v[16:17]
	v_fma_f64 v[171:172], v[4:5], v[10:11], v[175:176]
	v_fma_f64 v[10:11], v[2:3], v[10:11], -v[12:13]
	v_add_f64_e32 v[12:13], v[8:9], v[6:7]
	v_add_f64_e32 v[38:39], v[38:39], v[40:41]
	ds_load_b128 v[2:5], v1 offset:1968
	ds_load_b128 v[6:9], v1 offset:1984
	v_fma_f64 v[32:33], v[32:33], v[14:15], v[169:170]
	v_fma_f64 v[14:15], v[30:31], v[14:15], -v[16:17]
	s_wait_loadcnt_dscnt 0x301
	v_mul_f64_e32 v[40:41], v[2:3], v[20:21]
	v_mul_f64_e32 v[20:21], v[4:5], v[20:21]
	s_wait_loadcnt_dscnt 0x200
	v_mul_f64_e32 v[16:17], v[6:7], v[24:25]
	v_mul_f64_e32 v[24:25], v[8:9], v[24:25]
	v_add_f64_e32 v[10:11], v[12:13], v[10:11]
	v_add_f64_e32 v[12:13], v[38:39], v[171:172]
	v_fma_f64 v[30:31], v[4:5], v[18:19], v[40:41]
	v_fma_f64 v[18:19], v[2:3], v[18:19], -v[20:21]
	ds_load_b128 v[2:5], v1 offset:2000
	v_fma_f64 v[8:9], v[8:9], v[22:23], v[16:17]
	v_fma_f64 v[6:7], v[6:7], v[22:23], -v[24:25]
	v_add_f64_e32 v[10:11], v[10:11], v[14:15]
	v_add_f64_e32 v[12:13], v[12:13], v[32:33]
	s_wait_loadcnt_dscnt 0x100
	v_mul_f64_e32 v[14:15], v[2:3], v[28:29]
	v_mul_f64_e32 v[20:21], v[4:5], v[28:29]
	s_delay_alu instid0(VALU_DEP_4) | instskip(NEXT) | instid1(VALU_DEP_4)
	v_add_f64_e32 v[10:11], v[10:11], v[18:19]
	v_add_f64_e32 v[12:13], v[12:13], v[30:31]
	s_delay_alu instid0(VALU_DEP_4) | instskip(NEXT) | instid1(VALU_DEP_4)
	v_fma_f64 v[4:5], v[4:5], v[26:27], v[14:15]
	v_fma_f64 v[2:3], v[2:3], v[26:27], -v[20:21]
	s_delay_alu instid0(VALU_DEP_4) | instskip(NEXT) | instid1(VALU_DEP_4)
	v_add_f64_e32 v[6:7], v[10:11], v[6:7]
	v_add_f64_e32 v[8:9], v[12:13], v[8:9]
	s_delay_alu instid0(VALU_DEP_2) | instskip(NEXT) | instid1(VALU_DEP_2)
	v_add_f64_e32 v[2:3], v[6:7], v[2:3]
	v_add_f64_e32 v[4:5], v[8:9], v[4:5]
	s_wait_loadcnt 0x0
	s_delay_alu instid0(VALU_DEP_2) | instskip(NEXT) | instid1(VALU_DEP_2)
	v_add_f64_e64 v[2:3], v[34:35], -v[2:3]
	v_add_f64_e64 v[4:5], v[36:37], -v[4:5]
	scratch_store_b128 off, v[2:5], off offset:896
	v_cmpx_lt_u32_e32 54, v0
	s_cbranch_execz .LBB62_295
; %bb.294:
	scratch_load_b128 v[5:8], off, s14
	v_dual_mov_b32 v2, v1 :: v_dual_mov_b32 v3, v1
	v_mov_b32_e32 v4, v1
	scratch_store_b128 off, v[1:4], off offset:880
	s_wait_loadcnt 0x0
	ds_store_b128 v168, v[5:8]
.LBB62_295:
	s_wait_alu 0xfffe
	s_or_b32 exec_lo, exec_lo, s0
	s_wait_storecnt_dscnt 0x0
	s_barrier_signal -1
	s_barrier_wait -1
	global_inv scope:SCOPE_SE
	s_clause 0x7
	scratch_load_b128 v[2:5], off, off offset:896
	scratch_load_b128 v[6:9], off, off offset:912
	;; [unrolled: 1-line block ×8, first 2 shown]
	ds_load_b128 v[34:37], v1 offset:1888
	ds_load_b128 v[38:41], v1 offset:1904
	scratch_load_b128 v[169:172], off, off offset:880
	s_mov_b32 s0, exec_lo
	s_wait_loadcnt_dscnt 0x801
	v_mul_f64_e32 v[173:174], v[36:37], v[4:5]
	v_mul_f64_e32 v[4:5], v[34:35], v[4:5]
	s_wait_loadcnt_dscnt 0x700
	v_mul_f64_e32 v[175:176], v[38:39], v[8:9]
	v_mul_f64_e32 v[8:9], v[40:41], v[8:9]
	s_delay_alu instid0(VALU_DEP_4) | instskip(NEXT) | instid1(VALU_DEP_4)
	v_fma_f64 v[173:174], v[34:35], v[2:3], -v[173:174]
	v_fma_f64 v[177:178], v[36:37], v[2:3], v[4:5]
	ds_load_b128 v[2:5], v1 offset:1920
	ds_load_b128 v[34:37], v1 offset:1936
	v_fma_f64 v[40:41], v[40:41], v[6:7], v[175:176]
	v_fma_f64 v[6:7], v[38:39], v[6:7], -v[8:9]
	s_wait_loadcnt_dscnt 0x601
	v_mul_f64_e32 v[179:180], v[2:3], v[12:13]
	v_mul_f64_e32 v[12:13], v[4:5], v[12:13]
	v_add_f64_e32 v[8:9], 0, v[173:174]
	v_add_f64_e32 v[38:39], 0, v[177:178]
	s_wait_loadcnt_dscnt 0x500
	v_mul_f64_e32 v[173:174], v[34:35], v[16:17]
	v_mul_f64_e32 v[16:17], v[36:37], v[16:17]
	v_fma_f64 v[175:176], v[4:5], v[10:11], v[179:180]
	v_fma_f64 v[10:11], v[2:3], v[10:11], -v[12:13]
	v_add_f64_e32 v[12:13], v[8:9], v[6:7]
	v_add_f64_e32 v[38:39], v[38:39], v[40:41]
	ds_load_b128 v[2:5], v1 offset:1952
	ds_load_b128 v[6:9], v1 offset:1968
	v_fma_f64 v[36:37], v[36:37], v[14:15], v[173:174]
	v_fma_f64 v[14:15], v[34:35], v[14:15], -v[16:17]
	s_wait_loadcnt_dscnt 0x401
	v_mul_f64_e32 v[40:41], v[2:3], v[20:21]
	v_mul_f64_e32 v[20:21], v[4:5], v[20:21]
	s_wait_loadcnt_dscnt 0x300
	v_mul_f64_e32 v[16:17], v[6:7], v[24:25]
	v_mul_f64_e32 v[24:25], v[8:9], v[24:25]
	v_add_f64_e32 v[10:11], v[12:13], v[10:11]
	v_add_f64_e32 v[12:13], v[38:39], v[175:176]
	v_fma_f64 v[34:35], v[4:5], v[18:19], v[40:41]
	v_fma_f64 v[18:19], v[2:3], v[18:19], -v[20:21]
	v_fma_f64 v[8:9], v[8:9], v[22:23], v[16:17]
	v_fma_f64 v[6:7], v[6:7], v[22:23], -v[24:25]
	v_add_f64_e32 v[14:15], v[10:11], v[14:15]
	v_add_f64_e32 v[20:21], v[12:13], v[36:37]
	ds_load_b128 v[2:5], v1 offset:1984
	ds_load_b128 v[10:13], v1 offset:2000
	s_wait_loadcnt_dscnt 0x201
	v_mul_f64_e32 v[36:37], v[2:3], v[28:29]
	v_mul_f64_e32 v[28:29], v[4:5], v[28:29]
	v_add_f64_e32 v[14:15], v[14:15], v[18:19]
	v_add_f64_e32 v[16:17], v[20:21], v[34:35]
	s_wait_loadcnt_dscnt 0x100
	v_mul_f64_e32 v[18:19], v[10:11], v[32:33]
	v_mul_f64_e32 v[20:21], v[12:13], v[32:33]
	v_fma_f64 v[4:5], v[4:5], v[26:27], v[36:37]
	v_fma_f64 v[1:2], v[2:3], v[26:27], -v[28:29]
	v_add_f64_e32 v[6:7], v[14:15], v[6:7]
	v_add_f64_e32 v[8:9], v[16:17], v[8:9]
	v_fma_f64 v[12:13], v[12:13], v[30:31], v[18:19]
	v_fma_f64 v[10:11], v[10:11], v[30:31], -v[20:21]
	s_delay_alu instid0(VALU_DEP_4) | instskip(NEXT) | instid1(VALU_DEP_4)
	v_add_f64_e32 v[1:2], v[6:7], v[1:2]
	v_add_f64_e32 v[3:4], v[8:9], v[4:5]
	s_delay_alu instid0(VALU_DEP_2) | instskip(NEXT) | instid1(VALU_DEP_2)
	v_add_f64_e32 v[1:2], v[1:2], v[10:11]
	v_add_f64_e32 v[3:4], v[3:4], v[12:13]
	s_wait_loadcnt 0x0
	s_delay_alu instid0(VALU_DEP_2) | instskip(NEXT) | instid1(VALU_DEP_2)
	v_add_f64_e64 v[1:2], v[169:170], -v[1:2]
	v_add_f64_e64 v[3:4], v[171:172], -v[3:4]
	scratch_store_b128 off, v[1:4], off offset:880
	v_cmpx_lt_u32_e32 53, v0
	s_cbranch_execz .LBB62_297
; %bb.296:
	scratch_load_b128 v[1:4], off, s21
	v_mov_b32_e32 v5, 0
	s_delay_alu instid0(VALU_DEP_1)
	v_dual_mov_b32 v6, v5 :: v_dual_mov_b32 v7, v5
	v_mov_b32_e32 v8, v5
	scratch_store_b128 off, v[5:8], off offset:864
	s_wait_loadcnt 0x0
	ds_store_b128 v168, v[1:4]
.LBB62_297:
	s_wait_alu 0xfffe
	s_or_b32 exec_lo, exec_lo, s0
	s_wait_storecnt_dscnt 0x0
	s_barrier_signal -1
	s_barrier_wait -1
	global_inv scope:SCOPE_SE
	s_clause 0x7
	scratch_load_b128 v[2:5], off, off offset:880
	scratch_load_b128 v[6:9], off, off offset:896
	;; [unrolled: 1-line block ×8, first 2 shown]
	v_mov_b32_e32 v1, 0
	s_mov_b32 s0, exec_lo
	ds_load_b128 v[34:37], v1 offset:1872
	s_clause 0x1
	scratch_load_b128 v[38:41], off, off offset:1008
	scratch_load_b128 v[169:172], off, off offset:864
	ds_load_b128 v[173:176], v1 offset:1888
	s_wait_loadcnt_dscnt 0x901
	v_mul_f64_e32 v[177:178], v[36:37], v[4:5]
	v_mul_f64_e32 v[4:5], v[34:35], v[4:5]
	s_wait_loadcnt_dscnt 0x800
	v_mul_f64_e32 v[179:180], v[173:174], v[8:9]
	v_mul_f64_e32 v[8:9], v[175:176], v[8:9]
	s_delay_alu instid0(VALU_DEP_4) | instskip(NEXT) | instid1(VALU_DEP_4)
	v_fma_f64 v[177:178], v[34:35], v[2:3], -v[177:178]
	v_fma_f64 v[181:182], v[36:37], v[2:3], v[4:5]
	ds_load_b128 v[2:5], v1 offset:1904
	ds_load_b128 v[34:37], v1 offset:1920
	v_fma_f64 v[175:176], v[175:176], v[6:7], v[179:180]
	v_fma_f64 v[6:7], v[173:174], v[6:7], -v[8:9]
	s_wait_loadcnt_dscnt 0x701
	v_mul_f64_e32 v[183:184], v[2:3], v[12:13]
	v_mul_f64_e32 v[12:13], v[4:5], v[12:13]
	v_add_f64_e32 v[8:9], 0, v[177:178]
	v_add_f64_e32 v[173:174], 0, v[181:182]
	s_wait_loadcnt_dscnt 0x600
	v_mul_f64_e32 v[177:178], v[34:35], v[16:17]
	v_mul_f64_e32 v[16:17], v[36:37], v[16:17]
	v_fma_f64 v[179:180], v[4:5], v[10:11], v[183:184]
	v_fma_f64 v[10:11], v[2:3], v[10:11], -v[12:13]
	v_add_f64_e32 v[12:13], v[8:9], v[6:7]
	v_add_f64_e32 v[173:174], v[173:174], v[175:176]
	ds_load_b128 v[2:5], v1 offset:1936
	ds_load_b128 v[6:9], v1 offset:1952
	v_fma_f64 v[36:37], v[36:37], v[14:15], v[177:178]
	v_fma_f64 v[14:15], v[34:35], v[14:15], -v[16:17]
	s_wait_loadcnt_dscnt 0x501
	v_mul_f64_e32 v[175:176], v[2:3], v[20:21]
	v_mul_f64_e32 v[20:21], v[4:5], v[20:21]
	s_wait_loadcnt_dscnt 0x400
	v_mul_f64_e32 v[16:17], v[6:7], v[24:25]
	v_mul_f64_e32 v[24:25], v[8:9], v[24:25]
	v_add_f64_e32 v[10:11], v[12:13], v[10:11]
	v_add_f64_e32 v[12:13], v[173:174], v[179:180]
	v_fma_f64 v[34:35], v[4:5], v[18:19], v[175:176]
	v_fma_f64 v[18:19], v[2:3], v[18:19], -v[20:21]
	v_fma_f64 v[8:9], v[8:9], v[22:23], v[16:17]
	v_fma_f64 v[6:7], v[6:7], v[22:23], -v[24:25]
	v_add_f64_e32 v[14:15], v[10:11], v[14:15]
	v_add_f64_e32 v[20:21], v[12:13], v[36:37]
	ds_load_b128 v[2:5], v1 offset:1968
	ds_load_b128 v[10:13], v1 offset:1984
	s_wait_loadcnt_dscnt 0x301
	v_mul_f64_e32 v[36:37], v[2:3], v[28:29]
	v_mul_f64_e32 v[28:29], v[4:5], v[28:29]
	v_add_f64_e32 v[14:15], v[14:15], v[18:19]
	v_add_f64_e32 v[16:17], v[20:21], v[34:35]
	s_wait_loadcnt_dscnt 0x200
	v_mul_f64_e32 v[18:19], v[10:11], v[32:33]
	v_mul_f64_e32 v[20:21], v[12:13], v[32:33]
	v_fma_f64 v[22:23], v[4:5], v[26:27], v[36:37]
	v_fma_f64 v[24:25], v[2:3], v[26:27], -v[28:29]
	ds_load_b128 v[2:5], v1 offset:2000
	v_add_f64_e32 v[6:7], v[14:15], v[6:7]
	v_add_f64_e32 v[8:9], v[16:17], v[8:9]
	v_fma_f64 v[12:13], v[12:13], v[30:31], v[18:19]
	v_fma_f64 v[10:11], v[10:11], v[30:31], -v[20:21]
	s_wait_loadcnt_dscnt 0x100
	v_mul_f64_e32 v[14:15], v[2:3], v[40:41]
	v_mul_f64_e32 v[16:17], v[4:5], v[40:41]
	v_add_f64_e32 v[6:7], v[6:7], v[24:25]
	v_add_f64_e32 v[8:9], v[8:9], v[22:23]
	s_delay_alu instid0(VALU_DEP_4) | instskip(NEXT) | instid1(VALU_DEP_4)
	v_fma_f64 v[4:5], v[4:5], v[38:39], v[14:15]
	v_fma_f64 v[2:3], v[2:3], v[38:39], -v[16:17]
	s_delay_alu instid0(VALU_DEP_4) | instskip(NEXT) | instid1(VALU_DEP_4)
	v_add_f64_e32 v[6:7], v[6:7], v[10:11]
	v_add_f64_e32 v[8:9], v[8:9], v[12:13]
	s_delay_alu instid0(VALU_DEP_2) | instskip(NEXT) | instid1(VALU_DEP_2)
	v_add_f64_e32 v[2:3], v[6:7], v[2:3]
	v_add_f64_e32 v[4:5], v[8:9], v[4:5]
	s_wait_loadcnt 0x0
	s_delay_alu instid0(VALU_DEP_2) | instskip(NEXT) | instid1(VALU_DEP_2)
	v_add_f64_e64 v[2:3], v[169:170], -v[2:3]
	v_add_f64_e64 v[4:5], v[171:172], -v[4:5]
	scratch_store_b128 off, v[2:5], off offset:864
	v_cmpx_lt_u32_e32 52, v0
	s_cbranch_execz .LBB62_299
; %bb.298:
	scratch_load_b128 v[5:8], off, s15
	v_dual_mov_b32 v2, v1 :: v_dual_mov_b32 v3, v1
	v_mov_b32_e32 v4, v1
	scratch_store_b128 off, v[1:4], off offset:848
	s_wait_loadcnt 0x0
	ds_store_b128 v168, v[5:8]
.LBB62_299:
	s_wait_alu 0xfffe
	s_or_b32 exec_lo, exec_lo, s0
	s_wait_storecnt_dscnt 0x0
	s_barrier_signal -1
	s_barrier_wait -1
	global_inv scope:SCOPE_SE
	s_clause 0x8
	scratch_load_b128 v[2:5], off, off offset:864
	scratch_load_b128 v[6:9], off, off offset:880
	;; [unrolled: 1-line block ×9, first 2 shown]
	ds_load_b128 v[38:41], v1 offset:1856
	ds_load_b128 v[169:172], v1 offset:1872
	s_clause 0x1
	scratch_load_b128 v[173:176], off, off offset:848
	scratch_load_b128 v[177:180], off, off offset:1008
	s_mov_b32 s0, exec_lo
	s_wait_loadcnt_dscnt 0xa01
	v_mul_f64_e32 v[181:182], v[40:41], v[4:5]
	v_mul_f64_e32 v[4:5], v[38:39], v[4:5]
	s_wait_loadcnt_dscnt 0x900
	v_mul_f64_e32 v[183:184], v[169:170], v[8:9]
	v_mul_f64_e32 v[8:9], v[171:172], v[8:9]
	s_delay_alu instid0(VALU_DEP_4) | instskip(NEXT) | instid1(VALU_DEP_4)
	v_fma_f64 v[181:182], v[38:39], v[2:3], -v[181:182]
	v_fma_f64 v[185:186], v[40:41], v[2:3], v[4:5]
	ds_load_b128 v[2:5], v1 offset:1888
	ds_load_b128 v[38:41], v1 offset:1904
	v_fma_f64 v[171:172], v[171:172], v[6:7], v[183:184]
	v_fma_f64 v[6:7], v[169:170], v[6:7], -v[8:9]
	s_wait_loadcnt_dscnt 0x801
	v_mul_f64_e32 v[187:188], v[2:3], v[12:13]
	v_mul_f64_e32 v[12:13], v[4:5], v[12:13]
	v_add_f64_e32 v[8:9], 0, v[181:182]
	v_add_f64_e32 v[169:170], 0, v[185:186]
	s_wait_loadcnt_dscnt 0x700
	v_mul_f64_e32 v[181:182], v[38:39], v[16:17]
	v_mul_f64_e32 v[16:17], v[40:41], v[16:17]
	v_fma_f64 v[183:184], v[4:5], v[10:11], v[187:188]
	v_fma_f64 v[10:11], v[2:3], v[10:11], -v[12:13]
	v_add_f64_e32 v[12:13], v[8:9], v[6:7]
	v_add_f64_e32 v[169:170], v[169:170], v[171:172]
	ds_load_b128 v[2:5], v1 offset:1920
	ds_load_b128 v[6:9], v1 offset:1936
	v_fma_f64 v[40:41], v[40:41], v[14:15], v[181:182]
	v_fma_f64 v[14:15], v[38:39], v[14:15], -v[16:17]
	s_wait_loadcnt_dscnt 0x601
	v_mul_f64_e32 v[171:172], v[2:3], v[20:21]
	v_mul_f64_e32 v[20:21], v[4:5], v[20:21]
	s_wait_loadcnt_dscnt 0x500
	v_mul_f64_e32 v[16:17], v[6:7], v[24:25]
	v_mul_f64_e32 v[24:25], v[8:9], v[24:25]
	v_add_f64_e32 v[10:11], v[12:13], v[10:11]
	v_add_f64_e32 v[12:13], v[169:170], v[183:184]
	v_fma_f64 v[38:39], v[4:5], v[18:19], v[171:172]
	v_fma_f64 v[18:19], v[2:3], v[18:19], -v[20:21]
	v_fma_f64 v[8:9], v[8:9], v[22:23], v[16:17]
	v_fma_f64 v[6:7], v[6:7], v[22:23], -v[24:25]
	v_add_f64_e32 v[14:15], v[10:11], v[14:15]
	v_add_f64_e32 v[20:21], v[12:13], v[40:41]
	ds_load_b128 v[2:5], v1 offset:1952
	ds_load_b128 v[10:13], v1 offset:1968
	s_wait_loadcnt_dscnt 0x401
	v_mul_f64_e32 v[40:41], v[2:3], v[28:29]
	v_mul_f64_e32 v[28:29], v[4:5], v[28:29]
	v_add_f64_e32 v[14:15], v[14:15], v[18:19]
	v_add_f64_e32 v[16:17], v[20:21], v[38:39]
	s_wait_loadcnt_dscnt 0x300
	v_mul_f64_e32 v[18:19], v[10:11], v[32:33]
	v_mul_f64_e32 v[20:21], v[12:13], v[32:33]
	v_fma_f64 v[22:23], v[4:5], v[26:27], v[40:41]
	v_fma_f64 v[24:25], v[2:3], v[26:27], -v[28:29]
	v_add_f64_e32 v[14:15], v[14:15], v[6:7]
	v_add_f64_e32 v[16:17], v[16:17], v[8:9]
	ds_load_b128 v[2:5], v1 offset:1984
	ds_load_b128 v[6:9], v1 offset:2000
	v_fma_f64 v[12:13], v[12:13], v[30:31], v[18:19]
	v_fma_f64 v[10:11], v[10:11], v[30:31], -v[20:21]
	s_wait_loadcnt_dscnt 0x201
	v_mul_f64_e32 v[26:27], v[2:3], v[36:37]
	v_mul_f64_e32 v[28:29], v[4:5], v[36:37]
	s_wait_loadcnt_dscnt 0x0
	v_mul_f64_e32 v[18:19], v[6:7], v[179:180]
	v_mul_f64_e32 v[20:21], v[8:9], v[179:180]
	v_add_f64_e32 v[14:15], v[14:15], v[24:25]
	v_add_f64_e32 v[16:17], v[16:17], v[22:23]
	v_fma_f64 v[4:5], v[4:5], v[34:35], v[26:27]
	v_fma_f64 v[1:2], v[2:3], v[34:35], -v[28:29]
	v_fma_f64 v[8:9], v[8:9], v[177:178], v[18:19]
	v_fma_f64 v[6:7], v[6:7], v[177:178], -v[20:21]
	v_add_f64_e32 v[10:11], v[14:15], v[10:11]
	v_add_f64_e32 v[12:13], v[16:17], v[12:13]
	s_delay_alu instid0(VALU_DEP_2) | instskip(NEXT) | instid1(VALU_DEP_2)
	v_add_f64_e32 v[1:2], v[10:11], v[1:2]
	v_add_f64_e32 v[3:4], v[12:13], v[4:5]
	s_delay_alu instid0(VALU_DEP_2) | instskip(NEXT) | instid1(VALU_DEP_2)
	;; [unrolled: 3-line block ×3, first 2 shown]
	v_add_f64_e64 v[1:2], v[173:174], -v[1:2]
	v_add_f64_e64 v[3:4], v[175:176], -v[3:4]
	scratch_store_b128 off, v[1:4], off offset:848
	v_cmpx_lt_u32_e32 51, v0
	s_cbranch_execz .LBB62_301
; %bb.300:
	scratch_load_b128 v[1:4], off, s22
	v_mov_b32_e32 v5, 0
	s_delay_alu instid0(VALU_DEP_1)
	v_dual_mov_b32 v6, v5 :: v_dual_mov_b32 v7, v5
	v_mov_b32_e32 v8, v5
	scratch_store_b128 off, v[5:8], off offset:832
	s_wait_loadcnt 0x0
	ds_store_b128 v168, v[1:4]
.LBB62_301:
	s_wait_alu 0xfffe
	s_or_b32 exec_lo, exec_lo, s0
	s_wait_storecnt_dscnt 0x0
	s_barrier_signal -1
	s_barrier_wait -1
	global_inv scope:SCOPE_SE
	s_clause 0x7
	scratch_load_b128 v[2:5], off, off offset:848
	scratch_load_b128 v[6:9], off, off offset:864
	;; [unrolled: 1-line block ×8, first 2 shown]
	v_mov_b32_e32 v1, 0
	s_clause 0x1
	scratch_load_b128 v[38:41], off, off offset:976
	scratch_load_b128 v[173:176], off, off offset:992
	s_mov_b32 s0, exec_lo
	ds_load_b128 v[34:37], v1 offset:1840
	ds_load_b128 v[169:172], v1 offset:1856
	s_wait_loadcnt_dscnt 0x901
	v_mul_f64_e32 v[177:178], v[36:37], v[4:5]
	v_mul_f64_e32 v[4:5], v[34:35], v[4:5]
	s_wait_loadcnt_dscnt 0x800
	v_mul_f64_e32 v[179:180], v[169:170], v[8:9]
	v_mul_f64_e32 v[8:9], v[171:172], v[8:9]
	s_delay_alu instid0(VALU_DEP_4) | instskip(NEXT) | instid1(VALU_DEP_4)
	v_fma_f64 v[177:178], v[34:35], v[2:3], -v[177:178]
	v_fma_f64 v[181:182], v[36:37], v[2:3], v[4:5]
	ds_load_b128 v[2:5], v1 offset:1872
	scratch_load_b128 v[34:37], off, off offset:1008
	v_fma_f64 v[171:172], v[171:172], v[6:7], v[179:180]
	v_fma_f64 v[169:170], v[169:170], v[6:7], -v[8:9]
	ds_load_b128 v[6:9], v1 offset:1888
	s_wait_loadcnt_dscnt 0x801
	v_mul_f64_e32 v[183:184], v[2:3], v[12:13]
	v_mul_f64_e32 v[12:13], v[4:5], v[12:13]
	v_add_f64_e32 v[177:178], 0, v[177:178]
	v_add_f64_e32 v[179:180], 0, v[181:182]
	s_wait_loadcnt_dscnt 0x700
	v_mul_f64_e32 v[181:182], v[6:7], v[16:17]
	v_mul_f64_e32 v[16:17], v[8:9], v[16:17]
	v_fma_f64 v[183:184], v[4:5], v[10:11], v[183:184]
	v_fma_f64 v[10:11], v[2:3], v[10:11], -v[12:13]
	ds_load_b128 v[2:5], v1 offset:1904
	v_add_f64_e32 v[12:13], v[177:178], v[169:170]
	v_add_f64_e32 v[169:170], v[179:180], v[171:172]
	v_fma_f64 v[177:178], v[8:9], v[14:15], v[181:182]
	v_fma_f64 v[14:15], v[6:7], v[14:15], -v[16:17]
	ds_load_b128 v[6:9], v1 offset:1920
	s_wait_loadcnt_dscnt 0x601
	v_mul_f64_e32 v[171:172], v[2:3], v[20:21]
	v_mul_f64_e32 v[20:21], v[4:5], v[20:21]
	s_wait_loadcnt_dscnt 0x500
	v_mul_f64_e32 v[179:180], v[6:7], v[24:25]
	v_mul_f64_e32 v[24:25], v[8:9], v[24:25]
	v_add_f64_e32 v[16:17], v[12:13], v[10:11]
	v_add_f64_e32 v[169:170], v[169:170], v[183:184]
	scratch_load_b128 v[10:13], off, off offset:832
	v_fma_f64 v[171:172], v[4:5], v[18:19], v[171:172]
	v_fma_f64 v[18:19], v[2:3], v[18:19], -v[20:21]
	ds_load_b128 v[2:5], v1 offset:1936
	v_add_f64_e32 v[14:15], v[16:17], v[14:15]
	v_add_f64_e32 v[16:17], v[169:170], v[177:178]
	v_fma_f64 v[169:170], v[8:9], v[22:23], v[179:180]
	v_fma_f64 v[22:23], v[6:7], v[22:23], -v[24:25]
	ds_load_b128 v[6:9], v1 offset:1952
	s_wait_loadcnt_dscnt 0x501
	v_mul_f64_e32 v[20:21], v[2:3], v[28:29]
	v_mul_f64_e32 v[28:29], v[4:5], v[28:29]
	s_wait_loadcnt_dscnt 0x400
	v_mul_f64_e32 v[24:25], v[8:9], v[32:33]
	v_add_f64_e32 v[14:15], v[14:15], v[18:19]
	v_add_f64_e32 v[16:17], v[16:17], v[171:172]
	v_mul_f64_e32 v[18:19], v[6:7], v[32:33]
	v_fma_f64 v[20:21], v[4:5], v[26:27], v[20:21]
	v_fma_f64 v[26:27], v[2:3], v[26:27], -v[28:29]
	ds_load_b128 v[2:5], v1 offset:1968
	v_fma_f64 v[24:25], v[6:7], v[30:31], -v[24:25]
	v_add_f64_e32 v[14:15], v[14:15], v[22:23]
	v_add_f64_e32 v[16:17], v[16:17], v[169:170]
	v_fma_f64 v[18:19], v[8:9], v[30:31], v[18:19]
	ds_load_b128 v[6:9], v1 offset:1984
	s_wait_loadcnt_dscnt 0x301
	v_mul_f64_e32 v[22:23], v[2:3], v[40:41]
	v_mul_f64_e32 v[28:29], v[4:5], v[40:41]
	v_add_f64_e32 v[14:15], v[14:15], v[26:27]
	v_add_f64_e32 v[16:17], v[16:17], v[20:21]
	s_wait_loadcnt_dscnt 0x200
	v_mul_f64_e32 v[20:21], v[6:7], v[175:176]
	v_mul_f64_e32 v[26:27], v[8:9], v[175:176]
	v_fma_f64 v[22:23], v[4:5], v[38:39], v[22:23]
	v_fma_f64 v[28:29], v[2:3], v[38:39], -v[28:29]
	ds_load_b128 v[2:5], v1 offset:2000
	v_add_f64_e32 v[14:15], v[14:15], v[24:25]
	v_add_f64_e32 v[16:17], v[16:17], v[18:19]
	v_fma_f64 v[8:9], v[8:9], v[173:174], v[20:21]
	v_fma_f64 v[6:7], v[6:7], v[173:174], -v[26:27]
	s_wait_loadcnt_dscnt 0x100
	v_mul_f64_e32 v[18:19], v[2:3], v[36:37]
	v_mul_f64_e32 v[24:25], v[4:5], v[36:37]
	v_add_f64_e32 v[14:15], v[14:15], v[28:29]
	v_add_f64_e32 v[16:17], v[16:17], v[22:23]
	s_delay_alu instid0(VALU_DEP_4) | instskip(NEXT) | instid1(VALU_DEP_4)
	v_fma_f64 v[4:5], v[4:5], v[34:35], v[18:19]
	v_fma_f64 v[2:3], v[2:3], v[34:35], -v[24:25]
	s_delay_alu instid0(VALU_DEP_4) | instskip(NEXT) | instid1(VALU_DEP_4)
	v_add_f64_e32 v[6:7], v[14:15], v[6:7]
	v_add_f64_e32 v[8:9], v[16:17], v[8:9]
	s_delay_alu instid0(VALU_DEP_2) | instskip(NEXT) | instid1(VALU_DEP_2)
	v_add_f64_e32 v[2:3], v[6:7], v[2:3]
	v_add_f64_e32 v[4:5], v[8:9], v[4:5]
	s_wait_loadcnt 0x0
	s_delay_alu instid0(VALU_DEP_2) | instskip(NEXT) | instid1(VALU_DEP_2)
	v_add_f64_e64 v[2:3], v[10:11], -v[2:3]
	v_add_f64_e64 v[4:5], v[12:13], -v[4:5]
	scratch_store_b128 off, v[2:5], off offset:832
	v_cmpx_lt_u32_e32 50, v0
	s_cbranch_execz .LBB62_303
; %bb.302:
	scratch_load_b128 v[5:8], off, s24
	v_dual_mov_b32 v2, v1 :: v_dual_mov_b32 v3, v1
	v_mov_b32_e32 v4, v1
	scratch_store_b128 off, v[1:4], off offset:816
	s_wait_loadcnt 0x0
	ds_store_b128 v168, v[5:8]
.LBB62_303:
	s_wait_alu 0xfffe
	s_or_b32 exec_lo, exec_lo, s0
	s_wait_storecnt_dscnt 0x0
	s_barrier_signal -1
	s_barrier_wait -1
	global_inv scope:SCOPE_SE
	s_clause 0x7
	scratch_load_b128 v[2:5], off, off offset:832
	scratch_load_b128 v[6:9], off, off offset:848
	;; [unrolled: 1-line block ×8, first 2 shown]
	ds_load_b128 v[34:37], v1 offset:1824
	ds_load_b128 v[169:172], v1 offset:1840
	s_clause 0x1
	scratch_load_b128 v[38:41], off, off offset:960
	scratch_load_b128 v[173:176], off, off offset:976
	s_mov_b32 s0, exec_lo
	s_wait_loadcnt_dscnt 0x901
	v_mul_f64_e32 v[177:178], v[36:37], v[4:5]
	v_mul_f64_e32 v[4:5], v[34:35], v[4:5]
	s_wait_loadcnt_dscnt 0x800
	v_mul_f64_e32 v[179:180], v[169:170], v[8:9]
	v_mul_f64_e32 v[8:9], v[171:172], v[8:9]
	s_delay_alu instid0(VALU_DEP_4) | instskip(NEXT) | instid1(VALU_DEP_4)
	v_fma_f64 v[177:178], v[34:35], v[2:3], -v[177:178]
	v_fma_f64 v[181:182], v[36:37], v[2:3], v[4:5]
	ds_load_b128 v[2:5], v1 offset:1856
	scratch_load_b128 v[34:37], off, off offset:992
	v_fma_f64 v[179:180], v[171:172], v[6:7], v[179:180]
	v_fma_f64 v[185:186], v[169:170], v[6:7], -v[8:9]
	ds_load_b128 v[6:9], v1 offset:1872
	scratch_load_b128 v[169:172], off, off offset:1008
	s_wait_loadcnt_dscnt 0x901
	v_mul_f64_e32 v[183:184], v[2:3], v[12:13]
	v_mul_f64_e32 v[12:13], v[4:5], v[12:13]
	s_wait_loadcnt_dscnt 0x800
	v_mul_f64_e32 v[187:188], v[6:7], v[16:17]
	v_mul_f64_e32 v[16:17], v[8:9], v[16:17]
	v_add_f64_e32 v[177:178], 0, v[177:178]
	v_add_f64_e32 v[181:182], 0, v[181:182]
	v_fma_f64 v[183:184], v[4:5], v[10:11], v[183:184]
	v_fma_f64 v[10:11], v[2:3], v[10:11], -v[12:13]
	ds_load_b128 v[2:5], v1 offset:1888
	v_add_f64_e32 v[12:13], v[177:178], v[185:186]
	v_add_f64_e32 v[177:178], v[181:182], v[179:180]
	v_fma_f64 v[181:182], v[8:9], v[14:15], v[187:188]
	v_fma_f64 v[14:15], v[6:7], v[14:15], -v[16:17]
	ds_load_b128 v[6:9], v1 offset:1904
	s_wait_loadcnt_dscnt 0x701
	v_mul_f64_e32 v[179:180], v[2:3], v[20:21]
	v_mul_f64_e32 v[20:21], v[4:5], v[20:21]
	s_wait_loadcnt_dscnt 0x600
	v_mul_f64_e32 v[16:17], v[6:7], v[24:25]
	v_mul_f64_e32 v[24:25], v[8:9], v[24:25]
	v_add_f64_e32 v[10:11], v[12:13], v[10:11]
	v_add_f64_e32 v[12:13], v[177:178], v[183:184]
	v_fma_f64 v[177:178], v[4:5], v[18:19], v[179:180]
	v_fma_f64 v[18:19], v[2:3], v[18:19], -v[20:21]
	ds_load_b128 v[2:5], v1 offset:1920
	v_fma_f64 v[16:17], v[8:9], v[22:23], v[16:17]
	v_fma_f64 v[22:23], v[6:7], v[22:23], -v[24:25]
	ds_load_b128 v[6:9], v1 offset:1936
	s_wait_loadcnt_dscnt 0x501
	v_mul_f64_e32 v[179:180], v[2:3], v[28:29]
	v_mul_f64_e32 v[28:29], v[4:5], v[28:29]
	v_add_f64_e32 v[14:15], v[10:11], v[14:15]
	v_add_f64_e32 v[20:21], v[12:13], v[181:182]
	scratch_load_b128 v[10:13], off, off offset:816
	s_wait_loadcnt_dscnt 0x500
	v_mul_f64_e32 v[24:25], v[8:9], v[32:33]
	v_add_f64_e32 v[14:15], v[14:15], v[18:19]
	v_add_f64_e32 v[18:19], v[20:21], v[177:178]
	v_mul_f64_e32 v[20:21], v[6:7], v[32:33]
	v_fma_f64 v[32:33], v[4:5], v[26:27], v[179:180]
	v_fma_f64 v[26:27], v[2:3], v[26:27], -v[28:29]
	ds_load_b128 v[2:5], v1 offset:1952
	v_fma_f64 v[24:25], v[6:7], v[30:31], -v[24:25]
	v_add_f64_e32 v[14:15], v[14:15], v[22:23]
	v_add_f64_e32 v[16:17], v[18:19], v[16:17]
	v_fma_f64 v[20:21], v[8:9], v[30:31], v[20:21]
	ds_load_b128 v[6:9], v1 offset:1968
	s_wait_loadcnt_dscnt 0x401
	v_mul_f64_e32 v[18:19], v[2:3], v[40:41]
	v_mul_f64_e32 v[22:23], v[4:5], v[40:41]
	s_wait_loadcnt_dscnt 0x300
	v_mul_f64_e32 v[28:29], v[8:9], v[175:176]
	v_add_f64_e32 v[14:15], v[14:15], v[26:27]
	v_add_f64_e32 v[16:17], v[16:17], v[32:33]
	v_mul_f64_e32 v[26:27], v[6:7], v[175:176]
	v_fma_f64 v[18:19], v[4:5], v[38:39], v[18:19]
	v_fma_f64 v[22:23], v[2:3], v[38:39], -v[22:23]
	ds_load_b128 v[2:5], v1 offset:1984
	v_fma_f64 v[28:29], v[6:7], v[173:174], -v[28:29]
	v_add_f64_e32 v[14:15], v[14:15], v[24:25]
	v_add_f64_e32 v[16:17], v[16:17], v[20:21]
	v_fma_f64 v[26:27], v[8:9], v[173:174], v[26:27]
	ds_load_b128 v[6:9], v1 offset:2000
	s_wait_loadcnt_dscnt 0x201
	v_mul_f64_e32 v[20:21], v[2:3], v[36:37]
	v_mul_f64_e32 v[24:25], v[4:5], v[36:37]
	v_add_f64_e32 v[14:15], v[14:15], v[22:23]
	v_add_f64_e32 v[16:17], v[16:17], v[18:19]
	s_wait_loadcnt_dscnt 0x100
	v_mul_f64_e32 v[18:19], v[6:7], v[171:172]
	v_mul_f64_e32 v[22:23], v[8:9], v[171:172]
	v_fma_f64 v[4:5], v[4:5], v[34:35], v[20:21]
	v_fma_f64 v[1:2], v[2:3], v[34:35], -v[24:25]
	v_add_f64_e32 v[14:15], v[14:15], v[28:29]
	v_add_f64_e32 v[16:17], v[16:17], v[26:27]
	v_fma_f64 v[8:9], v[8:9], v[169:170], v[18:19]
	v_fma_f64 v[6:7], v[6:7], v[169:170], -v[22:23]
	s_delay_alu instid0(VALU_DEP_4) | instskip(NEXT) | instid1(VALU_DEP_4)
	v_add_f64_e32 v[1:2], v[14:15], v[1:2]
	v_add_f64_e32 v[3:4], v[16:17], v[4:5]
	s_delay_alu instid0(VALU_DEP_2) | instskip(NEXT) | instid1(VALU_DEP_2)
	v_add_f64_e32 v[1:2], v[1:2], v[6:7]
	v_add_f64_e32 v[3:4], v[3:4], v[8:9]
	s_wait_loadcnt 0x0
	s_delay_alu instid0(VALU_DEP_2) | instskip(NEXT) | instid1(VALU_DEP_2)
	v_add_f64_e64 v[1:2], v[10:11], -v[1:2]
	v_add_f64_e64 v[3:4], v[12:13], -v[3:4]
	scratch_store_b128 off, v[1:4], off offset:816
	v_cmpx_lt_u32_e32 49, v0
	s_cbranch_execz .LBB62_305
; %bb.304:
	scratch_load_b128 v[1:4], off, s23
	v_mov_b32_e32 v5, 0
	s_delay_alu instid0(VALU_DEP_1)
	v_dual_mov_b32 v6, v5 :: v_dual_mov_b32 v7, v5
	v_mov_b32_e32 v8, v5
	scratch_store_b128 off, v[5:8], off offset:800
	s_wait_loadcnt 0x0
	ds_store_b128 v168, v[1:4]
.LBB62_305:
	s_wait_alu 0xfffe
	s_or_b32 exec_lo, exec_lo, s0
	s_wait_storecnt_dscnt 0x0
	s_barrier_signal -1
	s_barrier_wait -1
	global_inv scope:SCOPE_SE
	s_clause 0x7
	scratch_load_b128 v[2:5], off, off offset:816
	scratch_load_b128 v[6:9], off, off offset:832
	;; [unrolled: 1-line block ×8, first 2 shown]
	v_mov_b32_e32 v1, 0
	s_clause 0x1
	scratch_load_b128 v[38:41], off, off offset:944
	scratch_load_b128 v[173:176], off, off offset:960
	s_mov_b32 s0, exec_lo
	ds_load_b128 v[34:37], v1 offset:1808
	ds_load_b128 v[169:172], v1 offset:1824
	s_wait_loadcnt_dscnt 0x901
	v_mul_f64_e32 v[177:178], v[36:37], v[4:5]
	v_mul_f64_e32 v[4:5], v[34:35], v[4:5]
	s_wait_loadcnt_dscnt 0x800
	v_mul_f64_e32 v[179:180], v[169:170], v[8:9]
	v_mul_f64_e32 v[8:9], v[171:172], v[8:9]
	s_delay_alu instid0(VALU_DEP_4) | instskip(NEXT) | instid1(VALU_DEP_4)
	v_fma_f64 v[177:178], v[34:35], v[2:3], -v[177:178]
	v_fma_f64 v[181:182], v[36:37], v[2:3], v[4:5]
	ds_load_b128 v[2:5], v1 offset:1840
	scratch_load_b128 v[34:37], off, off offset:976
	v_fma_f64 v[179:180], v[171:172], v[6:7], v[179:180]
	v_fma_f64 v[185:186], v[169:170], v[6:7], -v[8:9]
	ds_load_b128 v[6:9], v1 offset:1856
	scratch_load_b128 v[169:172], off, off offset:992
	s_wait_loadcnt_dscnt 0x901
	v_mul_f64_e32 v[183:184], v[2:3], v[12:13]
	v_mul_f64_e32 v[12:13], v[4:5], v[12:13]
	s_wait_loadcnt_dscnt 0x800
	v_mul_f64_e32 v[187:188], v[6:7], v[16:17]
	v_mul_f64_e32 v[16:17], v[8:9], v[16:17]
	v_add_f64_e32 v[177:178], 0, v[177:178]
	v_add_f64_e32 v[181:182], 0, v[181:182]
	v_fma_f64 v[183:184], v[4:5], v[10:11], v[183:184]
	v_fma_f64 v[189:190], v[2:3], v[10:11], -v[12:13]
	ds_load_b128 v[2:5], v1 offset:1872
	scratch_load_b128 v[10:13], off, off offset:1008
	v_add_f64_e32 v[177:178], v[177:178], v[185:186]
	v_add_f64_e32 v[179:180], v[181:182], v[179:180]
	v_fma_f64 v[185:186], v[8:9], v[14:15], v[187:188]
	v_fma_f64 v[14:15], v[6:7], v[14:15], -v[16:17]
	ds_load_b128 v[6:9], v1 offset:1888
	s_wait_loadcnt_dscnt 0x801
	v_mul_f64_e32 v[181:182], v[2:3], v[20:21]
	v_mul_f64_e32 v[20:21], v[4:5], v[20:21]
	v_add_f64_e32 v[16:17], v[177:178], v[189:190]
	v_add_f64_e32 v[177:178], v[179:180], v[183:184]
	s_wait_loadcnt_dscnt 0x700
	v_mul_f64_e32 v[179:180], v[6:7], v[24:25]
	v_mul_f64_e32 v[24:25], v[8:9], v[24:25]
	v_fma_f64 v[181:182], v[4:5], v[18:19], v[181:182]
	v_fma_f64 v[18:19], v[2:3], v[18:19], -v[20:21]
	ds_load_b128 v[2:5], v1 offset:1904
	v_add_f64_e32 v[14:15], v[16:17], v[14:15]
	v_add_f64_e32 v[16:17], v[177:178], v[185:186]
	v_fma_f64 v[177:178], v[8:9], v[22:23], v[179:180]
	v_fma_f64 v[22:23], v[6:7], v[22:23], -v[24:25]
	ds_load_b128 v[6:9], v1 offset:1920
	s_wait_loadcnt_dscnt 0x601
	v_mul_f64_e32 v[20:21], v[2:3], v[28:29]
	v_mul_f64_e32 v[28:29], v[4:5], v[28:29]
	s_wait_loadcnt_dscnt 0x500
	v_mul_f64_e32 v[179:180], v[6:7], v[32:33]
	v_mul_f64_e32 v[32:33], v[8:9], v[32:33]
	v_add_f64_e32 v[18:19], v[14:15], v[18:19]
	v_add_f64_e32 v[24:25], v[16:17], v[181:182]
	scratch_load_b128 v[14:17], off, off offset:800
	v_fma_f64 v[20:21], v[4:5], v[26:27], v[20:21]
	v_fma_f64 v[26:27], v[2:3], v[26:27], -v[28:29]
	ds_load_b128 v[2:5], v1 offset:1936
	s_wait_loadcnt_dscnt 0x500
	v_mul_f64_e32 v[28:29], v[4:5], v[40:41]
	v_add_f64_e32 v[18:19], v[18:19], v[22:23]
	v_add_f64_e32 v[22:23], v[24:25], v[177:178]
	v_mul_f64_e32 v[24:25], v[2:3], v[40:41]
	v_fma_f64 v[40:41], v[8:9], v[30:31], v[179:180]
	v_fma_f64 v[30:31], v[6:7], v[30:31], -v[32:33]
	ds_load_b128 v[6:9], v1 offset:1952
	v_fma_f64 v[28:29], v[2:3], v[38:39], -v[28:29]
	v_add_f64_e32 v[18:19], v[18:19], v[26:27]
	v_add_f64_e32 v[20:21], v[22:23], v[20:21]
	v_fma_f64 v[24:25], v[4:5], v[38:39], v[24:25]
	ds_load_b128 v[2:5], v1 offset:1968
	s_wait_loadcnt_dscnt 0x401
	v_mul_f64_e32 v[22:23], v[6:7], v[175:176]
	v_mul_f64_e32 v[26:27], v[8:9], v[175:176]
	v_add_f64_e32 v[18:19], v[18:19], v[30:31]
	v_add_f64_e32 v[20:21], v[20:21], v[40:41]
	s_delay_alu instid0(VALU_DEP_4) | instskip(NEXT) | instid1(VALU_DEP_4)
	v_fma_f64 v[22:23], v[8:9], v[173:174], v[22:23]
	v_fma_f64 v[26:27], v[6:7], v[173:174], -v[26:27]
	ds_load_b128 v[6:9], v1 offset:1984
	s_wait_loadcnt_dscnt 0x301
	v_mul_f64_e32 v[30:31], v[2:3], v[36:37]
	v_mul_f64_e32 v[32:33], v[4:5], v[36:37]
	v_add_f64_e32 v[18:19], v[18:19], v[28:29]
	v_add_f64_e32 v[20:21], v[20:21], v[24:25]
	s_delay_alu instid0(VALU_DEP_4) | instskip(NEXT) | instid1(VALU_DEP_4)
	v_fma_f64 v[30:31], v[4:5], v[34:35], v[30:31]
	v_fma_f64 v[32:33], v[2:3], v[34:35], -v[32:33]
	ds_load_b128 v[2:5], v1 offset:2000
	s_wait_loadcnt_dscnt 0x201
	v_mul_f64_e32 v[24:25], v[6:7], v[171:172]
	v_mul_f64_e32 v[28:29], v[8:9], v[171:172]
	v_add_f64_e32 v[18:19], v[18:19], v[26:27]
	v_add_f64_e32 v[20:21], v[20:21], v[22:23]
	s_wait_loadcnt_dscnt 0x100
	v_mul_f64_e32 v[22:23], v[2:3], v[12:13]
	v_mul_f64_e32 v[12:13], v[4:5], v[12:13]
	v_fma_f64 v[8:9], v[8:9], v[169:170], v[24:25]
	v_fma_f64 v[6:7], v[6:7], v[169:170], -v[28:29]
	v_add_f64_e32 v[18:19], v[18:19], v[32:33]
	v_add_f64_e32 v[20:21], v[20:21], v[30:31]
	v_fma_f64 v[4:5], v[4:5], v[10:11], v[22:23]
	v_fma_f64 v[2:3], v[2:3], v[10:11], -v[12:13]
	s_delay_alu instid0(VALU_DEP_4) | instskip(NEXT) | instid1(VALU_DEP_4)
	v_add_f64_e32 v[6:7], v[18:19], v[6:7]
	v_add_f64_e32 v[8:9], v[20:21], v[8:9]
	s_delay_alu instid0(VALU_DEP_2) | instskip(NEXT) | instid1(VALU_DEP_2)
	v_add_f64_e32 v[2:3], v[6:7], v[2:3]
	v_add_f64_e32 v[4:5], v[8:9], v[4:5]
	s_wait_loadcnt 0x0
	s_delay_alu instid0(VALU_DEP_2) | instskip(NEXT) | instid1(VALU_DEP_2)
	v_add_f64_e64 v[2:3], v[14:15], -v[2:3]
	v_add_f64_e64 v[4:5], v[16:17], -v[4:5]
	scratch_store_b128 off, v[2:5], off offset:800
	v_cmpx_lt_u32_e32 48, v0
	s_cbranch_execz .LBB62_307
; %bb.306:
	scratch_load_b128 v[5:8], off, s25
	v_dual_mov_b32 v2, v1 :: v_dual_mov_b32 v3, v1
	v_mov_b32_e32 v4, v1
	scratch_store_b128 off, v[1:4], off offset:784
	s_wait_loadcnt 0x0
	ds_store_b128 v168, v[5:8]
.LBB62_307:
	s_wait_alu 0xfffe
	s_or_b32 exec_lo, exec_lo, s0
	s_wait_storecnt_dscnt 0x0
	s_barrier_signal -1
	s_barrier_wait -1
	global_inv scope:SCOPE_SE
	s_clause 0x7
	scratch_load_b128 v[2:5], off, off offset:800
	scratch_load_b128 v[6:9], off, off offset:816
	;; [unrolled: 1-line block ×8, first 2 shown]
	ds_load_b128 v[34:37], v1 offset:1792
	ds_load_b128 v[169:172], v1 offset:1808
	s_clause 0x1
	scratch_load_b128 v[38:41], off, off offset:928
	scratch_load_b128 v[173:176], off, off offset:944
	s_mov_b32 s0, exec_lo
	s_wait_loadcnt_dscnt 0x901
	v_mul_f64_e32 v[177:178], v[36:37], v[4:5]
	v_mul_f64_e32 v[4:5], v[34:35], v[4:5]
	s_wait_loadcnt_dscnt 0x800
	v_mul_f64_e32 v[179:180], v[169:170], v[8:9]
	v_mul_f64_e32 v[8:9], v[171:172], v[8:9]
	s_delay_alu instid0(VALU_DEP_4) | instskip(NEXT) | instid1(VALU_DEP_4)
	v_fma_f64 v[177:178], v[34:35], v[2:3], -v[177:178]
	v_fma_f64 v[181:182], v[36:37], v[2:3], v[4:5]
	ds_load_b128 v[2:5], v1 offset:1824
	scratch_load_b128 v[34:37], off, off offset:960
	v_fma_f64 v[179:180], v[171:172], v[6:7], v[179:180]
	v_fma_f64 v[185:186], v[169:170], v[6:7], -v[8:9]
	ds_load_b128 v[6:9], v1 offset:1840
	scratch_load_b128 v[169:172], off, off offset:976
	s_wait_loadcnt_dscnt 0x901
	v_mul_f64_e32 v[183:184], v[2:3], v[12:13]
	v_mul_f64_e32 v[12:13], v[4:5], v[12:13]
	s_wait_loadcnt_dscnt 0x800
	v_mul_f64_e32 v[187:188], v[6:7], v[16:17]
	v_mul_f64_e32 v[16:17], v[8:9], v[16:17]
	v_add_f64_e32 v[177:178], 0, v[177:178]
	v_add_f64_e32 v[181:182], 0, v[181:182]
	v_fma_f64 v[183:184], v[4:5], v[10:11], v[183:184]
	v_fma_f64 v[189:190], v[2:3], v[10:11], -v[12:13]
	ds_load_b128 v[2:5], v1 offset:1856
	scratch_load_b128 v[10:13], off, off offset:992
	v_add_f64_e32 v[177:178], v[177:178], v[185:186]
	v_add_f64_e32 v[179:180], v[181:182], v[179:180]
	v_fma_f64 v[185:186], v[8:9], v[14:15], v[187:188]
	v_fma_f64 v[187:188], v[6:7], v[14:15], -v[16:17]
	ds_load_b128 v[6:9], v1 offset:1872
	scratch_load_b128 v[14:17], off, off offset:1008
	s_wait_loadcnt_dscnt 0x901
	v_mul_f64_e32 v[181:182], v[2:3], v[20:21]
	v_mul_f64_e32 v[20:21], v[4:5], v[20:21]
	v_add_f64_e32 v[177:178], v[177:178], v[189:190]
	v_add_f64_e32 v[179:180], v[179:180], v[183:184]
	s_wait_loadcnt_dscnt 0x800
	v_mul_f64_e32 v[183:184], v[6:7], v[24:25]
	v_mul_f64_e32 v[24:25], v[8:9], v[24:25]
	v_fma_f64 v[181:182], v[4:5], v[18:19], v[181:182]
	v_fma_f64 v[18:19], v[2:3], v[18:19], -v[20:21]
	ds_load_b128 v[2:5], v1 offset:1888
	v_add_f64_e32 v[20:21], v[177:178], v[187:188]
	v_add_f64_e32 v[177:178], v[179:180], v[185:186]
	v_fma_f64 v[183:184], v[8:9], v[22:23], v[183:184]
	v_fma_f64 v[22:23], v[6:7], v[22:23], -v[24:25]
	ds_load_b128 v[6:9], v1 offset:1904
	s_wait_loadcnt_dscnt 0x701
	v_mul_f64_e32 v[179:180], v[2:3], v[28:29]
	v_mul_f64_e32 v[28:29], v[4:5], v[28:29]
	s_wait_loadcnt_dscnt 0x600
	v_mul_f64_e32 v[24:25], v[6:7], v[32:33]
	v_mul_f64_e32 v[32:33], v[8:9], v[32:33]
	v_add_f64_e32 v[18:19], v[20:21], v[18:19]
	v_add_f64_e32 v[20:21], v[177:178], v[181:182]
	v_fma_f64 v[177:178], v[4:5], v[26:27], v[179:180]
	v_fma_f64 v[26:27], v[2:3], v[26:27], -v[28:29]
	ds_load_b128 v[2:5], v1 offset:1920
	v_fma_f64 v[24:25], v[8:9], v[30:31], v[24:25]
	v_fma_f64 v[30:31], v[6:7], v[30:31], -v[32:33]
	ds_load_b128 v[6:9], v1 offset:1936
	v_add_f64_e32 v[22:23], v[18:19], v[22:23]
	v_add_f64_e32 v[28:29], v[20:21], v[183:184]
	scratch_load_b128 v[18:21], off, off offset:784
	s_wait_loadcnt_dscnt 0x601
	v_mul_f64_e32 v[179:180], v[2:3], v[40:41]
	v_mul_f64_e32 v[40:41], v[4:5], v[40:41]
	s_wait_loadcnt_dscnt 0x500
	v_mul_f64_e32 v[32:33], v[8:9], v[175:176]
	v_add_f64_e32 v[22:23], v[22:23], v[26:27]
	v_add_f64_e32 v[26:27], v[28:29], v[177:178]
	v_mul_f64_e32 v[28:29], v[6:7], v[175:176]
	v_fma_f64 v[175:176], v[4:5], v[38:39], v[179:180]
	v_fma_f64 v[38:39], v[2:3], v[38:39], -v[40:41]
	ds_load_b128 v[2:5], v1 offset:1952
	v_fma_f64 v[32:33], v[6:7], v[173:174], -v[32:33]
	v_add_f64_e32 v[22:23], v[22:23], v[30:31]
	v_add_f64_e32 v[24:25], v[26:27], v[24:25]
	v_fma_f64 v[28:29], v[8:9], v[173:174], v[28:29]
	ds_load_b128 v[6:9], v1 offset:1968
	s_wait_loadcnt_dscnt 0x401
	v_mul_f64_e32 v[26:27], v[2:3], v[36:37]
	v_mul_f64_e32 v[30:31], v[4:5], v[36:37]
	s_wait_loadcnt_dscnt 0x300
	v_mul_f64_e32 v[36:37], v[6:7], v[171:172]
	v_add_f64_e32 v[22:23], v[22:23], v[38:39]
	v_add_f64_e32 v[24:25], v[24:25], v[175:176]
	v_mul_f64_e32 v[38:39], v[8:9], v[171:172]
	v_fma_f64 v[26:27], v[4:5], v[34:35], v[26:27]
	v_fma_f64 v[30:31], v[2:3], v[34:35], -v[30:31]
	ds_load_b128 v[2:5], v1 offset:1984
	v_add_f64_e32 v[22:23], v[22:23], v[32:33]
	v_add_f64_e32 v[24:25], v[24:25], v[28:29]
	v_fma_f64 v[32:33], v[8:9], v[169:170], v[36:37]
	v_fma_f64 v[34:35], v[6:7], v[169:170], -v[38:39]
	ds_load_b128 v[6:9], v1 offset:2000
	s_wait_loadcnt_dscnt 0x201
	v_mul_f64_e32 v[28:29], v[2:3], v[12:13]
	v_mul_f64_e32 v[12:13], v[4:5], v[12:13]
	v_add_f64_e32 v[22:23], v[22:23], v[30:31]
	v_add_f64_e32 v[24:25], v[24:25], v[26:27]
	s_wait_loadcnt_dscnt 0x100
	v_mul_f64_e32 v[26:27], v[6:7], v[16:17]
	v_mul_f64_e32 v[16:17], v[8:9], v[16:17]
	v_fma_f64 v[4:5], v[4:5], v[10:11], v[28:29]
	v_fma_f64 v[1:2], v[2:3], v[10:11], -v[12:13]
	v_add_f64_e32 v[10:11], v[22:23], v[34:35]
	v_add_f64_e32 v[12:13], v[24:25], v[32:33]
	v_fma_f64 v[8:9], v[8:9], v[14:15], v[26:27]
	v_fma_f64 v[6:7], v[6:7], v[14:15], -v[16:17]
	s_delay_alu instid0(VALU_DEP_4) | instskip(NEXT) | instid1(VALU_DEP_4)
	v_add_f64_e32 v[1:2], v[10:11], v[1:2]
	v_add_f64_e32 v[3:4], v[12:13], v[4:5]
	s_delay_alu instid0(VALU_DEP_2) | instskip(NEXT) | instid1(VALU_DEP_2)
	v_add_f64_e32 v[1:2], v[1:2], v[6:7]
	v_add_f64_e32 v[3:4], v[3:4], v[8:9]
	s_wait_loadcnt 0x0
	s_delay_alu instid0(VALU_DEP_2) | instskip(NEXT) | instid1(VALU_DEP_2)
	v_add_f64_e64 v[1:2], v[18:19], -v[1:2]
	v_add_f64_e64 v[3:4], v[20:21], -v[3:4]
	scratch_store_b128 off, v[1:4], off offset:784
	v_cmpx_lt_u32_e32 47, v0
	s_cbranch_execz .LBB62_309
; %bb.308:
	scratch_load_b128 v[1:4], off, s28
	v_mov_b32_e32 v5, 0
	s_delay_alu instid0(VALU_DEP_1)
	v_dual_mov_b32 v6, v5 :: v_dual_mov_b32 v7, v5
	v_mov_b32_e32 v8, v5
	scratch_store_b128 off, v[5:8], off offset:768
	s_wait_loadcnt 0x0
	ds_store_b128 v168, v[1:4]
.LBB62_309:
	s_wait_alu 0xfffe
	s_or_b32 exec_lo, exec_lo, s0
	s_wait_storecnt_dscnt 0x0
	s_barrier_signal -1
	s_barrier_wait -1
	global_inv scope:SCOPE_SE
	s_clause 0x7
	scratch_load_b128 v[2:5], off, off offset:784
	scratch_load_b128 v[6:9], off, off offset:800
	scratch_load_b128 v[10:13], off, off offset:816
	scratch_load_b128 v[14:17], off, off offset:832
	scratch_load_b128 v[18:21], off, off offset:848
	scratch_load_b128 v[22:25], off, off offset:864
	scratch_load_b128 v[26:29], off, off offset:880
	scratch_load_b128 v[30:33], off, off offset:896
	v_mov_b32_e32 v1, 0
	s_clause 0x1
	scratch_load_b128 v[38:41], off, off offset:912
	scratch_load_b128 v[173:176], off, off offset:928
	s_mov_b32 s0, exec_lo
	ds_load_b128 v[34:37], v1 offset:1776
	ds_load_b128 v[169:172], v1 offset:1792
	s_wait_loadcnt_dscnt 0x901
	v_mul_f64_e32 v[177:178], v[36:37], v[4:5]
	v_mul_f64_e32 v[4:5], v[34:35], v[4:5]
	s_wait_loadcnt_dscnt 0x800
	v_mul_f64_e32 v[179:180], v[169:170], v[8:9]
	v_mul_f64_e32 v[8:9], v[171:172], v[8:9]
	s_delay_alu instid0(VALU_DEP_4) | instskip(NEXT) | instid1(VALU_DEP_4)
	v_fma_f64 v[177:178], v[34:35], v[2:3], -v[177:178]
	v_fma_f64 v[181:182], v[36:37], v[2:3], v[4:5]
	ds_load_b128 v[2:5], v1 offset:1808
	scratch_load_b128 v[34:37], off, off offset:944
	v_fma_f64 v[179:180], v[171:172], v[6:7], v[179:180]
	v_fma_f64 v[185:186], v[169:170], v[6:7], -v[8:9]
	ds_load_b128 v[6:9], v1 offset:1824
	scratch_load_b128 v[169:172], off, off offset:960
	s_wait_loadcnt_dscnt 0x901
	v_mul_f64_e32 v[183:184], v[2:3], v[12:13]
	v_mul_f64_e32 v[12:13], v[4:5], v[12:13]
	s_wait_loadcnt_dscnt 0x800
	v_mul_f64_e32 v[187:188], v[6:7], v[16:17]
	v_mul_f64_e32 v[16:17], v[8:9], v[16:17]
	v_add_f64_e32 v[177:178], 0, v[177:178]
	v_add_f64_e32 v[181:182], 0, v[181:182]
	v_fma_f64 v[183:184], v[4:5], v[10:11], v[183:184]
	v_fma_f64 v[189:190], v[2:3], v[10:11], -v[12:13]
	ds_load_b128 v[2:5], v1 offset:1840
	scratch_load_b128 v[10:13], off, off offset:976
	v_add_f64_e32 v[177:178], v[177:178], v[185:186]
	v_add_f64_e32 v[179:180], v[181:182], v[179:180]
	v_fma_f64 v[185:186], v[8:9], v[14:15], v[187:188]
	v_fma_f64 v[187:188], v[6:7], v[14:15], -v[16:17]
	ds_load_b128 v[6:9], v1 offset:1856
	scratch_load_b128 v[14:17], off, off offset:992
	s_wait_loadcnt_dscnt 0x901
	v_mul_f64_e32 v[181:182], v[2:3], v[20:21]
	v_mul_f64_e32 v[20:21], v[4:5], v[20:21]
	v_add_f64_e32 v[177:178], v[177:178], v[189:190]
	v_add_f64_e32 v[179:180], v[179:180], v[183:184]
	s_wait_loadcnt_dscnt 0x800
	v_mul_f64_e32 v[183:184], v[6:7], v[24:25]
	v_mul_f64_e32 v[24:25], v[8:9], v[24:25]
	v_fma_f64 v[181:182], v[4:5], v[18:19], v[181:182]
	v_fma_f64 v[189:190], v[2:3], v[18:19], -v[20:21]
	ds_load_b128 v[2:5], v1 offset:1872
	scratch_load_b128 v[18:21], off, off offset:1008
	v_add_f64_e32 v[177:178], v[177:178], v[187:188]
	v_add_f64_e32 v[179:180], v[179:180], v[185:186]
	v_fma_f64 v[183:184], v[8:9], v[22:23], v[183:184]
	v_fma_f64 v[22:23], v[6:7], v[22:23], -v[24:25]
	ds_load_b128 v[6:9], v1 offset:1888
	s_wait_loadcnt_dscnt 0x801
	v_mul_f64_e32 v[185:186], v[2:3], v[28:29]
	v_mul_f64_e32 v[28:29], v[4:5], v[28:29]
	v_add_f64_e32 v[24:25], v[177:178], v[189:190]
	v_add_f64_e32 v[177:178], v[179:180], v[181:182]
	s_wait_loadcnt_dscnt 0x700
	v_mul_f64_e32 v[179:180], v[6:7], v[32:33]
	v_mul_f64_e32 v[32:33], v[8:9], v[32:33]
	v_fma_f64 v[181:182], v[4:5], v[26:27], v[185:186]
	v_fma_f64 v[26:27], v[2:3], v[26:27], -v[28:29]
	ds_load_b128 v[2:5], v1 offset:1904
	v_add_f64_e32 v[22:23], v[24:25], v[22:23]
	v_add_f64_e32 v[24:25], v[177:178], v[183:184]
	v_fma_f64 v[177:178], v[8:9], v[30:31], v[179:180]
	v_fma_f64 v[30:31], v[6:7], v[30:31], -v[32:33]
	ds_load_b128 v[6:9], v1 offset:1920
	s_wait_loadcnt_dscnt 0x500
	v_mul_f64_e32 v[179:180], v[6:7], v[175:176]
	v_mul_f64_e32 v[175:176], v[8:9], v[175:176]
	v_add_f64_e32 v[26:27], v[22:23], v[26:27]
	v_add_f64_e32 v[32:33], v[24:25], v[181:182]
	scratch_load_b128 v[22:25], off, off offset:768
	v_mul_f64_e32 v[28:29], v[2:3], v[40:41]
	v_mul_f64_e32 v[40:41], v[4:5], v[40:41]
	v_add_f64_e32 v[26:27], v[26:27], v[30:31]
	v_add_f64_e32 v[30:31], v[32:33], v[177:178]
	s_delay_alu instid0(VALU_DEP_4) | instskip(NEXT) | instid1(VALU_DEP_4)
	v_fma_f64 v[28:29], v[4:5], v[38:39], v[28:29]
	v_fma_f64 v[38:39], v[2:3], v[38:39], -v[40:41]
	ds_load_b128 v[2:5], v1 offset:1936
	v_fma_f64 v[40:41], v[8:9], v[173:174], v[179:180]
	v_fma_f64 v[173:174], v[6:7], v[173:174], -v[175:176]
	ds_load_b128 v[6:9], v1 offset:1952
	s_wait_loadcnt_dscnt 0x501
	v_mul_f64_e32 v[32:33], v[2:3], v[36:37]
	v_mul_f64_e32 v[36:37], v[4:5], v[36:37]
	v_add_f64_e32 v[28:29], v[30:31], v[28:29]
	v_add_f64_e32 v[26:27], v[26:27], v[38:39]
	s_wait_loadcnt_dscnt 0x400
	v_mul_f64_e32 v[30:31], v[6:7], v[171:172]
	v_mul_f64_e32 v[38:39], v[8:9], v[171:172]
	v_fma_f64 v[32:33], v[4:5], v[34:35], v[32:33]
	v_fma_f64 v[34:35], v[2:3], v[34:35], -v[36:37]
	ds_load_b128 v[2:5], v1 offset:1968
	v_add_f64_e32 v[28:29], v[28:29], v[40:41]
	v_add_f64_e32 v[26:27], v[26:27], v[173:174]
	v_fma_f64 v[30:31], v[8:9], v[169:170], v[30:31]
	v_fma_f64 v[38:39], v[6:7], v[169:170], -v[38:39]
	ds_load_b128 v[6:9], v1 offset:1984
	s_wait_loadcnt_dscnt 0x301
	v_mul_f64_e32 v[36:37], v[2:3], v[12:13]
	v_mul_f64_e32 v[12:13], v[4:5], v[12:13]
	v_add_f64_e32 v[28:29], v[28:29], v[32:33]
	v_add_f64_e32 v[26:27], v[26:27], v[34:35]
	s_wait_loadcnt_dscnt 0x200
	v_mul_f64_e32 v[32:33], v[6:7], v[16:17]
	v_mul_f64_e32 v[16:17], v[8:9], v[16:17]
	v_fma_f64 v[34:35], v[4:5], v[10:11], v[36:37]
	v_fma_f64 v[10:11], v[2:3], v[10:11], -v[12:13]
	ds_load_b128 v[2:5], v1 offset:2000
	v_add_f64_e32 v[12:13], v[26:27], v[38:39]
	v_add_f64_e32 v[26:27], v[28:29], v[30:31]
	s_wait_loadcnt_dscnt 0x100
	v_mul_f64_e32 v[28:29], v[2:3], v[20:21]
	v_mul_f64_e32 v[20:21], v[4:5], v[20:21]
	v_fma_f64 v[8:9], v[8:9], v[14:15], v[32:33]
	v_fma_f64 v[6:7], v[6:7], v[14:15], -v[16:17]
	v_add_f64_e32 v[10:11], v[12:13], v[10:11]
	v_add_f64_e32 v[12:13], v[26:27], v[34:35]
	v_fma_f64 v[4:5], v[4:5], v[18:19], v[28:29]
	v_fma_f64 v[2:3], v[2:3], v[18:19], -v[20:21]
	s_delay_alu instid0(VALU_DEP_4) | instskip(NEXT) | instid1(VALU_DEP_4)
	v_add_f64_e32 v[6:7], v[10:11], v[6:7]
	v_add_f64_e32 v[8:9], v[12:13], v[8:9]
	s_delay_alu instid0(VALU_DEP_2) | instskip(NEXT) | instid1(VALU_DEP_2)
	v_add_f64_e32 v[2:3], v[6:7], v[2:3]
	v_add_f64_e32 v[4:5], v[8:9], v[4:5]
	s_wait_loadcnt 0x0
	s_delay_alu instid0(VALU_DEP_2) | instskip(NEXT) | instid1(VALU_DEP_2)
	v_add_f64_e64 v[2:3], v[22:23], -v[2:3]
	v_add_f64_e64 v[4:5], v[24:25], -v[4:5]
	scratch_store_b128 off, v[2:5], off offset:768
	v_cmpx_lt_u32_e32 46, v0
	s_cbranch_execz .LBB62_311
; %bb.310:
	scratch_load_b128 v[5:8], off, s27
	v_dual_mov_b32 v2, v1 :: v_dual_mov_b32 v3, v1
	v_mov_b32_e32 v4, v1
	scratch_store_b128 off, v[1:4], off offset:752
	s_wait_loadcnt 0x0
	ds_store_b128 v168, v[5:8]
.LBB62_311:
	s_wait_alu 0xfffe
	s_or_b32 exec_lo, exec_lo, s0
	s_wait_storecnt_dscnt 0x0
	s_barrier_signal -1
	s_barrier_wait -1
	global_inv scope:SCOPE_SE
	s_clause 0x7
	scratch_load_b128 v[2:5], off, off offset:768
	scratch_load_b128 v[6:9], off, off offset:784
	;; [unrolled: 1-line block ×8, first 2 shown]
	ds_load_b128 v[34:37], v1 offset:1760
	ds_load_b128 v[169:172], v1 offset:1776
	s_clause 0x1
	scratch_load_b128 v[38:41], off, off offset:896
	scratch_load_b128 v[173:176], off, off offset:912
	s_mov_b32 s0, exec_lo
	s_wait_loadcnt_dscnt 0x901
	v_mul_f64_e32 v[177:178], v[36:37], v[4:5]
	v_mul_f64_e32 v[4:5], v[34:35], v[4:5]
	s_wait_loadcnt_dscnt 0x800
	v_mul_f64_e32 v[179:180], v[169:170], v[8:9]
	v_mul_f64_e32 v[8:9], v[171:172], v[8:9]
	s_delay_alu instid0(VALU_DEP_4) | instskip(NEXT) | instid1(VALU_DEP_4)
	v_fma_f64 v[177:178], v[34:35], v[2:3], -v[177:178]
	v_fma_f64 v[181:182], v[36:37], v[2:3], v[4:5]
	ds_load_b128 v[2:5], v1 offset:1792
	scratch_load_b128 v[34:37], off, off offset:928
	v_fma_f64 v[179:180], v[171:172], v[6:7], v[179:180]
	v_fma_f64 v[185:186], v[169:170], v[6:7], -v[8:9]
	ds_load_b128 v[6:9], v1 offset:1808
	scratch_load_b128 v[169:172], off, off offset:944
	s_wait_loadcnt_dscnt 0x901
	v_mul_f64_e32 v[183:184], v[2:3], v[12:13]
	v_mul_f64_e32 v[12:13], v[4:5], v[12:13]
	s_wait_loadcnt_dscnt 0x800
	v_mul_f64_e32 v[187:188], v[6:7], v[16:17]
	v_mul_f64_e32 v[16:17], v[8:9], v[16:17]
	v_add_f64_e32 v[177:178], 0, v[177:178]
	v_add_f64_e32 v[181:182], 0, v[181:182]
	v_fma_f64 v[183:184], v[4:5], v[10:11], v[183:184]
	v_fma_f64 v[189:190], v[2:3], v[10:11], -v[12:13]
	ds_load_b128 v[2:5], v1 offset:1824
	scratch_load_b128 v[10:13], off, off offset:960
	v_add_f64_e32 v[177:178], v[177:178], v[185:186]
	v_add_f64_e32 v[179:180], v[181:182], v[179:180]
	v_fma_f64 v[185:186], v[8:9], v[14:15], v[187:188]
	v_fma_f64 v[187:188], v[6:7], v[14:15], -v[16:17]
	ds_load_b128 v[6:9], v1 offset:1840
	scratch_load_b128 v[14:17], off, off offset:976
	s_wait_loadcnt_dscnt 0x901
	v_mul_f64_e32 v[181:182], v[2:3], v[20:21]
	v_mul_f64_e32 v[20:21], v[4:5], v[20:21]
	v_add_f64_e32 v[177:178], v[177:178], v[189:190]
	v_add_f64_e32 v[179:180], v[179:180], v[183:184]
	s_wait_loadcnt_dscnt 0x800
	v_mul_f64_e32 v[183:184], v[6:7], v[24:25]
	v_mul_f64_e32 v[24:25], v[8:9], v[24:25]
	v_fma_f64 v[181:182], v[4:5], v[18:19], v[181:182]
	v_fma_f64 v[189:190], v[2:3], v[18:19], -v[20:21]
	ds_load_b128 v[2:5], v1 offset:1856
	scratch_load_b128 v[18:21], off, off offset:992
	v_add_f64_e32 v[177:178], v[177:178], v[187:188]
	v_add_f64_e32 v[179:180], v[179:180], v[185:186]
	v_fma_f64 v[183:184], v[8:9], v[22:23], v[183:184]
	v_fma_f64 v[187:188], v[6:7], v[22:23], -v[24:25]
	ds_load_b128 v[6:9], v1 offset:1872
	s_wait_loadcnt_dscnt 0x801
	v_mul_f64_e32 v[185:186], v[2:3], v[28:29]
	v_mul_f64_e32 v[28:29], v[4:5], v[28:29]
	scratch_load_b128 v[22:25], off, off offset:1008
	v_add_f64_e32 v[177:178], v[177:178], v[189:190]
	v_add_f64_e32 v[179:180], v[179:180], v[181:182]
	s_wait_loadcnt_dscnt 0x800
	v_mul_f64_e32 v[181:182], v[6:7], v[32:33]
	v_mul_f64_e32 v[32:33], v[8:9], v[32:33]
	v_fma_f64 v[185:186], v[4:5], v[26:27], v[185:186]
	v_fma_f64 v[26:27], v[2:3], v[26:27], -v[28:29]
	ds_load_b128 v[2:5], v1 offset:1888
	v_add_f64_e32 v[28:29], v[177:178], v[187:188]
	v_add_f64_e32 v[177:178], v[179:180], v[183:184]
	v_fma_f64 v[181:182], v[8:9], v[30:31], v[181:182]
	v_fma_f64 v[30:31], v[6:7], v[30:31], -v[32:33]
	ds_load_b128 v[6:9], v1 offset:1904
	s_wait_loadcnt_dscnt 0x701
	v_mul_f64_e32 v[179:180], v[2:3], v[40:41]
	v_mul_f64_e32 v[40:41], v[4:5], v[40:41]
	v_add_f64_e32 v[26:27], v[28:29], v[26:27]
	v_add_f64_e32 v[28:29], v[177:178], v[185:186]
	s_delay_alu instid0(VALU_DEP_4) | instskip(NEXT) | instid1(VALU_DEP_4)
	v_fma_f64 v[177:178], v[4:5], v[38:39], v[179:180]
	v_fma_f64 v[38:39], v[2:3], v[38:39], -v[40:41]
	ds_load_b128 v[2:5], v1 offset:1920
	v_add_f64_e32 v[30:31], v[26:27], v[30:31]
	v_add_f64_e32 v[40:41], v[28:29], v[181:182]
	scratch_load_b128 v[26:29], off, off offset:752
	s_wait_loadcnt_dscnt 0x701
	v_mul_f64_e32 v[32:33], v[6:7], v[175:176]
	v_mul_f64_e32 v[175:176], v[8:9], v[175:176]
	v_add_f64_e32 v[30:31], v[30:31], v[38:39]
	v_add_f64_e32 v[38:39], v[40:41], v[177:178]
	s_delay_alu instid0(VALU_DEP_4) | instskip(NEXT) | instid1(VALU_DEP_4)
	v_fma_f64 v[32:33], v[8:9], v[173:174], v[32:33]
	v_fma_f64 v[173:174], v[6:7], v[173:174], -v[175:176]
	ds_load_b128 v[6:9], v1 offset:1936
	s_wait_loadcnt_dscnt 0x601
	v_mul_f64_e32 v[179:180], v[2:3], v[36:37]
	v_mul_f64_e32 v[36:37], v[4:5], v[36:37]
	s_wait_loadcnt_dscnt 0x500
	v_mul_f64_e32 v[40:41], v[6:7], v[171:172]
	v_mul_f64_e32 v[171:172], v[8:9], v[171:172]
	v_add_f64_e32 v[32:33], v[38:39], v[32:33]
	v_add_f64_e32 v[30:31], v[30:31], v[173:174]
	v_fma_f64 v[175:176], v[4:5], v[34:35], v[179:180]
	v_fma_f64 v[34:35], v[2:3], v[34:35], -v[36:37]
	ds_load_b128 v[2:5], v1 offset:1952
	v_fma_f64 v[38:39], v[8:9], v[169:170], v[40:41]
	v_fma_f64 v[40:41], v[6:7], v[169:170], -v[171:172]
	ds_load_b128 v[6:9], v1 offset:1968
	s_wait_loadcnt_dscnt 0x401
	v_mul_f64_e32 v[36:37], v[2:3], v[12:13]
	v_mul_f64_e32 v[12:13], v[4:5], v[12:13]
	v_add_f64_e32 v[32:33], v[32:33], v[175:176]
	v_add_f64_e32 v[30:31], v[30:31], v[34:35]
	s_wait_loadcnt_dscnt 0x300
	v_mul_f64_e32 v[34:35], v[6:7], v[16:17]
	v_mul_f64_e32 v[16:17], v[8:9], v[16:17]
	v_fma_f64 v[36:37], v[4:5], v[10:11], v[36:37]
	v_fma_f64 v[10:11], v[2:3], v[10:11], -v[12:13]
	ds_load_b128 v[2:5], v1 offset:1984
	v_add_f64_e32 v[12:13], v[30:31], v[40:41]
	v_add_f64_e32 v[30:31], v[32:33], v[38:39]
	v_fma_f64 v[34:35], v[8:9], v[14:15], v[34:35]
	v_fma_f64 v[14:15], v[6:7], v[14:15], -v[16:17]
	ds_load_b128 v[6:9], v1 offset:2000
	s_wait_loadcnt_dscnt 0x201
	v_mul_f64_e32 v[32:33], v[2:3], v[20:21]
	v_mul_f64_e32 v[20:21], v[4:5], v[20:21]
	s_wait_loadcnt_dscnt 0x100
	v_mul_f64_e32 v[16:17], v[6:7], v[24:25]
	v_mul_f64_e32 v[24:25], v[8:9], v[24:25]
	v_add_f64_e32 v[10:11], v[12:13], v[10:11]
	v_add_f64_e32 v[12:13], v[30:31], v[36:37]
	v_fma_f64 v[4:5], v[4:5], v[18:19], v[32:33]
	v_fma_f64 v[1:2], v[2:3], v[18:19], -v[20:21]
	v_fma_f64 v[8:9], v[8:9], v[22:23], v[16:17]
	v_fma_f64 v[6:7], v[6:7], v[22:23], -v[24:25]
	v_add_f64_e32 v[10:11], v[10:11], v[14:15]
	v_add_f64_e32 v[12:13], v[12:13], v[34:35]
	s_delay_alu instid0(VALU_DEP_2) | instskip(NEXT) | instid1(VALU_DEP_2)
	v_add_f64_e32 v[1:2], v[10:11], v[1:2]
	v_add_f64_e32 v[3:4], v[12:13], v[4:5]
	s_delay_alu instid0(VALU_DEP_2) | instskip(NEXT) | instid1(VALU_DEP_2)
	v_add_f64_e32 v[1:2], v[1:2], v[6:7]
	v_add_f64_e32 v[3:4], v[3:4], v[8:9]
	s_wait_loadcnt 0x0
	s_delay_alu instid0(VALU_DEP_2) | instskip(NEXT) | instid1(VALU_DEP_2)
	v_add_f64_e64 v[1:2], v[26:27], -v[1:2]
	v_add_f64_e64 v[3:4], v[28:29], -v[3:4]
	scratch_store_b128 off, v[1:4], off offset:752
	v_cmpx_lt_u32_e32 45, v0
	s_cbranch_execz .LBB62_313
; %bb.312:
	scratch_load_b128 v[1:4], off, s29
	v_mov_b32_e32 v5, 0
	s_delay_alu instid0(VALU_DEP_1)
	v_dual_mov_b32 v6, v5 :: v_dual_mov_b32 v7, v5
	v_mov_b32_e32 v8, v5
	scratch_store_b128 off, v[5:8], off offset:736
	s_wait_loadcnt 0x0
	ds_store_b128 v168, v[1:4]
.LBB62_313:
	s_wait_alu 0xfffe
	s_or_b32 exec_lo, exec_lo, s0
	s_wait_storecnt_dscnt 0x0
	s_barrier_signal -1
	s_barrier_wait -1
	global_inv scope:SCOPE_SE
	s_clause 0x7
	scratch_load_b128 v[2:5], off, off offset:752
	scratch_load_b128 v[6:9], off, off offset:768
	;; [unrolled: 1-line block ×8, first 2 shown]
	v_mov_b32_e32 v1, 0
	s_clause 0x1
	scratch_load_b128 v[38:41], off, off offset:880
	scratch_load_b128 v[173:176], off, off offset:896
	s_mov_b32 s0, exec_lo
	ds_load_b128 v[34:37], v1 offset:1744
	ds_load_b128 v[169:172], v1 offset:1760
	s_wait_loadcnt_dscnt 0x901
	v_mul_f64_e32 v[177:178], v[36:37], v[4:5]
	v_mul_f64_e32 v[4:5], v[34:35], v[4:5]
	s_wait_loadcnt_dscnt 0x800
	v_mul_f64_e32 v[179:180], v[169:170], v[8:9]
	v_mul_f64_e32 v[8:9], v[171:172], v[8:9]
	s_delay_alu instid0(VALU_DEP_4) | instskip(NEXT) | instid1(VALU_DEP_4)
	v_fma_f64 v[177:178], v[34:35], v[2:3], -v[177:178]
	v_fma_f64 v[181:182], v[36:37], v[2:3], v[4:5]
	ds_load_b128 v[2:5], v1 offset:1776
	scratch_load_b128 v[34:37], off, off offset:912
	v_fma_f64 v[179:180], v[171:172], v[6:7], v[179:180]
	v_fma_f64 v[185:186], v[169:170], v[6:7], -v[8:9]
	ds_load_b128 v[6:9], v1 offset:1792
	scratch_load_b128 v[169:172], off, off offset:928
	s_wait_loadcnt_dscnt 0x901
	v_mul_f64_e32 v[183:184], v[2:3], v[12:13]
	v_mul_f64_e32 v[12:13], v[4:5], v[12:13]
	s_wait_loadcnt_dscnt 0x800
	v_mul_f64_e32 v[187:188], v[6:7], v[16:17]
	v_mul_f64_e32 v[16:17], v[8:9], v[16:17]
	v_add_f64_e32 v[177:178], 0, v[177:178]
	v_add_f64_e32 v[181:182], 0, v[181:182]
	v_fma_f64 v[183:184], v[4:5], v[10:11], v[183:184]
	v_fma_f64 v[189:190], v[2:3], v[10:11], -v[12:13]
	ds_load_b128 v[2:5], v1 offset:1808
	scratch_load_b128 v[10:13], off, off offset:944
	v_add_f64_e32 v[177:178], v[177:178], v[185:186]
	v_add_f64_e32 v[179:180], v[181:182], v[179:180]
	v_fma_f64 v[185:186], v[8:9], v[14:15], v[187:188]
	v_fma_f64 v[187:188], v[6:7], v[14:15], -v[16:17]
	ds_load_b128 v[6:9], v1 offset:1824
	scratch_load_b128 v[14:17], off, off offset:960
	s_wait_loadcnt_dscnt 0x901
	v_mul_f64_e32 v[181:182], v[2:3], v[20:21]
	v_mul_f64_e32 v[20:21], v[4:5], v[20:21]
	v_add_f64_e32 v[177:178], v[177:178], v[189:190]
	v_add_f64_e32 v[179:180], v[179:180], v[183:184]
	s_wait_loadcnt_dscnt 0x800
	v_mul_f64_e32 v[183:184], v[6:7], v[24:25]
	v_mul_f64_e32 v[24:25], v[8:9], v[24:25]
	v_fma_f64 v[181:182], v[4:5], v[18:19], v[181:182]
	v_fma_f64 v[189:190], v[2:3], v[18:19], -v[20:21]
	ds_load_b128 v[2:5], v1 offset:1840
	scratch_load_b128 v[18:21], off, off offset:976
	v_add_f64_e32 v[177:178], v[177:178], v[187:188]
	v_add_f64_e32 v[179:180], v[179:180], v[185:186]
	v_fma_f64 v[183:184], v[8:9], v[22:23], v[183:184]
	v_fma_f64 v[187:188], v[6:7], v[22:23], -v[24:25]
	ds_load_b128 v[6:9], v1 offset:1856
	s_wait_loadcnt_dscnt 0x801
	v_mul_f64_e32 v[185:186], v[2:3], v[28:29]
	v_mul_f64_e32 v[28:29], v[4:5], v[28:29]
	scratch_load_b128 v[22:25], off, off offset:992
	v_add_f64_e32 v[177:178], v[177:178], v[189:190]
	v_add_f64_e32 v[179:180], v[179:180], v[181:182]
	s_wait_loadcnt_dscnt 0x800
	v_mul_f64_e32 v[181:182], v[6:7], v[32:33]
	v_mul_f64_e32 v[32:33], v[8:9], v[32:33]
	v_fma_f64 v[185:186], v[4:5], v[26:27], v[185:186]
	v_fma_f64 v[189:190], v[2:3], v[26:27], -v[28:29]
	ds_load_b128 v[2:5], v1 offset:1872
	scratch_load_b128 v[26:29], off, off offset:1008
	v_add_f64_e32 v[177:178], v[177:178], v[187:188]
	v_add_f64_e32 v[179:180], v[179:180], v[183:184]
	v_fma_f64 v[181:182], v[8:9], v[30:31], v[181:182]
	v_fma_f64 v[30:31], v[6:7], v[30:31], -v[32:33]
	ds_load_b128 v[6:9], v1 offset:1888
	s_wait_loadcnt_dscnt 0x801
	v_mul_f64_e32 v[183:184], v[2:3], v[40:41]
	v_mul_f64_e32 v[40:41], v[4:5], v[40:41]
	v_add_f64_e32 v[32:33], v[177:178], v[189:190]
	v_add_f64_e32 v[177:178], v[179:180], v[185:186]
	s_wait_loadcnt_dscnt 0x700
	v_mul_f64_e32 v[179:180], v[6:7], v[175:176]
	v_mul_f64_e32 v[175:176], v[8:9], v[175:176]
	v_fma_f64 v[183:184], v[4:5], v[38:39], v[183:184]
	v_fma_f64 v[38:39], v[2:3], v[38:39], -v[40:41]
	ds_load_b128 v[2:5], v1 offset:1904
	v_add_f64_e32 v[30:31], v[32:33], v[30:31]
	v_add_f64_e32 v[32:33], v[177:178], v[181:182]
	v_fma_f64 v[177:178], v[8:9], v[173:174], v[179:180]
	v_fma_f64 v[173:174], v[6:7], v[173:174], -v[175:176]
	ds_load_b128 v[6:9], v1 offset:1920
	s_wait_loadcnt_dscnt 0x500
	v_mul_f64_e32 v[179:180], v[6:7], v[171:172]
	v_mul_f64_e32 v[171:172], v[8:9], v[171:172]
	v_add_f64_e32 v[38:39], v[30:31], v[38:39]
	v_add_f64_e32 v[175:176], v[32:33], v[183:184]
	scratch_load_b128 v[30:33], off, off offset:736
	v_mul_f64_e32 v[40:41], v[2:3], v[36:37]
	v_mul_f64_e32 v[36:37], v[4:5], v[36:37]
	s_delay_alu instid0(VALU_DEP_2) | instskip(NEXT) | instid1(VALU_DEP_2)
	v_fma_f64 v[40:41], v[4:5], v[34:35], v[40:41]
	v_fma_f64 v[34:35], v[2:3], v[34:35], -v[36:37]
	v_add_f64_e32 v[36:37], v[38:39], v[173:174]
	v_add_f64_e32 v[38:39], v[175:176], v[177:178]
	ds_load_b128 v[2:5], v1 offset:1936
	v_fma_f64 v[175:176], v[8:9], v[169:170], v[179:180]
	v_fma_f64 v[169:170], v[6:7], v[169:170], -v[171:172]
	ds_load_b128 v[6:9], v1 offset:1952
	s_wait_loadcnt_dscnt 0x501
	v_mul_f64_e32 v[173:174], v[2:3], v[12:13]
	v_mul_f64_e32 v[12:13], v[4:5], v[12:13]
	v_add_f64_e32 v[34:35], v[36:37], v[34:35]
	v_add_f64_e32 v[36:37], v[38:39], v[40:41]
	s_wait_loadcnt_dscnt 0x400
	v_mul_f64_e32 v[38:39], v[6:7], v[16:17]
	v_mul_f64_e32 v[16:17], v[8:9], v[16:17]
	v_fma_f64 v[40:41], v[4:5], v[10:11], v[173:174]
	v_fma_f64 v[10:11], v[2:3], v[10:11], -v[12:13]
	ds_load_b128 v[2:5], v1 offset:1968
	v_add_f64_e32 v[12:13], v[34:35], v[169:170]
	v_add_f64_e32 v[34:35], v[36:37], v[175:176]
	v_fma_f64 v[38:39], v[8:9], v[14:15], v[38:39]
	v_fma_f64 v[14:15], v[6:7], v[14:15], -v[16:17]
	ds_load_b128 v[6:9], v1 offset:1984
	s_wait_loadcnt_dscnt 0x301
	v_mul_f64_e32 v[36:37], v[2:3], v[20:21]
	v_mul_f64_e32 v[20:21], v[4:5], v[20:21]
	s_wait_loadcnt_dscnt 0x200
	v_mul_f64_e32 v[16:17], v[6:7], v[24:25]
	v_mul_f64_e32 v[24:25], v[8:9], v[24:25]
	v_add_f64_e32 v[10:11], v[12:13], v[10:11]
	v_add_f64_e32 v[12:13], v[34:35], v[40:41]
	v_fma_f64 v[34:35], v[4:5], v[18:19], v[36:37]
	v_fma_f64 v[18:19], v[2:3], v[18:19], -v[20:21]
	ds_load_b128 v[2:5], v1 offset:2000
	v_fma_f64 v[8:9], v[8:9], v[22:23], v[16:17]
	v_fma_f64 v[6:7], v[6:7], v[22:23], -v[24:25]
	s_wait_loadcnt_dscnt 0x100
	v_mul_f64_e32 v[20:21], v[4:5], v[28:29]
	v_add_f64_e32 v[10:11], v[10:11], v[14:15]
	v_add_f64_e32 v[12:13], v[12:13], v[38:39]
	v_mul_f64_e32 v[14:15], v[2:3], v[28:29]
	s_delay_alu instid0(VALU_DEP_4) | instskip(NEXT) | instid1(VALU_DEP_4)
	v_fma_f64 v[2:3], v[2:3], v[26:27], -v[20:21]
	v_add_f64_e32 v[10:11], v[10:11], v[18:19]
	s_delay_alu instid0(VALU_DEP_4) | instskip(NEXT) | instid1(VALU_DEP_4)
	v_add_f64_e32 v[12:13], v[12:13], v[34:35]
	v_fma_f64 v[4:5], v[4:5], v[26:27], v[14:15]
	s_delay_alu instid0(VALU_DEP_3) | instskip(NEXT) | instid1(VALU_DEP_3)
	v_add_f64_e32 v[6:7], v[10:11], v[6:7]
	v_add_f64_e32 v[8:9], v[12:13], v[8:9]
	s_delay_alu instid0(VALU_DEP_2) | instskip(NEXT) | instid1(VALU_DEP_2)
	v_add_f64_e32 v[2:3], v[6:7], v[2:3]
	v_add_f64_e32 v[4:5], v[8:9], v[4:5]
	s_wait_loadcnt 0x0
	s_delay_alu instid0(VALU_DEP_2) | instskip(NEXT) | instid1(VALU_DEP_2)
	v_add_f64_e64 v[2:3], v[30:31], -v[2:3]
	v_add_f64_e64 v[4:5], v[32:33], -v[4:5]
	scratch_store_b128 off, v[2:5], off offset:736
	v_cmpx_lt_u32_e32 44, v0
	s_cbranch_execz .LBB62_315
; %bb.314:
	scratch_load_b128 v[5:8], off, s35
	v_dual_mov_b32 v2, v1 :: v_dual_mov_b32 v3, v1
	v_mov_b32_e32 v4, v1
	scratch_store_b128 off, v[1:4], off offset:720
	s_wait_loadcnt 0x0
	ds_store_b128 v168, v[5:8]
.LBB62_315:
	s_wait_alu 0xfffe
	s_or_b32 exec_lo, exec_lo, s0
	s_wait_storecnt_dscnt 0x0
	s_barrier_signal -1
	s_barrier_wait -1
	global_inv scope:SCOPE_SE
	s_clause 0x7
	scratch_load_b128 v[2:5], off, off offset:736
	scratch_load_b128 v[6:9], off, off offset:752
	;; [unrolled: 1-line block ×8, first 2 shown]
	ds_load_b128 v[34:37], v1 offset:1728
	ds_load_b128 v[169:172], v1 offset:1744
	s_clause 0x1
	scratch_load_b128 v[38:41], off, off offset:864
	scratch_load_b128 v[173:176], off, off offset:880
	s_mov_b32 s0, exec_lo
	s_wait_loadcnt_dscnt 0x901
	v_mul_f64_e32 v[177:178], v[36:37], v[4:5]
	v_mul_f64_e32 v[4:5], v[34:35], v[4:5]
	s_wait_loadcnt_dscnt 0x800
	v_mul_f64_e32 v[179:180], v[169:170], v[8:9]
	v_mul_f64_e32 v[8:9], v[171:172], v[8:9]
	s_delay_alu instid0(VALU_DEP_4) | instskip(NEXT) | instid1(VALU_DEP_4)
	v_fma_f64 v[177:178], v[34:35], v[2:3], -v[177:178]
	v_fma_f64 v[181:182], v[36:37], v[2:3], v[4:5]
	scratch_load_b128 v[34:37], off, off offset:896
	ds_load_b128 v[2:5], v1 offset:1760
	v_fma_f64 v[179:180], v[171:172], v[6:7], v[179:180]
	v_fma_f64 v[185:186], v[169:170], v[6:7], -v[8:9]
	ds_load_b128 v[6:9], v1 offset:1776
	scratch_load_b128 v[169:172], off, off offset:912
	s_wait_loadcnt_dscnt 0x901
	v_mul_f64_e32 v[183:184], v[2:3], v[12:13]
	v_mul_f64_e32 v[12:13], v[4:5], v[12:13]
	s_wait_loadcnt_dscnt 0x800
	v_mul_f64_e32 v[187:188], v[6:7], v[16:17]
	v_mul_f64_e32 v[16:17], v[8:9], v[16:17]
	v_add_f64_e32 v[177:178], 0, v[177:178]
	v_add_f64_e32 v[181:182], 0, v[181:182]
	v_fma_f64 v[183:184], v[4:5], v[10:11], v[183:184]
	v_fma_f64 v[189:190], v[2:3], v[10:11], -v[12:13]
	ds_load_b128 v[2:5], v1 offset:1792
	scratch_load_b128 v[10:13], off, off offset:928
	v_add_f64_e32 v[177:178], v[177:178], v[185:186]
	v_add_f64_e32 v[179:180], v[181:182], v[179:180]
	v_fma_f64 v[185:186], v[8:9], v[14:15], v[187:188]
	v_fma_f64 v[187:188], v[6:7], v[14:15], -v[16:17]
	ds_load_b128 v[6:9], v1 offset:1808
	scratch_load_b128 v[14:17], off, off offset:944
	s_wait_loadcnt_dscnt 0x901
	v_mul_f64_e32 v[181:182], v[2:3], v[20:21]
	v_mul_f64_e32 v[20:21], v[4:5], v[20:21]
	v_add_f64_e32 v[177:178], v[177:178], v[189:190]
	v_add_f64_e32 v[179:180], v[179:180], v[183:184]
	s_wait_loadcnt_dscnt 0x800
	v_mul_f64_e32 v[183:184], v[6:7], v[24:25]
	v_mul_f64_e32 v[24:25], v[8:9], v[24:25]
	v_fma_f64 v[181:182], v[4:5], v[18:19], v[181:182]
	v_fma_f64 v[189:190], v[2:3], v[18:19], -v[20:21]
	ds_load_b128 v[2:5], v1 offset:1824
	scratch_load_b128 v[18:21], off, off offset:960
	v_add_f64_e32 v[177:178], v[177:178], v[187:188]
	v_add_f64_e32 v[179:180], v[179:180], v[185:186]
	v_fma_f64 v[183:184], v[8:9], v[22:23], v[183:184]
	v_fma_f64 v[187:188], v[6:7], v[22:23], -v[24:25]
	ds_load_b128 v[6:9], v1 offset:1840
	s_wait_loadcnt_dscnt 0x801
	v_mul_f64_e32 v[185:186], v[2:3], v[28:29]
	v_mul_f64_e32 v[28:29], v[4:5], v[28:29]
	scratch_load_b128 v[22:25], off, off offset:976
	v_add_f64_e32 v[177:178], v[177:178], v[189:190]
	v_add_f64_e32 v[179:180], v[179:180], v[181:182]
	s_wait_loadcnt_dscnt 0x800
	v_mul_f64_e32 v[181:182], v[6:7], v[32:33]
	v_mul_f64_e32 v[32:33], v[8:9], v[32:33]
	v_fma_f64 v[185:186], v[4:5], v[26:27], v[185:186]
	v_fma_f64 v[189:190], v[2:3], v[26:27], -v[28:29]
	ds_load_b128 v[2:5], v1 offset:1856
	scratch_load_b128 v[26:29], off, off offset:992
	v_add_f64_e32 v[177:178], v[177:178], v[187:188]
	v_add_f64_e32 v[179:180], v[179:180], v[183:184]
	v_fma_f64 v[181:182], v[8:9], v[30:31], v[181:182]
	v_fma_f64 v[187:188], v[6:7], v[30:31], -v[32:33]
	ds_load_b128 v[6:9], v1 offset:1872
	s_wait_loadcnt_dscnt 0x801
	v_mul_f64_e32 v[183:184], v[2:3], v[40:41]
	v_mul_f64_e32 v[40:41], v[4:5], v[40:41]
	scratch_load_b128 v[30:33], off, off offset:1008
	v_add_f64_e32 v[177:178], v[177:178], v[189:190]
	v_add_f64_e32 v[179:180], v[179:180], v[185:186]
	v_fma_f64 v[183:184], v[4:5], v[38:39], v[183:184]
	v_fma_f64 v[38:39], v[2:3], v[38:39], -v[40:41]
	ds_load_b128 v[2:5], v1 offset:1888
	v_add_f64_e32 v[40:41], v[177:178], v[187:188]
	v_add_f64_e32 v[177:178], v[179:180], v[181:182]
	s_wait_loadcnt_dscnt 0x700
	v_mul_f64_e32 v[179:180], v[2:3], v[36:37]
	v_mul_f64_e32 v[36:37], v[4:5], v[36:37]
	s_delay_alu instid0(VALU_DEP_4) | instskip(NEXT) | instid1(VALU_DEP_4)
	v_add_f64_e32 v[38:39], v[40:41], v[38:39]
	v_add_f64_e32 v[40:41], v[177:178], v[183:184]
	s_delay_alu instid0(VALU_DEP_4) | instskip(NEXT) | instid1(VALU_DEP_4)
	v_fma_f64 v[177:178], v[4:5], v[34:35], v[179:180]
	v_fma_f64 v[179:180], v[2:3], v[34:35], -v[36:37]
	scratch_load_b128 v[34:37], off, off offset:720
	v_mul_f64_e32 v[185:186], v[6:7], v[175:176]
	v_mul_f64_e32 v[175:176], v[8:9], v[175:176]
	ds_load_b128 v[2:5], v1 offset:1920
	v_fma_f64 v[181:182], v[8:9], v[173:174], v[185:186]
	v_fma_f64 v[173:174], v[6:7], v[173:174], -v[175:176]
	ds_load_b128 v[6:9], v1 offset:1904
	s_wait_loadcnt_dscnt 0x700
	v_mul_f64_e32 v[175:176], v[6:7], v[171:172]
	v_mul_f64_e32 v[171:172], v[8:9], v[171:172]
	v_add_f64_e32 v[40:41], v[40:41], v[181:182]
	v_add_f64_e32 v[38:39], v[38:39], v[173:174]
	s_wait_loadcnt 0x6
	v_mul_f64_e32 v[173:174], v[2:3], v[12:13]
	v_mul_f64_e32 v[12:13], v[4:5], v[12:13]
	v_fma_f64 v[175:176], v[8:9], v[169:170], v[175:176]
	v_fma_f64 v[169:170], v[6:7], v[169:170], -v[171:172]
	ds_load_b128 v[6:9], v1 offset:1936
	v_add_f64_e32 v[40:41], v[40:41], v[177:178]
	v_add_f64_e32 v[38:39], v[38:39], v[179:180]
	v_fma_f64 v[173:174], v[4:5], v[10:11], v[173:174]
	v_fma_f64 v[10:11], v[2:3], v[10:11], -v[12:13]
	ds_load_b128 v[2:5], v1 offset:1952
	s_wait_loadcnt_dscnt 0x501
	v_mul_f64_e32 v[171:172], v[6:7], v[16:17]
	v_mul_f64_e32 v[16:17], v[8:9], v[16:17]
	v_add_f64_e32 v[12:13], v[38:39], v[169:170]
	v_add_f64_e32 v[38:39], v[40:41], v[175:176]
	s_wait_loadcnt_dscnt 0x400
	v_mul_f64_e32 v[40:41], v[2:3], v[20:21]
	v_mul_f64_e32 v[20:21], v[4:5], v[20:21]
	v_fma_f64 v[169:170], v[8:9], v[14:15], v[171:172]
	v_fma_f64 v[14:15], v[6:7], v[14:15], -v[16:17]
	ds_load_b128 v[6:9], v1 offset:1968
	v_add_f64_e32 v[10:11], v[12:13], v[10:11]
	v_add_f64_e32 v[12:13], v[38:39], v[173:174]
	v_fma_f64 v[38:39], v[4:5], v[18:19], v[40:41]
	v_fma_f64 v[18:19], v[2:3], v[18:19], -v[20:21]
	ds_load_b128 v[2:5], v1 offset:1984
	s_wait_loadcnt_dscnt 0x301
	v_mul_f64_e32 v[16:17], v[6:7], v[24:25]
	v_mul_f64_e32 v[24:25], v[8:9], v[24:25]
	s_wait_loadcnt_dscnt 0x200
	v_mul_f64_e32 v[20:21], v[4:5], v[28:29]
	v_add_f64_e32 v[10:11], v[10:11], v[14:15]
	v_add_f64_e32 v[12:13], v[12:13], v[169:170]
	v_mul_f64_e32 v[14:15], v[2:3], v[28:29]
	v_fma_f64 v[16:17], v[8:9], v[22:23], v[16:17]
	v_fma_f64 v[22:23], v[6:7], v[22:23], -v[24:25]
	ds_load_b128 v[6:9], v1 offset:2000
	v_fma_f64 v[1:2], v[2:3], v[26:27], -v[20:21]
	s_wait_loadcnt_dscnt 0x100
	v_mul_f64_e32 v[24:25], v[8:9], v[32:33]
	v_add_f64_e32 v[10:11], v[10:11], v[18:19]
	v_add_f64_e32 v[12:13], v[12:13], v[38:39]
	v_mul_f64_e32 v[18:19], v[6:7], v[32:33]
	v_fma_f64 v[4:5], v[4:5], v[26:27], v[14:15]
	v_fma_f64 v[6:7], v[6:7], v[30:31], -v[24:25]
	v_add_f64_e32 v[10:11], v[10:11], v[22:23]
	v_add_f64_e32 v[12:13], v[12:13], v[16:17]
	v_fma_f64 v[8:9], v[8:9], v[30:31], v[18:19]
	s_delay_alu instid0(VALU_DEP_3) | instskip(NEXT) | instid1(VALU_DEP_3)
	v_add_f64_e32 v[1:2], v[10:11], v[1:2]
	v_add_f64_e32 v[3:4], v[12:13], v[4:5]
	s_delay_alu instid0(VALU_DEP_2) | instskip(NEXT) | instid1(VALU_DEP_2)
	v_add_f64_e32 v[1:2], v[1:2], v[6:7]
	v_add_f64_e32 v[3:4], v[3:4], v[8:9]
	s_wait_loadcnt 0x0
	s_delay_alu instid0(VALU_DEP_2) | instskip(NEXT) | instid1(VALU_DEP_2)
	v_add_f64_e64 v[1:2], v[34:35], -v[1:2]
	v_add_f64_e64 v[3:4], v[36:37], -v[3:4]
	scratch_store_b128 off, v[1:4], off offset:720
	v_cmpx_lt_u32_e32 43, v0
	s_cbranch_execz .LBB62_317
; %bb.316:
	scratch_load_b128 v[1:4], off, s34
	v_mov_b32_e32 v5, 0
	s_delay_alu instid0(VALU_DEP_1)
	v_dual_mov_b32 v6, v5 :: v_dual_mov_b32 v7, v5
	v_mov_b32_e32 v8, v5
	scratch_store_b128 off, v[5:8], off offset:704
	s_wait_loadcnt 0x0
	ds_store_b128 v168, v[1:4]
.LBB62_317:
	s_wait_alu 0xfffe
	s_or_b32 exec_lo, exec_lo, s0
	s_wait_storecnt_dscnt 0x0
	s_barrier_signal -1
	s_barrier_wait -1
	global_inv scope:SCOPE_SE
	s_clause 0x7
	scratch_load_b128 v[2:5], off, off offset:720
	scratch_load_b128 v[6:9], off, off offset:736
	;; [unrolled: 1-line block ×8, first 2 shown]
	v_mov_b32_e32 v1, 0
	s_clause 0x1
	scratch_load_b128 v[38:41], off, off offset:848
	scratch_load_b128 v[173:176], off, off offset:864
	s_mov_b32 s0, exec_lo
	ds_load_b128 v[34:37], v1 offset:1712
	ds_load_b128 v[169:172], v1 offset:1728
	s_wait_loadcnt_dscnt 0x901
	v_mul_f64_e32 v[177:178], v[36:37], v[4:5]
	v_mul_f64_e32 v[4:5], v[34:35], v[4:5]
	s_wait_loadcnt_dscnt 0x800
	v_mul_f64_e32 v[179:180], v[169:170], v[8:9]
	v_mul_f64_e32 v[8:9], v[171:172], v[8:9]
	s_delay_alu instid0(VALU_DEP_4) | instskip(NEXT) | instid1(VALU_DEP_4)
	v_fma_f64 v[177:178], v[34:35], v[2:3], -v[177:178]
	v_fma_f64 v[181:182], v[36:37], v[2:3], v[4:5]
	ds_load_b128 v[2:5], v1 offset:1744
	scratch_load_b128 v[34:37], off, off offset:880
	v_fma_f64 v[179:180], v[171:172], v[6:7], v[179:180]
	v_fma_f64 v[185:186], v[169:170], v[6:7], -v[8:9]
	ds_load_b128 v[6:9], v1 offset:1760
	scratch_load_b128 v[169:172], off, off offset:896
	s_wait_loadcnt_dscnt 0x901
	v_mul_f64_e32 v[183:184], v[2:3], v[12:13]
	v_mul_f64_e32 v[12:13], v[4:5], v[12:13]
	s_wait_loadcnt_dscnt 0x800
	v_mul_f64_e32 v[187:188], v[6:7], v[16:17]
	v_mul_f64_e32 v[16:17], v[8:9], v[16:17]
	v_add_f64_e32 v[177:178], 0, v[177:178]
	v_add_f64_e32 v[181:182], 0, v[181:182]
	v_fma_f64 v[183:184], v[4:5], v[10:11], v[183:184]
	v_fma_f64 v[189:190], v[2:3], v[10:11], -v[12:13]
	ds_load_b128 v[2:5], v1 offset:1776
	scratch_load_b128 v[10:13], off, off offset:912
	v_add_f64_e32 v[177:178], v[177:178], v[185:186]
	v_add_f64_e32 v[179:180], v[181:182], v[179:180]
	v_fma_f64 v[185:186], v[8:9], v[14:15], v[187:188]
	v_fma_f64 v[187:188], v[6:7], v[14:15], -v[16:17]
	ds_load_b128 v[6:9], v1 offset:1792
	scratch_load_b128 v[14:17], off, off offset:928
	s_wait_loadcnt_dscnt 0x901
	v_mul_f64_e32 v[181:182], v[2:3], v[20:21]
	v_mul_f64_e32 v[20:21], v[4:5], v[20:21]
	v_add_f64_e32 v[177:178], v[177:178], v[189:190]
	v_add_f64_e32 v[179:180], v[179:180], v[183:184]
	s_wait_loadcnt_dscnt 0x800
	v_mul_f64_e32 v[183:184], v[6:7], v[24:25]
	v_mul_f64_e32 v[24:25], v[8:9], v[24:25]
	v_fma_f64 v[181:182], v[4:5], v[18:19], v[181:182]
	v_fma_f64 v[189:190], v[2:3], v[18:19], -v[20:21]
	ds_load_b128 v[2:5], v1 offset:1808
	scratch_load_b128 v[18:21], off, off offset:944
	v_add_f64_e32 v[177:178], v[177:178], v[187:188]
	v_add_f64_e32 v[179:180], v[179:180], v[185:186]
	v_fma_f64 v[183:184], v[8:9], v[22:23], v[183:184]
	v_fma_f64 v[187:188], v[6:7], v[22:23], -v[24:25]
	ds_load_b128 v[6:9], v1 offset:1824
	s_wait_loadcnt_dscnt 0x801
	v_mul_f64_e32 v[185:186], v[2:3], v[28:29]
	v_mul_f64_e32 v[28:29], v[4:5], v[28:29]
	scratch_load_b128 v[22:25], off, off offset:960
	v_add_f64_e32 v[177:178], v[177:178], v[189:190]
	v_add_f64_e32 v[179:180], v[179:180], v[181:182]
	s_wait_loadcnt_dscnt 0x800
	v_mul_f64_e32 v[181:182], v[6:7], v[32:33]
	v_mul_f64_e32 v[32:33], v[8:9], v[32:33]
	v_fma_f64 v[185:186], v[4:5], v[26:27], v[185:186]
	v_fma_f64 v[189:190], v[2:3], v[26:27], -v[28:29]
	ds_load_b128 v[2:5], v1 offset:1840
	scratch_load_b128 v[26:29], off, off offset:976
	v_add_f64_e32 v[177:178], v[177:178], v[187:188]
	v_add_f64_e32 v[179:180], v[179:180], v[183:184]
	v_fma_f64 v[181:182], v[8:9], v[30:31], v[181:182]
	v_fma_f64 v[187:188], v[6:7], v[30:31], -v[32:33]
	ds_load_b128 v[6:9], v1 offset:1856
	s_wait_loadcnt_dscnt 0x801
	v_mul_f64_e32 v[183:184], v[2:3], v[40:41]
	v_mul_f64_e32 v[40:41], v[4:5], v[40:41]
	scratch_load_b128 v[30:33], off, off offset:992
	v_add_f64_e32 v[177:178], v[177:178], v[189:190]
	v_add_f64_e32 v[179:180], v[179:180], v[185:186]
	s_wait_loadcnt_dscnt 0x800
	v_mul_f64_e32 v[185:186], v[6:7], v[175:176]
	v_mul_f64_e32 v[175:176], v[8:9], v[175:176]
	v_fma_f64 v[183:184], v[4:5], v[38:39], v[183:184]
	v_fma_f64 v[189:190], v[2:3], v[38:39], -v[40:41]
	ds_load_b128 v[2:5], v1 offset:1872
	scratch_load_b128 v[38:41], off, off offset:1008
	v_add_f64_e32 v[177:178], v[177:178], v[187:188]
	v_add_f64_e32 v[179:180], v[179:180], v[181:182]
	v_fma_f64 v[185:186], v[8:9], v[173:174], v[185:186]
	v_fma_f64 v[173:174], v[6:7], v[173:174], -v[175:176]
	ds_load_b128 v[6:9], v1 offset:1888
	s_wait_loadcnt_dscnt 0x801
	v_mul_f64_e32 v[181:182], v[2:3], v[36:37]
	v_mul_f64_e32 v[36:37], v[4:5], v[36:37]
	v_add_f64_e32 v[175:176], v[177:178], v[189:190]
	v_add_f64_e32 v[177:178], v[179:180], v[183:184]
	s_wait_loadcnt_dscnt 0x700
	v_mul_f64_e32 v[179:180], v[6:7], v[171:172]
	v_mul_f64_e32 v[171:172], v[8:9], v[171:172]
	v_fma_f64 v[181:182], v[4:5], v[34:35], v[181:182]
	v_fma_f64 v[34:35], v[2:3], v[34:35], -v[36:37]
	ds_load_b128 v[2:5], v1 offset:1904
	v_add_f64_e32 v[36:37], v[175:176], v[173:174]
	v_add_f64_e32 v[173:174], v[177:178], v[185:186]
	v_fma_f64 v[177:178], v[8:9], v[169:170], v[179:180]
	v_fma_f64 v[169:170], v[6:7], v[169:170], -v[171:172]
	ds_load_b128 v[6:9], v1 offset:1920
	s_wait_loadcnt_dscnt 0x500
	v_mul_f64_e32 v[179:180], v[6:7], v[16:17]
	v_mul_f64_e32 v[16:17], v[8:9], v[16:17]
	v_add_f64_e32 v[171:172], v[36:37], v[34:35]
	v_add_f64_e32 v[173:174], v[173:174], v[181:182]
	scratch_load_b128 v[34:37], off, off offset:704
	v_mul_f64_e32 v[175:176], v[2:3], v[12:13]
	v_mul_f64_e32 v[12:13], v[4:5], v[12:13]
	s_delay_alu instid0(VALU_DEP_2) | instskip(NEXT) | instid1(VALU_DEP_2)
	v_fma_f64 v[175:176], v[4:5], v[10:11], v[175:176]
	v_fma_f64 v[10:11], v[2:3], v[10:11], -v[12:13]
	v_add_f64_e32 v[12:13], v[171:172], v[169:170]
	v_add_f64_e32 v[169:170], v[173:174], v[177:178]
	ds_load_b128 v[2:5], v1 offset:1936
	v_fma_f64 v[173:174], v[8:9], v[14:15], v[179:180]
	v_fma_f64 v[14:15], v[6:7], v[14:15], -v[16:17]
	ds_load_b128 v[6:9], v1 offset:1952
	s_wait_loadcnt_dscnt 0x501
	v_mul_f64_e32 v[171:172], v[2:3], v[20:21]
	v_mul_f64_e32 v[20:21], v[4:5], v[20:21]
	s_wait_loadcnt_dscnt 0x400
	v_mul_f64_e32 v[16:17], v[6:7], v[24:25]
	v_mul_f64_e32 v[24:25], v[8:9], v[24:25]
	v_add_f64_e32 v[10:11], v[12:13], v[10:11]
	v_add_f64_e32 v[12:13], v[169:170], v[175:176]
	v_fma_f64 v[169:170], v[4:5], v[18:19], v[171:172]
	v_fma_f64 v[18:19], v[2:3], v[18:19], -v[20:21]
	ds_load_b128 v[2:5], v1 offset:1968
	v_fma_f64 v[16:17], v[8:9], v[22:23], v[16:17]
	v_fma_f64 v[22:23], v[6:7], v[22:23], -v[24:25]
	ds_load_b128 v[6:9], v1 offset:1984
	v_add_f64_e32 v[10:11], v[10:11], v[14:15]
	v_add_f64_e32 v[12:13], v[12:13], v[173:174]
	s_wait_loadcnt_dscnt 0x301
	v_mul_f64_e32 v[14:15], v[2:3], v[28:29]
	v_mul_f64_e32 v[20:21], v[4:5], v[28:29]
	s_wait_loadcnt_dscnt 0x200
	v_mul_f64_e32 v[24:25], v[8:9], v[32:33]
	v_add_f64_e32 v[10:11], v[10:11], v[18:19]
	v_add_f64_e32 v[12:13], v[12:13], v[169:170]
	v_mul_f64_e32 v[18:19], v[6:7], v[32:33]
	v_fma_f64 v[14:15], v[4:5], v[26:27], v[14:15]
	v_fma_f64 v[20:21], v[2:3], v[26:27], -v[20:21]
	ds_load_b128 v[2:5], v1 offset:2000
	v_fma_f64 v[6:7], v[6:7], v[30:31], -v[24:25]
	v_add_f64_e32 v[10:11], v[10:11], v[22:23]
	v_add_f64_e32 v[12:13], v[12:13], v[16:17]
	s_wait_loadcnt_dscnt 0x100
	v_mul_f64_e32 v[16:17], v[2:3], v[40:41]
	v_mul_f64_e32 v[22:23], v[4:5], v[40:41]
	v_fma_f64 v[8:9], v[8:9], v[30:31], v[18:19]
	v_add_f64_e32 v[10:11], v[10:11], v[20:21]
	v_add_f64_e32 v[12:13], v[12:13], v[14:15]
	v_fma_f64 v[4:5], v[4:5], v[38:39], v[16:17]
	v_fma_f64 v[2:3], v[2:3], v[38:39], -v[22:23]
	s_delay_alu instid0(VALU_DEP_4) | instskip(NEXT) | instid1(VALU_DEP_4)
	v_add_f64_e32 v[6:7], v[10:11], v[6:7]
	v_add_f64_e32 v[8:9], v[12:13], v[8:9]
	s_delay_alu instid0(VALU_DEP_2) | instskip(NEXT) | instid1(VALU_DEP_2)
	v_add_f64_e32 v[2:3], v[6:7], v[2:3]
	v_add_f64_e32 v[4:5], v[8:9], v[4:5]
	s_wait_loadcnt 0x0
	s_delay_alu instid0(VALU_DEP_2) | instskip(NEXT) | instid1(VALU_DEP_2)
	v_add_f64_e64 v[2:3], v[34:35], -v[2:3]
	v_add_f64_e64 v[4:5], v[36:37], -v[4:5]
	scratch_store_b128 off, v[2:5], off offset:704
	v_cmpx_lt_u32_e32 42, v0
	s_cbranch_execz .LBB62_319
; %bb.318:
	scratch_load_b128 v[5:8], off, s26
	v_dual_mov_b32 v2, v1 :: v_dual_mov_b32 v3, v1
	v_mov_b32_e32 v4, v1
	scratch_store_b128 off, v[1:4], off offset:688
	s_wait_loadcnt 0x0
	ds_store_b128 v168, v[5:8]
.LBB62_319:
	s_wait_alu 0xfffe
	s_or_b32 exec_lo, exec_lo, s0
	s_wait_storecnt_dscnt 0x0
	s_barrier_signal -1
	s_barrier_wait -1
	global_inv scope:SCOPE_SE
	s_clause 0x7
	scratch_load_b128 v[2:5], off, off offset:704
	scratch_load_b128 v[6:9], off, off offset:720
	;; [unrolled: 1-line block ×8, first 2 shown]
	ds_load_b128 v[34:37], v1 offset:1696
	ds_load_b128 v[169:172], v1 offset:1712
	s_clause 0x1
	scratch_load_b128 v[38:41], off, off offset:832
	scratch_load_b128 v[173:176], off, off offset:848
	s_mov_b32 s0, exec_lo
	s_wait_loadcnt_dscnt 0x901
	v_mul_f64_e32 v[177:178], v[36:37], v[4:5]
	v_mul_f64_e32 v[4:5], v[34:35], v[4:5]
	s_wait_loadcnt_dscnt 0x800
	v_mul_f64_e32 v[179:180], v[169:170], v[8:9]
	v_mul_f64_e32 v[8:9], v[171:172], v[8:9]
	s_delay_alu instid0(VALU_DEP_4) | instskip(NEXT) | instid1(VALU_DEP_4)
	v_fma_f64 v[177:178], v[34:35], v[2:3], -v[177:178]
	v_fma_f64 v[181:182], v[36:37], v[2:3], v[4:5]
	ds_load_b128 v[2:5], v1 offset:1728
	scratch_load_b128 v[34:37], off, off offset:864
	v_fma_f64 v[179:180], v[171:172], v[6:7], v[179:180]
	v_fma_f64 v[185:186], v[169:170], v[6:7], -v[8:9]
	ds_load_b128 v[6:9], v1 offset:1744
	scratch_load_b128 v[169:172], off, off offset:880
	s_wait_loadcnt_dscnt 0x901
	v_mul_f64_e32 v[183:184], v[2:3], v[12:13]
	v_mul_f64_e32 v[12:13], v[4:5], v[12:13]
	s_wait_loadcnt_dscnt 0x800
	v_mul_f64_e32 v[187:188], v[6:7], v[16:17]
	v_mul_f64_e32 v[16:17], v[8:9], v[16:17]
	v_add_f64_e32 v[177:178], 0, v[177:178]
	v_add_f64_e32 v[181:182], 0, v[181:182]
	v_fma_f64 v[183:184], v[4:5], v[10:11], v[183:184]
	v_fma_f64 v[189:190], v[2:3], v[10:11], -v[12:13]
	scratch_load_b128 v[10:13], off, off offset:896
	ds_load_b128 v[2:5], v1 offset:1760
	v_add_f64_e32 v[177:178], v[177:178], v[185:186]
	v_add_f64_e32 v[179:180], v[181:182], v[179:180]
	v_fma_f64 v[185:186], v[8:9], v[14:15], v[187:188]
	v_fma_f64 v[187:188], v[6:7], v[14:15], -v[16:17]
	ds_load_b128 v[6:9], v1 offset:1776
	scratch_load_b128 v[14:17], off, off offset:912
	s_wait_loadcnt_dscnt 0x901
	v_mul_f64_e32 v[181:182], v[2:3], v[20:21]
	v_mul_f64_e32 v[20:21], v[4:5], v[20:21]
	v_add_f64_e32 v[177:178], v[177:178], v[189:190]
	v_add_f64_e32 v[179:180], v[179:180], v[183:184]
	s_wait_loadcnt_dscnt 0x800
	v_mul_f64_e32 v[183:184], v[6:7], v[24:25]
	v_mul_f64_e32 v[24:25], v[8:9], v[24:25]
	v_fma_f64 v[181:182], v[4:5], v[18:19], v[181:182]
	v_fma_f64 v[189:190], v[2:3], v[18:19], -v[20:21]
	ds_load_b128 v[2:5], v1 offset:1792
	scratch_load_b128 v[18:21], off, off offset:928
	v_add_f64_e32 v[177:178], v[177:178], v[187:188]
	v_add_f64_e32 v[179:180], v[179:180], v[185:186]
	v_fma_f64 v[183:184], v[8:9], v[22:23], v[183:184]
	v_fma_f64 v[187:188], v[6:7], v[22:23], -v[24:25]
	ds_load_b128 v[6:9], v1 offset:1808
	s_wait_loadcnt_dscnt 0x801
	v_mul_f64_e32 v[185:186], v[2:3], v[28:29]
	v_mul_f64_e32 v[28:29], v[4:5], v[28:29]
	scratch_load_b128 v[22:25], off, off offset:944
	v_add_f64_e32 v[177:178], v[177:178], v[189:190]
	v_add_f64_e32 v[179:180], v[179:180], v[181:182]
	s_wait_loadcnt_dscnt 0x800
	v_mul_f64_e32 v[181:182], v[6:7], v[32:33]
	v_mul_f64_e32 v[32:33], v[8:9], v[32:33]
	v_fma_f64 v[185:186], v[4:5], v[26:27], v[185:186]
	v_fma_f64 v[189:190], v[2:3], v[26:27], -v[28:29]
	ds_load_b128 v[2:5], v1 offset:1824
	scratch_load_b128 v[26:29], off, off offset:960
	v_add_f64_e32 v[177:178], v[177:178], v[187:188]
	v_add_f64_e32 v[179:180], v[179:180], v[183:184]
	v_fma_f64 v[181:182], v[8:9], v[30:31], v[181:182]
	v_fma_f64 v[187:188], v[6:7], v[30:31], -v[32:33]
	ds_load_b128 v[6:9], v1 offset:1840
	s_wait_loadcnt_dscnt 0x801
	v_mul_f64_e32 v[183:184], v[2:3], v[40:41]
	v_mul_f64_e32 v[40:41], v[4:5], v[40:41]
	scratch_load_b128 v[30:33], off, off offset:976
	v_add_f64_e32 v[177:178], v[177:178], v[189:190]
	v_add_f64_e32 v[179:180], v[179:180], v[185:186]
	s_wait_loadcnt_dscnt 0x800
	v_mul_f64_e32 v[185:186], v[6:7], v[175:176]
	v_mul_f64_e32 v[175:176], v[8:9], v[175:176]
	v_fma_f64 v[183:184], v[4:5], v[38:39], v[183:184]
	v_fma_f64 v[189:190], v[2:3], v[38:39], -v[40:41]
	ds_load_b128 v[2:5], v1 offset:1856
	scratch_load_b128 v[38:41], off, off offset:992
	v_add_f64_e32 v[177:178], v[177:178], v[187:188]
	v_add_f64_e32 v[179:180], v[179:180], v[181:182]
	v_fma_f64 v[185:186], v[8:9], v[173:174], v[185:186]
	v_fma_f64 v[187:188], v[6:7], v[173:174], -v[175:176]
	ds_load_b128 v[6:9], v1 offset:1872
	scratch_load_b128 v[173:176], off, off offset:1008
	s_wait_loadcnt_dscnt 0x901
	v_mul_f64_e32 v[181:182], v[2:3], v[36:37]
	v_mul_f64_e32 v[36:37], v[4:5], v[36:37]
	v_add_f64_e32 v[177:178], v[177:178], v[189:190]
	v_add_f64_e32 v[179:180], v[179:180], v[183:184]
	s_delay_alu instid0(VALU_DEP_4) | instskip(NEXT) | instid1(VALU_DEP_4)
	v_fma_f64 v[181:182], v[4:5], v[34:35], v[181:182]
	v_fma_f64 v[34:35], v[2:3], v[34:35], -v[36:37]
	ds_load_b128 v[2:5], v1 offset:1888
	v_add_f64_e32 v[36:37], v[177:178], v[187:188]
	v_add_f64_e32 v[177:178], v[179:180], v[185:186]
	s_wait_loadcnt_dscnt 0x700
	v_mul_f64_e32 v[179:180], v[2:3], v[12:13]
	v_mul_f64_e32 v[12:13], v[4:5], v[12:13]
	s_delay_alu instid0(VALU_DEP_4) | instskip(NEXT) | instid1(VALU_DEP_4)
	v_add_f64_e32 v[34:35], v[36:37], v[34:35]
	v_add_f64_e32 v[36:37], v[177:178], v[181:182]
	s_delay_alu instid0(VALU_DEP_4) | instskip(NEXT) | instid1(VALU_DEP_4)
	v_fma_f64 v[177:178], v[4:5], v[10:11], v[179:180]
	v_fma_f64 v[179:180], v[2:3], v[10:11], -v[12:13]
	scratch_load_b128 v[10:13], off, off offset:688
	v_mul_f64_e32 v[183:184], v[6:7], v[171:172]
	v_mul_f64_e32 v[171:172], v[8:9], v[171:172]
	ds_load_b128 v[2:5], v1 offset:1920
	v_fma_f64 v[183:184], v[8:9], v[169:170], v[183:184]
	v_fma_f64 v[169:170], v[6:7], v[169:170], -v[171:172]
	ds_load_b128 v[6:9], v1 offset:1904
	s_wait_loadcnt_dscnt 0x700
	v_mul_f64_e32 v[171:172], v[6:7], v[16:17]
	v_mul_f64_e32 v[16:17], v[8:9], v[16:17]
	v_add_f64_e32 v[36:37], v[36:37], v[183:184]
	v_add_f64_e32 v[34:35], v[34:35], v[169:170]
	s_wait_loadcnt 0x6
	v_mul_f64_e32 v[169:170], v[2:3], v[20:21]
	v_mul_f64_e32 v[20:21], v[4:5], v[20:21]
	v_fma_f64 v[171:172], v[8:9], v[14:15], v[171:172]
	v_fma_f64 v[14:15], v[6:7], v[14:15], -v[16:17]
	ds_load_b128 v[6:9], v1 offset:1936
	v_add_f64_e32 v[16:17], v[34:35], v[179:180]
	v_add_f64_e32 v[34:35], v[36:37], v[177:178]
	v_fma_f64 v[169:170], v[4:5], v[18:19], v[169:170]
	v_fma_f64 v[18:19], v[2:3], v[18:19], -v[20:21]
	ds_load_b128 v[2:5], v1 offset:1952
	s_wait_loadcnt_dscnt 0x501
	v_mul_f64_e32 v[36:37], v[6:7], v[24:25]
	v_mul_f64_e32 v[24:25], v[8:9], v[24:25]
	s_wait_loadcnt_dscnt 0x400
	v_mul_f64_e32 v[20:21], v[2:3], v[28:29]
	v_mul_f64_e32 v[28:29], v[4:5], v[28:29]
	v_add_f64_e32 v[14:15], v[16:17], v[14:15]
	v_add_f64_e32 v[16:17], v[34:35], v[171:172]
	v_fma_f64 v[34:35], v[8:9], v[22:23], v[36:37]
	v_fma_f64 v[22:23], v[6:7], v[22:23], -v[24:25]
	ds_load_b128 v[6:9], v1 offset:1968
	v_fma_f64 v[20:21], v[4:5], v[26:27], v[20:21]
	v_fma_f64 v[26:27], v[2:3], v[26:27], -v[28:29]
	ds_load_b128 v[2:5], v1 offset:1984
	s_wait_loadcnt_dscnt 0x301
	v_mul_f64_e32 v[24:25], v[8:9], v[32:33]
	v_add_f64_e32 v[14:15], v[14:15], v[18:19]
	v_add_f64_e32 v[16:17], v[16:17], v[169:170]
	v_mul_f64_e32 v[18:19], v[6:7], v[32:33]
	s_wait_loadcnt_dscnt 0x200
	v_mul_f64_e32 v[28:29], v[4:5], v[40:41]
	v_fma_f64 v[24:25], v[6:7], v[30:31], -v[24:25]
	v_add_f64_e32 v[14:15], v[14:15], v[22:23]
	v_add_f64_e32 v[16:17], v[16:17], v[34:35]
	v_mul_f64_e32 v[22:23], v[2:3], v[40:41]
	v_fma_f64 v[18:19], v[8:9], v[30:31], v[18:19]
	ds_load_b128 v[6:9], v1 offset:2000
	v_fma_f64 v[1:2], v[2:3], v[38:39], -v[28:29]
	v_add_f64_e32 v[14:15], v[14:15], v[26:27]
	v_add_f64_e32 v[16:17], v[16:17], v[20:21]
	s_wait_loadcnt_dscnt 0x100
	v_mul_f64_e32 v[20:21], v[6:7], v[175:176]
	v_mul_f64_e32 v[26:27], v[8:9], v[175:176]
	v_fma_f64 v[4:5], v[4:5], v[38:39], v[22:23]
	v_add_f64_e32 v[14:15], v[14:15], v[24:25]
	v_add_f64_e32 v[16:17], v[16:17], v[18:19]
	v_fma_f64 v[8:9], v[8:9], v[173:174], v[20:21]
	v_fma_f64 v[6:7], v[6:7], v[173:174], -v[26:27]
	s_delay_alu instid0(VALU_DEP_4) | instskip(NEXT) | instid1(VALU_DEP_4)
	v_add_f64_e32 v[1:2], v[14:15], v[1:2]
	v_add_f64_e32 v[3:4], v[16:17], v[4:5]
	s_delay_alu instid0(VALU_DEP_2) | instskip(NEXT) | instid1(VALU_DEP_2)
	v_add_f64_e32 v[1:2], v[1:2], v[6:7]
	v_add_f64_e32 v[3:4], v[3:4], v[8:9]
	s_wait_loadcnt 0x0
	s_delay_alu instid0(VALU_DEP_2) | instskip(NEXT) | instid1(VALU_DEP_2)
	v_add_f64_e64 v[1:2], v[10:11], -v[1:2]
	v_add_f64_e64 v[3:4], v[12:13], -v[3:4]
	scratch_store_b128 off, v[1:4], off offset:688
	v_cmpx_lt_u32_e32 41, v0
	s_cbranch_execz .LBB62_321
; %bb.320:
	scratch_load_b128 v[1:4], off, s30
	v_mov_b32_e32 v5, 0
	s_delay_alu instid0(VALU_DEP_1)
	v_dual_mov_b32 v6, v5 :: v_dual_mov_b32 v7, v5
	v_mov_b32_e32 v8, v5
	scratch_store_b128 off, v[5:8], off offset:672
	s_wait_loadcnt 0x0
	ds_store_b128 v168, v[1:4]
.LBB62_321:
	s_wait_alu 0xfffe
	s_or_b32 exec_lo, exec_lo, s0
	s_wait_storecnt_dscnt 0x0
	s_barrier_signal -1
	s_barrier_wait -1
	global_inv scope:SCOPE_SE
	s_clause 0x7
	scratch_load_b128 v[2:5], off, off offset:688
	scratch_load_b128 v[6:9], off, off offset:704
	;; [unrolled: 1-line block ×8, first 2 shown]
	v_mov_b32_e32 v1, 0
	s_clause 0x1
	scratch_load_b128 v[38:41], off, off offset:816
	scratch_load_b128 v[173:176], off, off offset:832
	s_mov_b32 s0, exec_lo
	ds_load_b128 v[34:37], v1 offset:1680
	ds_load_b128 v[169:172], v1 offset:1696
	s_wait_loadcnt_dscnt 0x901
	v_mul_f64_e32 v[177:178], v[36:37], v[4:5]
	v_mul_f64_e32 v[4:5], v[34:35], v[4:5]
	s_wait_loadcnt_dscnt 0x800
	v_mul_f64_e32 v[179:180], v[169:170], v[8:9]
	v_mul_f64_e32 v[8:9], v[171:172], v[8:9]
	s_delay_alu instid0(VALU_DEP_4) | instskip(NEXT) | instid1(VALU_DEP_4)
	v_fma_f64 v[177:178], v[34:35], v[2:3], -v[177:178]
	v_fma_f64 v[181:182], v[36:37], v[2:3], v[4:5]
	ds_load_b128 v[2:5], v1 offset:1712
	scratch_load_b128 v[34:37], off, off offset:848
	v_fma_f64 v[179:180], v[171:172], v[6:7], v[179:180]
	v_fma_f64 v[185:186], v[169:170], v[6:7], -v[8:9]
	ds_load_b128 v[6:9], v1 offset:1728
	scratch_load_b128 v[169:172], off, off offset:864
	s_wait_loadcnt_dscnt 0x901
	v_mul_f64_e32 v[183:184], v[2:3], v[12:13]
	v_mul_f64_e32 v[12:13], v[4:5], v[12:13]
	s_wait_loadcnt_dscnt 0x800
	v_mul_f64_e32 v[187:188], v[6:7], v[16:17]
	v_mul_f64_e32 v[16:17], v[8:9], v[16:17]
	v_add_f64_e32 v[177:178], 0, v[177:178]
	v_add_f64_e32 v[181:182], 0, v[181:182]
	v_fma_f64 v[183:184], v[4:5], v[10:11], v[183:184]
	v_fma_f64 v[189:190], v[2:3], v[10:11], -v[12:13]
	ds_load_b128 v[2:5], v1 offset:1744
	scratch_load_b128 v[10:13], off, off offset:880
	v_add_f64_e32 v[177:178], v[177:178], v[185:186]
	v_add_f64_e32 v[179:180], v[181:182], v[179:180]
	v_fma_f64 v[185:186], v[8:9], v[14:15], v[187:188]
	v_fma_f64 v[187:188], v[6:7], v[14:15], -v[16:17]
	ds_load_b128 v[6:9], v1 offset:1760
	scratch_load_b128 v[14:17], off, off offset:896
	s_wait_loadcnt_dscnt 0x901
	v_mul_f64_e32 v[181:182], v[2:3], v[20:21]
	v_mul_f64_e32 v[20:21], v[4:5], v[20:21]
	v_add_f64_e32 v[177:178], v[177:178], v[189:190]
	v_add_f64_e32 v[179:180], v[179:180], v[183:184]
	s_wait_loadcnt_dscnt 0x800
	v_mul_f64_e32 v[183:184], v[6:7], v[24:25]
	v_mul_f64_e32 v[24:25], v[8:9], v[24:25]
	v_fma_f64 v[181:182], v[4:5], v[18:19], v[181:182]
	v_fma_f64 v[189:190], v[2:3], v[18:19], -v[20:21]
	ds_load_b128 v[2:5], v1 offset:1776
	scratch_load_b128 v[18:21], off, off offset:912
	v_add_f64_e32 v[177:178], v[177:178], v[187:188]
	v_add_f64_e32 v[179:180], v[179:180], v[185:186]
	v_fma_f64 v[183:184], v[8:9], v[22:23], v[183:184]
	v_fma_f64 v[187:188], v[6:7], v[22:23], -v[24:25]
	ds_load_b128 v[6:9], v1 offset:1792
	s_wait_loadcnt_dscnt 0x801
	v_mul_f64_e32 v[185:186], v[2:3], v[28:29]
	v_mul_f64_e32 v[28:29], v[4:5], v[28:29]
	scratch_load_b128 v[22:25], off, off offset:928
	v_add_f64_e32 v[177:178], v[177:178], v[189:190]
	v_add_f64_e32 v[179:180], v[179:180], v[181:182]
	s_wait_loadcnt_dscnt 0x800
	v_mul_f64_e32 v[181:182], v[6:7], v[32:33]
	v_mul_f64_e32 v[32:33], v[8:9], v[32:33]
	v_fma_f64 v[185:186], v[4:5], v[26:27], v[185:186]
	v_fma_f64 v[189:190], v[2:3], v[26:27], -v[28:29]
	ds_load_b128 v[2:5], v1 offset:1808
	scratch_load_b128 v[26:29], off, off offset:944
	v_add_f64_e32 v[177:178], v[177:178], v[187:188]
	v_add_f64_e32 v[179:180], v[179:180], v[183:184]
	v_fma_f64 v[181:182], v[8:9], v[30:31], v[181:182]
	v_fma_f64 v[187:188], v[6:7], v[30:31], -v[32:33]
	ds_load_b128 v[6:9], v1 offset:1824
	s_wait_loadcnt_dscnt 0x801
	v_mul_f64_e32 v[183:184], v[2:3], v[40:41]
	v_mul_f64_e32 v[40:41], v[4:5], v[40:41]
	scratch_load_b128 v[30:33], off, off offset:960
	v_add_f64_e32 v[177:178], v[177:178], v[189:190]
	v_add_f64_e32 v[179:180], v[179:180], v[185:186]
	s_wait_loadcnt_dscnt 0x800
	v_mul_f64_e32 v[185:186], v[6:7], v[175:176]
	v_mul_f64_e32 v[175:176], v[8:9], v[175:176]
	v_fma_f64 v[183:184], v[4:5], v[38:39], v[183:184]
	v_fma_f64 v[189:190], v[2:3], v[38:39], -v[40:41]
	ds_load_b128 v[2:5], v1 offset:1840
	scratch_load_b128 v[38:41], off, off offset:976
	v_add_f64_e32 v[177:178], v[177:178], v[187:188]
	v_add_f64_e32 v[179:180], v[179:180], v[181:182]
	v_fma_f64 v[185:186], v[8:9], v[173:174], v[185:186]
	v_fma_f64 v[187:188], v[6:7], v[173:174], -v[175:176]
	ds_load_b128 v[6:9], v1 offset:1856
	scratch_load_b128 v[173:176], off, off offset:992
	s_wait_loadcnt_dscnt 0x901
	v_mul_f64_e32 v[181:182], v[2:3], v[36:37]
	v_mul_f64_e32 v[36:37], v[4:5], v[36:37]
	v_add_f64_e32 v[177:178], v[177:178], v[189:190]
	v_add_f64_e32 v[179:180], v[179:180], v[183:184]
	s_wait_loadcnt_dscnt 0x800
	v_mul_f64_e32 v[183:184], v[6:7], v[171:172]
	v_mul_f64_e32 v[171:172], v[8:9], v[171:172]
	v_fma_f64 v[181:182], v[4:5], v[34:35], v[181:182]
	v_fma_f64 v[189:190], v[2:3], v[34:35], -v[36:37]
	ds_load_b128 v[2:5], v1 offset:1872
	scratch_load_b128 v[34:37], off, off offset:1008
	v_add_f64_e32 v[177:178], v[177:178], v[187:188]
	v_add_f64_e32 v[179:180], v[179:180], v[185:186]
	v_fma_f64 v[183:184], v[8:9], v[169:170], v[183:184]
	v_fma_f64 v[169:170], v[6:7], v[169:170], -v[171:172]
	ds_load_b128 v[6:9], v1 offset:1888
	s_wait_loadcnt_dscnt 0x801
	v_mul_f64_e32 v[185:186], v[2:3], v[12:13]
	v_mul_f64_e32 v[12:13], v[4:5], v[12:13]
	v_add_f64_e32 v[171:172], v[177:178], v[189:190]
	v_add_f64_e32 v[177:178], v[179:180], v[181:182]
	s_wait_loadcnt_dscnt 0x700
	v_mul_f64_e32 v[179:180], v[6:7], v[16:17]
	v_mul_f64_e32 v[16:17], v[8:9], v[16:17]
	v_fma_f64 v[181:182], v[4:5], v[10:11], v[185:186]
	v_fma_f64 v[10:11], v[2:3], v[10:11], -v[12:13]
	ds_load_b128 v[2:5], v1 offset:1904
	v_add_f64_e32 v[12:13], v[171:172], v[169:170]
	v_add_f64_e32 v[169:170], v[177:178], v[183:184]
	v_fma_f64 v[177:178], v[8:9], v[14:15], v[179:180]
	v_fma_f64 v[14:15], v[6:7], v[14:15], -v[16:17]
	ds_load_b128 v[6:9], v1 offset:1920
	s_wait_loadcnt_dscnt 0x500
	v_mul_f64_e32 v[179:180], v[6:7], v[24:25]
	v_mul_f64_e32 v[24:25], v[8:9], v[24:25]
	v_add_f64_e32 v[16:17], v[12:13], v[10:11]
	v_add_f64_e32 v[169:170], v[169:170], v[181:182]
	scratch_load_b128 v[10:13], off, off offset:672
	v_mul_f64_e32 v[171:172], v[2:3], v[20:21]
	v_mul_f64_e32 v[20:21], v[4:5], v[20:21]
	v_add_f64_e32 v[14:15], v[16:17], v[14:15]
	v_add_f64_e32 v[16:17], v[169:170], v[177:178]
	v_fma_f64 v[169:170], v[8:9], v[22:23], v[179:180]
	v_fma_f64 v[171:172], v[4:5], v[18:19], v[171:172]
	v_fma_f64 v[18:19], v[2:3], v[18:19], -v[20:21]
	ds_load_b128 v[2:5], v1 offset:1936
	v_fma_f64 v[22:23], v[6:7], v[22:23], -v[24:25]
	ds_load_b128 v[6:9], v1 offset:1952
	s_wait_loadcnt_dscnt 0x501
	v_mul_f64_e32 v[20:21], v[2:3], v[28:29]
	v_mul_f64_e32 v[28:29], v[4:5], v[28:29]
	s_wait_loadcnt_dscnt 0x400
	v_mul_f64_e32 v[24:25], v[8:9], v[32:33]
	v_add_f64_e32 v[16:17], v[16:17], v[171:172]
	v_add_f64_e32 v[14:15], v[14:15], v[18:19]
	v_mul_f64_e32 v[18:19], v[6:7], v[32:33]
	v_fma_f64 v[20:21], v[4:5], v[26:27], v[20:21]
	v_fma_f64 v[26:27], v[2:3], v[26:27], -v[28:29]
	ds_load_b128 v[2:5], v1 offset:1968
	v_fma_f64 v[24:25], v[6:7], v[30:31], -v[24:25]
	v_add_f64_e32 v[16:17], v[16:17], v[169:170]
	v_add_f64_e32 v[14:15], v[14:15], v[22:23]
	v_fma_f64 v[18:19], v[8:9], v[30:31], v[18:19]
	ds_load_b128 v[6:9], v1 offset:1984
	s_wait_loadcnt_dscnt 0x301
	v_mul_f64_e32 v[22:23], v[2:3], v[40:41]
	v_mul_f64_e32 v[28:29], v[4:5], v[40:41]
	v_add_f64_e32 v[16:17], v[16:17], v[20:21]
	v_add_f64_e32 v[14:15], v[14:15], v[26:27]
	s_wait_loadcnt_dscnt 0x200
	v_mul_f64_e32 v[20:21], v[6:7], v[175:176]
	v_mul_f64_e32 v[26:27], v[8:9], v[175:176]
	v_fma_f64 v[22:23], v[4:5], v[38:39], v[22:23]
	v_fma_f64 v[28:29], v[2:3], v[38:39], -v[28:29]
	ds_load_b128 v[2:5], v1 offset:2000
	v_add_f64_e32 v[16:17], v[16:17], v[18:19]
	v_add_f64_e32 v[14:15], v[14:15], v[24:25]
	s_wait_loadcnt_dscnt 0x100
	v_mul_f64_e32 v[18:19], v[2:3], v[36:37]
	v_mul_f64_e32 v[24:25], v[4:5], v[36:37]
	v_fma_f64 v[8:9], v[8:9], v[173:174], v[20:21]
	v_fma_f64 v[6:7], v[6:7], v[173:174], -v[26:27]
	v_add_f64_e32 v[16:17], v[16:17], v[22:23]
	v_add_f64_e32 v[14:15], v[14:15], v[28:29]
	v_fma_f64 v[4:5], v[4:5], v[34:35], v[18:19]
	v_fma_f64 v[2:3], v[2:3], v[34:35], -v[24:25]
	s_delay_alu instid0(VALU_DEP_4) | instskip(NEXT) | instid1(VALU_DEP_4)
	v_add_f64_e32 v[8:9], v[16:17], v[8:9]
	v_add_f64_e32 v[6:7], v[14:15], v[6:7]
	s_delay_alu instid0(VALU_DEP_2) | instskip(NEXT) | instid1(VALU_DEP_2)
	v_add_f64_e32 v[4:5], v[8:9], v[4:5]
	v_add_f64_e32 v[2:3], v[6:7], v[2:3]
	s_wait_loadcnt 0x0
	s_delay_alu instid0(VALU_DEP_2) | instskip(NEXT) | instid1(VALU_DEP_2)
	v_add_f64_e64 v[4:5], v[12:13], -v[4:5]
	v_add_f64_e64 v[2:3], v[10:11], -v[2:3]
	scratch_store_b128 off, v[2:5], off offset:672
	v_cmpx_lt_u32_e32 40, v0
	s_cbranch_execz .LBB62_323
; %bb.322:
	scratch_load_b128 v[5:8], off, s31
	v_dual_mov_b32 v2, v1 :: v_dual_mov_b32 v3, v1
	v_mov_b32_e32 v4, v1
	scratch_store_b128 off, v[1:4], off offset:656
	s_wait_loadcnt 0x0
	ds_store_b128 v168, v[5:8]
.LBB62_323:
	s_wait_alu 0xfffe
	s_or_b32 exec_lo, exec_lo, s0
	s_wait_storecnt_dscnt 0x0
	s_barrier_signal -1
	s_barrier_wait -1
	global_inv scope:SCOPE_SE
	s_clause 0x7
	scratch_load_b128 v[2:5], off, off offset:672
	scratch_load_b128 v[6:9], off, off offset:688
	;; [unrolled: 1-line block ×8, first 2 shown]
	ds_load_b128 v[34:37], v1 offset:1664
	ds_load_b128 v[169:172], v1 offset:1680
	s_clause 0x1
	scratch_load_b128 v[38:41], off, off offset:800
	scratch_load_b128 v[173:176], off, off offset:816
	s_mov_b32 s0, exec_lo
	s_wait_loadcnt_dscnt 0x901
	v_mul_f64_e32 v[177:178], v[36:37], v[4:5]
	v_mul_f64_e32 v[4:5], v[34:35], v[4:5]
	s_wait_loadcnt_dscnt 0x800
	v_mul_f64_e32 v[179:180], v[169:170], v[8:9]
	v_mul_f64_e32 v[8:9], v[171:172], v[8:9]
	s_delay_alu instid0(VALU_DEP_4) | instskip(NEXT) | instid1(VALU_DEP_4)
	v_fma_f64 v[177:178], v[34:35], v[2:3], -v[177:178]
	v_fma_f64 v[181:182], v[36:37], v[2:3], v[4:5]
	ds_load_b128 v[2:5], v1 offset:1696
	scratch_load_b128 v[34:37], off, off offset:832
	v_fma_f64 v[179:180], v[171:172], v[6:7], v[179:180]
	v_fma_f64 v[185:186], v[169:170], v[6:7], -v[8:9]
	ds_load_b128 v[6:9], v1 offset:1712
	scratch_load_b128 v[169:172], off, off offset:848
	s_wait_loadcnt_dscnt 0x901
	v_mul_f64_e32 v[183:184], v[2:3], v[12:13]
	v_mul_f64_e32 v[12:13], v[4:5], v[12:13]
	s_wait_loadcnt_dscnt 0x800
	v_mul_f64_e32 v[187:188], v[6:7], v[16:17]
	v_mul_f64_e32 v[16:17], v[8:9], v[16:17]
	v_add_f64_e32 v[177:178], 0, v[177:178]
	v_add_f64_e32 v[181:182], 0, v[181:182]
	v_fma_f64 v[183:184], v[4:5], v[10:11], v[183:184]
	v_fma_f64 v[189:190], v[2:3], v[10:11], -v[12:13]
	ds_load_b128 v[2:5], v1 offset:1728
	scratch_load_b128 v[10:13], off, off offset:864
	v_add_f64_e32 v[177:178], v[177:178], v[185:186]
	v_add_f64_e32 v[179:180], v[181:182], v[179:180]
	v_fma_f64 v[185:186], v[8:9], v[14:15], v[187:188]
	v_fma_f64 v[187:188], v[6:7], v[14:15], -v[16:17]
	ds_load_b128 v[6:9], v1 offset:1744
	scratch_load_b128 v[14:17], off, off offset:880
	s_wait_loadcnt_dscnt 0x901
	v_mul_f64_e32 v[181:182], v[2:3], v[20:21]
	v_mul_f64_e32 v[20:21], v[4:5], v[20:21]
	v_add_f64_e32 v[177:178], v[177:178], v[189:190]
	v_add_f64_e32 v[179:180], v[179:180], v[183:184]
	s_wait_loadcnt_dscnt 0x800
	v_mul_f64_e32 v[183:184], v[6:7], v[24:25]
	v_mul_f64_e32 v[24:25], v[8:9], v[24:25]
	v_fma_f64 v[181:182], v[4:5], v[18:19], v[181:182]
	v_fma_f64 v[189:190], v[2:3], v[18:19], -v[20:21]
	ds_load_b128 v[2:5], v1 offset:1760
	scratch_load_b128 v[18:21], off, off offset:896
	v_add_f64_e32 v[177:178], v[177:178], v[187:188]
	v_add_f64_e32 v[179:180], v[179:180], v[185:186]
	v_fma_f64 v[183:184], v[8:9], v[22:23], v[183:184]
	v_fma_f64 v[187:188], v[6:7], v[22:23], -v[24:25]
	ds_load_b128 v[6:9], v1 offset:1776
	s_wait_loadcnt_dscnt 0x801
	v_mul_f64_e32 v[185:186], v[2:3], v[28:29]
	v_mul_f64_e32 v[28:29], v[4:5], v[28:29]
	scratch_load_b128 v[22:25], off, off offset:912
	v_add_f64_e32 v[177:178], v[177:178], v[189:190]
	v_add_f64_e32 v[179:180], v[179:180], v[181:182]
	s_wait_loadcnt_dscnt 0x800
	v_mul_f64_e32 v[181:182], v[6:7], v[32:33]
	v_mul_f64_e32 v[32:33], v[8:9], v[32:33]
	v_fma_f64 v[185:186], v[4:5], v[26:27], v[185:186]
	v_fma_f64 v[189:190], v[2:3], v[26:27], -v[28:29]
	ds_load_b128 v[2:5], v1 offset:1792
	scratch_load_b128 v[26:29], off, off offset:928
	v_add_f64_e32 v[177:178], v[177:178], v[187:188]
	v_add_f64_e32 v[179:180], v[179:180], v[183:184]
	v_fma_f64 v[181:182], v[8:9], v[30:31], v[181:182]
	v_fma_f64 v[187:188], v[6:7], v[30:31], -v[32:33]
	ds_load_b128 v[6:9], v1 offset:1808
	s_wait_loadcnt_dscnt 0x801
	v_mul_f64_e32 v[183:184], v[2:3], v[40:41]
	v_mul_f64_e32 v[40:41], v[4:5], v[40:41]
	scratch_load_b128 v[30:33], off, off offset:944
	v_add_f64_e32 v[177:178], v[177:178], v[189:190]
	v_add_f64_e32 v[179:180], v[179:180], v[185:186]
	s_wait_loadcnt_dscnt 0x800
	v_mul_f64_e32 v[185:186], v[6:7], v[175:176]
	v_mul_f64_e32 v[175:176], v[8:9], v[175:176]
	v_fma_f64 v[183:184], v[4:5], v[38:39], v[183:184]
	v_fma_f64 v[189:190], v[2:3], v[38:39], -v[40:41]
	ds_load_b128 v[2:5], v1 offset:1824
	scratch_load_b128 v[38:41], off, off offset:960
	v_add_f64_e32 v[177:178], v[177:178], v[187:188]
	v_add_f64_e32 v[179:180], v[179:180], v[181:182]
	v_fma_f64 v[185:186], v[8:9], v[173:174], v[185:186]
	v_fma_f64 v[187:188], v[6:7], v[173:174], -v[175:176]
	ds_load_b128 v[6:9], v1 offset:1840
	scratch_load_b128 v[173:176], off, off offset:976
	s_wait_loadcnt_dscnt 0x901
	v_mul_f64_e32 v[181:182], v[2:3], v[36:37]
	v_mul_f64_e32 v[36:37], v[4:5], v[36:37]
	v_add_f64_e32 v[177:178], v[177:178], v[189:190]
	v_add_f64_e32 v[179:180], v[179:180], v[183:184]
	s_wait_loadcnt_dscnt 0x800
	v_mul_f64_e32 v[183:184], v[6:7], v[171:172]
	v_mul_f64_e32 v[171:172], v[8:9], v[171:172]
	v_fma_f64 v[181:182], v[4:5], v[34:35], v[181:182]
	v_fma_f64 v[189:190], v[2:3], v[34:35], -v[36:37]
	ds_load_b128 v[2:5], v1 offset:1856
	scratch_load_b128 v[34:37], off, off offset:992
	v_add_f64_e32 v[177:178], v[177:178], v[187:188]
	v_add_f64_e32 v[179:180], v[179:180], v[185:186]
	v_fma_f64 v[183:184], v[8:9], v[169:170], v[183:184]
	v_fma_f64 v[187:188], v[6:7], v[169:170], -v[171:172]
	ds_load_b128 v[6:9], v1 offset:1872
	s_wait_loadcnt_dscnt 0x801
	v_mul_f64_e32 v[185:186], v[2:3], v[12:13]
	v_mul_f64_e32 v[12:13], v[4:5], v[12:13]
	scratch_load_b128 v[169:172], off, off offset:1008
	v_add_f64_e32 v[177:178], v[177:178], v[189:190]
	v_add_f64_e32 v[179:180], v[179:180], v[181:182]
	s_wait_loadcnt_dscnt 0x800
	v_mul_f64_e32 v[181:182], v[6:7], v[16:17]
	v_mul_f64_e32 v[16:17], v[8:9], v[16:17]
	v_fma_f64 v[185:186], v[4:5], v[10:11], v[185:186]
	v_fma_f64 v[10:11], v[2:3], v[10:11], -v[12:13]
	ds_load_b128 v[2:5], v1 offset:1888
	v_add_f64_e32 v[12:13], v[177:178], v[187:188]
	v_add_f64_e32 v[177:178], v[179:180], v[183:184]
	v_fma_f64 v[181:182], v[8:9], v[14:15], v[181:182]
	v_fma_f64 v[14:15], v[6:7], v[14:15], -v[16:17]
	ds_load_b128 v[6:9], v1 offset:1904
	s_wait_loadcnt_dscnt 0x701
	v_mul_f64_e32 v[179:180], v[2:3], v[20:21]
	v_mul_f64_e32 v[20:21], v[4:5], v[20:21]
	v_add_f64_e32 v[10:11], v[12:13], v[10:11]
	v_add_f64_e32 v[12:13], v[177:178], v[185:186]
	s_delay_alu instid0(VALU_DEP_4) | instskip(NEXT) | instid1(VALU_DEP_4)
	v_fma_f64 v[177:178], v[4:5], v[18:19], v[179:180]
	v_fma_f64 v[18:19], v[2:3], v[18:19], -v[20:21]
	ds_load_b128 v[2:5], v1 offset:1920
	v_add_f64_e32 v[14:15], v[10:11], v[14:15]
	v_add_f64_e32 v[20:21], v[12:13], v[181:182]
	scratch_load_b128 v[10:13], off, off offset:656
	s_wait_loadcnt_dscnt 0x701
	v_mul_f64_e32 v[16:17], v[6:7], v[24:25]
	v_mul_f64_e32 v[24:25], v[8:9], v[24:25]
	v_add_f64_e32 v[14:15], v[14:15], v[18:19]
	v_add_f64_e32 v[18:19], v[20:21], v[177:178]
	s_delay_alu instid0(VALU_DEP_4) | instskip(NEXT) | instid1(VALU_DEP_4)
	v_fma_f64 v[16:17], v[8:9], v[22:23], v[16:17]
	v_fma_f64 v[22:23], v[6:7], v[22:23], -v[24:25]
	ds_load_b128 v[6:9], v1 offset:1936
	s_wait_loadcnt_dscnt 0x601
	v_mul_f64_e32 v[179:180], v[2:3], v[28:29]
	v_mul_f64_e32 v[28:29], v[4:5], v[28:29]
	s_wait_loadcnt_dscnt 0x500
	v_mul_f64_e32 v[20:21], v[6:7], v[32:33]
	v_mul_f64_e32 v[24:25], v[8:9], v[32:33]
	v_add_f64_e32 v[16:17], v[18:19], v[16:17]
	v_add_f64_e32 v[14:15], v[14:15], v[22:23]
	v_fma_f64 v[32:33], v[4:5], v[26:27], v[179:180]
	v_fma_f64 v[26:27], v[2:3], v[26:27], -v[28:29]
	ds_load_b128 v[2:5], v1 offset:1952
	v_fma_f64 v[20:21], v[8:9], v[30:31], v[20:21]
	v_fma_f64 v[24:25], v[6:7], v[30:31], -v[24:25]
	ds_load_b128 v[6:9], v1 offset:1968
	s_wait_loadcnt_dscnt 0x401
	v_mul_f64_e32 v[18:19], v[2:3], v[40:41]
	v_mul_f64_e32 v[22:23], v[4:5], v[40:41]
	v_add_f64_e32 v[16:17], v[16:17], v[32:33]
	v_add_f64_e32 v[14:15], v[14:15], v[26:27]
	s_wait_loadcnt_dscnt 0x300
	v_mul_f64_e32 v[26:27], v[6:7], v[175:176]
	v_mul_f64_e32 v[28:29], v[8:9], v[175:176]
	v_fma_f64 v[18:19], v[4:5], v[38:39], v[18:19]
	v_fma_f64 v[22:23], v[2:3], v[38:39], -v[22:23]
	ds_load_b128 v[2:5], v1 offset:1984
	v_add_f64_e32 v[16:17], v[16:17], v[20:21]
	v_add_f64_e32 v[14:15], v[14:15], v[24:25]
	v_fma_f64 v[26:27], v[8:9], v[173:174], v[26:27]
	v_fma_f64 v[28:29], v[6:7], v[173:174], -v[28:29]
	ds_load_b128 v[6:9], v1 offset:2000
	s_wait_loadcnt_dscnt 0x201
	v_mul_f64_e32 v[20:21], v[2:3], v[36:37]
	v_mul_f64_e32 v[24:25], v[4:5], v[36:37]
	v_add_f64_e32 v[16:17], v[16:17], v[18:19]
	v_add_f64_e32 v[14:15], v[14:15], v[22:23]
	s_wait_loadcnt_dscnt 0x100
	v_mul_f64_e32 v[18:19], v[6:7], v[171:172]
	v_mul_f64_e32 v[22:23], v[8:9], v[171:172]
	v_fma_f64 v[4:5], v[4:5], v[34:35], v[20:21]
	v_fma_f64 v[1:2], v[2:3], v[34:35], -v[24:25]
	v_add_f64_e32 v[16:17], v[16:17], v[26:27]
	v_add_f64_e32 v[14:15], v[14:15], v[28:29]
	v_fma_f64 v[8:9], v[8:9], v[169:170], v[18:19]
	v_fma_f64 v[6:7], v[6:7], v[169:170], -v[22:23]
	s_delay_alu instid0(VALU_DEP_4) | instskip(NEXT) | instid1(VALU_DEP_4)
	v_add_f64_e32 v[3:4], v[16:17], v[4:5]
	v_add_f64_e32 v[1:2], v[14:15], v[1:2]
	s_delay_alu instid0(VALU_DEP_2) | instskip(NEXT) | instid1(VALU_DEP_2)
	v_add_f64_e32 v[3:4], v[3:4], v[8:9]
	v_add_f64_e32 v[1:2], v[1:2], v[6:7]
	s_wait_loadcnt 0x0
	s_delay_alu instid0(VALU_DEP_2) | instskip(NEXT) | instid1(VALU_DEP_2)
	v_add_f64_e64 v[3:4], v[12:13], -v[3:4]
	v_add_f64_e64 v[1:2], v[10:11], -v[1:2]
	scratch_store_b128 off, v[1:4], off offset:656
	v_cmpx_lt_u32_e32 39, v0
	s_cbranch_execz .LBB62_325
; %bb.324:
	scratch_load_b128 v[1:4], off, s33
	v_mov_b32_e32 v5, 0
	s_delay_alu instid0(VALU_DEP_1)
	v_dual_mov_b32 v6, v5 :: v_dual_mov_b32 v7, v5
	v_mov_b32_e32 v8, v5
	scratch_store_b128 off, v[5:8], off offset:640
	s_wait_loadcnt 0x0
	ds_store_b128 v168, v[1:4]
.LBB62_325:
	s_wait_alu 0xfffe
	s_or_b32 exec_lo, exec_lo, s0
	s_wait_storecnt_dscnt 0x0
	s_barrier_signal -1
	s_barrier_wait -1
	global_inv scope:SCOPE_SE
	s_clause 0x7
	scratch_load_b128 v[2:5], off, off offset:656
	scratch_load_b128 v[6:9], off, off offset:672
	;; [unrolled: 1-line block ×8, first 2 shown]
	v_mov_b32_e32 v1, 0
	s_clause 0x1
	scratch_load_b128 v[38:41], off, off offset:784
	scratch_load_b128 v[173:176], off, off offset:800
	s_mov_b32 s0, exec_lo
	ds_load_b128 v[34:37], v1 offset:1648
	ds_load_b128 v[169:172], v1 offset:1664
	s_wait_loadcnt_dscnt 0x901
	v_mul_f64_e32 v[177:178], v[36:37], v[4:5]
	v_mul_f64_e32 v[4:5], v[34:35], v[4:5]
	s_wait_loadcnt_dscnt 0x800
	v_mul_f64_e32 v[179:180], v[169:170], v[8:9]
	v_mul_f64_e32 v[8:9], v[171:172], v[8:9]
	s_delay_alu instid0(VALU_DEP_4) | instskip(NEXT) | instid1(VALU_DEP_4)
	v_fma_f64 v[177:178], v[34:35], v[2:3], -v[177:178]
	v_fma_f64 v[181:182], v[36:37], v[2:3], v[4:5]
	ds_load_b128 v[2:5], v1 offset:1680
	scratch_load_b128 v[34:37], off, off offset:816
	v_fma_f64 v[179:180], v[171:172], v[6:7], v[179:180]
	v_fma_f64 v[185:186], v[169:170], v[6:7], -v[8:9]
	ds_load_b128 v[6:9], v1 offset:1696
	scratch_load_b128 v[169:172], off, off offset:832
	s_wait_loadcnt_dscnt 0x901
	v_mul_f64_e32 v[183:184], v[2:3], v[12:13]
	v_mul_f64_e32 v[12:13], v[4:5], v[12:13]
	s_wait_loadcnt_dscnt 0x800
	v_mul_f64_e32 v[187:188], v[6:7], v[16:17]
	v_mul_f64_e32 v[16:17], v[8:9], v[16:17]
	v_add_f64_e32 v[177:178], 0, v[177:178]
	v_add_f64_e32 v[181:182], 0, v[181:182]
	v_fma_f64 v[183:184], v[4:5], v[10:11], v[183:184]
	v_fma_f64 v[189:190], v[2:3], v[10:11], -v[12:13]
	ds_load_b128 v[2:5], v1 offset:1712
	scratch_load_b128 v[10:13], off, off offset:848
	v_add_f64_e32 v[177:178], v[177:178], v[185:186]
	v_add_f64_e32 v[179:180], v[181:182], v[179:180]
	v_fma_f64 v[185:186], v[8:9], v[14:15], v[187:188]
	v_fma_f64 v[187:188], v[6:7], v[14:15], -v[16:17]
	ds_load_b128 v[6:9], v1 offset:1728
	scratch_load_b128 v[14:17], off, off offset:864
	s_wait_loadcnt_dscnt 0x901
	v_mul_f64_e32 v[181:182], v[2:3], v[20:21]
	v_mul_f64_e32 v[20:21], v[4:5], v[20:21]
	v_add_f64_e32 v[177:178], v[177:178], v[189:190]
	v_add_f64_e32 v[179:180], v[179:180], v[183:184]
	s_wait_loadcnt_dscnt 0x800
	v_mul_f64_e32 v[183:184], v[6:7], v[24:25]
	v_mul_f64_e32 v[24:25], v[8:9], v[24:25]
	v_fma_f64 v[181:182], v[4:5], v[18:19], v[181:182]
	v_fma_f64 v[189:190], v[2:3], v[18:19], -v[20:21]
	ds_load_b128 v[2:5], v1 offset:1744
	scratch_load_b128 v[18:21], off, off offset:880
	v_add_f64_e32 v[177:178], v[177:178], v[187:188]
	v_add_f64_e32 v[179:180], v[179:180], v[185:186]
	v_fma_f64 v[183:184], v[8:9], v[22:23], v[183:184]
	v_fma_f64 v[187:188], v[6:7], v[22:23], -v[24:25]
	ds_load_b128 v[6:9], v1 offset:1760
	s_wait_loadcnt_dscnt 0x801
	v_mul_f64_e32 v[185:186], v[2:3], v[28:29]
	v_mul_f64_e32 v[28:29], v[4:5], v[28:29]
	scratch_load_b128 v[22:25], off, off offset:896
	v_add_f64_e32 v[177:178], v[177:178], v[189:190]
	v_add_f64_e32 v[179:180], v[179:180], v[181:182]
	s_wait_loadcnt_dscnt 0x800
	v_mul_f64_e32 v[181:182], v[6:7], v[32:33]
	v_mul_f64_e32 v[32:33], v[8:9], v[32:33]
	v_fma_f64 v[185:186], v[4:5], v[26:27], v[185:186]
	v_fma_f64 v[189:190], v[2:3], v[26:27], -v[28:29]
	ds_load_b128 v[2:5], v1 offset:1776
	scratch_load_b128 v[26:29], off, off offset:912
	v_add_f64_e32 v[177:178], v[177:178], v[187:188]
	v_add_f64_e32 v[179:180], v[179:180], v[183:184]
	v_fma_f64 v[181:182], v[8:9], v[30:31], v[181:182]
	v_fma_f64 v[187:188], v[6:7], v[30:31], -v[32:33]
	ds_load_b128 v[6:9], v1 offset:1792
	s_wait_loadcnt_dscnt 0x801
	v_mul_f64_e32 v[183:184], v[2:3], v[40:41]
	v_mul_f64_e32 v[40:41], v[4:5], v[40:41]
	scratch_load_b128 v[30:33], off, off offset:928
	v_add_f64_e32 v[177:178], v[177:178], v[189:190]
	v_add_f64_e32 v[179:180], v[179:180], v[185:186]
	s_wait_loadcnt_dscnt 0x800
	v_mul_f64_e32 v[185:186], v[6:7], v[175:176]
	v_mul_f64_e32 v[175:176], v[8:9], v[175:176]
	v_fma_f64 v[183:184], v[4:5], v[38:39], v[183:184]
	v_fma_f64 v[189:190], v[2:3], v[38:39], -v[40:41]
	ds_load_b128 v[2:5], v1 offset:1808
	scratch_load_b128 v[38:41], off, off offset:944
	v_add_f64_e32 v[177:178], v[177:178], v[187:188]
	v_add_f64_e32 v[179:180], v[179:180], v[181:182]
	v_fma_f64 v[185:186], v[8:9], v[173:174], v[185:186]
	v_fma_f64 v[187:188], v[6:7], v[173:174], -v[175:176]
	ds_load_b128 v[6:9], v1 offset:1824
	scratch_load_b128 v[173:176], off, off offset:960
	s_wait_loadcnt_dscnt 0x901
	v_mul_f64_e32 v[181:182], v[2:3], v[36:37]
	v_mul_f64_e32 v[36:37], v[4:5], v[36:37]
	v_add_f64_e32 v[177:178], v[177:178], v[189:190]
	v_add_f64_e32 v[179:180], v[179:180], v[183:184]
	s_wait_loadcnt_dscnt 0x800
	v_mul_f64_e32 v[183:184], v[6:7], v[171:172]
	v_mul_f64_e32 v[171:172], v[8:9], v[171:172]
	v_fma_f64 v[181:182], v[4:5], v[34:35], v[181:182]
	v_fma_f64 v[189:190], v[2:3], v[34:35], -v[36:37]
	ds_load_b128 v[2:5], v1 offset:1840
	scratch_load_b128 v[34:37], off, off offset:976
	v_add_f64_e32 v[177:178], v[177:178], v[187:188]
	v_add_f64_e32 v[179:180], v[179:180], v[185:186]
	v_fma_f64 v[183:184], v[8:9], v[169:170], v[183:184]
	v_fma_f64 v[187:188], v[6:7], v[169:170], -v[171:172]
	ds_load_b128 v[6:9], v1 offset:1856
	s_wait_loadcnt_dscnt 0x801
	v_mul_f64_e32 v[185:186], v[2:3], v[12:13]
	v_mul_f64_e32 v[12:13], v[4:5], v[12:13]
	scratch_load_b128 v[169:172], off, off offset:992
	v_add_f64_e32 v[177:178], v[177:178], v[189:190]
	v_add_f64_e32 v[179:180], v[179:180], v[181:182]
	s_wait_loadcnt_dscnt 0x800
	v_mul_f64_e32 v[181:182], v[6:7], v[16:17]
	v_mul_f64_e32 v[16:17], v[8:9], v[16:17]
	v_fma_f64 v[185:186], v[4:5], v[10:11], v[185:186]
	v_fma_f64 v[189:190], v[2:3], v[10:11], -v[12:13]
	ds_load_b128 v[2:5], v1 offset:1872
	scratch_load_b128 v[10:13], off, off offset:1008
	v_add_f64_e32 v[177:178], v[177:178], v[187:188]
	v_add_f64_e32 v[179:180], v[179:180], v[183:184]
	v_fma_f64 v[181:182], v[8:9], v[14:15], v[181:182]
	v_fma_f64 v[14:15], v[6:7], v[14:15], -v[16:17]
	ds_load_b128 v[6:9], v1 offset:1888
	s_wait_loadcnt_dscnt 0x801
	v_mul_f64_e32 v[183:184], v[2:3], v[20:21]
	v_mul_f64_e32 v[20:21], v[4:5], v[20:21]
	v_add_f64_e32 v[16:17], v[177:178], v[189:190]
	v_add_f64_e32 v[177:178], v[179:180], v[185:186]
	s_wait_loadcnt_dscnt 0x700
	v_mul_f64_e32 v[179:180], v[6:7], v[24:25]
	v_mul_f64_e32 v[24:25], v[8:9], v[24:25]
	v_fma_f64 v[183:184], v[4:5], v[18:19], v[183:184]
	v_fma_f64 v[18:19], v[2:3], v[18:19], -v[20:21]
	ds_load_b128 v[2:5], v1 offset:1904
	v_add_f64_e32 v[14:15], v[16:17], v[14:15]
	v_add_f64_e32 v[16:17], v[177:178], v[181:182]
	v_fma_f64 v[177:178], v[8:9], v[22:23], v[179:180]
	v_fma_f64 v[22:23], v[6:7], v[22:23], -v[24:25]
	ds_load_b128 v[6:9], v1 offset:1920
	s_wait_loadcnt_dscnt 0x500
	v_mul_f64_e32 v[179:180], v[6:7], v[32:33]
	v_mul_f64_e32 v[32:33], v[8:9], v[32:33]
	v_add_f64_e32 v[18:19], v[14:15], v[18:19]
	v_add_f64_e32 v[24:25], v[16:17], v[183:184]
	scratch_load_b128 v[14:17], off, off offset:640
	v_mul_f64_e32 v[20:21], v[2:3], v[28:29]
	v_mul_f64_e32 v[28:29], v[4:5], v[28:29]
	v_add_f64_e32 v[18:19], v[18:19], v[22:23]
	v_add_f64_e32 v[22:23], v[24:25], v[177:178]
	s_delay_alu instid0(VALU_DEP_4) | instskip(NEXT) | instid1(VALU_DEP_4)
	v_fma_f64 v[20:21], v[4:5], v[26:27], v[20:21]
	v_fma_f64 v[26:27], v[2:3], v[26:27], -v[28:29]
	ds_load_b128 v[2:5], v1 offset:1936
	s_wait_loadcnt_dscnt 0x500
	v_mul_f64_e32 v[24:25], v[2:3], v[40:41]
	v_mul_f64_e32 v[28:29], v[4:5], v[40:41]
	v_fma_f64 v[40:41], v[8:9], v[30:31], v[179:180]
	v_fma_f64 v[30:31], v[6:7], v[30:31], -v[32:33]
	ds_load_b128 v[6:9], v1 offset:1952
	v_add_f64_e32 v[20:21], v[22:23], v[20:21]
	v_add_f64_e32 v[18:19], v[18:19], v[26:27]
	v_fma_f64 v[24:25], v[4:5], v[38:39], v[24:25]
	v_fma_f64 v[28:29], v[2:3], v[38:39], -v[28:29]
	ds_load_b128 v[2:5], v1 offset:1968
	s_wait_loadcnt_dscnt 0x401
	v_mul_f64_e32 v[22:23], v[6:7], v[175:176]
	v_mul_f64_e32 v[26:27], v[8:9], v[175:176]
	v_add_f64_e32 v[20:21], v[20:21], v[40:41]
	v_add_f64_e32 v[18:19], v[18:19], v[30:31]
	s_wait_loadcnt_dscnt 0x300
	v_mul_f64_e32 v[30:31], v[2:3], v[36:37]
	v_mul_f64_e32 v[32:33], v[4:5], v[36:37]
	v_fma_f64 v[22:23], v[8:9], v[173:174], v[22:23]
	v_fma_f64 v[26:27], v[6:7], v[173:174], -v[26:27]
	ds_load_b128 v[6:9], v1 offset:1984
	v_add_f64_e32 v[20:21], v[20:21], v[24:25]
	v_add_f64_e32 v[18:19], v[18:19], v[28:29]
	v_fma_f64 v[30:31], v[4:5], v[34:35], v[30:31]
	v_fma_f64 v[32:33], v[2:3], v[34:35], -v[32:33]
	ds_load_b128 v[2:5], v1 offset:2000
	s_wait_loadcnt_dscnt 0x201
	v_mul_f64_e32 v[24:25], v[6:7], v[171:172]
	v_mul_f64_e32 v[28:29], v[8:9], v[171:172]
	v_add_f64_e32 v[20:21], v[20:21], v[22:23]
	v_add_f64_e32 v[18:19], v[18:19], v[26:27]
	s_wait_loadcnt_dscnt 0x100
	v_mul_f64_e32 v[22:23], v[2:3], v[12:13]
	v_mul_f64_e32 v[12:13], v[4:5], v[12:13]
	v_fma_f64 v[8:9], v[8:9], v[169:170], v[24:25]
	v_fma_f64 v[6:7], v[6:7], v[169:170], -v[28:29]
	v_add_f64_e32 v[20:21], v[20:21], v[30:31]
	v_add_f64_e32 v[18:19], v[18:19], v[32:33]
	v_fma_f64 v[4:5], v[4:5], v[10:11], v[22:23]
	v_fma_f64 v[2:3], v[2:3], v[10:11], -v[12:13]
	s_delay_alu instid0(VALU_DEP_4) | instskip(NEXT) | instid1(VALU_DEP_4)
	v_add_f64_e32 v[8:9], v[20:21], v[8:9]
	v_add_f64_e32 v[6:7], v[18:19], v[6:7]
	s_delay_alu instid0(VALU_DEP_2) | instskip(NEXT) | instid1(VALU_DEP_2)
	v_add_f64_e32 v[4:5], v[8:9], v[4:5]
	v_add_f64_e32 v[2:3], v[6:7], v[2:3]
	s_wait_loadcnt 0x0
	s_delay_alu instid0(VALU_DEP_2) | instskip(NEXT) | instid1(VALU_DEP_2)
	v_add_f64_e64 v[4:5], v[16:17], -v[4:5]
	v_add_f64_e64 v[2:3], v[14:15], -v[2:3]
	scratch_store_b128 off, v[2:5], off offset:640
	v_cmpx_lt_u32_e32 38, v0
	s_cbranch_execz .LBB62_327
; %bb.326:
	scratch_load_b128 v[5:8], off, s37
	v_dual_mov_b32 v2, v1 :: v_dual_mov_b32 v3, v1
	v_mov_b32_e32 v4, v1
	scratch_store_b128 off, v[1:4], off offset:624
	s_wait_loadcnt 0x0
	ds_store_b128 v168, v[5:8]
.LBB62_327:
	s_wait_alu 0xfffe
	s_or_b32 exec_lo, exec_lo, s0
	s_wait_storecnt_dscnt 0x0
	s_barrier_signal -1
	s_barrier_wait -1
	global_inv scope:SCOPE_SE
	s_clause 0x7
	scratch_load_b128 v[2:5], off, off offset:640
	scratch_load_b128 v[6:9], off, off offset:656
	;; [unrolled: 1-line block ×8, first 2 shown]
	ds_load_b128 v[34:37], v1 offset:1632
	ds_load_b128 v[169:172], v1 offset:1648
	s_clause 0x1
	scratch_load_b128 v[38:41], off, off offset:768
	scratch_load_b128 v[173:176], off, off offset:784
	s_mov_b32 s0, exec_lo
	s_wait_loadcnt_dscnt 0x901
	v_mul_f64_e32 v[177:178], v[36:37], v[4:5]
	v_mul_f64_e32 v[4:5], v[34:35], v[4:5]
	s_wait_loadcnt_dscnt 0x800
	v_mul_f64_e32 v[179:180], v[169:170], v[8:9]
	v_mul_f64_e32 v[8:9], v[171:172], v[8:9]
	s_delay_alu instid0(VALU_DEP_4) | instskip(NEXT) | instid1(VALU_DEP_4)
	v_fma_f64 v[177:178], v[34:35], v[2:3], -v[177:178]
	v_fma_f64 v[181:182], v[36:37], v[2:3], v[4:5]
	ds_load_b128 v[2:5], v1 offset:1664
	scratch_load_b128 v[34:37], off, off offset:800
	v_fma_f64 v[179:180], v[171:172], v[6:7], v[179:180]
	v_fma_f64 v[185:186], v[169:170], v[6:7], -v[8:9]
	ds_load_b128 v[6:9], v1 offset:1680
	scratch_load_b128 v[169:172], off, off offset:816
	s_wait_loadcnt_dscnt 0x901
	v_mul_f64_e32 v[183:184], v[2:3], v[12:13]
	v_mul_f64_e32 v[12:13], v[4:5], v[12:13]
	s_wait_loadcnt_dscnt 0x800
	v_mul_f64_e32 v[187:188], v[6:7], v[16:17]
	v_mul_f64_e32 v[16:17], v[8:9], v[16:17]
	v_add_f64_e32 v[177:178], 0, v[177:178]
	v_add_f64_e32 v[181:182], 0, v[181:182]
	v_fma_f64 v[183:184], v[4:5], v[10:11], v[183:184]
	v_fma_f64 v[189:190], v[2:3], v[10:11], -v[12:13]
	ds_load_b128 v[2:5], v1 offset:1696
	scratch_load_b128 v[10:13], off, off offset:832
	v_add_f64_e32 v[177:178], v[177:178], v[185:186]
	v_add_f64_e32 v[179:180], v[181:182], v[179:180]
	v_fma_f64 v[185:186], v[8:9], v[14:15], v[187:188]
	v_fma_f64 v[187:188], v[6:7], v[14:15], -v[16:17]
	ds_load_b128 v[6:9], v1 offset:1712
	scratch_load_b128 v[14:17], off, off offset:848
	s_wait_loadcnt_dscnt 0x901
	v_mul_f64_e32 v[181:182], v[2:3], v[20:21]
	v_mul_f64_e32 v[20:21], v[4:5], v[20:21]
	v_add_f64_e32 v[177:178], v[177:178], v[189:190]
	v_add_f64_e32 v[179:180], v[179:180], v[183:184]
	s_wait_loadcnt_dscnt 0x800
	v_mul_f64_e32 v[183:184], v[6:7], v[24:25]
	v_mul_f64_e32 v[24:25], v[8:9], v[24:25]
	v_fma_f64 v[181:182], v[4:5], v[18:19], v[181:182]
	v_fma_f64 v[189:190], v[2:3], v[18:19], -v[20:21]
	ds_load_b128 v[2:5], v1 offset:1728
	scratch_load_b128 v[18:21], off, off offset:864
	v_add_f64_e32 v[177:178], v[177:178], v[187:188]
	v_add_f64_e32 v[179:180], v[179:180], v[185:186]
	v_fma_f64 v[183:184], v[8:9], v[22:23], v[183:184]
	v_fma_f64 v[187:188], v[6:7], v[22:23], -v[24:25]
	ds_load_b128 v[6:9], v1 offset:1744
	s_wait_loadcnt_dscnt 0x801
	v_mul_f64_e32 v[185:186], v[2:3], v[28:29]
	v_mul_f64_e32 v[28:29], v[4:5], v[28:29]
	scratch_load_b128 v[22:25], off, off offset:880
	v_add_f64_e32 v[177:178], v[177:178], v[189:190]
	v_add_f64_e32 v[179:180], v[179:180], v[181:182]
	s_wait_loadcnt_dscnt 0x800
	v_mul_f64_e32 v[181:182], v[6:7], v[32:33]
	v_mul_f64_e32 v[32:33], v[8:9], v[32:33]
	v_fma_f64 v[185:186], v[4:5], v[26:27], v[185:186]
	v_fma_f64 v[189:190], v[2:3], v[26:27], -v[28:29]
	ds_load_b128 v[2:5], v1 offset:1760
	scratch_load_b128 v[26:29], off, off offset:896
	v_add_f64_e32 v[177:178], v[177:178], v[187:188]
	v_add_f64_e32 v[179:180], v[179:180], v[183:184]
	v_fma_f64 v[181:182], v[8:9], v[30:31], v[181:182]
	v_fma_f64 v[187:188], v[6:7], v[30:31], -v[32:33]
	ds_load_b128 v[6:9], v1 offset:1776
	s_wait_loadcnt_dscnt 0x801
	v_mul_f64_e32 v[183:184], v[2:3], v[40:41]
	v_mul_f64_e32 v[40:41], v[4:5], v[40:41]
	scratch_load_b128 v[30:33], off, off offset:912
	v_add_f64_e32 v[177:178], v[177:178], v[189:190]
	v_add_f64_e32 v[179:180], v[179:180], v[185:186]
	s_wait_loadcnt_dscnt 0x800
	v_mul_f64_e32 v[185:186], v[6:7], v[175:176]
	v_mul_f64_e32 v[175:176], v[8:9], v[175:176]
	v_fma_f64 v[183:184], v[4:5], v[38:39], v[183:184]
	v_fma_f64 v[189:190], v[2:3], v[38:39], -v[40:41]
	ds_load_b128 v[2:5], v1 offset:1792
	scratch_load_b128 v[38:41], off, off offset:928
	v_add_f64_e32 v[177:178], v[177:178], v[187:188]
	v_add_f64_e32 v[179:180], v[179:180], v[181:182]
	v_fma_f64 v[185:186], v[8:9], v[173:174], v[185:186]
	v_fma_f64 v[187:188], v[6:7], v[173:174], -v[175:176]
	ds_load_b128 v[6:9], v1 offset:1808
	scratch_load_b128 v[173:176], off, off offset:944
	s_wait_loadcnt_dscnt 0x901
	v_mul_f64_e32 v[181:182], v[2:3], v[36:37]
	v_mul_f64_e32 v[36:37], v[4:5], v[36:37]
	v_add_f64_e32 v[177:178], v[177:178], v[189:190]
	v_add_f64_e32 v[179:180], v[179:180], v[183:184]
	s_wait_loadcnt_dscnt 0x800
	v_mul_f64_e32 v[183:184], v[6:7], v[171:172]
	v_mul_f64_e32 v[171:172], v[8:9], v[171:172]
	v_fma_f64 v[181:182], v[4:5], v[34:35], v[181:182]
	v_fma_f64 v[189:190], v[2:3], v[34:35], -v[36:37]
	ds_load_b128 v[2:5], v1 offset:1824
	scratch_load_b128 v[34:37], off, off offset:960
	v_add_f64_e32 v[177:178], v[177:178], v[187:188]
	v_add_f64_e32 v[179:180], v[179:180], v[185:186]
	v_fma_f64 v[183:184], v[8:9], v[169:170], v[183:184]
	v_fma_f64 v[187:188], v[6:7], v[169:170], -v[171:172]
	ds_load_b128 v[6:9], v1 offset:1840
	s_wait_loadcnt_dscnt 0x801
	v_mul_f64_e32 v[185:186], v[2:3], v[12:13]
	v_mul_f64_e32 v[12:13], v[4:5], v[12:13]
	scratch_load_b128 v[169:172], off, off offset:976
	v_add_f64_e32 v[177:178], v[177:178], v[189:190]
	v_add_f64_e32 v[179:180], v[179:180], v[181:182]
	s_wait_loadcnt_dscnt 0x800
	v_mul_f64_e32 v[181:182], v[6:7], v[16:17]
	v_mul_f64_e32 v[16:17], v[8:9], v[16:17]
	v_fma_f64 v[185:186], v[4:5], v[10:11], v[185:186]
	v_fma_f64 v[189:190], v[2:3], v[10:11], -v[12:13]
	ds_load_b128 v[2:5], v1 offset:1856
	scratch_load_b128 v[10:13], off, off offset:992
	v_add_f64_e32 v[177:178], v[177:178], v[187:188]
	v_add_f64_e32 v[179:180], v[179:180], v[183:184]
	v_fma_f64 v[181:182], v[8:9], v[14:15], v[181:182]
	v_fma_f64 v[187:188], v[6:7], v[14:15], -v[16:17]
	ds_load_b128 v[6:9], v1 offset:1872
	s_wait_loadcnt_dscnt 0x801
	v_mul_f64_e32 v[183:184], v[2:3], v[20:21]
	v_mul_f64_e32 v[20:21], v[4:5], v[20:21]
	scratch_load_b128 v[14:17], off, off offset:1008
	v_add_f64_e32 v[177:178], v[177:178], v[189:190]
	v_add_f64_e32 v[179:180], v[179:180], v[185:186]
	s_wait_loadcnt_dscnt 0x800
	v_mul_f64_e32 v[185:186], v[6:7], v[24:25]
	v_mul_f64_e32 v[24:25], v[8:9], v[24:25]
	v_fma_f64 v[183:184], v[4:5], v[18:19], v[183:184]
	v_fma_f64 v[18:19], v[2:3], v[18:19], -v[20:21]
	ds_load_b128 v[2:5], v1 offset:1888
	v_add_f64_e32 v[20:21], v[177:178], v[187:188]
	v_add_f64_e32 v[177:178], v[179:180], v[181:182]
	v_fma_f64 v[181:182], v[8:9], v[22:23], v[185:186]
	v_fma_f64 v[22:23], v[6:7], v[22:23], -v[24:25]
	ds_load_b128 v[6:9], v1 offset:1904
	s_wait_loadcnt_dscnt 0x701
	v_mul_f64_e32 v[179:180], v[2:3], v[28:29]
	v_mul_f64_e32 v[28:29], v[4:5], v[28:29]
	v_add_f64_e32 v[18:19], v[20:21], v[18:19]
	v_add_f64_e32 v[20:21], v[177:178], v[183:184]
	s_delay_alu instid0(VALU_DEP_4) | instskip(NEXT) | instid1(VALU_DEP_4)
	v_fma_f64 v[177:178], v[4:5], v[26:27], v[179:180]
	v_fma_f64 v[26:27], v[2:3], v[26:27], -v[28:29]
	ds_load_b128 v[2:5], v1 offset:1920
	v_add_f64_e32 v[22:23], v[18:19], v[22:23]
	v_add_f64_e32 v[28:29], v[20:21], v[181:182]
	scratch_load_b128 v[18:21], off, off offset:624
	s_wait_loadcnt_dscnt 0x701
	v_mul_f64_e32 v[24:25], v[6:7], v[32:33]
	v_mul_f64_e32 v[32:33], v[8:9], v[32:33]
	v_add_f64_e32 v[22:23], v[22:23], v[26:27]
	v_add_f64_e32 v[26:27], v[28:29], v[177:178]
	s_delay_alu instid0(VALU_DEP_4) | instskip(NEXT) | instid1(VALU_DEP_4)
	v_fma_f64 v[24:25], v[8:9], v[30:31], v[24:25]
	v_fma_f64 v[30:31], v[6:7], v[30:31], -v[32:33]
	ds_load_b128 v[6:9], v1 offset:1936
	s_wait_loadcnt_dscnt 0x601
	v_mul_f64_e32 v[179:180], v[2:3], v[40:41]
	v_mul_f64_e32 v[40:41], v[4:5], v[40:41]
	s_wait_loadcnt_dscnt 0x500
	v_mul_f64_e32 v[28:29], v[6:7], v[175:176]
	v_mul_f64_e32 v[32:33], v[8:9], v[175:176]
	v_add_f64_e32 v[24:25], v[26:27], v[24:25]
	v_add_f64_e32 v[22:23], v[22:23], v[30:31]
	v_fma_f64 v[175:176], v[4:5], v[38:39], v[179:180]
	v_fma_f64 v[38:39], v[2:3], v[38:39], -v[40:41]
	ds_load_b128 v[2:5], v1 offset:1952
	v_fma_f64 v[28:29], v[8:9], v[173:174], v[28:29]
	v_fma_f64 v[32:33], v[6:7], v[173:174], -v[32:33]
	ds_load_b128 v[6:9], v1 offset:1968
	s_wait_loadcnt_dscnt 0x401
	v_mul_f64_e32 v[26:27], v[2:3], v[36:37]
	v_mul_f64_e32 v[30:31], v[4:5], v[36:37]
	v_add_f64_e32 v[24:25], v[24:25], v[175:176]
	v_add_f64_e32 v[22:23], v[22:23], v[38:39]
	s_wait_loadcnt_dscnt 0x300
	v_mul_f64_e32 v[36:37], v[6:7], v[171:172]
	v_mul_f64_e32 v[38:39], v[8:9], v[171:172]
	v_fma_f64 v[26:27], v[4:5], v[34:35], v[26:27]
	v_fma_f64 v[30:31], v[2:3], v[34:35], -v[30:31]
	ds_load_b128 v[2:5], v1 offset:1984
	v_add_f64_e32 v[24:25], v[24:25], v[28:29]
	v_add_f64_e32 v[22:23], v[22:23], v[32:33]
	v_fma_f64 v[32:33], v[8:9], v[169:170], v[36:37]
	v_fma_f64 v[34:35], v[6:7], v[169:170], -v[38:39]
	ds_load_b128 v[6:9], v1 offset:2000
	s_wait_loadcnt_dscnt 0x201
	v_mul_f64_e32 v[28:29], v[2:3], v[12:13]
	v_mul_f64_e32 v[12:13], v[4:5], v[12:13]
	v_add_f64_e32 v[24:25], v[24:25], v[26:27]
	v_add_f64_e32 v[22:23], v[22:23], v[30:31]
	s_wait_loadcnt_dscnt 0x100
	v_mul_f64_e32 v[26:27], v[6:7], v[16:17]
	v_mul_f64_e32 v[16:17], v[8:9], v[16:17]
	v_fma_f64 v[4:5], v[4:5], v[10:11], v[28:29]
	v_fma_f64 v[1:2], v[2:3], v[10:11], -v[12:13]
	v_add_f64_e32 v[12:13], v[24:25], v[32:33]
	v_add_f64_e32 v[10:11], v[22:23], v[34:35]
	v_fma_f64 v[8:9], v[8:9], v[14:15], v[26:27]
	v_fma_f64 v[6:7], v[6:7], v[14:15], -v[16:17]
	s_delay_alu instid0(VALU_DEP_4) | instskip(NEXT) | instid1(VALU_DEP_4)
	v_add_f64_e32 v[3:4], v[12:13], v[4:5]
	v_add_f64_e32 v[1:2], v[10:11], v[1:2]
	s_delay_alu instid0(VALU_DEP_2) | instskip(NEXT) | instid1(VALU_DEP_2)
	v_add_f64_e32 v[3:4], v[3:4], v[8:9]
	v_add_f64_e32 v[1:2], v[1:2], v[6:7]
	s_wait_loadcnt 0x0
	s_delay_alu instid0(VALU_DEP_2) | instskip(NEXT) | instid1(VALU_DEP_2)
	v_add_f64_e64 v[3:4], v[20:21], -v[3:4]
	v_add_f64_e64 v[1:2], v[18:19], -v[1:2]
	scratch_store_b128 off, v[1:4], off offset:624
	v_cmpx_lt_u32_e32 37, v0
	s_cbranch_execz .LBB62_329
; %bb.328:
	scratch_load_b128 v[1:4], off, s36
	v_mov_b32_e32 v5, 0
	s_delay_alu instid0(VALU_DEP_1)
	v_dual_mov_b32 v6, v5 :: v_dual_mov_b32 v7, v5
	v_mov_b32_e32 v8, v5
	scratch_store_b128 off, v[5:8], off offset:608
	s_wait_loadcnt 0x0
	ds_store_b128 v168, v[1:4]
.LBB62_329:
	s_wait_alu 0xfffe
	s_or_b32 exec_lo, exec_lo, s0
	s_wait_storecnt_dscnt 0x0
	s_barrier_signal -1
	s_barrier_wait -1
	global_inv scope:SCOPE_SE
	s_clause 0x7
	scratch_load_b128 v[2:5], off, off offset:624
	scratch_load_b128 v[6:9], off, off offset:640
	scratch_load_b128 v[10:13], off, off offset:656
	scratch_load_b128 v[14:17], off, off offset:672
	scratch_load_b128 v[18:21], off, off offset:688
	scratch_load_b128 v[22:25], off, off offset:704
	scratch_load_b128 v[26:29], off, off offset:720
	scratch_load_b128 v[30:33], off, off offset:736
	v_mov_b32_e32 v1, 0
	s_clause 0x1
	scratch_load_b128 v[38:41], off, off offset:752
	scratch_load_b128 v[173:176], off, off offset:768
	s_mov_b32 s0, exec_lo
	ds_load_b128 v[34:37], v1 offset:1616
	ds_load_b128 v[169:172], v1 offset:1632
	s_wait_loadcnt_dscnt 0x901
	v_mul_f64_e32 v[177:178], v[36:37], v[4:5]
	v_mul_f64_e32 v[4:5], v[34:35], v[4:5]
	s_wait_loadcnt_dscnt 0x800
	v_mul_f64_e32 v[179:180], v[169:170], v[8:9]
	v_mul_f64_e32 v[8:9], v[171:172], v[8:9]
	s_delay_alu instid0(VALU_DEP_4) | instskip(NEXT) | instid1(VALU_DEP_4)
	v_fma_f64 v[177:178], v[34:35], v[2:3], -v[177:178]
	v_fma_f64 v[181:182], v[36:37], v[2:3], v[4:5]
	ds_load_b128 v[2:5], v1 offset:1648
	scratch_load_b128 v[34:37], off, off offset:784
	v_fma_f64 v[179:180], v[171:172], v[6:7], v[179:180]
	v_fma_f64 v[185:186], v[169:170], v[6:7], -v[8:9]
	ds_load_b128 v[6:9], v1 offset:1664
	scratch_load_b128 v[169:172], off, off offset:800
	s_wait_loadcnt_dscnt 0x901
	v_mul_f64_e32 v[183:184], v[2:3], v[12:13]
	v_mul_f64_e32 v[12:13], v[4:5], v[12:13]
	s_wait_loadcnt_dscnt 0x800
	v_mul_f64_e32 v[187:188], v[6:7], v[16:17]
	v_mul_f64_e32 v[16:17], v[8:9], v[16:17]
	v_add_f64_e32 v[177:178], 0, v[177:178]
	v_add_f64_e32 v[181:182], 0, v[181:182]
	v_fma_f64 v[183:184], v[4:5], v[10:11], v[183:184]
	v_fma_f64 v[189:190], v[2:3], v[10:11], -v[12:13]
	ds_load_b128 v[2:5], v1 offset:1680
	scratch_load_b128 v[10:13], off, off offset:816
	v_add_f64_e32 v[177:178], v[177:178], v[185:186]
	v_add_f64_e32 v[179:180], v[181:182], v[179:180]
	v_fma_f64 v[185:186], v[8:9], v[14:15], v[187:188]
	v_fma_f64 v[187:188], v[6:7], v[14:15], -v[16:17]
	ds_load_b128 v[6:9], v1 offset:1696
	scratch_load_b128 v[14:17], off, off offset:832
	s_wait_loadcnt_dscnt 0x901
	v_mul_f64_e32 v[181:182], v[2:3], v[20:21]
	v_mul_f64_e32 v[20:21], v[4:5], v[20:21]
	v_add_f64_e32 v[177:178], v[177:178], v[189:190]
	v_add_f64_e32 v[179:180], v[179:180], v[183:184]
	s_wait_loadcnt_dscnt 0x800
	v_mul_f64_e32 v[183:184], v[6:7], v[24:25]
	v_mul_f64_e32 v[24:25], v[8:9], v[24:25]
	v_fma_f64 v[181:182], v[4:5], v[18:19], v[181:182]
	v_fma_f64 v[189:190], v[2:3], v[18:19], -v[20:21]
	ds_load_b128 v[2:5], v1 offset:1712
	scratch_load_b128 v[18:21], off, off offset:848
	v_add_f64_e32 v[177:178], v[177:178], v[187:188]
	v_add_f64_e32 v[179:180], v[179:180], v[185:186]
	v_fma_f64 v[183:184], v[8:9], v[22:23], v[183:184]
	v_fma_f64 v[187:188], v[6:7], v[22:23], -v[24:25]
	ds_load_b128 v[6:9], v1 offset:1728
	s_wait_loadcnt_dscnt 0x801
	v_mul_f64_e32 v[185:186], v[2:3], v[28:29]
	v_mul_f64_e32 v[28:29], v[4:5], v[28:29]
	scratch_load_b128 v[22:25], off, off offset:864
	v_add_f64_e32 v[177:178], v[177:178], v[189:190]
	v_add_f64_e32 v[179:180], v[179:180], v[181:182]
	s_wait_loadcnt_dscnt 0x800
	v_mul_f64_e32 v[181:182], v[6:7], v[32:33]
	v_mul_f64_e32 v[32:33], v[8:9], v[32:33]
	v_fma_f64 v[185:186], v[4:5], v[26:27], v[185:186]
	v_fma_f64 v[189:190], v[2:3], v[26:27], -v[28:29]
	ds_load_b128 v[2:5], v1 offset:1744
	scratch_load_b128 v[26:29], off, off offset:880
	v_add_f64_e32 v[177:178], v[177:178], v[187:188]
	v_add_f64_e32 v[179:180], v[179:180], v[183:184]
	v_fma_f64 v[181:182], v[8:9], v[30:31], v[181:182]
	v_fma_f64 v[187:188], v[6:7], v[30:31], -v[32:33]
	ds_load_b128 v[6:9], v1 offset:1760
	s_wait_loadcnt_dscnt 0x801
	v_mul_f64_e32 v[183:184], v[2:3], v[40:41]
	v_mul_f64_e32 v[40:41], v[4:5], v[40:41]
	scratch_load_b128 v[30:33], off, off offset:896
	v_add_f64_e32 v[177:178], v[177:178], v[189:190]
	v_add_f64_e32 v[179:180], v[179:180], v[185:186]
	s_wait_loadcnt_dscnt 0x800
	v_mul_f64_e32 v[185:186], v[6:7], v[175:176]
	v_mul_f64_e32 v[175:176], v[8:9], v[175:176]
	v_fma_f64 v[183:184], v[4:5], v[38:39], v[183:184]
	v_fma_f64 v[189:190], v[2:3], v[38:39], -v[40:41]
	ds_load_b128 v[2:5], v1 offset:1776
	scratch_load_b128 v[38:41], off, off offset:912
	v_add_f64_e32 v[177:178], v[177:178], v[187:188]
	v_add_f64_e32 v[179:180], v[179:180], v[181:182]
	v_fma_f64 v[185:186], v[8:9], v[173:174], v[185:186]
	v_fma_f64 v[187:188], v[6:7], v[173:174], -v[175:176]
	ds_load_b128 v[6:9], v1 offset:1792
	scratch_load_b128 v[173:176], off, off offset:928
	s_wait_loadcnt_dscnt 0x901
	v_mul_f64_e32 v[181:182], v[2:3], v[36:37]
	v_mul_f64_e32 v[36:37], v[4:5], v[36:37]
	v_add_f64_e32 v[177:178], v[177:178], v[189:190]
	v_add_f64_e32 v[179:180], v[179:180], v[183:184]
	s_wait_loadcnt_dscnt 0x800
	v_mul_f64_e32 v[183:184], v[6:7], v[171:172]
	v_mul_f64_e32 v[171:172], v[8:9], v[171:172]
	v_fma_f64 v[181:182], v[4:5], v[34:35], v[181:182]
	v_fma_f64 v[189:190], v[2:3], v[34:35], -v[36:37]
	ds_load_b128 v[2:5], v1 offset:1808
	scratch_load_b128 v[34:37], off, off offset:944
	v_add_f64_e32 v[177:178], v[177:178], v[187:188]
	v_add_f64_e32 v[179:180], v[179:180], v[185:186]
	v_fma_f64 v[183:184], v[8:9], v[169:170], v[183:184]
	v_fma_f64 v[187:188], v[6:7], v[169:170], -v[171:172]
	ds_load_b128 v[6:9], v1 offset:1824
	s_wait_loadcnt_dscnt 0x801
	v_mul_f64_e32 v[185:186], v[2:3], v[12:13]
	v_mul_f64_e32 v[12:13], v[4:5], v[12:13]
	scratch_load_b128 v[169:172], off, off offset:960
	v_add_f64_e32 v[177:178], v[177:178], v[189:190]
	v_add_f64_e32 v[179:180], v[179:180], v[181:182]
	s_wait_loadcnt_dscnt 0x800
	v_mul_f64_e32 v[181:182], v[6:7], v[16:17]
	v_mul_f64_e32 v[16:17], v[8:9], v[16:17]
	v_fma_f64 v[185:186], v[4:5], v[10:11], v[185:186]
	v_fma_f64 v[189:190], v[2:3], v[10:11], -v[12:13]
	ds_load_b128 v[2:5], v1 offset:1840
	scratch_load_b128 v[10:13], off, off offset:976
	v_add_f64_e32 v[177:178], v[177:178], v[187:188]
	v_add_f64_e32 v[179:180], v[179:180], v[183:184]
	v_fma_f64 v[181:182], v[8:9], v[14:15], v[181:182]
	v_fma_f64 v[187:188], v[6:7], v[14:15], -v[16:17]
	ds_load_b128 v[6:9], v1 offset:1856
	s_wait_loadcnt_dscnt 0x801
	v_mul_f64_e32 v[183:184], v[2:3], v[20:21]
	v_mul_f64_e32 v[20:21], v[4:5], v[20:21]
	scratch_load_b128 v[14:17], off, off offset:992
	v_add_f64_e32 v[177:178], v[177:178], v[189:190]
	v_add_f64_e32 v[179:180], v[179:180], v[185:186]
	s_wait_loadcnt_dscnt 0x800
	v_mul_f64_e32 v[185:186], v[6:7], v[24:25]
	v_mul_f64_e32 v[24:25], v[8:9], v[24:25]
	v_fma_f64 v[183:184], v[4:5], v[18:19], v[183:184]
	v_fma_f64 v[189:190], v[2:3], v[18:19], -v[20:21]
	ds_load_b128 v[2:5], v1 offset:1872
	scratch_load_b128 v[18:21], off, off offset:1008
	v_add_f64_e32 v[177:178], v[177:178], v[187:188]
	v_add_f64_e32 v[179:180], v[179:180], v[181:182]
	v_fma_f64 v[185:186], v[8:9], v[22:23], v[185:186]
	v_fma_f64 v[22:23], v[6:7], v[22:23], -v[24:25]
	ds_load_b128 v[6:9], v1 offset:1888
	s_wait_loadcnt_dscnt 0x801
	v_mul_f64_e32 v[181:182], v[2:3], v[28:29]
	v_mul_f64_e32 v[28:29], v[4:5], v[28:29]
	v_add_f64_e32 v[24:25], v[177:178], v[189:190]
	v_add_f64_e32 v[177:178], v[179:180], v[183:184]
	s_wait_loadcnt_dscnt 0x700
	v_mul_f64_e32 v[179:180], v[6:7], v[32:33]
	v_mul_f64_e32 v[32:33], v[8:9], v[32:33]
	v_fma_f64 v[181:182], v[4:5], v[26:27], v[181:182]
	v_fma_f64 v[26:27], v[2:3], v[26:27], -v[28:29]
	ds_load_b128 v[2:5], v1 offset:1904
	v_add_f64_e32 v[22:23], v[24:25], v[22:23]
	v_add_f64_e32 v[24:25], v[177:178], v[185:186]
	v_fma_f64 v[177:178], v[8:9], v[30:31], v[179:180]
	v_fma_f64 v[30:31], v[6:7], v[30:31], -v[32:33]
	ds_load_b128 v[6:9], v1 offset:1920
	s_wait_loadcnt_dscnt 0x500
	v_mul_f64_e32 v[179:180], v[6:7], v[175:176]
	v_mul_f64_e32 v[175:176], v[8:9], v[175:176]
	v_add_f64_e32 v[26:27], v[22:23], v[26:27]
	v_add_f64_e32 v[32:33], v[24:25], v[181:182]
	scratch_load_b128 v[22:25], off, off offset:608
	v_mul_f64_e32 v[28:29], v[2:3], v[40:41]
	v_mul_f64_e32 v[40:41], v[4:5], v[40:41]
	v_add_f64_e32 v[26:27], v[26:27], v[30:31]
	v_add_f64_e32 v[30:31], v[32:33], v[177:178]
	s_delay_alu instid0(VALU_DEP_4) | instskip(NEXT) | instid1(VALU_DEP_4)
	v_fma_f64 v[28:29], v[4:5], v[38:39], v[28:29]
	v_fma_f64 v[38:39], v[2:3], v[38:39], -v[40:41]
	ds_load_b128 v[2:5], v1 offset:1936
	v_fma_f64 v[40:41], v[8:9], v[173:174], v[179:180]
	v_fma_f64 v[173:174], v[6:7], v[173:174], -v[175:176]
	ds_load_b128 v[6:9], v1 offset:1952
	s_wait_loadcnt_dscnt 0x501
	v_mul_f64_e32 v[32:33], v[2:3], v[36:37]
	v_mul_f64_e32 v[36:37], v[4:5], v[36:37]
	v_add_f64_e32 v[28:29], v[30:31], v[28:29]
	v_add_f64_e32 v[26:27], v[26:27], v[38:39]
	s_wait_loadcnt_dscnt 0x400
	v_mul_f64_e32 v[30:31], v[6:7], v[171:172]
	v_mul_f64_e32 v[38:39], v[8:9], v[171:172]
	v_fma_f64 v[32:33], v[4:5], v[34:35], v[32:33]
	v_fma_f64 v[34:35], v[2:3], v[34:35], -v[36:37]
	ds_load_b128 v[2:5], v1 offset:1968
	v_add_f64_e32 v[28:29], v[28:29], v[40:41]
	v_add_f64_e32 v[26:27], v[26:27], v[173:174]
	v_fma_f64 v[30:31], v[8:9], v[169:170], v[30:31]
	v_fma_f64 v[38:39], v[6:7], v[169:170], -v[38:39]
	ds_load_b128 v[6:9], v1 offset:1984
	s_wait_loadcnt_dscnt 0x301
	v_mul_f64_e32 v[36:37], v[2:3], v[12:13]
	v_mul_f64_e32 v[12:13], v[4:5], v[12:13]
	v_add_f64_e32 v[28:29], v[28:29], v[32:33]
	v_add_f64_e32 v[26:27], v[26:27], v[34:35]
	s_wait_loadcnt_dscnt 0x200
	v_mul_f64_e32 v[32:33], v[6:7], v[16:17]
	v_mul_f64_e32 v[16:17], v[8:9], v[16:17]
	v_fma_f64 v[34:35], v[4:5], v[10:11], v[36:37]
	v_fma_f64 v[10:11], v[2:3], v[10:11], -v[12:13]
	ds_load_b128 v[2:5], v1 offset:2000
	v_add_f64_e32 v[12:13], v[26:27], v[38:39]
	v_add_f64_e32 v[26:27], v[28:29], v[30:31]
	s_wait_loadcnt_dscnt 0x100
	v_mul_f64_e32 v[28:29], v[2:3], v[20:21]
	v_mul_f64_e32 v[20:21], v[4:5], v[20:21]
	v_fma_f64 v[8:9], v[8:9], v[14:15], v[32:33]
	v_fma_f64 v[6:7], v[6:7], v[14:15], -v[16:17]
	v_add_f64_e32 v[10:11], v[12:13], v[10:11]
	v_add_f64_e32 v[12:13], v[26:27], v[34:35]
	v_fma_f64 v[4:5], v[4:5], v[18:19], v[28:29]
	v_fma_f64 v[2:3], v[2:3], v[18:19], -v[20:21]
	s_delay_alu instid0(VALU_DEP_4) | instskip(NEXT) | instid1(VALU_DEP_4)
	v_add_f64_e32 v[6:7], v[10:11], v[6:7]
	v_add_f64_e32 v[8:9], v[12:13], v[8:9]
	s_delay_alu instid0(VALU_DEP_2) | instskip(NEXT) | instid1(VALU_DEP_2)
	v_add_f64_e32 v[2:3], v[6:7], v[2:3]
	v_add_f64_e32 v[4:5], v[8:9], v[4:5]
	s_wait_loadcnt 0x0
	s_delay_alu instid0(VALU_DEP_2) | instskip(NEXT) | instid1(VALU_DEP_2)
	v_add_f64_e64 v[2:3], v[22:23], -v[2:3]
	v_add_f64_e64 v[4:5], v[24:25], -v[4:5]
	scratch_store_b128 off, v[2:5], off offset:608
	v_cmpx_lt_u32_e32 36, v0
	s_cbranch_execz .LBB62_331
; %bb.330:
	scratch_load_b128 v[5:8], off, s38
	v_dual_mov_b32 v2, v1 :: v_dual_mov_b32 v3, v1
	v_mov_b32_e32 v4, v1
	scratch_store_b128 off, v[1:4], off offset:592
	s_wait_loadcnt 0x0
	ds_store_b128 v168, v[5:8]
.LBB62_331:
	s_wait_alu 0xfffe
	s_or_b32 exec_lo, exec_lo, s0
	s_wait_storecnt_dscnt 0x0
	s_barrier_signal -1
	s_barrier_wait -1
	global_inv scope:SCOPE_SE
	s_clause 0x7
	scratch_load_b128 v[2:5], off, off offset:608
	scratch_load_b128 v[6:9], off, off offset:624
	scratch_load_b128 v[10:13], off, off offset:640
	scratch_load_b128 v[14:17], off, off offset:656
	scratch_load_b128 v[18:21], off, off offset:672
	scratch_load_b128 v[22:25], off, off offset:688
	scratch_load_b128 v[26:29], off, off offset:704
	scratch_load_b128 v[30:33], off, off offset:720
	ds_load_b128 v[34:37], v1 offset:1600
	ds_load_b128 v[169:172], v1 offset:1616
	s_clause 0x1
	scratch_load_b128 v[38:41], off, off offset:736
	scratch_load_b128 v[173:176], off, off offset:752
	s_mov_b32 s0, exec_lo
	s_wait_loadcnt_dscnt 0x901
	v_mul_f64_e32 v[177:178], v[36:37], v[4:5]
	v_mul_f64_e32 v[4:5], v[34:35], v[4:5]
	s_wait_loadcnt_dscnt 0x800
	v_mul_f64_e32 v[179:180], v[169:170], v[8:9]
	v_mul_f64_e32 v[8:9], v[171:172], v[8:9]
	s_delay_alu instid0(VALU_DEP_4) | instskip(NEXT) | instid1(VALU_DEP_4)
	v_fma_f64 v[177:178], v[34:35], v[2:3], -v[177:178]
	v_fma_f64 v[181:182], v[36:37], v[2:3], v[4:5]
	ds_load_b128 v[2:5], v1 offset:1632
	scratch_load_b128 v[34:37], off, off offset:768
	v_fma_f64 v[179:180], v[171:172], v[6:7], v[179:180]
	v_fma_f64 v[185:186], v[169:170], v[6:7], -v[8:9]
	ds_load_b128 v[6:9], v1 offset:1648
	scratch_load_b128 v[169:172], off, off offset:784
	s_wait_loadcnt_dscnt 0x901
	v_mul_f64_e32 v[183:184], v[2:3], v[12:13]
	v_mul_f64_e32 v[12:13], v[4:5], v[12:13]
	s_wait_loadcnt_dscnt 0x800
	v_mul_f64_e32 v[187:188], v[6:7], v[16:17]
	v_mul_f64_e32 v[16:17], v[8:9], v[16:17]
	v_add_f64_e32 v[177:178], 0, v[177:178]
	v_add_f64_e32 v[181:182], 0, v[181:182]
	v_fma_f64 v[183:184], v[4:5], v[10:11], v[183:184]
	v_fma_f64 v[189:190], v[2:3], v[10:11], -v[12:13]
	ds_load_b128 v[2:5], v1 offset:1664
	scratch_load_b128 v[10:13], off, off offset:800
	v_add_f64_e32 v[177:178], v[177:178], v[185:186]
	v_add_f64_e32 v[179:180], v[181:182], v[179:180]
	v_fma_f64 v[185:186], v[8:9], v[14:15], v[187:188]
	v_fma_f64 v[187:188], v[6:7], v[14:15], -v[16:17]
	ds_load_b128 v[6:9], v1 offset:1680
	scratch_load_b128 v[14:17], off, off offset:816
	s_wait_loadcnt_dscnt 0x901
	v_mul_f64_e32 v[181:182], v[2:3], v[20:21]
	v_mul_f64_e32 v[20:21], v[4:5], v[20:21]
	v_add_f64_e32 v[177:178], v[177:178], v[189:190]
	v_add_f64_e32 v[179:180], v[179:180], v[183:184]
	s_wait_loadcnt_dscnt 0x800
	v_mul_f64_e32 v[183:184], v[6:7], v[24:25]
	v_mul_f64_e32 v[24:25], v[8:9], v[24:25]
	v_fma_f64 v[181:182], v[4:5], v[18:19], v[181:182]
	v_fma_f64 v[189:190], v[2:3], v[18:19], -v[20:21]
	ds_load_b128 v[2:5], v1 offset:1696
	scratch_load_b128 v[18:21], off, off offset:832
	v_add_f64_e32 v[177:178], v[177:178], v[187:188]
	v_add_f64_e32 v[179:180], v[179:180], v[185:186]
	v_fma_f64 v[183:184], v[8:9], v[22:23], v[183:184]
	v_fma_f64 v[187:188], v[6:7], v[22:23], -v[24:25]
	ds_load_b128 v[6:9], v1 offset:1712
	s_wait_loadcnt_dscnt 0x801
	v_mul_f64_e32 v[185:186], v[2:3], v[28:29]
	v_mul_f64_e32 v[28:29], v[4:5], v[28:29]
	scratch_load_b128 v[22:25], off, off offset:848
	v_add_f64_e32 v[177:178], v[177:178], v[189:190]
	v_add_f64_e32 v[179:180], v[179:180], v[181:182]
	s_wait_loadcnt_dscnt 0x800
	v_mul_f64_e32 v[181:182], v[6:7], v[32:33]
	v_mul_f64_e32 v[32:33], v[8:9], v[32:33]
	v_fma_f64 v[185:186], v[4:5], v[26:27], v[185:186]
	v_fma_f64 v[189:190], v[2:3], v[26:27], -v[28:29]
	ds_load_b128 v[2:5], v1 offset:1728
	scratch_load_b128 v[26:29], off, off offset:864
	v_add_f64_e32 v[177:178], v[177:178], v[187:188]
	v_add_f64_e32 v[179:180], v[179:180], v[183:184]
	v_fma_f64 v[181:182], v[8:9], v[30:31], v[181:182]
	v_fma_f64 v[187:188], v[6:7], v[30:31], -v[32:33]
	ds_load_b128 v[6:9], v1 offset:1744
	s_wait_loadcnt_dscnt 0x801
	v_mul_f64_e32 v[183:184], v[2:3], v[40:41]
	v_mul_f64_e32 v[40:41], v[4:5], v[40:41]
	scratch_load_b128 v[30:33], off, off offset:880
	v_add_f64_e32 v[177:178], v[177:178], v[189:190]
	v_add_f64_e32 v[179:180], v[179:180], v[185:186]
	s_wait_loadcnt_dscnt 0x800
	v_mul_f64_e32 v[185:186], v[6:7], v[175:176]
	v_mul_f64_e32 v[175:176], v[8:9], v[175:176]
	v_fma_f64 v[183:184], v[4:5], v[38:39], v[183:184]
	v_fma_f64 v[189:190], v[2:3], v[38:39], -v[40:41]
	ds_load_b128 v[2:5], v1 offset:1760
	scratch_load_b128 v[38:41], off, off offset:896
	v_add_f64_e32 v[177:178], v[177:178], v[187:188]
	v_add_f64_e32 v[179:180], v[179:180], v[181:182]
	v_fma_f64 v[185:186], v[8:9], v[173:174], v[185:186]
	v_fma_f64 v[187:188], v[6:7], v[173:174], -v[175:176]
	ds_load_b128 v[6:9], v1 offset:1776
	scratch_load_b128 v[173:176], off, off offset:912
	s_wait_loadcnt_dscnt 0x901
	v_mul_f64_e32 v[181:182], v[2:3], v[36:37]
	v_mul_f64_e32 v[36:37], v[4:5], v[36:37]
	v_add_f64_e32 v[177:178], v[177:178], v[189:190]
	v_add_f64_e32 v[179:180], v[179:180], v[183:184]
	s_wait_loadcnt_dscnt 0x800
	v_mul_f64_e32 v[183:184], v[6:7], v[171:172]
	v_mul_f64_e32 v[171:172], v[8:9], v[171:172]
	v_fma_f64 v[181:182], v[4:5], v[34:35], v[181:182]
	v_fma_f64 v[189:190], v[2:3], v[34:35], -v[36:37]
	ds_load_b128 v[2:5], v1 offset:1792
	scratch_load_b128 v[34:37], off, off offset:928
	v_add_f64_e32 v[177:178], v[177:178], v[187:188]
	v_add_f64_e32 v[179:180], v[179:180], v[185:186]
	v_fma_f64 v[183:184], v[8:9], v[169:170], v[183:184]
	v_fma_f64 v[187:188], v[6:7], v[169:170], -v[171:172]
	ds_load_b128 v[6:9], v1 offset:1808
	s_wait_loadcnt_dscnt 0x801
	v_mul_f64_e32 v[185:186], v[2:3], v[12:13]
	v_mul_f64_e32 v[12:13], v[4:5], v[12:13]
	scratch_load_b128 v[169:172], off, off offset:944
	v_add_f64_e32 v[177:178], v[177:178], v[189:190]
	v_add_f64_e32 v[179:180], v[179:180], v[181:182]
	s_wait_loadcnt_dscnt 0x800
	v_mul_f64_e32 v[181:182], v[6:7], v[16:17]
	v_mul_f64_e32 v[16:17], v[8:9], v[16:17]
	v_fma_f64 v[185:186], v[4:5], v[10:11], v[185:186]
	v_fma_f64 v[189:190], v[2:3], v[10:11], -v[12:13]
	ds_load_b128 v[2:5], v1 offset:1824
	scratch_load_b128 v[10:13], off, off offset:960
	v_add_f64_e32 v[177:178], v[177:178], v[187:188]
	v_add_f64_e32 v[179:180], v[179:180], v[183:184]
	v_fma_f64 v[181:182], v[8:9], v[14:15], v[181:182]
	v_fma_f64 v[187:188], v[6:7], v[14:15], -v[16:17]
	ds_load_b128 v[6:9], v1 offset:1840
	s_wait_loadcnt_dscnt 0x801
	v_mul_f64_e32 v[183:184], v[2:3], v[20:21]
	v_mul_f64_e32 v[20:21], v[4:5], v[20:21]
	scratch_load_b128 v[14:17], off, off offset:976
	;; [unrolled: 18-line block ×3, first 2 shown]
	v_add_f64_e32 v[177:178], v[177:178], v[189:190]
	v_add_f64_e32 v[179:180], v[179:180], v[183:184]
	s_wait_loadcnt_dscnt 0x800
	v_mul_f64_e32 v[183:184], v[6:7], v[32:33]
	v_mul_f64_e32 v[32:33], v[8:9], v[32:33]
	v_fma_f64 v[181:182], v[4:5], v[26:27], v[181:182]
	v_fma_f64 v[26:27], v[2:3], v[26:27], -v[28:29]
	ds_load_b128 v[2:5], v1 offset:1888
	v_add_f64_e32 v[28:29], v[177:178], v[187:188]
	v_add_f64_e32 v[177:178], v[179:180], v[185:186]
	v_fma_f64 v[183:184], v[8:9], v[30:31], v[183:184]
	v_fma_f64 v[30:31], v[6:7], v[30:31], -v[32:33]
	ds_load_b128 v[6:9], v1 offset:1904
	s_wait_loadcnt_dscnt 0x701
	v_mul_f64_e32 v[179:180], v[2:3], v[40:41]
	v_mul_f64_e32 v[40:41], v[4:5], v[40:41]
	v_add_f64_e32 v[26:27], v[28:29], v[26:27]
	v_add_f64_e32 v[28:29], v[177:178], v[181:182]
	s_delay_alu instid0(VALU_DEP_4) | instskip(NEXT) | instid1(VALU_DEP_4)
	v_fma_f64 v[177:178], v[4:5], v[38:39], v[179:180]
	v_fma_f64 v[38:39], v[2:3], v[38:39], -v[40:41]
	ds_load_b128 v[2:5], v1 offset:1920
	v_add_f64_e32 v[30:31], v[26:27], v[30:31]
	v_add_f64_e32 v[40:41], v[28:29], v[183:184]
	scratch_load_b128 v[26:29], off, off offset:592
	s_wait_loadcnt_dscnt 0x701
	v_mul_f64_e32 v[32:33], v[6:7], v[175:176]
	v_mul_f64_e32 v[175:176], v[8:9], v[175:176]
	v_add_f64_e32 v[30:31], v[30:31], v[38:39]
	v_add_f64_e32 v[38:39], v[40:41], v[177:178]
	s_delay_alu instid0(VALU_DEP_4) | instskip(NEXT) | instid1(VALU_DEP_4)
	v_fma_f64 v[32:33], v[8:9], v[173:174], v[32:33]
	v_fma_f64 v[173:174], v[6:7], v[173:174], -v[175:176]
	ds_load_b128 v[6:9], v1 offset:1936
	s_wait_loadcnt_dscnt 0x601
	v_mul_f64_e32 v[179:180], v[2:3], v[36:37]
	v_mul_f64_e32 v[36:37], v[4:5], v[36:37]
	s_wait_loadcnt_dscnt 0x500
	v_mul_f64_e32 v[40:41], v[6:7], v[171:172]
	v_mul_f64_e32 v[171:172], v[8:9], v[171:172]
	v_add_f64_e32 v[32:33], v[38:39], v[32:33]
	v_add_f64_e32 v[30:31], v[30:31], v[173:174]
	v_fma_f64 v[175:176], v[4:5], v[34:35], v[179:180]
	v_fma_f64 v[34:35], v[2:3], v[34:35], -v[36:37]
	ds_load_b128 v[2:5], v1 offset:1952
	v_fma_f64 v[38:39], v[8:9], v[169:170], v[40:41]
	v_fma_f64 v[40:41], v[6:7], v[169:170], -v[171:172]
	ds_load_b128 v[6:9], v1 offset:1968
	s_wait_loadcnt_dscnt 0x401
	v_mul_f64_e32 v[36:37], v[2:3], v[12:13]
	v_mul_f64_e32 v[12:13], v[4:5], v[12:13]
	v_add_f64_e32 v[32:33], v[32:33], v[175:176]
	v_add_f64_e32 v[30:31], v[30:31], v[34:35]
	s_wait_loadcnt_dscnt 0x300
	v_mul_f64_e32 v[34:35], v[6:7], v[16:17]
	v_mul_f64_e32 v[16:17], v[8:9], v[16:17]
	v_fma_f64 v[36:37], v[4:5], v[10:11], v[36:37]
	v_fma_f64 v[10:11], v[2:3], v[10:11], -v[12:13]
	ds_load_b128 v[2:5], v1 offset:1984
	v_add_f64_e32 v[12:13], v[30:31], v[40:41]
	v_add_f64_e32 v[30:31], v[32:33], v[38:39]
	v_fma_f64 v[34:35], v[8:9], v[14:15], v[34:35]
	v_fma_f64 v[14:15], v[6:7], v[14:15], -v[16:17]
	ds_load_b128 v[6:9], v1 offset:2000
	s_wait_loadcnt_dscnt 0x201
	v_mul_f64_e32 v[32:33], v[2:3], v[20:21]
	v_mul_f64_e32 v[20:21], v[4:5], v[20:21]
	s_wait_loadcnt_dscnt 0x100
	v_mul_f64_e32 v[16:17], v[6:7], v[24:25]
	v_mul_f64_e32 v[24:25], v[8:9], v[24:25]
	v_add_f64_e32 v[10:11], v[12:13], v[10:11]
	v_add_f64_e32 v[12:13], v[30:31], v[36:37]
	v_fma_f64 v[4:5], v[4:5], v[18:19], v[32:33]
	v_fma_f64 v[1:2], v[2:3], v[18:19], -v[20:21]
	v_fma_f64 v[8:9], v[8:9], v[22:23], v[16:17]
	v_fma_f64 v[6:7], v[6:7], v[22:23], -v[24:25]
	v_add_f64_e32 v[10:11], v[10:11], v[14:15]
	v_add_f64_e32 v[12:13], v[12:13], v[34:35]
	s_delay_alu instid0(VALU_DEP_2) | instskip(NEXT) | instid1(VALU_DEP_2)
	v_add_f64_e32 v[1:2], v[10:11], v[1:2]
	v_add_f64_e32 v[3:4], v[12:13], v[4:5]
	s_delay_alu instid0(VALU_DEP_2) | instskip(NEXT) | instid1(VALU_DEP_2)
	v_add_f64_e32 v[1:2], v[1:2], v[6:7]
	v_add_f64_e32 v[3:4], v[3:4], v[8:9]
	s_wait_loadcnt 0x0
	s_delay_alu instid0(VALU_DEP_2) | instskip(NEXT) | instid1(VALU_DEP_2)
	v_add_f64_e64 v[1:2], v[26:27], -v[1:2]
	v_add_f64_e64 v[3:4], v[28:29], -v[3:4]
	scratch_store_b128 off, v[1:4], off offset:592
	v_cmpx_lt_u32_e32 35, v0
	s_cbranch_execz .LBB62_333
; %bb.332:
	scratch_load_b128 v[1:4], off, s39
	v_mov_b32_e32 v5, 0
	s_delay_alu instid0(VALU_DEP_1)
	v_dual_mov_b32 v6, v5 :: v_dual_mov_b32 v7, v5
	v_mov_b32_e32 v8, v5
	scratch_store_b128 off, v[5:8], off offset:576
	s_wait_loadcnt 0x0
	ds_store_b128 v168, v[1:4]
.LBB62_333:
	s_wait_alu 0xfffe
	s_or_b32 exec_lo, exec_lo, s0
	s_wait_storecnt_dscnt 0x0
	s_barrier_signal -1
	s_barrier_wait -1
	global_inv scope:SCOPE_SE
	s_clause 0x7
	scratch_load_b128 v[2:5], off, off offset:592
	scratch_load_b128 v[6:9], off, off offset:608
	;; [unrolled: 1-line block ×8, first 2 shown]
	v_mov_b32_e32 v1, 0
	s_clause 0x1
	scratch_load_b128 v[38:41], off, off offset:720
	scratch_load_b128 v[173:176], off, off offset:736
	s_mov_b32 s0, exec_lo
	ds_load_b128 v[34:37], v1 offset:1584
	ds_load_b128 v[169:172], v1 offset:1600
	s_wait_loadcnt_dscnt 0x901
	v_mul_f64_e32 v[177:178], v[36:37], v[4:5]
	v_mul_f64_e32 v[4:5], v[34:35], v[4:5]
	s_wait_loadcnt_dscnt 0x800
	v_mul_f64_e32 v[179:180], v[169:170], v[8:9]
	v_mul_f64_e32 v[8:9], v[171:172], v[8:9]
	s_delay_alu instid0(VALU_DEP_4) | instskip(NEXT) | instid1(VALU_DEP_4)
	v_fma_f64 v[177:178], v[34:35], v[2:3], -v[177:178]
	v_fma_f64 v[181:182], v[36:37], v[2:3], v[4:5]
	ds_load_b128 v[2:5], v1 offset:1616
	scratch_load_b128 v[34:37], off, off offset:752
	v_fma_f64 v[179:180], v[171:172], v[6:7], v[179:180]
	v_fma_f64 v[185:186], v[169:170], v[6:7], -v[8:9]
	ds_load_b128 v[6:9], v1 offset:1632
	scratch_load_b128 v[169:172], off, off offset:768
	s_wait_loadcnt_dscnt 0x901
	v_mul_f64_e32 v[183:184], v[2:3], v[12:13]
	v_mul_f64_e32 v[12:13], v[4:5], v[12:13]
	s_wait_loadcnt_dscnt 0x800
	v_mul_f64_e32 v[187:188], v[6:7], v[16:17]
	v_mul_f64_e32 v[16:17], v[8:9], v[16:17]
	v_add_f64_e32 v[177:178], 0, v[177:178]
	v_add_f64_e32 v[181:182], 0, v[181:182]
	v_fma_f64 v[183:184], v[4:5], v[10:11], v[183:184]
	v_fma_f64 v[189:190], v[2:3], v[10:11], -v[12:13]
	ds_load_b128 v[2:5], v1 offset:1648
	scratch_load_b128 v[10:13], off, off offset:784
	v_add_f64_e32 v[177:178], v[177:178], v[185:186]
	v_add_f64_e32 v[179:180], v[181:182], v[179:180]
	v_fma_f64 v[185:186], v[8:9], v[14:15], v[187:188]
	v_fma_f64 v[187:188], v[6:7], v[14:15], -v[16:17]
	ds_load_b128 v[6:9], v1 offset:1664
	scratch_load_b128 v[14:17], off, off offset:800
	s_wait_loadcnt_dscnt 0x901
	v_mul_f64_e32 v[181:182], v[2:3], v[20:21]
	v_mul_f64_e32 v[20:21], v[4:5], v[20:21]
	v_add_f64_e32 v[177:178], v[177:178], v[189:190]
	v_add_f64_e32 v[179:180], v[179:180], v[183:184]
	s_wait_loadcnt_dscnt 0x800
	v_mul_f64_e32 v[183:184], v[6:7], v[24:25]
	v_mul_f64_e32 v[24:25], v[8:9], v[24:25]
	v_fma_f64 v[181:182], v[4:5], v[18:19], v[181:182]
	v_fma_f64 v[189:190], v[2:3], v[18:19], -v[20:21]
	ds_load_b128 v[2:5], v1 offset:1680
	scratch_load_b128 v[18:21], off, off offset:816
	v_add_f64_e32 v[177:178], v[177:178], v[187:188]
	v_add_f64_e32 v[179:180], v[179:180], v[185:186]
	v_fma_f64 v[183:184], v[8:9], v[22:23], v[183:184]
	v_fma_f64 v[187:188], v[6:7], v[22:23], -v[24:25]
	ds_load_b128 v[6:9], v1 offset:1696
	s_wait_loadcnt_dscnt 0x801
	v_mul_f64_e32 v[185:186], v[2:3], v[28:29]
	v_mul_f64_e32 v[28:29], v[4:5], v[28:29]
	scratch_load_b128 v[22:25], off, off offset:832
	v_add_f64_e32 v[177:178], v[177:178], v[189:190]
	v_add_f64_e32 v[179:180], v[179:180], v[181:182]
	s_wait_loadcnt_dscnt 0x800
	v_mul_f64_e32 v[181:182], v[6:7], v[32:33]
	v_mul_f64_e32 v[32:33], v[8:9], v[32:33]
	v_fma_f64 v[185:186], v[4:5], v[26:27], v[185:186]
	v_fma_f64 v[189:190], v[2:3], v[26:27], -v[28:29]
	ds_load_b128 v[2:5], v1 offset:1712
	scratch_load_b128 v[26:29], off, off offset:848
	v_add_f64_e32 v[177:178], v[177:178], v[187:188]
	v_add_f64_e32 v[179:180], v[179:180], v[183:184]
	v_fma_f64 v[181:182], v[8:9], v[30:31], v[181:182]
	v_fma_f64 v[187:188], v[6:7], v[30:31], -v[32:33]
	ds_load_b128 v[6:9], v1 offset:1728
	s_wait_loadcnt_dscnt 0x801
	v_mul_f64_e32 v[183:184], v[2:3], v[40:41]
	v_mul_f64_e32 v[40:41], v[4:5], v[40:41]
	scratch_load_b128 v[30:33], off, off offset:864
	v_add_f64_e32 v[177:178], v[177:178], v[189:190]
	v_add_f64_e32 v[179:180], v[179:180], v[185:186]
	s_wait_loadcnt_dscnt 0x800
	v_mul_f64_e32 v[185:186], v[6:7], v[175:176]
	v_mul_f64_e32 v[175:176], v[8:9], v[175:176]
	v_fma_f64 v[183:184], v[4:5], v[38:39], v[183:184]
	v_fma_f64 v[189:190], v[2:3], v[38:39], -v[40:41]
	ds_load_b128 v[2:5], v1 offset:1744
	scratch_load_b128 v[38:41], off, off offset:880
	v_add_f64_e32 v[177:178], v[177:178], v[187:188]
	v_add_f64_e32 v[179:180], v[179:180], v[181:182]
	v_fma_f64 v[185:186], v[8:9], v[173:174], v[185:186]
	v_fma_f64 v[187:188], v[6:7], v[173:174], -v[175:176]
	ds_load_b128 v[6:9], v1 offset:1760
	scratch_load_b128 v[173:176], off, off offset:896
	s_wait_loadcnt_dscnt 0x901
	v_mul_f64_e32 v[181:182], v[2:3], v[36:37]
	v_mul_f64_e32 v[36:37], v[4:5], v[36:37]
	v_add_f64_e32 v[177:178], v[177:178], v[189:190]
	v_add_f64_e32 v[179:180], v[179:180], v[183:184]
	s_wait_loadcnt_dscnt 0x800
	v_mul_f64_e32 v[183:184], v[6:7], v[171:172]
	v_mul_f64_e32 v[171:172], v[8:9], v[171:172]
	v_fma_f64 v[181:182], v[4:5], v[34:35], v[181:182]
	v_fma_f64 v[189:190], v[2:3], v[34:35], -v[36:37]
	ds_load_b128 v[2:5], v1 offset:1776
	scratch_load_b128 v[34:37], off, off offset:912
	v_add_f64_e32 v[177:178], v[177:178], v[187:188]
	v_add_f64_e32 v[179:180], v[179:180], v[185:186]
	v_fma_f64 v[183:184], v[8:9], v[169:170], v[183:184]
	v_fma_f64 v[187:188], v[6:7], v[169:170], -v[171:172]
	ds_load_b128 v[6:9], v1 offset:1792
	s_wait_loadcnt_dscnt 0x801
	v_mul_f64_e32 v[185:186], v[2:3], v[12:13]
	v_mul_f64_e32 v[12:13], v[4:5], v[12:13]
	scratch_load_b128 v[169:172], off, off offset:928
	v_add_f64_e32 v[177:178], v[177:178], v[189:190]
	v_add_f64_e32 v[179:180], v[179:180], v[181:182]
	s_wait_loadcnt_dscnt 0x800
	v_mul_f64_e32 v[181:182], v[6:7], v[16:17]
	v_mul_f64_e32 v[16:17], v[8:9], v[16:17]
	v_fma_f64 v[185:186], v[4:5], v[10:11], v[185:186]
	v_fma_f64 v[189:190], v[2:3], v[10:11], -v[12:13]
	ds_load_b128 v[2:5], v1 offset:1808
	scratch_load_b128 v[10:13], off, off offset:944
	v_add_f64_e32 v[177:178], v[177:178], v[187:188]
	v_add_f64_e32 v[179:180], v[179:180], v[183:184]
	v_fma_f64 v[181:182], v[8:9], v[14:15], v[181:182]
	v_fma_f64 v[187:188], v[6:7], v[14:15], -v[16:17]
	ds_load_b128 v[6:9], v1 offset:1824
	s_wait_loadcnt_dscnt 0x801
	v_mul_f64_e32 v[183:184], v[2:3], v[20:21]
	v_mul_f64_e32 v[20:21], v[4:5], v[20:21]
	scratch_load_b128 v[14:17], off, off offset:960
	;; [unrolled: 18-line block ×3, first 2 shown]
	v_add_f64_e32 v[177:178], v[177:178], v[189:190]
	v_add_f64_e32 v[179:180], v[179:180], v[183:184]
	s_wait_loadcnt_dscnt 0x800
	v_mul_f64_e32 v[183:184], v[6:7], v[32:33]
	v_mul_f64_e32 v[32:33], v[8:9], v[32:33]
	v_fma_f64 v[181:182], v[4:5], v[26:27], v[181:182]
	v_fma_f64 v[189:190], v[2:3], v[26:27], -v[28:29]
	ds_load_b128 v[2:5], v1 offset:1872
	scratch_load_b128 v[26:29], off, off offset:1008
	v_add_f64_e32 v[177:178], v[177:178], v[187:188]
	v_add_f64_e32 v[179:180], v[179:180], v[185:186]
	v_fma_f64 v[183:184], v[8:9], v[30:31], v[183:184]
	v_fma_f64 v[30:31], v[6:7], v[30:31], -v[32:33]
	ds_load_b128 v[6:9], v1 offset:1888
	s_wait_loadcnt_dscnt 0x801
	v_mul_f64_e32 v[185:186], v[2:3], v[40:41]
	v_mul_f64_e32 v[40:41], v[4:5], v[40:41]
	v_add_f64_e32 v[32:33], v[177:178], v[189:190]
	v_add_f64_e32 v[177:178], v[179:180], v[181:182]
	s_wait_loadcnt_dscnt 0x700
	v_mul_f64_e32 v[179:180], v[6:7], v[175:176]
	v_mul_f64_e32 v[175:176], v[8:9], v[175:176]
	v_fma_f64 v[181:182], v[4:5], v[38:39], v[185:186]
	v_fma_f64 v[38:39], v[2:3], v[38:39], -v[40:41]
	ds_load_b128 v[2:5], v1 offset:1904
	v_add_f64_e32 v[30:31], v[32:33], v[30:31]
	v_add_f64_e32 v[32:33], v[177:178], v[183:184]
	v_fma_f64 v[177:178], v[8:9], v[173:174], v[179:180]
	v_fma_f64 v[173:174], v[6:7], v[173:174], -v[175:176]
	ds_load_b128 v[6:9], v1 offset:1920
	s_wait_loadcnt_dscnt 0x500
	v_mul_f64_e32 v[179:180], v[6:7], v[171:172]
	v_mul_f64_e32 v[171:172], v[8:9], v[171:172]
	v_add_f64_e32 v[38:39], v[30:31], v[38:39]
	v_add_f64_e32 v[175:176], v[32:33], v[181:182]
	scratch_load_b128 v[30:33], off, off offset:576
	v_mul_f64_e32 v[40:41], v[2:3], v[36:37]
	v_mul_f64_e32 v[36:37], v[4:5], v[36:37]
	s_delay_alu instid0(VALU_DEP_2) | instskip(NEXT) | instid1(VALU_DEP_2)
	v_fma_f64 v[40:41], v[4:5], v[34:35], v[40:41]
	v_fma_f64 v[34:35], v[2:3], v[34:35], -v[36:37]
	v_add_f64_e32 v[36:37], v[38:39], v[173:174]
	v_add_f64_e32 v[38:39], v[175:176], v[177:178]
	ds_load_b128 v[2:5], v1 offset:1936
	v_fma_f64 v[175:176], v[8:9], v[169:170], v[179:180]
	v_fma_f64 v[169:170], v[6:7], v[169:170], -v[171:172]
	ds_load_b128 v[6:9], v1 offset:1952
	s_wait_loadcnt_dscnt 0x501
	v_mul_f64_e32 v[173:174], v[2:3], v[12:13]
	v_mul_f64_e32 v[12:13], v[4:5], v[12:13]
	v_add_f64_e32 v[34:35], v[36:37], v[34:35]
	v_add_f64_e32 v[36:37], v[38:39], v[40:41]
	s_wait_loadcnt_dscnt 0x400
	v_mul_f64_e32 v[38:39], v[6:7], v[16:17]
	v_mul_f64_e32 v[16:17], v[8:9], v[16:17]
	v_fma_f64 v[40:41], v[4:5], v[10:11], v[173:174]
	v_fma_f64 v[10:11], v[2:3], v[10:11], -v[12:13]
	ds_load_b128 v[2:5], v1 offset:1968
	v_add_f64_e32 v[12:13], v[34:35], v[169:170]
	v_add_f64_e32 v[34:35], v[36:37], v[175:176]
	v_fma_f64 v[38:39], v[8:9], v[14:15], v[38:39]
	v_fma_f64 v[14:15], v[6:7], v[14:15], -v[16:17]
	ds_load_b128 v[6:9], v1 offset:1984
	s_wait_loadcnt_dscnt 0x301
	v_mul_f64_e32 v[36:37], v[2:3], v[20:21]
	v_mul_f64_e32 v[20:21], v[4:5], v[20:21]
	s_wait_loadcnt_dscnt 0x200
	v_mul_f64_e32 v[16:17], v[6:7], v[24:25]
	v_mul_f64_e32 v[24:25], v[8:9], v[24:25]
	v_add_f64_e32 v[10:11], v[12:13], v[10:11]
	v_add_f64_e32 v[12:13], v[34:35], v[40:41]
	v_fma_f64 v[34:35], v[4:5], v[18:19], v[36:37]
	v_fma_f64 v[18:19], v[2:3], v[18:19], -v[20:21]
	ds_load_b128 v[2:5], v1 offset:2000
	v_fma_f64 v[8:9], v[8:9], v[22:23], v[16:17]
	v_fma_f64 v[6:7], v[6:7], v[22:23], -v[24:25]
	s_wait_loadcnt_dscnt 0x100
	v_mul_f64_e32 v[20:21], v[4:5], v[28:29]
	v_add_f64_e32 v[10:11], v[10:11], v[14:15]
	v_add_f64_e32 v[12:13], v[12:13], v[38:39]
	v_mul_f64_e32 v[14:15], v[2:3], v[28:29]
	s_delay_alu instid0(VALU_DEP_4) | instskip(NEXT) | instid1(VALU_DEP_4)
	v_fma_f64 v[2:3], v[2:3], v[26:27], -v[20:21]
	v_add_f64_e32 v[10:11], v[10:11], v[18:19]
	s_delay_alu instid0(VALU_DEP_4) | instskip(NEXT) | instid1(VALU_DEP_4)
	v_add_f64_e32 v[12:13], v[12:13], v[34:35]
	v_fma_f64 v[4:5], v[4:5], v[26:27], v[14:15]
	s_delay_alu instid0(VALU_DEP_3) | instskip(NEXT) | instid1(VALU_DEP_3)
	v_add_f64_e32 v[6:7], v[10:11], v[6:7]
	v_add_f64_e32 v[8:9], v[12:13], v[8:9]
	s_delay_alu instid0(VALU_DEP_2) | instskip(NEXT) | instid1(VALU_DEP_2)
	v_add_f64_e32 v[2:3], v[6:7], v[2:3]
	v_add_f64_e32 v[4:5], v[8:9], v[4:5]
	s_wait_loadcnt 0x0
	s_delay_alu instid0(VALU_DEP_2) | instskip(NEXT) | instid1(VALU_DEP_2)
	v_add_f64_e64 v[2:3], v[30:31], -v[2:3]
	v_add_f64_e64 v[4:5], v[32:33], -v[4:5]
	scratch_store_b128 off, v[2:5], off offset:576
	v_cmpx_lt_u32_e32 34, v0
	s_cbranch_execz .LBB62_335
; %bb.334:
	scratch_load_b128 v[5:8], off, s40
	v_dual_mov_b32 v2, v1 :: v_dual_mov_b32 v3, v1
	v_mov_b32_e32 v4, v1
	scratch_store_b128 off, v[1:4], off offset:560
	s_wait_loadcnt 0x0
	ds_store_b128 v168, v[5:8]
.LBB62_335:
	s_wait_alu 0xfffe
	s_or_b32 exec_lo, exec_lo, s0
	s_wait_storecnt_dscnt 0x0
	s_barrier_signal -1
	s_barrier_wait -1
	global_inv scope:SCOPE_SE
	s_clause 0x7
	scratch_load_b128 v[2:5], off, off offset:576
	scratch_load_b128 v[6:9], off, off offset:592
	;; [unrolled: 1-line block ×8, first 2 shown]
	ds_load_b128 v[34:37], v1 offset:1568
	ds_load_b128 v[169:172], v1 offset:1584
	s_clause 0x1
	scratch_load_b128 v[38:41], off, off offset:704
	scratch_load_b128 v[173:176], off, off offset:720
	s_mov_b32 s0, exec_lo
	s_wait_loadcnt_dscnt 0x901
	v_mul_f64_e32 v[177:178], v[36:37], v[4:5]
	v_mul_f64_e32 v[4:5], v[34:35], v[4:5]
	s_wait_loadcnt_dscnt 0x800
	v_mul_f64_e32 v[179:180], v[169:170], v[8:9]
	v_mul_f64_e32 v[8:9], v[171:172], v[8:9]
	s_delay_alu instid0(VALU_DEP_4) | instskip(NEXT) | instid1(VALU_DEP_4)
	v_fma_f64 v[177:178], v[34:35], v[2:3], -v[177:178]
	v_fma_f64 v[181:182], v[36:37], v[2:3], v[4:5]
	scratch_load_b128 v[34:37], off, off offset:736
	ds_load_b128 v[2:5], v1 offset:1600
	v_fma_f64 v[179:180], v[171:172], v[6:7], v[179:180]
	v_fma_f64 v[185:186], v[169:170], v[6:7], -v[8:9]
	ds_load_b128 v[6:9], v1 offset:1616
	scratch_load_b128 v[169:172], off, off offset:752
	s_wait_loadcnt_dscnt 0x901
	v_mul_f64_e32 v[183:184], v[2:3], v[12:13]
	v_mul_f64_e32 v[12:13], v[4:5], v[12:13]
	s_wait_loadcnt_dscnt 0x800
	v_mul_f64_e32 v[187:188], v[6:7], v[16:17]
	v_mul_f64_e32 v[16:17], v[8:9], v[16:17]
	v_add_f64_e32 v[177:178], 0, v[177:178]
	v_add_f64_e32 v[181:182], 0, v[181:182]
	v_fma_f64 v[183:184], v[4:5], v[10:11], v[183:184]
	v_fma_f64 v[189:190], v[2:3], v[10:11], -v[12:13]
	ds_load_b128 v[2:5], v1 offset:1632
	scratch_load_b128 v[10:13], off, off offset:768
	v_add_f64_e32 v[177:178], v[177:178], v[185:186]
	v_add_f64_e32 v[179:180], v[181:182], v[179:180]
	v_fma_f64 v[185:186], v[8:9], v[14:15], v[187:188]
	v_fma_f64 v[187:188], v[6:7], v[14:15], -v[16:17]
	ds_load_b128 v[6:9], v1 offset:1648
	scratch_load_b128 v[14:17], off, off offset:784
	s_wait_loadcnt_dscnt 0x901
	v_mul_f64_e32 v[181:182], v[2:3], v[20:21]
	v_mul_f64_e32 v[20:21], v[4:5], v[20:21]
	v_add_f64_e32 v[177:178], v[177:178], v[189:190]
	v_add_f64_e32 v[179:180], v[179:180], v[183:184]
	s_wait_loadcnt_dscnt 0x800
	v_mul_f64_e32 v[183:184], v[6:7], v[24:25]
	v_mul_f64_e32 v[24:25], v[8:9], v[24:25]
	v_fma_f64 v[181:182], v[4:5], v[18:19], v[181:182]
	v_fma_f64 v[189:190], v[2:3], v[18:19], -v[20:21]
	ds_load_b128 v[2:5], v1 offset:1664
	scratch_load_b128 v[18:21], off, off offset:800
	v_add_f64_e32 v[177:178], v[177:178], v[187:188]
	v_add_f64_e32 v[179:180], v[179:180], v[185:186]
	v_fma_f64 v[183:184], v[8:9], v[22:23], v[183:184]
	v_fma_f64 v[187:188], v[6:7], v[22:23], -v[24:25]
	ds_load_b128 v[6:9], v1 offset:1680
	s_wait_loadcnt_dscnt 0x801
	v_mul_f64_e32 v[185:186], v[2:3], v[28:29]
	v_mul_f64_e32 v[28:29], v[4:5], v[28:29]
	scratch_load_b128 v[22:25], off, off offset:816
	v_add_f64_e32 v[177:178], v[177:178], v[189:190]
	v_add_f64_e32 v[179:180], v[179:180], v[181:182]
	s_wait_loadcnt_dscnt 0x800
	v_mul_f64_e32 v[181:182], v[6:7], v[32:33]
	v_mul_f64_e32 v[32:33], v[8:9], v[32:33]
	v_fma_f64 v[185:186], v[4:5], v[26:27], v[185:186]
	v_fma_f64 v[189:190], v[2:3], v[26:27], -v[28:29]
	ds_load_b128 v[2:5], v1 offset:1696
	scratch_load_b128 v[26:29], off, off offset:832
	v_add_f64_e32 v[177:178], v[177:178], v[187:188]
	v_add_f64_e32 v[179:180], v[179:180], v[183:184]
	v_fma_f64 v[181:182], v[8:9], v[30:31], v[181:182]
	v_fma_f64 v[187:188], v[6:7], v[30:31], -v[32:33]
	ds_load_b128 v[6:9], v1 offset:1712
	s_wait_loadcnt_dscnt 0x801
	v_mul_f64_e32 v[183:184], v[2:3], v[40:41]
	v_mul_f64_e32 v[40:41], v[4:5], v[40:41]
	scratch_load_b128 v[30:33], off, off offset:848
	v_add_f64_e32 v[177:178], v[177:178], v[189:190]
	v_add_f64_e32 v[179:180], v[179:180], v[185:186]
	s_wait_loadcnt_dscnt 0x800
	v_mul_f64_e32 v[185:186], v[6:7], v[175:176]
	v_mul_f64_e32 v[175:176], v[8:9], v[175:176]
	v_fma_f64 v[183:184], v[4:5], v[38:39], v[183:184]
	v_fma_f64 v[189:190], v[2:3], v[38:39], -v[40:41]
	ds_load_b128 v[2:5], v1 offset:1728
	scratch_load_b128 v[38:41], off, off offset:864
	v_add_f64_e32 v[177:178], v[177:178], v[187:188]
	v_add_f64_e32 v[179:180], v[179:180], v[181:182]
	v_fma_f64 v[185:186], v[8:9], v[173:174], v[185:186]
	v_fma_f64 v[187:188], v[6:7], v[173:174], -v[175:176]
	ds_load_b128 v[6:9], v1 offset:1744
	scratch_load_b128 v[173:176], off, off offset:880
	s_wait_loadcnt_dscnt 0x901
	v_mul_f64_e32 v[181:182], v[2:3], v[36:37]
	v_mul_f64_e32 v[36:37], v[4:5], v[36:37]
	v_add_f64_e32 v[177:178], v[177:178], v[189:190]
	v_add_f64_e32 v[179:180], v[179:180], v[183:184]
	s_wait_loadcnt_dscnt 0x800
	v_mul_f64_e32 v[183:184], v[6:7], v[171:172]
	v_mul_f64_e32 v[171:172], v[8:9], v[171:172]
	v_fma_f64 v[181:182], v[4:5], v[34:35], v[181:182]
	v_fma_f64 v[189:190], v[2:3], v[34:35], -v[36:37]
	scratch_load_b128 v[34:37], off, off offset:896
	ds_load_b128 v[2:5], v1 offset:1760
	v_add_f64_e32 v[177:178], v[177:178], v[187:188]
	v_add_f64_e32 v[179:180], v[179:180], v[185:186]
	v_fma_f64 v[183:184], v[8:9], v[169:170], v[183:184]
	v_fma_f64 v[187:188], v[6:7], v[169:170], -v[171:172]
	ds_load_b128 v[6:9], v1 offset:1776
	s_wait_loadcnt_dscnt 0x801
	v_mul_f64_e32 v[185:186], v[2:3], v[12:13]
	v_mul_f64_e32 v[12:13], v[4:5], v[12:13]
	scratch_load_b128 v[169:172], off, off offset:912
	v_add_f64_e32 v[177:178], v[177:178], v[189:190]
	v_add_f64_e32 v[179:180], v[179:180], v[181:182]
	s_wait_loadcnt_dscnt 0x800
	v_mul_f64_e32 v[181:182], v[6:7], v[16:17]
	v_mul_f64_e32 v[16:17], v[8:9], v[16:17]
	v_fma_f64 v[185:186], v[4:5], v[10:11], v[185:186]
	v_fma_f64 v[189:190], v[2:3], v[10:11], -v[12:13]
	ds_load_b128 v[2:5], v1 offset:1792
	scratch_load_b128 v[10:13], off, off offset:928
	v_add_f64_e32 v[177:178], v[177:178], v[187:188]
	v_add_f64_e32 v[179:180], v[179:180], v[183:184]
	v_fma_f64 v[181:182], v[8:9], v[14:15], v[181:182]
	v_fma_f64 v[187:188], v[6:7], v[14:15], -v[16:17]
	ds_load_b128 v[6:9], v1 offset:1808
	s_wait_loadcnt_dscnt 0x801
	v_mul_f64_e32 v[183:184], v[2:3], v[20:21]
	v_mul_f64_e32 v[20:21], v[4:5], v[20:21]
	scratch_load_b128 v[14:17], off, off offset:944
	v_add_f64_e32 v[177:178], v[177:178], v[189:190]
	v_add_f64_e32 v[179:180], v[179:180], v[185:186]
	s_wait_loadcnt_dscnt 0x800
	v_mul_f64_e32 v[185:186], v[6:7], v[24:25]
	v_mul_f64_e32 v[24:25], v[8:9], v[24:25]
	v_fma_f64 v[183:184], v[4:5], v[18:19], v[183:184]
	v_fma_f64 v[189:190], v[2:3], v[18:19], -v[20:21]
	ds_load_b128 v[2:5], v1 offset:1824
	scratch_load_b128 v[18:21], off, off offset:960
	;; [unrolled: 18-line block ×3, first 2 shown]
	v_add_f64_e32 v[177:178], v[177:178], v[187:188]
	v_add_f64_e32 v[179:180], v[179:180], v[185:186]
	v_fma_f64 v[183:184], v[8:9], v[30:31], v[183:184]
	v_fma_f64 v[187:188], v[6:7], v[30:31], -v[32:33]
	ds_load_b128 v[6:9], v1 offset:1872
	s_wait_loadcnt_dscnt 0x801
	v_mul_f64_e32 v[185:186], v[2:3], v[40:41]
	v_mul_f64_e32 v[40:41], v[4:5], v[40:41]
	scratch_load_b128 v[30:33], off, off offset:1008
	v_add_f64_e32 v[177:178], v[177:178], v[189:190]
	v_add_f64_e32 v[179:180], v[179:180], v[181:182]
	v_fma_f64 v[185:186], v[4:5], v[38:39], v[185:186]
	v_fma_f64 v[38:39], v[2:3], v[38:39], -v[40:41]
	ds_load_b128 v[2:5], v1 offset:1888
	v_add_f64_e32 v[40:41], v[177:178], v[187:188]
	v_add_f64_e32 v[177:178], v[179:180], v[183:184]
	s_wait_loadcnt_dscnt 0x700
	v_mul_f64_e32 v[179:180], v[2:3], v[36:37]
	v_mul_f64_e32 v[36:37], v[4:5], v[36:37]
	s_delay_alu instid0(VALU_DEP_4) | instskip(NEXT) | instid1(VALU_DEP_4)
	v_add_f64_e32 v[38:39], v[40:41], v[38:39]
	v_add_f64_e32 v[40:41], v[177:178], v[185:186]
	s_delay_alu instid0(VALU_DEP_4) | instskip(NEXT) | instid1(VALU_DEP_4)
	v_fma_f64 v[177:178], v[4:5], v[34:35], v[179:180]
	v_fma_f64 v[179:180], v[2:3], v[34:35], -v[36:37]
	scratch_load_b128 v[34:37], off, off offset:560
	v_mul_f64_e32 v[181:182], v[6:7], v[175:176]
	v_mul_f64_e32 v[175:176], v[8:9], v[175:176]
	ds_load_b128 v[2:5], v1 offset:1920
	v_fma_f64 v[181:182], v[8:9], v[173:174], v[181:182]
	v_fma_f64 v[173:174], v[6:7], v[173:174], -v[175:176]
	ds_load_b128 v[6:9], v1 offset:1904
	s_wait_loadcnt_dscnt 0x700
	v_mul_f64_e32 v[175:176], v[6:7], v[171:172]
	v_mul_f64_e32 v[171:172], v[8:9], v[171:172]
	v_add_f64_e32 v[40:41], v[40:41], v[181:182]
	v_add_f64_e32 v[38:39], v[38:39], v[173:174]
	s_wait_loadcnt 0x6
	v_mul_f64_e32 v[173:174], v[2:3], v[12:13]
	v_mul_f64_e32 v[12:13], v[4:5], v[12:13]
	v_fma_f64 v[175:176], v[8:9], v[169:170], v[175:176]
	v_fma_f64 v[169:170], v[6:7], v[169:170], -v[171:172]
	ds_load_b128 v[6:9], v1 offset:1936
	v_add_f64_e32 v[40:41], v[40:41], v[177:178]
	v_add_f64_e32 v[38:39], v[38:39], v[179:180]
	v_fma_f64 v[173:174], v[4:5], v[10:11], v[173:174]
	v_fma_f64 v[10:11], v[2:3], v[10:11], -v[12:13]
	ds_load_b128 v[2:5], v1 offset:1952
	s_wait_loadcnt_dscnt 0x501
	v_mul_f64_e32 v[171:172], v[6:7], v[16:17]
	v_mul_f64_e32 v[16:17], v[8:9], v[16:17]
	v_add_f64_e32 v[12:13], v[38:39], v[169:170]
	v_add_f64_e32 v[38:39], v[40:41], v[175:176]
	s_wait_loadcnt_dscnt 0x400
	v_mul_f64_e32 v[40:41], v[2:3], v[20:21]
	v_mul_f64_e32 v[20:21], v[4:5], v[20:21]
	v_fma_f64 v[169:170], v[8:9], v[14:15], v[171:172]
	v_fma_f64 v[14:15], v[6:7], v[14:15], -v[16:17]
	ds_load_b128 v[6:9], v1 offset:1968
	v_add_f64_e32 v[10:11], v[12:13], v[10:11]
	v_add_f64_e32 v[12:13], v[38:39], v[173:174]
	v_fma_f64 v[38:39], v[4:5], v[18:19], v[40:41]
	v_fma_f64 v[18:19], v[2:3], v[18:19], -v[20:21]
	ds_load_b128 v[2:5], v1 offset:1984
	s_wait_loadcnt_dscnt 0x301
	v_mul_f64_e32 v[16:17], v[6:7], v[24:25]
	v_mul_f64_e32 v[24:25], v[8:9], v[24:25]
	s_wait_loadcnt_dscnt 0x200
	v_mul_f64_e32 v[20:21], v[4:5], v[28:29]
	v_add_f64_e32 v[10:11], v[10:11], v[14:15]
	v_add_f64_e32 v[12:13], v[12:13], v[169:170]
	v_mul_f64_e32 v[14:15], v[2:3], v[28:29]
	v_fma_f64 v[16:17], v[8:9], v[22:23], v[16:17]
	v_fma_f64 v[22:23], v[6:7], v[22:23], -v[24:25]
	ds_load_b128 v[6:9], v1 offset:2000
	v_fma_f64 v[1:2], v[2:3], v[26:27], -v[20:21]
	s_wait_loadcnt_dscnt 0x100
	v_mul_f64_e32 v[24:25], v[8:9], v[32:33]
	v_add_f64_e32 v[10:11], v[10:11], v[18:19]
	v_add_f64_e32 v[12:13], v[12:13], v[38:39]
	v_mul_f64_e32 v[18:19], v[6:7], v[32:33]
	v_fma_f64 v[4:5], v[4:5], v[26:27], v[14:15]
	v_fma_f64 v[6:7], v[6:7], v[30:31], -v[24:25]
	v_add_f64_e32 v[10:11], v[10:11], v[22:23]
	v_add_f64_e32 v[12:13], v[12:13], v[16:17]
	v_fma_f64 v[8:9], v[8:9], v[30:31], v[18:19]
	s_delay_alu instid0(VALU_DEP_3) | instskip(NEXT) | instid1(VALU_DEP_3)
	v_add_f64_e32 v[1:2], v[10:11], v[1:2]
	v_add_f64_e32 v[3:4], v[12:13], v[4:5]
	s_delay_alu instid0(VALU_DEP_2) | instskip(NEXT) | instid1(VALU_DEP_2)
	v_add_f64_e32 v[1:2], v[1:2], v[6:7]
	v_add_f64_e32 v[3:4], v[3:4], v[8:9]
	s_wait_loadcnt 0x0
	s_delay_alu instid0(VALU_DEP_2) | instskip(NEXT) | instid1(VALU_DEP_2)
	v_add_f64_e64 v[1:2], v[34:35], -v[1:2]
	v_add_f64_e64 v[3:4], v[36:37], -v[3:4]
	scratch_store_b128 off, v[1:4], off offset:560
	v_cmpx_lt_u32_e32 33, v0
	s_cbranch_execz .LBB62_337
; %bb.336:
	scratch_load_b128 v[1:4], off, s41
	v_mov_b32_e32 v5, 0
	s_delay_alu instid0(VALU_DEP_1)
	v_dual_mov_b32 v6, v5 :: v_dual_mov_b32 v7, v5
	v_mov_b32_e32 v8, v5
	scratch_store_b128 off, v[5:8], off offset:544
	s_wait_loadcnt 0x0
	ds_store_b128 v168, v[1:4]
.LBB62_337:
	s_wait_alu 0xfffe
	s_or_b32 exec_lo, exec_lo, s0
	s_wait_storecnt_dscnt 0x0
	s_barrier_signal -1
	s_barrier_wait -1
	global_inv scope:SCOPE_SE
	s_clause 0x7
	scratch_load_b128 v[2:5], off, off offset:560
	scratch_load_b128 v[6:9], off, off offset:576
	;; [unrolled: 1-line block ×8, first 2 shown]
	v_mov_b32_e32 v1, 0
	s_clause 0x1
	scratch_load_b128 v[38:41], off, off offset:688
	scratch_load_b128 v[173:176], off, off offset:704
	s_mov_b32 s0, exec_lo
	ds_load_b128 v[34:37], v1 offset:1552
	ds_load_b128 v[169:172], v1 offset:1568
	s_wait_loadcnt_dscnt 0x901
	v_mul_f64_e32 v[177:178], v[36:37], v[4:5]
	v_mul_f64_e32 v[4:5], v[34:35], v[4:5]
	s_wait_loadcnt_dscnt 0x800
	v_mul_f64_e32 v[179:180], v[169:170], v[8:9]
	v_mul_f64_e32 v[8:9], v[171:172], v[8:9]
	s_delay_alu instid0(VALU_DEP_4) | instskip(NEXT) | instid1(VALU_DEP_4)
	v_fma_f64 v[177:178], v[34:35], v[2:3], -v[177:178]
	v_fma_f64 v[181:182], v[36:37], v[2:3], v[4:5]
	ds_load_b128 v[2:5], v1 offset:1584
	scratch_load_b128 v[34:37], off, off offset:720
	v_fma_f64 v[179:180], v[171:172], v[6:7], v[179:180]
	v_fma_f64 v[185:186], v[169:170], v[6:7], -v[8:9]
	ds_load_b128 v[6:9], v1 offset:1600
	scratch_load_b128 v[169:172], off, off offset:736
	s_wait_loadcnt_dscnt 0x901
	v_mul_f64_e32 v[183:184], v[2:3], v[12:13]
	v_mul_f64_e32 v[12:13], v[4:5], v[12:13]
	s_wait_loadcnt_dscnt 0x800
	v_mul_f64_e32 v[187:188], v[6:7], v[16:17]
	v_mul_f64_e32 v[16:17], v[8:9], v[16:17]
	v_add_f64_e32 v[177:178], 0, v[177:178]
	v_add_f64_e32 v[181:182], 0, v[181:182]
	v_fma_f64 v[183:184], v[4:5], v[10:11], v[183:184]
	v_fma_f64 v[189:190], v[2:3], v[10:11], -v[12:13]
	ds_load_b128 v[2:5], v1 offset:1616
	scratch_load_b128 v[10:13], off, off offset:752
	v_add_f64_e32 v[177:178], v[177:178], v[185:186]
	v_add_f64_e32 v[179:180], v[181:182], v[179:180]
	v_fma_f64 v[185:186], v[8:9], v[14:15], v[187:188]
	v_fma_f64 v[187:188], v[6:7], v[14:15], -v[16:17]
	ds_load_b128 v[6:9], v1 offset:1632
	scratch_load_b128 v[14:17], off, off offset:768
	s_wait_loadcnt_dscnt 0x901
	v_mul_f64_e32 v[181:182], v[2:3], v[20:21]
	v_mul_f64_e32 v[20:21], v[4:5], v[20:21]
	v_add_f64_e32 v[177:178], v[177:178], v[189:190]
	v_add_f64_e32 v[179:180], v[179:180], v[183:184]
	s_wait_loadcnt_dscnt 0x800
	v_mul_f64_e32 v[183:184], v[6:7], v[24:25]
	v_mul_f64_e32 v[24:25], v[8:9], v[24:25]
	v_fma_f64 v[181:182], v[4:5], v[18:19], v[181:182]
	v_fma_f64 v[189:190], v[2:3], v[18:19], -v[20:21]
	ds_load_b128 v[2:5], v1 offset:1648
	scratch_load_b128 v[18:21], off, off offset:784
	v_add_f64_e32 v[177:178], v[177:178], v[187:188]
	v_add_f64_e32 v[179:180], v[179:180], v[185:186]
	v_fma_f64 v[183:184], v[8:9], v[22:23], v[183:184]
	v_fma_f64 v[187:188], v[6:7], v[22:23], -v[24:25]
	ds_load_b128 v[6:9], v1 offset:1664
	s_wait_loadcnt_dscnt 0x801
	v_mul_f64_e32 v[185:186], v[2:3], v[28:29]
	v_mul_f64_e32 v[28:29], v[4:5], v[28:29]
	scratch_load_b128 v[22:25], off, off offset:800
	v_add_f64_e32 v[177:178], v[177:178], v[189:190]
	v_add_f64_e32 v[179:180], v[179:180], v[181:182]
	s_wait_loadcnt_dscnt 0x800
	v_mul_f64_e32 v[181:182], v[6:7], v[32:33]
	v_mul_f64_e32 v[32:33], v[8:9], v[32:33]
	v_fma_f64 v[185:186], v[4:5], v[26:27], v[185:186]
	v_fma_f64 v[189:190], v[2:3], v[26:27], -v[28:29]
	ds_load_b128 v[2:5], v1 offset:1680
	scratch_load_b128 v[26:29], off, off offset:816
	v_add_f64_e32 v[177:178], v[177:178], v[187:188]
	v_add_f64_e32 v[179:180], v[179:180], v[183:184]
	v_fma_f64 v[181:182], v[8:9], v[30:31], v[181:182]
	v_fma_f64 v[187:188], v[6:7], v[30:31], -v[32:33]
	ds_load_b128 v[6:9], v1 offset:1696
	s_wait_loadcnt_dscnt 0x801
	v_mul_f64_e32 v[183:184], v[2:3], v[40:41]
	v_mul_f64_e32 v[40:41], v[4:5], v[40:41]
	scratch_load_b128 v[30:33], off, off offset:832
	v_add_f64_e32 v[177:178], v[177:178], v[189:190]
	v_add_f64_e32 v[179:180], v[179:180], v[185:186]
	s_wait_loadcnt_dscnt 0x800
	v_mul_f64_e32 v[185:186], v[6:7], v[175:176]
	v_mul_f64_e32 v[175:176], v[8:9], v[175:176]
	v_fma_f64 v[183:184], v[4:5], v[38:39], v[183:184]
	v_fma_f64 v[189:190], v[2:3], v[38:39], -v[40:41]
	ds_load_b128 v[2:5], v1 offset:1712
	scratch_load_b128 v[38:41], off, off offset:848
	v_add_f64_e32 v[177:178], v[177:178], v[187:188]
	v_add_f64_e32 v[179:180], v[179:180], v[181:182]
	v_fma_f64 v[185:186], v[8:9], v[173:174], v[185:186]
	v_fma_f64 v[187:188], v[6:7], v[173:174], -v[175:176]
	ds_load_b128 v[6:9], v1 offset:1728
	scratch_load_b128 v[173:176], off, off offset:864
	s_wait_loadcnt_dscnt 0x901
	v_mul_f64_e32 v[181:182], v[2:3], v[36:37]
	v_mul_f64_e32 v[36:37], v[4:5], v[36:37]
	v_add_f64_e32 v[177:178], v[177:178], v[189:190]
	v_add_f64_e32 v[179:180], v[179:180], v[183:184]
	s_wait_loadcnt_dscnt 0x800
	v_mul_f64_e32 v[183:184], v[6:7], v[171:172]
	v_mul_f64_e32 v[171:172], v[8:9], v[171:172]
	v_fma_f64 v[181:182], v[4:5], v[34:35], v[181:182]
	v_fma_f64 v[189:190], v[2:3], v[34:35], -v[36:37]
	ds_load_b128 v[2:5], v1 offset:1744
	scratch_load_b128 v[34:37], off, off offset:880
	v_add_f64_e32 v[177:178], v[177:178], v[187:188]
	v_add_f64_e32 v[179:180], v[179:180], v[185:186]
	v_fma_f64 v[183:184], v[8:9], v[169:170], v[183:184]
	v_fma_f64 v[187:188], v[6:7], v[169:170], -v[171:172]
	ds_load_b128 v[6:9], v1 offset:1760
	s_wait_loadcnt_dscnt 0x801
	v_mul_f64_e32 v[185:186], v[2:3], v[12:13]
	v_mul_f64_e32 v[12:13], v[4:5], v[12:13]
	scratch_load_b128 v[169:172], off, off offset:896
	v_add_f64_e32 v[177:178], v[177:178], v[189:190]
	v_add_f64_e32 v[179:180], v[179:180], v[181:182]
	s_wait_loadcnt_dscnt 0x800
	v_mul_f64_e32 v[181:182], v[6:7], v[16:17]
	v_mul_f64_e32 v[16:17], v[8:9], v[16:17]
	v_fma_f64 v[185:186], v[4:5], v[10:11], v[185:186]
	v_fma_f64 v[189:190], v[2:3], v[10:11], -v[12:13]
	ds_load_b128 v[2:5], v1 offset:1776
	scratch_load_b128 v[10:13], off, off offset:912
	v_add_f64_e32 v[177:178], v[177:178], v[187:188]
	v_add_f64_e32 v[179:180], v[179:180], v[183:184]
	v_fma_f64 v[181:182], v[8:9], v[14:15], v[181:182]
	v_fma_f64 v[187:188], v[6:7], v[14:15], -v[16:17]
	ds_load_b128 v[6:9], v1 offset:1792
	s_wait_loadcnt_dscnt 0x801
	v_mul_f64_e32 v[183:184], v[2:3], v[20:21]
	v_mul_f64_e32 v[20:21], v[4:5], v[20:21]
	scratch_load_b128 v[14:17], off, off offset:928
	;; [unrolled: 18-line block ×4, first 2 shown]
	v_add_f64_e32 v[177:178], v[177:178], v[189:190]
	v_add_f64_e32 v[179:180], v[179:180], v[181:182]
	s_wait_loadcnt_dscnt 0x800
	v_mul_f64_e32 v[181:182], v[6:7], v[175:176]
	v_mul_f64_e32 v[175:176], v[8:9], v[175:176]
	v_fma_f64 v[185:186], v[4:5], v[38:39], v[185:186]
	v_fma_f64 v[189:190], v[2:3], v[38:39], -v[40:41]
	ds_load_b128 v[2:5], v1 offset:1872
	scratch_load_b128 v[38:41], off, off offset:1008
	v_add_f64_e32 v[177:178], v[177:178], v[187:188]
	v_add_f64_e32 v[179:180], v[179:180], v[183:184]
	v_fma_f64 v[181:182], v[8:9], v[173:174], v[181:182]
	v_fma_f64 v[173:174], v[6:7], v[173:174], -v[175:176]
	ds_load_b128 v[6:9], v1 offset:1888
	s_wait_loadcnt_dscnt 0x801
	v_mul_f64_e32 v[183:184], v[2:3], v[36:37]
	v_mul_f64_e32 v[36:37], v[4:5], v[36:37]
	v_add_f64_e32 v[175:176], v[177:178], v[189:190]
	v_add_f64_e32 v[177:178], v[179:180], v[185:186]
	s_wait_loadcnt_dscnt 0x700
	v_mul_f64_e32 v[179:180], v[6:7], v[171:172]
	v_mul_f64_e32 v[171:172], v[8:9], v[171:172]
	v_fma_f64 v[183:184], v[4:5], v[34:35], v[183:184]
	v_fma_f64 v[34:35], v[2:3], v[34:35], -v[36:37]
	ds_load_b128 v[2:5], v1 offset:1904
	v_add_f64_e32 v[36:37], v[175:176], v[173:174]
	v_add_f64_e32 v[173:174], v[177:178], v[181:182]
	v_fma_f64 v[177:178], v[8:9], v[169:170], v[179:180]
	v_fma_f64 v[169:170], v[6:7], v[169:170], -v[171:172]
	ds_load_b128 v[6:9], v1 offset:1920
	s_wait_loadcnt_dscnt 0x500
	v_mul_f64_e32 v[179:180], v[6:7], v[16:17]
	v_mul_f64_e32 v[16:17], v[8:9], v[16:17]
	v_add_f64_e32 v[171:172], v[36:37], v[34:35]
	v_add_f64_e32 v[173:174], v[173:174], v[183:184]
	scratch_load_b128 v[34:37], off, off offset:544
	v_mul_f64_e32 v[175:176], v[2:3], v[12:13]
	v_mul_f64_e32 v[12:13], v[4:5], v[12:13]
	s_delay_alu instid0(VALU_DEP_2) | instskip(NEXT) | instid1(VALU_DEP_2)
	v_fma_f64 v[175:176], v[4:5], v[10:11], v[175:176]
	v_fma_f64 v[10:11], v[2:3], v[10:11], -v[12:13]
	v_add_f64_e32 v[12:13], v[171:172], v[169:170]
	v_add_f64_e32 v[169:170], v[173:174], v[177:178]
	ds_load_b128 v[2:5], v1 offset:1936
	v_fma_f64 v[173:174], v[8:9], v[14:15], v[179:180]
	v_fma_f64 v[14:15], v[6:7], v[14:15], -v[16:17]
	ds_load_b128 v[6:9], v1 offset:1952
	s_wait_loadcnt_dscnt 0x501
	v_mul_f64_e32 v[171:172], v[2:3], v[20:21]
	v_mul_f64_e32 v[20:21], v[4:5], v[20:21]
	s_wait_loadcnt_dscnt 0x400
	v_mul_f64_e32 v[16:17], v[6:7], v[24:25]
	v_mul_f64_e32 v[24:25], v[8:9], v[24:25]
	v_add_f64_e32 v[10:11], v[12:13], v[10:11]
	v_add_f64_e32 v[12:13], v[169:170], v[175:176]
	v_fma_f64 v[169:170], v[4:5], v[18:19], v[171:172]
	v_fma_f64 v[18:19], v[2:3], v[18:19], -v[20:21]
	ds_load_b128 v[2:5], v1 offset:1968
	v_fma_f64 v[16:17], v[8:9], v[22:23], v[16:17]
	v_fma_f64 v[22:23], v[6:7], v[22:23], -v[24:25]
	ds_load_b128 v[6:9], v1 offset:1984
	v_add_f64_e32 v[10:11], v[10:11], v[14:15]
	v_add_f64_e32 v[12:13], v[12:13], v[173:174]
	s_wait_loadcnt_dscnt 0x301
	v_mul_f64_e32 v[14:15], v[2:3], v[28:29]
	v_mul_f64_e32 v[20:21], v[4:5], v[28:29]
	s_wait_loadcnt_dscnt 0x200
	v_mul_f64_e32 v[24:25], v[8:9], v[32:33]
	v_add_f64_e32 v[10:11], v[10:11], v[18:19]
	v_add_f64_e32 v[12:13], v[12:13], v[169:170]
	v_mul_f64_e32 v[18:19], v[6:7], v[32:33]
	v_fma_f64 v[14:15], v[4:5], v[26:27], v[14:15]
	v_fma_f64 v[20:21], v[2:3], v[26:27], -v[20:21]
	ds_load_b128 v[2:5], v1 offset:2000
	v_fma_f64 v[6:7], v[6:7], v[30:31], -v[24:25]
	v_add_f64_e32 v[10:11], v[10:11], v[22:23]
	v_add_f64_e32 v[12:13], v[12:13], v[16:17]
	s_wait_loadcnt_dscnt 0x100
	v_mul_f64_e32 v[16:17], v[2:3], v[40:41]
	v_mul_f64_e32 v[22:23], v[4:5], v[40:41]
	v_fma_f64 v[8:9], v[8:9], v[30:31], v[18:19]
	v_add_f64_e32 v[10:11], v[10:11], v[20:21]
	v_add_f64_e32 v[12:13], v[12:13], v[14:15]
	v_fma_f64 v[4:5], v[4:5], v[38:39], v[16:17]
	v_fma_f64 v[2:3], v[2:3], v[38:39], -v[22:23]
	s_delay_alu instid0(VALU_DEP_4) | instskip(NEXT) | instid1(VALU_DEP_4)
	v_add_f64_e32 v[6:7], v[10:11], v[6:7]
	v_add_f64_e32 v[8:9], v[12:13], v[8:9]
	s_delay_alu instid0(VALU_DEP_2) | instskip(NEXT) | instid1(VALU_DEP_2)
	v_add_f64_e32 v[2:3], v[6:7], v[2:3]
	v_add_f64_e32 v[4:5], v[8:9], v[4:5]
	s_wait_loadcnt 0x0
	s_delay_alu instid0(VALU_DEP_2) | instskip(NEXT) | instid1(VALU_DEP_2)
	v_add_f64_e64 v[2:3], v[34:35], -v[2:3]
	v_add_f64_e64 v[4:5], v[36:37], -v[4:5]
	scratch_store_b128 off, v[2:5], off offset:544
	v_cmpx_lt_u32_e32 32, v0
	s_cbranch_execz .LBB62_339
; %bb.338:
	scratch_load_b128 v[5:8], off, s42
	v_dual_mov_b32 v2, v1 :: v_dual_mov_b32 v3, v1
	v_mov_b32_e32 v4, v1
	scratch_store_b128 off, v[1:4], off offset:528
	s_wait_loadcnt 0x0
	ds_store_b128 v168, v[5:8]
.LBB62_339:
	s_wait_alu 0xfffe
	s_or_b32 exec_lo, exec_lo, s0
	s_wait_storecnt_dscnt 0x0
	s_barrier_signal -1
	s_barrier_wait -1
	global_inv scope:SCOPE_SE
	s_clause 0x7
	scratch_load_b128 v[2:5], off, off offset:544
	scratch_load_b128 v[6:9], off, off offset:560
	;; [unrolled: 1-line block ×8, first 2 shown]
	ds_load_b128 v[34:37], v1 offset:1536
	ds_load_b128 v[169:172], v1 offset:1552
	s_clause 0x1
	scratch_load_b128 v[38:41], off, off offset:672
	scratch_load_b128 v[173:176], off, off offset:688
	s_mov_b32 s0, exec_lo
	s_wait_loadcnt_dscnt 0x901
	v_mul_f64_e32 v[177:178], v[36:37], v[4:5]
	v_mul_f64_e32 v[4:5], v[34:35], v[4:5]
	s_wait_loadcnt_dscnt 0x800
	v_mul_f64_e32 v[179:180], v[169:170], v[8:9]
	v_mul_f64_e32 v[8:9], v[171:172], v[8:9]
	s_delay_alu instid0(VALU_DEP_4) | instskip(NEXT) | instid1(VALU_DEP_4)
	v_fma_f64 v[177:178], v[34:35], v[2:3], -v[177:178]
	v_fma_f64 v[181:182], v[36:37], v[2:3], v[4:5]
	ds_load_b128 v[2:5], v1 offset:1568
	scratch_load_b128 v[34:37], off, off offset:704
	v_fma_f64 v[179:180], v[171:172], v[6:7], v[179:180]
	v_fma_f64 v[185:186], v[169:170], v[6:7], -v[8:9]
	ds_load_b128 v[6:9], v1 offset:1584
	scratch_load_b128 v[169:172], off, off offset:720
	s_wait_loadcnt_dscnt 0x901
	v_mul_f64_e32 v[183:184], v[2:3], v[12:13]
	v_mul_f64_e32 v[12:13], v[4:5], v[12:13]
	s_wait_loadcnt_dscnt 0x800
	v_mul_f64_e32 v[187:188], v[6:7], v[16:17]
	v_mul_f64_e32 v[16:17], v[8:9], v[16:17]
	v_add_f64_e32 v[177:178], 0, v[177:178]
	v_add_f64_e32 v[181:182], 0, v[181:182]
	v_fma_f64 v[183:184], v[4:5], v[10:11], v[183:184]
	v_fma_f64 v[189:190], v[2:3], v[10:11], -v[12:13]
	scratch_load_b128 v[10:13], off, off offset:736
	ds_load_b128 v[2:5], v1 offset:1600
	v_add_f64_e32 v[177:178], v[177:178], v[185:186]
	v_add_f64_e32 v[179:180], v[181:182], v[179:180]
	v_fma_f64 v[185:186], v[8:9], v[14:15], v[187:188]
	v_fma_f64 v[187:188], v[6:7], v[14:15], -v[16:17]
	ds_load_b128 v[6:9], v1 offset:1616
	scratch_load_b128 v[14:17], off, off offset:752
	s_wait_loadcnt_dscnt 0x901
	v_mul_f64_e32 v[181:182], v[2:3], v[20:21]
	v_mul_f64_e32 v[20:21], v[4:5], v[20:21]
	v_add_f64_e32 v[177:178], v[177:178], v[189:190]
	v_add_f64_e32 v[179:180], v[179:180], v[183:184]
	s_wait_loadcnt_dscnt 0x800
	v_mul_f64_e32 v[183:184], v[6:7], v[24:25]
	v_mul_f64_e32 v[24:25], v[8:9], v[24:25]
	v_fma_f64 v[181:182], v[4:5], v[18:19], v[181:182]
	v_fma_f64 v[189:190], v[2:3], v[18:19], -v[20:21]
	ds_load_b128 v[2:5], v1 offset:1632
	scratch_load_b128 v[18:21], off, off offset:768
	v_add_f64_e32 v[177:178], v[177:178], v[187:188]
	v_add_f64_e32 v[179:180], v[179:180], v[185:186]
	v_fma_f64 v[183:184], v[8:9], v[22:23], v[183:184]
	v_fma_f64 v[187:188], v[6:7], v[22:23], -v[24:25]
	ds_load_b128 v[6:9], v1 offset:1648
	s_wait_loadcnt_dscnt 0x801
	v_mul_f64_e32 v[185:186], v[2:3], v[28:29]
	v_mul_f64_e32 v[28:29], v[4:5], v[28:29]
	scratch_load_b128 v[22:25], off, off offset:784
	v_add_f64_e32 v[177:178], v[177:178], v[189:190]
	v_add_f64_e32 v[179:180], v[179:180], v[181:182]
	s_wait_loadcnt_dscnt 0x800
	v_mul_f64_e32 v[181:182], v[6:7], v[32:33]
	v_mul_f64_e32 v[32:33], v[8:9], v[32:33]
	v_fma_f64 v[185:186], v[4:5], v[26:27], v[185:186]
	v_fma_f64 v[189:190], v[2:3], v[26:27], -v[28:29]
	ds_load_b128 v[2:5], v1 offset:1664
	scratch_load_b128 v[26:29], off, off offset:800
	v_add_f64_e32 v[177:178], v[177:178], v[187:188]
	v_add_f64_e32 v[179:180], v[179:180], v[183:184]
	v_fma_f64 v[181:182], v[8:9], v[30:31], v[181:182]
	v_fma_f64 v[187:188], v[6:7], v[30:31], -v[32:33]
	ds_load_b128 v[6:9], v1 offset:1680
	s_wait_loadcnt_dscnt 0x801
	v_mul_f64_e32 v[183:184], v[2:3], v[40:41]
	v_mul_f64_e32 v[40:41], v[4:5], v[40:41]
	scratch_load_b128 v[30:33], off, off offset:816
	v_add_f64_e32 v[177:178], v[177:178], v[189:190]
	v_add_f64_e32 v[179:180], v[179:180], v[185:186]
	s_wait_loadcnt_dscnt 0x800
	v_mul_f64_e32 v[185:186], v[6:7], v[175:176]
	v_mul_f64_e32 v[175:176], v[8:9], v[175:176]
	v_fma_f64 v[183:184], v[4:5], v[38:39], v[183:184]
	v_fma_f64 v[189:190], v[2:3], v[38:39], -v[40:41]
	ds_load_b128 v[2:5], v1 offset:1696
	scratch_load_b128 v[38:41], off, off offset:832
	v_add_f64_e32 v[177:178], v[177:178], v[187:188]
	v_add_f64_e32 v[179:180], v[179:180], v[181:182]
	v_fma_f64 v[185:186], v[8:9], v[173:174], v[185:186]
	v_fma_f64 v[187:188], v[6:7], v[173:174], -v[175:176]
	ds_load_b128 v[6:9], v1 offset:1712
	scratch_load_b128 v[173:176], off, off offset:848
	s_wait_loadcnt_dscnt 0x901
	v_mul_f64_e32 v[181:182], v[2:3], v[36:37]
	v_mul_f64_e32 v[36:37], v[4:5], v[36:37]
	v_add_f64_e32 v[177:178], v[177:178], v[189:190]
	v_add_f64_e32 v[179:180], v[179:180], v[183:184]
	s_wait_loadcnt_dscnt 0x800
	v_mul_f64_e32 v[183:184], v[6:7], v[171:172]
	v_mul_f64_e32 v[171:172], v[8:9], v[171:172]
	v_fma_f64 v[181:182], v[4:5], v[34:35], v[181:182]
	v_fma_f64 v[189:190], v[2:3], v[34:35], -v[36:37]
	ds_load_b128 v[2:5], v1 offset:1728
	scratch_load_b128 v[34:37], off, off offset:864
	v_add_f64_e32 v[177:178], v[177:178], v[187:188]
	v_add_f64_e32 v[179:180], v[179:180], v[185:186]
	v_fma_f64 v[183:184], v[8:9], v[169:170], v[183:184]
	v_fma_f64 v[187:188], v[6:7], v[169:170], -v[171:172]
	ds_load_b128 v[6:9], v1 offset:1744
	s_wait_loadcnt_dscnt 0x801
	v_mul_f64_e32 v[185:186], v[2:3], v[12:13]
	v_mul_f64_e32 v[12:13], v[4:5], v[12:13]
	scratch_load_b128 v[169:172], off, off offset:880
	v_add_f64_e32 v[177:178], v[177:178], v[189:190]
	v_add_f64_e32 v[179:180], v[179:180], v[181:182]
	s_wait_loadcnt_dscnt 0x800
	v_mul_f64_e32 v[181:182], v[6:7], v[16:17]
	v_mul_f64_e32 v[16:17], v[8:9], v[16:17]
	v_fma_f64 v[185:186], v[4:5], v[10:11], v[185:186]
	v_fma_f64 v[189:190], v[2:3], v[10:11], -v[12:13]
	scratch_load_b128 v[10:13], off, off offset:896
	ds_load_b128 v[2:5], v1 offset:1760
	v_add_f64_e32 v[177:178], v[177:178], v[187:188]
	v_add_f64_e32 v[179:180], v[179:180], v[183:184]
	v_fma_f64 v[181:182], v[8:9], v[14:15], v[181:182]
	v_fma_f64 v[187:188], v[6:7], v[14:15], -v[16:17]
	ds_load_b128 v[6:9], v1 offset:1776
	s_wait_loadcnt_dscnt 0x801
	v_mul_f64_e32 v[183:184], v[2:3], v[20:21]
	v_mul_f64_e32 v[20:21], v[4:5], v[20:21]
	scratch_load_b128 v[14:17], off, off offset:912
	v_add_f64_e32 v[177:178], v[177:178], v[189:190]
	v_add_f64_e32 v[179:180], v[179:180], v[185:186]
	s_wait_loadcnt_dscnt 0x800
	v_mul_f64_e32 v[185:186], v[6:7], v[24:25]
	v_mul_f64_e32 v[24:25], v[8:9], v[24:25]
	v_fma_f64 v[183:184], v[4:5], v[18:19], v[183:184]
	v_fma_f64 v[189:190], v[2:3], v[18:19], -v[20:21]
	ds_load_b128 v[2:5], v1 offset:1792
	scratch_load_b128 v[18:21], off, off offset:928
	v_add_f64_e32 v[177:178], v[177:178], v[187:188]
	v_add_f64_e32 v[179:180], v[179:180], v[181:182]
	v_fma_f64 v[185:186], v[8:9], v[22:23], v[185:186]
	v_fma_f64 v[187:188], v[6:7], v[22:23], -v[24:25]
	ds_load_b128 v[6:9], v1 offset:1808
	s_wait_loadcnt_dscnt 0x801
	v_mul_f64_e32 v[181:182], v[2:3], v[28:29]
	v_mul_f64_e32 v[28:29], v[4:5], v[28:29]
	scratch_load_b128 v[22:25], off, off offset:944
	v_add_f64_e32 v[177:178], v[177:178], v[189:190]
	v_add_f64_e32 v[179:180], v[179:180], v[183:184]
	s_wait_loadcnt_dscnt 0x800
	v_mul_f64_e32 v[183:184], v[6:7], v[32:33]
	v_mul_f64_e32 v[32:33], v[8:9], v[32:33]
	v_fma_f64 v[181:182], v[4:5], v[26:27], v[181:182]
	v_fma_f64 v[189:190], v[2:3], v[26:27], -v[28:29]
	ds_load_b128 v[2:5], v1 offset:1824
	scratch_load_b128 v[26:29], off, off offset:960
	;; [unrolled: 18-line block ×3, first 2 shown]
	v_add_f64_e32 v[177:178], v[177:178], v[187:188]
	v_add_f64_e32 v[179:180], v[179:180], v[183:184]
	v_fma_f64 v[181:182], v[8:9], v[173:174], v[181:182]
	v_fma_f64 v[187:188], v[6:7], v[173:174], -v[175:176]
	ds_load_b128 v[6:9], v1 offset:1872
	s_wait_loadcnt_dscnt 0x801
	v_mul_f64_e32 v[183:184], v[2:3], v[36:37]
	v_mul_f64_e32 v[36:37], v[4:5], v[36:37]
	scratch_load_b128 v[173:176], off, off offset:1008
	v_add_f64_e32 v[177:178], v[177:178], v[189:190]
	v_add_f64_e32 v[179:180], v[179:180], v[185:186]
	v_fma_f64 v[183:184], v[4:5], v[34:35], v[183:184]
	v_fma_f64 v[34:35], v[2:3], v[34:35], -v[36:37]
	ds_load_b128 v[2:5], v1 offset:1888
	v_add_f64_e32 v[36:37], v[177:178], v[187:188]
	v_add_f64_e32 v[177:178], v[179:180], v[181:182]
	s_wait_loadcnt_dscnt 0x700
	v_mul_f64_e32 v[179:180], v[2:3], v[12:13]
	v_mul_f64_e32 v[12:13], v[4:5], v[12:13]
	s_delay_alu instid0(VALU_DEP_4) | instskip(NEXT) | instid1(VALU_DEP_4)
	v_add_f64_e32 v[34:35], v[36:37], v[34:35]
	v_add_f64_e32 v[36:37], v[177:178], v[183:184]
	s_delay_alu instid0(VALU_DEP_4) | instskip(NEXT) | instid1(VALU_DEP_4)
	v_fma_f64 v[177:178], v[4:5], v[10:11], v[179:180]
	v_fma_f64 v[179:180], v[2:3], v[10:11], -v[12:13]
	scratch_load_b128 v[10:13], off, off offset:528
	v_mul_f64_e32 v[185:186], v[6:7], v[171:172]
	v_mul_f64_e32 v[171:172], v[8:9], v[171:172]
	ds_load_b128 v[2:5], v1 offset:1920
	v_fma_f64 v[181:182], v[8:9], v[169:170], v[185:186]
	v_fma_f64 v[169:170], v[6:7], v[169:170], -v[171:172]
	ds_load_b128 v[6:9], v1 offset:1904
	s_wait_loadcnt_dscnt 0x700
	v_mul_f64_e32 v[171:172], v[6:7], v[16:17]
	v_mul_f64_e32 v[16:17], v[8:9], v[16:17]
	v_add_f64_e32 v[36:37], v[36:37], v[181:182]
	v_add_f64_e32 v[34:35], v[34:35], v[169:170]
	s_wait_loadcnt 0x6
	v_mul_f64_e32 v[169:170], v[2:3], v[20:21]
	v_mul_f64_e32 v[20:21], v[4:5], v[20:21]
	v_fma_f64 v[171:172], v[8:9], v[14:15], v[171:172]
	v_fma_f64 v[14:15], v[6:7], v[14:15], -v[16:17]
	ds_load_b128 v[6:9], v1 offset:1936
	v_add_f64_e32 v[16:17], v[34:35], v[179:180]
	v_add_f64_e32 v[34:35], v[36:37], v[177:178]
	v_fma_f64 v[169:170], v[4:5], v[18:19], v[169:170]
	v_fma_f64 v[18:19], v[2:3], v[18:19], -v[20:21]
	ds_load_b128 v[2:5], v1 offset:1952
	s_wait_loadcnt_dscnt 0x501
	v_mul_f64_e32 v[36:37], v[6:7], v[24:25]
	v_mul_f64_e32 v[24:25], v[8:9], v[24:25]
	s_wait_loadcnt_dscnt 0x400
	v_mul_f64_e32 v[20:21], v[2:3], v[28:29]
	v_mul_f64_e32 v[28:29], v[4:5], v[28:29]
	v_add_f64_e32 v[14:15], v[16:17], v[14:15]
	v_add_f64_e32 v[16:17], v[34:35], v[171:172]
	v_fma_f64 v[34:35], v[8:9], v[22:23], v[36:37]
	v_fma_f64 v[22:23], v[6:7], v[22:23], -v[24:25]
	ds_load_b128 v[6:9], v1 offset:1968
	v_fma_f64 v[20:21], v[4:5], v[26:27], v[20:21]
	v_fma_f64 v[26:27], v[2:3], v[26:27], -v[28:29]
	ds_load_b128 v[2:5], v1 offset:1984
	s_wait_loadcnt_dscnt 0x301
	v_mul_f64_e32 v[24:25], v[8:9], v[32:33]
	v_add_f64_e32 v[14:15], v[14:15], v[18:19]
	v_add_f64_e32 v[16:17], v[16:17], v[169:170]
	v_mul_f64_e32 v[18:19], v[6:7], v[32:33]
	s_wait_loadcnt_dscnt 0x200
	v_mul_f64_e32 v[28:29], v[4:5], v[40:41]
	v_fma_f64 v[24:25], v[6:7], v[30:31], -v[24:25]
	v_add_f64_e32 v[14:15], v[14:15], v[22:23]
	v_add_f64_e32 v[16:17], v[16:17], v[34:35]
	v_mul_f64_e32 v[22:23], v[2:3], v[40:41]
	v_fma_f64 v[18:19], v[8:9], v[30:31], v[18:19]
	ds_load_b128 v[6:9], v1 offset:2000
	v_fma_f64 v[1:2], v[2:3], v[38:39], -v[28:29]
	v_add_f64_e32 v[14:15], v[14:15], v[26:27]
	v_add_f64_e32 v[16:17], v[16:17], v[20:21]
	s_wait_loadcnt_dscnt 0x100
	v_mul_f64_e32 v[20:21], v[6:7], v[175:176]
	v_mul_f64_e32 v[26:27], v[8:9], v[175:176]
	v_fma_f64 v[4:5], v[4:5], v[38:39], v[22:23]
	v_add_f64_e32 v[14:15], v[14:15], v[24:25]
	v_add_f64_e32 v[16:17], v[16:17], v[18:19]
	v_fma_f64 v[8:9], v[8:9], v[173:174], v[20:21]
	v_fma_f64 v[6:7], v[6:7], v[173:174], -v[26:27]
	s_delay_alu instid0(VALU_DEP_4) | instskip(NEXT) | instid1(VALU_DEP_4)
	v_add_f64_e32 v[1:2], v[14:15], v[1:2]
	v_add_f64_e32 v[3:4], v[16:17], v[4:5]
	s_delay_alu instid0(VALU_DEP_2) | instskip(NEXT) | instid1(VALU_DEP_2)
	v_add_f64_e32 v[1:2], v[1:2], v[6:7]
	v_add_f64_e32 v[3:4], v[3:4], v[8:9]
	s_wait_loadcnt 0x0
	s_delay_alu instid0(VALU_DEP_2) | instskip(NEXT) | instid1(VALU_DEP_2)
	v_add_f64_e64 v[1:2], v[10:11], -v[1:2]
	v_add_f64_e64 v[3:4], v[12:13], -v[3:4]
	scratch_store_b128 off, v[1:4], off offset:528
	v_cmpx_lt_u32_e32 31, v0
	s_cbranch_execz .LBB62_341
; %bb.340:
	scratch_load_b128 v[1:4], off, s43
	v_mov_b32_e32 v5, 0
	s_delay_alu instid0(VALU_DEP_1)
	v_dual_mov_b32 v6, v5 :: v_dual_mov_b32 v7, v5
	v_mov_b32_e32 v8, v5
	scratch_store_b128 off, v[5:8], off offset:512
	s_wait_loadcnt 0x0
	ds_store_b128 v168, v[1:4]
.LBB62_341:
	s_wait_alu 0xfffe
	s_or_b32 exec_lo, exec_lo, s0
	s_wait_storecnt_dscnt 0x0
	s_barrier_signal -1
	s_barrier_wait -1
	global_inv scope:SCOPE_SE
	s_clause 0x7
	scratch_load_b128 v[2:5], off, off offset:528
	scratch_load_b128 v[6:9], off, off offset:544
	;; [unrolled: 1-line block ×8, first 2 shown]
	v_mov_b32_e32 v1, 0
	s_clause 0x1
	scratch_load_b128 v[38:41], off, off offset:656
	scratch_load_b128 v[173:176], off, off offset:672
	s_mov_b32 s0, exec_lo
	ds_load_b128 v[34:37], v1 offset:1520
	ds_load_b128 v[169:172], v1 offset:1536
	s_wait_loadcnt_dscnt 0x901
	v_mul_f64_e32 v[177:178], v[36:37], v[4:5]
	v_mul_f64_e32 v[4:5], v[34:35], v[4:5]
	s_wait_loadcnt_dscnt 0x800
	v_mul_f64_e32 v[179:180], v[169:170], v[8:9]
	v_mul_f64_e32 v[8:9], v[171:172], v[8:9]
	s_delay_alu instid0(VALU_DEP_4) | instskip(NEXT) | instid1(VALU_DEP_4)
	v_fma_f64 v[177:178], v[34:35], v[2:3], -v[177:178]
	v_fma_f64 v[181:182], v[36:37], v[2:3], v[4:5]
	ds_load_b128 v[2:5], v1 offset:1552
	scratch_load_b128 v[34:37], off, off offset:688
	v_fma_f64 v[179:180], v[171:172], v[6:7], v[179:180]
	v_fma_f64 v[185:186], v[169:170], v[6:7], -v[8:9]
	ds_load_b128 v[6:9], v1 offset:1568
	scratch_load_b128 v[169:172], off, off offset:704
	s_wait_loadcnt_dscnt 0x901
	v_mul_f64_e32 v[183:184], v[2:3], v[12:13]
	v_mul_f64_e32 v[12:13], v[4:5], v[12:13]
	s_wait_loadcnt_dscnt 0x800
	v_mul_f64_e32 v[187:188], v[6:7], v[16:17]
	v_mul_f64_e32 v[16:17], v[8:9], v[16:17]
	v_add_f64_e32 v[177:178], 0, v[177:178]
	v_add_f64_e32 v[181:182], 0, v[181:182]
	v_fma_f64 v[183:184], v[4:5], v[10:11], v[183:184]
	v_fma_f64 v[189:190], v[2:3], v[10:11], -v[12:13]
	ds_load_b128 v[2:5], v1 offset:1584
	scratch_load_b128 v[10:13], off, off offset:720
	v_add_f64_e32 v[177:178], v[177:178], v[185:186]
	v_add_f64_e32 v[179:180], v[181:182], v[179:180]
	v_fma_f64 v[185:186], v[8:9], v[14:15], v[187:188]
	v_fma_f64 v[187:188], v[6:7], v[14:15], -v[16:17]
	ds_load_b128 v[6:9], v1 offset:1600
	scratch_load_b128 v[14:17], off, off offset:736
	s_wait_loadcnt_dscnt 0x901
	v_mul_f64_e32 v[181:182], v[2:3], v[20:21]
	v_mul_f64_e32 v[20:21], v[4:5], v[20:21]
	v_add_f64_e32 v[177:178], v[177:178], v[189:190]
	v_add_f64_e32 v[179:180], v[179:180], v[183:184]
	s_wait_loadcnt_dscnt 0x800
	v_mul_f64_e32 v[183:184], v[6:7], v[24:25]
	v_mul_f64_e32 v[24:25], v[8:9], v[24:25]
	v_fma_f64 v[181:182], v[4:5], v[18:19], v[181:182]
	v_fma_f64 v[189:190], v[2:3], v[18:19], -v[20:21]
	ds_load_b128 v[2:5], v1 offset:1616
	scratch_load_b128 v[18:21], off, off offset:752
	v_add_f64_e32 v[177:178], v[177:178], v[187:188]
	v_add_f64_e32 v[179:180], v[179:180], v[185:186]
	v_fma_f64 v[183:184], v[8:9], v[22:23], v[183:184]
	v_fma_f64 v[187:188], v[6:7], v[22:23], -v[24:25]
	ds_load_b128 v[6:9], v1 offset:1632
	s_wait_loadcnt_dscnt 0x801
	v_mul_f64_e32 v[185:186], v[2:3], v[28:29]
	v_mul_f64_e32 v[28:29], v[4:5], v[28:29]
	scratch_load_b128 v[22:25], off, off offset:768
	v_add_f64_e32 v[177:178], v[177:178], v[189:190]
	v_add_f64_e32 v[179:180], v[179:180], v[181:182]
	s_wait_loadcnt_dscnt 0x800
	v_mul_f64_e32 v[181:182], v[6:7], v[32:33]
	v_mul_f64_e32 v[32:33], v[8:9], v[32:33]
	v_fma_f64 v[185:186], v[4:5], v[26:27], v[185:186]
	v_fma_f64 v[189:190], v[2:3], v[26:27], -v[28:29]
	ds_load_b128 v[2:5], v1 offset:1648
	scratch_load_b128 v[26:29], off, off offset:784
	v_add_f64_e32 v[177:178], v[177:178], v[187:188]
	v_add_f64_e32 v[179:180], v[179:180], v[183:184]
	v_fma_f64 v[181:182], v[8:9], v[30:31], v[181:182]
	v_fma_f64 v[187:188], v[6:7], v[30:31], -v[32:33]
	ds_load_b128 v[6:9], v1 offset:1664
	s_wait_loadcnt_dscnt 0x801
	v_mul_f64_e32 v[183:184], v[2:3], v[40:41]
	v_mul_f64_e32 v[40:41], v[4:5], v[40:41]
	scratch_load_b128 v[30:33], off, off offset:800
	v_add_f64_e32 v[177:178], v[177:178], v[189:190]
	v_add_f64_e32 v[179:180], v[179:180], v[185:186]
	s_wait_loadcnt_dscnt 0x800
	v_mul_f64_e32 v[185:186], v[6:7], v[175:176]
	v_mul_f64_e32 v[175:176], v[8:9], v[175:176]
	v_fma_f64 v[183:184], v[4:5], v[38:39], v[183:184]
	v_fma_f64 v[189:190], v[2:3], v[38:39], -v[40:41]
	ds_load_b128 v[2:5], v1 offset:1680
	scratch_load_b128 v[38:41], off, off offset:816
	v_add_f64_e32 v[177:178], v[177:178], v[187:188]
	v_add_f64_e32 v[179:180], v[179:180], v[181:182]
	v_fma_f64 v[185:186], v[8:9], v[173:174], v[185:186]
	v_fma_f64 v[187:188], v[6:7], v[173:174], -v[175:176]
	ds_load_b128 v[6:9], v1 offset:1696
	scratch_load_b128 v[173:176], off, off offset:832
	s_wait_loadcnt_dscnt 0x901
	v_mul_f64_e32 v[181:182], v[2:3], v[36:37]
	v_mul_f64_e32 v[36:37], v[4:5], v[36:37]
	v_add_f64_e32 v[177:178], v[177:178], v[189:190]
	v_add_f64_e32 v[179:180], v[179:180], v[183:184]
	s_wait_loadcnt_dscnt 0x800
	v_mul_f64_e32 v[183:184], v[6:7], v[171:172]
	v_mul_f64_e32 v[171:172], v[8:9], v[171:172]
	v_fma_f64 v[181:182], v[4:5], v[34:35], v[181:182]
	v_fma_f64 v[189:190], v[2:3], v[34:35], -v[36:37]
	ds_load_b128 v[2:5], v1 offset:1712
	scratch_load_b128 v[34:37], off, off offset:848
	v_add_f64_e32 v[177:178], v[177:178], v[187:188]
	v_add_f64_e32 v[179:180], v[179:180], v[185:186]
	v_fma_f64 v[183:184], v[8:9], v[169:170], v[183:184]
	v_fma_f64 v[187:188], v[6:7], v[169:170], -v[171:172]
	ds_load_b128 v[6:9], v1 offset:1728
	s_wait_loadcnt_dscnt 0x801
	v_mul_f64_e32 v[185:186], v[2:3], v[12:13]
	v_mul_f64_e32 v[12:13], v[4:5], v[12:13]
	scratch_load_b128 v[169:172], off, off offset:864
	v_add_f64_e32 v[177:178], v[177:178], v[189:190]
	v_add_f64_e32 v[179:180], v[179:180], v[181:182]
	s_wait_loadcnt_dscnt 0x800
	v_mul_f64_e32 v[181:182], v[6:7], v[16:17]
	v_mul_f64_e32 v[16:17], v[8:9], v[16:17]
	v_fma_f64 v[185:186], v[4:5], v[10:11], v[185:186]
	v_fma_f64 v[189:190], v[2:3], v[10:11], -v[12:13]
	ds_load_b128 v[2:5], v1 offset:1744
	scratch_load_b128 v[10:13], off, off offset:880
	v_add_f64_e32 v[177:178], v[177:178], v[187:188]
	v_add_f64_e32 v[179:180], v[179:180], v[183:184]
	v_fma_f64 v[181:182], v[8:9], v[14:15], v[181:182]
	v_fma_f64 v[187:188], v[6:7], v[14:15], -v[16:17]
	ds_load_b128 v[6:9], v1 offset:1760
	s_wait_loadcnt_dscnt 0x801
	v_mul_f64_e32 v[183:184], v[2:3], v[20:21]
	v_mul_f64_e32 v[20:21], v[4:5], v[20:21]
	scratch_load_b128 v[14:17], off, off offset:896
	;; [unrolled: 18-line block ×5, first 2 shown]
	v_add_f64_e32 v[177:178], v[177:178], v[189:190]
	v_add_f64_e32 v[179:180], v[179:180], v[185:186]
	s_wait_loadcnt_dscnt 0x800
	v_mul_f64_e32 v[185:186], v[6:7], v[171:172]
	v_mul_f64_e32 v[171:172], v[8:9], v[171:172]
	v_fma_f64 v[183:184], v[4:5], v[34:35], v[183:184]
	v_fma_f64 v[189:190], v[2:3], v[34:35], -v[36:37]
	ds_load_b128 v[2:5], v1 offset:1872
	scratch_load_b128 v[34:37], off, off offset:1008
	v_add_f64_e32 v[177:178], v[177:178], v[187:188]
	v_add_f64_e32 v[179:180], v[179:180], v[181:182]
	v_fma_f64 v[185:186], v[8:9], v[169:170], v[185:186]
	v_fma_f64 v[169:170], v[6:7], v[169:170], -v[171:172]
	ds_load_b128 v[6:9], v1 offset:1888
	s_wait_loadcnt_dscnt 0x801
	v_mul_f64_e32 v[181:182], v[2:3], v[12:13]
	v_mul_f64_e32 v[12:13], v[4:5], v[12:13]
	v_add_f64_e32 v[171:172], v[177:178], v[189:190]
	v_add_f64_e32 v[177:178], v[179:180], v[183:184]
	s_wait_loadcnt_dscnt 0x700
	v_mul_f64_e32 v[179:180], v[6:7], v[16:17]
	v_mul_f64_e32 v[16:17], v[8:9], v[16:17]
	v_fma_f64 v[181:182], v[4:5], v[10:11], v[181:182]
	v_fma_f64 v[10:11], v[2:3], v[10:11], -v[12:13]
	ds_load_b128 v[2:5], v1 offset:1904
	v_add_f64_e32 v[12:13], v[171:172], v[169:170]
	v_add_f64_e32 v[169:170], v[177:178], v[185:186]
	v_fma_f64 v[177:178], v[8:9], v[14:15], v[179:180]
	v_fma_f64 v[14:15], v[6:7], v[14:15], -v[16:17]
	ds_load_b128 v[6:9], v1 offset:1920
	s_wait_loadcnt_dscnt 0x500
	v_mul_f64_e32 v[179:180], v[6:7], v[24:25]
	v_mul_f64_e32 v[24:25], v[8:9], v[24:25]
	v_add_f64_e32 v[16:17], v[12:13], v[10:11]
	v_add_f64_e32 v[169:170], v[169:170], v[181:182]
	scratch_load_b128 v[10:13], off, off offset:512
	v_mul_f64_e32 v[171:172], v[2:3], v[20:21]
	v_mul_f64_e32 v[20:21], v[4:5], v[20:21]
	v_add_f64_e32 v[14:15], v[16:17], v[14:15]
	v_add_f64_e32 v[16:17], v[169:170], v[177:178]
	v_fma_f64 v[169:170], v[8:9], v[22:23], v[179:180]
	v_fma_f64 v[171:172], v[4:5], v[18:19], v[171:172]
	v_fma_f64 v[18:19], v[2:3], v[18:19], -v[20:21]
	ds_load_b128 v[2:5], v1 offset:1936
	v_fma_f64 v[22:23], v[6:7], v[22:23], -v[24:25]
	ds_load_b128 v[6:9], v1 offset:1952
	s_wait_loadcnt_dscnt 0x501
	v_mul_f64_e32 v[20:21], v[2:3], v[28:29]
	v_mul_f64_e32 v[28:29], v[4:5], v[28:29]
	s_wait_loadcnt_dscnt 0x400
	v_mul_f64_e32 v[24:25], v[8:9], v[32:33]
	v_add_f64_e32 v[16:17], v[16:17], v[171:172]
	v_add_f64_e32 v[14:15], v[14:15], v[18:19]
	v_mul_f64_e32 v[18:19], v[6:7], v[32:33]
	v_fma_f64 v[20:21], v[4:5], v[26:27], v[20:21]
	v_fma_f64 v[26:27], v[2:3], v[26:27], -v[28:29]
	ds_load_b128 v[2:5], v1 offset:1968
	v_fma_f64 v[24:25], v[6:7], v[30:31], -v[24:25]
	v_add_f64_e32 v[16:17], v[16:17], v[169:170]
	v_add_f64_e32 v[14:15], v[14:15], v[22:23]
	v_fma_f64 v[18:19], v[8:9], v[30:31], v[18:19]
	ds_load_b128 v[6:9], v1 offset:1984
	s_wait_loadcnt_dscnt 0x301
	v_mul_f64_e32 v[22:23], v[2:3], v[40:41]
	v_mul_f64_e32 v[28:29], v[4:5], v[40:41]
	v_add_f64_e32 v[16:17], v[16:17], v[20:21]
	v_add_f64_e32 v[14:15], v[14:15], v[26:27]
	s_wait_loadcnt_dscnt 0x200
	v_mul_f64_e32 v[20:21], v[6:7], v[175:176]
	v_mul_f64_e32 v[26:27], v[8:9], v[175:176]
	v_fma_f64 v[22:23], v[4:5], v[38:39], v[22:23]
	v_fma_f64 v[28:29], v[2:3], v[38:39], -v[28:29]
	ds_load_b128 v[2:5], v1 offset:2000
	v_add_f64_e32 v[16:17], v[16:17], v[18:19]
	v_add_f64_e32 v[14:15], v[14:15], v[24:25]
	s_wait_loadcnt_dscnt 0x100
	v_mul_f64_e32 v[18:19], v[2:3], v[36:37]
	v_mul_f64_e32 v[24:25], v[4:5], v[36:37]
	v_fma_f64 v[8:9], v[8:9], v[173:174], v[20:21]
	v_fma_f64 v[6:7], v[6:7], v[173:174], -v[26:27]
	v_add_f64_e32 v[16:17], v[16:17], v[22:23]
	v_add_f64_e32 v[14:15], v[14:15], v[28:29]
	v_fma_f64 v[4:5], v[4:5], v[34:35], v[18:19]
	v_fma_f64 v[2:3], v[2:3], v[34:35], -v[24:25]
	s_delay_alu instid0(VALU_DEP_4) | instskip(NEXT) | instid1(VALU_DEP_4)
	v_add_f64_e32 v[8:9], v[16:17], v[8:9]
	v_add_f64_e32 v[6:7], v[14:15], v[6:7]
	s_delay_alu instid0(VALU_DEP_2) | instskip(NEXT) | instid1(VALU_DEP_2)
	v_add_f64_e32 v[4:5], v[8:9], v[4:5]
	v_add_f64_e32 v[2:3], v[6:7], v[2:3]
	s_wait_loadcnt 0x0
	s_delay_alu instid0(VALU_DEP_2) | instskip(NEXT) | instid1(VALU_DEP_2)
	v_add_f64_e64 v[4:5], v[12:13], -v[4:5]
	v_add_f64_e64 v[2:3], v[10:11], -v[2:3]
	scratch_store_b128 off, v[2:5], off offset:512
	v_cmpx_lt_u32_e32 30, v0
	s_cbranch_execz .LBB62_343
; %bb.342:
	scratch_load_b128 v[5:8], off, s44
	v_dual_mov_b32 v2, v1 :: v_dual_mov_b32 v3, v1
	v_mov_b32_e32 v4, v1
	scratch_store_b128 off, v[1:4], off offset:496
	s_wait_loadcnt 0x0
	ds_store_b128 v168, v[5:8]
.LBB62_343:
	s_wait_alu 0xfffe
	s_or_b32 exec_lo, exec_lo, s0
	s_wait_storecnt_dscnt 0x0
	s_barrier_signal -1
	s_barrier_wait -1
	global_inv scope:SCOPE_SE
	s_clause 0x7
	scratch_load_b128 v[2:5], off, off offset:512
	scratch_load_b128 v[6:9], off, off offset:528
	;; [unrolled: 1-line block ×8, first 2 shown]
	ds_load_b128 v[34:37], v1 offset:1504
	ds_load_b128 v[169:172], v1 offset:1520
	s_clause 0x1
	scratch_load_b128 v[38:41], off, off offset:640
	scratch_load_b128 v[173:176], off, off offset:656
	s_mov_b32 s0, exec_lo
	s_wait_loadcnt_dscnt 0x901
	v_mul_f64_e32 v[177:178], v[36:37], v[4:5]
	v_mul_f64_e32 v[4:5], v[34:35], v[4:5]
	s_wait_loadcnt_dscnt 0x800
	v_mul_f64_e32 v[179:180], v[169:170], v[8:9]
	v_mul_f64_e32 v[8:9], v[171:172], v[8:9]
	s_delay_alu instid0(VALU_DEP_4) | instskip(NEXT) | instid1(VALU_DEP_4)
	v_fma_f64 v[177:178], v[34:35], v[2:3], -v[177:178]
	v_fma_f64 v[181:182], v[36:37], v[2:3], v[4:5]
	ds_load_b128 v[2:5], v1 offset:1536
	scratch_load_b128 v[34:37], off, off offset:672
	v_fma_f64 v[179:180], v[171:172], v[6:7], v[179:180]
	v_fma_f64 v[185:186], v[169:170], v[6:7], -v[8:9]
	ds_load_b128 v[6:9], v1 offset:1552
	scratch_load_b128 v[169:172], off, off offset:688
	s_wait_loadcnt_dscnt 0x901
	v_mul_f64_e32 v[183:184], v[2:3], v[12:13]
	v_mul_f64_e32 v[12:13], v[4:5], v[12:13]
	s_wait_loadcnt_dscnt 0x800
	v_mul_f64_e32 v[187:188], v[6:7], v[16:17]
	v_mul_f64_e32 v[16:17], v[8:9], v[16:17]
	v_add_f64_e32 v[177:178], 0, v[177:178]
	v_add_f64_e32 v[181:182], 0, v[181:182]
	v_fma_f64 v[183:184], v[4:5], v[10:11], v[183:184]
	v_fma_f64 v[189:190], v[2:3], v[10:11], -v[12:13]
	ds_load_b128 v[2:5], v1 offset:1568
	scratch_load_b128 v[10:13], off, off offset:704
	v_add_f64_e32 v[177:178], v[177:178], v[185:186]
	v_add_f64_e32 v[179:180], v[181:182], v[179:180]
	v_fma_f64 v[185:186], v[8:9], v[14:15], v[187:188]
	v_fma_f64 v[187:188], v[6:7], v[14:15], -v[16:17]
	ds_load_b128 v[6:9], v1 offset:1584
	scratch_load_b128 v[14:17], off, off offset:720
	s_wait_loadcnt_dscnt 0x901
	v_mul_f64_e32 v[181:182], v[2:3], v[20:21]
	v_mul_f64_e32 v[20:21], v[4:5], v[20:21]
	v_add_f64_e32 v[177:178], v[177:178], v[189:190]
	v_add_f64_e32 v[179:180], v[179:180], v[183:184]
	s_wait_loadcnt_dscnt 0x800
	v_mul_f64_e32 v[183:184], v[6:7], v[24:25]
	v_mul_f64_e32 v[24:25], v[8:9], v[24:25]
	v_fma_f64 v[181:182], v[4:5], v[18:19], v[181:182]
	v_fma_f64 v[189:190], v[2:3], v[18:19], -v[20:21]
	ds_load_b128 v[2:5], v1 offset:1600
	scratch_load_b128 v[18:21], off, off offset:736
	v_add_f64_e32 v[177:178], v[177:178], v[187:188]
	v_add_f64_e32 v[179:180], v[179:180], v[185:186]
	v_fma_f64 v[183:184], v[8:9], v[22:23], v[183:184]
	v_fma_f64 v[187:188], v[6:7], v[22:23], -v[24:25]
	ds_load_b128 v[6:9], v1 offset:1616
	s_wait_loadcnt_dscnt 0x801
	v_mul_f64_e32 v[185:186], v[2:3], v[28:29]
	v_mul_f64_e32 v[28:29], v[4:5], v[28:29]
	scratch_load_b128 v[22:25], off, off offset:752
	v_add_f64_e32 v[177:178], v[177:178], v[189:190]
	v_add_f64_e32 v[179:180], v[179:180], v[181:182]
	s_wait_loadcnt_dscnt 0x800
	v_mul_f64_e32 v[181:182], v[6:7], v[32:33]
	v_mul_f64_e32 v[32:33], v[8:9], v[32:33]
	v_fma_f64 v[185:186], v[4:5], v[26:27], v[185:186]
	v_fma_f64 v[189:190], v[2:3], v[26:27], -v[28:29]
	ds_load_b128 v[2:5], v1 offset:1632
	scratch_load_b128 v[26:29], off, off offset:768
	v_add_f64_e32 v[177:178], v[177:178], v[187:188]
	v_add_f64_e32 v[179:180], v[179:180], v[183:184]
	v_fma_f64 v[181:182], v[8:9], v[30:31], v[181:182]
	v_fma_f64 v[187:188], v[6:7], v[30:31], -v[32:33]
	ds_load_b128 v[6:9], v1 offset:1648
	s_wait_loadcnt_dscnt 0x801
	v_mul_f64_e32 v[183:184], v[2:3], v[40:41]
	v_mul_f64_e32 v[40:41], v[4:5], v[40:41]
	scratch_load_b128 v[30:33], off, off offset:784
	v_add_f64_e32 v[177:178], v[177:178], v[189:190]
	v_add_f64_e32 v[179:180], v[179:180], v[185:186]
	s_wait_loadcnt_dscnt 0x800
	v_mul_f64_e32 v[185:186], v[6:7], v[175:176]
	v_mul_f64_e32 v[175:176], v[8:9], v[175:176]
	v_fma_f64 v[183:184], v[4:5], v[38:39], v[183:184]
	v_fma_f64 v[189:190], v[2:3], v[38:39], -v[40:41]
	ds_load_b128 v[2:5], v1 offset:1664
	scratch_load_b128 v[38:41], off, off offset:800
	v_add_f64_e32 v[177:178], v[177:178], v[187:188]
	v_add_f64_e32 v[179:180], v[179:180], v[181:182]
	v_fma_f64 v[185:186], v[8:9], v[173:174], v[185:186]
	v_fma_f64 v[187:188], v[6:7], v[173:174], -v[175:176]
	ds_load_b128 v[6:9], v1 offset:1680
	scratch_load_b128 v[173:176], off, off offset:816
	s_wait_loadcnt_dscnt 0x901
	v_mul_f64_e32 v[181:182], v[2:3], v[36:37]
	v_mul_f64_e32 v[36:37], v[4:5], v[36:37]
	v_add_f64_e32 v[177:178], v[177:178], v[189:190]
	v_add_f64_e32 v[179:180], v[179:180], v[183:184]
	s_wait_loadcnt_dscnt 0x800
	v_mul_f64_e32 v[183:184], v[6:7], v[171:172]
	v_mul_f64_e32 v[171:172], v[8:9], v[171:172]
	v_fma_f64 v[181:182], v[4:5], v[34:35], v[181:182]
	v_fma_f64 v[189:190], v[2:3], v[34:35], -v[36:37]
	ds_load_b128 v[2:5], v1 offset:1696
	scratch_load_b128 v[34:37], off, off offset:832
	v_add_f64_e32 v[177:178], v[177:178], v[187:188]
	v_add_f64_e32 v[179:180], v[179:180], v[185:186]
	v_fma_f64 v[183:184], v[8:9], v[169:170], v[183:184]
	v_fma_f64 v[187:188], v[6:7], v[169:170], -v[171:172]
	ds_load_b128 v[6:9], v1 offset:1712
	s_wait_loadcnt_dscnt 0x801
	v_mul_f64_e32 v[185:186], v[2:3], v[12:13]
	v_mul_f64_e32 v[12:13], v[4:5], v[12:13]
	scratch_load_b128 v[169:172], off, off offset:848
	v_add_f64_e32 v[177:178], v[177:178], v[189:190]
	v_add_f64_e32 v[179:180], v[179:180], v[181:182]
	s_wait_loadcnt_dscnt 0x800
	v_mul_f64_e32 v[181:182], v[6:7], v[16:17]
	v_mul_f64_e32 v[16:17], v[8:9], v[16:17]
	v_fma_f64 v[185:186], v[4:5], v[10:11], v[185:186]
	v_fma_f64 v[189:190], v[2:3], v[10:11], -v[12:13]
	ds_load_b128 v[2:5], v1 offset:1728
	scratch_load_b128 v[10:13], off, off offset:864
	v_add_f64_e32 v[177:178], v[177:178], v[187:188]
	v_add_f64_e32 v[179:180], v[179:180], v[183:184]
	v_fma_f64 v[181:182], v[8:9], v[14:15], v[181:182]
	v_fma_f64 v[187:188], v[6:7], v[14:15], -v[16:17]
	ds_load_b128 v[6:9], v1 offset:1744
	s_wait_loadcnt_dscnt 0x801
	v_mul_f64_e32 v[183:184], v[2:3], v[20:21]
	v_mul_f64_e32 v[20:21], v[4:5], v[20:21]
	scratch_load_b128 v[14:17], off, off offset:880
	;; [unrolled: 18-line block ×6, first 2 shown]
	v_add_f64_e32 v[177:178], v[177:178], v[189:190]
	v_add_f64_e32 v[179:180], v[179:180], v[183:184]
	s_wait_loadcnt_dscnt 0x800
	v_mul_f64_e32 v[183:184], v[6:7], v[16:17]
	v_mul_f64_e32 v[16:17], v[8:9], v[16:17]
	v_fma_f64 v[181:182], v[4:5], v[10:11], v[181:182]
	v_fma_f64 v[10:11], v[2:3], v[10:11], -v[12:13]
	ds_load_b128 v[2:5], v1 offset:1888
	v_add_f64_e32 v[12:13], v[177:178], v[187:188]
	v_add_f64_e32 v[177:178], v[179:180], v[185:186]
	v_fma_f64 v[183:184], v[8:9], v[14:15], v[183:184]
	v_fma_f64 v[14:15], v[6:7], v[14:15], -v[16:17]
	ds_load_b128 v[6:9], v1 offset:1904
	s_wait_loadcnt_dscnt 0x701
	v_mul_f64_e32 v[179:180], v[2:3], v[20:21]
	v_mul_f64_e32 v[20:21], v[4:5], v[20:21]
	v_add_f64_e32 v[10:11], v[12:13], v[10:11]
	v_add_f64_e32 v[12:13], v[177:178], v[181:182]
	s_delay_alu instid0(VALU_DEP_4) | instskip(NEXT) | instid1(VALU_DEP_4)
	v_fma_f64 v[177:178], v[4:5], v[18:19], v[179:180]
	v_fma_f64 v[18:19], v[2:3], v[18:19], -v[20:21]
	ds_load_b128 v[2:5], v1 offset:1920
	v_add_f64_e32 v[14:15], v[10:11], v[14:15]
	v_add_f64_e32 v[20:21], v[12:13], v[183:184]
	scratch_load_b128 v[10:13], off, off offset:496
	s_wait_loadcnt_dscnt 0x701
	v_mul_f64_e32 v[16:17], v[6:7], v[24:25]
	v_mul_f64_e32 v[24:25], v[8:9], v[24:25]
	v_add_f64_e32 v[14:15], v[14:15], v[18:19]
	v_add_f64_e32 v[18:19], v[20:21], v[177:178]
	s_delay_alu instid0(VALU_DEP_4) | instskip(NEXT) | instid1(VALU_DEP_4)
	v_fma_f64 v[16:17], v[8:9], v[22:23], v[16:17]
	v_fma_f64 v[22:23], v[6:7], v[22:23], -v[24:25]
	ds_load_b128 v[6:9], v1 offset:1936
	s_wait_loadcnt_dscnt 0x601
	v_mul_f64_e32 v[179:180], v[2:3], v[28:29]
	v_mul_f64_e32 v[28:29], v[4:5], v[28:29]
	s_wait_loadcnt_dscnt 0x500
	v_mul_f64_e32 v[20:21], v[6:7], v[32:33]
	v_mul_f64_e32 v[24:25], v[8:9], v[32:33]
	v_add_f64_e32 v[16:17], v[18:19], v[16:17]
	v_add_f64_e32 v[14:15], v[14:15], v[22:23]
	v_fma_f64 v[32:33], v[4:5], v[26:27], v[179:180]
	v_fma_f64 v[26:27], v[2:3], v[26:27], -v[28:29]
	ds_load_b128 v[2:5], v1 offset:1952
	v_fma_f64 v[20:21], v[8:9], v[30:31], v[20:21]
	v_fma_f64 v[24:25], v[6:7], v[30:31], -v[24:25]
	ds_load_b128 v[6:9], v1 offset:1968
	s_wait_loadcnt_dscnt 0x401
	v_mul_f64_e32 v[18:19], v[2:3], v[40:41]
	v_mul_f64_e32 v[22:23], v[4:5], v[40:41]
	v_add_f64_e32 v[16:17], v[16:17], v[32:33]
	v_add_f64_e32 v[14:15], v[14:15], v[26:27]
	s_wait_loadcnt_dscnt 0x300
	v_mul_f64_e32 v[26:27], v[6:7], v[175:176]
	v_mul_f64_e32 v[28:29], v[8:9], v[175:176]
	v_fma_f64 v[18:19], v[4:5], v[38:39], v[18:19]
	v_fma_f64 v[22:23], v[2:3], v[38:39], -v[22:23]
	ds_load_b128 v[2:5], v1 offset:1984
	v_add_f64_e32 v[16:17], v[16:17], v[20:21]
	v_add_f64_e32 v[14:15], v[14:15], v[24:25]
	v_fma_f64 v[26:27], v[8:9], v[173:174], v[26:27]
	v_fma_f64 v[28:29], v[6:7], v[173:174], -v[28:29]
	ds_load_b128 v[6:9], v1 offset:2000
	s_wait_loadcnt_dscnt 0x201
	v_mul_f64_e32 v[20:21], v[2:3], v[36:37]
	v_mul_f64_e32 v[24:25], v[4:5], v[36:37]
	v_add_f64_e32 v[16:17], v[16:17], v[18:19]
	v_add_f64_e32 v[14:15], v[14:15], v[22:23]
	s_wait_loadcnt_dscnt 0x100
	v_mul_f64_e32 v[18:19], v[6:7], v[171:172]
	v_mul_f64_e32 v[22:23], v[8:9], v[171:172]
	v_fma_f64 v[4:5], v[4:5], v[34:35], v[20:21]
	v_fma_f64 v[1:2], v[2:3], v[34:35], -v[24:25]
	v_add_f64_e32 v[16:17], v[16:17], v[26:27]
	v_add_f64_e32 v[14:15], v[14:15], v[28:29]
	v_fma_f64 v[8:9], v[8:9], v[169:170], v[18:19]
	v_fma_f64 v[6:7], v[6:7], v[169:170], -v[22:23]
	s_delay_alu instid0(VALU_DEP_4) | instskip(NEXT) | instid1(VALU_DEP_4)
	v_add_f64_e32 v[3:4], v[16:17], v[4:5]
	v_add_f64_e32 v[1:2], v[14:15], v[1:2]
	s_delay_alu instid0(VALU_DEP_2) | instskip(NEXT) | instid1(VALU_DEP_2)
	v_add_f64_e32 v[3:4], v[3:4], v[8:9]
	v_add_f64_e32 v[1:2], v[1:2], v[6:7]
	s_wait_loadcnt 0x0
	s_delay_alu instid0(VALU_DEP_2) | instskip(NEXT) | instid1(VALU_DEP_2)
	v_add_f64_e64 v[3:4], v[12:13], -v[3:4]
	v_add_f64_e64 v[1:2], v[10:11], -v[1:2]
	scratch_store_b128 off, v[1:4], off offset:496
	v_cmpx_lt_u32_e32 29, v0
	s_cbranch_execz .LBB62_345
; %bb.344:
	scratch_load_b128 v[1:4], off, s45
	v_mov_b32_e32 v5, 0
	s_delay_alu instid0(VALU_DEP_1)
	v_dual_mov_b32 v6, v5 :: v_dual_mov_b32 v7, v5
	v_mov_b32_e32 v8, v5
	scratch_store_b128 off, v[5:8], off offset:480
	s_wait_loadcnt 0x0
	ds_store_b128 v168, v[1:4]
.LBB62_345:
	s_wait_alu 0xfffe
	s_or_b32 exec_lo, exec_lo, s0
	s_wait_storecnt_dscnt 0x0
	s_barrier_signal -1
	s_barrier_wait -1
	global_inv scope:SCOPE_SE
	s_clause 0x7
	scratch_load_b128 v[2:5], off, off offset:496
	scratch_load_b128 v[6:9], off, off offset:512
	;; [unrolled: 1-line block ×8, first 2 shown]
	v_mov_b32_e32 v1, 0
	s_clause 0x1
	scratch_load_b128 v[38:41], off, off offset:624
	scratch_load_b128 v[173:176], off, off offset:640
	s_mov_b32 s0, exec_lo
	ds_load_b128 v[34:37], v1 offset:1488
	ds_load_b128 v[169:172], v1 offset:1504
	s_wait_loadcnt_dscnt 0x901
	v_mul_f64_e32 v[177:178], v[36:37], v[4:5]
	v_mul_f64_e32 v[4:5], v[34:35], v[4:5]
	s_wait_loadcnt_dscnt 0x800
	v_mul_f64_e32 v[179:180], v[169:170], v[8:9]
	v_mul_f64_e32 v[8:9], v[171:172], v[8:9]
	s_delay_alu instid0(VALU_DEP_4) | instskip(NEXT) | instid1(VALU_DEP_4)
	v_fma_f64 v[177:178], v[34:35], v[2:3], -v[177:178]
	v_fma_f64 v[181:182], v[36:37], v[2:3], v[4:5]
	ds_load_b128 v[2:5], v1 offset:1520
	scratch_load_b128 v[34:37], off, off offset:656
	v_fma_f64 v[179:180], v[171:172], v[6:7], v[179:180]
	v_fma_f64 v[185:186], v[169:170], v[6:7], -v[8:9]
	ds_load_b128 v[6:9], v1 offset:1536
	scratch_load_b128 v[169:172], off, off offset:672
	s_wait_loadcnt_dscnt 0x901
	v_mul_f64_e32 v[183:184], v[2:3], v[12:13]
	v_mul_f64_e32 v[12:13], v[4:5], v[12:13]
	s_wait_loadcnt_dscnt 0x800
	v_mul_f64_e32 v[187:188], v[6:7], v[16:17]
	v_mul_f64_e32 v[16:17], v[8:9], v[16:17]
	v_add_f64_e32 v[177:178], 0, v[177:178]
	v_add_f64_e32 v[181:182], 0, v[181:182]
	v_fma_f64 v[183:184], v[4:5], v[10:11], v[183:184]
	v_fma_f64 v[189:190], v[2:3], v[10:11], -v[12:13]
	ds_load_b128 v[2:5], v1 offset:1552
	scratch_load_b128 v[10:13], off, off offset:688
	v_add_f64_e32 v[177:178], v[177:178], v[185:186]
	v_add_f64_e32 v[179:180], v[181:182], v[179:180]
	v_fma_f64 v[185:186], v[8:9], v[14:15], v[187:188]
	v_fma_f64 v[187:188], v[6:7], v[14:15], -v[16:17]
	ds_load_b128 v[6:9], v1 offset:1568
	scratch_load_b128 v[14:17], off, off offset:704
	s_wait_loadcnt_dscnt 0x901
	v_mul_f64_e32 v[181:182], v[2:3], v[20:21]
	v_mul_f64_e32 v[20:21], v[4:5], v[20:21]
	v_add_f64_e32 v[177:178], v[177:178], v[189:190]
	v_add_f64_e32 v[179:180], v[179:180], v[183:184]
	s_wait_loadcnt_dscnt 0x800
	v_mul_f64_e32 v[183:184], v[6:7], v[24:25]
	v_mul_f64_e32 v[24:25], v[8:9], v[24:25]
	v_fma_f64 v[181:182], v[4:5], v[18:19], v[181:182]
	v_fma_f64 v[189:190], v[2:3], v[18:19], -v[20:21]
	ds_load_b128 v[2:5], v1 offset:1584
	scratch_load_b128 v[18:21], off, off offset:720
	v_add_f64_e32 v[177:178], v[177:178], v[187:188]
	v_add_f64_e32 v[179:180], v[179:180], v[185:186]
	v_fma_f64 v[183:184], v[8:9], v[22:23], v[183:184]
	v_fma_f64 v[187:188], v[6:7], v[22:23], -v[24:25]
	ds_load_b128 v[6:9], v1 offset:1600
	s_wait_loadcnt_dscnt 0x801
	v_mul_f64_e32 v[185:186], v[2:3], v[28:29]
	v_mul_f64_e32 v[28:29], v[4:5], v[28:29]
	scratch_load_b128 v[22:25], off, off offset:736
	v_add_f64_e32 v[177:178], v[177:178], v[189:190]
	v_add_f64_e32 v[179:180], v[179:180], v[181:182]
	s_wait_loadcnt_dscnt 0x800
	v_mul_f64_e32 v[181:182], v[6:7], v[32:33]
	v_mul_f64_e32 v[32:33], v[8:9], v[32:33]
	v_fma_f64 v[185:186], v[4:5], v[26:27], v[185:186]
	v_fma_f64 v[189:190], v[2:3], v[26:27], -v[28:29]
	ds_load_b128 v[2:5], v1 offset:1616
	scratch_load_b128 v[26:29], off, off offset:752
	v_add_f64_e32 v[177:178], v[177:178], v[187:188]
	v_add_f64_e32 v[179:180], v[179:180], v[183:184]
	v_fma_f64 v[181:182], v[8:9], v[30:31], v[181:182]
	v_fma_f64 v[187:188], v[6:7], v[30:31], -v[32:33]
	ds_load_b128 v[6:9], v1 offset:1632
	s_wait_loadcnt_dscnt 0x801
	v_mul_f64_e32 v[183:184], v[2:3], v[40:41]
	v_mul_f64_e32 v[40:41], v[4:5], v[40:41]
	scratch_load_b128 v[30:33], off, off offset:768
	v_add_f64_e32 v[177:178], v[177:178], v[189:190]
	v_add_f64_e32 v[179:180], v[179:180], v[185:186]
	s_wait_loadcnt_dscnt 0x800
	v_mul_f64_e32 v[185:186], v[6:7], v[175:176]
	v_mul_f64_e32 v[175:176], v[8:9], v[175:176]
	v_fma_f64 v[183:184], v[4:5], v[38:39], v[183:184]
	v_fma_f64 v[189:190], v[2:3], v[38:39], -v[40:41]
	ds_load_b128 v[2:5], v1 offset:1648
	scratch_load_b128 v[38:41], off, off offset:784
	v_add_f64_e32 v[177:178], v[177:178], v[187:188]
	v_add_f64_e32 v[179:180], v[179:180], v[181:182]
	v_fma_f64 v[185:186], v[8:9], v[173:174], v[185:186]
	v_fma_f64 v[187:188], v[6:7], v[173:174], -v[175:176]
	ds_load_b128 v[6:9], v1 offset:1664
	scratch_load_b128 v[173:176], off, off offset:800
	s_wait_loadcnt_dscnt 0x901
	v_mul_f64_e32 v[181:182], v[2:3], v[36:37]
	v_mul_f64_e32 v[36:37], v[4:5], v[36:37]
	v_add_f64_e32 v[177:178], v[177:178], v[189:190]
	v_add_f64_e32 v[179:180], v[179:180], v[183:184]
	s_wait_loadcnt_dscnt 0x800
	v_mul_f64_e32 v[183:184], v[6:7], v[171:172]
	v_mul_f64_e32 v[171:172], v[8:9], v[171:172]
	v_fma_f64 v[181:182], v[4:5], v[34:35], v[181:182]
	v_fma_f64 v[189:190], v[2:3], v[34:35], -v[36:37]
	ds_load_b128 v[2:5], v1 offset:1680
	scratch_load_b128 v[34:37], off, off offset:816
	v_add_f64_e32 v[177:178], v[177:178], v[187:188]
	v_add_f64_e32 v[179:180], v[179:180], v[185:186]
	v_fma_f64 v[183:184], v[8:9], v[169:170], v[183:184]
	v_fma_f64 v[187:188], v[6:7], v[169:170], -v[171:172]
	ds_load_b128 v[6:9], v1 offset:1696
	s_wait_loadcnt_dscnt 0x801
	v_mul_f64_e32 v[185:186], v[2:3], v[12:13]
	v_mul_f64_e32 v[12:13], v[4:5], v[12:13]
	scratch_load_b128 v[169:172], off, off offset:832
	v_add_f64_e32 v[177:178], v[177:178], v[189:190]
	v_add_f64_e32 v[179:180], v[179:180], v[181:182]
	s_wait_loadcnt_dscnt 0x800
	v_mul_f64_e32 v[181:182], v[6:7], v[16:17]
	v_mul_f64_e32 v[16:17], v[8:9], v[16:17]
	v_fma_f64 v[185:186], v[4:5], v[10:11], v[185:186]
	v_fma_f64 v[189:190], v[2:3], v[10:11], -v[12:13]
	ds_load_b128 v[2:5], v1 offset:1712
	scratch_load_b128 v[10:13], off, off offset:848
	v_add_f64_e32 v[177:178], v[177:178], v[187:188]
	v_add_f64_e32 v[179:180], v[179:180], v[183:184]
	v_fma_f64 v[181:182], v[8:9], v[14:15], v[181:182]
	v_fma_f64 v[187:188], v[6:7], v[14:15], -v[16:17]
	ds_load_b128 v[6:9], v1 offset:1728
	s_wait_loadcnt_dscnt 0x801
	v_mul_f64_e32 v[183:184], v[2:3], v[20:21]
	v_mul_f64_e32 v[20:21], v[4:5], v[20:21]
	scratch_load_b128 v[14:17], off, off offset:864
	;; [unrolled: 18-line block ×6, first 2 shown]
	v_add_f64_e32 v[177:178], v[177:178], v[189:190]
	v_add_f64_e32 v[179:180], v[179:180], v[183:184]
	s_wait_loadcnt_dscnt 0x800
	v_mul_f64_e32 v[183:184], v[6:7], v[16:17]
	v_mul_f64_e32 v[16:17], v[8:9], v[16:17]
	v_fma_f64 v[181:182], v[4:5], v[10:11], v[181:182]
	v_fma_f64 v[189:190], v[2:3], v[10:11], -v[12:13]
	ds_load_b128 v[2:5], v1 offset:1872
	scratch_load_b128 v[10:13], off, off offset:1008
	v_add_f64_e32 v[177:178], v[177:178], v[187:188]
	v_add_f64_e32 v[179:180], v[179:180], v[185:186]
	v_fma_f64 v[183:184], v[8:9], v[14:15], v[183:184]
	v_fma_f64 v[14:15], v[6:7], v[14:15], -v[16:17]
	ds_load_b128 v[6:9], v1 offset:1888
	s_wait_loadcnt_dscnt 0x801
	v_mul_f64_e32 v[185:186], v[2:3], v[20:21]
	v_mul_f64_e32 v[20:21], v[4:5], v[20:21]
	v_add_f64_e32 v[16:17], v[177:178], v[189:190]
	v_add_f64_e32 v[177:178], v[179:180], v[181:182]
	s_wait_loadcnt_dscnt 0x700
	v_mul_f64_e32 v[179:180], v[6:7], v[24:25]
	v_mul_f64_e32 v[24:25], v[8:9], v[24:25]
	v_fma_f64 v[181:182], v[4:5], v[18:19], v[185:186]
	v_fma_f64 v[18:19], v[2:3], v[18:19], -v[20:21]
	ds_load_b128 v[2:5], v1 offset:1904
	v_add_f64_e32 v[14:15], v[16:17], v[14:15]
	v_add_f64_e32 v[16:17], v[177:178], v[183:184]
	v_fma_f64 v[177:178], v[8:9], v[22:23], v[179:180]
	v_fma_f64 v[22:23], v[6:7], v[22:23], -v[24:25]
	ds_load_b128 v[6:9], v1 offset:1920
	s_wait_loadcnt_dscnt 0x500
	v_mul_f64_e32 v[179:180], v[6:7], v[32:33]
	v_mul_f64_e32 v[32:33], v[8:9], v[32:33]
	v_add_f64_e32 v[18:19], v[14:15], v[18:19]
	v_add_f64_e32 v[24:25], v[16:17], v[181:182]
	scratch_load_b128 v[14:17], off, off offset:480
	v_mul_f64_e32 v[20:21], v[2:3], v[28:29]
	v_mul_f64_e32 v[28:29], v[4:5], v[28:29]
	v_add_f64_e32 v[18:19], v[18:19], v[22:23]
	v_add_f64_e32 v[22:23], v[24:25], v[177:178]
	s_delay_alu instid0(VALU_DEP_4) | instskip(NEXT) | instid1(VALU_DEP_4)
	v_fma_f64 v[20:21], v[4:5], v[26:27], v[20:21]
	v_fma_f64 v[26:27], v[2:3], v[26:27], -v[28:29]
	ds_load_b128 v[2:5], v1 offset:1936
	s_wait_loadcnt_dscnt 0x500
	v_mul_f64_e32 v[24:25], v[2:3], v[40:41]
	v_mul_f64_e32 v[28:29], v[4:5], v[40:41]
	v_fma_f64 v[40:41], v[8:9], v[30:31], v[179:180]
	v_fma_f64 v[30:31], v[6:7], v[30:31], -v[32:33]
	ds_load_b128 v[6:9], v1 offset:1952
	v_add_f64_e32 v[20:21], v[22:23], v[20:21]
	v_add_f64_e32 v[18:19], v[18:19], v[26:27]
	v_fma_f64 v[24:25], v[4:5], v[38:39], v[24:25]
	v_fma_f64 v[28:29], v[2:3], v[38:39], -v[28:29]
	ds_load_b128 v[2:5], v1 offset:1968
	s_wait_loadcnt_dscnt 0x401
	v_mul_f64_e32 v[22:23], v[6:7], v[175:176]
	v_mul_f64_e32 v[26:27], v[8:9], v[175:176]
	v_add_f64_e32 v[20:21], v[20:21], v[40:41]
	v_add_f64_e32 v[18:19], v[18:19], v[30:31]
	s_wait_loadcnt_dscnt 0x300
	v_mul_f64_e32 v[30:31], v[2:3], v[36:37]
	v_mul_f64_e32 v[32:33], v[4:5], v[36:37]
	v_fma_f64 v[22:23], v[8:9], v[173:174], v[22:23]
	v_fma_f64 v[26:27], v[6:7], v[173:174], -v[26:27]
	ds_load_b128 v[6:9], v1 offset:1984
	v_add_f64_e32 v[20:21], v[20:21], v[24:25]
	v_add_f64_e32 v[18:19], v[18:19], v[28:29]
	v_fma_f64 v[30:31], v[4:5], v[34:35], v[30:31]
	v_fma_f64 v[32:33], v[2:3], v[34:35], -v[32:33]
	ds_load_b128 v[2:5], v1 offset:2000
	s_wait_loadcnt_dscnt 0x201
	v_mul_f64_e32 v[24:25], v[6:7], v[171:172]
	v_mul_f64_e32 v[28:29], v[8:9], v[171:172]
	v_add_f64_e32 v[20:21], v[20:21], v[22:23]
	v_add_f64_e32 v[18:19], v[18:19], v[26:27]
	s_wait_loadcnt_dscnt 0x100
	v_mul_f64_e32 v[22:23], v[2:3], v[12:13]
	v_mul_f64_e32 v[12:13], v[4:5], v[12:13]
	v_fma_f64 v[8:9], v[8:9], v[169:170], v[24:25]
	v_fma_f64 v[6:7], v[6:7], v[169:170], -v[28:29]
	v_add_f64_e32 v[20:21], v[20:21], v[30:31]
	v_add_f64_e32 v[18:19], v[18:19], v[32:33]
	v_fma_f64 v[4:5], v[4:5], v[10:11], v[22:23]
	v_fma_f64 v[2:3], v[2:3], v[10:11], -v[12:13]
	s_delay_alu instid0(VALU_DEP_4) | instskip(NEXT) | instid1(VALU_DEP_4)
	v_add_f64_e32 v[8:9], v[20:21], v[8:9]
	v_add_f64_e32 v[6:7], v[18:19], v[6:7]
	s_delay_alu instid0(VALU_DEP_2) | instskip(NEXT) | instid1(VALU_DEP_2)
	v_add_f64_e32 v[4:5], v[8:9], v[4:5]
	v_add_f64_e32 v[2:3], v[6:7], v[2:3]
	s_wait_loadcnt 0x0
	s_delay_alu instid0(VALU_DEP_2) | instskip(NEXT) | instid1(VALU_DEP_2)
	v_add_f64_e64 v[4:5], v[16:17], -v[4:5]
	v_add_f64_e64 v[2:3], v[14:15], -v[2:3]
	scratch_store_b128 off, v[2:5], off offset:480
	v_cmpx_lt_u32_e32 28, v0
	s_cbranch_execz .LBB62_347
; %bb.346:
	scratch_load_b128 v[5:8], off, s46
	v_dual_mov_b32 v2, v1 :: v_dual_mov_b32 v3, v1
	v_mov_b32_e32 v4, v1
	scratch_store_b128 off, v[1:4], off offset:464
	s_wait_loadcnt 0x0
	ds_store_b128 v168, v[5:8]
.LBB62_347:
	s_wait_alu 0xfffe
	s_or_b32 exec_lo, exec_lo, s0
	s_wait_storecnt_dscnt 0x0
	s_barrier_signal -1
	s_barrier_wait -1
	global_inv scope:SCOPE_SE
	s_clause 0x7
	scratch_load_b128 v[2:5], off, off offset:480
	scratch_load_b128 v[6:9], off, off offset:496
	;; [unrolled: 1-line block ×8, first 2 shown]
	ds_load_b128 v[38:41], v1 offset:1472
	ds_load_b128 v[169:172], v1 offset:1488
	s_clause 0x1
	scratch_load_b128 v[34:37], off, off offset:608
	scratch_load_b128 v[173:176], off, off offset:624
	s_mov_b32 s0, exec_lo
	s_wait_loadcnt_dscnt 0x901
	v_mul_f64_e32 v[177:178], v[40:41], v[4:5]
	v_mul_f64_e32 v[4:5], v[38:39], v[4:5]
	s_wait_loadcnt_dscnt 0x800
	v_mul_f64_e32 v[179:180], v[169:170], v[8:9]
	v_mul_f64_e32 v[8:9], v[171:172], v[8:9]
	s_delay_alu instid0(VALU_DEP_4) | instskip(NEXT) | instid1(VALU_DEP_4)
	v_fma_f64 v[177:178], v[38:39], v[2:3], -v[177:178]
	v_fma_f64 v[181:182], v[40:41], v[2:3], v[4:5]
	ds_load_b128 v[2:5], v1 offset:1504
	scratch_load_b128 v[38:41], off, off offset:640
	v_fma_f64 v[179:180], v[171:172], v[6:7], v[179:180]
	v_fma_f64 v[185:186], v[169:170], v[6:7], -v[8:9]
	ds_load_b128 v[6:9], v1 offset:1520
	scratch_load_b128 v[169:172], off, off offset:656
	s_wait_loadcnt_dscnt 0x901
	v_mul_f64_e32 v[183:184], v[2:3], v[12:13]
	v_mul_f64_e32 v[12:13], v[4:5], v[12:13]
	s_wait_loadcnt_dscnt 0x800
	v_mul_f64_e32 v[187:188], v[6:7], v[16:17]
	v_mul_f64_e32 v[16:17], v[8:9], v[16:17]
	v_add_f64_e32 v[177:178], 0, v[177:178]
	v_add_f64_e32 v[181:182], 0, v[181:182]
	v_fma_f64 v[183:184], v[4:5], v[10:11], v[183:184]
	v_fma_f64 v[189:190], v[2:3], v[10:11], -v[12:13]
	ds_load_b128 v[2:5], v1 offset:1536
	scratch_load_b128 v[10:13], off, off offset:672
	v_add_f64_e32 v[177:178], v[177:178], v[185:186]
	v_add_f64_e32 v[179:180], v[181:182], v[179:180]
	v_fma_f64 v[185:186], v[8:9], v[14:15], v[187:188]
	v_fma_f64 v[187:188], v[6:7], v[14:15], -v[16:17]
	ds_load_b128 v[6:9], v1 offset:1552
	scratch_load_b128 v[14:17], off, off offset:688
	s_wait_loadcnt_dscnt 0x901
	v_mul_f64_e32 v[181:182], v[2:3], v[20:21]
	v_mul_f64_e32 v[20:21], v[4:5], v[20:21]
	v_add_f64_e32 v[177:178], v[177:178], v[189:190]
	v_add_f64_e32 v[179:180], v[179:180], v[183:184]
	s_wait_loadcnt_dscnt 0x800
	v_mul_f64_e32 v[183:184], v[6:7], v[24:25]
	v_mul_f64_e32 v[24:25], v[8:9], v[24:25]
	v_fma_f64 v[181:182], v[4:5], v[18:19], v[181:182]
	v_fma_f64 v[189:190], v[2:3], v[18:19], -v[20:21]
	ds_load_b128 v[2:5], v1 offset:1568
	scratch_load_b128 v[18:21], off, off offset:704
	v_add_f64_e32 v[177:178], v[177:178], v[187:188]
	v_add_f64_e32 v[179:180], v[179:180], v[185:186]
	v_fma_f64 v[183:184], v[8:9], v[22:23], v[183:184]
	v_fma_f64 v[187:188], v[6:7], v[22:23], -v[24:25]
	ds_load_b128 v[6:9], v1 offset:1584
	s_wait_loadcnt_dscnt 0x801
	v_mul_f64_e32 v[185:186], v[2:3], v[28:29]
	v_mul_f64_e32 v[28:29], v[4:5], v[28:29]
	scratch_load_b128 v[22:25], off, off offset:720
	v_add_f64_e32 v[177:178], v[177:178], v[189:190]
	v_add_f64_e32 v[179:180], v[179:180], v[181:182]
	s_wait_loadcnt_dscnt 0x800
	v_mul_f64_e32 v[181:182], v[6:7], v[32:33]
	v_mul_f64_e32 v[32:33], v[8:9], v[32:33]
	v_fma_f64 v[185:186], v[4:5], v[26:27], v[185:186]
	v_fma_f64 v[189:190], v[2:3], v[26:27], -v[28:29]
	ds_load_b128 v[2:5], v1 offset:1600
	scratch_load_b128 v[26:29], off, off offset:736
	v_add_f64_e32 v[177:178], v[177:178], v[187:188]
	v_add_f64_e32 v[179:180], v[179:180], v[183:184]
	v_fma_f64 v[181:182], v[8:9], v[30:31], v[181:182]
	v_fma_f64 v[187:188], v[6:7], v[30:31], -v[32:33]
	ds_load_b128 v[6:9], v1 offset:1616
	s_wait_loadcnt_dscnt 0x801
	v_mul_f64_e32 v[183:184], v[2:3], v[36:37]
	v_mul_f64_e32 v[36:37], v[4:5], v[36:37]
	scratch_load_b128 v[30:33], off, off offset:752
	v_add_f64_e32 v[177:178], v[177:178], v[189:190]
	v_add_f64_e32 v[179:180], v[179:180], v[185:186]
	s_wait_loadcnt_dscnt 0x800
	v_mul_f64_e32 v[185:186], v[6:7], v[175:176]
	v_mul_f64_e32 v[175:176], v[8:9], v[175:176]
	v_fma_f64 v[183:184], v[4:5], v[34:35], v[183:184]
	v_fma_f64 v[189:190], v[2:3], v[34:35], -v[36:37]
	ds_load_b128 v[2:5], v1 offset:1632
	scratch_load_b128 v[34:37], off, off offset:768
	v_add_f64_e32 v[177:178], v[177:178], v[187:188]
	v_add_f64_e32 v[179:180], v[179:180], v[181:182]
	v_fma_f64 v[185:186], v[8:9], v[173:174], v[185:186]
	v_fma_f64 v[187:188], v[6:7], v[173:174], -v[175:176]
	ds_load_b128 v[6:9], v1 offset:1648
	scratch_load_b128 v[173:176], off, off offset:784
	s_wait_loadcnt_dscnt 0x901
	v_mul_f64_e32 v[181:182], v[2:3], v[40:41]
	v_mul_f64_e32 v[40:41], v[4:5], v[40:41]
	v_add_f64_e32 v[177:178], v[177:178], v[189:190]
	v_add_f64_e32 v[179:180], v[179:180], v[183:184]
	s_wait_loadcnt_dscnt 0x800
	v_mul_f64_e32 v[183:184], v[6:7], v[171:172]
	v_mul_f64_e32 v[171:172], v[8:9], v[171:172]
	v_fma_f64 v[181:182], v[4:5], v[38:39], v[181:182]
	v_fma_f64 v[189:190], v[2:3], v[38:39], -v[40:41]
	ds_load_b128 v[2:5], v1 offset:1664
	scratch_load_b128 v[38:41], off, off offset:800
	v_add_f64_e32 v[177:178], v[177:178], v[187:188]
	v_add_f64_e32 v[179:180], v[179:180], v[185:186]
	v_fma_f64 v[183:184], v[8:9], v[169:170], v[183:184]
	v_fma_f64 v[187:188], v[6:7], v[169:170], -v[171:172]
	ds_load_b128 v[6:9], v1 offset:1680
	s_wait_loadcnt_dscnt 0x801
	v_mul_f64_e32 v[185:186], v[2:3], v[12:13]
	v_mul_f64_e32 v[12:13], v[4:5], v[12:13]
	scratch_load_b128 v[169:172], off, off offset:816
	v_add_f64_e32 v[177:178], v[177:178], v[189:190]
	v_add_f64_e32 v[179:180], v[179:180], v[181:182]
	s_wait_loadcnt_dscnt 0x800
	v_mul_f64_e32 v[181:182], v[6:7], v[16:17]
	v_mul_f64_e32 v[16:17], v[8:9], v[16:17]
	v_fma_f64 v[185:186], v[4:5], v[10:11], v[185:186]
	v_fma_f64 v[189:190], v[2:3], v[10:11], -v[12:13]
	ds_load_b128 v[2:5], v1 offset:1696
	scratch_load_b128 v[10:13], off, off offset:832
	v_add_f64_e32 v[177:178], v[177:178], v[187:188]
	v_add_f64_e32 v[179:180], v[179:180], v[183:184]
	v_fma_f64 v[181:182], v[8:9], v[14:15], v[181:182]
	v_fma_f64 v[187:188], v[6:7], v[14:15], -v[16:17]
	ds_load_b128 v[6:9], v1 offset:1712
	s_wait_loadcnt_dscnt 0x801
	v_mul_f64_e32 v[183:184], v[2:3], v[20:21]
	v_mul_f64_e32 v[20:21], v[4:5], v[20:21]
	scratch_load_b128 v[14:17], off, off offset:848
	;; [unrolled: 18-line block ×7, first 2 shown]
	v_add_f64_e32 v[177:178], v[177:178], v[189:190]
	v_add_f64_e32 v[179:180], v[179:180], v[181:182]
	s_wait_loadcnt_dscnt 0x800
	v_mul_f64_e32 v[181:182], v[6:7], v[24:25]
	v_mul_f64_e32 v[24:25], v[8:9], v[24:25]
	v_fma_f64 v[185:186], v[4:5], v[18:19], v[185:186]
	v_fma_f64 v[18:19], v[2:3], v[18:19], -v[20:21]
	ds_load_b128 v[2:5], v1 offset:1888
	v_add_f64_e32 v[20:21], v[177:178], v[187:188]
	v_add_f64_e32 v[177:178], v[179:180], v[183:184]
	v_fma_f64 v[181:182], v[8:9], v[22:23], v[181:182]
	v_fma_f64 v[22:23], v[6:7], v[22:23], -v[24:25]
	ds_load_b128 v[6:9], v1 offset:1904
	s_wait_loadcnt_dscnt 0x701
	v_mul_f64_e32 v[179:180], v[2:3], v[28:29]
	v_mul_f64_e32 v[28:29], v[4:5], v[28:29]
	v_add_f64_e32 v[18:19], v[20:21], v[18:19]
	v_add_f64_e32 v[20:21], v[177:178], v[185:186]
	s_delay_alu instid0(VALU_DEP_4) | instskip(NEXT) | instid1(VALU_DEP_4)
	v_fma_f64 v[177:178], v[4:5], v[26:27], v[179:180]
	v_fma_f64 v[26:27], v[2:3], v[26:27], -v[28:29]
	ds_load_b128 v[2:5], v1 offset:1920
	v_add_f64_e32 v[22:23], v[18:19], v[22:23]
	v_add_f64_e32 v[28:29], v[20:21], v[181:182]
	scratch_load_b128 v[18:21], off, off offset:464
	s_wait_loadcnt_dscnt 0x701
	v_mul_f64_e32 v[24:25], v[6:7], v[32:33]
	v_mul_f64_e32 v[32:33], v[8:9], v[32:33]
	v_add_f64_e32 v[22:23], v[22:23], v[26:27]
	v_add_f64_e32 v[26:27], v[28:29], v[177:178]
	s_delay_alu instid0(VALU_DEP_4) | instskip(NEXT) | instid1(VALU_DEP_4)
	v_fma_f64 v[24:25], v[8:9], v[30:31], v[24:25]
	v_fma_f64 v[30:31], v[6:7], v[30:31], -v[32:33]
	ds_load_b128 v[6:9], v1 offset:1936
	s_wait_loadcnt_dscnt 0x601
	v_mul_f64_e32 v[179:180], v[2:3], v[36:37]
	v_mul_f64_e32 v[36:37], v[4:5], v[36:37]
	s_wait_loadcnt_dscnt 0x500
	v_mul_f64_e32 v[28:29], v[6:7], v[175:176]
	v_mul_f64_e32 v[32:33], v[8:9], v[175:176]
	v_add_f64_e32 v[24:25], v[26:27], v[24:25]
	v_add_f64_e32 v[22:23], v[22:23], v[30:31]
	v_fma_f64 v[175:176], v[4:5], v[34:35], v[179:180]
	v_fma_f64 v[34:35], v[2:3], v[34:35], -v[36:37]
	ds_load_b128 v[2:5], v1 offset:1952
	v_fma_f64 v[28:29], v[8:9], v[173:174], v[28:29]
	v_fma_f64 v[32:33], v[6:7], v[173:174], -v[32:33]
	ds_load_b128 v[6:9], v1 offset:1968
	s_wait_loadcnt_dscnt 0x401
	v_mul_f64_e32 v[26:27], v[2:3], v[40:41]
	v_mul_f64_e32 v[30:31], v[4:5], v[40:41]
	v_add_f64_e32 v[24:25], v[24:25], v[175:176]
	v_add_f64_e32 v[22:23], v[22:23], v[34:35]
	s_wait_loadcnt_dscnt 0x300
	v_mul_f64_e32 v[34:35], v[6:7], v[171:172]
	v_mul_f64_e32 v[36:37], v[8:9], v[171:172]
	v_fma_f64 v[26:27], v[4:5], v[38:39], v[26:27]
	v_fma_f64 v[30:31], v[2:3], v[38:39], -v[30:31]
	ds_load_b128 v[2:5], v1 offset:1984
	v_add_f64_e32 v[24:25], v[24:25], v[28:29]
	v_add_f64_e32 v[22:23], v[22:23], v[32:33]
	v_fma_f64 v[32:33], v[8:9], v[169:170], v[34:35]
	v_fma_f64 v[34:35], v[6:7], v[169:170], -v[36:37]
	ds_load_b128 v[6:9], v1 offset:2000
	s_wait_loadcnt_dscnt 0x201
	v_mul_f64_e32 v[28:29], v[2:3], v[12:13]
	v_mul_f64_e32 v[12:13], v[4:5], v[12:13]
	v_add_f64_e32 v[24:25], v[24:25], v[26:27]
	v_add_f64_e32 v[22:23], v[22:23], v[30:31]
	s_wait_loadcnt_dscnt 0x100
	v_mul_f64_e32 v[26:27], v[6:7], v[16:17]
	v_mul_f64_e32 v[16:17], v[8:9], v[16:17]
	v_fma_f64 v[4:5], v[4:5], v[10:11], v[28:29]
	v_fma_f64 v[1:2], v[2:3], v[10:11], -v[12:13]
	v_add_f64_e32 v[12:13], v[24:25], v[32:33]
	v_add_f64_e32 v[10:11], v[22:23], v[34:35]
	v_fma_f64 v[8:9], v[8:9], v[14:15], v[26:27]
	v_fma_f64 v[6:7], v[6:7], v[14:15], -v[16:17]
	s_delay_alu instid0(VALU_DEP_4) | instskip(NEXT) | instid1(VALU_DEP_4)
	v_add_f64_e32 v[3:4], v[12:13], v[4:5]
	v_add_f64_e32 v[1:2], v[10:11], v[1:2]
	s_delay_alu instid0(VALU_DEP_2) | instskip(NEXT) | instid1(VALU_DEP_2)
	v_add_f64_e32 v[3:4], v[3:4], v[8:9]
	v_add_f64_e32 v[1:2], v[1:2], v[6:7]
	s_wait_loadcnt 0x0
	s_delay_alu instid0(VALU_DEP_2) | instskip(NEXT) | instid1(VALU_DEP_2)
	v_add_f64_e64 v[3:4], v[20:21], -v[3:4]
	v_add_f64_e64 v[1:2], v[18:19], -v[1:2]
	scratch_store_b128 off, v[1:4], off offset:464
	v_cmpx_lt_u32_e32 27, v0
	s_cbranch_execz .LBB62_349
; %bb.348:
	scratch_load_b128 v[1:4], off, s47
	v_mov_b32_e32 v5, 0
	s_delay_alu instid0(VALU_DEP_1)
	v_dual_mov_b32 v6, v5 :: v_dual_mov_b32 v7, v5
	v_mov_b32_e32 v8, v5
	scratch_store_b128 off, v[5:8], off offset:448
	s_wait_loadcnt 0x0
	ds_store_b128 v168, v[1:4]
.LBB62_349:
	s_wait_alu 0xfffe
	s_or_b32 exec_lo, exec_lo, s0
	s_wait_storecnt_dscnt 0x0
	s_barrier_signal -1
	s_barrier_wait -1
	global_inv scope:SCOPE_SE
	s_clause 0x7
	scratch_load_b128 v[2:5], off, off offset:464
	scratch_load_b128 v[6:9], off, off offset:480
	;; [unrolled: 1-line block ×8, first 2 shown]
	v_mov_b32_e32 v1, 0
	s_clause 0x1
	scratch_load_b128 v[34:37], off, off offset:592
	scratch_load_b128 v[173:176], off, off offset:608
	s_mov_b32 s0, exec_lo
	ds_load_b128 v[38:41], v1 offset:1456
	ds_load_b128 v[169:172], v1 offset:1472
	s_wait_loadcnt_dscnt 0x901
	v_mul_f64_e32 v[177:178], v[40:41], v[4:5]
	v_mul_f64_e32 v[4:5], v[38:39], v[4:5]
	s_wait_loadcnt_dscnt 0x800
	v_mul_f64_e32 v[179:180], v[169:170], v[8:9]
	v_mul_f64_e32 v[8:9], v[171:172], v[8:9]
	s_delay_alu instid0(VALU_DEP_4) | instskip(NEXT) | instid1(VALU_DEP_4)
	v_fma_f64 v[177:178], v[38:39], v[2:3], -v[177:178]
	v_fma_f64 v[181:182], v[40:41], v[2:3], v[4:5]
	ds_load_b128 v[2:5], v1 offset:1488
	scratch_load_b128 v[38:41], off, off offset:624
	v_fma_f64 v[179:180], v[171:172], v[6:7], v[179:180]
	v_fma_f64 v[185:186], v[169:170], v[6:7], -v[8:9]
	ds_load_b128 v[6:9], v1 offset:1504
	scratch_load_b128 v[169:172], off, off offset:640
	s_wait_loadcnt_dscnt 0x901
	v_mul_f64_e32 v[183:184], v[2:3], v[12:13]
	v_mul_f64_e32 v[12:13], v[4:5], v[12:13]
	s_wait_loadcnt_dscnt 0x800
	v_mul_f64_e32 v[187:188], v[6:7], v[16:17]
	v_mul_f64_e32 v[16:17], v[8:9], v[16:17]
	v_add_f64_e32 v[177:178], 0, v[177:178]
	v_add_f64_e32 v[181:182], 0, v[181:182]
	v_fma_f64 v[183:184], v[4:5], v[10:11], v[183:184]
	v_fma_f64 v[189:190], v[2:3], v[10:11], -v[12:13]
	ds_load_b128 v[2:5], v1 offset:1520
	scratch_load_b128 v[10:13], off, off offset:656
	v_add_f64_e32 v[177:178], v[177:178], v[185:186]
	v_add_f64_e32 v[179:180], v[181:182], v[179:180]
	v_fma_f64 v[185:186], v[8:9], v[14:15], v[187:188]
	v_fma_f64 v[187:188], v[6:7], v[14:15], -v[16:17]
	ds_load_b128 v[6:9], v1 offset:1536
	scratch_load_b128 v[14:17], off, off offset:672
	s_wait_loadcnt_dscnt 0x901
	v_mul_f64_e32 v[181:182], v[2:3], v[20:21]
	v_mul_f64_e32 v[20:21], v[4:5], v[20:21]
	v_add_f64_e32 v[177:178], v[177:178], v[189:190]
	v_add_f64_e32 v[179:180], v[179:180], v[183:184]
	s_wait_loadcnt_dscnt 0x800
	v_mul_f64_e32 v[183:184], v[6:7], v[24:25]
	v_mul_f64_e32 v[24:25], v[8:9], v[24:25]
	v_fma_f64 v[181:182], v[4:5], v[18:19], v[181:182]
	v_fma_f64 v[189:190], v[2:3], v[18:19], -v[20:21]
	ds_load_b128 v[2:5], v1 offset:1552
	scratch_load_b128 v[18:21], off, off offset:688
	v_add_f64_e32 v[177:178], v[177:178], v[187:188]
	v_add_f64_e32 v[179:180], v[179:180], v[185:186]
	v_fma_f64 v[183:184], v[8:9], v[22:23], v[183:184]
	v_fma_f64 v[187:188], v[6:7], v[22:23], -v[24:25]
	ds_load_b128 v[6:9], v1 offset:1568
	s_wait_loadcnt_dscnt 0x801
	v_mul_f64_e32 v[185:186], v[2:3], v[28:29]
	v_mul_f64_e32 v[28:29], v[4:5], v[28:29]
	scratch_load_b128 v[22:25], off, off offset:704
	v_add_f64_e32 v[177:178], v[177:178], v[189:190]
	v_add_f64_e32 v[179:180], v[179:180], v[181:182]
	s_wait_loadcnt_dscnt 0x800
	v_mul_f64_e32 v[181:182], v[6:7], v[32:33]
	v_mul_f64_e32 v[32:33], v[8:9], v[32:33]
	v_fma_f64 v[185:186], v[4:5], v[26:27], v[185:186]
	v_fma_f64 v[189:190], v[2:3], v[26:27], -v[28:29]
	ds_load_b128 v[2:5], v1 offset:1584
	scratch_load_b128 v[26:29], off, off offset:720
	v_add_f64_e32 v[177:178], v[177:178], v[187:188]
	v_add_f64_e32 v[179:180], v[179:180], v[183:184]
	v_fma_f64 v[181:182], v[8:9], v[30:31], v[181:182]
	v_fma_f64 v[187:188], v[6:7], v[30:31], -v[32:33]
	ds_load_b128 v[6:9], v1 offset:1600
	s_wait_loadcnt_dscnt 0x801
	v_mul_f64_e32 v[183:184], v[2:3], v[36:37]
	v_mul_f64_e32 v[36:37], v[4:5], v[36:37]
	scratch_load_b128 v[30:33], off, off offset:736
	v_add_f64_e32 v[177:178], v[177:178], v[189:190]
	v_add_f64_e32 v[179:180], v[179:180], v[185:186]
	s_wait_loadcnt_dscnt 0x800
	v_mul_f64_e32 v[185:186], v[6:7], v[175:176]
	v_mul_f64_e32 v[175:176], v[8:9], v[175:176]
	v_fma_f64 v[183:184], v[4:5], v[34:35], v[183:184]
	v_fma_f64 v[189:190], v[2:3], v[34:35], -v[36:37]
	ds_load_b128 v[2:5], v1 offset:1616
	scratch_load_b128 v[34:37], off, off offset:752
	v_add_f64_e32 v[177:178], v[177:178], v[187:188]
	v_add_f64_e32 v[179:180], v[179:180], v[181:182]
	v_fma_f64 v[185:186], v[8:9], v[173:174], v[185:186]
	v_fma_f64 v[187:188], v[6:7], v[173:174], -v[175:176]
	ds_load_b128 v[6:9], v1 offset:1632
	scratch_load_b128 v[173:176], off, off offset:768
	s_wait_loadcnt_dscnt 0x901
	v_mul_f64_e32 v[181:182], v[2:3], v[40:41]
	v_mul_f64_e32 v[40:41], v[4:5], v[40:41]
	v_add_f64_e32 v[177:178], v[177:178], v[189:190]
	v_add_f64_e32 v[179:180], v[179:180], v[183:184]
	s_wait_loadcnt_dscnt 0x800
	v_mul_f64_e32 v[183:184], v[6:7], v[171:172]
	v_mul_f64_e32 v[171:172], v[8:9], v[171:172]
	v_fma_f64 v[181:182], v[4:5], v[38:39], v[181:182]
	v_fma_f64 v[189:190], v[2:3], v[38:39], -v[40:41]
	ds_load_b128 v[2:5], v1 offset:1648
	scratch_load_b128 v[38:41], off, off offset:784
	v_add_f64_e32 v[177:178], v[177:178], v[187:188]
	v_add_f64_e32 v[179:180], v[179:180], v[185:186]
	v_fma_f64 v[183:184], v[8:9], v[169:170], v[183:184]
	v_fma_f64 v[187:188], v[6:7], v[169:170], -v[171:172]
	ds_load_b128 v[6:9], v1 offset:1664
	s_wait_loadcnt_dscnt 0x801
	v_mul_f64_e32 v[185:186], v[2:3], v[12:13]
	v_mul_f64_e32 v[12:13], v[4:5], v[12:13]
	scratch_load_b128 v[169:172], off, off offset:800
	v_add_f64_e32 v[177:178], v[177:178], v[189:190]
	v_add_f64_e32 v[179:180], v[179:180], v[181:182]
	s_wait_loadcnt_dscnt 0x800
	v_mul_f64_e32 v[181:182], v[6:7], v[16:17]
	v_mul_f64_e32 v[16:17], v[8:9], v[16:17]
	v_fma_f64 v[185:186], v[4:5], v[10:11], v[185:186]
	v_fma_f64 v[189:190], v[2:3], v[10:11], -v[12:13]
	ds_load_b128 v[2:5], v1 offset:1680
	scratch_load_b128 v[10:13], off, off offset:816
	v_add_f64_e32 v[177:178], v[177:178], v[187:188]
	v_add_f64_e32 v[179:180], v[179:180], v[183:184]
	v_fma_f64 v[181:182], v[8:9], v[14:15], v[181:182]
	v_fma_f64 v[187:188], v[6:7], v[14:15], -v[16:17]
	ds_load_b128 v[6:9], v1 offset:1696
	s_wait_loadcnt_dscnt 0x801
	v_mul_f64_e32 v[183:184], v[2:3], v[20:21]
	v_mul_f64_e32 v[20:21], v[4:5], v[20:21]
	scratch_load_b128 v[14:17], off, off offset:832
	;; [unrolled: 18-line block ×7, first 2 shown]
	v_add_f64_e32 v[177:178], v[177:178], v[189:190]
	v_add_f64_e32 v[179:180], v[179:180], v[181:182]
	s_wait_loadcnt_dscnt 0x800
	v_mul_f64_e32 v[181:182], v[6:7], v[24:25]
	v_mul_f64_e32 v[24:25], v[8:9], v[24:25]
	v_fma_f64 v[185:186], v[4:5], v[18:19], v[185:186]
	v_fma_f64 v[189:190], v[2:3], v[18:19], -v[20:21]
	ds_load_b128 v[2:5], v1 offset:1872
	scratch_load_b128 v[18:21], off, off offset:1008
	v_add_f64_e32 v[177:178], v[177:178], v[187:188]
	v_add_f64_e32 v[179:180], v[179:180], v[183:184]
	v_fma_f64 v[181:182], v[8:9], v[22:23], v[181:182]
	v_fma_f64 v[22:23], v[6:7], v[22:23], -v[24:25]
	ds_load_b128 v[6:9], v1 offset:1888
	s_wait_loadcnt_dscnt 0x801
	v_mul_f64_e32 v[183:184], v[2:3], v[28:29]
	v_mul_f64_e32 v[28:29], v[4:5], v[28:29]
	v_add_f64_e32 v[24:25], v[177:178], v[189:190]
	v_add_f64_e32 v[177:178], v[179:180], v[185:186]
	s_wait_loadcnt_dscnt 0x700
	v_mul_f64_e32 v[179:180], v[6:7], v[32:33]
	v_mul_f64_e32 v[32:33], v[8:9], v[32:33]
	v_fma_f64 v[183:184], v[4:5], v[26:27], v[183:184]
	v_fma_f64 v[26:27], v[2:3], v[26:27], -v[28:29]
	ds_load_b128 v[2:5], v1 offset:1904
	v_add_f64_e32 v[22:23], v[24:25], v[22:23]
	v_add_f64_e32 v[24:25], v[177:178], v[181:182]
	v_fma_f64 v[177:178], v[8:9], v[30:31], v[179:180]
	v_fma_f64 v[30:31], v[6:7], v[30:31], -v[32:33]
	ds_load_b128 v[6:9], v1 offset:1920
	s_wait_loadcnt_dscnt 0x500
	v_mul_f64_e32 v[179:180], v[6:7], v[175:176]
	v_mul_f64_e32 v[175:176], v[8:9], v[175:176]
	v_add_f64_e32 v[26:27], v[22:23], v[26:27]
	v_add_f64_e32 v[32:33], v[24:25], v[183:184]
	scratch_load_b128 v[22:25], off, off offset:448
	v_mul_f64_e32 v[28:29], v[2:3], v[36:37]
	v_mul_f64_e32 v[36:37], v[4:5], v[36:37]
	v_add_f64_e32 v[26:27], v[26:27], v[30:31]
	v_add_f64_e32 v[30:31], v[32:33], v[177:178]
	s_delay_alu instid0(VALU_DEP_4) | instskip(NEXT) | instid1(VALU_DEP_4)
	v_fma_f64 v[28:29], v[4:5], v[34:35], v[28:29]
	v_fma_f64 v[34:35], v[2:3], v[34:35], -v[36:37]
	ds_load_b128 v[2:5], v1 offset:1936
	s_wait_loadcnt_dscnt 0x500
	v_mul_f64_e32 v[32:33], v[2:3], v[40:41]
	v_mul_f64_e32 v[36:37], v[4:5], v[40:41]
	v_fma_f64 v[40:41], v[8:9], v[173:174], v[179:180]
	v_fma_f64 v[173:174], v[6:7], v[173:174], -v[175:176]
	ds_load_b128 v[6:9], v1 offset:1952
	v_add_f64_e32 v[28:29], v[30:31], v[28:29]
	v_add_f64_e32 v[26:27], v[26:27], v[34:35]
	v_fma_f64 v[32:33], v[4:5], v[38:39], v[32:33]
	v_fma_f64 v[36:37], v[2:3], v[38:39], -v[36:37]
	ds_load_b128 v[2:5], v1 offset:1968
	s_wait_loadcnt_dscnt 0x401
	v_mul_f64_e32 v[30:31], v[6:7], v[171:172]
	v_mul_f64_e32 v[34:35], v[8:9], v[171:172]
	v_add_f64_e32 v[28:29], v[28:29], v[40:41]
	v_add_f64_e32 v[26:27], v[26:27], v[173:174]
	s_wait_loadcnt_dscnt 0x300
	v_mul_f64_e32 v[38:39], v[2:3], v[12:13]
	v_mul_f64_e32 v[12:13], v[4:5], v[12:13]
	v_fma_f64 v[30:31], v[8:9], v[169:170], v[30:31]
	v_fma_f64 v[34:35], v[6:7], v[169:170], -v[34:35]
	ds_load_b128 v[6:9], v1 offset:1984
	v_add_f64_e32 v[28:29], v[28:29], v[32:33]
	v_add_f64_e32 v[26:27], v[26:27], v[36:37]
	v_fma_f64 v[36:37], v[4:5], v[10:11], v[38:39]
	v_fma_f64 v[10:11], v[2:3], v[10:11], -v[12:13]
	ds_load_b128 v[2:5], v1 offset:2000
	s_wait_loadcnt_dscnt 0x201
	v_mul_f64_e32 v[32:33], v[6:7], v[16:17]
	v_mul_f64_e32 v[16:17], v[8:9], v[16:17]
	v_add_f64_e32 v[12:13], v[26:27], v[34:35]
	v_add_f64_e32 v[26:27], v[28:29], v[30:31]
	s_wait_loadcnt_dscnt 0x100
	v_mul_f64_e32 v[28:29], v[2:3], v[20:21]
	v_mul_f64_e32 v[20:21], v[4:5], v[20:21]
	v_fma_f64 v[8:9], v[8:9], v[14:15], v[32:33]
	v_fma_f64 v[6:7], v[6:7], v[14:15], -v[16:17]
	v_add_f64_e32 v[10:11], v[12:13], v[10:11]
	v_add_f64_e32 v[12:13], v[26:27], v[36:37]
	v_fma_f64 v[4:5], v[4:5], v[18:19], v[28:29]
	v_fma_f64 v[2:3], v[2:3], v[18:19], -v[20:21]
	s_delay_alu instid0(VALU_DEP_4) | instskip(NEXT) | instid1(VALU_DEP_4)
	v_add_f64_e32 v[6:7], v[10:11], v[6:7]
	v_add_f64_e32 v[8:9], v[12:13], v[8:9]
	s_delay_alu instid0(VALU_DEP_2) | instskip(NEXT) | instid1(VALU_DEP_2)
	v_add_f64_e32 v[2:3], v[6:7], v[2:3]
	v_add_f64_e32 v[4:5], v[8:9], v[4:5]
	s_wait_loadcnt 0x0
	s_delay_alu instid0(VALU_DEP_2) | instskip(NEXT) | instid1(VALU_DEP_2)
	v_add_f64_e64 v[2:3], v[22:23], -v[2:3]
	v_add_f64_e64 v[4:5], v[24:25], -v[4:5]
	scratch_store_b128 off, v[2:5], off offset:448
	v_cmpx_lt_u32_e32 26, v0
	s_cbranch_execz .LBB62_351
; %bb.350:
	scratch_load_b128 v[5:8], off, s49
	v_dual_mov_b32 v2, v1 :: v_dual_mov_b32 v3, v1
	v_mov_b32_e32 v4, v1
	scratch_store_b128 off, v[1:4], off offset:432
	s_wait_loadcnt 0x0
	ds_store_b128 v168, v[5:8]
.LBB62_351:
	s_wait_alu 0xfffe
	s_or_b32 exec_lo, exec_lo, s0
	s_wait_storecnt_dscnt 0x0
	s_barrier_signal -1
	s_barrier_wait -1
	global_inv scope:SCOPE_SE
	s_clause 0x7
	scratch_load_b128 v[2:5], off, off offset:448
	scratch_load_b128 v[6:9], off, off offset:464
	;; [unrolled: 1-line block ×8, first 2 shown]
	ds_load_b128 v[38:41], v1 offset:1440
	ds_load_b128 v[169:172], v1 offset:1456
	s_clause 0x1
	scratch_load_b128 v[34:37], off, off offset:576
	scratch_load_b128 v[173:176], off, off offset:592
	s_mov_b32 s0, exec_lo
	s_wait_loadcnt_dscnt 0x901
	v_mul_f64_e32 v[177:178], v[40:41], v[4:5]
	v_mul_f64_e32 v[4:5], v[38:39], v[4:5]
	s_wait_loadcnt_dscnt 0x800
	v_mul_f64_e32 v[179:180], v[169:170], v[8:9]
	v_mul_f64_e32 v[8:9], v[171:172], v[8:9]
	s_delay_alu instid0(VALU_DEP_4) | instskip(NEXT) | instid1(VALU_DEP_4)
	v_fma_f64 v[177:178], v[38:39], v[2:3], -v[177:178]
	v_fma_f64 v[181:182], v[40:41], v[2:3], v[4:5]
	ds_load_b128 v[2:5], v1 offset:1472
	scratch_load_b128 v[38:41], off, off offset:608
	v_fma_f64 v[179:180], v[171:172], v[6:7], v[179:180]
	v_fma_f64 v[185:186], v[169:170], v[6:7], -v[8:9]
	ds_load_b128 v[6:9], v1 offset:1488
	scratch_load_b128 v[169:172], off, off offset:624
	s_wait_loadcnt_dscnt 0x901
	v_mul_f64_e32 v[183:184], v[2:3], v[12:13]
	v_mul_f64_e32 v[12:13], v[4:5], v[12:13]
	s_wait_loadcnt_dscnt 0x800
	v_mul_f64_e32 v[187:188], v[6:7], v[16:17]
	v_mul_f64_e32 v[16:17], v[8:9], v[16:17]
	v_add_f64_e32 v[177:178], 0, v[177:178]
	v_add_f64_e32 v[181:182], 0, v[181:182]
	v_fma_f64 v[183:184], v[4:5], v[10:11], v[183:184]
	v_fma_f64 v[189:190], v[2:3], v[10:11], -v[12:13]
	ds_load_b128 v[2:5], v1 offset:1504
	scratch_load_b128 v[10:13], off, off offset:640
	v_add_f64_e32 v[177:178], v[177:178], v[185:186]
	v_add_f64_e32 v[179:180], v[181:182], v[179:180]
	v_fma_f64 v[185:186], v[8:9], v[14:15], v[187:188]
	v_fma_f64 v[187:188], v[6:7], v[14:15], -v[16:17]
	ds_load_b128 v[6:9], v1 offset:1520
	scratch_load_b128 v[14:17], off, off offset:656
	s_wait_loadcnt_dscnt 0x901
	v_mul_f64_e32 v[181:182], v[2:3], v[20:21]
	v_mul_f64_e32 v[20:21], v[4:5], v[20:21]
	v_add_f64_e32 v[177:178], v[177:178], v[189:190]
	v_add_f64_e32 v[179:180], v[179:180], v[183:184]
	s_wait_loadcnt_dscnt 0x800
	v_mul_f64_e32 v[183:184], v[6:7], v[24:25]
	v_mul_f64_e32 v[24:25], v[8:9], v[24:25]
	v_fma_f64 v[181:182], v[4:5], v[18:19], v[181:182]
	v_fma_f64 v[189:190], v[2:3], v[18:19], -v[20:21]
	ds_load_b128 v[2:5], v1 offset:1536
	scratch_load_b128 v[18:21], off, off offset:672
	v_add_f64_e32 v[177:178], v[177:178], v[187:188]
	v_add_f64_e32 v[179:180], v[179:180], v[185:186]
	v_fma_f64 v[183:184], v[8:9], v[22:23], v[183:184]
	v_fma_f64 v[187:188], v[6:7], v[22:23], -v[24:25]
	ds_load_b128 v[6:9], v1 offset:1552
	s_wait_loadcnt_dscnt 0x801
	v_mul_f64_e32 v[185:186], v[2:3], v[28:29]
	v_mul_f64_e32 v[28:29], v[4:5], v[28:29]
	scratch_load_b128 v[22:25], off, off offset:688
	v_add_f64_e32 v[177:178], v[177:178], v[189:190]
	v_add_f64_e32 v[179:180], v[179:180], v[181:182]
	s_wait_loadcnt_dscnt 0x800
	v_mul_f64_e32 v[181:182], v[6:7], v[32:33]
	v_mul_f64_e32 v[32:33], v[8:9], v[32:33]
	v_fma_f64 v[185:186], v[4:5], v[26:27], v[185:186]
	v_fma_f64 v[189:190], v[2:3], v[26:27], -v[28:29]
	ds_load_b128 v[2:5], v1 offset:1568
	scratch_load_b128 v[26:29], off, off offset:704
	v_add_f64_e32 v[177:178], v[177:178], v[187:188]
	v_add_f64_e32 v[179:180], v[179:180], v[183:184]
	v_fma_f64 v[181:182], v[8:9], v[30:31], v[181:182]
	v_fma_f64 v[187:188], v[6:7], v[30:31], -v[32:33]
	ds_load_b128 v[6:9], v1 offset:1584
	s_wait_loadcnt_dscnt 0x801
	v_mul_f64_e32 v[183:184], v[2:3], v[36:37]
	v_mul_f64_e32 v[36:37], v[4:5], v[36:37]
	scratch_load_b128 v[30:33], off, off offset:720
	v_add_f64_e32 v[177:178], v[177:178], v[189:190]
	v_add_f64_e32 v[179:180], v[179:180], v[185:186]
	s_wait_loadcnt_dscnt 0x800
	v_mul_f64_e32 v[185:186], v[6:7], v[175:176]
	v_mul_f64_e32 v[175:176], v[8:9], v[175:176]
	v_fma_f64 v[183:184], v[4:5], v[34:35], v[183:184]
	v_fma_f64 v[189:190], v[2:3], v[34:35], -v[36:37]
	ds_load_b128 v[2:5], v1 offset:1600
	scratch_load_b128 v[34:37], off, off offset:736
	v_add_f64_e32 v[177:178], v[177:178], v[187:188]
	v_add_f64_e32 v[179:180], v[179:180], v[181:182]
	v_fma_f64 v[185:186], v[8:9], v[173:174], v[185:186]
	v_fma_f64 v[187:188], v[6:7], v[173:174], -v[175:176]
	ds_load_b128 v[6:9], v1 offset:1616
	scratch_load_b128 v[173:176], off, off offset:752
	s_wait_loadcnt_dscnt 0x901
	v_mul_f64_e32 v[181:182], v[2:3], v[40:41]
	v_mul_f64_e32 v[40:41], v[4:5], v[40:41]
	v_add_f64_e32 v[177:178], v[177:178], v[189:190]
	v_add_f64_e32 v[179:180], v[179:180], v[183:184]
	s_wait_loadcnt_dscnt 0x800
	v_mul_f64_e32 v[183:184], v[6:7], v[171:172]
	v_mul_f64_e32 v[171:172], v[8:9], v[171:172]
	v_fma_f64 v[181:182], v[4:5], v[38:39], v[181:182]
	v_fma_f64 v[189:190], v[2:3], v[38:39], -v[40:41]
	ds_load_b128 v[2:5], v1 offset:1632
	scratch_load_b128 v[38:41], off, off offset:768
	v_add_f64_e32 v[177:178], v[177:178], v[187:188]
	v_add_f64_e32 v[179:180], v[179:180], v[185:186]
	v_fma_f64 v[183:184], v[8:9], v[169:170], v[183:184]
	v_fma_f64 v[187:188], v[6:7], v[169:170], -v[171:172]
	ds_load_b128 v[6:9], v1 offset:1648
	s_wait_loadcnt_dscnt 0x801
	v_mul_f64_e32 v[185:186], v[2:3], v[12:13]
	v_mul_f64_e32 v[12:13], v[4:5], v[12:13]
	scratch_load_b128 v[169:172], off, off offset:784
	v_add_f64_e32 v[177:178], v[177:178], v[189:190]
	v_add_f64_e32 v[179:180], v[179:180], v[181:182]
	s_wait_loadcnt_dscnt 0x800
	v_mul_f64_e32 v[181:182], v[6:7], v[16:17]
	v_mul_f64_e32 v[16:17], v[8:9], v[16:17]
	v_fma_f64 v[185:186], v[4:5], v[10:11], v[185:186]
	v_fma_f64 v[189:190], v[2:3], v[10:11], -v[12:13]
	ds_load_b128 v[2:5], v1 offset:1664
	scratch_load_b128 v[10:13], off, off offset:800
	v_add_f64_e32 v[177:178], v[177:178], v[187:188]
	v_add_f64_e32 v[179:180], v[179:180], v[183:184]
	v_fma_f64 v[181:182], v[8:9], v[14:15], v[181:182]
	v_fma_f64 v[187:188], v[6:7], v[14:15], -v[16:17]
	ds_load_b128 v[6:9], v1 offset:1680
	s_wait_loadcnt_dscnt 0x801
	v_mul_f64_e32 v[183:184], v[2:3], v[20:21]
	v_mul_f64_e32 v[20:21], v[4:5], v[20:21]
	scratch_load_b128 v[14:17], off, off offset:816
	;; [unrolled: 18-line block ×8, first 2 shown]
	v_add_f64_e32 v[177:178], v[177:178], v[189:190]
	v_add_f64_e32 v[179:180], v[179:180], v[185:186]
	s_wait_loadcnt_dscnt 0x800
	v_mul_f64_e32 v[185:186], v[6:7], v[32:33]
	v_mul_f64_e32 v[32:33], v[8:9], v[32:33]
	v_fma_f64 v[183:184], v[4:5], v[26:27], v[183:184]
	v_fma_f64 v[26:27], v[2:3], v[26:27], -v[28:29]
	ds_load_b128 v[2:5], v1 offset:1888
	v_add_f64_e32 v[28:29], v[177:178], v[187:188]
	v_add_f64_e32 v[177:178], v[179:180], v[181:182]
	v_fma_f64 v[181:182], v[8:9], v[30:31], v[185:186]
	v_fma_f64 v[30:31], v[6:7], v[30:31], -v[32:33]
	ds_load_b128 v[6:9], v1 offset:1904
	s_wait_loadcnt_dscnt 0x701
	v_mul_f64_e32 v[179:180], v[2:3], v[36:37]
	v_mul_f64_e32 v[36:37], v[4:5], v[36:37]
	v_add_f64_e32 v[26:27], v[28:29], v[26:27]
	v_add_f64_e32 v[28:29], v[177:178], v[183:184]
	s_delay_alu instid0(VALU_DEP_4) | instskip(NEXT) | instid1(VALU_DEP_4)
	v_fma_f64 v[177:178], v[4:5], v[34:35], v[179:180]
	v_fma_f64 v[34:35], v[2:3], v[34:35], -v[36:37]
	ds_load_b128 v[2:5], v1 offset:1920
	v_add_f64_e32 v[30:31], v[26:27], v[30:31]
	v_add_f64_e32 v[36:37], v[28:29], v[181:182]
	scratch_load_b128 v[26:29], off, off offset:432
	s_wait_loadcnt_dscnt 0x701
	v_mul_f64_e32 v[32:33], v[6:7], v[175:176]
	v_mul_f64_e32 v[175:176], v[8:9], v[175:176]
	v_add_f64_e32 v[30:31], v[30:31], v[34:35]
	v_add_f64_e32 v[34:35], v[36:37], v[177:178]
	s_delay_alu instid0(VALU_DEP_4) | instskip(NEXT) | instid1(VALU_DEP_4)
	v_fma_f64 v[32:33], v[8:9], v[173:174], v[32:33]
	v_fma_f64 v[173:174], v[6:7], v[173:174], -v[175:176]
	ds_load_b128 v[6:9], v1 offset:1936
	s_wait_loadcnt_dscnt 0x601
	v_mul_f64_e32 v[179:180], v[2:3], v[40:41]
	v_mul_f64_e32 v[40:41], v[4:5], v[40:41]
	s_wait_loadcnt_dscnt 0x500
	v_mul_f64_e32 v[36:37], v[6:7], v[171:172]
	v_mul_f64_e32 v[171:172], v[8:9], v[171:172]
	v_add_f64_e32 v[32:33], v[34:35], v[32:33]
	v_add_f64_e32 v[30:31], v[30:31], v[173:174]
	v_fma_f64 v[175:176], v[4:5], v[38:39], v[179:180]
	v_fma_f64 v[38:39], v[2:3], v[38:39], -v[40:41]
	ds_load_b128 v[2:5], v1 offset:1952
	v_fma_f64 v[36:37], v[8:9], v[169:170], v[36:37]
	v_fma_f64 v[40:41], v[6:7], v[169:170], -v[171:172]
	ds_load_b128 v[6:9], v1 offset:1968
	s_wait_loadcnt_dscnt 0x401
	v_mul_f64_e32 v[34:35], v[2:3], v[12:13]
	v_mul_f64_e32 v[12:13], v[4:5], v[12:13]
	v_add_f64_e32 v[32:33], v[32:33], v[175:176]
	v_add_f64_e32 v[30:31], v[30:31], v[38:39]
	s_wait_loadcnt_dscnt 0x300
	v_mul_f64_e32 v[38:39], v[6:7], v[16:17]
	v_mul_f64_e32 v[16:17], v[8:9], v[16:17]
	v_fma_f64 v[34:35], v[4:5], v[10:11], v[34:35]
	v_fma_f64 v[10:11], v[2:3], v[10:11], -v[12:13]
	ds_load_b128 v[2:5], v1 offset:1984
	v_add_f64_e32 v[12:13], v[30:31], v[40:41]
	v_add_f64_e32 v[30:31], v[32:33], v[36:37]
	v_fma_f64 v[36:37], v[8:9], v[14:15], v[38:39]
	v_fma_f64 v[14:15], v[6:7], v[14:15], -v[16:17]
	ds_load_b128 v[6:9], v1 offset:2000
	s_wait_loadcnt_dscnt 0x201
	v_mul_f64_e32 v[32:33], v[2:3], v[20:21]
	v_mul_f64_e32 v[20:21], v[4:5], v[20:21]
	s_wait_loadcnt_dscnt 0x100
	v_mul_f64_e32 v[16:17], v[6:7], v[24:25]
	v_mul_f64_e32 v[24:25], v[8:9], v[24:25]
	v_add_f64_e32 v[10:11], v[12:13], v[10:11]
	v_add_f64_e32 v[12:13], v[30:31], v[34:35]
	v_fma_f64 v[4:5], v[4:5], v[18:19], v[32:33]
	v_fma_f64 v[1:2], v[2:3], v[18:19], -v[20:21]
	v_fma_f64 v[8:9], v[8:9], v[22:23], v[16:17]
	v_fma_f64 v[6:7], v[6:7], v[22:23], -v[24:25]
	v_add_f64_e32 v[10:11], v[10:11], v[14:15]
	v_add_f64_e32 v[12:13], v[12:13], v[36:37]
	s_delay_alu instid0(VALU_DEP_2) | instskip(NEXT) | instid1(VALU_DEP_2)
	v_add_f64_e32 v[1:2], v[10:11], v[1:2]
	v_add_f64_e32 v[3:4], v[12:13], v[4:5]
	s_delay_alu instid0(VALU_DEP_2) | instskip(NEXT) | instid1(VALU_DEP_2)
	v_add_f64_e32 v[1:2], v[1:2], v[6:7]
	v_add_f64_e32 v[3:4], v[3:4], v[8:9]
	s_wait_loadcnt 0x0
	s_delay_alu instid0(VALU_DEP_2) | instskip(NEXT) | instid1(VALU_DEP_2)
	v_add_f64_e64 v[1:2], v[26:27], -v[1:2]
	v_add_f64_e64 v[3:4], v[28:29], -v[3:4]
	scratch_store_b128 off, v[1:4], off offset:432
	v_cmpx_lt_u32_e32 25, v0
	s_cbranch_execz .LBB62_353
; %bb.352:
	scratch_load_b128 v[1:4], off, s48
	v_mov_b32_e32 v5, 0
	s_delay_alu instid0(VALU_DEP_1)
	v_dual_mov_b32 v6, v5 :: v_dual_mov_b32 v7, v5
	v_mov_b32_e32 v8, v5
	scratch_store_b128 off, v[5:8], off offset:416
	s_wait_loadcnt 0x0
	ds_store_b128 v168, v[1:4]
.LBB62_353:
	s_wait_alu 0xfffe
	s_or_b32 exec_lo, exec_lo, s0
	s_wait_storecnt_dscnt 0x0
	s_barrier_signal -1
	s_barrier_wait -1
	global_inv scope:SCOPE_SE
	s_clause 0x7
	scratch_load_b128 v[2:5], off, off offset:432
	scratch_load_b128 v[6:9], off, off offset:448
	scratch_load_b128 v[10:13], off, off offset:464
	scratch_load_b128 v[14:17], off, off offset:480
	scratch_load_b128 v[18:21], off, off offset:496
	scratch_load_b128 v[22:25], off, off offset:512
	scratch_load_b128 v[26:29], off, off offset:528
	scratch_load_b128 v[30:33], off, off offset:544
	v_mov_b32_e32 v1, 0
	s_clause 0x1
	scratch_load_b128 v[34:37], off, off offset:560
	scratch_load_b128 v[173:176], off, off offset:576
	s_mov_b32 s0, exec_lo
	ds_load_b128 v[38:41], v1 offset:1424
	ds_load_b128 v[169:172], v1 offset:1440
	s_wait_loadcnt_dscnt 0x901
	v_mul_f64_e32 v[177:178], v[40:41], v[4:5]
	v_mul_f64_e32 v[4:5], v[38:39], v[4:5]
	s_wait_loadcnt_dscnt 0x800
	v_mul_f64_e32 v[179:180], v[169:170], v[8:9]
	v_mul_f64_e32 v[8:9], v[171:172], v[8:9]
	s_delay_alu instid0(VALU_DEP_4) | instskip(NEXT) | instid1(VALU_DEP_4)
	v_fma_f64 v[177:178], v[38:39], v[2:3], -v[177:178]
	v_fma_f64 v[181:182], v[40:41], v[2:3], v[4:5]
	ds_load_b128 v[2:5], v1 offset:1456
	scratch_load_b128 v[38:41], off, off offset:592
	v_fma_f64 v[179:180], v[171:172], v[6:7], v[179:180]
	v_fma_f64 v[185:186], v[169:170], v[6:7], -v[8:9]
	ds_load_b128 v[6:9], v1 offset:1472
	scratch_load_b128 v[169:172], off, off offset:608
	s_wait_loadcnt_dscnt 0x901
	v_mul_f64_e32 v[183:184], v[2:3], v[12:13]
	v_mul_f64_e32 v[12:13], v[4:5], v[12:13]
	s_wait_loadcnt_dscnt 0x800
	v_mul_f64_e32 v[187:188], v[6:7], v[16:17]
	v_mul_f64_e32 v[16:17], v[8:9], v[16:17]
	v_add_f64_e32 v[177:178], 0, v[177:178]
	v_add_f64_e32 v[181:182], 0, v[181:182]
	v_fma_f64 v[183:184], v[4:5], v[10:11], v[183:184]
	v_fma_f64 v[189:190], v[2:3], v[10:11], -v[12:13]
	ds_load_b128 v[2:5], v1 offset:1488
	scratch_load_b128 v[10:13], off, off offset:624
	v_add_f64_e32 v[177:178], v[177:178], v[185:186]
	v_add_f64_e32 v[179:180], v[181:182], v[179:180]
	v_fma_f64 v[185:186], v[8:9], v[14:15], v[187:188]
	v_fma_f64 v[187:188], v[6:7], v[14:15], -v[16:17]
	ds_load_b128 v[6:9], v1 offset:1504
	scratch_load_b128 v[14:17], off, off offset:640
	s_wait_loadcnt_dscnt 0x901
	v_mul_f64_e32 v[181:182], v[2:3], v[20:21]
	v_mul_f64_e32 v[20:21], v[4:5], v[20:21]
	v_add_f64_e32 v[177:178], v[177:178], v[189:190]
	v_add_f64_e32 v[179:180], v[179:180], v[183:184]
	s_wait_loadcnt_dscnt 0x800
	v_mul_f64_e32 v[183:184], v[6:7], v[24:25]
	v_mul_f64_e32 v[24:25], v[8:9], v[24:25]
	v_fma_f64 v[181:182], v[4:5], v[18:19], v[181:182]
	v_fma_f64 v[189:190], v[2:3], v[18:19], -v[20:21]
	ds_load_b128 v[2:5], v1 offset:1520
	scratch_load_b128 v[18:21], off, off offset:656
	v_add_f64_e32 v[177:178], v[177:178], v[187:188]
	v_add_f64_e32 v[179:180], v[179:180], v[185:186]
	v_fma_f64 v[183:184], v[8:9], v[22:23], v[183:184]
	v_fma_f64 v[187:188], v[6:7], v[22:23], -v[24:25]
	ds_load_b128 v[6:9], v1 offset:1536
	s_wait_loadcnt_dscnt 0x801
	v_mul_f64_e32 v[185:186], v[2:3], v[28:29]
	v_mul_f64_e32 v[28:29], v[4:5], v[28:29]
	scratch_load_b128 v[22:25], off, off offset:672
	v_add_f64_e32 v[177:178], v[177:178], v[189:190]
	v_add_f64_e32 v[179:180], v[179:180], v[181:182]
	s_wait_loadcnt_dscnt 0x800
	v_mul_f64_e32 v[181:182], v[6:7], v[32:33]
	v_mul_f64_e32 v[32:33], v[8:9], v[32:33]
	v_fma_f64 v[185:186], v[4:5], v[26:27], v[185:186]
	v_fma_f64 v[189:190], v[2:3], v[26:27], -v[28:29]
	ds_load_b128 v[2:5], v1 offset:1552
	scratch_load_b128 v[26:29], off, off offset:688
	v_add_f64_e32 v[177:178], v[177:178], v[187:188]
	v_add_f64_e32 v[179:180], v[179:180], v[183:184]
	v_fma_f64 v[181:182], v[8:9], v[30:31], v[181:182]
	v_fma_f64 v[187:188], v[6:7], v[30:31], -v[32:33]
	ds_load_b128 v[6:9], v1 offset:1568
	s_wait_loadcnt_dscnt 0x801
	v_mul_f64_e32 v[183:184], v[2:3], v[36:37]
	v_mul_f64_e32 v[36:37], v[4:5], v[36:37]
	scratch_load_b128 v[30:33], off, off offset:704
	v_add_f64_e32 v[177:178], v[177:178], v[189:190]
	v_add_f64_e32 v[179:180], v[179:180], v[185:186]
	s_wait_loadcnt_dscnt 0x800
	v_mul_f64_e32 v[185:186], v[6:7], v[175:176]
	v_mul_f64_e32 v[175:176], v[8:9], v[175:176]
	v_fma_f64 v[183:184], v[4:5], v[34:35], v[183:184]
	v_fma_f64 v[189:190], v[2:3], v[34:35], -v[36:37]
	ds_load_b128 v[2:5], v1 offset:1584
	scratch_load_b128 v[34:37], off, off offset:720
	v_add_f64_e32 v[177:178], v[177:178], v[187:188]
	v_add_f64_e32 v[179:180], v[179:180], v[181:182]
	v_fma_f64 v[185:186], v[8:9], v[173:174], v[185:186]
	v_fma_f64 v[187:188], v[6:7], v[173:174], -v[175:176]
	ds_load_b128 v[6:9], v1 offset:1600
	scratch_load_b128 v[173:176], off, off offset:736
	s_wait_loadcnt_dscnt 0x901
	v_mul_f64_e32 v[181:182], v[2:3], v[40:41]
	v_mul_f64_e32 v[40:41], v[4:5], v[40:41]
	v_add_f64_e32 v[177:178], v[177:178], v[189:190]
	v_add_f64_e32 v[179:180], v[179:180], v[183:184]
	s_wait_loadcnt_dscnt 0x800
	v_mul_f64_e32 v[183:184], v[6:7], v[171:172]
	v_mul_f64_e32 v[171:172], v[8:9], v[171:172]
	v_fma_f64 v[181:182], v[4:5], v[38:39], v[181:182]
	v_fma_f64 v[189:190], v[2:3], v[38:39], -v[40:41]
	ds_load_b128 v[2:5], v1 offset:1616
	scratch_load_b128 v[38:41], off, off offset:752
	v_add_f64_e32 v[177:178], v[177:178], v[187:188]
	v_add_f64_e32 v[179:180], v[179:180], v[185:186]
	v_fma_f64 v[183:184], v[8:9], v[169:170], v[183:184]
	v_fma_f64 v[187:188], v[6:7], v[169:170], -v[171:172]
	ds_load_b128 v[6:9], v1 offset:1632
	s_wait_loadcnt_dscnt 0x801
	v_mul_f64_e32 v[185:186], v[2:3], v[12:13]
	v_mul_f64_e32 v[12:13], v[4:5], v[12:13]
	scratch_load_b128 v[169:172], off, off offset:768
	v_add_f64_e32 v[177:178], v[177:178], v[189:190]
	v_add_f64_e32 v[179:180], v[179:180], v[181:182]
	s_wait_loadcnt_dscnt 0x800
	v_mul_f64_e32 v[181:182], v[6:7], v[16:17]
	v_mul_f64_e32 v[16:17], v[8:9], v[16:17]
	v_fma_f64 v[185:186], v[4:5], v[10:11], v[185:186]
	v_fma_f64 v[189:190], v[2:3], v[10:11], -v[12:13]
	ds_load_b128 v[2:5], v1 offset:1648
	scratch_load_b128 v[10:13], off, off offset:784
	v_add_f64_e32 v[177:178], v[177:178], v[187:188]
	v_add_f64_e32 v[179:180], v[179:180], v[183:184]
	v_fma_f64 v[181:182], v[8:9], v[14:15], v[181:182]
	v_fma_f64 v[187:188], v[6:7], v[14:15], -v[16:17]
	ds_load_b128 v[6:9], v1 offset:1664
	s_wait_loadcnt_dscnt 0x801
	v_mul_f64_e32 v[183:184], v[2:3], v[20:21]
	v_mul_f64_e32 v[20:21], v[4:5], v[20:21]
	scratch_load_b128 v[14:17], off, off offset:800
	;; [unrolled: 18-line block ×8, first 2 shown]
	v_add_f64_e32 v[177:178], v[177:178], v[189:190]
	v_add_f64_e32 v[179:180], v[179:180], v[185:186]
	s_wait_loadcnt_dscnt 0x800
	v_mul_f64_e32 v[185:186], v[6:7], v[32:33]
	v_mul_f64_e32 v[32:33], v[8:9], v[32:33]
	v_fma_f64 v[183:184], v[4:5], v[26:27], v[183:184]
	v_fma_f64 v[189:190], v[2:3], v[26:27], -v[28:29]
	ds_load_b128 v[2:5], v1 offset:1872
	scratch_load_b128 v[26:29], off, off offset:1008
	v_add_f64_e32 v[177:178], v[177:178], v[187:188]
	v_add_f64_e32 v[179:180], v[179:180], v[181:182]
	v_fma_f64 v[185:186], v[8:9], v[30:31], v[185:186]
	v_fma_f64 v[30:31], v[6:7], v[30:31], -v[32:33]
	ds_load_b128 v[6:9], v1 offset:1888
	s_wait_loadcnt_dscnt 0x801
	v_mul_f64_e32 v[181:182], v[2:3], v[36:37]
	v_mul_f64_e32 v[36:37], v[4:5], v[36:37]
	v_add_f64_e32 v[32:33], v[177:178], v[189:190]
	v_add_f64_e32 v[177:178], v[179:180], v[183:184]
	s_wait_loadcnt_dscnt 0x700
	v_mul_f64_e32 v[179:180], v[6:7], v[175:176]
	v_mul_f64_e32 v[175:176], v[8:9], v[175:176]
	v_fma_f64 v[181:182], v[4:5], v[34:35], v[181:182]
	v_fma_f64 v[34:35], v[2:3], v[34:35], -v[36:37]
	ds_load_b128 v[2:5], v1 offset:1904
	v_add_f64_e32 v[30:31], v[32:33], v[30:31]
	v_add_f64_e32 v[32:33], v[177:178], v[185:186]
	v_fma_f64 v[177:178], v[8:9], v[173:174], v[179:180]
	v_fma_f64 v[173:174], v[6:7], v[173:174], -v[175:176]
	ds_load_b128 v[6:9], v1 offset:1920
	s_wait_loadcnt_dscnt 0x500
	v_mul_f64_e32 v[179:180], v[6:7], v[171:172]
	v_mul_f64_e32 v[171:172], v[8:9], v[171:172]
	v_add_f64_e32 v[34:35], v[30:31], v[34:35]
	v_add_f64_e32 v[175:176], v[32:33], v[181:182]
	scratch_load_b128 v[30:33], off, off offset:416
	v_mul_f64_e32 v[36:37], v[2:3], v[40:41]
	v_mul_f64_e32 v[40:41], v[4:5], v[40:41]
	v_add_f64_e32 v[34:35], v[34:35], v[173:174]
	s_delay_alu instid0(VALU_DEP_3) | instskip(NEXT) | instid1(VALU_DEP_3)
	v_fma_f64 v[36:37], v[4:5], v[38:39], v[36:37]
	v_fma_f64 v[38:39], v[2:3], v[38:39], -v[40:41]
	v_add_f64_e32 v[40:41], v[175:176], v[177:178]
	ds_load_b128 v[2:5], v1 offset:1936
	v_fma_f64 v[175:176], v[8:9], v[169:170], v[179:180]
	v_fma_f64 v[169:170], v[6:7], v[169:170], -v[171:172]
	ds_load_b128 v[6:9], v1 offset:1952
	s_wait_loadcnt_dscnt 0x501
	v_mul_f64_e32 v[173:174], v[2:3], v[12:13]
	v_mul_f64_e32 v[12:13], v[4:5], v[12:13]
	v_add_f64_e32 v[34:35], v[34:35], v[38:39]
	v_add_f64_e32 v[36:37], v[40:41], v[36:37]
	s_wait_loadcnt_dscnt 0x400
	v_mul_f64_e32 v[38:39], v[6:7], v[16:17]
	v_mul_f64_e32 v[16:17], v[8:9], v[16:17]
	v_fma_f64 v[40:41], v[4:5], v[10:11], v[173:174]
	v_fma_f64 v[10:11], v[2:3], v[10:11], -v[12:13]
	ds_load_b128 v[2:5], v1 offset:1968
	v_add_f64_e32 v[12:13], v[34:35], v[169:170]
	v_add_f64_e32 v[34:35], v[36:37], v[175:176]
	v_fma_f64 v[38:39], v[8:9], v[14:15], v[38:39]
	v_fma_f64 v[14:15], v[6:7], v[14:15], -v[16:17]
	ds_load_b128 v[6:9], v1 offset:1984
	s_wait_loadcnt_dscnt 0x301
	v_mul_f64_e32 v[36:37], v[2:3], v[20:21]
	v_mul_f64_e32 v[20:21], v[4:5], v[20:21]
	s_wait_loadcnt_dscnt 0x200
	v_mul_f64_e32 v[16:17], v[6:7], v[24:25]
	v_mul_f64_e32 v[24:25], v[8:9], v[24:25]
	v_add_f64_e32 v[10:11], v[12:13], v[10:11]
	v_add_f64_e32 v[12:13], v[34:35], v[40:41]
	v_fma_f64 v[34:35], v[4:5], v[18:19], v[36:37]
	v_fma_f64 v[18:19], v[2:3], v[18:19], -v[20:21]
	ds_load_b128 v[2:5], v1 offset:2000
	v_fma_f64 v[8:9], v[8:9], v[22:23], v[16:17]
	v_fma_f64 v[6:7], v[6:7], v[22:23], -v[24:25]
	s_wait_loadcnt_dscnt 0x100
	v_mul_f64_e32 v[20:21], v[4:5], v[28:29]
	v_add_f64_e32 v[10:11], v[10:11], v[14:15]
	v_add_f64_e32 v[12:13], v[12:13], v[38:39]
	v_mul_f64_e32 v[14:15], v[2:3], v[28:29]
	s_delay_alu instid0(VALU_DEP_4) | instskip(NEXT) | instid1(VALU_DEP_4)
	v_fma_f64 v[2:3], v[2:3], v[26:27], -v[20:21]
	v_add_f64_e32 v[10:11], v[10:11], v[18:19]
	s_delay_alu instid0(VALU_DEP_4) | instskip(NEXT) | instid1(VALU_DEP_4)
	v_add_f64_e32 v[12:13], v[12:13], v[34:35]
	v_fma_f64 v[4:5], v[4:5], v[26:27], v[14:15]
	s_delay_alu instid0(VALU_DEP_3) | instskip(NEXT) | instid1(VALU_DEP_3)
	v_add_f64_e32 v[6:7], v[10:11], v[6:7]
	v_add_f64_e32 v[8:9], v[12:13], v[8:9]
	s_delay_alu instid0(VALU_DEP_2) | instskip(NEXT) | instid1(VALU_DEP_2)
	v_add_f64_e32 v[2:3], v[6:7], v[2:3]
	v_add_f64_e32 v[4:5], v[8:9], v[4:5]
	s_wait_loadcnt 0x0
	s_delay_alu instid0(VALU_DEP_2) | instskip(NEXT) | instid1(VALU_DEP_2)
	v_add_f64_e64 v[2:3], v[30:31], -v[2:3]
	v_add_f64_e64 v[4:5], v[32:33], -v[4:5]
	scratch_store_b128 off, v[2:5], off offset:416
	v_cmpx_lt_u32_e32 24, v0
	s_cbranch_execz .LBB62_355
; %bb.354:
	scratch_load_b128 v[5:8], off, s50
	v_dual_mov_b32 v2, v1 :: v_dual_mov_b32 v3, v1
	v_mov_b32_e32 v4, v1
	scratch_store_b128 off, v[1:4], off offset:400
	s_wait_loadcnt 0x0
	ds_store_b128 v168, v[5:8]
.LBB62_355:
	s_wait_alu 0xfffe
	s_or_b32 exec_lo, exec_lo, s0
	s_wait_storecnt_dscnt 0x0
	s_barrier_signal -1
	s_barrier_wait -1
	global_inv scope:SCOPE_SE
	s_clause 0x7
	scratch_load_b128 v[2:5], off, off offset:416
	scratch_load_b128 v[6:9], off, off offset:432
	;; [unrolled: 1-line block ×8, first 2 shown]
	ds_load_b128 v[38:41], v1 offset:1408
	ds_load_b128 v[169:172], v1 offset:1424
	s_clause 0x1
	scratch_load_b128 v[34:37], off, off offset:544
	scratch_load_b128 v[173:176], off, off offset:560
	s_mov_b32 s0, exec_lo
	s_wait_loadcnt_dscnt 0x901
	v_mul_f64_e32 v[177:178], v[40:41], v[4:5]
	v_mul_f64_e32 v[4:5], v[38:39], v[4:5]
	s_wait_loadcnt_dscnt 0x800
	v_mul_f64_e32 v[179:180], v[169:170], v[8:9]
	v_mul_f64_e32 v[8:9], v[171:172], v[8:9]
	s_delay_alu instid0(VALU_DEP_4) | instskip(NEXT) | instid1(VALU_DEP_4)
	v_fma_f64 v[177:178], v[38:39], v[2:3], -v[177:178]
	v_fma_f64 v[181:182], v[40:41], v[2:3], v[4:5]
	ds_load_b128 v[2:5], v1 offset:1440
	scratch_load_b128 v[38:41], off, off offset:576
	v_fma_f64 v[179:180], v[171:172], v[6:7], v[179:180]
	v_fma_f64 v[185:186], v[169:170], v[6:7], -v[8:9]
	ds_load_b128 v[6:9], v1 offset:1456
	scratch_load_b128 v[169:172], off, off offset:592
	s_wait_loadcnt_dscnt 0x901
	v_mul_f64_e32 v[183:184], v[2:3], v[12:13]
	v_mul_f64_e32 v[12:13], v[4:5], v[12:13]
	s_wait_loadcnt_dscnt 0x800
	v_mul_f64_e32 v[187:188], v[6:7], v[16:17]
	v_mul_f64_e32 v[16:17], v[8:9], v[16:17]
	v_add_f64_e32 v[177:178], 0, v[177:178]
	v_add_f64_e32 v[181:182], 0, v[181:182]
	v_fma_f64 v[183:184], v[4:5], v[10:11], v[183:184]
	v_fma_f64 v[189:190], v[2:3], v[10:11], -v[12:13]
	ds_load_b128 v[2:5], v1 offset:1472
	scratch_load_b128 v[10:13], off, off offset:608
	v_add_f64_e32 v[177:178], v[177:178], v[185:186]
	v_add_f64_e32 v[179:180], v[181:182], v[179:180]
	v_fma_f64 v[185:186], v[8:9], v[14:15], v[187:188]
	v_fma_f64 v[187:188], v[6:7], v[14:15], -v[16:17]
	ds_load_b128 v[6:9], v1 offset:1488
	scratch_load_b128 v[14:17], off, off offset:624
	s_wait_loadcnt_dscnt 0x901
	v_mul_f64_e32 v[181:182], v[2:3], v[20:21]
	v_mul_f64_e32 v[20:21], v[4:5], v[20:21]
	v_add_f64_e32 v[177:178], v[177:178], v[189:190]
	v_add_f64_e32 v[179:180], v[179:180], v[183:184]
	s_wait_loadcnt_dscnt 0x800
	v_mul_f64_e32 v[183:184], v[6:7], v[24:25]
	v_mul_f64_e32 v[24:25], v[8:9], v[24:25]
	v_fma_f64 v[181:182], v[4:5], v[18:19], v[181:182]
	v_fma_f64 v[189:190], v[2:3], v[18:19], -v[20:21]
	ds_load_b128 v[2:5], v1 offset:1504
	scratch_load_b128 v[18:21], off, off offset:640
	v_add_f64_e32 v[177:178], v[177:178], v[187:188]
	v_add_f64_e32 v[179:180], v[179:180], v[185:186]
	v_fma_f64 v[183:184], v[8:9], v[22:23], v[183:184]
	v_fma_f64 v[187:188], v[6:7], v[22:23], -v[24:25]
	ds_load_b128 v[6:9], v1 offset:1520
	s_wait_loadcnt_dscnt 0x801
	v_mul_f64_e32 v[185:186], v[2:3], v[28:29]
	v_mul_f64_e32 v[28:29], v[4:5], v[28:29]
	scratch_load_b128 v[22:25], off, off offset:656
	v_add_f64_e32 v[177:178], v[177:178], v[189:190]
	v_add_f64_e32 v[179:180], v[179:180], v[181:182]
	s_wait_loadcnt_dscnt 0x800
	v_mul_f64_e32 v[181:182], v[6:7], v[32:33]
	v_mul_f64_e32 v[32:33], v[8:9], v[32:33]
	v_fma_f64 v[185:186], v[4:5], v[26:27], v[185:186]
	v_fma_f64 v[189:190], v[2:3], v[26:27], -v[28:29]
	ds_load_b128 v[2:5], v1 offset:1536
	scratch_load_b128 v[26:29], off, off offset:672
	v_add_f64_e32 v[177:178], v[177:178], v[187:188]
	v_add_f64_e32 v[179:180], v[179:180], v[183:184]
	v_fma_f64 v[181:182], v[8:9], v[30:31], v[181:182]
	v_fma_f64 v[187:188], v[6:7], v[30:31], -v[32:33]
	ds_load_b128 v[6:9], v1 offset:1552
	s_wait_loadcnt_dscnt 0x801
	v_mul_f64_e32 v[183:184], v[2:3], v[36:37]
	v_mul_f64_e32 v[36:37], v[4:5], v[36:37]
	scratch_load_b128 v[30:33], off, off offset:688
	v_add_f64_e32 v[177:178], v[177:178], v[189:190]
	v_add_f64_e32 v[179:180], v[179:180], v[185:186]
	s_wait_loadcnt_dscnt 0x800
	v_mul_f64_e32 v[185:186], v[6:7], v[175:176]
	v_mul_f64_e32 v[175:176], v[8:9], v[175:176]
	v_fma_f64 v[183:184], v[4:5], v[34:35], v[183:184]
	v_fma_f64 v[189:190], v[2:3], v[34:35], -v[36:37]
	ds_load_b128 v[2:5], v1 offset:1568
	scratch_load_b128 v[34:37], off, off offset:704
	v_add_f64_e32 v[177:178], v[177:178], v[187:188]
	v_add_f64_e32 v[179:180], v[179:180], v[181:182]
	v_fma_f64 v[185:186], v[8:9], v[173:174], v[185:186]
	v_fma_f64 v[187:188], v[6:7], v[173:174], -v[175:176]
	ds_load_b128 v[6:9], v1 offset:1584
	scratch_load_b128 v[173:176], off, off offset:720
	s_wait_loadcnt_dscnt 0x901
	v_mul_f64_e32 v[181:182], v[2:3], v[40:41]
	v_mul_f64_e32 v[40:41], v[4:5], v[40:41]
	v_add_f64_e32 v[177:178], v[177:178], v[189:190]
	v_add_f64_e32 v[179:180], v[179:180], v[183:184]
	s_wait_loadcnt_dscnt 0x800
	v_mul_f64_e32 v[183:184], v[6:7], v[171:172]
	v_mul_f64_e32 v[171:172], v[8:9], v[171:172]
	v_fma_f64 v[181:182], v[4:5], v[38:39], v[181:182]
	v_fma_f64 v[189:190], v[2:3], v[38:39], -v[40:41]
	ds_load_b128 v[2:5], v1 offset:1600
	scratch_load_b128 v[38:41], off, off offset:736
	v_add_f64_e32 v[177:178], v[177:178], v[187:188]
	v_add_f64_e32 v[179:180], v[179:180], v[185:186]
	v_fma_f64 v[183:184], v[8:9], v[169:170], v[183:184]
	v_fma_f64 v[187:188], v[6:7], v[169:170], -v[171:172]
	ds_load_b128 v[6:9], v1 offset:1616
	s_wait_loadcnt_dscnt 0x801
	v_mul_f64_e32 v[185:186], v[2:3], v[12:13]
	v_mul_f64_e32 v[12:13], v[4:5], v[12:13]
	scratch_load_b128 v[169:172], off, off offset:752
	v_add_f64_e32 v[177:178], v[177:178], v[189:190]
	v_add_f64_e32 v[179:180], v[179:180], v[181:182]
	s_wait_loadcnt_dscnt 0x800
	v_mul_f64_e32 v[181:182], v[6:7], v[16:17]
	v_mul_f64_e32 v[16:17], v[8:9], v[16:17]
	v_fma_f64 v[185:186], v[4:5], v[10:11], v[185:186]
	v_fma_f64 v[189:190], v[2:3], v[10:11], -v[12:13]
	ds_load_b128 v[2:5], v1 offset:1632
	scratch_load_b128 v[10:13], off, off offset:768
	v_add_f64_e32 v[177:178], v[177:178], v[187:188]
	v_add_f64_e32 v[179:180], v[179:180], v[183:184]
	v_fma_f64 v[181:182], v[8:9], v[14:15], v[181:182]
	v_fma_f64 v[187:188], v[6:7], v[14:15], -v[16:17]
	ds_load_b128 v[6:9], v1 offset:1648
	s_wait_loadcnt_dscnt 0x801
	v_mul_f64_e32 v[183:184], v[2:3], v[20:21]
	v_mul_f64_e32 v[20:21], v[4:5], v[20:21]
	scratch_load_b128 v[14:17], off, off offset:784
	;; [unrolled: 18-line block ×9, first 2 shown]
	v_add_f64_e32 v[177:178], v[177:178], v[189:190]
	v_add_f64_e32 v[179:180], v[179:180], v[183:184]
	s_wait_loadcnt_dscnt 0x800
	v_mul_f64_e32 v[183:184], v[6:7], v[175:176]
	v_mul_f64_e32 v[175:176], v[8:9], v[175:176]
	v_fma_f64 v[181:182], v[4:5], v[34:35], v[181:182]
	v_fma_f64 v[34:35], v[2:3], v[34:35], -v[36:37]
	ds_load_b128 v[2:5], v1 offset:1888
	v_add_f64_e32 v[36:37], v[177:178], v[187:188]
	v_add_f64_e32 v[177:178], v[179:180], v[185:186]
	v_fma_f64 v[183:184], v[8:9], v[173:174], v[183:184]
	v_fma_f64 v[173:174], v[6:7], v[173:174], -v[175:176]
	ds_load_b128 v[6:9], v1 offset:1904
	s_wait_loadcnt_dscnt 0x701
	v_mul_f64_e32 v[179:180], v[2:3], v[40:41]
	v_mul_f64_e32 v[40:41], v[4:5], v[40:41]
	v_add_f64_e32 v[34:35], v[36:37], v[34:35]
	v_add_f64_e32 v[36:37], v[177:178], v[181:182]
	s_delay_alu instid0(VALU_DEP_4) | instskip(NEXT) | instid1(VALU_DEP_4)
	v_fma_f64 v[177:178], v[4:5], v[38:39], v[179:180]
	v_fma_f64 v[38:39], v[2:3], v[38:39], -v[40:41]
	ds_load_b128 v[2:5], v1 offset:1920
	v_add_f64_e32 v[40:41], v[34:35], v[173:174]
	v_add_f64_e32 v[173:174], v[36:37], v[183:184]
	scratch_load_b128 v[34:37], off, off offset:400
	s_wait_loadcnt_dscnt 0x701
	v_mul_f64_e32 v[175:176], v[6:7], v[171:172]
	v_mul_f64_e32 v[171:172], v[8:9], v[171:172]
	v_add_f64_e32 v[38:39], v[40:41], v[38:39]
	v_add_f64_e32 v[40:41], v[173:174], v[177:178]
	s_delay_alu instid0(VALU_DEP_4) | instskip(NEXT) | instid1(VALU_DEP_4)
	v_fma_f64 v[175:176], v[8:9], v[169:170], v[175:176]
	v_fma_f64 v[169:170], v[6:7], v[169:170], -v[171:172]
	ds_load_b128 v[6:9], v1 offset:1936
	s_wait_loadcnt_dscnt 0x601
	v_mul_f64_e32 v[179:180], v[2:3], v[12:13]
	v_mul_f64_e32 v[12:13], v[4:5], v[12:13]
	s_wait_loadcnt_dscnt 0x500
	v_mul_f64_e32 v[171:172], v[6:7], v[16:17]
	v_mul_f64_e32 v[16:17], v[8:9], v[16:17]
	s_delay_alu instid0(VALU_DEP_4) | instskip(NEXT) | instid1(VALU_DEP_4)
	v_fma_f64 v[173:174], v[4:5], v[10:11], v[179:180]
	v_fma_f64 v[10:11], v[2:3], v[10:11], -v[12:13]
	v_add_f64_e32 v[12:13], v[38:39], v[169:170]
	v_add_f64_e32 v[38:39], v[40:41], v[175:176]
	ds_load_b128 v[2:5], v1 offset:1952
	v_fma_f64 v[169:170], v[8:9], v[14:15], v[171:172]
	v_fma_f64 v[14:15], v[6:7], v[14:15], -v[16:17]
	ds_load_b128 v[6:9], v1 offset:1968
	s_wait_loadcnt_dscnt 0x401
	v_mul_f64_e32 v[40:41], v[2:3], v[20:21]
	v_mul_f64_e32 v[20:21], v[4:5], v[20:21]
	v_add_f64_e32 v[10:11], v[12:13], v[10:11]
	v_add_f64_e32 v[12:13], v[38:39], v[173:174]
	s_wait_loadcnt_dscnt 0x300
	v_mul_f64_e32 v[16:17], v[6:7], v[24:25]
	v_mul_f64_e32 v[24:25], v[8:9], v[24:25]
	v_fma_f64 v[38:39], v[4:5], v[18:19], v[40:41]
	v_fma_f64 v[18:19], v[2:3], v[18:19], -v[20:21]
	ds_load_b128 v[2:5], v1 offset:1984
	v_add_f64_e32 v[10:11], v[10:11], v[14:15]
	v_add_f64_e32 v[12:13], v[12:13], v[169:170]
	v_fma_f64 v[16:17], v[8:9], v[22:23], v[16:17]
	v_fma_f64 v[22:23], v[6:7], v[22:23], -v[24:25]
	ds_load_b128 v[6:9], v1 offset:2000
	s_wait_loadcnt_dscnt 0x201
	v_mul_f64_e32 v[14:15], v[2:3], v[28:29]
	v_mul_f64_e32 v[20:21], v[4:5], v[28:29]
	s_wait_loadcnt_dscnt 0x100
	v_mul_f64_e32 v[24:25], v[8:9], v[32:33]
	v_add_f64_e32 v[10:11], v[10:11], v[18:19]
	v_add_f64_e32 v[12:13], v[12:13], v[38:39]
	v_mul_f64_e32 v[18:19], v[6:7], v[32:33]
	v_fma_f64 v[4:5], v[4:5], v[26:27], v[14:15]
	v_fma_f64 v[1:2], v[2:3], v[26:27], -v[20:21]
	v_fma_f64 v[6:7], v[6:7], v[30:31], -v[24:25]
	v_add_f64_e32 v[10:11], v[10:11], v[22:23]
	v_add_f64_e32 v[12:13], v[12:13], v[16:17]
	v_fma_f64 v[8:9], v[8:9], v[30:31], v[18:19]
	s_delay_alu instid0(VALU_DEP_3) | instskip(NEXT) | instid1(VALU_DEP_3)
	v_add_f64_e32 v[1:2], v[10:11], v[1:2]
	v_add_f64_e32 v[3:4], v[12:13], v[4:5]
	s_delay_alu instid0(VALU_DEP_2) | instskip(NEXT) | instid1(VALU_DEP_2)
	v_add_f64_e32 v[1:2], v[1:2], v[6:7]
	v_add_f64_e32 v[3:4], v[3:4], v[8:9]
	s_wait_loadcnt 0x0
	s_delay_alu instid0(VALU_DEP_2) | instskip(NEXT) | instid1(VALU_DEP_2)
	v_add_f64_e64 v[1:2], v[34:35], -v[1:2]
	v_add_f64_e64 v[3:4], v[36:37], -v[3:4]
	scratch_store_b128 off, v[1:4], off offset:400
	v_cmpx_lt_u32_e32 23, v0
	s_cbranch_execz .LBB62_357
; %bb.356:
	scratch_load_b128 v[1:4], off, s51
	v_mov_b32_e32 v5, 0
	s_delay_alu instid0(VALU_DEP_1)
	v_dual_mov_b32 v6, v5 :: v_dual_mov_b32 v7, v5
	v_mov_b32_e32 v8, v5
	scratch_store_b128 off, v[5:8], off offset:384
	s_wait_loadcnt 0x0
	ds_store_b128 v168, v[1:4]
.LBB62_357:
	s_wait_alu 0xfffe
	s_or_b32 exec_lo, exec_lo, s0
	s_wait_storecnt_dscnt 0x0
	s_barrier_signal -1
	s_barrier_wait -1
	global_inv scope:SCOPE_SE
	s_clause 0x7
	scratch_load_b128 v[2:5], off, off offset:400
	scratch_load_b128 v[6:9], off, off offset:416
	;; [unrolled: 1-line block ×8, first 2 shown]
	v_mov_b32_e32 v1, 0
	s_clause 0x1
	scratch_load_b128 v[34:37], off, off offset:528
	scratch_load_b128 v[173:176], off, off offset:544
	s_mov_b32 s0, exec_lo
	ds_load_b128 v[38:41], v1 offset:1392
	ds_load_b128 v[169:172], v1 offset:1408
	s_wait_loadcnt_dscnt 0x901
	v_mul_f64_e32 v[177:178], v[40:41], v[4:5]
	v_mul_f64_e32 v[4:5], v[38:39], v[4:5]
	s_wait_loadcnt_dscnt 0x800
	v_mul_f64_e32 v[179:180], v[169:170], v[8:9]
	v_mul_f64_e32 v[8:9], v[171:172], v[8:9]
	s_delay_alu instid0(VALU_DEP_4) | instskip(NEXT) | instid1(VALU_DEP_4)
	v_fma_f64 v[177:178], v[38:39], v[2:3], -v[177:178]
	v_fma_f64 v[181:182], v[40:41], v[2:3], v[4:5]
	ds_load_b128 v[2:5], v1 offset:1424
	scratch_load_b128 v[38:41], off, off offset:560
	v_fma_f64 v[179:180], v[171:172], v[6:7], v[179:180]
	v_fma_f64 v[185:186], v[169:170], v[6:7], -v[8:9]
	ds_load_b128 v[6:9], v1 offset:1440
	scratch_load_b128 v[169:172], off, off offset:576
	s_wait_loadcnt_dscnt 0x901
	v_mul_f64_e32 v[183:184], v[2:3], v[12:13]
	v_mul_f64_e32 v[12:13], v[4:5], v[12:13]
	s_wait_loadcnt_dscnt 0x800
	v_mul_f64_e32 v[187:188], v[6:7], v[16:17]
	v_mul_f64_e32 v[16:17], v[8:9], v[16:17]
	v_add_f64_e32 v[177:178], 0, v[177:178]
	v_add_f64_e32 v[181:182], 0, v[181:182]
	v_fma_f64 v[183:184], v[4:5], v[10:11], v[183:184]
	v_fma_f64 v[189:190], v[2:3], v[10:11], -v[12:13]
	ds_load_b128 v[2:5], v1 offset:1456
	scratch_load_b128 v[10:13], off, off offset:592
	v_add_f64_e32 v[177:178], v[177:178], v[185:186]
	v_add_f64_e32 v[179:180], v[181:182], v[179:180]
	v_fma_f64 v[185:186], v[8:9], v[14:15], v[187:188]
	v_fma_f64 v[187:188], v[6:7], v[14:15], -v[16:17]
	ds_load_b128 v[6:9], v1 offset:1472
	scratch_load_b128 v[14:17], off, off offset:608
	s_wait_loadcnt_dscnt 0x901
	v_mul_f64_e32 v[181:182], v[2:3], v[20:21]
	v_mul_f64_e32 v[20:21], v[4:5], v[20:21]
	v_add_f64_e32 v[177:178], v[177:178], v[189:190]
	v_add_f64_e32 v[179:180], v[179:180], v[183:184]
	s_wait_loadcnt_dscnt 0x800
	v_mul_f64_e32 v[183:184], v[6:7], v[24:25]
	v_mul_f64_e32 v[24:25], v[8:9], v[24:25]
	v_fma_f64 v[181:182], v[4:5], v[18:19], v[181:182]
	v_fma_f64 v[189:190], v[2:3], v[18:19], -v[20:21]
	ds_load_b128 v[2:5], v1 offset:1488
	scratch_load_b128 v[18:21], off, off offset:624
	v_add_f64_e32 v[177:178], v[177:178], v[187:188]
	v_add_f64_e32 v[179:180], v[179:180], v[185:186]
	v_fma_f64 v[183:184], v[8:9], v[22:23], v[183:184]
	v_fma_f64 v[187:188], v[6:7], v[22:23], -v[24:25]
	ds_load_b128 v[6:9], v1 offset:1504
	s_wait_loadcnt_dscnt 0x801
	v_mul_f64_e32 v[185:186], v[2:3], v[28:29]
	v_mul_f64_e32 v[28:29], v[4:5], v[28:29]
	scratch_load_b128 v[22:25], off, off offset:640
	v_add_f64_e32 v[177:178], v[177:178], v[189:190]
	v_add_f64_e32 v[179:180], v[179:180], v[181:182]
	s_wait_loadcnt_dscnt 0x800
	v_mul_f64_e32 v[181:182], v[6:7], v[32:33]
	v_mul_f64_e32 v[32:33], v[8:9], v[32:33]
	v_fma_f64 v[185:186], v[4:5], v[26:27], v[185:186]
	v_fma_f64 v[189:190], v[2:3], v[26:27], -v[28:29]
	ds_load_b128 v[2:5], v1 offset:1520
	scratch_load_b128 v[26:29], off, off offset:656
	v_add_f64_e32 v[177:178], v[177:178], v[187:188]
	v_add_f64_e32 v[179:180], v[179:180], v[183:184]
	v_fma_f64 v[181:182], v[8:9], v[30:31], v[181:182]
	v_fma_f64 v[187:188], v[6:7], v[30:31], -v[32:33]
	ds_load_b128 v[6:9], v1 offset:1536
	s_wait_loadcnt_dscnt 0x801
	v_mul_f64_e32 v[183:184], v[2:3], v[36:37]
	v_mul_f64_e32 v[36:37], v[4:5], v[36:37]
	scratch_load_b128 v[30:33], off, off offset:672
	v_add_f64_e32 v[177:178], v[177:178], v[189:190]
	v_add_f64_e32 v[179:180], v[179:180], v[185:186]
	s_wait_loadcnt_dscnt 0x800
	v_mul_f64_e32 v[185:186], v[6:7], v[175:176]
	v_mul_f64_e32 v[175:176], v[8:9], v[175:176]
	v_fma_f64 v[183:184], v[4:5], v[34:35], v[183:184]
	v_fma_f64 v[189:190], v[2:3], v[34:35], -v[36:37]
	ds_load_b128 v[2:5], v1 offset:1552
	scratch_load_b128 v[34:37], off, off offset:688
	v_add_f64_e32 v[177:178], v[177:178], v[187:188]
	v_add_f64_e32 v[179:180], v[179:180], v[181:182]
	v_fma_f64 v[185:186], v[8:9], v[173:174], v[185:186]
	v_fma_f64 v[187:188], v[6:7], v[173:174], -v[175:176]
	ds_load_b128 v[6:9], v1 offset:1568
	scratch_load_b128 v[173:176], off, off offset:704
	s_wait_loadcnt_dscnt 0x901
	v_mul_f64_e32 v[181:182], v[2:3], v[40:41]
	v_mul_f64_e32 v[40:41], v[4:5], v[40:41]
	v_add_f64_e32 v[177:178], v[177:178], v[189:190]
	v_add_f64_e32 v[179:180], v[179:180], v[183:184]
	s_wait_loadcnt_dscnt 0x800
	v_mul_f64_e32 v[183:184], v[6:7], v[171:172]
	v_mul_f64_e32 v[171:172], v[8:9], v[171:172]
	v_fma_f64 v[181:182], v[4:5], v[38:39], v[181:182]
	v_fma_f64 v[189:190], v[2:3], v[38:39], -v[40:41]
	ds_load_b128 v[2:5], v1 offset:1584
	scratch_load_b128 v[38:41], off, off offset:720
	v_add_f64_e32 v[177:178], v[177:178], v[187:188]
	v_add_f64_e32 v[179:180], v[179:180], v[185:186]
	v_fma_f64 v[183:184], v[8:9], v[169:170], v[183:184]
	v_fma_f64 v[187:188], v[6:7], v[169:170], -v[171:172]
	ds_load_b128 v[6:9], v1 offset:1600
	s_wait_loadcnt_dscnt 0x801
	v_mul_f64_e32 v[185:186], v[2:3], v[12:13]
	v_mul_f64_e32 v[12:13], v[4:5], v[12:13]
	scratch_load_b128 v[169:172], off, off offset:736
	v_add_f64_e32 v[177:178], v[177:178], v[189:190]
	v_add_f64_e32 v[179:180], v[179:180], v[181:182]
	s_wait_loadcnt_dscnt 0x800
	v_mul_f64_e32 v[181:182], v[6:7], v[16:17]
	v_mul_f64_e32 v[16:17], v[8:9], v[16:17]
	v_fma_f64 v[185:186], v[4:5], v[10:11], v[185:186]
	v_fma_f64 v[189:190], v[2:3], v[10:11], -v[12:13]
	ds_load_b128 v[2:5], v1 offset:1616
	scratch_load_b128 v[10:13], off, off offset:752
	v_add_f64_e32 v[177:178], v[177:178], v[187:188]
	v_add_f64_e32 v[179:180], v[179:180], v[183:184]
	v_fma_f64 v[181:182], v[8:9], v[14:15], v[181:182]
	v_fma_f64 v[187:188], v[6:7], v[14:15], -v[16:17]
	ds_load_b128 v[6:9], v1 offset:1632
	s_wait_loadcnt_dscnt 0x801
	v_mul_f64_e32 v[183:184], v[2:3], v[20:21]
	v_mul_f64_e32 v[20:21], v[4:5], v[20:21]
	scratch_load_b128 v[14:17], off, off offset:768
	;; [unrolled: 18-line block ×9, first 2 shown]
	v_add_f64_e32 v[177:178], v[177:178], v[189:190]
	v_add_f64_e32 v[179:180], v[179:180], v[183:184]
	s_wait_loadcnt_dscnt 0x800
	v_mul_f64_e32 v[183:184], v[6:7], v[175:176]
	v_mul_f64_e32 v[175:176], v[8:9], v[175:176]
	v_fma_f64 v[181:182], v[4:5], v[34:35], v[181:182]
	v_fma_f64 v[189:190], v[2:3], v[34:35], -v[36:37]
	ds_load_b128 v[2:5], v1 offset:1872
	scratch_load_b128 v[34:37], off, off offset:1008
	v_add_f64_e32 v[177:178], v[177:178], v[187:188]
	v_add_f64_e32 v[179:180], v[179:180], v[185:186]
	v_fma_f64 v[183:184], v[8:9], v[173:174], v[183:184]
	v_fma_f64 v[173:174], v[6:7], v[173:174], -v[175:176]
	ds_load_b128 v[6:9], v1 offset:1888
	s_wait_loadcnt_dscnt 0x801
	v_mul_f64_e32 v[185:186], v[2:3], v[40:41]
	v_mul_f64_e32 v[40:41], v[4:5], v[40:41]
	v_add_f64_e32 v[175:176], v[177:178], v[189:190]
	v_add_f64_e32 v[177:178], v[179:180], v[181:182]
	s_wait_loadcnt_dscnt 0x700
	v_mul_f64_e32 v[179:180], v[6:7], v[171:172]
	v_mul_f64_e32 v[171:172], v[8:9], v[171:172]
	v_fma_f64 v[181:182], v[4:5], v[38:39], v[185:186]
	v_fma_f64 v[38:39], v[2:3], v[38:39], -v[40:41]
	ds_load_b128 v[2:5], v1 offset:1904
	v_add_f64_e32 v[40:41], v[175:176], v[173:174]
	v_add_f64_e32 v[173:174], v[177:178], v[183:184]
	v_fma_f64 v[177:178], v[8:9], v[169:170], v[179:180]
	v_fma_f64 v[169:170], v[6:7], v[169:170], -v[171:172]
	ds_load_b128 v[6:9], v1 offset:1920
	s_wait_loadcnt_dscnt 0x500
	v_mul_f64_e32 v[179:180], v[6:7], v[16:17]
	v_mul_f64_e32 v[16:17], v[8:9], v[16:17]
	v_add_f64_e32 v[171:172], v[40:41], v[38:39]
	v_add_f64_e32 v[173:174], v[173:174], v[181:182]
	scratch_load_b128 v[38:41], off, off offset:384
	v_mul_f64_e32 v[175:176], v[2:3], v[12:13]
	v_mul_f64_e32 v[12:13], v[4:5], v[12:13]
	s_delay_alu instid0(VALU_DEP_2) | instskip(NEXT) | instid1(VALU_DEP_2)
	v_fma_f64 v[175:176], v[4:5], v[10:11], v[175:176]
	v_fma_f64 v[10:11], v[2:3], v[10:11], -v[12:13]
	v_add_f64_e32 v[12:13], v[171:172], v[169:170]
	v_add_f64_e32 v[169:170], v[173:174], v[177:178]
	ds_load_b128 v[2:5], v1 offset:1936
	v_fma_f64 v[173:174], v[8:9], v[14:15], v[179:180]
	v_fma_f64 v[14:15], v[6:7], v[14:15], -v[16:17]
	ds_load_b128 v[6:9], v1 offset:1952
	s_wait_loadcnt_dscnt 0x501
	v_mul_f64_e32 v[171:172], v[2:3], v[20:21]
	v_mul_f64_e32 v[20:21], v[4:5], v[20:21]
	s_wait_loadcnt_dscnt 0x400
	v_mul_f64_e32 v[16:17], v[6:7], v[24:25]
	v_mul_f64_e32 v[24:25], v[8:9], v[24:25]
	v_add_f64_e32 v[10:11], v[12:13], v[10:11]
	v_add_f64_e32 v[12:13], v[169:170], v[175:176]
	v_fma_f64 v[169:170], v[4:5], v[18:19], v[171:172]
	v_fma_f64 v[18:19], v[2:3], v[18:19], -v[20:21]
	ds_load_b128 v[2:5], v1 offset:1968
	v_fma_f64 v[16:17], v[8:9], v[22:23], v[16:17]
	v_fma_f64 v[22:23], v[6:7], v[22:23], -v[24:25]
	ds_load_b128 v[6:9], v1 offset:1984
	v_add_f64_e32 v[10:11], v[10:11], v[14:15]
	v_add_f64_e32 v[12:13], v[12:13], v[173:174]
	s_wait_loadcnt_dscnt 0x301
	v_mul_f64_e32 v[14:15], v[2:3], v[28:29]
	v_mul_f64_e32 v[20:21], v[4:5], v[28:29]
	s_wait_loadcnt_dscnt 0x200
	v_mul_f64_e32 v[24:25], v[8:9], v[32:33]
	v_add_f64_e32 v[10:11], v[10:11], v[18:19]
	v_add_f64_e32 v[12:13], v[12:13], v[169:170]
	v_mul_f64_e32 v[18:19], v[6:7], v[32:33]
	v_fma_f64 v[14:15], v[4:5], v[26:27], v[14:15]
	v_fma_f64 v[20:21], v[2:3], v[26:27], -v[20:21]
	ds_load_b128 v[2:5], v1 offset:2000
	v_fma_f64 v[6:7], v[6:7], v[30:31], -v[24:25]
	v_add_f64_e32 v[10:11], v[10:11], v[22:23]
	v_add_f64_e32 v[12:13], v[12:13], v[16:17]
	s_wait_loadcnt_dscnt 0x100
	v_mul_f64_e32 v[16:17], v[2:3], v[36:37]
	v_mul_f64_e32 v[22:23], v[4:5], v[36:37]
	v_fma_f64 v[8:9], v[8:9], v[30:31], v[18:19]
	v_add_f64_e32 v[10:11], v[10:11], v[20:21]
	v_add_f64_e32 v[12:13], v[12:13], v[14:15]
	v_fma_f64 v[4:5], v[4:5], v[34:35], v[16:17]
	v_fma_f64 v[2:3], v[2:3], v[34:35], -v[22:23]
	s_delay_alu instid0(VALU_DEP_4) | instskip(NEXT) | instid1(VALU_DEP_4)
	v_add_f64_e32 v[6:7], v[10:11], v[6:7]
	v_add_f64_e32 v[8:9], v[12:13], v[8:9]
	s_delay_alu instid0(VALU_DEP_2) | instskip(NEXT) | instid1(VALU_DEP_2)
	v_add_f64_e32 v[2:3], v[6:7], v[2:3]
	v_add_f64_e32 v[4:5], v[8:9], v[4:5]
	s_wait_loadcnt 0x0
	s_delay_alu instid0(VALU_DEP_2) | instskip(NEXT) | instid1(VALU_DEP_2)
	v_add_f64_e64 v[2:3], v[38:39], -v[2:3]
	v_add_f64_e64 v[4:5], v[40:41], -v[4:5]
	scratch_store_b128 off, v[2:5], off offset:384
	v_cmpx_lt_u32_e32 22, v0
	s_cbranch_execz .LBB62_359
; %bb.358:
	scratch_load_b128 v[5:8], off, s52
	v_dual_mov_b32 v2, v1 :: v_dual_mov_b32 v3, v1
	v_mov_b32_e32 v4, v1
	scratch_store_b128 off, v[1:4], off offset:368
	s_wait_loadcnt 0x0
	ds_store_b128 v168, v[5:8]
.LBB62_359:
	s_wait_alu 0xfffe
	s_or_b32 exec_lo, exec_lo, s0
	s_wait_storecnt_dscnt 0x0
	s_barrier_signal -1
	s_barrier_wait -1
	global_inv scope:SCOPE_SE
	s_clause 0x7
	scratch_load_b128 v[2:5], off, off offset:384
	scratch_load_b128 v[6:9], off, off offset:400
	;; [unrolled: 1-line block ×8, first 2 shown]
	ds_load_b128 v[38:41], v1 offset:1376
	ds_load_b128 v[169:172], v1 offset:1392
	s_clause 0x1
	scratch_load_b128 v[34:37], off, off offset:512
	scratch_load_b128 v[173:176], off, off offset:528
	s_mov_b32 s0, exec_lo
	s_wait_loadcnt_dscnt 0x901
	v_mul_f64_e32 v[177:178], v[40:41], v[4:5]
	v_mul_f64_e32 v[4:5], v[38:39], v[4:5]
	s_wait_loadcnt_dscnt 0x800
	v_mul_f64_e32 v[179:180], v[169:170], v[8:9]
	v_mul_f64_e32 v[8:9], v[171:172], v[8:9]
	s_delay_alu instid0(VALU_DEP_4) | instskip(NEXT) | instid1(VALU_DEP_4)
	v_fma_f64 v[177:178], v[38:39], v[2:3], -v[177:178]
	v_fma_f64 v[181:182], v[40:41], v[2:3], v[4:5]
	ds_load_b128 v[2:5], v1 offset:1408
	scratch_load_b128 v[38:41], off, off offset:544
	v_fma_f64 v[179:180], v[171:172], v[6:7], v[179:180]
	v_fma_f64 v[185:186], v[169:170], v[6:7], -v[8:9]
	ds_load_b128 v[6:9], v1 offset:1424
	scratch_load_b128 v[169:172], off, off offset:560
	s_wait_loadcnt_dscnt 0x901
	v_mul_f64_e32 v[183:184], v[2:3], v[12:13]
	v_mul_f64_e32 v[12:13], v[4:5], v[12:13]
	s_wait_loadcnt_dscnt 0x800
	v_mul_f64_e32 v[187:188], v[6:7], v[16:17]
	v_mul_f64_e32 v[16:17], v[8:9], v[16:17]
	v_add_f64_e32 v[177:178], 0, v[177:178]
	v_add_f64_e32 v[181:182], 0, v[181:182]
	v_fma_f64 v[183:184], v[4:5], v[10:11], v[183:184]
	v_fma_f64 v[189:190], v[2:3], v[10:11], -v[12:13]
	ds_load_b128 v[2:5], v1 offset:1440
	scratch_load_b128 v[10:13], off, off offset:576
	v_add_f64_e32 v[177:178], v[177:178], v[185:186]
	v_add_f64_e32 v[179:180], v[181:182], v[179:180]
	v_fma_f64 v[185:186], v[8:9], v[14:15], v[187:188]
	v_fma_f64 v[187:188], v[6:7], v[14:15], -v[16:17]
	ds_load_b128 v[6:9], v1 offset:1456
	scratch_load_b128 v[14:17], off, off offset:592
	s_wait_loadcnt_dscnt 0x901
	v_mul_f64_e32 v[181:182], v[2:3], v[20:21]
	v_mul_f64_e32 v[20:21], v[4:5], v[20:21]
	v_add_f64_e32 v[177:178], v[177:178], v[189:190]
	v_add_f64_e32 v[179:180], v[179:180], v[183:184]
	s_wait_loadcnt_dscnt 0x800
	v_mul_f64_e32 v[183:184], v[6:7], v[24:25]
	v_mul_f64_e32 v[24:25], v[8:9], v[24:25]
	v_fma_f64 v[181:182], v[4:5], v[18:19], v[181:182]
	v_fma_f64 v[189:190], v[2:3], v[18:19], -v[20:21]
	ds_load_b128 v[2:5], v1 offset:1472
	scratch_load_b128 v[18:21], off, off offset:608
	v_add_f64_e32 v[177:178], v[177:178], v[187:188]
	v_add_f64_e32 v[179:180], v[179:180], v[185:186]
	v_fma_f64 v[183:184], v[8:9], v[22:23], v[183:184]
	v_fma_f64 v[187:188], v[6:7], v[22:23], -v[24:25]
	ds_load_b128 v[6:9], v1 offset:1488
	s_wait_loadcnt_dscnt 0x801
	v_mul_f64_e32 v[185:186], v[2:3], v[28:29]
	v_mul_f64_e32 v[28:29], v[4:5], v[28:29]
	scratch_load_b128 v[22:25], off, off offset:624
	v_add_f64_e32 v[177:178], v[177:178], v[189:190]
	v_add_f64_e32 v[179:180], v[179:180], v[181:182]
	s_wait_loadcnt_dscnt 0x800
	v_mul_f64_e32 v[181:182], v[6:7], v[32:33]
	v_mul_f64_e32 v[32:33], v[8:9], v[32:33]
	v_fma_f64 v[185:186], v[4:5], v[26:27], v[185:186]
	v_fma_f64 v[189:190], v[2:3], v[26:27], -v[28:29]
	ds_load_b128 v[2:5], v1 offset:1504
	scratch_load_b128 v[26:29], off, off offset:640
	v_add_f64_e32 v[177:178], v[177:178], v[187:188]
	v_add_f64_e32 v[179:180], v[179:180], v[183:184]
	v_fma_f64 v[181:182], v[8:9], v[30:31], v[181:182]
	v_fma_f64 v[187:188], v[6:7], v[30:31], -v[32:33]
	ds_load_b128 v[6:9], v1 offset:1520
	s_wait_loadcnt_dscnt 0x801
	v_mul_f64_e32 v[183:184], v[2:3], v[36:37]
	v_mul_f64_e32 v[36:37], v[4:5], v[36:37]
	scratch_load_b128 v[30:33], off, off offset:656
	v_add_f64_e32 v[177:178], v[177:178], v[189:190]
	v_add_f64_e32 v[179:180], v[179:180], v[185:186]
	s_wait_loadcnt_dscnt 0x800
	v_mul_f64_e32 v[185:186], v[6:7], v[175:176]
	v_mul_f64_e32 v[175:176], v[8:9], v[175:176]
	v_fma_f64 v[183:184], v[4:5], v[34:35], v[183:184]
	v_fma_f64 v[189:190], v[2:3], v[34:35], -v[36:37]
	ds_load_b128 v[2:5], v1 offset:1536
	scratch_load_b128 v[34:37], off, off offset:672
	v_add_f64_e32 v[177:178], v[177:178], v[187:188]
	v_add_f64_e32 v[179:180], v[179:180], v[181:182]
	v_fma_f64 v[185:186], v[8:9], v[173:174], v[185:186]
	v_fma_f64 v[187:188], v[6:7], v[173:174], -v[175:176]
	ds_load_b128 v[6:9], v1 offset:1552
	scratch_load_b128 v[173:176], off, off offset:688
	s_wait_loadcnt_dscnt 0x901
	v_mul_f64_e32 v[181:182], v[2:3], v[40:41]
	v_mul_f64_e32 v[40:41], v[4:5], v[40:41]
	v_add_f64_e32 v[177:178], v[177:178], v[189:190]
	v_add_f64_e32 v[179:180], v[179:180], v[183:184]
	s_wait_loadcnt_dscnt 0x800
	v_mul_f64_e32 v[183:184], v[6:7], v[171:172]
	v_mul_f64_e32 v[171:172], v[8:9], v[171:172]
	v_fma_f64 v[181:182], v[4:5], v[38:39], v[181:182]
	v_fma_f64 v[189:190], v[2:3], v[38:39], -v[40:41]
	ds_load_b128 v[2:5], v1 offset:1568
	scratch_load_b128 v[38:41], off, off offset:704
	v_add_f64_e32 v[177:178], v[177:178], v[187:188]
	v_add_f64_e32 v[179:180], v[179:180], v[185:186]
	v_fma_f64 v[183:184], v[8:9], v[169:170], v[183:184]
	v_fma_f64 v[187:188], v[6:7], v[169:170], -v[171:172]
	ds_load_b128 v[6:9], v1 offset:1584
	s_wait_loadcnt_dscnt 0x801
	v_mul_f64_e32 v[185:186], v[2:3], v[12:13]
	v_mul_f64_e32 v[12:13], v[4:5], v[12:13]
	scratch_load_b128 v[169:172], off, off offset:720
	v_add_f64_e32 v[177:178], v[177:178], v[189:190]
	v_add_f64_e32 v[179:180], v[179:180], v[181:182]
	s_wait_loadcnt_dscnt 0x800
	v_mul_f64_e32 v[181:182], v[6:7], v[16:17]
	v_mul_f64_e32 v[16:17], v[8:9], v[16:17]
	v_fma_f64 v[185:186], v[4:5], v[10:11], v[185:186]
	v_fma_f64 v[189:190], v[2:3], v[10:11], -v[12:13]
	scratch_load_b128 v[10:13], off, off offset:736
	ds_load_b128 v[2:5], v1 offset:1600
	v_add_f64_e32 v[177:178], v[177:178], v[187:188]
	v_add_f64_e32 v[179:180], v[179:180], v[183:184]
	v_fma_f64 v[181:182], v[8:9], v[14:15], v[181:182]
	v_fma_f64 v[187:188], v[6:7], v[14:15], -v[16:17]
	ds_load_b128 v[6:9], v1 offset:1616
	s_wait_loadcnt_dscnt 0x801
	v_mul_f64_e32 v[183:184], v[2:3], v[20:21]
	v_mul_f64_e32 v[20:21], v[4:5], v[20:21]
	scratch_load_b128 v[14:17], off, off offset:752
	v_add_f64_e32 v[177:178], v[177:178], v[189:190]
	v_add_f64_e32 v[179:180], v[179:180], v[185:186]
	s_wait_loadcnt_dscnt 0x800
	v_mul_f64_e32 v[185:186], v[6:7], v[24:25]
	v_mul_f64_e32 v[24:25], v[8:9], v[24:25]
	v_fma_f64 v[183:184], v[4:5], v[18:19], v[183:184]
	v_fma_f64 v[189:190], v[2:3], v[18:19], -v[20:21]
	ds_load_b128 v[2:5], v1 offset:1632
	scratch_load_b128 v[18:21], off, off offset:768
	v_add_f64_e32 v[177:178], v[177:178], v[187:188]
	v_add_f64_e32 v[179:180], v[179:180], v[181:182]
	v_fma_f64 v[185:186], v[8:9], v[22:23], v[185:186]
	v_fma_f64 v[187:188], v[6:7], v[22:23], -v[24:25]
	ds_load_b128 v[6:9], v1 offset:1648
	s_wait_loadcnt_dscnt 0x801
	v_mul_f64_e32 v[181:182], v[2:3], v[28:29]
	v_mul_f64_e32 v[28:29], v[4:5], v[28:29]
	scratch_load_b128 v[22:25], off, off offset:784
	v_add_f64_e32 v[177:178], v[177:178], v[189:190]
	v_add_f64_e32 v[179:180], v[179:180], v[183:184]
	s_wait_loadcnt_dscnt 0x800
	v_mul_f64_e32 v[183:184], v[6:7], v[32:33]
	v_mul_f64_e32 v[32:33], v[8:9], v[32:33]
	v_fma_f64 v[181:182], v[4:5], v[26:27], v[181:182]
	v_fma_f64 v[189:190], v[2:3], v[26:27], -v[28:29]
	ds_load_b128 v[2:5], v1 offset:1664
	scratch_load_b128 v[26:29], off, off offset:800
	;; [unrolled: 18-line block ×4, first 2 shown]
	v_add_f64_e32 v[177:178], v[177:178], v[187:188]
	v_add_f64_e32 v[179:180], v[179:180], v[181:182]
	v_fma_f64 v[185:186], v[8:9], v[169:170], v[185:186]
	v_fma_f64 v[187:188], v[6:7], v[169:170], -v[171:172]
	ds_load_b128 v[6:9], v1 offset:1744
	s_wait_loadcnt_dscnt 0x801
	v_mul_f64_e32 v[181:182], v[2:3], v[12:13]
	v_mul_f64_e32 v[12:13], v[4:5], v[12:13]
	scratch_load_b128 v[169:172], off, off offset:880
	v_add_f64_e32 v[177:178], v[177:178], v[189:190]
	v_add_f64_e32 v[179:180], v[179:180], v[183:184]
	s_wait_loadcnt_dscnt 0x800
	v_mul_f64_e32 v[183:184], v[6:7], v[16:17]
	v_mul_f64_e32 v[16:17], v[8:9], v[16:17]
	v_fma_f64 v[181:182], v[4:5], v[10:11], v[181:182]
	v_fma_f64 v[189:190], v[2:3], v[10:11], -v[12:13]
	scratch_load_b128 v[10:13], off, off offset:896
	ds_load_b128 v[2:5], v1 offset:1760
	v_add_f64_e32 v[177:178], v[177:178], v[187:188]
	v_add_f64_e32 v[179:180], v[179:180], v[185:186]
	v_fma_f64 v[183:184], v[8:9], v[14:15], v[183:184]
	v_fma_f64 v[187:188], v[6:7], v[14:15], -v[16:17]
	ds_load_b128 v[6:9], v1 offset:1776
	s_wait_loadcnt_dscnt 0x801
	v_mul_f64_e32 v[185:186], v[2:3], v[20:21]
	v_mul_f64_e32 v[20:21], v[4:5], v[20:21]
	scratch_load_b128 v[14:17], off, off offset:912
	v_add_f64_e32 v[177:178], v[177:178], v[189:190]
	v_add_f64_e32 v[179:180], v[179:180], v[181:182]
	s_wait_loadcnt_dscnt 0x800
	v_mul_f64_e32 v[181:182], v[6:7], v[24:25]
	v_mul_f64_e32 v[24:25], v[8:9], v[24:25]
	v_fma_f64 v[185:186], v[4:5], v[18:19], v[185:186]
	v_fma_f64 v[189:190], v[2:3], v[18:19], -v[20:21]
	ds_load_b128 v[2:5], v1 offset:1792
	scratch_load_b128 v[18:21], off, off offset:928
	v_add_f64_e32 v[177:178], v[177:178], v[187:188]
	v_add_f64_e32 v[179:180], v[179:180], v[183:184]
	v_fma_f64 v[181:182], v[8:9], v[22:23], v[181:182]
	v_fma_f64 v[187:188], v[6:7], v[22:23], -v[24:25]
	ds_load_b128 v[6:9], v1 offset:1808
	s_wait_loadcnt_dscnt 0x801
	v_mul_f64_e32 v[183:184], v[2:3], v[28:29]
	v_mul_f64_e32 v[28:29], v[4:5], v[28:29]
	scratch_load_b128 v[22:25], off, off offset:944
	v_add_f64_e32 v[177:178], v[177:178], v[189:190]
	v_add_f64_e32 v[179:180], v[179:180], v[185:186]
	s_wait_loadcnt_dscnt 0x800
	v_mul_f64_e32 v[185:186], v[6:7], v[32:33]
	v_mul_f64_e32 v[32:33], v[8:9], v[32:33]
	v_fma_f64 v[183:184], v[4:5], v[26:27], v[183:184]
	v_fma_f64 v[189:190], v[2:3], v[26:27], -v[28:29]
	ds_load_b128 v[2:5], v1 offset:1824
	scratch_load_b128 v[26:29], off, off offset:960
	;; [unrolled: 18-line block ×3, first 2 shown]
	v_add_f64_e32 v[177:178], v[177:178], v[187:188]
	v_add_f64_e32 v[179:180], v[179:180], v[185:186]
	v_fma_f64 v[183:184], v[8:9], v[173:174], v[183:184]
	v_fma_f64 v[187:188], v[6:7], v[173:174], -v[175:176]
	ds_load_b128 v[6:9], v1 offset:1872
	s_wait_loadcnt_dscnt 0x801
	v_mul_f64_e32 v[185:186], v[2:3], v[40:41]
	v_mul_f64_e32 v[40:41], v[4:5], v[40:41]
	scratch_load_b128 v[173:176], off, off offset:1008
	v_add_f64_e32 v[177:178], v[177:178], v[189:190]
	v_add_f64_e32 v[179:180], v[179:180], v[181:182]
	v_fma_f64 v[185:186], v[4:5], v[38:39], v[185:186]
	v_fma_f64 v[38:39], v[2:3], v[38:39], -v[40:41]
	ds_load_b128 v[2:5], v1 offset:1888
	v_add_f64_e32 v[40:41], v[177:178], v[187:188]
	v_add_f64_e32 v[177:178], v[179:180], v[183:184]
	s_wait_loadcnt_dscnt 0x700
	v_mul_f64_e32 v[179:180], v[2:3], v[12:13]
	v_mul_f64_e32 v[12:13], v[4:5], v[12:13]
	s_delay_alu instid0(VALU_DEP_4) | instskip(NEXT) | instid1(VALU_DEP_4)
	v_add_f64_e32 v[38:39], v[40:41], v[38:39]
	v_add_f64_e32 v[40:41], v[177:178], v[185:186]
	s_delay_alu instid0(VALU_DEP_4) | instskip(NEXT) | instid1(VALU_DEP_4)
	v_fma_f64 v[177:178], v[4:5], v[10:11], v[179:180]
	v_fma_f64 v[179:180], v[2:3], v[10:11], -v[12:13]
	scratch_load_b128 v[10:13], off, off offset:368
	v_mul_f64_e32 v[181:182], v[6:7], v[171:172]
	v_mul_f64_e32 v[171:172], v[8:9], v[171:172]
	ds_load_b128 v[2:5], v1 offset:1920
	v_fma_f64 v[181:182], v[8:9], v[169:170], v[181:182]
	v_fma_f64 v[169:170], v[6:7], v[169:170], -v[171:172]
	ds_load_b128 v[6:9], v1 offset:1904
	s_wait_loadcnt_dscnt 0x700
	v_mul_f64_e32 v[171:172], v[6:7], v[16:17]
	v_mul_f64_e32 v[16:17], v[8:9], v[16:17]
	v_add_f64_e32 v[40:41], v[40:41], v[181:182]
	v_add_f64_e32 v[38:39], v[38:39], v[169:170]
	s_wait_loadcnt 0x6
	v_mul_f64_e32 v[169:170], v[2:3], v[20:21]
	v_mul_f64_e32 v[20:21], v[4:5], v[20:21]
	v_fma_f64 v[171:172], v[8:9], v[14:15], v[171:172]
	v_fma_f64 v[14:15], v[6:7], v[14:15], -v[16:17]
	ds_load_b128 v[6:9], v1 offset:1936
	v_add_f64_e32 v[16:17], v[38:39], v[179:180]
	v_add_f64_e32 v[38:39], v[40:41], v[177:178]
	v_fma_f64 v[169:170], v[4:5], v[18:19], v[169:170]
	v_fma_f64 v[18:19], v[2:3], v[18:19], -v[20:21]
	ds_load_b128 v[2:5], v1 offset:1952
	s_wait_loadcnt_dscnt 0x501
	v_mul_f64_e32 v[40:41], v[6:7], v[24:25]
	v_mul_f64_e32 v[24:25], v[8:9], v[24:25]
	s_wait_loadcnt_dscnt 0x400
	v_mul_f64_e32 v[20:21], v[2:3], v[28:29]
	v_mul_f64_e32 v[28:29], v[4:5], v[28:29]
	v_add_f64_e32 v[14:15], v[16:17], v[14:15]
	v_add_f64_e32 v[16:17], v[38:39], v[171:172]
	v_fma_f64 v[38:39], v[8:9], v[22:23], v[40:41]
	v_fma_f64 v[22:23], v[6:7], v[22:23], -v[24:25]
	ds_load_b128 v[6:9], v1 offset:1968
	v_fma_f64 v[20:21], v[4:5], v[26:27], v[20:21]
	v_fma_f64 v[26:27], v[2:3], v[26:27], -v[28:29]
	ds_load_b128 v[2:5], v1 offset:1984
	s_wait_loadcnt_dscnt 0x301
	v_mul_f64_e32 v[24:25], v[8:9], v[32:33]
	v_add_f64_e32 v[14:15], v[14:15], v[18:19]
	v_add_f64_e32 v[16:17], v[16:17], v[169:170]
	v_mul_f64_e32 v[18:19], v[6:7], v[32:33]
	s_wait_loadcnt_dscnt 0x200
	v_mul_f64_e32 v[28:29], v[4:5], v[36:37]
	v_fma_f64 v[24:25], v[6:7], v[30:31], -v[24:25]
	v_add_f64_e32 v[14:15], v[14:15], v[22:23]
	v_add_f64_e32 v[16:17], v[16:17], v[38:39]
	v_mul_f64_e32 v[22:23], v[2:3], v[36:37]
	v_fma_f64 v[18:19], v[8:9], v[30:31], v[18:19]
	ds_load_b128 v[6:9], v1 offset:2000
	v_fma_f64 v[1:2], v[2:3], v[34:35], -v[28:29]
	v_add_f64_e32 v[14:15], v[14:15], v[26:27]
	v_add_f64_e32 v[16:17], v[16:17], v[20:21]
	s_wait_loadcnt_dscnt 0x100
	v_mul_f64_e32 v[20:21], v[6:7], v[175:176]
	v_mul_f64_e32 v[26:27], v[8:9], v[175:176]
	v_fma_f64 v[4:5], v[4:5], v[34:35], v[22:23]
	v_add_f64_e32 v[14:15], v[14:15], v[24:25]
	v_add_f64_e32 v[16:17], v[16:17], v[18:19]
	v_fma_f64 v[8:9], v[8:9], v[173:174], v[20:21]
	v_fma_f64 v[6:7], v[6:7], v[173:174], -v[26:27]
	s_delay_alu instid0(VALU_DEP_4) | instskip(NEXT) | instid1(VALU_DEP_4)
	v_add_f64_e32 v[1:2], v[14:15], v[1:2]
	v_add_f64_e32 v[3:4], v[16:17], v[4:5]
	s_delay_alu instid0(VALU_DEP_2) | instskip(NEXT) | instid1(VALU_DEP_2)
	v_add_f64_e32 v[1:2], v[1:2], v[6:7]
	v_add_f64_e32 v[3:4], v[3:4], v[8:9]
	s_wait_loadcnt 0x0
	s_delay_alu instid0(VALU_DEP_2) | instskip(NEXT) | instid1(VALU_DEP_2)
	v_add_f64_e64 v[1:2], v[10:11], -v[1:2]
	v_add_f64_e64 v[3:4], v[12:13], -v[3:4]
	scratch_store_b128 off, v[1:4], off offset:368
	v_cmpx_lt_u32_e32 21, v0
	s_cbranch_execz .LBB62_361
; %bb.360:
	scratch_load_b128 v[1:4], off, s53
	v_mov_b32_e32 v5, 0
	s_delay_alu instid0(VALU_DEP_1)
	v_dual_mov_b32 v6, v5 :: v_dual_mov_b32 v7, v5
	v_mov_b32_e32 v8, v5
	scratch_store_b128 off, v[5:8], off offset:352
	s_wait_loadcnt 0x0
	ds_store_b128 v168, v[1:4]
.LBB62_361:
	s_wait_alu 0xfffe
	s_or_b32 exec_lo, exec_lo, s0
	s_wait_storecnt_dscnt 0x0
	s_barrier_signal -1
	s_barrier_wait -1
	global_inv scope:SCOPE_SE
	s_clause 0x7
	scratch_load_b128 v[2:5], off, off offset:368
	scratch_load_b128 v[6:9], off, off offset:384
	;; [unrolled: 1-line block ×8, first 2 shown]
	v_mov_b32_e32 v1, 0
	s_clause 0x1
	scratch_load_b128 v[34:37], off, off offset:496
	scratch_load_b128 v[173:176], off, off offset:512
	s_mov_b32 s0, exec_lo
	ds_load_b128 v[38:41], v1 offset:1360
	ds_load_b128 v[169:172], v1 offset:1376
	s_wait_loadcnt_dscnt 0x901
	v_mul_f64_e32 v[177:178], v[40:41], v[4:5]
	v_mul_f64_e32 v[4:5], v[38:39], v[4:5]
	s_wait_loadcnt_dscnt 0x800
	v_mul_f64_e32 v[179:180], v[169:170], v[8:9]
	v_mul_f64_e32 v[8:9], v[171:172], v[8:9]
	s_delay_alu instid0(VALU_DEP_4) | instskip(NEXT) | instid1(VALU_DEP_4)
	v_fma_f64 v[177:178], v[38:39], v[2:3], -v[177:178]
	v_fma_f64 v[181:182], v[40:41], v[2:3], v[4:5]
	ds_load_b128 v[2:5], v1 offset:1392
	scratch_load_b128 v[38:41], off, off offset:528
	v_fma_f64 v[179:180], v[171:172], v[6:7], v[179:180]
	v_fma_f64 v[185:186], v[169:170], v[6:7], -v[8:9]
	ds_load_b128 v[6:9], v1 offset:1408
	scratch_load_b128 v[169:172], off, off offset:544
	s_wait_loadcnt_dscnt 0x901
	v_mul_f64_e32 v[183:184], v[2:3], v[12:13]
	v_mul_f64_e32 v[12:13], v[4:5], v[12:13]
	s_wait_loadcnt_dscnt 0x800
	v_mul_f64_e32 v[187:188], v[6:7], v[16:17]
	v_mul_f64_e32 v[16:17], v[8:9], v[16:17]
	v_add_f64_e32 v[177:178], 0, v[177:178]
	v_add_f64_e32 v[181:182], 0, v[181:182]
	v_fma_f64 v[183:184], v[4:5], v[10:11], v[183:184]
	v_fma_f64 v[189:190], v[2:3], v[10:11], -v[12:13]
	ds_load_b128 v[2:5], v1 offset:1424
	scratch_load_b128 v[10:13], off, off offset:560
	v_add_f64_e32 v[177:178], v[177:178], v[185:186]
	v_add_f64_e32 v[179:180], v[181:182], v[179:180]
	v_fma_f64 v[185:186], v[8:9], v[14:15], v[187:188]
	v_fma_f64 v[187:188], v[6:7], v[14:15], -v[16:17]
	ds_load_b128 v[6:9], v1 offset:1440
	scratch_load_b128 v[14:17], off, off offset:576
	s_wait_loadcnt_dscnt 0x901
	v_mul_f64_e32 v[181:182], v[2:3], v[20:21]
	v_mul_f64_e32 v[20:21], v[4:5], v[20:21]
	v_add_f64_e32 v[177:178], v[177:178], v[189:190]
	v_add_f64_e32 v[179:180], v[179:180], v[183:184]
	s_wait_loadcnt_dscnt 0x800
	v_mul_f64_e32 v[183:184], v[6:7], v[24:25]
	v_mul_f64_e32 v[24:25], v[8:9], v[24:25]
	v_fma_f64 v[181:182], v[4:5], v[18:19], v[181:182]
	v_fma_f64 v[189:190], v[2:3], v[18:19], -v[20:21]
	ds_load_b128 v[2:5], v1 offset:1456
	scratch_load_b128 v[18:21], off, off offset:592
	v_add_f64_e32 v[177:178], v[177:178], v[187:188]
	v_add_f64_e32 v[179:180], v[179:180], v[185:186]
	v_fma_f64 v[183:184], v[8:9], v[22:23], v[183:184]
	v_fma_f64 v[187:188], v[6:7], v[22:23], -v[24:25]
	ds_load_b128 v[6:9], v1 offset:1472
	s_wait_loadcnt_dscnt 0x801
	v_mul_f64_e32 v[185:186], v[2:3], v[28:29]
	v_mul_f64_e32 v[28:29], v[4:5], v[28:29]
	scratch_load_b128 v[22:25], off, off offset:608
	v_add_f64_e32 v[177:178], v[177:178], v[189:190]
	v_add_f64_e32 v[179:180], v[179:180], v[181:182]
	s_wait_loadcnt_dscnt 0x800
	v_mul_f64_e32 v[181:182], v[6:7], v[32:33]
	v_mul_f64_e32 v[32:33], v[8:9], v[32:33]
	v_fma_f64 v[185:186], v[4:5], v[26:27], v[185:186]
	v_fma_f64 v[189:190], v[2:3], v[26:27], -v[28:29]
	ds_load_b128 v[2:5], v1 offset:1488
	scratch_load_b128 v[26:29], off, off offset:624
	v_add_f64_e32 v[177:178], v[177:178], v[187:188]
	v_add_f64_e32 v[179:180], v[179:180], v[183:184]
	v_fma_f64 v[181:182], v[8:9], v[30:31], v[181:182]
	v_fma_f64 v[187:188], v[6:7], v[30:31], -v[32:33]
	ds_load_b128 v[6:9], v1 offset:1504
	s_wait_loadcnt_dscnt 0x801
	v_mul_f64_e32 v[183:184], v[2:3], v[36:37]
	v_mul_f64_e32 v[36:37], v[4:5], v[36:37]
	scratch_load_b128 v[30:33], off, off offset:640
	v_add_f64_e32 v[177:178], v[177:178], v[189:190]
	v_add_f64_e32 v[179:180], v[179:180], v[185:186]
	s_wait_loadcnt_dscnt 0x800
	v_mul_f64_e32 v[185:186], v[6:7], v[175:176]
	v_mul_f64_e32 v[175:176], v[8:9], v[175:176]
	v_fma_f64 v[183:184], v[4:5], v[34:35], v[183:184]
	v_fma_f64 v[189:190], v[2:3], v[34:35], -v[36:37]
	ds_load_b128 v[2:5], v1 offset:1520
	scratch_load_b128 v[34:37], off, off offset:656
	v_add_f64_e32 v[177:178], v[177:178], v[187:188]
	v_add_f64_e32 v[179:180], v[179:180], v[181:182]
	v_fma_f64 v[185:186], v[8:9], v[173:174], v[185:186]
	v_fma_f64 v[187:188], v[6:7], v[173:174], -v[175:176]
	ds_load_b128 v[6:9], v1 offset:1536
	scratch_load_b128 v[173:176], off, off offset:672
	s_wait_loadcnt_dscnt 0x901
	v_mul_f64_e32 v[181:182], v[2:3], v[40:41]
	v_mul_f64_e32 v[40:41], v[4:5], v[40:41]
	v_add_f64_e32 v[177:178], v[177:178], v[189:190]
	v_add_f64_e32 v[179:180], v[179:180], v[183:184]
	s_wait_loadcnt_dscnt 0x800
	v_mul_f64_e32 v[183:184], v[6:7], v[171:172]
	v_mul_f64_e32 v[171:172], v[8:9], v[171:172]
	v_fma_f64 v[181:182], v[4:5], v[38:39], v[181:182]
	v_fma_f64 v[189:190], v[2:3], v[38:39], -v[40:41]
	ds_load_b128 v[2:5], v1 offset:1552
	scratch_load_b128 v[38:41], off, off offset:688
	v_add_f64_e32 v[177:178], v[177:178], v[187:188]
	v_add_f64_e32 v[179:180], v[179:180], v[185:186]
	v_fma_f64 v[183:184], v[8:9], v[169:170], v[183:184]
	v_fma_f64 v[187:188], v[6:7], v[169:170], -v[171:172]
	ds_load_b128 v[6:9], v1 offset:1568
	s_wait_loadcnt_dscnt 0x801
	v_mul_f64_e32 v[185:186], v[2:3], v[12:13]
	v_mul_f64_e32 v[12:13], v[4:5], v[12:13]
	scratch_load_b128 v[169:172], off, off offset:704
	v_add_f64_e32 v[177:178], v[177:178], v[189:190]
	v_add_f64_e32 v[179:180], v[179:180], v[181:182]
	s_wait_loadcnt_dscnt 0x800
	v_mul_f64_e32 v[181:182], v[6:7], v[16:17]
	v_mul_f64_e32 v[16:17], v[8:9], v[16:17]
	v_fma_f64 v[185:186], v[4:5], v[10:11], v[185:186]
	v_fma_f64 v[189:190], v[2:3], v[10:11], -v[12:13]
	ds_load_b128 v[2:5], v1 offset:1584
	scratch_load_b128 v[10:13], off, off offset:720
	v_add_f64_e32 v[177:178], v[177:178], v[187:188]
	v_add_f64_e32 v[179:180], v[179:180], v[183:184]
	v_fma_f64 v[181:182], v[8:9], v[14:15], v[181:182]
	v_fma_f64 v[187:188], v[6:7], v[14:15], -v[16:17]
	ds_load_b128 v[6:9], v1 offset:1600
	s_wait_loadcnt_dscnt 0x801
	v_mul_f64_e32 v[183:184], v[2:3], v[20:21]
	v_mul_f64_e32 v[20:21], v[4:5], v[20:21]
	scratch_load_b128 v[14:17], off, off offset:736
	;; [unrolled: 18-line block ×10, first 2 shown]
	v_add_f64_e32 v[177:178], v[177:178], v[189:190]
	v_add_f64_e32 v[179:180], v[179:180], v[181:182]
	s_wait_loadcnt_dscnt 0x800
	v_mul_f64_e32 v[181:182], v[6:7], v[171:172]
	v_mul_f64_e32 v[171:172], v[8:9], v[171:172]
	v_fma_f64 v[185:186], v[4:5], v[38:39], v[185:186]
	v_fma_f64 v[189:190], v[2:3], v[38:39], -v[40:41]
	ds_load_b128 v[2:5], v1 offset:1872
	scratch_load_b128 v[38:41], off, off offset:1008
	v_add_f64_e32 v[177:178], v[177:178], v[187:188]
	v_add_f64_e32 v[179:180], v[179:180], v[183:184]
	v_fma_f64 v[181:182], v[8:9], v[169:170], v[181:182]
	v_fma_f64 v[169:170], v[6:7], v[169:170], -v[171:172]
	ds_load_b128 v[6:9], v1 offset:1888
	s_wait_loadcnt_dscnt 0x801
	v_mul_f64_e32 v[183:184], v[2:3], v[12:13]
	v_mul_f64_e32 v[12:13], v[4:5], v[12:13]
	v_add_f64_e32 v[171:172], v[177:178], v[189:190]
	v_add_f64_e32 v[177:178], v[179:180], v[185:186]
	s_wait_loadcnt_dscnt 0x700
	v_mul_f64_e32 v[179:180], v[6:7], v[16:17]
	v_mul_f64_e32 v[16:17], v[8:9], v[16:17]
	v_fma_f64 v[183:184], v[4:5], v[10:11], v[183:184]
	v_fma_f64 v[10:11], v[2:3], v[10:11], -v[12:13]
	ds_load_b128 v[2:5], v1 offset:1904
	v_add_f64_e32 v[12:13], v[171:172], v[169:170]
	v_add_f64_e32 v[169:170], v[177:178], v[181:182]
	v_fma_f64 v[177:178], v[8:9], v[14:15], v[179:180]
	v_fma_f64 v[14:15], v[6:7], v[14:15], -v[16:17]
	ds_load_b128 v[6:9], v1 offset:1920
	s_wait_loadcnt_dscnt 0x500
	v_mul_f64_e32 v[179:180], v[6:7], v[24:25]
	v_mul_f64_e32 v[24:25], v[8:9], v[24:25]
	v_add_f64_e32 v[16:17], v[12:13], v[10:11]
	v_add_f64_e32 v[169:170], v[169:170], v[183:184]
	scratch_load_b128 v[10:13], off, off offset:352
	v_mul_f64_e32 v[171:172], v[2:3], v[20:21]
	v_mul_f64_e32 v[20:21], v[4:5], v[20:21]
	v_add_f64_e32 v[14:15], v[16:17], v[14:15]
	v_add_f64_e32 v[16:17], v[169:170], v[177:178]
	v_fma_f64 v[169:170], v[8:9], v[22:23], v[179:180]
	v_fma_f64 v[171:172], v[4:5], v[18:19], v[171:172]
	v_fma_f64 v[18:19], v[2:3], v[18:19], -v[20:21]
	ds_load_b128 v[2:5], v1 offset:1936
	v_fma_f64 v[22:23], v[6:7], v[22:23], -v[24:25]
	ds_load_b128 v[6:9], v1 offset:1952
	s_wait_loadcnt_dscnt 0x501
	v_mul_f64_e32 v[20:21], v[2:3], v[28:29]
	v_mul_f64_e32 v[28:29], v[4:5], v[28:29]
	s_wait_loadcnt_dscnt 0x400
	v_mul_f64_e32 v[24:25], v[8:9], v[32:33]
	v_add_f64_e32 v[16:17], v[16:17], v[171:172]
	v_add_f64_e32 v[14:15], v[14:15], v[18:19]
	v_mul_f64_e32 v[18:19], v[6:7], v[32:33]
	v_fma_f64 v[20:21], v[4:5], v[26:27], v[20:21]
	v_fma_f64 v[26:27], v[2:3], v[26:27], -v[28:29]
	ds_load_b128 v[2:5], v1 offset:1968
	v_fma_f64 v[24:25], v[6:7], v[30:31], -v[24:25]
	v_add_f64_e32 v[16:17], v[16:17], v[169:170]
	v_add_f64_e32 v[14:15], v[14:15], v[22:23]
	v_fma_f64 v[18:19], v[8:9], v[30:31], v[18:19]
	ds_load_b128 v[6:9], v1 offset:1984
	s_wait_loadcnt_dscnt 0x301
	v_mul_f64_e32 v[22:23], v[2:3], v[36:37]
	v_mul_f64_e32 v[28:29], v[4:5], v[36:37]
	v_add_f64_e32 v[16:17], v[16:17], v[20:21]
	v_add_f64_e32 v[14:15], v[14:15], v[26:27]
	s_wait_loadcnt_dscnt 0x200
	v_mul_f64_e32 v[20:21], v[6:7], v[175:176]
	v_mul_f64_e32 v[26:27], v[8:9], v[175:176]
	v_fma_f64 v[22:23], v[4:5], v[34:35], v[22:23]
	v_fma_f64 v[28:29], v[2:3], v[34:35], -v[28:29]
	ds_load_b128 v[2:5], v1 offset:2000
	v_add_f64_e32 v[16:17], v[16:17], v[18:19]
	v_add_f64_e32 v[14:15], v[14:15], v[24:25]
	s_wait_loadcnt_dscnt 0x100
	v_mul_f64_e32 v[18:19], v[2:3], v[40:41]
	v_mul_f64_e32 v[24:25], v[4:5], v[40:41]
	v_fma_f64 v[8:9], v[8:9], v[173:174], v[20:21]
	v_fma_f64 v[6:7], v[6:7], v[173:174], -v[26:27]
	v_add_f64_e32 v[16:17], v[16:17], v[22:23]
	v_add_f64_e32 v[14:15], v[14:15], v[28:29]
	v_fma_f64 v[4:5], v[4:5], v[38:39], v[18:19]
	v_fma_f64 v[2:3], v[2:3], v[38:39], -v[24:25]
	s_delay_alu instid0(VALU_DEP_4) | instskip(NEXT) | instid1(VALU_DEP_4)
	v_add_f64_e32 v[8:9], v[16:17], v[8:9]
	v_add_f64_e32 v[6:7], v[14:15], v[6:7]
	s_delay_alu instid0(VALU_DEP_2) | instskip(NEXT) | instid1(VALU_DEP_2)
	v_add_f64_e32 v[4:5], v[8:9], v[4:5]
	v_add_f64_e32 v[2:3], v[6:7], v[2:3]
	s_wait_loadcnt 0x0
	s_delay_alu instid0(VALU_DEP_2) | instskip(NEXT) | instid1(VALU_DEP_2)
	v_add_f64_e64 v[4:5], v[12:13], -v[4:5]
	v_add_f64_e64 v[2:3], v[10:11], -v[2:3]
	scratch_store_b128 off, v[2:5], off offset:352
	v_cmpx_lt_u32_e32 20, v0
	s_cbranch_execz .LBB62_363
; %bb.362:
	scratch_load_b128 v[5:8], off, s54
	v_dual_mov_b32 v2, v1 :: v_dual_mov_b32 v3, v1
	v_mov_b32_e32 v4, v1
	scratch_store_b128 off, v[1:4], off offset:336
	s_wait_loadcnt 0x0
	ds_store_b128 v168, v[5:8]
.LBB62_363:
	s_wait_alu 0xfffe
	s_or_b32 exec_lo, exec_lo, s0
	s_wait_storecnt_dscnt 0x0
	s_barrier_signal -1
	s_barrier_wait -1
	global_inv scope:SCOPE_SE
	s_clause 0x7
	scratch_load_b128 v[2:5], off, off offset:352
	scratch_load_b128 v[6:9], off, off offset:368
	;; [unrolled: 1-line block ×8, first 2 shown]
	ds_load_b128 v[38:41], v1 offset:1344
	ds_load_b128 v[169:172], v1 offset:1360
	s_clause 0x1
	scratch_load_b128 v[34:37], off, off offset:480
	scratch_load_b128 v[173:176], off, off offset:496
	s_mov_b32 s0, exec_lo
	s_wait_loadcnt_dscnt 0x901
	v_mul_f64_e32 v[177:178], v[40:41], v[4:5]
	v_mul_f64_e32 v[4:5], v[38:39], v[4:5]
	s_wait_loadcnt_dscnt 0x800
	v_mul_f64_e32 v[179:180], v[169:170], v[8:9]
	v_mul_f64_e32 v[8:9], v[171:172], v[8:9]
	s_delay_alu instid0(VALU_DEP_4) | instskip(NEXT) | instid1(VALU_DEP_4)
	v_fma_f64 v[177:178], v[38:39], v[2:3], -v[177:178]
	v_fma_f64 v[181:182], v[40:41], v[2:3], v[4:5]
	ds_load_b128 v[2:5], v1 offset:1376
	scratch_load_b128 v[38:41], off, off offset:512
	v_fma_f64 v[179:180], v[171:172], v[6:7], v[179:180]
	v_fma_f64 v[185:186], v[169:170], v[6:7], -v[8:9]
	ds_load_b128 v[6:9], v1 offset:1392
	scratch_load_b128 v[169:172], off, off offset:528
	s_wait_loadcnt_dscnt 0x901
	v_mul_f64_e32 v[183:184], v[2:3], v[12:13]
	v_mul_f64_e32 v[12:13], v[4:5], v[12:13]
	s_wait_loadcnt_dscnt 0x800
	v_mul_f64_e32 v[187:188], v[6:7], v[16:17]
	v_mul_f64_e32 v[16:17], v[8:9], v[16:17]
	v_add_f64_e32 v[177:178], 0, v[177:178]
	v_add_f64_e32 v[181:182], 0, v[181:182]
	v_fma_f64 v[183:184], v[4:5], v[10:11], v[183:184]
	v_fma_f64 v[189:190], v[2:3], v[10:11], -v[12:13]
	ds_load_b128 v[2:5], v1 offset:1408
	scratch_load_b128 v[10:13], off, off offset:544
	v_add_f64_e32 v[177:178], v[177:178], v[185:186]
	v_add_f64_e32 v[179:180], v[181:182], v[179:180]
	v_fma_f64 v[185:186], v[8:9], v[14:15], v[187:188]
	v_fma_f64 v[187:188], v[6:7], v[14:15], -v[16:17]
	ds_load_b128 v[6:9], v1 offset:1424
	scratch_load_b128 v[14:17], off, off offset:560
	s_wait_loadcnt_dscnt 0x901
	v_mul_f64_e32 v[181:182], v[2:3], v[20:21]
	v_mul_f64_e32 v[20:21], v[4:5], v[20:21]
	v_add_f64_e32 v[177:178], v[177:178], v[189:190]
	v_add_f64_e32 v[179:180], v[179:180], v[183:184]
	s_wait_loadcnt_dscnt 0x800
	v_mul_f64_e32 v[183:184], v[6:7], v[24:25]
	v_mul_f64_e32 v[24:25], v[8:9], v[24:25]
	v_fma_f64 v[181:182], v[4:5], v[18:19], v[181:182]
	v_fma_f64 v[189:190], v[2:3], v[18:19], -v[20:21]
	ds_load_b128 v[2:5], v1 offset:1440
	scratch_load_b128 v[18:21], off, off offset:576
	v_add_f64_e32 v[177:178], v[177:178], v[187:188]
	v_add_f64_e32 v[179:180], v[179:180], v[185:186]
	v_fma_f64 v[183:184], v[8:9], v[22:23], v[183:184]
	v_fma_f64 v[187:188], v[6:7], v[22:23], -v[24:25]
	ds_load_b128 v[6:9], v1 offset:1456
	s_wait_loadcnt_dscnt 0x801
	v_mul_f64_e32 v[185:186], v[2:3], v[28:29]
	v_mul_f64_e32 v[28:29], v[4:5], v[28:29]
	scratch_load_b128 v[22:25], off, off offset:592
	v_add_f64_e32 v[177:178], v[177:178], v[189:190]
	v_add_f64_e32 v[179:180], v[179:180], v[181:182]
	s_wait_loadcnt_dscnt 0x800
	v_mul_f64_e32 v[181:182], v[6:7], v[32:33]
	v_mul_f64_e32 v[32:33], v[8:9], v[32:33]
	v_fma_f64 v[185:186], v[4:5], v[26:27], v[185:186]
	v_fma_f64 v[189:190], v[2:3], v[26:27], -v[28:29]
	ds_load_b128 v[2:5], v1 offset:1472
	scratch_load_b128 v[26:29], off, off offset:608
	v_add_f64_e32 v[177:178], v[177:178], v[187:188]
	v_add_f64_e32 v[179:180], v[179:180], v[183:184]
	v_fma_f64 v[181:182], v[8:9], v[30:31], v[181:182]
	v_fma_f64 v[187:188], v[6:7], v[30:31], -v[32:33]
	ds_load_b128 v[6:9], v1 offset:1488
	s_wait_loadcnt_dscnt 0x801
	v_mul_f64_e32 v[183:184], v[2:3], v[36:37]
	v_mul_f64_e32 v[36:37], v[4:5], v[36:37]
	scratch_load_b128 v[30:33], off, off offset:624
	v_add_f64_e32 v[177:178], v[177:178], v[189:190]
	v_add_f64_e32 v[179:180], v[179:180], v[185:186]
	s_wait_loadcnt_dscnt 0x800
	v_mul_f64_e32 v[185:186], v[6:7], v[175:176]
	v_mul_f64_e32 v[175:176], v[8:9], v[175:176]
	v_fma_f64 v[183:184], v[4:5], v[34:35], v[183:184]
	v_fma_f64 v[189:190], v[2:3], v[34:35], -v[36:37]
	ds_load_b128 v[2:5], v1 offset:1504
	scratch_load_b128 v[34:37], off, off offset:640
	v_add_f64_e32 v[177:178], v[177:178], v[187:188]
	v_add_f64_e32 v[179:180], v[179:180], v[181:182]
	v_fma_f64 v[185:186], v[8:9], v[173:174], v[185:186]
	v_fma_f64 v[187:188], v[6:7], v[173:174], -v[175:176]
	ds_load_b128 v[6:9], v1 offset:1520
	scratch_load_b128 v[173:176], off, off offset:656
	s_wait_loadcnt_dscnt 0x901
	v_mul_f64_e32 v[181:182], v[2:3], v[40:41]
	v_mul_f64_e32 v[40:41], v[4:5], v[40:41]
	v_add_f64_e32 v[177:178], v[177:178], v[189:190]
	v_add_f64_e32 v[179:180], v[179:180], v[183:184]
	s_wait_loadcnt_dscnt 0x800
	v_mul_f64_e32 v[183:184], v[6:7], v[171:172]
	v_mul_f64_e32 v[171:172], v[8:9], v[171:172]
	v_fma_f64 v[181:182], v[4:5], v[38:39], v[181:182]
	v_fma_f64 v[189:190], v[2:3], v[38:39], -v[40:41]
	ds_load_b128 v[2:5], v1 offset:1536
	scratch_load_b128 v[38:41], off, off offset:672
	v_add_f64_e32 v[177:178], v[177:178], v[187:188]
	v_add_f64_e32 v[179:180], v[179:180], v[185:186]
	v_fma_f64 v[183:184], v[8:9], v[169:170], v[183:184]
	v_fma_f64 v[187:188], v[6:7], v[169:170], -v[171:172]
	ds_load_b128 v[6:9], v1 offset:1552
	s_wait_loadcnt_dscnt 0x801
	v_mul_f64_e32 v[185:186], v[2:3], v[12:13]
	v_mul_f64_e32 v[12:13], v[4:5], v[12:13]
	scratch_load_b128 v[169:172], off, off offset:688
	v_add_f64_e32 v[177:178], v[177:178], v[189:190]
	v_add_f64_e32 v[179:180], v[179:180], v[181:182]
	s_wait_loadcnt_dscnt 0x800
	v_mul_f64_e32 v[181:182], v[6:7], v[16:17]
	v_mul_f64_e32 v[16:17], v[8:9], v[16:17]
	v_fma_f64 v[185:186], v[4:5], v[10:11], v[185:186]
	v_fma_f64 v[189:190], v[2:3], v[10:11], -v[12:13]
	ds_load_b128 v[2:5], v1 offset:1568
	scratch_load_b128 v[10:13], off, off offset:704
	v_add_f64_e32 v[177:178], v[177:178], v[187:188]
	v_add_f64_e32 v[179:180], v[179:180], v[183:184]
	v_fma_f64 v[181:182], v[8:9], v[14:15], v[181:182]
	v_fma_f64 v[187:188], v[6:7], v[14:15], -v[16:17]
	ds_load_b128 v[6:9], v1 offset:1584
	s_wait_loadcnt_dscnt 0x801
	v_mul_f64_e32 v[183:184], v[2:3], v[20:21]
	v_mul_f64_e32 v[20:21], v[4:5], v[20:21]
	scratch_load_b128 v[14:17], off, off offset:720
	;; [unrolled: 18-line block ×11, first 2 shown]
	v_add_f64_e32 v[177:178], v[177:178], v[189:190]
	v_add_f64_e32 v[179:180], v[179:180], v[185:186]
	s_wait_loadcnt_dscnt 0x800
	v_mul_f64_e32 v[185:186], v[6:7], v[16:17]
	v_mul_f64_e32 v[16:17], v[8:9], v[16:17]
	v_fma_f64 v[183:184], v[4:5], v[10:11], v[183:184]
	v_fma_f64 v[10:11], v[2:3], v[10:11], -v[12:13]
	ds_load_b128 v[2:5], v1 offset:1888
	v_add_f64_e32 v[12:13], v[177:178], v[187:188]
	v_add_f64_e32 v[177:178], v[179:180], v[181:182]
	v_fma_f64 v[181:182], v[8:9], v[14:15], v[185:186]
	v_fma_f64 v[14:15], v[6:7], v[14:15], -v[16:17]
	ds_load_b128 v[6:9], v1 offset:1904
	s_wait_loadcnt_dscnt 0x701
	v_mul_f64_e32 v[179:180], v[2:3], v[20:21]
	v_mul_f64_e32 v[20:21], v[4:5], v[20:21]
	v_add_f64_e32 v[10:11], v[12:13], v[10:11]
	v_add_f64_e32 v[12:13], v[177:178], v[183:184]
	s_delay_alu instid0(VALU_DEP_4) | instskip(NEXT) | instid1(VALU_DEP_4)
	v_fma_f64 v[177:178], v[4:5], v[18:19], v[179:180]
	v_fma_f64 v[18:19], v[2:3], v[18:19], -v[20:21]
	ds_load_b128 v[2:5], v1 offset:1920
	v_add_f64_e32 v[14:15], v[10:11], v[14:15]
	v_add_f64_e32 v[20:21], v[12:13], v[181:182]
	scratch_load_b128 v[10:13], off, off offset:336
	s_wait_loadcnt_dscnt 0x701
	v_mul_f64_e32 v[16:17], v[6:7], v[24:25]
	v_mul_f64_e32 v[24:25], v[8:9], v[24:25]
	v_add_f64_e32 v[14:15], v[14:15], v[18:19]
	v_add_f64_e32 v[18:19], v[20:21], v[177:178]
	s_delay_alu instid0(VALU_DEP_4) | instskip(NEXT) | instid1(VALU_DEP_4)
	v_fma_f64 v[16:17], v[8:9], v[22:23], v[16:17]
	v_fma_f64 v[22:23], v[6:7], v[22:23], -v[24:25]
	ds_load_b128 v[6:9], v1 offset:1936
	s_wait_loadcnt_dscnt 0x601
	v_mul_f64_e32 v[179:180], v[2:3], v[28:29]
	v_mul_f64_e32 v[28:29], v[4:5], v[28:29]
	s_wait_loadcnt_dscnt 0x500
	v_mul_f64_e32 v[20:21], v[6:7], v[32:33]
	v_mul_f64_e32 v[24:25], v[8:9], v[32:33]
	v_add_f64_e32 v[16:17], v[18:19], v[16:17]
	v_add_f64_e32 v[14:15], v[14:15], v[22:23]
	v_fma_f64 v[32:33], v[4:5], v[26:27], v[179:180]
	v_fma_f64 v[26:27], v[2:3], v[26:27], -v[28:29]
	ds_load_b128 v[2:5], v1 offset:1952
	v_fma_f64 v[20:21], v[8:9], v[30:31], v[20:21]
	v_fma_f64 v[24:25], v[6:7], v[30:31], -v[24:25]
	ds_load_b128 v[6:9], v1 offset:1968
	s_wait_loadcnt_dscnt 0x401
	v_mul_f64_e32 v[18:19], v[2:3], v[36:37]
	v_mul_f64_e32 v[22:23], v[4:5], v[36:37]
	v_add_f64_e32 v[16:17], v[16:17], v[32:33]
	v_add_f64_e32 v[14:15], v[14:15], v[26:27]
	s_wait_loadcnt_dscnt 0x300
	v_mul_f64_e32 v[26:27], v[6:7], v[175:176]
	v_mul_f64_e32 v[28:29], v[8:9], v[175:176]
	v_fma_f64 v[18:19], v[4:5], v[34:35], v[18:19]
	v_fma_f64 v[22:23], v[2:3], v[34:35], -v[22:23]
	ds_load_b128 v[2:5], v1 offset:1984
	v_add_f64_e32 v[16:17], v[16:17], v[20:21]
	v_add_f64_e32 v[14:15], v[14:15], v[24:25]
	v_fma_f64 v[26:27], v[8:9], v[173:174], v[26:27]
	v_fma_f64 v[28:29], v[6:7], v[173:174], -v[28:29]
	ds_load_b128 v[6:9], v1 offset:2000
	s_wait_loadcnt_dscnt 0x201
	v_mul_f64_e32 v[20:21], v[2:3], v[40:41]
	v_mul_f64_e32 v[24:25], v[4:5], v[40:41]
	v_add_f64_e32 v[16:17], v[16:17], v[18:19]
	v_add_f64_e32 v[14:15], v[14:15], v[22:23]
	s_wait_loadcnt_dscnt 0x100
	v_mul_f64_e32 v[18:19], v[6:7], v[171:172]
	v_mul_f64_e32 v[22:23], v[8:9], v[171:172]
	v_fma_f64 v[4:5], v[4:5], v[38:39], v[20:21]
	v_fma_f64 v[1:2], v[2:3], v[38:39], -v[24:25]
	v_add_f64_e32 v[16:17], v[16:17], v[26:27]
	v_add_f64_e32 v[14:15], v[14:15], v[28:29]
	v_fma_f64 v[8:9], v[8:9], v[169:170], v[18:19]
	v_fma_f64 v[6:7], v[6:7], v[169:170], -v[22:23]
	s_delay_alu instid0(VALU_DEP_4) | instskip(NEXT) | instid1(VALU_DEP_4)
	v_add_f64_e32 v[3:4], v[16:17], v[4:5]
	v_add_f64_e32 v[1:2], v[14:15], v[1:2]
	s_delay_alu instid0(VALU_DEP_2) | instskip(NEXT) | instid1(VALU_DEP_2)
	v_add_f64_e32 v[3:4], v[3:4], v[8:9]
	v_add_f64_e32 v[1:2], v[1:2], v[6:7]
	s_wait_loadcnt 0x0
	s_delay_alu instid0(VALU_DEP_2) | instskip(NEXT) | instid1(VALU_DEP_2)
	v_add_f64_e64 v[3:4], v[12:13], -v[3:4]
	v_add_f64_e64 v[1:2], v[10:11], -v[1:2]
	scratch_store_b128 off, v[1:4], off offset:336
	v_cmpx_lt_u32_e32 19, v0
	s_cbranch_execz .LBB62_365
; %bb.364:
	scratch_load_b128 v[1:4], off, s55
	v_mov_b32_e32 v5, 0
	s_delay_alu instid0(VALU_DEP_1)
	v_dual_mov_b32 v6, v5 :: v_dual_mov_b32 v7, v5
	v_mov_b32_e32 v8, v5
	scratch_store_b128 off, v[5:8], off offset:320
	s_wait_loadcnt 0x0
	ds_store_b128 v168, v[1:4]
.LBB62_365:
	s_wait_alu 0xfffe
	s_or_b32 exec_lo, exec_lo, s0
	s_wait_storecnt_dscnt 0x0
	s_barrier_signal -1
	s_barrier_wait -1
	global_inv scope:SCOPE_SE
	s_clause 0x7
	scratch_load_b128 v[2:5], off, off offset:336
	scratch_load_b128 v[6:9], off, off offset:352
	;; [unrolled: 1-line block ×8, first 2 shown]
	v_mov_b32_e32 v1, 0
	s_clause 0x1
	scratch_load_b128 v[34:37], off, off offset:464
	scratch_load_b128 v[173:176], off, off offset:480
	s_mov_b32 s0, exec_lo
	ds_load_b128 v[38:41], v1 offset:1328
	ds_load_b128 v[169:172], v1 offset:1344
	s_wait_loadcnt_dscnt 0x901
	v_mul_f64_e32 v[177:178], v[40:41], v[4:5]
	v_mul_f64_e32 v[4:5], v[38:39], v[4:5]
	s_wait_loadcnt_dscnt 0x800
	v_mul_f64_e32 v[179:180], v[169:170], v[8:9]
	v_mul_f64_e32 v[8:9], v[171:172], v[8:9]
	s_delay_alu instid0(VALU_DEP_4) | instskip(NEXT) | instid1(VALU_DEP_4)
	v_fma_f64 v[177:178], v[38:39], v[2:3], -v[177:178]
	v_fma_f64 v[181:182], v[40:41], v[2:3], v[4:5]
	ds_load_b128 v[2:5], v1 offset:1360
	scratch_load_b128 v[38:41], off, off offset:496
	v_fma_f64 v[179:180], v[171:172], v[6:7], v[179:180]
	v_fma_f64 v[185:186], v[169:170], v[6:7], -v[8:9]
	ds_load_b128 v[6:9], v1 offset:1376
	scratch_load_b128 v[169:172], off, off offset:512
	s_wait_loadcnt_dscnt 0x901
	v_mul_f64_e32 v[183:184], v[2:3], v[12:13]
	v_mul_f64_e32 v[12:13], v[4:5], v[12:13]
	s_wait_loadcnt_dscnt 0x800
	v_mul_f64_e32 v[187:188], v[6:7], v[16:17]
	v_mul_f64_e32 v[16:17], v[8:9], v[16:17]
	v_add_f64_e32 v[177:178], 0, v[177:178]
	v_add_f64_e32 v[181:182], 0, v[181:182]
	v_fma_f64 v[183:184], v[4:5], v[10:11], v[183:184]
	v_fma_f64 v[189:190], v[2:3], v[10:11], -v[12:13]
	ds_load_b128 v[2:5], v1 offset:1392
	scratch_load_b128 v[10:13], off, off offset:528
	v_add_f64_e32 v[177:178], v[177:178], v[185:186]
	v_add_f64_e32 v[179:180], v[181:182], v[179:180]
	v_fma_f64 v[185:186], v[8:9], v[14:15], v[187:188]
	v_fma_f64 v[187:188], v[6:7], v[14:15], -v[16:17]
	ds_load_b128 v[6:9], v1 offset:1408
	scratch_load_b128 v[14:17], off, off offset:544
	s_wait_loadcnt_dscnt 0x901
	v_mul_f64_e32 v[181:182], v[2:3], v[20:21]
	v_mul_f64_e32 v[20:21], v[4:5], v[20:21]
	v_add_f64_e32 v[177:178], v[177:178], v[189:190]
	v_add_f64_e32 v[179:180], v[179:180], v[183:184]
	s_wait_loadcnt_dscnt 0x800
	v_mul_f64_e32 v[183:184], v[6:7], v[24:25]
	v_mul_f64_e32 v[24:25], v[8:9], v[24:25]
	v_fma_f64 v[181:182], v[4:5], v[18:19], v[181:182]
	v_fma_f64 v[189:190], v[2:3], v[18:19], -v[20:21]
	ds_load_b128 v[2:5], v1 offset:1424
	scratch_load_b128 v[18:21], off, off offset:560
	v_add_f64_e32 v[177:178], v[177:178], v[187:188]
	v_add_f64_e32 v[179:180], v[179:180], v[185:186]
	v_fma_f64 v[183:184], v[8:9], v[22:23], v[183:184]
	v_fma_f64 v[187:188], v[6:7], v[22:23], -v[24:25]
	ds_load_b128 v[6:9], v1 offset:1440
	s_wait_loadcnt_dscnt 0x801
	v_mul_f64_e32 v[185:186], v[2:3], v[28:29]
	v_mul_f64_e32 v[28:29], v[4:5], v[28:29]
	scratch_load_b128 v[22:25], off, off offset:576
	v_add_f64_e32 v[177:178], v[177:178], v[189:190]
	v_add_f64_e32 v[179:180], v[179:180], v[181:182]
	s_wait_loadcnt_dscnt 0x800
	v_mul_f64_e32 v[181:182], v[6:7], v[32:33]
	v_mul_f64_e32 v[32:33], v[8:9], v[32:33]
	v_fma_f64 v[185:186], v[4:5], v[26:27], v[185:186]
	v_fma_f64 v[189:190], v[2:3], v[26:27], -v[28:29]
	ds_load_b128 v[2:5], v1 offset:1456
	scratch_load_b128 v[26:29], off, off offset:592
	v_add_f64_e32 v[177:178], v[177:178], v[187:188]
	v_add_f64_e32 v[179:180], v[179:180], v[183:184]
	v_fma_f64 v[181:182], v[8:9], v[30:31], v[181:182]
	v_fma_f64 v[187:188], v[6:7], v[30:31], -v[32:33]
	ds_load_b128 v[6:9], v1 offset:1472
	s_wait_loadcnt_dscnt 0x801
	v_mul_f64_e32 v[183:184], v[2:3], v[36:37]
	v_mul_f64_e32 v[36:37], v[4:5], v[36:37]
	scratch_load_b128 v[30:33], off, off offset:608
	v_add_f64_e32 v[177:178], v[177:178], v[189:190]
	v_add_f64_e32 v[179:180], v[179:180], v[185:186]
	s_wait_loadcnt_dscnt 0x800
	v_mul_f64_e32 v[185:186], v[6:7], v[175:176]
	v_mul_f64_e32 v[175:176], v[8:9], v[175:176]
	v_fma_f64 v[183:184], v[4:5], v[34:35], v[183:184]
	v_fma_f64 v[189:190], v[2:3], v[34:35], -v[36:37]
	ds_load_b128 v[2:5], v1 offset:1488
	scratch_load_b128 v[34:37], off, off offset:624
	v_add_f64_e32 v[177:178], v[177:178], v[187:188]
	v_add_f64_e32 v[179:180], v[179:180], v[181:182]
	v_fma_f64 v[185:186], v[8:9], v[173:174], v[185:186]
	v_fma_f64 v[187:188], v[6:7], v[173:174], -v[175:176]
	ds_load_b128 v[6:9], v1 offset:1504
	scratch_load_b128 v[173:176], off, off offset:640
	s_wait_loadcnt_dscnt 0x901
	v_mul_f64_e32 v[181:182], v[2:3], v[40:41]
	v_mul_f64_e32 v[40:41], v[4:5], v[40:41]
	v_add_f64_e32 v[177:178], v[177:178], v[189:190]
	v_add_f64_e32 v[179:180], v[179:180], v[183:184]
	s_wait_loadcnt_dscnt 0x800
	v_mul_f64_e32 v[183:184], v[6:7], v[171:172]
	v_mul_f64_e32 v[171:172], v[8:9], v[171:172]
	v_fma_f64 v[181:182], v[4:5], v[38:39], v[181:182]
	v_fma_f64 v[189:190], v[2:3], v[38:39], -v[40:41]
	ds_load_b128 v[2:5], v1 offset:1520
	scratch_load_b128 v[38:41], off, off offset:656
	v_add_f64_e32 v[177:178], v[177:178], v[187:188]
	v_add_f64_e32 v[179:180], v[179:180], v[185:186]
	v_fma_f64 v[183:184], v[8:9], v[169:170], v[183:184]
	v_fma_f64 v[187:188], v[6:7], v[169:170], -v[171:172]
	ds_load_b128 v[6:9], v1 offset:1536
	s_wait_loadcnt_dscnt 0x801
	v_mul_f64_e32 v[185:186], v[2:3], v[12:13]
	v_mul_f64_e32 v[12:13], v[4:5], v[12:13]
	scratch_load_b128 v[169:172], off, off offset:672
	v_add_f64_e32 v[177:178], v[177:178], v[189:190]
	v_add_f64_e32 v[179:180], v[179:180], v[181:182]
	s_wait_loadcnt_dscnt 0x800
	v_mul_f64_e32 v[181:182], v[6:7], v[16:17]
	v_mul_f64_e32 v[16:17], v[8:9], v[16:17]
	v_fma_f64 v[185:186], v[4:5], v[10:11], v[185:186]
	v_fma_f64 v[189:190], v[2:3], v[10:11], -v[12:13]
	ds_load_b128 v[2:5], v1 offset:1552
	scratch_load_b128 v[10:13], off, off offset:688
	v_add_f64_e32 v[177:178], v[177:178], v[187:188]
	v_add_f64_e32 v[179:180], v[179:180], v[183:184]
	v_fma_f64 v[181:182], v[8:9], v[14:15], v[181:182]
	v_fma_f64 v[187:188], v[6:7], v[14:15], -v[16:17]
	ds_load_b128 v[6:9], v1 offset:1568
	s_wait_loadcnt_dscnt 0x801
	v_mul_f64_e32 v[183:184], v[2:3], v[20:21]
	v_mul_f64_e32 v[20:21], v[4:5], v[20:21]
	scratch_load_b128 v[14:17], off, off offset:704
	;; [unrolled: 18-line block ×11, first 2 shown]
	v_add_f64_e32 v[177:178], v[177:178], v[189:190]
	v_add_f64_e32 v[179:180], v[179:180], v[185:186]
	s_wait_loadcnt_dscnt 0x800
	v_mul_f64_e32 v[185:186], v[6:7], v[16:17]
	v_mul_f64_e32 v[16:17], v[8:9], v[16:17]
	v_fma_f64 v[183:184], v[4:5], v[10:11], v[183:184]
	v_fma_f64 v[189:190], v[2:3], v[10:11], -v[12:13]
	ds_load_b128 v[2:5], v1 offset:1872
	scratch_load_b128 v[10:13], off, off offset:1008
	v_add_f64_e32 v[177:178], v[177:178], v[187:188]
	v_add_f64_e32 v[179:180], v[179:180], v[181:182]
	v_fma_f64 v[185:186], v[8:9], v[14:15], v[185:186]
	v_fma_f64 v[14:15], v[6:7], v[14:15], -v[16:17]
	ds_load_b128 v[6:9], v1 offset:1888
	s_wait_loadcnt_dscnt 0x801
	v_mul_f64_e32 v[181:182], v[2:3], v[20:21]
	v_mul_f64_e32 v[20:21], v[4:5], v[20:21]
	v_add_f64_e32 v[16:17], v[177:178], v[189:190]
	v_add_f64_e32 v[177:178], v[179:180], v[183:184]
	s_wait_loadcnt_dscnt 0x700
	v_mul_f64_e32 v[179:180], v[6:7], v[24:25]
	v_mul_f64_e32 v[24:25], v[8:9], v[24:25]
	v_fma_f64 v[181:182], v[4:5], v[18:19], v[181:182]
	v_fma_f64 v[18:19], v[2:3], v[18:19], -v[20:21]
	ds_load_b128 v[2:5], v1 offset:1904
	v_add_f64_e32 v[14:15], v[16:17], v[14:15]
	v_add_f64_e32 v[16:17], v[177:178], v[185:186]
	v_fma_f64 v[177:178], v[8:9], v[22:23], v[179:180]
	v_fma_f64 v[22:23], v[6:7], v[22:23], -v[24:25]
	ds_load_b128 v[6:9], v1 offset:1920
	s_wait_loadcnt_dscnt 0x500
	v_mul_f64_e32 v[179:180], v[6:7], v[32:33]
	v_mul_f64_e32 v[32:33], v[8:9], v[32:33]
	v_add_f64_e32 v[18:19], v[14:15], v[18:19]
	v_add_f64_e32 v[24:25], v[16:17], v[181:182]
	scratch_load_b128 v[14:17], off, off offset:320
	v_mul_f64_e32 v[20:21], v[2:3], v[28:29]
	v_mul_f64_e32 v[28:29], v[4:5], v[28:29]
	v_add_f64_e32 v[18:19], v[18:19], v[22:23]
	v_add_f64_e32 v[22:23], v[24:25], v[177:178]
	s_delay_alu instid0(VALU_DEP_4) | instskip(NEXT) | instid1(VALU_DEP_4)
	v_fma_f64 v[20:21], v[4:5], v[26:27], v[20:21]
	v_fma_f64 v[26:27], v[2:3], v[26:27], -v[28:29]
	ds_load_b128 v[2:5], v1 offset:1936
	s_wait_loadcnt_dscnt 0x500
	v_mul_f64_e32 v[24:25], v[2:3], v[36:37]
	v_mul_f64_e32 v[28:29], v[4:5], v[36:37]
	v_fma_f64 v[36:37], v[8:9], v[30:31], v[179:180]
	v_fma_f64 v[30:31], v[6:7], v[30:31], -v[32:33]
	ds_load_b128 v[6:9], v1 offset:1952
	v_add_f64_e32 v[20:21], v[22:23], v[20:21]
	v_add_f64_e32 v[18:19], v[18:19], v[26:27]
	v_fma_f64 v[24:25], v[4:5], v[34:35], v[24:25]
	v_fma_f64 v[28:29], v[2:3], v[34:35], -v[28:29]
	ds_load_b128 v[2:5], v1 offset:1968
	s_wait_loadcnt_dscnt 0x401
	v_mul_f64_e32 v[22:23], v[6:7], v[175:176]
	v_mul_f64_e32 v[26:27], v[8:9], v[175:176]
	v_add_f64_e32 v[20:21], v[20:21], v[36:37]
	v_add_f64_e32 v[18:19], v[18:19], v[30:31]
	s_wait_loadcnt_dscnt 0x300
	v_mul_f64_e32 v[30:31], v[2:3], v[40:41]
	v_mul_f64_e32 v[32:33], v[4:5], v[40:41]
	v_fma_f64 v[22:23], v[8:9], v[173:174], v[22:23]
	v_fma_f64 v[26:27], v[6:7], v[173:174], -v[26:27]
	ds_load_b128 v[6:9], v1 offset:1984
	v_add_f64_e32 v[20:21], v[20:21], v[24:25]
	v_add_f64_e32 v[18:19], v[18:19], v[28:29]
	v_fma_f64 v[30:31], v[4:5], v[38:39], v[30:31]
	v_fma_f64 v[32:33], v[2:3], v[38:39], -v[32:33]
	ds_load_b128 v[2:5], v1 offset:2000
	s_wait_loadcnt_dscnt 0x201
	v_mul_f64_e32 v[24:25], v[6:7], v[171:172]
	v_mul_f64_e32 v[28:29], v[8:9], v[171:172]
	v_add_f64_e32 v[20:21], v[20:21], v[22:23]
	v_add_f64_e32 v[18:19], v[18:19], v[26:27]
	s_wait_loadcnt_dscnt 0x100
	v_mul_f64_e32 v[22:23], v[2:3], v[12:13]
	v_mul_f64_e32 v[12:13], v[4:5], v[12:13]
	v_fma_f64 v[8:9], v[8:9], v[169:170], v[24:25]
	v_fma_f64 v[6:7], v[6:7], v[169:170], -v[28:29]
	v_add_f64_e32 v[20:21], v[20:21], v[30:31]
	v_add_f64_e32 v[18:19], v[18:19], v[32:33]
	v_fma_f64 v[4:5], v[4:5], v[10:11], v[22:23]
	v_fma_f64 v[2:3], v[2:3], v[10:11], -v[12:13]
	s_delay_alu instid0(VALU_DEP_4) | instskip(NEXT) | instid1(VALU_DEP_4)
	v_add_f64_e32 v[8:9], v[20:21], v[8:9]
	v_add_f64_e32 v[6:7], v[18:19], v[6:7]
	s_delay_alu instid0(VALU_DEP_2) | instskip(NEXT) | instid1(VALU_DEP_2)
	v_add_f64_e32 v[4:5], v[8:9], v[4:5]
	v_add_f64_e32 v[2:3], v[6:7], v[2:3]
	s_wait_loadcnt 0x0
	s_delay_alu instid0(VALU_DEP_2) | instskip(NEXT) | instid1(VALU_DEP_2)
	v_add_f64_e64 v[4:5], v[16:17], -v[4:5]
	v_add_f64_e64 v[2:3], v[14:15], -v[2:3]
	scratch_store_b128 off, v[2:5], off offset:320
	v_cmpx_lt_u32_e32 18, v0
	s_cbranch_execz .LBB62_367
; %bb.366:
	scratch_load_b128 v[5:8], off, s60
	v_dual_mov_b32 v2, v1 :: v_dual_mov_b32 v3, v1
	v_mov_b32_e32 v4, v1
	scratch_store_b128 off, v[1:4], off offset:304
	s_wait_loadcnt 0x0
	ds_store_b128 v168, v[5:8]
.LBB62_367:
	s_wait_alu 0xfffe
	s_or_b32 exec_lo, exec_lo, s0
	s_wait_storecnt_dscnt 0x0
	s_barrier_signal -1
	s_barrier_wait -1
	global_inv scope:SCOPE_SE
	s_clause 0x7
	scratch_load_b128 v[2:5], off, off offset:320
	scratch_load_b128 v[6:9], off, off offset:336
	;; [unrolled: 1-line block ×8, first 2 shown]
	ds_load_b128 v[38:41], v1 offset:1312
	ds_load_b128 v[169:172], v1 offset:1328
	s_clause 0x1
	scratch_load_b128 v[34:37], off, off offset:448
	scratch_load_b128 v[173:176], off, off offset:464
	s_mov_b32 s0, exec_lo
	s_wait_loadcnt_dscnt 0x901
	v_mul_f64_e32 v[177:178], v[40:41], v[4:5]
	v_mul_f64_e32 v[4:5], v[38:39], v[4:5]
	s_wait_loadcnt_dscnt 0x800
	v_mul_f64_e32 v[179:180], v[169:170], v[8:9]
	v_mul_f64_e32 v[8:9], v[171:172], v[8:9]
	s_delay_alu instid0(VALU_DEP_4) | instskip(NEXT) | instid1(VALU_DEP_4)
	v_fma_f64 v[177:178], v[38:39], v[2:3], -v[177:178]
	v_fma_f64 v[181:182], v[40:41], v[2:3], v[4:5]
	ds_load_b128 v[2:5], v1 offset:1344
	scratch_load_b128 v[38:41], off, off offset:480
	v_fma_f64 v[179:180], v[171:172], v[6:7], v[179:180]
	v_fma_f64 v[185:186], v[169:170], v[6:7], -v[8:9]
	ds_load_b128 v[6:9], v1 offset:1360
	scratch_load_b128 v[169:172], off, off offset:496
	s_wait_loadcnt_dscnt 0x901
	v_mul_f64_e32 v[183:184], v[2:3], v[12:13]
	v_mul_f64_e32 v[12:13], v[4:5], v[12:13]
	s_wait_loadcnt_dscnt 0x800
	v_mul_f64_e32 v[187:188], v[6:7], v[16:17]
	v_mul_f64_e32 v[16:17], v[8:9], v[16:17]
	v_add_f64_e32 v[177:178], 0, v[177:178]
	v_add_f64_e32 v[181:182], 0, v[181:182]
	v_fma_f64 v[183:184], v[4:5], v[10:11], v[183:184]
	v_fma_f64 v[189:190], v[2:3], v[10:11], -v[12:13]
	ds_load_b128 v[2:5], v1 offset:1376
	scratch_load_b128 v[10:13], off, off offset:512
	v_add_f64_e32 v[177:178], v[177:178], v[185:186]
	v_add_f64_e32 v[179:180], v[181:182], v[179:180]
	v_fma_f64 v[185:186], v[8:9], v[14:15], v[187:188]
	v_fma_f64 v[187:188], v[6:7], v[14:15], -v[16:17]
	ds_load_b128 v[6:9], v1 offset:1392
	scratch_load_b128 v[14:17], off, off offset:528
	s_wait_loadcnt_dscnt 0x901
	v_mul_f64_e32 v[181:182], v[2:3], v[20:21]
	v_mul_f64_e32 v[20:21], v[4:5], v[20:21]
	v_add_f64_e32 v[177:178], v[177:178], v[189:190]
	v_add_f64_e32 v[179:180], v[179:180], v[183:184]
	s_wait_loadcnt_dscnt 0x800
	v_mul_f64_e32 v[183:184], v[6:7], v[24:25]
	v_mul_f64_e32 v[24:25], v[8:9], v[24:25]
	v_fma_f64 v[181:182], v[4:5], v[18:19], v[181:182]
	v_fma_f64 v[189:190], v[2:3], v[18:19], -v[20:21]
	ds_load_b128 v[2:5], v1 offset:1408
	scratch_load_b128 v[18:21], off, off offset:544
	v_add_f64_e32 v[177:178], v[177:178], v[187:188]
	v_add_f64_e32 v[179:180], v[179:180], v[185:186]
	v_fma_f64 v[183:184], v[8:9], v[22:23], v[183:184]
	v_fma_f64 v[187:188], v[6:7], v[22:23], -v[24:25]
	ds_load_b128 v[6:9], v1 offset:1424
	s_wait_loadcnt_dscnt 0x801
	v_mul_f64_e32 v[185:186], v[2:3], v[28:29]
	v_mul_f64_e32 v[28:29], v[4:5], v[28:29]
	scratch_load_b128 v[22:25], off, off offset:560
	v_add_f64_e32 v[177:178], v[177:178], v[189:190]
	v_add_f64_e32 v[179:180], v[179:180], v[181:182]
	s_wait_loadcnt_dscnt 0x800
	v_mul_f64_e32 v[181:182], v[6:7], v[32:33]
	v_mul_f64_e32 v[32:33], v[8:9], v[32:33]
	v_fma_f64 v[185:186], v[4:5], v[26:27], v[185:186]
	v_fma_f64 v[189:190], v[2:3], v[26:27], -v[28:29]
	ds_load_b128 v[2:5], v1 offset:1440
	scratch_load_b128 v[26:29], off, off offset:576
	v_add_f64_e32 v[177:178], v[177:178], v[187:188]
	v_add_f64_e32 v[179:180], v[179:180], v[183:184]
	v_fma_f64 v[181:182], v[8:9], v[30:31], v[181:182]
	v_fma_f64 v[187:188], v[6:7], v[30:31], -v[32:33]
	ds_load_b128 v[6:9], v1 offset:1456
	s_wait_loadcnt_dscnt 0x801
	v_mul_f64_e32 v[183:184], v[2:3], v[36:37]
	v_mul_f64_e32 v[36:37], v[4:5], v[36:37]
	scratch_load_b128 v[30:33], off, off offset:592
	v_add_f64_e32 v[177:178], v[177:178], v[189:190]
	v_add_f64_e32 v[179:180], v[179:180], v[185:186]
	s_wait_loadcnt_dscnt 0x800
	v_mul_f64_e32 v[185:186], v[6:7], v[175:176]
	v_mul_f64_e32 v[175:176], v[8:9], v[175:176]
	v_fma_f64 v[183:184], v[4:5], v[34:35], v[183:184]
	v_fma_f64 v[189:190], v[2:3], v[34:35], -v[36:37]
	ds_load_b128 v[2:5], v1 offset:1472
	scratch_load_b128 v[34:37], off, off offset:608
	v_add_f64_e32 v[177:178], v[177:178], v[187:188]
	v_add_f64_e32 v[179:180], v[179:180], v[181:182]
	v_fma_f64 v[185:186], v[8:9], v[173:174], v[185:186]
	v_fma_f64 v[187:188], v[6:7], v[173:174], -v[175:176]
	ds_load_b128 v[6:9], v1 offset:1488
	scratch_load_b128 v[173:176], off, off offset:624
	s_wait_loadcnt_dscnt 0x901
	v_mul_f64_e32 v[181:182], v[2:3], v[40:41]
	v_mul_f64_e32 v[40:41], v[4:5], v[40:41]
	v_add_f64_e32 v[177:178], v[177:178], v[189:190]
	v_add_f64_e32 v[179:180], v[179:180], v[183:184]
	s_wait_loadcnt_dscnt 0x800
	v_mul_f64_e32 v[183:184], v[6:7], v[171:172]
	v_mul_f64_e32 v[171:172], v[8:9], v[171:172]
	v_fma_f64 v[181:182], v[4:5], v[38:39], v[181:182]
	v_fma_f64 v[189:190], v[2:3], v[38:39], -v[40:41]
	ds_load_b128 v[2:5], v1 offset:1504
	scratch_load_b128 v[38:41], off, off offset:640
	v_add_f64_e32 v[177:178], v[177:178], v[187:188]
	v_add_f64_e32 v[179:180], v[179:180], v[185:186]
	v_fma_f64 v[183:184], v[8:9], v[169:170], v[183:184]
	v_fma_f64 v[187:188], v[6:7], v[169:170], -v[171:172]
	ds_load_b128 v[6:9], v1 offset:1520
	s_wait_loadcnt_dscnt 0x801
	v_mul_f64_e32 v[185:186], v[2:3], v[12:13]
	v_mul_f64_e32 v[12:13], v[4:5], v[12:13]
	scratch_load_b128 v[169:172], off, off offset:656
	v_add_f64_e32 v[177:178], v[177:178], v[189:190]
	v_add_f64_e32 v[179:180], v[179:180], v[181:182]
	s_wait_loadcnt_dscnt 0x800
	v_mul_f64_e32 v[181:182], v[6:7], v[16:17]
	v_mul_f64_e32 v[16:17], v[8:9], v[16:17]
	v_fma_f64 v[185:186], v[4:5], v[10:11], v[185:186]
	v_fma_f64 v[189:190], v[2:3], v[10:11], -v[12:13]
	ds_load_b128 v[2:5], v1 offset:1536
	scratch_load_b128 v[10:13], off, off offset:672
	v_add_f64_e32 v[177:178], v[177:178], v[187:188]
	v_add_f64_e32 v[179:180], v[179:180], v[183:184]
	v_fma_f64 v[181:182], v[8:9], v[14:15], v[181:182]
	v_fma_f64 v[187:188], v[6:7], v[14:15], -v[16:17]
	ds_load_b128 v[6:9], v1 offset:1552
	s_wait_loadcnt_dscnt 0x801
	v_mul_f64_e32 v[183:184], v[2:3], v[20:21]
	v_mul_f64_e32 v[20:21], v[4:5], v[20:21]
	scratch_load_b128 v[14:17], off, off offset:688
	;; [unrolled: 18-line block ×12, first 2 shown]
	v_add_f64_e32 v[177:178], v[177:178], v[189:190]
	v_add_f64_e32 v[179:180], v[179:180], v[183:184]
	s_wait_loadcnt_dscnt 0x800
	v_mul_f64_e32 v[183:184], v[6:7], v[24:25]
	v_mul_f64_e32 v[24:25], v[8:9], v[24:25]
	v_fma_f64 v[181:182], v[4:5], v[18:19], v[181:182]
	v_fma_f64 v[18:19], v[2:3], v[18:19], -v[20:21]
	ds_load_b128 v[2:5], v1 offset:1888
	v_add_f64_e32 v[20:21], v[177:178], v[187:188]
	v_add_f64_e32 v[177:178], v[179:180], v[185:186]
	v_fma_f64 v[183:184], v[8:9], v[22:23], v[183:184]
	v_fma_f64 v[22:23], v[6:7], v[22:23], -v[24:25]
	ds_load_b128 v[6:9], v1 offset:1904
	s_wait_loadcnt_dscnt 0x701
	v_mul_f64_e32 v[179:180], v[2:3], v[28:29]
	v_mul_f64_e32 v[28:29], v[4:5], v[28:29]
	v_add_f64_e32 v[18:19], v[20:21], v[18:19]
	v_add_f64_e32 v[20:21], v[177:178], v[181:182]
	s_delay_alu instid0(VALU_DEP_4) | instskip(NEXT) | instid1(VALU_DEP_4)
	v_fma_f64 v[177:178], v[4:5], v[26:27], v[179:180]
	v_fma_f64 v[26:27], v[2:3], v[26:27], -v[28:29]
	ds_load_b128 v[2:5], v1 offset:1920
	v_add_f64_e32 v[22:23], v[18:19], v[22:23]
	v_add_f64_e32 v[28:29], v[20:21], v[183:184]
	scratch_load_b128 v[18:21], off, off offset:304
	s_wait_loadcnt_dscnt 0x701
	v_mul_f64_e32 v[24:25], v[6:7], v[32:33]
	v_mul_f64_e32 v[32:33], v[8:9], v[32:33]
	v_add_f64_e32 v[22:23], v[22:23], v[26:27]
	v_add_f64_e32 v[26:27], v[28:29], v[177:178]
	s_delay_alu instid0(VALU_DEP_4) | instskip(NEXT) | instid1(VALU_DEP_4)
	v_fma_f64 v[24:25], v[8:9], v[30:31], v[24:25]
	v_fma_f64 v[30:31], v[6:7], v[30:31], -v[32:33]
	ds_load_b128 v[6:9], v1 offset:1936
	s_wait_loadcnt_dscnt 0x601
	v_mul_f64_e32 v[179:180], v[2:3], v[36:37]
	v_mul_f64_e32 v[36:37], v[4:5], v[36:37]
	s_wait_loadcnt_dscnt 0x500
	v_mul_f64_e32 v[28:29], v[6:7], v[175:176]
	v_mul_f64_e32 v[32:33], v[8:9], v[175:176]
	v_add_f64_e32 v[24:25], v[26:27], v[24:25]
	v_add_f64_e32 v[22:23], v[22:23], v[30:31]
	v_fma_f64 v[175:176], v[4:5], v[34:35], v[179:180]
	v_fma_f64 v[34:35], v[2:3], v[34:35], -v[36:37]
	ds_load_b128 v[2:5], v1 offset:1952
	v_fma_f64 v[28:29], v[8:9], v[173:174], v[28:29]
	v_fma_f64 v[32:33], v[6:7], v[173:174], -v[32:33]
	ds_load_b128 v[6:9], v1 offset:1968
	s_wait_loadcnt_dscnt 0x401
	v_mul_f64_e32 v[26:27], v[2:3], v[40:41]
	v_mul_f64_e32 v[30:31], v[4:5], v[40:41]
	v_add_f64_e32 v[24:25], v[24:25], v[175:176]
	v_add_f64_e32 v[22:23], v[22:23], v[34:35]
	s_wait_loadcnt_dscnt 0x300
	v_mul_f64_e32 v[34:35], v[6:7], v[171:172]
	v_mul_f64_e32 v[36:37], v[8:9], v[171:172]
	v_fma_f64 v[26:27], v[4:5], v[38:39], v[26:27]
	v_fma_f64 v[30:31], v[2:3], v[38:39], -v[30:31]
	ds_load_b128 v[2:5], v1 offset:1984
	v_add_f64_e32 v[24:25], v[24:25], v[28:29]
	v_add_f64_e32 v[22:23], v[22:23], v[32:33]
	v_fma_f64 v[32:33], v[8:9], v[169:170], v[34:35]
	v_fma_f64 v[34:35], v[6:7], v[169:170], -v[36:37]
	ds_load_b128 v[6:9], v1 offset:2000
	s_wait_loadcnt_dscnt 0x201
	v_mul_f64_e32 v[28:29], v[2:3], v[12:13]
	v_mul_f64_e32 v[12:13], v[4:5], v[12:13]
	v_add_f64_e32 v[24:25], v[24:25], v[26:27]
	v_add_f64_e32 v[22:23], v[22:23], v[30:31]
	s_wait_loadcnt_dscnt 0x100
	v_mul_f64_e32 v[26:27], v[6:7], v[16:17]
	v_mul_f64_e32 v[16:17], v[8:9], v[16:17]
	v_fma_f64 v[4:5], v[4:5], v[10:11], v[28:29]
	v_fma_f64 v[1:2], v[2:3], v[10:11], -v[12:13]
	v_add_f64_e32 v[12:13], v[24:25], v[32:33]
	v_add_f64_e32 v[10:11], v[22:23], v[34:35]
	v_fma_f64 v[8:9], v[8:9], v[14:15], v[26:27]
	v_fma_f64 v[6:7], v[6:7], v[14:15], -v[16:17]
	s_delay_alu instid0(VALU_DEP_4) | instskip(NEXT) | instid1(VALU_DEP_4)
	v_add_f64_e32 v[3:4], v[12:13], v[4:5]
	v_add_f64_e32 v[1:2], v[10:11], v[1:2]
	s_delay_alu instid0(VALU_DEP_2) | instskip(NEXT) | instid1(VALU_DEP_2)
	v_add_f64_e32 v[3:4], v[3:4], v[8:9]
	v_add_f64_e32 v[1:2], v[1:2], v[6:7]
	s_wait_loadcnt 0x0
	s_delay_alu instid0(VALU_DEP_2) | instskip(NEXT) | instid1(VALU_DEP_2)
	v_add_f64_e64 v[3:4], v[20:21], -v[3:4]
	v_add_f64_e64 v[1:2], v[18:19], -v[1:2]
	scratch_store_b128 off, v[1:4], off offset:304
	v_cmpx_lt_u32_e32 17, v0
	s_cbranch_execz .LBB62_369
; %bb.368:
	scratch_load_b128 v[1:4], off, s61
	v_mov_b32_e32 v5, 0
	s_delay_alu instid0(VALU_DEP_1)
	v_dual_mov_b32 v6, v5 :: v_dual_mov_b32 v7, v5
	v_mov_b32_e32 v8, v5
	scratch_store_b128 off, v[5:8], off offset:288
	s_wait_loadcnt 0x0
	ds_store_b128 v168, v[1:4]
.LBB62_369:
	s_wait_alu 0xfffe
	s_or_b32 exec_lo, exec_lo, s0
	s_wait_storecnt_dscnt 0x0
	s_barrier_signal -1
	s_barrier_wait -1
	global_inv scope:SCOPE_SE
	s_clause 0x7
	scratch_load_b128 v[2:5], off, off offset:304
	scratch_load_b128 v[6:9], off, off offset:320
	;; [unrolled: 1-line block ×8, first 2 shown]
	v_mov_b32_e32 v1, 0
	s_clause 0x1
	scratch_load_b128 v[34:37], off, off offset:432
	scratch_load_b128 v[173:176], off, off offset:448
	s_mov_b32 s0, exec_lo
	ds_load_b128 v[38:41], v1 offset:1296
	ds_load_b128 v[169:172], v1 offset:1312
	s_wait_loadcnt_dscnt 0x901
	v_mul_f64_e32 v[177:178], v[40:41], v[4:5]
	v_mul_f64_e32 v[4:5], v[38:39], v[4:5]
	s_wait_loadcnt_dscnt 0x800
	v_mul_f64_e32 v[179:180], v[169:170], v[8:9]
	v_mul_f64_e32 v[8:9], v[171:172], v[8:9]
	s_delay_alu instid0(VALU_DEP_4) | instskip(NEXT) | instid1(VALU_DEP_4)
	v_fma_f64 v[177:178], v[38:39], v[2:3], -v[177:178]
	v_fma_f64 v[181:182], v[40:41], v[2:3], v[4:5]
	ds_load_b128 v[2:5], v1 offset:1328
	scratch_load_b128 v[38:41], off, off offset:464
	v_fma_f64 v[179:180], v[171:172], v[6:7], v[179:180]
	v_fma_f64 v[185:186], v[169:170], v[6:7], -v[8:9]
	ds_load_b128 v[6:9], v1 offset:1344
	scratch_load_b128 v[169:172], off, off offset:480
	s_wait_loadcnt_dscnt 0x901
	v_mul_f64_e32 v[183:184], v[2:3], v[12:13]
	v_mul_f64_e32 v[12:13], v[4:5], v[12:13]
	s_wait_loadcnt_dscnt 0x800
	v_mul_f64_e32 v[187:188], v[6:7], v[16:17]
	v_mul_f64_e32 v[16:17], v[8:9], v[16:17]
	v_add_f64_e32 v[177:178], 0, v[177:178]
	v_add_f64_e32 v[181:182], 0, v[181:182]
	v_fma_f64 v[183:184], v[4:5], v[10:11], v[183:184]
	v_fma_f64 v[189:190], v[2:3], v[10:11], -v[12:13]
	ds_load_b128 v[2:5], v1 offset:1360
	scratch_load_b128 v[10:13], off, off offset:496
	v_add_f64_e32 v[177:178], v[177:178], v[185:186]
	v_add_f64_e32 v[179:180], v[181:182], v[179:180]
	v_fma_f64 v[185:186], v[8:9], v[14:15], v[187:188]
	v_fma_f64 v[187:188], v[6:7], v[14:15], -v[16:17]
	ds_load_b128 v[6:9], v1 offset:1376
	scratch_load_b128 v[14:17], off, off offset:512
	s_wait_loadcnt_dscnt 0x901
	v_mul_f64_e32 v[181:182], v[2:3], v[20:21]
	v_mul_f64_e32 v[20:21], v[4:5], v[20:21]
	v_add_f64_e32 v[177:178], v[177:178], v[189:190]
	v_add_f64_e32 v[179:180], v[179:180], v[183:184]
	s_wait_loadcnt_dscnt 0x800
	v_mul_f64_e32 v[183:184], v[6:7], v[24:25]
	v_mul_f64_e32 v[24:25], v[8:9], v[24:25]
	v_fma_f64 v[181:182], v[4:5], v[18:19], v[181:182]
	v_fma_f64 v[189:190], v[2:3], v[18:19], -v[20:21]
	ds_load_b128 v[2:5], v1 offset:1392
	scratch_load_b128 v[18:21], off, off offset:528
	v_add_f64_e32 v[177:178], v[177:178], v[187:188]
	v_add_f64_e32 v[179:180], v[179:180], v[185:186]
	v_fma_f64 v[183:184], v[8:9], v[22:23], v[183:184]
	v_fma_f64 v[187:188], v[6:7], v[22:23], -v[24:25]
	ds_load_b128 v[6:9], v1 offset:1408
	s_wait_loadcnt_dscnt 0x801
	v_mul_f64_e32 v[185:186], v[2:3], v[28:29]
	v_mul_f64_e32 v[28:29], v[4:5], v[28:29]
	scratch_load_b128 v[22:25], off, off offset:544
	v_add_f64_e32 v[177:178], v[177:178], v[189:190]
	v_add_f64_e32 v[179:180], v[179:180], v[181:182]
	s_wait_loadcnt_dscnt 0x800
	v_mul_f64_e32 v[181:182], v[6:7], v[32:33]
	v_mul_f64_e32 v[32:33], v[8:9], v[32:33]
	v_fma_f64 v[185:186], v[4:5], v[26:27], v[185:186]
	v_fma_f64 v[189:190], v[2:3], v[26:27], -v[28:29]
	ds_load_b128 v[2:5], v1 offset:1424
	scratch_load_b128 v[26:29], off, off offset:560
	v_add_f64_e32 v[177:178], v[177:178], v[187:188]
	v_add_f64_e32 v[179:180], v[179:180], v[183:184]
	v_fma_f64 v[181:182], v[8:9], v[30:31], v[181:182]
	v_fma_f64 v[187:188], v[6:7], v[30:31], -v[32:33]
	ds_load_b128 v[6:9], v1 offset:1440
	s_wait_loadcnt_dscnt 0x801
	v_mul_f64_e32 v[183:184], v[2:3], v[36:37]
	v_mul_f64_e32 v[36:37], v[4:5], v[36:37]
	scratch_load_b128 v[30:33], off, off offset:576
	v_add_f64_e32 v[177:178], v[177:178], v[189:190]
	v_add_f64_e32 v[179:180], v[179:180], v[185:186]
	s_wait_loadcnt_dscnt 0x800
	v_mul_f64_e32 v[185:186], v[6:7], v[175:176]
	v_mul_f64_e32 v[175:176], v[8:9], v[175:176]
	v_fma_f64 v[183:184], v[4:5], v[34:35], v[183:184]
	v_fma_f64 v[189:190], v[2:3], v[34:35], -v[36:37]
	ds_load_b128 v[2:5], v1 offset:1456
	scratch_load_b128 v[34:37], off, off offset:592
	v_add_f64_e32 v[177:178], v[177:178], v[187:188]
	v_add_f64_e32 v[179:180], v[179:180], v[181:182]
	v_fma_f64 v[185:186], v[8:9], v[173:174], v[185:186]
	v_fma_f64 v[187:188], v[6:7], v[173:174], -v[175:176]
	ds_load_b128 v[6:9], v1 offset:1472
	scratch_load_b128 v[173:176], off, off offset:608
	s_wait_loadcnt_dscnt 0x901
	v_mul_f64_e32 v[181:182], v[2:3], v[40:41]
	v_mul_f64_e32 v[40:41], v[4:5], v[40:41]
	v_add_f64_e32 v[177:178], v[177:178], v[189:190]
	v_add_f64_e32 v[179:180], v[179:180], v[183:184]
	s_wait_loadcnt_dscnt 0x800
	v_mul_f64_e32 v[183:184], v[6:7], v[171:172]
	v_mul_f64_e32 v[171:172], v[8:9], v[171:172]
	v_fma_f64 v[181:182], v[4:5], v[38:39], v[181:182]
	v_fma_f64 v[189:190], v[2:3], v[38:39], -v[40:41]
	ds_load_b128 v[2:5], v1 offset:1488
	scratch_load_b128 v[38:41], off, off offset:624
	v_add_f64_e32 v[177:178], v[177:178], v[187:188]
	v_add_f64_e32 v[179:180], v[179:180], v[185:186]
	v_fma_f64 v[183:184], v[8:9], v[169:170], v[183:184]
	v_fma_f64 v[187:188], v[6:7], v[169:170], -v[171:172]
	ds_load_b128 v[6:9], v1 offset:1504
	s_wait_loadcnt_dscnt 0x801
	v_mul_f64_e32 v[185:186], v[2:3], v[12:13]
	v_mul_f64_e32 v[12:13], v[4:5], v[12:13]
	scratch_load_b128 v[169:172], off, off offset:640
	v_add_f64_e32 v[177:178], v[177:178], v[189:190]
	v_add_f64_e32 v[179:180], v[179:180], v[181:182]
	s_wait_loadcnt_dscnt 0x800
	v_mul_f64_e32 v[181:182], v[6:7], v[16:17]
	v_mul_f64_e32 v[16:17], v[8:9], v[16:17]
	v_fma_f64 v[185:186], v[4:5], v[10:11], v[185:186]
	v_fma_f64 v[189:190], v[2:3], v[10:11], -v[12:13]
	ds_load_b128 v[2:5], v1 offset:1520
	scratch_load_b128 v[10:13], off, off offset:656
	v_add_f64_e32 v[177:178], v[177:178], v[187:188]
	v_add_f64_e32 v[179:180], v[179:180], v[183:184]
	v_fma_f64 v[181:182], v[8:9], v[14:15], v[181:182]
	v_fma_f64 v[187:188], v[6:7], v[14:15], -v[16:17]
	ds_load_b128 v[6:9], v1 offset:1536
	s_wait_loadcnt_dscnt 0x801
	v_mul_f64_e32 v[183:184], v[2:3], v[20:21]
	v_mul_f64_e32 v[20:21], v[4:5], v[20:21]
	scratch_load_b128 v[14:17], off, off offset:672
	;; [unrolled: 18-line block ×12, first 2 shown]
	v_add_f64_e32 v[177:178], v[177:178], v[189:190]
	v_add_f64_e32 v[179:180], v[179:180], v[183:184]
	s_wait_loadcnt_dscnt 0x800
	v_mul_f64_e32 v[183:184], v[6:7], v[24:25]
	v_mul_f64_e32 v[24:25], v[8:9], v[24:25]
	v_fma_f64 v[181:182], v[4:5], v[18:19], v[181:182]
	v_fma_f64 v[189:190], v[2:3], v[18:19], -v[20:21]
	ds_load_b128 v[2:5], v1 offset:1872
	scratch_load_b128 v[18:21], off, off offset:1008
	v_add_f64_e32 v[177:178], v[177:178], v[187:188]
	v_add_f64_e32 v[179:180], v[179:180], v[185:186]
	v_fma_f64 v[183:184], v[8:9], v[22:23], v[183:184]
	v_fma_f64 v[22:23], v[6:7], v[22:23], -v[24:25]
	ds_load_b128 v[6:9], v1 offset:1888
	s_wait_loadcnt_dscnt 0x801
	v_mul_f64_e32 v[185:186], v[2:3], v[28:29]
	v_mul_f64_e32 v[28:29], v[4:5], v[28:29]
	v_add_f64_e32 v[24:25], v[177:178], v[189:190]
	v_add_f64_e32 v[177:178], v[179:180], v[181:182]
	s_wait_loadcnt_dscnt 0x700
	v_mul_f64_e32 v[179:180], v[6:7], v[32:33]
	v_mul_f64_e32 v[32:33], v[8:9], v[32:33]
	v_fma_f64 v[181:182], v[4:5], v[26:27], v[185:186]
	v_fma_f64 v[26:27], v[2:3], v[26:27], -v[28:29]
	ds_load_b128 v[2:5], v1 offset:1904
	v_add_f64_e32 v[22:23], v[24:25], v[22:23]
	v_add_f64_e32 v[24:25], v[177:178], v[183:184]
	v_fma_f64 v[177:178], v[8:9], v[30:31], v[179:180]
	v_fma_f64 v[30:31], v[6:7], v[30:31], -v[32:33]
	ds_load_b128 v[6:9], v1 offset:1920
	s_wait_loadcnt_dscnt 0x500
	v_mul_f64_e32 v[179:180], v[6:7], v[175:176]
	v_mul_f64_e32 v[175:176], v[8:9], v[175:176]
	v_add_f64_e32 v[26:27], v[22:23], v[26:27]
	v_add_f64_e32 v[32:33], v[24:25], v[181:182]
	scratch_load_b128 v[22:25], off, off offset:288
	v_mul_f64_e32 v[28:29], v[2:3], v[36:37]
	v_mul_f64_e32 v[36:37], v[4:5], v[36:37]
	v_add_f64_e32 v[26:27], v[26:27], v[30:31]
	v_add_f64_e32 v[30:31], v[32:33], v[177:178]
	s_delay_alu instid0(VALU_DEP_4) | instskip(NEXT) | instid1(VALU_DEP_4)
	v_fma_f64 v[28:29], v[4:5], v[34:35], v[28:29]
	v_fma_f64 v[34:35], v[2:3], v[34:35], -v[36:37]
	ds_load_b128 v[2:5], v1 offset:1936
	s_wait_loadcnt_dscnt 0x500
	v_mul_f64_e32 v[32:33], v[2:3], v[40:41]
	v_mul_f64_e32 v[36:37], v[4:5], v[40:41]
	v_fma_f64 v[40:41], v[8:9], v[173:174], v[179:180]
	v_fma_f64 v[173:174], v[6:7], v[173:174], -v[175:176]
	ds_load_b128 v[6:9], v1 offset:1952
	v_add_f64_e32 v[28:29], v[30:31], v[28:29]
	v_add_f64_e32 v[26:27], v[26:27], v[34:35]
	v_fma_f64 v[32:33], v[4:5], v[38:39], v[32:33]
	v_fma_f64 v[36:37], v[2:3], v[38:39], -v[36:37]
	ds_load_b128 v[2:5], v1 offset:1968
	s_wait_loadcnt_dscnt 0x401
	v_mul_f64_e32 v[30:31], v[6:7], v[171:172]
	v_mul_f64_e32 v[34:35], v[8:9], v[171:172]
	v_add_f64_e32 v[28:29], v[28:29], v[40:41]
	v_add_f64_e32 v[26:27], v[26:27], v[173:174]
	s_wait_loadcnt_dscnt 0x300
	v_mul_f64_e32 v[38:39], v[2:3], v[12:13]
	v_mul_f64_e32 v[12:13], v[4:5], v[12:13]
	v_fma_f64 v[30:31], v[8:9], v[169:170], v[30:31]
	v_fma_f64 v[34:35], v[6:7], v[169:170], -v[34:35]
	ds_load_b128 v[6:9], v1 offset:1984
	v_add_f64_e32 v[28:29], v[28:29], v[32:33]
	v_add_f64_e32 v[26:27], v[26:27], v[36:37]
	v_fma_f64 v[36:37], v[4:5], v[10:11], v[38:39]
	v_fma_f64 v[10:11], v[2:3], v[10:11], -v[12:13]
	ds_load_b128 v[2:5], v1 offset:2000
	s_wait_loadcnt_dscnt 0x201
	v_mul_f64_e32 v[32:33], v[6:7], v[16:17]
	v_mul_f64_e32 v[16:17], v[8:9], v[16:17]
	v_add_f64_e32 v[12:13], v[26:27], v[34:35]
	v_add_f64_e32 v[26:27], v[28:29], v[30:31]
	s_wait_loadcnt_dscnt 0x100
	v_mul_f64_e32 v[28:29], v[2:3], v[20:21]
	v_mul_f64_e32 v[20:21], v[4:5], v[20:21]
	v_fma_f64 v[8:9], v[8:9], v[14:15], v[32:33]
	v_fma_f64 v[6:7], v[6:7], v[14:15], -v[16:17]
	v_add_f64_e32 v[10:11], v[12:13], v[10:11]
	v_add_f64_e32 v[12:13], v[26:27], v[36:37]
	v_fma_f64 v[4:5], v[4:5], v[18:19], v[28:29]
	v_fma_f64 v[2:3], v[2:3], v[18:19], -v[20:21]
	s_delay_alu instid0(VALU_DEP_4) | instskip(NEXT) | instid1(VALU_DEP_4)
	v_add_f64_e32 v[6:7], v[10:11], v[6:7]
	v_add_f64_e32 v[8:9], v[12:13], v[8:9]
	s_delay_alu instid0(VALU_DEP_2) | instskip(NEXT) | instid1(VALU_DEP_2)
	v_add_f64_e32 v[2:3], v[6:7], v[2:3]
	v_add_f64_e32 v[4:5], v[8:9], v[4:5]
	s_wait_loadcnt 0x0
	s_delay_alu instid0(VALU_DEP_2) | instskip(NEXT) | instid1(VALU_DEP_2)
	v_add_f64_e64 v[2:3], v[22:23], -v[2:3]
	v_add_f64_e64 v[4:5], v[24:25], -v[4:5]
	scratch_store_b128 off, v[2:5], off offset:288
	v_cmpx_lt_u32_e32 16, v0
	s_cbranch_execz .LBB62_371
; %bb.370:
	scratch_load_b128 v[5:8], off, s62
	v_dual_mov_b32 v2, v1 :: v_dual_mov_b32 v3, v1
	v_mov_b32_e32 v4, v1
	scratch_store_b128 off, v[1:4], off offset:272
	s_wait_loadcnt 0x0
	ds_store_b128 v168, v[5:8]
.LBB62_371:
	s_wait_alu 0xfffe
	s_or_b32 exec_lo, exec_lo, s0
	s_wait_storecnt_dscnt 0x0
	s_barrier_signal -1
	s_barrier_wait -1
	global_inv scope:SCOPE_SE
	s_clause 0x7
	scratch_load_b128 v[2:5], off, off offset:288
	scratch_load_b128 v[6:9], off, off offset:304
	;; [unrolled: 1-line block ×8, first 2 shown]
	ds_load_b128 v[38:41], v1 offset:1280
	ds_load_b128 v[169:172], v1 offset:1296
	s_clause 0x1
	scratch_load_b128 v[34:37], off, off offset:416
	scratch_load_b128 v[173:176], off, off offset:432
	s_mov_b32 s0, exec_lo
	s_wait_loadcnt_dscnt 0x901
	v_mul_f64_e32 v[177:178], v[40:41], v[4:5]
	v_mul_f64_e32 v[4:5], v[38:39], v[4:5]
	s_wait_loadcnt_dscnt 0x800
	v_mul_f64_e32 v[179:180], v[169:170], v[8:9]
	v_mul_f64_e32 v[8:9], v[171:172], v[8:9]
	s_delay_alu instid0(VALU_DEP_4) | instskip(NEXT) | instid1(VALU_DEP_4)
	v_fma_f64 v[177:178], v[38:39], v[2:3], -v[177:178]
	v_fma_f64 v[181:182], v[40:41], v[2:3], v[4:5]
	ds_load_b128 v[2:5], v1 offset:1312
	scratch_load_b128 v[38:41], off, off offset:448
	v_fma_f64 v[179:180], v[171:172], v[6:7], v[179:180]
	v_fma_f64 v[185:186], v[169:170], v[6:7], -v[8:9]
	ds_load_b128 v[6:9], v1 offset:1328
	scratch_load_b128 v[169:172], off, off offset:464
	s_wait_loadcnt_dscnt 0x901
	v_mul_f64_e32 v[183:184], v[2:3], v[12:13]
	v_mul_f64_e32 v[12:13], v[4:5], v[12:13]
	s_wait_loadcnt_dscnt 0x800
	v_mul_f64_e32 v[187:188], v[6:7], v[16:17]
	v_mul_f64_e32 v[16:17], v[8:9], v[16:17]
	v_add_f64_e32 v[177:178], 0, v[177:178]
	v_add_f64_e32 v[181:182], 0, v[181:182]
	v_fma_f64 v[183:184], v[4:5], v[10:11], v[183:184]
	v_fma_f64 v[189:190], v[2:3], v[10:11], -v[12:13]
	ds_load_b128 v[2:5], v1 offset:1344
	scratch_load_b128 v[10:13], off, off offset:480
	v_add_f64_e32 v[177:178], v[177:178], v[185:186]
	v_add_f64_e32 v[179:180], v[181:182], v[179:180]
	v_fma_f64 v[185:186], v[8:9], v[14:15], v[187:188]
	v_fma_f64 v[187:188], v[6:7], v[14:15], -v[16:17]
	ds_load_b128 v[6:9], v1 offset:1360
	scratch_load_b128 v[14:17], off, off offset:496
	s_wait_loadcnt_dscnt 0x901
	v_mul_f64_e32 v[181:182], v[2:3], v[20:21]
	v_mul_f64_e32 v[20:21], v[4:5], v[20:21]
	v_add_f64_e32 v[177:178], v[177:178], v[189:190]
	v_add_f64_e32 v[179:180], v[179:180], v[183:184]
	s_wait_loadcnt_dscnt 0x800
	v_mul_f64_e32 v[183:184], v[6:7], v[24:25]
	v_mul_f64_e32 v[24:25], v[8:9], v[24:25]
	v_fma_f64 v[181:182], v[4:5], v[18:19], v[181:182]
	v_fma_f64 v[189:190], v[2:3], v[18:19], -v[20:21]
	ds_load_b128 v[2:5], v1 offset:1376
	scratch_load_b128 v[18:21], off, off offset:512
	v_add_f64_e32 v[177:178], v[177:178], v[187:188]
	v_add_f64_e32 v[179:180], v[179:180], v[185:186]
	v_fma_f64 v[183:184], v[8:9], v[22:23], v[183:184]
	v_fma_f64 v[187:188], v[6:7], v[22:23], -v[24:25]
	ds_load_b128 v[6:9], v1 offset:1392
	s_wait_loadcnt_dscnt 0x801
	v_mul_f64_e32 v[185:186], v[2:3], v[28:29]
	v_mul_f64_e32 v[28:29], v[4:5], v[28:29]
	scratch_load_b128 v[22:25], off, off offset:528
	v_add_f64_e32 v[177:178], v[177:178], v[189:190]
	v_add_f64_e32 v[179:180], v[179:180], v[181:182]
	s_wait_loadcnt_dscnt 0x800
	v_mul_f64_e32 v[181:182], v[6:7], v[32:33]
	v_mul_f64_e32 v[32:33], v[8:9], v[32:33]
	v_fma_f64 v[185:186], v[4:5], v[26:27], v[185:186]
	v_fma_f64 v[189:190], v[2:3], v[26:27], -v[28:29]
	ds_load_b128 v[2:5], v1 offset:1408
	scratch_load_b128 v[26:29], off, off offset:544
	v_add_f64_e32 v[177:178], v[177:178], v[187:188]
	v_add_f64_e32 v[179:180], v[179:180], v[183:184]
	v_fma_f64 v[181:182], v[8:9], v[30:31], v[181:182]
	v_fma_f64 v[187:188], v[6:7], v[30:31], -v[32:33]
	ds_load_b128 v[6:9], v1 offset:1424
	s_wait_loadcnt_dscnt 0x801
	v_mul_f64_e32 v[183:184], v[2:3], v[36:37]
	v_mul_f64_e32 v[36:37], v[4:5], v[36:37]
	scratch_load_b128 v[30:33], off, off offset:560
	v_add_f64_e32 v[177:178], v[177:178], v[189:190]
	v_add_f64_e32 v[179:180], v[179:180], v[185:186]
	s_wait_loadcnt_dscnt 0x800
	v_mul_f64_e32 v[185:186], v[6:7], v[175:176]
	v_mul_f64_e32 v[175:176], v[8:9], v[175:176]
	v_fma_f64 v[183:184], v[4:5], v[34:35], v[183:184]
	v_fma_f64 v[189:190], v[2:3], v[34:35], -v[36:37]
	ds_load_b128 v[2:5], v1 offset:1440
	scratch_load_b128 v[34:37], off, off offset:576
	v_add_f64_e32 v[177:178], v[177:178], v[187:188]
	v_add_f64_e32 v[179:180], v[179:180], v[181:182]
	v_fma_f64 v[185:186], v[8:9], v[173:174], v[185:186]
	v_fma_f64 v[187:188], v[6:7], v[173:174], -v[175:176]
	ds_load_b128 v[6:9], v1 offset:1456
	scratch_load_b128 v[173:176], off, off offset:592
	s_wait_loadcnt_dscnt 0x901
	v_mul_f64_e32 v[181:182], v[2:3], v[40:41]
	v_mul_f64_e32 v[40:41], v[4:5], v[40:41]
	v_add_f64_e32 v[177:178], v[177:178], v[189:190]
	v_add_f64_e32 v[179:180], v[179:180], v[183:184]
	s_wait_loadcnt_dscnt 0x800
	v_mul_f64_e32 v[183:184], v[6:7], v[171:172]
	v_mul_f64_e32 v[171:172], v[8:9], v[171:172]
	v_fma_f64 v[181:182], v[4:5], v[38:39], v[181:182]
	v_fma_f64 v[189:190], v[2:3], v[38:39], -v[40:41]
	ds_load_b128 v[2:5], v1 offset:1472
	scratch_load_b128 v[38:41], off, off offset:608
	v_add_f64_e32 v[177:178], v[177:178], v[187:188]
	v_add_f64_e32 v[179:180], v[179:180], v[185:186]
	v_fma_f64 v[183:184], v[8:9], v[169:170], v[183:184]
	v_fma_f64 v[187:188], v[6:7], v[169:170], -v[171:172]
	ds_load_b128 v[6:9], v1 offset:1488
	s_wait_loadcnt_dscnt 0x801
	v_mul_f64_e32 v[185:186], v[2:3], v[12:13]
	v_mul_f64_e32 v[12:13], v[4:5], v[12:13]
	scratch_load_b128 v[169:172], off, off offset:624
	v_add_f64_e32 v[177:178], v[177:178], v[189:190]
	v_add_f64_e32 v[179:180], v[179:180], v[181:182]
	s_wait_loadcnt_dscnt 0x800
	v_mul_f64_e32 v[181:182], v[6:7], v[16:17]
	v_mul_f64_e32 v[16:17], v[8:9], v[16:17]
	v_fma_f64 v[185:186], v[4:5], v[10:11], v[185:186]
	v_fma_f64 v[189:190], v[2:3], v[10:11], -v[12:13]
	ds_load_b128 v[2:5], v1 offset:1504
	scratch_load_b128 v[10:13], off, off offset:640
	v_add_f64_e32 v[177:178], v[177:178], v[187:188]
	v_add_f64_e32 v[179:180], v[179:180], v[183:184]
	v_fma_f64 v[181:182], v[8:9], v[14:15], v[181:182]
	v_fma_f64 v[187:188], v[6:7], v[14:15], -v[16:17]
	ds_load_b128 v[6:9], v1 offset:1520
	s_wait_loadcnt_dscnt 0x801
	v_mul_f64_e32 v[183:184], v[2:3], v[20:21]
	v_mul_f64_e32 v[20:21], v[4:5], v[20:21]
	scratch_load_b128 v[14:17], off, off offset:656
	;; [unrolled: 18-line block ×13, first 2 shown]
	v_add_f64_e32 v[177:178], v[177:178], v[189:190]
	v_add_f64_e32 v[179:180], v[179:180], v[181:182]
	s_wait_loadcnt_dscnt 0x800
	v_mul_f64_e32 v[181:182], v[6:7], v[32:33]
	v_mul_f64_e32 v[32:33], v[8:9], v[32:33]
	v_fma_f64 v[185:186], v[4:5], v[26:27], v[185:186]
	v_fma_f64 v[26:27], v[2:3], v[26:27], -v[28:29]
	ds_load_b128 v[2:5], v1 offset:1888
	v_add_f64_e32 v[28:29], v[177:178], v[187:188]
	v_add_f64_e32 v[177:178], v[179:180], v[183:184]
	v_fma_f64 v[181:182], v[8:9], v[30:31], v[181:182]
	v_fma_f64 v[30:31], v[6:7], v[30:31], -v[32:33]
	ds_load_b128 v[6:9], v1 offset:1904
	s_wait_loadcnt_dscnt 0x701
	v_mul_f64_e32 v[179:180], v[2:3], v[36:37]
	v_mul_f64_e32 v[36:37], v[4:5], v[36:37]
	v_add_f64_e32 v[26:27], v[28:29], v[26:27]
	v_add_f64_e32 v[28:29], v[177:178], v[185:186]
	s_delay_alu instid0(VALU_DEP_4) | instskip(NEXT) | instid1(VALU_DEP_4)
	v_fma_f64 v[177:178], v[4:5], v[34:35], v[179:180]
	v_fma_f64 v[34:35], v[2:3], v[34:35], -v[36:37]
	ds_load_b128 v[2:5], v1 offset:1920
	v_add_f64_e32 v[30:31], v[26:27], v[30:31]
	v_add_f64_e32 v[36:37], v[28:29], v[181:182]
	scratch_load_b128 v[26:29], off, off offset:272
	s_wait_loadcnt_dscnt 0x701
	v_mul_f64_e32 v[32:33], v[6:7], v[175:176]
	v_mul_f64_e32 v[175:176], v[8:9], v[175:176]
	v_add_f64_e32 v[30:31], v[30:31], v[34:35]
	v_add_f64_e32 v[34:35], v[36:37], v[177:178]
	s_delay_alu instid0(VALU_DEP_4) | instskip(NEXT) | instid1(VALU_DEP_4)
	v_fma_f64 v[32:33], v[8:9], v[173:174], v[32:33]
	v_fma_f64 v[173:174], v[6:7], v[173:174], -v[175:176]
	ds_load_b128 v[6:9], v1 offset:1936
	s_wait_loadcnt_dscnt 0x601
	v_mul_f64_e32 v[179:180], v[2:3], v[40:41]
	v_mul_f64_e32 v[40:41], v[4:5], v[40:41]
	s_wait_loadcnt_dscnt 0x500
	v_mul_f64_e32 v[36:37], v[6:7], v[171:172]
	v_mul_f64_e32 v[171:172], v[8:9], v[171:172]
	v_add_f64_e32 v[32:33], v[34:35], v[32:33]
	v_add_f64_e32 v[30:31], v[30:31], v[173:174]
	v_fma_f64 v[175:176], v[4:5], v[38:39], v[179:180]
	v_fma_f64 v[38:39], v[2:3], v[38:39], -v[40:41]
	ds_load_b128 v[2:5], v1 offset:1952
	v_fma_f64 v[36:37], v[8:9], v[169:170], v[36:37]
	v_fma_f64 v[40:41], v[6:7], v[169:170], -v[171:172]
	ds_load_b128 v[6:9], v1 offset:1968
	s_wait_loadcnt_dscnt 0x401
	v_mul_f64_e32 v[34:35], v[2:3], v[12:13]
	v_mul_f64_e32 v[12:13], v[4:5], v[12:13]
	v_add_f64_e32 v[32:33], v[32:33], v[175:176]
	v_add_f64_e32 v[30:31], v[30:31], v[38:39]
	s_wait_loadcnt_dscnt 0x300
	v_mul_f64_e32 v[38:39], v[6:7], v[16:17]
	v_mul_f64_e32 v[16:17], v[8:9], v[16:17]
	v_fma_f64 v[34:35], v[4:5], v[10:11], v[34:35]
	v_fma_f64 v[10:11], v[2:3], v[10:11], -v[12:13]
	ds_load_b128 v[2:5], v1 offset:1984
	v_add_f64_e32 v[12:13], v[30:31], v[40:41]
	v_add_f64_e32 v[30:31], v[32:33], v[36:37]
	v_fma_f64 v[36:37], v[8:9], v[14:15], v[38:39]
	v_fma_f64 v[14:15], v[6:7], v[14:15], -v[16:17]
	ds_load_b128 v[6:9], v1 offset:2000
	s_wait_loadcnt_dscnt 0x201
	v_mul_f64_e32 v[32:33], v[2:3], v[20:21]
	v_mul_f64_e32 v[20:21], v[4:5], v[20:21]
	s_wait_loadcnt_dscnt 0x100
	v_mul_f64_e32 v[16:17], v[6:7], v[24:25]
	v_mul_f64_e32 v[24:25], v[8:9], v[24:25]
	v_add_f64_e32 v[10:11], v[12:13], v[10:11]
	v_add_f64_e32 v[12:13], v[30:31], v[34:35]
	v_fma_f64 v[4:5], v[4:5], v[18:19], v[32:33]
	v_fma_f64 v[1:2], v[2:3], v[18:19], -v[20:21]
	v_fma_f64 v[8:9], v[8:9], v[22:23], v[16:17]
	v_fma_f64 v[6:7], v[6:7], v[22:23], -v[24:25]
	v_add_f64_e32 v[10:11], v[10:11], v[14:15]
	v_add_f64_e32 v[12:13], v[12:13], v[36:37]
	s_delay_alu instid0(VALU_DEP_2) | instskip(NEXT) | instid1(VALU_DEP_2)
	v_add_f64_e32 v[1:2], v[10:11], v[1:2]
	v_add_f64_e32 v[3:4], v[12:13], v[4:5]
	s_delay_alu instid0(VALU_DEP_2) | instskip(NEXT) | instid1(VALU_DEP_2)
	v_add_f64_e32 v[1:2], v[1:2], v[6:7]
	v_add_f64_e32 v[3:4], v[3:4], v[8:9]
	s_wait_loadcnt 0x0
	s_delay_alu instid0(VALU_DEP_2) | instskip(NEXT) | instid1(VALU_DEP_2)
	v_add_f64_e64 v[1:2], v[26:27], -v[1:2]
	v_add_f64_e64 v[3:4], v[28:29], -v[3:4]
	scratch_store_b128 off, v[1:4], off offset:272
	v_cmpx_lt_u32_e32 15, v0
	s_cbranch_execz .LBB62_373
; %bb.372:
	scratch_load_b128 v[1:4], off, s63
	v_mov_b32_e32 v5, 0
	s_delay_alu instid0(VALU_DEP_1)
	v_dual_mov_b32 v6, v5 :: v_dual_mov_b32 v7, v5
	v_mov_b32_e32 v8, v5
	scratch_store_b128 off, v[5:8], off offset:256
	s_wait_loadcnt 0x0
	ds_store_b128 v168, v[1:4]
.LBB62_373:
	s_wait_alu 0xfffe
	s_or_b32 exec_lo, exec_lo, s0
	s_wait_storecnt_dscnt 0x0
	s_barrier_signal -1
	s_barrier_wait -1
	global_inv scope:SCOPE_SE
	s_clause 0x7
	scratch_load_b128 v[2:5], off, off offset:272
	scratch_load_b128 v[6:9], off, off offset:288
	;; [unrolled: 1-line block ×8, first 2 shown]
	v_mov_b32_e32 v1, 0
	s_clause 0x1
	scratch_load_b128 v[34:37], off, off offset:400
	scratch_load_b128 v[173:176], off, off offset:416
	s_mov_b32 s0, exec_lo
	ds_load_b128 v[38:41], v1 offset:1264
	ds_load_b128 v[169:172], v1 offset:1280
	s_wait_loadcnt_dscnt 0x901
	v_mul_f64_e32 v[177:178], v[40:41], v[4:5]
	v_mul_f64_e32 v[4:5], v[38:39], v[4:5]
	s_wait_loadcnt_dscnt 0x800
	v_mul_f64_e32 v[179:180], v[169:170], v[8:9]
	v_mul_f64_e32 v[8:9], v[171:172], v[8:9]
	s_delay_alu instid0(VALU_DEP_4) | instskip(NEXT) | instid1(VALU_DEP_4)
	v_fma_f64 v[177:178], v[38:39], v[2:3], -v[177:178]
	v_fma_f64 v[181:182], v[40:41], v[2:3], v[4:5]
	ds_load_b128 v[2:5], v1 offset:1296
	scratch_load_b128 v[38:41], off, off offset:432
	v_fma_f64 v[179:180], v[171:172], v[6:7], v[179:180]
	v_fma_f64 v[185:186], v[169:170], v[6:7], -v[8:9]
	ds_load_b128 v[6:9], v1 offset:1312
	scratch_load_b128 v[169:172], off, off offset:448
	s_wait_loadcnt_dscnt 0x901
	v_mul_f64_e32 v[183:184], v[2:3], v[12:13]
	v_mul_f64_e32 v[12:13], v[4:5], v[12:13]
	s_wait_loadcnt_dscnt 0x800
	v_mul_f64_e32 v[187:188], v[6:7], v[16:17]
	v_mul_f64_e32 v[16:17], v[8:9], v[16:17]
	v_add_f64_e32 v[177:178], 0, v[177:178]
	v_add_f64_e32 v[181:182], 0, v[181:182]
	v_fma_f64 v[183:184], v[4:5], v[10:11], v[183:184]
	v_fma_f64 v[189:190], v[2:3], v[10:11], -v[12:13]
	ds_load_b128 v[2:5], v1 offset:1328
	scratch_load_b128 v[10:13], off, off offset:464
	v_add_f64_e32 v[177:178], v[177:178], v[185:186]
	v_add_f64_e32 v[179:180], v[181:182], v[179:180]
	v_fma_f64 v[185:186], v[8:9], v[14:15], v[187:188]
	v_fma_f64 v[187:188], v[6:7], v[14:15], -v[16:17]
	ds_load_b128 v[6:9], v1 offset:1344
	scratch_load_b128 v[14:17], off, off offset:480
	s_wait_loadcnt_dscnt 0x901
	v_mul_f64_e32 v[181:182], v[2:3], v[20:21]
	v_mul_f64_e32 v[20:21], v[4:5], v[20:21]
	v_add_f64_e32 v[177:178], v[177:178], v[189:190]
	v_add_f64_e32 v[179:180], v[179:180], v[183:184]
	s_wait_loadcnt_dscnt 0x800
	v_mul_f64_e32 v[183:184], v[6:7], v[24:25]
	v_mul_f64_e32 v[24:25], v[8:9], v[24:25]
	v_fma_f64 v[181:182], v[4:5], v[18:19], v[181:182]
	v_fma_f64 v[189:190], v[2:3], v[18:19], -v[20:21]
	ds_load_b128 v[2:5], v1 offset:1360
	scratch_load_b128 v[18:21], off, off offset:496
	v_add_f64_e32 v[177:178], v[177:178], v[187:188]
	v_add_f64_e32 v[179:180], v[179:180], v[185:186]
	v_fma_f64 v[183:184], v[8:9], v[22:23], v[183:184]
	v_fma_f64 v[187:188], v[6:7], v[22:23], -v[24:25]
	ds_load_b128 v[6:9], v1 offset:1376
	s_wait_loadcnt_dscnt 0x801
	v_mul_f64_e32 v[185:186], v[2:3], v[28:29]
	v_mul_f64_e32 v[28:29], v[4:5], v[28:29]
	scratch_load_b128 v[22:25], off, off offset:512
	v_add_f64_e32 v[177:178], v[177:178], v[189:190]
	v_add_f64_e32 v[179:180], v[179:180], v[181:182]
	s_wait_loadcnt_dscnt 0x800
	v_mul_f64_e32 v[181:182], v[6:7], v[32:33]
	v_mul_f64_e32 v[32:33], v[8:9], v[32:33]
	v_fma_f64 v[185:186], v[4:5], v[26:27], v[185:186]
	v_fma_f64 v[189:190], v[2:3], v[26:27], -v[28:29]
	ds_load_b128 v[2:5], v1 offset:1392
	scratch_load_b128 v[26:29], off, off offset:528
	v_add_f64_e32 v[177:178], v[177:178], v[187:188]
	v_add_f64_e32 v[179:180], v[179:180], v[183:184]
	v_fma_f64 v[181:182], v[8:9], v[30:31], v[181:182]
	v_fma_f64 v[187:188], v[6:7], v[30:31], -v[32:33]
	ds_load_b128 v[6:9], v1 offset:1408
	s_wait_loadcnt_dscnt 0x801
	v_mul_f64_e32 v[183:184], v[2:3], v[36:37]
	v_mul_f64_e32 v[36:37], v[4:5], v[36:37]
	scratch_load_b128 v[30:33], off, off offset:544
	v_add_f64_e32 v[177:178], v[177:178], v[189:190]
	v_add_f64_e32 v[179:180], v[179:180], v[185:186]
	s_wait_loadcnt_dscnt 0x800
	v_mul_f64_e32 v[185:186], v[6:7], v[175:176]
	v_mul_f64_e32 v[175:176], v[8:9], v[175:176]
	v_fma_f64 v[183:184], v[4:5], v[34:35], v[183:184]
	v_fma_f64 v[189:190], v[2:3], v[34:35], -v[36:37]
	ds_load_b128 v[2:5], v1 offset:1424
	scratch_load_b128 v[34:37], off, off offset:560
	v_add_f64_e32 v[177:178], v[177:178], v[187:188]
	v_add_f64_e32 v[179:180], v[179:180], v[181:182]
	v_fma_f64 v[185:186], v[8:9], v[173:174], v[185:186]
	v_fma_f64 v[187:188], v[6:7], v[173:174], -v[175:176]
	ds_load_b128 v[6:9], v1 offset:1440
	scratch_load_b128 v[173:176], off, off offset:576
	s_wait_loadcnt_dscnt 0x901
	v_mul_f64_e32 v[181:182], v[2:3], v[40:41]
	v_mul_f64_e32 v[40:41], v[4:5], v[40:41]
	v_add_f64_e32 v[177:178], v[177:178], v[189:190]
	v_add_f64_e32 v[179:180], v[179:180], v[183:184]
	s_wait_loadcnt_dscnt 0x800
	v_mul_f64_e32 v[183:184], v[6:7], v[171:172]
	v_mul_f64_e32 v[171:172], v[8:9], v[171:172]
	v_fma_f64 v[181:182], v[4:5], v[38:39], v[181:182]
	v_fma_f64 v[189:190], v[2:3], v[38:39], -v[40:41]
	ds_load_b128 v[2:5], v1 offset:1456
	scratch_load_b128 v[38:41], off, off offset:592
	v_add_f64_e32 v[177:178], v[177:178], v[187:188]
	v_add_f64_e32 v[179:180], v[179:180], v[185:186]
	v_fma_f64 v[183:184], v[8:9], v[169:170], v[183:184]
	v_fma_f64 v[187:188], v[6:7], v[169:170], -v[171:172]
	ds_load_b128 v[6:9], v1 offset:1472
	s_wait_loadcnt_dscnt 0x801
	v_mul_f64_e32 v[185:186], v[2:3], v[12:13]
	v_mul_f64_e32 v[12:13], v[4:5], v[12:13]
	scratch_load_b128 v[169:172], off, off offset:608
	v_add_f64_e32 v[177:178], v[177:178], v[189:190]
	v_add_f64_e32 v[179:180], v[179:180], v[181:182]
	s_wait_loadcnt_dscnt 0x800
	v_mul_f64_e32 v[181:182], v[6:7], v[16:17]
	v_mul_f64_e32 v[16:17], v[8:9], v[16:17]
	v_fma_f64 v[185:186], v[4:5], v[10:11], v[185:186]
	v_fma_f64 v[189:190], v[2:3], v[10:11], -v[12:13]
	ds_load_b128 v[2:5], v1 offset:1488
	scratch_load_b128 v[10:13], off, off offset:624
	v_add_f64_e32 v[177:178], v[177:178], v[187:188]
	v_add_f64_e32 v[179:180], v[179:180], v[183:184]
	v_fma_f64 v[181:182], v[8:9], v[14:15], v[181:182]
	v_fma_f64 v[187:188], v[6:7], v[14:15], -v[16:17]
	ds_load_b128 v[6:9], v1 offset:1504
	s_wait_loadcnt_dscnt 0x801
	v_mul_f64_e32 v[183:184], v[2:3], v[20:21]
	v_mul_f64_e32 v[20:21], v[4:5], v[20:21]
	scratch_load_b128 v[14:17], off, off offset:640
	;; [unrolled: 18-line block ×13, first 2 shown]
	v_add_f64_e32 v[177:178], v[177:178], v[189:190]
	v_add_f64_e32 v[179:180], v[179:180], v[181:182]
	s_wait_loadcnt_dscnt 0x800
	v_mul_f64_e32 v[181:182], v[6:7], v[32:33]
	v_mul_f64_e32 v[32:33], v[8:9], v[32:33]
	v_fma_f64 v[185:186], v[4:5], v[26:27], v[185:186]
	v_fma_f64 v[189:190], v[2:3], v[26:27], -v[28:29]
	ds_load_b128 v[2:5], v1 offset:1872
	scratch_load_b128 v[26:29], off, off offset:1008
	v_add_f64_e32 v[177:178], v[177:178], v[187:188]
	v_add_f64_e32 v[179:180], v[179:180], v[183:184]
	v_fma_f64 v[181:182], v[8:9], v[30:31], v[181:182]
	v_fma_f64 v[30:31], v[6:7], v[30:31], -v[32:33]
	ds_load_b128 v[6:9], v1 offset:1888
	s_wait_loadcnt_dscnt 0x801
	v_mul_f64_e32 v[183:184], v[2:3], v[36:37]
	v_mul_f64_e32 v[36:37], v[4:5], v[36:37]
	v_add_f64_e32 v[32:33], v[177:178], v[189:190]
	v_add_f64_e32 v[177:178], v[179:180], v[185:186]
	s_wait_loadcnt_dscnt 0x700
	v_mul_f64_e32 v[179:180], v[6:7], v[175:176]
	v_mul_f64_e32 v[175:176], v[8:9], v[175:176]
	v_fma_f64 v[183:184], v[4:5], v[34:35], v[183:184]
	v_fma_f64 v[34:35], v[2:3], v[34:35], -v[36:37]
	ds_load_b128 v[2:5], v1 offset:1904
	v_add_f64_e32 v[30:31], v[32:33], v[30:31]
	v_add_f64_e32 v[32:33], v[177:178], v[181:182]
	v_fma_f64 v[177:178], v[8:9], v[173:174], v[179:180]
	v_fma_f64 v[173:174], v[6:7], v[173:174], -v[175:176]
	ds_load_b128 v[6:9], v1 offset:1920
	s_wait_loadcnt_dscnt 0x500
	v_mul_f64_e32 v[179:180], v[6:7], v[171:172]
	v_mul_f64_e32 v[171:172], v[8:9], v[171:172]
	v_add_f64_e32 v[34:35], v[30:31], v[34:35]
	v_add_f64_e32 v[175:176], v[32:33], v[183:184]
	scratch_load_b128 v[30:33], off, off offset:256
	v_mul_f64_e32 v[36:37], v[2:3], v[40:41]
	v_mul_f64_e32 v[40:41], v[4:5], v[40:41]
	v_add_f64_e32 v[34:35], v[34:35], v[173:174]
	s_delay_alu instid0(VALU_DEP_3) | instskip(NEXT) | instid1(VALU_DEP_3)
	v_fma_f64 v[36:37], v[4:5], v[38:39], v[36:37]
	v_fma_f64 v[38:39], v[2:3], v[38:39], -v[40:41]
	v_add_f64_e32 v[40:41], v[175:176], v[177:178]
	ds_load_b128 v[2:5], v1 offset:1936
	v_fma_f64 v[175:176], v[8:9], v[169:170], v[179:180]
	v_fma_f64 v[169:170], v[6:7], v[169:170], -v[171:172]
	ds_load_b128 v[6:9], v1 offset:1952
	s_wait_loadcnt_dscnt 0x501
	v_mul_f64_e32 v[173:174], v[2:3], v[12:13]
	v_mul_f64_e32 v[12:13], v[4:5], v[12:13]
	v_add_f64_e32 v[34:35], v[34:35], v[38:39]
	v_add_f64_e32 v[36:37], v[40:41], v[36:37]
	s_wait_loadcnt_dscnt 0x400
	v_mul_f64_e32 v[38:39], v[6:7], v[16:17]
	v_mul_f64_e32 v[16:17], v[8:9], v[16:17]
	v_fma_f64 v[40:41], v[4:5], v[10:11], v[173:174]
	v_fma_f64 v[10:11], v[2:3], v[10:11], -v[12:13]
	ds_load_b128 v[2:5], v1 offset:1968
	v_add_f64_e32 v[12:13], v[34:35], v[169:170]
	v_add_f64_e32 v[34:35], v[36:37], v[175:176]
	v_fma_f64 v[38:39], v[8:9], v[14:15], v[38:39]
	v_fma_f64 v[14:15], v[6:7], v[14:15], -v[16:17]
	ds_load_b128 v[6:9], v1 offset:1984
	s_wait_loadcnt_dscnt 0x301
	v_mul_f64_e32 v[36:37], v[2:3], v[20:21]
	v_mul_f64_e32 v[20:21], v[4:5], v[20:21]
	s_wait_loadcnt_dscnt 0x200
	v_mul_f64_e32 v[16:17], v[6:7], v[24:25]
	v_mul_f64_e32 v[24:25], v[8:9], v[24:25]
	v_add_f64_e32 v[10:11], v[12:13], v[10:11]
	v_add_f64_e32 v[12:13], v[34:35], v[40:41]
	v_fma_f64 v[34:35], v[4:5], v[18:19], v[36:37]
	v_fma_f64 v[18:19], v[2:3], v[18:19], -v[20:21]
	ds_load_b128 v[2:5], v1 offset:2000
	v_fma_f64 v[8:9], v[8:9], v[22:23], v[16:17]
	v_fma_f64 v[6:7], v[6:7], v[22:23], -v[24:25]
	s_wait_loadcnt_dscnt 0x100
	v_mul_f64_e32 v[20:21], v[4:5], v[28:29]
	v_add_f64_e32 v[10:11], v[10:11], v[14:15]
	v_add_f64_e32 v[12:13], v[12:13], v[38:39]
	v_mul_f64_e32 v[14:15], v[2:3], v[28:29]
	s_delay_alu instid0(VALU_DEP_4) | instskip(NEXT) | instid1(VALU_DEP_4)
	v_fma_f64 v[2:3], v[2:3], v[26:27], -v[20:21]
	v_add_f64_e32 v[10:11], v[10:11], v[18:19]
	s_delay_alu instid0(VALU_DEP_4) | instskip(NEXT) | instid1(VALU_DEP_4)
	v_add_f64_e32 v[12:13], v[12:13], v[34:35]
	v_fma_f64 v[4:5], v[4:5], v[26:27], v[14:15]
	s_delay_alu instid0(VALU_DEP_3) | instskip(NEXT) | instid1(VALU_DEP_3)
	v_add_f64_e32 v[6:7], v[10:11], v[6:7]
	v_add_f64_e32 v[8:9], v[12:13], v[8:9]
	s_delay_alu instid0(VALU_DEP_2) | instskip(NEXT) | instid1(VALU_DEP_2)
	v_add_f64_e32 v[2:3], v[6:7], v[2:3]
	v_add_f64_e32 v[4:5], v[8:9], v[4:5]
	s_wait_loadcnt 0x0
	s_delay_alu instid0(VALU_DEP_2) | instskip(NEXT) | instid1(VALU_DEP_2)
	v_add_f64_e64 v[2:3], v[30:31], -v[2:3]
	v_add_f64_e64 v[4:5], v[32:33], -v[4:5]
	scratch_store_b128 off, v[2:5], off offset:256
	v_cmpx_lt_u32_e32 14, v0
	s_cbranch_execz .LBB62_375
; %bb.374:
	scratch_load_b128 v[5:8], off, s65
	v_dual_mov_b32 v2, v1 :: v_dual_mov_b32 v3, v1
	v_mov_b32_e32 v4, v1
	scratch_store_b128 off, v[1:4], off offset:240
	s_wait_loadcnt 0x0
	ds_store_b128 v168, v[5:8]
.LBB62_375:
	s_wait_alu 0xfffe
	s_or_b32 exec_lo, exec_lo, s0
	s_wait_storecnt_dscnt 0x0
	s_barrier_signal -1
	s_barrier_wait -1
	global_inv scope:SCOPE_SE
	s_clause 0x7
	scratch_load_b128 v[2:5], off, off offset:256
	scratch_load_b128 v[6:9], off, off offset:272
	;; [unrolled: 1-line block ×8, first 2 shown]
	ds_load_b128 v[38:41], v1 offset:1248
	ds_load_b128 v[169:172], v1 offset:1264
	s_clause 0x1
	scratch_load_b128 v[34:37], off, off offset:384
	scratch_load_b128 v[173:176], off, off offset:400
	s_mov_b32 s0, exec_lo
	s_wait_loadcnt_dscnt 0x901
	v_mul_f64_e32 v[177:178], v[40:41], v[4:5]
	v_mul_f64_e32 v[4:5], v[38:39], v[4:5]
	s_wait_loadcnt_dscnt 0x800
	v_mul_f64_e32 v[179:180], v[169:170], v[8:9]
	v_mul_f64_e32 v[8:9], v[171:172], v[8:9]
	s_delay_alu instid0(VALU_DEP_4) | instskip(NEXT) | instid1(VALU_DEP_4)
	v_fma_f64 v[177:178], v[38:39], v[2:3], -v[177:178]
	v_fma_f64 v[181:182], v[40:41], v[2:3], v[4:5]
	ds_load_b128 v[2:5], v1 offset:1280
	scratch_load_b128 v[38:41], off, off offset:416
	v_fma_f64 v[179:180], v[171:172], v[6:7], v[179:180]
	v_fma_f64 v[185:186], v[169:170], v[6:7], -v[8:9]
	ds_load_b128 v[6:9], v1 offset:1296
	scratch_load_b128 v[169:172], off, off offset:432
	s_wait_loadcnt_dscnt 0x901
	v_mul_f64_e32 v[183:184], v[2:3], v[12:13]
	v_mul_f64_e32 v[12:13], v[4:5], v[12:13]
	s_wait_loadcnt_dscnt 0x800
	v_mul_f64_e32 v[187:188], v[6:7], v[16:17]
	v_mul_f64_e32 v[16:17], v[8:9], v[16:17]
	v_add_f64_e32 v[177:178], 0, v[177:178]
	v_add_f64_e32 v[181:182], 0, v[181:182]
	v_fma_f64 v[183:184], v[4:5], v[10:11], v[183:184]
	v_fma_f64 v[189:190], v[2:3], v[10:11], -v[12:13]
	ds_load_b128 v[2:5], v1 offset:1312
	scratch_load_b128 v[10:13], off, off offset:448
	v_add_f64_e32 v[177:178], v[177:178], v[185:186]
	v_add_f64_e32 v[179:180], v[181:182], v[179:180]
	v_fma_f64 v[185:186], v[8:9], v[14:15], v[187:188]
	v_fma_f64 v[187:188], v[6:7], v[14:15], -v[16:17]
	ds_load_b128 v[6:9], v1 offset:1328
	scratch_load_b128 v[14:17], off, off offset:464
	s_wait_loadcnt_dscnt 0x901
	v_mul_f64_e32 v[181:182], v[2:3], v[20:21]
	v_mul_f64_e32 v[20:21], v[4:5], v[20:21]
	v_add_f64_e32 v[177:178], v[177:178], v[189:190]
	v_add_f64_e32 v[179:180], v[179:180], v[183:184]
	s_wait_loadcnt_dscnt 0x800
	v_mul_f64_e32 v[183:184], v[6:7], v[24:25]
	v_mul_f64_e32 v[24:25], v[8:9], v[24:25]
	v_fma_f64 v[181:182], v[4:5], v[18:19], v[181:182]
	v_fma_f64 v[189:190], v[2:3], v[18:19], -v[20:21]
	ds_load_b128 v[2:5], v1 offset:1344
	scratch_load_b128 v[18:21], off, off offset:480
	v_add_f64_e32 v[177:178], v[177:178], v[187:188]
	v_add_f64_e32 v[179:180], v[179:180], v[185:186]
	v_fma_f64 v[183:184], v[8:9], v[22:23], v[183:184]
	v_fma_f64 v[187:188], v[6:7], v[22:23], -v[24:25]
	ds_load_b128 v[6:9], v1 offset:1360
	s_wait_loadcnt_dscnt 0x801
	v_mul_f64_e32 v[185:186], v[2:3], v[28:29]
	v_mul_f64_e32 v[28:29], v[4:5], v[28:29]
	scratch_load_b128 v[22:25], off, off offset:496
	v_add_f64_e32 v[177:178], v[177:178], v[189:190]
	v_add_f64_e32 v[179:180], v[179:180], v[181:182]
	s_wait_loadcnt_dscnt 0x800
	v_mul_f64_e32 v[181:182], v[6:7], v[32:33]
	v_mul_f64_e32 v[32:33], v[8:9], v[32:33]
	v_fma_f64 v[185:186], v[4:5], v[26:27], v[185:186]
	v_fma_f64 v[189:190], v[2:3], v[26:27], -v[28:29]
	ds_load_b128 v[2:5], v1 offset:1376
	scratch_load_b128 v[26:29], off, off offset:512
	v_add_f64_e32 v[177:178], v[177:178], v[187:188]
	v_add_f64_e32 v[179:180], v[179:180], v[183:184]
	v_fma_f64 v[181:182], v[8:9], v[30:31], v[181:182]
	v_fma_f64 v[187:188], v[6:7], v[30:31], -v[32:33]
	ds_load_b128 v[6:9], v1 offset:1392
	s_wait_loadcnt_dscnt 0x801
	v_mul_f64_e32 v[183:184], v[2:3], v[36:37]
	v_mul_f64_e32 v[36:37], v[4:5], v[36:37]
	scratch_load_b128 v[30:33], off, off offset:528
	v_add_f64_e32 v[177:178], v[177:178], v[189:190]
	v_add_f64_e32 v[179:180], v[179:180], v[185:186]
	s_wait_loadcnt_dscnt 0x800
	v_mul_f64_e32 v[185:186], v[6:7], v[175:176]
	v_mul_f64_e32 v[175:176], v[8:9], v[175:176]
	v_fma_f64 v[183:184], v[4:5], v[34:35], v[183:184]
	v_fma_f64 v[189:190], v[2:3], v[34:35], -v[36:37]
	ds_load_b128 v[2:5], v1 offset:1408
	scratch_load_b128 v[34:37], off, off offset:544
	v_add_f64_e32 v[177:178], v[177:178], v[187:188]
	v_add_f64_e32 v[179:180], v[179:180], v[181:182]
	v_fma_f64 v[185:186], v[8:9], v[173:174], v[185:186]
	v_fma_f64 v[187:188], v[6:7], v[173:174], -v[175:176]
	ds_load_b128 v[6:9], v1 offset:1424
	scratch_load_b128 v[173:176], off, off offset:560
	s_wait_loadcnt_dscnt 0x901
	v_mul_f64_e32 v[181:182], v[2:3], v[40:41]
	v_mul_f64_e32 v[40:41], v[4:5], v[40:41]
	v_add_f64_e32 v[177:178], v[177:178], v[189:190]
	v_add_f64_e32 v[179:180], v[179:180], v[183:184]
	s_wait_loadcnt_dscnt 0x800
	v_mul_f64_e32 v[183:184], v[6:7], v[171:172]
	v_mul_f64_e32 v[171:172], v[8:9], v[171:172]
	v_fma_f64 v[181:182], v[4:5], v[38:39], v[181:182]
	v_fma_f64 v[189:190], v[2:3], v[38:39], -v[40:41]
	ds_load_b128 v[2:5], v1 offset:1440
	scratch_load_b128 v[38:41], off, off offset:576
	v_add_f64_e32 v[177:178], v[177:178], v[187:188]
	v_add_f64_e32 v[179:180], v[179:180], v[185:186]
	v_fma_f64 v[183:184], v[8:9], v[169:170], v[183:184]
	v_fma_f64 v[187:188], v[6:7], v[169:170], -v[171:172]
	ds_load_b128 v[6:9], v1 offset:1456
	s_wait_loadcnt_dscnt 0x801
	v_mul_f64_e32 v[185:186], v[2:3], v[12:13]
	v_mul_f64_e32 v[12:13], v[4:5], v[12:13]
	scratch_load_b128 v[169:172], off, off offset:592
	v_add_f64_e32 v[177:178], v[177:178], v[189:190]
	v_add_f64_e32 v[179:180], v[179:180], v[181:182]
	s_wait_loadcnt_dscnt 0x800
	v_mul_f64_e32 v[181:182], v[6:7], v[16:17]
	v_mul_f64_e32 v[16:17], v[8:9], v[16:17]
	v_fma_f64 v[185:186], v[4:5], v[10:11], v[185:186]
	v_fma_f64 v[189:190], v[2:3], v[10:11], -v[12:13]
	ds_load_b128 v[2:5], v1 offset:1472
	scratch_load_b128 v[10:13], off, off offset:608
	v_add_f64_e32 v[177:178], v[177:178], v[187:188]
	v_add_f64_e32 v[179:180], v[179:180], v[183:184]
	v_fma_f64 v[181:182], v[8:9], v[14:15], v[181:182]
	v_fma_f64 v[187:188], v[6:7], v[14:15], -v[16:17]
	ds_load_b128 v[6:9], v1 offset:1488
	s_wait_loadcnt_dscnt 0x801
	v_mul_f64_e32 v[183:184], v[2:3], v[20:21]
	v_mul_f64_e32 v[20:21], v[4:5], v[20:21]
	scratch_load_b128 v[14:17], off, off offset:624
	;; [unrolled: 18-line block ×14, first 2 shown]
	v_add_f64_e32 v[177:178], v[177:178], v[189:190]
	v_add_f64_e32 v[179:180], v[179:180], v[185:186]
	s_wait_loadcnt_dscnt 0x800
	v_mul_f64_e32 v[185:186], v[6:7], v[175:176]
	v_mul_f64_e32 v[175:176], v[8:9], v[175:176]
	v_fma_f64 v[183:184], v[4:5], v[34:35], v[183:184]
	v_fma_f64 v[34:35], v[2:3], v[34:35], -v[36:37]
	ds_load_b128 v[2:5], v1 offset:1888
	v_add_f64_e32 v[36:37], v[177:178], v[187:188]
	v_add_f64_e32 v[177:178], v[179:180], v[181:182]
	v_fma_f64 v[181:182], v[8:9], v[173:174], v[185:186]
	v_fma_f64 v[173:174], v[6:7], v[173:174], -v[175:176]
	ds_load_b128 v[6:9], v1 offset:1904
	s_wait_loadcnt_dscnt 0x701
	v_mul_f64_e32 v[179:180], v[2:3], v[40:41]
	v_mul_f64_e32 v[40:41], v[4:5], v[40:41]
	v_add_f64_e32 v[34:35], v[36:37], v[34:35]
	v_add_f64_e32 v[36:37], v[177:178], v[183:184]
	s_delay_alu instid0(VALU_DEP_4) | instskip(NEXT) | instid1(VALU_DEP_4)
	v_fma_f64 v[177:178], v[4:5], v[38:39], v[179:180]
	v_fma_f64 v[38:39], v[2:3], v[38:39], -v[40:41]
	ds_load_b128 v[2:5], v1 offset:1920
	v_add_f64_e32 v[40:41], v[34:35], v[173:174]
	v_add_f64_e32 v[173:174], v[36:37], v[181:182]
	scratch_load_b128 v[34:37], off, off offset:240
	s_wait_loadcnt_dscnt 0x701
	v_mul_f64_e32 v[175:176], v[6:7], v[171:172]
	v_mul_f64_e32 v[171:172], v[8:9], v[171:172]
	v_add_f64_e32 v[38:39], v[40:41], v[38:39]
	v_add_f64_e32 v[40:41], v[173:174], v[177:178]
	s_delay_alu instid0(VALU_DEP_4) | instskip(NEXT) | instid1(VALU_DEP_4)
	v_fma_f64 v[175:176], v[8:9], v[169:170], v[175:176]
	v_fma_f64 v[169:170], v[6:7], v[169:170], -v[171:172]
	ds_load_b128 v[6:9], v1 offset:1936
	s_wait_loadcnt_dscnt 0x601
	v_mul_f64_e32 v[179:180], v[2:3], v[12:13]
	v_mul_f64_e32 v[12:13], v[4:5], v[12:13]
	s_wait_loadcnt_dscnt 0x500
	v_mul_f64_e32 v[171:172], v[6:7], v[16:17]
	v_mul_f64_e32 v[16:17], v[8:9], v[16:17]
	s_delay_alu instid0(VALU_DEP_4) | instskip(NEXT) | instid1(VALU_DEP_4)
	v_fma_f64 v[173:174], v[4:5], v[10:11], v[179:180]
	v_fma_f64 v[10:11], v[2:3], v[10:11], -v[12:13]
	v_add_f64_e32 v[12:13], v[38:39], v[169:170]
	v_add_f64_e32 v[38:39], v[40:41], v[175:176]
	ds_load_b128 v[2:5], v1 offset:1952
	v_fma_f64 v[169:170], v[8:9], v[14:15], v[171:172]
	v_fma_f64 v[14:15], v[6:7], v[14:15], -v[16:17]
	ds_load_b128 v[6:9], v1 offset:1968
	s_wait_loadcnt_dscnt 0x401
	v_mul_f64_e32 v[40:41], v[2:3], v[20:21]
	v_mul_f64_e32 v[20:21], v[4:5], v[20:21]
	v_add_f64_e32 v[10:11], v[12:13], v[10:11]
	v_add_f64_e32 v[12:13], v[38:39], v[173:174]
	s_wait_loadcnt_dscnt 0x300
	v_mul_f64_e32 v[16:17], v[6:7], v[24:25]
	v_mul_f64_e32 v[24:25], v[8:9], v[24:25]
	v_fma_f64 v[38:39], v[4:5], v[18:19], v[40:41]
	v_fma_f64 v[18:19], v[2:3], v[18:19], -v[20:21]
	ds_load_b128 v[2:5], v1 offset:1984
	v_add_f64_e32 v[10:11], v[10:11], v[14:15]
	v_add_f64_e32 v[12:13], v[12:13], v[169:170]
	v_fma_f64 v[16:17], v[8:9], v[22:23], v[16:17]
	v_fma_f64 v[22:23], v[6:7], v[22:23], -v[24:25]
	ds_load_b128 v[6:9], v1 offset:2000
	s_wait_loadcnt_dscnt 0x201
	v_mul_f64_e32 v[14:15], v[2:3], v[28:29]
	v_mul_f64_e32 v[20:21], v[4:5], v[28:29]
	s_wait_loadcnt_dscnt 0x100
	v_mul_f64_e32 v[24:25], v[8:9], v[32:33]
	v_add_f64_e32 v[10:11], v[10:11], v[18:19]
	v_add_f64_e32 v[12:13], v[12:13], v[38:39]
	v_mul_f64_e32 v[18:19], v[6:7], v[32:33]
	v_fma_f64 v[4:5], v[4:5], v[26:27], v[14:15]
	v_fma_f64 v[1:2], v[2:3], v[26:27], -v[20:21]
	v_fma_f64 v[6:7], v[6:7], v[30:31], -v[24:25]
	v_add_f64_e32 v[10:11], v[10:11], v[22:23]
	v_add_f64_e32 v[12:13], v[12:13], v[16:17]
	v_fma_f64 v[8:9], v[8:9], v[30:31], v[18:19]
	s_delay_alu instid0(VALU_DEP_3) | instskip(NEXT) | instid1(VALU_DEP_3)
	v_add_f64_e32 v[1:2], v[10:11], v[1:2]
	v_add_f64_e32 v[3:4], v[12:13], v[4:5]
	s_delay_alu instid0(VALU_DEP_2) | instskip(NEXT) | instid1(VALU_DEP_2)
	v_add_f64_e32 v[1:2], v[1:2], v[6:7]
	v_add_f64_e32 v[3:4], v[3:4], v[8:9]
	s_wait_loadcnt 0x0
	s_delay_alu instid0(VALU_DEP_2) | instskip(NEXT) | instid1(VALU_DEP_2)
	v_add_f64_e64 v[1:2], v[34:35], -v[1:2]
	v_add_f64_e64 v[3:4], v[36:37], -v[3:4]
	scratch_store_b128 off, v[1:4], off offset:240
	v_cmpx_lt_u32_e32 13, v0
	s_cbranch_execz .LBB62_377
; %bb.376:
	scratch_load_b128 v[1:4], off, s64
	v_mov_b32_e32 v5, 0
	s_delay_alu instid0(VALU_DEP_1)
	v_dual_mov_b32 v6, v5 :: v_dual_mov_b32 v7, v5
	v_mov_b32_e32 v8, v5
	scratch_store_b128 off, v[5:8], off offset:224
	s_wait_loadcnt 0x0
	ds_store_b128 v168, v[1:4]
.LBB62_377:
	s_wait_alu 0xfffe
	s_or_b32 exec_lo, exec_lo, s0
	s_wait_storecnt_dscnt 0x0
	s_barrier_signal -1
	s_barrier_wait -1
	global_inv scope:SCOPE_SE
	s_clause 0x7
	scratch_load_b128 v[2:5], off, off offset:240
	scratch_load_b128 v[6:9], off, off offset:256
	;; [unrolled: 1-line block ×8, first 2 shown]
	v_mov_b32_e32 v1, 0
	s_clause 0x1
	scratch_load_b128 v[34:37], off, off offset:368
	scratch_load_b128 v[173:176], off, off offset:384
	s_mov_b32 s0, exec_lo
	ds_load_b128 v[38:41], v1 offset:1232
	ds_load_b128 v[169:172], v1 offset:1248
	s_wait_loadcnt_dscnt 0x901
	v_mul_f64_e32 v[177:178], v[40:41], v[4:5]
	v_mul_f64_e32 v[4:5], v[38:39], v[4:5]
	s_wait_loadcnt_dscnt 0x800
	v_mul_f64_e32 v[179:180], v[169:170], v[8:9]
	v_mul_f64_e32 v[8:9], v[171:172], v[8:9]
	s_delay_alu instid0(VALU_DEP_4) | instskip(NEXT) | instid1(VALU_DEP_4)
	v_fma_f64 v[177:178], v[38:39], v[2:3], -v[177:178]
	v_fma_f64 v[181:182], v[40:41], v[2:3], v[4:5]
	ds_load_b128 v[2:5], v1 offset:1264
	scratch_load_b128 v[38:41], off, off offset:400
	v_fma_f64 v[179:180], v[171:172], v[6:7], v[179:180]
	v_fma_f64 v[185:186], v[169:170], v[6:7], -v[8:9]
	ds_load_b128 v[6:9], v1 offset:1280
	scratch_load_b128 v[169:172], off, off offset:416
	s_wait_loadcnt_dscnt 0x901
	v_mul_f64_e32 v[183:184], v[2:3], v[12:13]
	v_mul_f64_e32 v[12:13], v[4:5], v[12:13]
	s_wait_loadcnt_dscnt 0x800
	v_mul_f64_e32 v[187:188], v[6:7], v[16:17]
	v_mul_f64_e32 v[16:17], v[8:9], v[16:17]
	v_add_f64_e32 v[177:178], 0, v[177:178]
	v_add_f64_e32 v[181:182], 0, v[181:182]
	v_fma_f64 v[183:184], v[4:5], v[10:11], v[183:184]
	v_fma_f64 v[189:190], v[2:3], v[10:11], -v[12:13]
	ds_load_b128 v[2:5], v1 offset:1296
	scratch_load_b128 v[10:13], off, off offset:432
	v_add_f64_e32 v[177:178], v[177:178], v[185:186]
	v_add_f64_e32 v[179:180], v[181:182], v[179:180]
	v_fma_f64 v[185:186], v[8:9], v[14:15], v[187:188]
	v_fma_f64 v[187:188], v[6:7], v[14:15], -v[16:17]
	ds_load_b128 v[6:9], v1 offset:1312
	scratch_load_b128 v[14:17], off, off offset:448
	s_wait_loadcnt_dscnt 0x901
	v_mul_f64_e32 v[181:182], v[2:3], v[20:21]
	v_mul_f64_e32 v[20:21], v[4:5], v[20:21]
	v_add_f64_e32 v[177:178], v[177:178], v[189:190]
	v_add_f64_e32 v[179:180], v[179:180], v[183:184]
	s_wait_loadcnt_dscnt 0x800
	v_mul_f64_e32 v[183:184], v[6:7], v[24:25]
	v_mul_f64_e32 v[24:25], v[8:9], v[24:25]
	v_fma_f64 v[181:182], v[4:5], v[18:19], v[181:182]
	v_fma_f64 v[189:190], v[2:3], v[18:19], -v[20:21]
	ds_load_b128 v[2:5], v1 offset:1328
	scratch_load_b128 v[18:21], off, off offset:464
	v_add_f64_e32 v[177:178], v[177:178], v[187:188]
	v_add_f64_e32 v[179:180], v[179:180], v[185:186]
	v_fma_f64 v[183:184], v[8:9], v[22:23], v[183:184]
	v_fma_f64 v[187:188], v[6:7], v[22:23], -v[24:25]
	ds_load_b128 v[6:9], v1 offset:1344
	s_wait_loadcnt_dscnt 0x801
	v_mul_f64_e32 v[185:186], v[2:3], v[28:29]
	v_mul_f64_e32 v[28:29], v[4:5], v[28:29]
	scratch_load_b128 v[22:25], off, off offset:480
	v_add_f64_e32 v[177:178], v[177:178], v[189:190]
	v_add_f64_e32 v[179:180], v[179:180], v[181:182]
	s_wait_loadcnt_dscnt 0x800
	v_mul_f64_e32 v[181:182], v[6:7], v[32:33]
	v_mul_f64_e32 v[32:33], v[8:9], v[32:33]
	v_fma_f64 v[185:186], v[4:5], v[26:27], v[185:186]
	v_fma_f64 v[189:190], v[2:3], v[26:27], -v[28:29]
	ds_load_b128 v[2:5], v1 offset:1360
	scratch_load_b128 v[26:29], off, off offset:496
	v_add_f64_e32 v[177:178], v[177:178], v[187:188]
	v_add_f64_e32 v[179:180], v[179:180], v[183:184]
	v_fma_f64 v[181:182], v[8:9], v[30:31], v[181:182]
	v_fma_f64 v[187:188], v[6:7], v[30:31], -v[32:33]
	ds_load_b128 v[6:9], v1 offset:1376
	s_wait_loadcnt_dscnt 0x801
	v_mul_f64_e32 v[183:184], v[2:3], v[36:37]
	v_mul_f64_e32 v[36:37], v[4:5], v[36:37]
	scratch_load_b128 v[30:33], off, off offset:512
	v_add_f64_e32 v[177:178], v[177:178], v[189:190]
	v_add_f64_e32 v[179:180], v[179:180], v[185:186]
	s_wait_loadcnt_dscnt 0x800
	v_mul_f64_e32 v[185:186], v[6:7], v[175:176]
	v_mul_f64_e32 v[175:176], v[8:9], v[175:176]
	v_fma_f64 v[183:184], v[4:5], v[34:35], v[183:184]
	v_fma_f64 v[189:190], v[2:3], v[34:35], -v[36:37]
	ds_load_b128 v[2:5], v1 offset:1392
	scratch_load_b128 v[34:37], off, off offset:528
	v_add_f64_e32 v[177:178], v[177:178], v[187:188]
	v_add_f64_e32 v[179:180], v[179:180], v[181:182]
	v_fma_f64 v[185:186], v[8:9], v[173:174], v[185:186]
	v_fma_f64 v[187:188], v[6:7], v[173:174], -v[175:176]
	ds_load_b128 v[6:9], v1 offset:1408
	scratch_load_b128 v[173:176], off, off offset:544
	s_wait_loadcnt_dscnt 0x901
	v_mul_f64_e32 v[181:182], v[2:3], v[40:41]
	v_mul_f64_e32 v[40:41], v[4:5], v[40:41]
	v_add_f64_e32 v[177:178], v[177:178], v[189:190]
	v_add_f64_e32 v[179:180], v[179:180], v[183:184]
	s_wait_loadcnt_dscnt 0x800
	v_mul_f64_e32 v[183:184], v[6:7], v[171:172]
	v_mul_f64_e32 v[171:172], v[8:9], v[171:172]
	v_fma_f64 v[181:182], v[4:5], v[38:39], v[181:182]
	v_fma_f64 v[189:190], v[2:3], v[38:39], -v[40:41]
	ds_load_b128 v[2:5], v1 offset:1424
	scratch_load_b128 v[38:41], off, off offset:560
	v_add_f64_e32 v[177:178], v[177:178], v[187:188]
	v_add_f64_e32 v[179:180], v[179:180], v[185:186]
	v_fma_f64 v[183:184], v[8:9], v[169:170], v[183:184]
	v_fma_f64 v[187:188], v[6:7], v[169:170], -v[171:172]
	ds_load_b128 v[6:9], v1 offset:1440
	s_wait_loadcnt_dscnt 0x801
	v_mul_f64_e32 v[185:186], v[2:3], v[12:13]
	v_mul_f64_e32 v[12:13], v[4:5], v[12:13]
	scratch_load_b128 v[169:172], off, off offset:576
	v_add_f64_e32 v[177:178], v[177:178], v[189:190]
	v_add_f64_e32 v[179:180], v[179:180], v[181:182]
	s_wait_loadcnt_dscnt 0x800
	v_mul_f64_e32 v[181:182], v[6:7], v[16:17]
	v_mul_f64_e32 v[16:17], v[8:9], v[16:17]
	v_fma_f64 v[185:186], v[4:5], v[10:11], v[185:186]
	v_fma_f64 v[189:190], v[2:3], v[10:11], -v[12:13]
	ds_load_b128 v[2:5], v1 offset:1456
	scratch_load_b128 v[10:13], off, off offset:592
	v_add_f64_e32 v[177:178], v[177:178], v[187:188]
	v_add_f64_e32 v[179:180], v[179:180], v[183:184]
	v_fma_f64 v[181:182], v[8:9], v[14:15], v[181:182]
	v_fma_f64 v[187:188], v[6:7], v[14:15], -v[16:17]
	ds_load_b128 v[6:9], v1 offset:1472
	s_wait_loadcnt_dscnt 0x801
	v_mul_f64_e32 v[183:184], v[2:3], v[20:21]
	v_mul_f64_e32 v[20:21], v[4:5], v[20:21]
	scratch_load_b128 v[14:17], off, off offset:608
	;; [unrolled: 18-line block ×14, first 2 shown]
	v_add_f64_e32 v[177:178], v[177:178], v[189:190]
	v_add_f64_e32 v[179:180], v[179:180], v[185:186]
	s_wait_loadcnt_dscnt 0x800
	v_mul_f64_e32 v[185:186], v[6:7], v[175:176]
	v_mul_f64_e32 v[175:176], v[8:9], v[175:176]
	v_fma_f64 v[183:184], v[4:5], v[34:35], v[183:184]
	v_fma_f64 v[189:190], v[2:3], v[34:35], -v[36:37]
	ds_load_b128 v[2:5], v1 offset:1872
	scratch_load_b128 v[34:37], off, off offset:1008
	v_add_f64_e32 v[177:178], v[177:178], v[187:188]
	v_add_f64_e32 v[179:180], v[179:180], v[181:182]
	v_fma_f64 v[185:186], v[8:9], v[173:174], v[185:186]
	v_fma_f64 v[173:174], v[6:7], v[173:174], -v[175:176]
	ds_load_b128 v[6:9], v1 offset:1888
	s_wait_loadcnt_dscnt 0x801
	v_mul_f64_e32 v[181:182], v[2:3], v[40:41]
	v_mul_f64_e32 v[40:41], v[4:5], v[40:41]
	v_add_f64_e32 v[175:176], v[177:178], v[189:190]
	v_add_f64_e32 v[177:178], v[179:180], v[183:184]
	s_wait_loadcnt_dscnt 0x700
	v_mul_f64_e32 v[179:180], v[6:7], v[171:172]
	v_mul_f64_e32 v[171:172], v[8:9], v[171:172]
	v_fma_f64 v[181:182], v[4:5], v[38:39], v[181:182]
	v_fma_f64 v[38:39], v[2:3], v[38:39], -v[40:41]
	ds_load_b128 v[2:5], v1 offset:1904
	v_add_f64_e32 v[40:41], v[175:176], v[173:174]
	v_add_f64_e32 v[173:174], v[177:178], v[185:186]
	v_fma_f64 v[177:178], v[8:9], v[169:170], v[179:180]
	v_fma_f64 v[169:170], v[6:7], v[169:170], -v[171:172]
	ds_load_b128 v[6:9], v1 offset:1920
	s_wait_loadcnt_dscnt 0x500
	v_mul_f64_e32 v[179:180], v[6:7], v[16:17]
	v_mul_f64_e32 v[16:17], v[8:9], v[16:17]
	v_add_f64_e32 v[171:172], v[40:41], v[38:39]
	v_add_f64_e32 v[173:174], v[173:174], v[181:182]
	scratch_load_b128 v[38:41], off, off offset:224
	v_mul_f64_e32 v[175:176], v[2:3], v[12:13]
	v_mul_f64_e32 v[12:13], v[4:5], v[12:13]
	s_delay_alu instid0(VALU_DEP_2) | instskip(NEXT) | instid1(VALU_DEP_2)
	v_fma_f64 v[175:176], v[4:5], v[10:11], v[175:176]
	v_fma_f64 v[10:11], v[2:3], v[10:11], -v[12:13]
	v_add_f64_e32 v[12:13], v[171:172], v[169:170]
	v_add_f64_e32 v[169:170], v[173:174], v[177:178]
	ds_load_b128 v[2:5], v1 offset:1936
	v_fma_f64 v[173:174], v[8:9], v[14:15], v[179:180]
	v_fma_f64 v[14:15], v[6:7], v[14:15], -v[16:17]
	ds_load_b128 v[6:9], v1 offset:1952
	s_wait_loadcnt_dscnt 0x501
	v_mul_f64_e32 v[171:172], v[2:3], v[20:21]
	v_mul_f64_e32 v[20:21], v[4:5], v[20:21]
	s_wait_loadcnt_dscnt 0x400
	v_mul_f64_e32 v[16:17], v[6:7], v[24:25]
	v_mul_f64_e32 v[24:25], v[8:9], v[24:25]
	v_add_f64_e32 v[10:11], v[12:13], v[10:11]
	v_add_f64_e32 v[12:13], v[169:170], v[175:176]
	v_fma_f64 v[169:170], v[4:5], v[18:19], v[171:172]
	v_fma_f64 v[18:19], v[2:3], v[18:19], -v[20:21]
	ds_load_b128 v[2:5], v1 offset:1968
	v_fma_f64 v[16:17], v[8:9], v[22:23], v[16:17]
	v_fma_f64 v[22:23], v[6:7], v[22:23], -v[24:25]
	ds_load_b128 v[6:9], v1 offset:1984
	v_add_f64_e32 v[10:11], v[10:11], v[14:15]
	v_add_f64_e32 v[12:13], v[12:13], v[173:174]
	s_wait_loadcnt_dscnt 0x301
	v_mul_f64_e32 v[14:15], v[2:3], v[28:29]
	v_mul_f64_e32 v[20:21], v[4:5], v[28:29]
	s_wait_loadcnt_dscnt 0x200
	v_mul_f64_e32 v[24:25], v[8:9], v[32:33]
	v_add_f64_e32 v[10:11], v[10:11], v[18:19]
	v_add_f64_e32 v[12:13], v[12:13], v[169:170]
	v_mul_f64_e32 v[18:19], v[6:7], v[32:33]
	v_fma_f64 v[14:15], v[4:5], v[26:27], v[14:15]
	v_fma_f64 v[20:21], v[2:3], v[26:27], -v[20:21]
	ds_load_b128 v[2:5], v1 offset:2000
	v_fma_f64 v[6:7], v[6:7], v[30:31], -v[24:25]
	v_add_f64_e32 v[10:11], v[10:11], v[22:23]
	v_add_f64_e32 v[12:13], v[12:13], v[16:17]
	s_wait_loadcnt_dscnt 0x100
	v_mul_f64_e32 v[16:17], v[2:3], v[36:37]
	v_mul_f64_e32 v[22:23], v[4:5], v[36:37]
	v_fma_f64 v[8:9], v[8:9], v[30:31], v[18:19]
	v_add_f64_e32 v[10:11], v[10:11], v[20:21]
	v_add_f64_e32 v[12:13], v[12:13], v[14:15]
	v_fma_f64 v[4:5], v[4:5], v[34:35], v[16:17]
	v_fma_f64 v[2:3], v[2:3], v[34:35], -v[22:23]
	s_delay_alu instid0(VALU_DEP_4) | instskip(NEXT) | instid1(VALU_DEP_4)
	v_add_f64_e32 v[6:7], v[10:11], v[6:7]
	v_add_f64_e32 v[8:9], v[12:13], v[8:9]
	s_delay_alu instid0(VALU_DEP_2) | instskip(NEXT) | instid1(VALU_DEP_2)
	v_add_f64_e32 v[2:3], v[6:7], v[2:3]
	v_add_f64_e32 v[4:5], v[8:9], v[4:5]
	s_wait_loadcnt 0x0
	s_delay_alu instid0(VALU_DEP_2) | instskip(NEXT) | instid1(VALU_DEP_2)
	v_add_f64_e64 v[2:3], v[38:39], -v[2:3]
	v_add_f64_e64 v[4:5], v[40:41], -v[4:5]
	scratch_store_b128 off, v[2:5], off offset:224
	v_cmpx_lt_u32_e32 12, v0
	s_cbranch_execz .LBB62_379
; %bb.378:
	scratch_load_b128 v[5:8], off, s66
	v_dual_mov_b32 v2, v1 :: v_dual_mov_b32 v3, v1
	v_mov_b32_e32 v4, v1
	scratch_store_b128 off, v[1:4], off offset:208
	s_wait_loadcnt 0x0
	ds_store_b128 v168, v[5:8]
.LBB62_379:
	s_wait_alu 0xfffe
	s_or_b32 exec_lo, exec_lo, s0
	s_wait_storecnt_dscnt 0x0
	s_barrier_signal -1
	s_barrier_wait -1
	global_inv scope:SCOPE_SE
	s_clause 0x7
	scratch_load_b128 v[2:5], off, off offset:224
	scratch_load_b128 v[6:9], off, off offset:240
	;; [unrolled: 1-line block ×8, first 2 shown]
	ds_load_b128 v[38:41], v1 offset:1216
	ds_load_b128 v[169:172], v1 offset:1232
	s_clause 0x1
	scratch_load_b128 v[34:37], off, off offset:352
	scratch_load_b128 v[173:176], off, off offset:368
	s_mov_b32 s0, exec_lo
	s_wait_loadcnt_dscnt 0x901
	v_mul_f64_e32 v[177:178], v[40:41], v[4:5]
	v_mul_f64_e32 v[4:5], v[38:39], v[4:5]
	s_wait_loadcnt_dscnt 0x800
	v_mul_f64_e32 v[179:180], v[169:170], v[8:9]
	v_mul_f64_e32 v[8:9], v[171:172], v[8:9]
	s_delay_alu instid0(VALU_DEP_4) | instskip(NEXT) | instid1(VALU_DEP_4)
	v_fma_f64 v[177:178], v[38:39], v[2:3], -v[177:178]
	v_fma_f64 v[181:182], v[40:41], v[2:3], v[4:5]
	ds_load_b128 v[2:5], v1 offset:1248
	scratch_load_b128 v[38:41], off, off offset:384
	v_fma_f64 v[179:180], v[171:172], v[6:7], v[179:180]
	v_fma_f64 v[185:186], v[169:170], v[6:7], -v[8:9]
	ds_load_b128 v[6:9], v1 offset:1264
	scratch_load_b128 v[169:172], off, off offset:400
	s_wait_loadcnt_dscnt 0x901
	v_mul_f64_e32 v[183:184], v[2:3], v[12:13]
	v_mul_f64_e32 v[12:13], v[4:5], v[12:13]
	s_wait_loadcnt_dscnt 0x800
	v_mul_f64_e32 v[187:188], v[6:7], v[16:17]
	v_mul_f64_e32 v[16:17], v[8:9], v[16:17]
	v_add_f64_e32 v[177:178], 0, v[177:178]
	v_add_f64_e32 v[181:182], 0, v[181:182]
	v_fma_f64 v[183:184], v[4:5], v[10:11], v[183:184]
	v_fma_f64 v[189:190], v[2:3], v[10:11], -v[12:13]
	ds_load_b128 v[2:5], v1 offset:1280
	scratch_load_b128 v[10:13], off, off offset:416
	v_add_f64_e32 v[177:178], v[177:178], v[185:186]
	v_add_f64_e32 v[179:180], v[181:182], v[179:180]
	v_fma_f64 v[185:186], v[8:9], v[14:15], v[187:188]
	v_fma_f64 v[187:188], v[6:7], v[14:15], -v[16:17]
	ds_load_b128 v[6:9], v1 offset:1296
	scratch_load_b128 v[14:17], off, off offset:432
	s_wait_loadcnt_dscnt 0x901
	v_mul_f64_e32 v[181:182], v[2:3], v[20:21]
	v_mul_f64_e32 v[20:21], v[4:5], v[20:21]
	v_add_f64_e32 v[177:178], v[177:178], v[189:190]
	v_add_f64_e32 v[179:180], v[179:180], v[183:184]
	s_wait_loadcnt_dscnt 0x800
	v_mul_f64_e32 v[183:184], v[6:7], v[24:25]
	v_mul_f64_e32 v[24:25], v[8:9], v[24:25]
	v_fma_f64 v[181:182], v[4:5], v[18:19], v[181:182]
	v_fma_f64 v[189:190], v[2:3], v[18:19], -v[20:21]
	ds_load_b128 v[2:5], v1 offset:1312
	scratch_load_b128 v[18:21], off, off offset:448
	v_add_f64_e32 v[177:178], v[177:178], v[187:188]
	v_add_f64_e32 v[179:180], v[179:180], v[185:186]
	v_fma_f64 v[183:184], v[8:9], v[22:23], v[183:184]
	v_fma_f64 v[187:188], v[6:7], v[22:23], -v[24:25]
	ds_load_b128 v[6:9], v1 offset:1328
	s_wait_loadcnt_dscnt 0x801
	v_mul_f64_e32 v[185:186], v[2:3], v[28:29]
	v_mul_f64_e32 v[28:29], v[4:5], v[28:29]
	scratch_load_b128 v[22:25], off, off offset:464
	v_add_f64_e32 v[177:178], v[177:178], v[189:190]
	v_add_f64_e32 v[179:180], v[179:180], v[181:182]
	s_wait_loadcnt_dscnt 0x800
	v_mul_f64_e32 v[181:182], v[6:7], v[32:33]
	v_mul_f64_e32 v[32:33], v[8:9], v[32:33]
	v_fma_f64 v[185:186], v[4:5], v[26:27], v[185:186]
	v_fma_f64 v[189:190], v[2:3], v[26:27], -v[28:29]
	ds_load_b128 v[2:5], v1 offset:1344
	scratch_load_b128 v[26:29], off, off offset:480
	v_add_f64_e32 v[177:178], v[177:178], v[187:188]
	v_add_f64_e32 v[179:180], v[179:180], v[183:184]
	v_fma_f64 v[181:182], v[8:9], v[30:31], v[181:182]
	v_fma_f64 v[187:188], v[6:7], v[30:31], -v[32:33]
	ds_load_b128 v[6:9], v1 offset:1360
	s_wait_loadcnt_dscnt 0x801
	v_mul_f64_e32 v[183:184], v[2:3], v[36:37]
	v_mul_f64_e32 v[36:37], v[4:5], v[36:37]
	scratch_load_b128 v[30:33], off, off offset:496
	v_add_f64_e32 v[177:178], v[177:178], v[189:190]
	v_add_f64_e32 v[179:180], v[179:180], v[185:186]
	s_wait_loadcnt_dscnt 0x800
	v_mul_f64_e32 v[185:186], v[6:7], v[175:176]
	v_mul_f64_e32 v[175:176], v[8:9], v[175:176]
	v_fma_f64 v[183:184], v[4:5], v[34:35], v[183:184]
	v_fma_f64 v[189:190], v[2:3], v[34:35], -v[36:37]
	ds_load_b128 v[2:5], v1 offset:1376
	scratch_load_b128 v[34:37], off, off offset:512
	v_add_f64_e32 v[177:178], v[177:178], v[187:188]
	v_add_f64_e32 v[179:180], v[179:180], v[181:182]
	v_fma_f64 v[185:186], v[8:9], v[173:174], v[185:186]
	v_fma_f64 v[187:188], v[6:7], v[173:174], -v[175:176]
	ds_load_b128 v[6:9], v1 offset:1392
	scratch_load_b128 v[173:176], off, off offset:528
	s_wait_loadcnt_dscnt 0x901
	v_mul_f64_e32 v[181:182], v[2:3], v[40:41]
	v_mul_f64_e32 v[40:41], v[4:5], v[40:41]
	v_add_f64_e32 v[177:178], v[177:178], v[189:190]
	v_add_f64_e32 v[179:180], v[179:180], v[183:184]
	s_wait_loadcnt_dscnt 0x800
	v_mul_f64_e32 v[183:184], v[6:7], v[171:172]
	v_mul_f64_e32 v[171:172], v[8:9], v[171:172]
	v_fma_f64 v[181:182], v[4:5], v[38:39], v[181:182]
	v_fma_f64 v[189:190], v[2:3], v[38:39], -v[40:41]
	ds_load_b128 v[2:5], v1 offset:1408
	scratch_load_b128 v[38:41], off, off offset:544
	v_add_f64_e32 v[177:178], v[177:178], v[187:188]
	v_add_f64_e32 v[179:180], v[179:180], v[185:186]
	v_fma_f64 v[183:184], v[8:9], v[169:170], v[183:184]
	v_fma_f64 v[187:188], v[6:7], v[169:170], -v[171:172]
	ds_load_b128 v[6:9], v1 offset:1424
	s_wait_loadcnt_dscnt 0x801
	v_mul_f64_e32 v[185:186], v[2:3], v[12:13]
	v_mul_f64_e32 v[12:13], v[4:5], v[12:13]
	scratch_load_b128 v[169:172], off, off offset:560
	v_add_f64_e32 v[177:178], v[177:178], v[189:190]
	v_add_f64_e32 v[179:180], v[179:180], v[181:182]
	s_wait_loadcnt_dscnt 0x800
	v_mul_f64_e32 v[181:182], v[6:7], v[16:17]
	v_mul_f64_e32 v[16:17], v[8:9], v[16:17]
	v_fma_f64 v[185:186], v[4:5], v[10:11], v[185:186]
	v_fma_f64 v[189:190], v[2:3], v[10:11], -v[12:13]
	ds_load_b128 v[2:5], v1 offset:1440
	scratch_load_b128 v[10:13], off, off offset:576
	v_add_f64_e32 v[177:178], v[177:178], v[187:188]
	v_add_f64_e32 v[179:180], v[179:180], v[183:184]
	v_fma_f64 v[181:182], v[8:9], v[14:15], v[181:182]
	v_fma_f64 v[187:188], v[6:7], v[14:15], -v[16:17]
	ds_load_b128 v[6:9], v1 offset:1456
	s_wait_loadcnt_dscnt 0x801
	v_mul_f64_e32 v[183:184], v[2:3], v[20:21]
	v_mul_f64_e32 v[20:21], v[4:5], v[20:21]
	scratch_load_b128 v[14:17], off, off offset:592
	;; [unrolled: 18-line block ×6, first 2 shown]
	v_add_f64_e32 v[177:178], v[177:178], v[189:190]
	v_add_f64_e32 v[179:180], v[179:180], v[183:184]
	s_wait_loadcnt_dscnt 0x800
	v_mul_f64_e32 v[183:184], v[6:7], v[16:17]
	v_mul_f64_e32 v[16:17], v[8:9], v[16:17]
	v_fma_f64 v[181:182], v[4:5], v[10:11], v[181:182]
	v_fma_f64 v[189:190], v[2:3], v[10:11], -v[12:13]
	scratch_load_b128 v[10:13], off, off offset:736
	ds_load_b128 v[2:5], v1 offset:1600
	v_add_f64_e32 v[177:178], v[177:178], v[187:188]
	v_add_f64_e32 v[179:180], v[179:180], v[185:186]
	v_fma_f64 v[183:184], v[8:9], v[14:15], v[183:184]
	v_fma_f64 v[187:188], v[6:7], v[14:15], -v[16:17]
	ds_load_b128 v[6:9], v1 offset:1616
	s_wait_loadcnt_dscnt 0x801
	v_mul_f64_e32 v[185:186], v[2:3], v[20:21]
	v_mul_f64_e32 v[20:21], v[4:5], v[20:21]
	scratch_load_b128 v[14:17], off, off offset:752
	v_add_f64_e32 v[177:178], v[177:178], v[189:190]
	v_add_f64_e32 v[179:180], v[179:180], v[181:182]
	s_wait_loadcnt_dscnt 0x800
	v_mul_f64_e32 v[181:182], v[6:7], v[24:25]
	v_mul_f64_e32 v[24:25], v[8:9], v[24:25]
	v_fma_f64 v[185:186], v[4:5], v[18:19], v[185:186]
	v_fma_f64 v[189:190], v[2:3], v[18:19], -v[20:21]
	ds_load_b128 v[2:5], v1 offset:1632
	scratch_load_b128 v[18:21], off, off offset:768
	v_add_f64_e32 v[177:178], v[177:178], v[187:188]
	v_add_f64_e32 v[179:180], v[179:180], v[183:184]
	v_fma_f64 v[181:182], v[8:9], v[22:23], v[181:182]
	v_fma_f64 v[187:188], v[6:7], v[22:23], -v[24:25]
	ds_load_b128 v[6:9], v1 offset:1648
	s_wait_loadcnt_dscnt 0x801
	v_mul_f64_e32 v[183:184], v[2:3], v[28:29]
	v_mul_f64_e32 v[28:29], v[4:5], v[28:29]
	scratch_load_b128 v[22:25], off, off offset:784
	v_add_f64_e32 v[177:178], v[177:178], v[189:190]
	v_add_f64_e32 v[179:180], v[179:180], v[185:186]
	s_wait_loadcnt_dscnt 0x800
	v_mul_f64_e32 v[185:186], v[6:7], v[32:33]
	v_mul_f64_e32 v[32:33], v[8:9], v[32:33]
	v_fma_f64 v[183:184], v[4:5], v[26:27], v[183:184]
	v_fma_f64 v[189:190], v[2:3], v[26:27], -v[28:29]
	ds_load_b128 v[2:5], v1 offset:1664
	scratch_load_b128 v[26:29], off, off offset:800
	;; [unrolled: 18-line block ×4, first 2 shown]
	v_add_f64_e32 v[177:178], v[177:178], v[187:188]
	v_add_f64_e32 v[179:180], v[179:180], v[183:184]
	v_fma_f64 v[181:182], v[8:9], v[169:170], v[181:182]
	v_fma_f64 v[187:188], v[6:7], v[169:170], -v[171:172]
	ds_load_b128 v[6:9], v1 offset:1744
	s_wait_loadcnt_dscnt 0x801
	v_mul_f64_e32 v[183:184], v[2:3], v[12:13]
	v_mul_f64_e32 v[12:13], v[4:5], v[12:13]
	scratch_load_b128 v[169:172], off, off offset:880
	v_add_f64_e32 v[177:178], v[177:178], v[189:190]
	v_add_f64_e32 v[179:180], v[179:180], v[185:186]
	s_wait_loadcnt_dscnt 0x800
	v_mul_f64_e32 v[185:186], v[6:7], v[16:17]
	v_mul_f64_e32 v[16:17], v[8:9], v[16:17]
	v_fma_f64 v[183:184], v[4:5], v[10:11], v[183:184]
	v_fma_f64 v[189:190], v[2:3], v[10:11], -v[12:13]
	scratch_load_b128 v[10:13], off, off offset:896
	ds_load_b128 v[2:5], v1 offset:1760
	v_add_f64_e32 v[177:178], v[177:178], v[187:188]
	v_add_f64_e32 v[179:180], v[179:180], v[181:182]
	v_fma_f64 v[185:186], v[8:9], v[14:15], v[185:186]
	v_fma_f64 v[187:188], v[6:7], v[14:15], -v[16:17]
	ds_load_b128 v[6:9], v1 offset:1776
	s_wait_loadcnt_dscnt 0x801
	v_mul_f64_e32 v[181:182], v[2:3], v[20:21]
	v_mul_f64_e32 v[20:21], v[4:5], v[20:21]
	scratch_load_b128 v[14:17], off, off offset:912
	v_add_f64_e32 v[177:178], v[177:178], v[189:190]
	v_add_f64_e32 v[179:180], v[179:180], v[183:184]
	s_wait_loadcnt_dscnt 0x800
	v_mul_f64_e32 v[183:184], v[6:7], v[24:25]
	v_mul_f64_e32 v[24:25], v[8:9], v[24:25]
	v_fma_f64 v[181:182], v[4:5], v[18:19], v[181:182]
	v_fma_f64 v[189:190], v[2:3], v[18:19], -v[20:21]
	ds_load_b128 v[2:5], v1 offset:1792
	scratch_load_b128 v[18:21], off, off offset:928
	v_add_f64_e32 v[177:178], v[177:178], v[187:188]
	v_add_f64_e32 v[179:180], v[179:180], v[185:186]
	v_fma_f64 v[183:184], v[8:9], v[22:23], v[183:184]
	v_fma_f64 v[187:188], v[6:7], v[22:23], -v[24:25]
	ds_load_b128 v[6:9], v1 offset:1808
	s_wait_loadcnt_dscnt 0x801
	v_mul_f64_e32 v[185:186], v[2:3], v[28:29]
	v_mul_f64_e32 v[28:29], v[4:5], v[28:29]
	scratch_load_b128 v[22:25], off, off offset:944
	v_add_f64_e32 v[177:178], v[177:178], v[189:190]
	v_add_f64_e32 v[179:180], v[179:180], v[181:182]
	s_wait_loadcnt_dscnt 0x800
	v_mul_f64_e32 v[181:182], v[6:7], v[32:33]
	v_mul_f64_e32 v[32:33], v[8:9], v[32:33]
	v_fma_f64 v[185:186], v[4:5], v[26:27], v[185:186]
	v_fma_f64 v[189:190], v[2:3], v[26:27], -v[28:29]
	ds_load_b128 v[2:5], v1 offset:1824
	scratch_load_b128 v[26:29], off, off offset:960
	;; [unrolled: 18-line block ×3, first 2 shown]
	v_add_f64_e32 v[177:178], v[177:178], v[187:188]
	v_add_f64_e32 v[179:180], v[179:180], v[181:182]
	v_fma_f64 v[185:186], v[8:9], v[173:174], v[185:186]
	v_fma_f64 v[187:188], v[6:7], v[173:174], -v[175:176]
	ds_load_b128 v[6:9], v1 offset:1872
	s_wait_loadcnt_dscnt 0x801
	v_mul_f64_e32 v[181:182], v[2:3], v[40:41]
	v_mul_f64_e32 v[40:41], v[4:5], v[40:41]
	scratch_load_b128 v[173:176], off, off offset:1008
	v_add_f64_e32 v[177:178], v[177:178], v[189:190]
	v_add_f64_e32 v[179:180], v[179:180], v[183:184]
	v_fma_f64 v[181:182], v[4:5], v[38:39], v[181:182]
	v_fma_f64 v[38:39], v[2:3], v[38:39], -v[40:41]
	ds_load_b128 v[2:5], v1 offset:1888
	v_add_f64_e32 v[40:41], v[177:178], v[187:188]
	v_add_f64_e32 v[177:178], v[179:180], v[185:186]
	s_wait_loadcnt_dscnt 0x700
	v_mul_f64_e32 v[179:180], v[2:3], v[12:13]
	v_mul_f64_e32 v[12:13], v[4:5], v[12:13]
	s_delay_alu instid0(VALU_DEP_4) | instskip(NEXT) | instid1(VALU_DEP_4)
	v_add_f64_e32 v[38:39], v[40:41], v[38:39]
	v_add_f64_e32 v[40:41], v[177:178], v[181:182]
	s_delay_alu instid0(VALU_DEP_4) | instskip(NEXT) | instid1(VALU_DEP_4)
	v_fma_f64 v[177:178], v[4:5], v[10:11], v[179:180]
	v_fma_f64 v[179:180], v[2:3], v[10:11], -v[12:13]
	scratch_load_b128 v[10:13], off, off offset:208
	v_mul_f64_e32 v[183:184], v[6:7], v[171:172]
	v_mul_f64_e32 v[171:172], v[8:9], v[171:172]
	ds_load_b128 v[2:5], v1 offset:1920
	v_fma_f64 v[183:184], v[8:9], v[169:170], v[183:184]
	v_fma_f64 v[169:170], v[6:7], v[169:170], -v[171:172]
	ds_load_b128 v[6:9], v1 offset:1904
	s_wait_loadcnt_dscnt 0x700
	v_mul_f64_e32 v[171:172], v[6:7], v[16:17]
	v_mul_f64_e32 v[16:17], v[8:9], v[16:17]
	v_add_f64_e32 v[40:41], v[40:41], v[183:184]
	v_add_f64_e32 v[38:39], v[38:39], v[169:170]
	s_wait_loadcnt 0x6
	v_mul_f64_e32 v[169:170], v[2:3], v[20:21]
	v_mul_f64_e32 v[20:21], v[4:5], v[20:21]
	v_fma_f64 v[171:172], v[8:9], v[14:15], v[171:172]
	v_fma_f64 v[14:15], v[6:7], v[14:15], -v[16:17]
	ds_load_b128 v[6:9], v1 offset:1936
	v_add_f64_e32 v[16:17], v[38:39], v[179:180]
	v_add_f64_e32 v[38:39], v[40:41], v[177:178]
	v_fma_f64 v[169:170], v[4:5], v[18:19], v[169:170]
	v_fma_f64 v[18:19], v[2:3], v[18:19], -v[20:21]
	ds_load_b128 v[2:5], v1 offset:1952
	s_wait_loadcnt_dscnt 0x501
	v_mul_f64_e32 v[40:41], v[6:7], v[24:25]
	v_mul_f64_e32 v[24:25], v[8:9], v[24:25]
	s_wait_loadcnt_dscnt 0x400
	v_mul_f64_e32 v[20:21], v[2:3], v[28:29]
	v_mul_f64_e32 v[28:29], v[4:5], v[28:29]
	v_add_f64_e32 v[14:15], v[16:17], v[14:15]
	v_add_f64_e32 v[16:17], v[38:39], v[171:172]
	v_fma_f64 v[38:39], v[8:9], v[22:23], v[40:41]
	v_fma_f64 v[22:23], v[6:7], v[22:23], -v[24:25]
	ds_load_b128 v[6:9], v1 offset:1968
	v_fma_f64 v[20:21], v[4:5], v[26:27], v[20:21]
	v_fma_f64 v[26:27], v[2:3], v[26:27], -v[28:29]
	ds_load_b128 v[2:5], v1 offset:1984
	s_wait_loadcnt_dscnt 0x301
	v_mul_f64_e32 v[24:25], v[8:9], v[32:33]
	v_add_f64_e32 v[14:15], v[14:15], v[18:19]
	v_add_f64_e32 v[16:17], v[16:17], v[169:170]
	v_mul_f64_e32 v[18:19], v[6:7], v[32:33]
	s_wait_loadcnt_dscnt 0x200
	v_mul_f64_e32 v[28:29], v[4:5], v[36:37]
	v_fma_f64 v[24:25], v[6:7], v[30:31], -v[24:25]
	v_add_f64_e32 v[14:15], v[14:15], v[22:23]
	v_add_f64_e32 v[16:17], v[16:17], v[38:39]
	v_mul_f64_e32 v[22:23], v[2:3], v[36:37]
	v_fma_f64 v[18:19], v[8:9], v[30:31], v[18:19]
	ds_load_b128 v[6:9], v1 offset:2000
	v_fma_f64 v[1:2], v[2:3], v[34:35], -v[28:29]
	v_add_f64_e32 v[14:15], v[14:15], v[26:27]
	v_add_f64_e32 v[16:17], v[16:17], v[20:21]
	s_wait_loadcnt_dscnt 0x100
	v_mul_f64_e32 v[20:21], v[6:7], v[175:176]
	v_mul_f64_e32 v[26:27], v[8:9], v[175:176]
	v_fma_f64 v[4:5], v[4:5], v[34:35], v[22:23]
	v_add_f64_e32 v[14:15], v[14:15], v[24:25]
	v_add_f64_e32 v[16:17], v[16:17], v[18:19]
	v_fma_f64 v[8:9], v[8:9], v[173:174], v[20:21]
	v_fma_f64 v[6:7], v[6:7], v[173:174], -v[26:27]
	s_delay_alu instid0(VALU_DEP_4) | instskip(NEXT) | instid1(VALU_DEP_4)
	v_add_f64_e32 v[1:2], v[14:15], v[1:2]
	v_add_f64_e32 v[3:4], v[16:17], v[4:5]
	s_delay_alu instid0(VALU_DEP_2) | instskip(NEXT) | instid1(VALU_DEP_2)
	v_add_f64_e32 v[1:2], v[1:2], v[6:7]
	v_add_f64_e32 v[3:4], v[3:4], v[8:9]
	s_wait_loadcnt 0x0
	s_delay_alu instid0(VALU_DEP_2) | instskip(NEXT) | instid1(VALU_DEP_2)
	v_add_f64_e64 v[1:2], v[10:11], -v[1:2]
	v_add_f64_e64 v[3:4], v[12:13], -v[3:4]
	scratch_store_b128 off, v[1:4], off offset:208
	v_cmpx_lt_u32_e32 11, v0
	s_cbranch_execz .LBB62_381
; %bb.380:
	scratch_load_b128 v[1:4], off, s67
	v_mov_b32_e32 v5, 0
	s_delay_alu instid0(VALU_DEP_1)
	v_dual_mov_b32 v6, v5 :: v_dual_mov_b32 v7, v5
	v_mov_b32_e32 v8, v5
	scratch_store_b128 off, v[5:8], off offset:192
	s_wait_loadcnt 0x0
	ds_store_b128 v168, v[1:4]
.LBB62_381:
	s_wait_alu 0xfffe
	s_or_b32 exec_lo, exec_lo, s0
	s_wait_storecnt_dscnt 0x0
	s_barrier_signal -1
	s_barrier_wait -1
	global_inv scope:SCOPE_SE
	s_clause 0x7
	scratch_load_b128 v[2:5], off, off offset:208
	scratch_load_b128 v[6:9], off, off offset:224
	;; [unrolled: 1-line block ×8, first 2 shown]
	v_mov_b32_e32 v1, 0
	s_clause 0x1
	scratch_load_b128 v[34:37], off, off offset:336
	scratch_load_b128 v[173:176], off, off offset:352
	s_mov_b32 s0, exec_lo
	ds_load_b128 v[38:41], v1 offset:1200
	ds_load_b128 v[169:172], v1 offset:1216
	s_wait_loadcnt_dscnt 0x901
	v_mul_f64_e32 v[177:178], v[40:41], v[4:5]
	v_mul_f64_e32 v[4:5], v[38:39], v[4:5]
	s_wait_loadcnt_dscnt 0x800
	v_mul_f64_e32 v[179:180], v[169:170], v[8:9]
	v_mul_f64_e32 v[8:9], v[171:172], v[8:9]
	s_delay_alu instid0(VALU_DEP_4) | instskip(NEXT) | instid1(VALU_DEP_4)
	v_fma_f64 v[177:178], v[38:39], v[2:3], -v[177:178]
	v_fma_f64 v[181:182], v[40:41], v[2:3], v[4:5]
	ds_load_b128 v[2:5], v1 offset:1232
	scratch_load_b128 v[38:41], off, off offset:368
	v_fma_f64 v[179:180], v[171:172], v[6:7], v[179:180]
	v_fma_f64 v[185:186], v[169:170], v[6:7], -v[8:9]
	ds_load_b128 v[6:9], v1 offset:1248
	scratch_load_b128 v[169:172], off, off offset:384
	s_wait_loadcnt_dscnt 0x901
	v_mul_f64_e32 v[183:184], v[2:3], v[12:13]
	v_mul_f64_e32 v[12:13], v[4:5], v[12:13]
	s_wait_loadcnt_dscnt 0x800
	v_mul_f64_e32 v[187:188], v[6:7], v[16:17]
	v_mul_f64_e32 v[16:17], v[8:9], v[16:17]
	v_add_f64_e32 v[177:178], 0, v[177:178]
	v_add_f64_e32 v[181:182], 0, v[181:182]
	v_fma_f64 v[183:184], v[4:5], v[10:11], v[183:184]
	v_fma_f64 v[189:190], v[2:3], v[10:11], -v[12:13]
	ds_load_b128 v[2:5], v1 offset:1264
	scratch_load_b128 v[10:13], off, off offset:400
	v_add_f64_e32 v[177:178], v[177:178], v[185:186]
	v_add_f64_e32 v[179:180], v[181:182], v[179:180]
	v_fma_f64 v[185:186], v[8:9], v[14:15], v[187:188]
	v_fma_f64 v[187:188], v[6:7], v[14:15], -v[16:17]
	ds_load_b128 v[6:9], v1 offset:1280
	scratch_load_b128 v[14:17], off, off offset:416
	s_wait_loadcnt_dscnt 0x901
	v_mul_f64_e32 v[181:182], v[2:3], v[20:21]
	v_mul_f64_e32 v[20:21], v[4:5], v[20:21]
	v_add_f64_e32 v[177:178], v[177:178], v[189:190]
	v_add_f64_e32 v[179:180], v[179:180], v[183:184]
	s_wait_loadcnt_dscnt 0x800
	v_mul_f64_e32 v[183:184], v[6:7], v[24:25]
	v_mul_f64_e32 v[24:25], v[8:9], v[24:25]
	v_fma_f64 v[181:182], v[4:5], v[18:19], v[181:182]
	v_fma_f64 v[189:190], v[2:3], v[18:19], -v[20:21]
	ds_load_b128 v[2:5], v1 offset:1296
	scratch_load_b128 v[18:21], off, off offset:432
	v_add_f64_e32 v[177:178], v[177:178], v[187:188]
	v_add_f64_e32 v[179:180], v[179:180], v[185:186]
	v_fma_f64 v[183:184], v[8:9], v[22:23], v[183:184]
	v_fma_f64 v[187:188], v[6:7], v[22:23], -v[24:25]
	ds_load_b128 v[6:9], v1 offset:1312
	s_wait_loadcnt_dscnt 0x801
	v_mul_f64_e32 v[185:186], v[2:3], v[28:29]
	v_mul_f64_e32 v[28:29], v[4:5], v[28:29]
	scratch_load_b128 v[22:25], off, off offset:448
	v_add_f64_e32 v[177:178], v[177:178], v[189:190]
	v_add_f64_e32 v[179:180], v[179:180], v[181:182]
	s_wait_loadcnt_dscnt 0x800
	v_mul_f64_e32 v[181:182], v[6:7], v[32:33]
	v_mul_f64_e32 v[32:33], v[8:9], v[32:33]
	v_fma_f64 v[185:186], v[4:5], v[26:27], v[185:186]
	v_fma_f64 v[189:190], v[2:3], v[26:27], -v[28:29]
	ds_load_b128 v[2:5], v1 offset:1328
	scratch_load_b128 v[26:29], off, off offset:464
	v_add_f64_e32 v[177:178], v[177:178], v[187:188]
	v_add_f64_e32 v[179:180], v[179:180], v[183:184]
	v_fma_f64 v[181:182], v[8:9], v[30:31], v[181:182]
	v_fma_f64 v[187:188], v[6:7], v[30:31], -v[32:33]
	ds_load_b128 v[6:9], v1 offset:1344
	s_wait_loadcnt_dscnt 0x801
	v_mul_f64_e32 v[183:184], v[2:3], v[36:37]
	v_mul_f64_e32 v[36:37], v[4:5], v[36:37]
	scratch_load_b128 v[30:33], off, off offset:480
	v_add_f64_e32 v[177:178], v[177:178], v[189:190]
	v_add_f64_e32 v[179:180], v[179:180], v[185:186]
	s_wait_loadcnt_dscnt 0x800
	v_mul_f64_e32 v[185:186], v[6:7], v[175:176]
	v_mul_f64_e32 v[175:176], v[8:9], v[175:176]
	v_fma_f64 v[183:184], v[4:5], v[34:35], v[183:184]
	v_fma_f64 v[189:190], v[2:3], v[34:35], -v[36:37]
	ds_load_b128 v[2:5], v1 offset:1360
	scratch_load_b128 v[34:37], off, off offset:496
	v_add_f64_e32 v[177:178], v[177:178], v[187:188]
	v_add_f64_e32 v[179:180], v[179:180], v[181:182]
	v_fma_f64 v[185:186], v[8:9], v[173:174], v[185:186]
	v_fma_f64 v[187:188], v[6:7], v[173:174], -v[175:176]
	ds_load_b128 v[6:9], v1 offset:1376
	scratch_load_b128 v[173:176], off, off offset:512
	s_wait_loadcnt_dscnt 0x901
	v_mul_f64_e32 v[181:182], v[2:3], v[40:41]
	v_mul_f64_e32 v[40:41], v[4:5], v[40:41]
	v_add_f64_e32 v[177:178], v[177:178], v[189:190]
	v_add_f64_e32 v[179:180], v[179:180], v[183:184]
	s_wait_loadcnt_dscnt 0x800
	v_mul_f64_e32 v[183:184], v[6:7], v[171:172]
	v_mul_f64_e32 v[171:172], v[8:9], v[171:172]
	v_fma_f64 v[181:182], v[4:5], v[38:39], v[181:182]
	v_fma_f64 v[189:190], v[2:3], v[38:39], -v[40:41]
	ds_load_b128 v[2:5], v1 offset:1392
	scratch_load_b128 v[38:41], off, off offset:528
	v_add_f64_e32 v[177:178], v[177:178], v[187:188]
	v_add_f64_e32 v[179:180], v[179:180], v[185:186]
	v_fma_f64 v[183:184], v[8:9], v[169:170], v[183:184]
	v_fma_f64 v[187:188], v[6:7], v[169:170], -v[171:172]
	ds_load_b128 v[6:9], v1 offset:1408
	s_wait_loadcnt_dscnt 0x801
	v_mul_f64_e32 v[185:186], v[2:3], v[12:13]
	v_mul_f64_e32 v[12:13], v[4:5], v[12:13]
	scratch_load_b128 v[169:172], off, off offset:544
	v_add_f64_e32 v[177:178], v[177:178], v[189:190]
	v_add_f64_e32 v[179:180], v[179:180], v[181:182]
	s_wait_loadcnt_dscnt 0x800
	v_mul_f64_e32 v[181:182], v[6:7], v[16:17]
	v_mul_f64_e32 v[16:17], v[8:9], v[16:17]
	v_fma_f64 v[185:186], v[4:5], v[10:11], v[185:186]
	v_fma_f64 v[189:190], v[2:3], v[10:11], -v[12:13]
	ds_load_b128 v[2:5], v1 offset:1424
	scratch_load_b128 v[10:13], off, off offset:560
	v_add_f64_e32 v[177:178], v[177:178], v[187:188]
	v_add_f64_e32 v[179:180], v[179:180], v[183:184]
	v_fma_f64 v[181:182], v[8:9], v[14:15], v[181:182]
	v_fma_f64 v[187:188], v[6:7], v[14:15], -v[16:17]
	ds_load_b128 v[6:9], v1 offset:1440
	s_wait_loadcnt_dscnt 0x801
	v_mul_f64_e32 v[183:184], v[2:3], v[20:21]
	v_mul_f64_e32 v[20:21], v[4:5], v[20:21]
	scratch_load_b128 v[14:17], off, off offset:576
	;; [unrolled: 18-line block ×15, first 2 shown]
	v_add_f64_e32 v[177:178], v[177:178], v[189:190]
	v_add_f64_e32 v[179:180], v[179:180], v[183:184]
	s_wait_loadcnt_dscnt 0x800
	v_mul_f64_e32 v[183:184], v[6:7], v[171:172]
	v_mul_f64_e32 v[171:172], v[8:9], v[171:172]
	v_fma_f64 v[181:182], v[4:5], v[38:39], v[181:182]
	v_fma_f64 v[189:190], v[2:3], v[38:39], -v[40:41]
	ds_load_b128 v[2:5], v1 offset:1872
	scratch_load_b128 v[38:41], off, off offset:1008
	v_add_f64_e32 v[177:178], v[177:178], v[187:188]
	v_add_f64_e32 v[179:180], v[179:180], v[185:186]
	v_fma_f64 v[183:184], v[8:9], v[169:170], v[183:184]
	v_fma_f64 v[169:170], v[6:7], v[169:170], -v[171:172]
	ds_load_b128 v[6:9], v1 offset:1888
	s_wait_loadcnt_dscnt 0x801
	v_mul_f64_e32 v[185:186], v[2:3], v[12:13]
	v_mul_f64_e32 v[12:13], v[4:5], v[12:13]
	v_add_f64_e32 v[171:172], v[177:178], v[189:190]
	v_add_f64_e32 v[177:178], v[179:180], v[181:182]
	s_wait_loadcnt_dscnt 0x700
	v_mul_f64_e32 v[179:180], v[6:7], v[16:17]
	v_mul_f64_e32 v[16:17], v[8:9], v[16:17]
	v_fma_f64 v[181:182], v[4:5], v[10:11], v[185:186]
	v_fma_f64 v[10:11], v[2:3], v[10:11], -v[12:13]
	ds_load_b128 v[2:5], v1 offset:1904
	v_add_f64_e32 v[12:13], v[171:172], v[169:170]
	v_add_f64_e32 v[169:170], v[177:178], v[183:184]
	v_fma_f64 v[177:178], v[8:9], v[14:15], v[179:180]
	v_fma_f64 v[14:15], v[6:7], v[14:15], -v[16:17]
	ds_load_b128 v[6:9], v1 offset:1920
	s_wait_loadcnt_dscnt 0x500
	v_mul_f64_e32 v[179:180], v[6:7], v[24:25]
	v_mul_f64_e32 v[24:25], v[8:9], v[24:25]
	v_add_f64_e32 v[16:17], v[12:13], v[10:11]
	v_add_f64_e32 v[169:170], v[169:170], v[181:182]
	scratch_load_b128 v[10:13], off, off offset:192
	v_mul_f64_e32 v[171:172], v[2:3], v[20:21]
	v_mul_f64_e32 v[20:21], v[4:5], v[20:21]
	v_add_f64_e32 v[14:15], v[16:17], v[14:15]
	v_add_f64_e32 v[16:17], v[169:170], v[177:178]
	v_fma_f64 v[169:170], v[8:9], v[22:23], v[179:180]
	v_fma_f64 v[171:172], v[4:5], v[18:19], v[171:172]
	v_fma_f64 v[18:19], v[2:3], v[18:19], -v[20:21]
	ds_load_b128 v[2:5], v1 offset:1936
	v_fma_f64 v[22:23], v[6:7], v[22:23], -v[24:25]
	ds_load_b128 v[6:9], v1 offset:1952
	s_wait_loadcnt_dscnt 0x501
	v_mul_f64_e32 v[20:21], v[2:3], v[28:29]
	v_mul_f64_e32 v[28:29], v[4:5], v[28:29]
	s_wait_loadcnt_dscnt 0x400
	v_mul_f64_e32 v[24:25], v[8:9], v[32:33]
	v_add_f64_e32 v[16:17], v[16:17], v[171:172]
	v_add_f64_e32 v[14:15], v[14:15], v[18:19]
	v_mul_f64_e32 v[18:19], v[6:7], v[32:33]
	v_fma_f64 v[20:21], v[4:5], v[26:27], v[20:21]
	v_fma_f64 v[26:27], v[2:3], v[26:27], -v[28:29]
	ds_load_b128 v[2:5], v1 offset:1968
	v_fma_f64 v[24:25], v[6:7], v[30:31], -v[24:25]
	v_add_f64_e32 v[16:17], v[16:17], v[169:170]
	v_add_f64_e32 v[14:15], v[14:15], v[22:23]
	v_fma_f64 v[18:19], v[8:9], v[30:31], v[18:19]
	ds_load_b128 v[6:9], v1 offset:1984
	s_wait_loadcnt_dscnt 0x301
	v_mul_f64_e32 v[22:23], v[2:3], v[36:37]
	v_mul_f64_e32 v[28:29], v[4:5], v[36:37]
	v_add_f64_e32 v[16:17], v[16:17], v[20:21]
	v_add_f64_e32 v[14:15], v[14:15], v[26:27]
	s_wait_loadcnt_dscnt 0x200
	v_mul_f64_e32 v[20:21], v[6:7], v[175:176]
	v_mul_f64_e32 v[26:27], v[8:9], v[175:176]
	v_fma_f64 v[22:23], v[4:5], v[34:35], v[22:23]
	v_fma_f64 v[28:29], v[2:3], v[34:35], -v[28:29]
	ds_load_b128 v[2:5], v1 offset:2000
	v_add_f64_e32 v[16:17], v[16:17], v[18:19]
	v_add_f64_e32 v[14:15], v[14:15], v[24:25]
	s_wait_loadcnt_dscnt 0x100
	v_mul_f64_e32 v[18:19], v[2:3], v[40:41]
	v_mul_f64_e32 v[24:25], v[4:5], v[40:41]
	v_fma_f64 v[8:9], v[8:9], v[173:174], v[20:21]
	v_fma_f64 v[6:7], v[6:7], v[173:174], -v[26:27]
	v_add_f64_e32 v[16:17], v[16:17], v[22:23]
	v_add_f64_e32 v[14:15], v[14:15], v[28:29]
	v_fma_f64 v[4:5], v[4:5], v[38:39], v[18:19]
	v_fma_f64 v[2:3], v[2:3], v[38:39], -v[24:25]
	s_delay_alu instid0(VALU_DEP_4) | instskip(NEXT) | instid1(VALU_DEP_4)
	v_add_f64_e32 v[8:9], v[16:17], v[8:9]
	v_add_f64_e32 v[6:7], v[14:15], v[6:7]
	s_delay_alu instid0(VALU_DEP_2) | instskip(NEXT) | instid1(VALU_DEP_2)
	v_add_f64_e32 v[4:5], v[8:9], v[4:5]
	v_add_f64_e32 v[2:3], v[6:7], v[2:3]
	s_wait_loadcnt 0x0
	s_delay_alu instid0(VALU_DEP_2) | instskip(NEXT) | instid1(VALU_DEP_2)
	v_add_f64_e64 v[4:5], v[12:13], -v[4:5]
	v_add_f64_e64 v[2:3], v[10:11], -v[2:3]
	scratch_store_b128 off, v[2:5], off offset:192
	v_cmpx_lt_u32_e32 10, v0
	s_cbranch_execz .LBB62_383
; %bb.382:
	scratch_load_b128 v[5:8], off, s68
	v_dual_mov_b32 v2, v1 :: v_dual_mov_b32 v3, v1
	v_mov_b32_e32 v4, v1
	scratch_store_b128 off, v[1:4], off offset:176
	s_wait_loadcnt 0x0
	ds_store_b128 v168, v[5:8]
.LBB62_383:
	s_wait_alu 0xfffe
	s_or_b32 exec_lo, exec_lo, s0
	s_wait_storecnt_dscnt 0x0
	s_barrier_signal -1
	s_barrier_wait -1
	global_inv scope:SCOPE_SE
	s_clause 0x7
	scratch_load_b128 v[2:5], off, off offset:192
	scratch_load_b128 v[6:9], off, off offset:208
	;; [unrolled: 1-line block ×8, first 2 shown]
	ds_load_b128 v[38:41], v1 offset:1184
	ds_load_b128 v[169:172], v1 offset:1200
	s_clause 0x1
	scratch_load_b128 v[34:37], off, off offset:320
	scratch_load_b128 v[173:176], off, off offset:336
	s_mov_b32 s0, exec_lo
	s_wait_loadcnt_dscnt 0x901
	v_mul_f64_e32 v[177:178], v[40:41], v[4:5]
	v_mul_f64_e32 v[4:5], v[38:39], v[4:5]
	s_wait_loadcnt_dscnt 0x800
	v_mul_f64_e32 v[179:180], v[169:170], v[8:9]
	v_mul_f64_e32 v[8:9], v[171:172], v[8:9]
	s_delay_alu instid0(VALU_DEP_4) | instskip(NEXT) | instid1(VALU_DEP_4)
	v_fma_f64 v[177:178], v[38:39], v[2:3], -v[177:178]
	v_fma_f64 v[181:182], v[40:41], v[2:3], v[4:5]
	ds_load_b128 v[2:5], v1 offset:1216
	scratch_load_b128 v[38:41], off, off offset:352
	v_fma_f64 v[179:180], v[171:172], v[6:7], v[179:180]
	v_fma_f64 v[185:186], v[169:170], v[6:7], -v[8:9]
	ds_load_b128 v[6:9], v1 offset:1232
	scratch_load_b128 v[169:172], off, off offset:368
	s_wait_loadcnt_dscnt 0x901
	v_mul_f64_e32 v[183:184], v[2:3], v[12:13]
	v_mul_f64_e32 v[12:13], v[4:5], v[12:13]
	s_wait_loadcnt_dscnt 0x800
	v_mul_f64_e32 v[187:188], v[6:7], v[16:17]
	v_mul_f64_e32 v[16:17], v[8:9], v[16:17]
	v_add_f64_e32 v[177:178], 0, v[177:178]
	v_add_f64_e32 v[181:182], 0, v[181:182]
	v_fma_f64 v[183:184], v[4:5], v[10:11], v[183:184]
	v_fma_f64 v[189:190], v[2:3], v[10:11], -v[12:13]
	ds_load_b128 v[2:5], v1 offset:1248
	scratch_load_b128 v[10:13], off, off offset:384
	v_add_f64_e32 v[177:178], v[177:178], v[185:186]
	v_add_f64_e32 v[179:180], v[181:182], v[179:180]
	v_fma_f64 v[185:186], v[8:9], v[14:15], v[187:188]
	v_fma_f64 v[187:188], v[6:7], v[14:15], -v[16:17]
	ds_load_b128 v[6:9], v1 offset:1264
	scratch_load_b128 v[14:17], off, off offset:400
	s_wait_loadcnt_dscnt 0x901
	v_mul_f64_e32 v[181:182], v[2:3], v[20:21]
	v_mul_f64_e32 v[20:21], v[4:5], v[20:21]
	v_add_f64_e32 v[177:178], v[177:178], v[189:190]
	v_add_f64_e32 v[179:180], v[179:180], v[183:184]
	s_wait_loadcnt_dscnt 0x800
	v_mul_f64_e32 v[183:184], v[6:7], v[24:25]
	v_mul_f64_e32 v[24:25], v[8:9], v[24:25]
	v_fma_f64 v[181:182], v[4:5], v[18:19], v[181:182]
	v_fma_f64 v[189:190], v[2:3], v[18:19], -v[20:21]
	ds_load_b128 v[2:5], v1 offset:1280
	scratch_load_b128 v[18:21], off, off offset:416
	v_add_f64_e32 v[177:178], v[177:178], v[187:188]
	v_add_f64_e32 v[179:180], v[179:180], v[185:186]
	v_fma_f64 v[183:184], v[8:9], v[22:23], v[183:184]
	v_fma_f64 v[187:188], v[6:7], v[22:23], -v[24:25]
	ds_load_b128 v[6:9], v1 offset:1296
	s_wait_loadcnt_dscnt 0x801
	v_mul_f64_e32 v[185:186], v[2:3], v[28:29]
	v_mul_f64_e32 v[28:29], v[4:5], v[28:29]
	scratch_load_b128 v[22:25], off, off offset:432
	v_add_f64_e32 v[177:178], v[177:178], v[189:190]
	v_add_f64_e32 v[179:180], v[179:180], v[181:182]
	s_wait_loadcnt_dscnt 0x800
	v_mul_f64_e32 v[181:182], v[6:7], v[32:33]
	v_mul_f64_e32 v[32:33], v[8:9], v[32:33]
	v_fma_f64 v[185:186], v[4:5], v[26:27], v[185:186]
	v_fma_f64 v[189:190], v[2:3], v[26:27], -v[28:29]
	ds_load_b128 v[2:5], v1 offset:1312
	scratch_load_b128 v[26:29], off, off offset:448
	v_add_f64_e32 v[177:178], v[177:178], v[187:188]
	v_add_f64_e32 v[179:180], v[179:180], v[183:184]
	v_fma_f64 v[181:182], v[8:9], v[30:31], v[181:182]
	v_fma_f64 v[187:188], v[6:7], v[30:31], -v[32:33]
	ds_load_b128 v[6:9], v1 offset:1328
	s_wait_loadcnt_dscnt 0x801
	v_mul_f64_e32 v[183:184], v[2:3], v[36:37]
	v_mul_f64_e32 v[36:37], v[4:5], v[36:37]
	scratch_load_b128 v[30:33], off, off offset:464
	v_add_f64_e32 v[177:178], v[177:178], v[189:190]
	v_add_f64_e32 v[179:180], v[179:180], v[185:186]
	s_wait_loadcnt_dscnt 0x800
	v_mul_f64_e32 v[185:186], v[6:7], v[175:176]
	v_mul_f64_e32 v[175:176], v[8:9], v[175:176]
	v_fma_f64 v[183:184], v[4:5], v[34:35], v[183:184]
	v_fma_f64 v[189:190], v[2:3], v[34:35], -v[36:37]
	ds_load_b128 v[2:5], v1 offset:1344
	scratch_load_b128 v[34:37], off, off offset:480
	v_add_f64_e32 v[177:178], v[177:178], v[187:188]
	v_add_f64_e32 v[179:180], v[179:180], v[181:182]
	v_fma_f64 v[185:186], v[8:9], v[173:174], v[185:186]
	v_fma_f64 v[187:188], v[6:7], v[173:174], -v[175:176]
	ds_load_b128 v[6:9], v1 offset:1360
	scratch_load_b128 v[173:176], off, off offset:496
	s_wait_loadcnt_dscnt 0x901
	v_mul_f64_e32 v[181:182], v[2:3], v[40:41]
	v_mul_f64_e32 v[40:41], v[4:5], v[40:41]
	v_add_f64_e32 v[177:178], v[177:178], v[189:190]
	v_add_f64_e32 v[179:180], v[179:180], v[183:184]
	s_wait_loadcnt_dscnt 0x800
	v_mul_f64_e32 v[183:184], v[6:7], v[171:172]
	v_mul_f64_e32 v[171:172], v[8:9], v[171:172]
	v_fma_f64 v[181:182], v[4:5], v[38:39], v[181:182]
	v_fma_f64 v[189:190], v[2:3], v[38:39], -v[40:41]
	ds_load_b128 v[2:5], v1 offset:1376
	scratch_load_b128 v[38:41], off, off offset:512
	v_add_f64_e32 v[177:178], v[177:178], v[187:188]
	v_add_f64_e32 v[179:180], v[179:180], v[185:186]
	v_fma_f64 v[183:184], v[8:9], v[169:170], v[183:184]
	v_fma_f64 v[187:188], v[6:7], v[169:170], -v[171:172]
	ds_load_b128 v[6:9], v1 offset:1392
	s_wait_loadcnt_dscnt 0x801
	v_mul_f64_e32 v[185:186], v[2:3], v[12:13]
	v_mul_f64_e32 v[12:13], v[4:5], v[12:13]
	scratch_load_b128 v[169:172], off, off offset:528
	v_add_f64_e32 v[177:178], v[177:178], v[189:190]
	v_add_f64_e32 v[179:180], v[179:180], v[181:182]
	s_wait_loadcnt_dscnt 0x800
	v_mul_f64_e32 v[181:182], v[6:7], v[16:17]
	v_mul_f64_e32 v[16:17], v[8:9], v[16:17]
	v_fma_f64 v[185:186], v[4:5], v[10:11], v[185:186]
	v_fma_f64 v[189:190], v[2:3], v[10:11], -v[12:13]
	ds_load_b128 v[2:5], v1 offset:1408
	scratch_load_b128 v[10:13], off, off offset:544
	v_add_f64_e32 v[177:178], v[177:178], v[187:188]
	v_add_f64_e32 v[179:180], v[179:180], v[183:184]
	v_fma_f64 v[181:182], v[8:9], v[14:15], v[181:182]
	v_fma_f64 v[187:188], v[6:7], v[14:15], -v[16:17]
	ds_load_b128 v[6:9], v1 offset:1424
	s_wait_loadcnt_dscnt 0x801
	v_mul_f64_e32 v[183:184], v[2:3], v[20:21]
	v_mul_f64_e32 v[20:21], v[4:5], v[20:21]
	scratch_load_b128 v[14:17], off, off offset:560
	;; [unrolled: 18-line block ×16, first 2 shown]
	v_add_f64_e32 v[177:178], v[177:178], v[189:190]
	v_add_f64_e32 v[179:180], v[179:180], v[181:182]
	s_wait_loadcnt_dscnt 0x800
	v_mul_f64_e32 v[181:182], v[6:7], v[16:17]
	v_mul_f64_e32 v[16:17], v[8:9], v[16:17]
	v_fma_f64 v[185:186], v[4:5], v[10:11], v[185:186]
	v_fma_f64 v[10:11], v[2:3], v[10:11], -v[12:13]
	ds_load_b128 v[2:5], v1 offset:1888
	v_add_f64_e32 v[12:13], v[177:178], v[187:188]
	v_add_f64_e32 v[177:178], v[179:180], v[183:184]
	v_fma_f64 v[181:182], v[8:9], v[14:15], v[181:182]
	v_fma_f64 v[14:15], v[6:7], v[14:15], -v[16:17]
	ds_load_b128 v[6:9], v1 offset:1904
	s_wait_loadcnt_dscnt 0x701
	v_mul_f64_e32 v[179:180], v[2:3], v[20:21]
	v_mul_f64_e32 v[20:21], v[4:5], v[20:21]
	v_add_f64_e32 v[10:11], v[12:13], v[10:11]
	v_add_f64_e32 v[12:13], v[177:178], v[185:186]
	s_delay_alu instid0(VALU_DEP_4) | instskip(NEXT) | instid1(VALU_DEP_4)
	v_fma_f64 v[177:178], v[4:5], v[18:19], v[179:180]
	v_fma_f64 v[18:19], v[2:3], v[18:19], -v[20:21]
	ds_load_b128 v[2:5], v1 offset:1920
	v_add_f64_e32 v[14:15], v[10:11], v[14:15]
	v_add_f64_e32 v[20:21], v[12:13], v[181:182]
	scratch_load_b128 v[10:13], off, off offset:176
	s_wait_loadcnt_dscnt 0x701
	v_mul_f64_e32 v[16:17], v[6:7], v[24:25]
	v_mul_f64_e32 v[24:25], v[8:9], v[24:25]
	v_add_f64_e32 v[14:15], v[14:15], v[18:19]
	v_add_f64_e32 v[18:19], v[20:21], v[177:178]
	s_delay_alu instid0(VALU_DEP_4) | instskip(NEXT) | instid1(VALU_DEP_4)
	v_fma_f64 v[16:17], v[8:9], v[22:23], v[16:17]
	v_fma_f64 v[22:23], v[6:7], v[22:23], -v[24:25]
	ds_load_b128 v[6:9], v1 offset:1936
	s_wait_loadcnt_dscnt 0x601
	v_mul_f64_e32 v[179:180], v[2:3], v[28:29]
	v_mul_f64_e32 v[28:29], v[4:5], v[28:29]
	s_wait_loadcnt_dscnt 0x500
	v_mul_f64_e32 v[20:21], v[6:7], v[32:33]
	v_mul_f64_e32 v[24:25], v[8:9], v[32:33]
	v_add_f64_e32 v[16:17], v[18:19], v[16:17]
	v_add_f64_e32 v[14:15], v[14:15], v[22:23]
	v_fma_f64 v[32:33], v[4:5], v[26:27], v[179:180]
	v_fma_f64 v[26:27], v[2:3], v[26:27], -v[28:29]
	ds_load_b128 v[2:5], v1 offset:1952
	v_fma_f64 v[20:21], v[8:9], v[30:31], v[20:21]
	v_fma_f64 v[24:25], v[6:7], v[30:31], -v[24:25]
	ds_load_b128 v[6:9], v1 offset:1968
	s_wait_loadcnt_dscnt 0x401
	v_mul_f64_e32 v[18:19], v[2:3], v[36:37]
	v_mul_f64_e32 v[22:23], v[4:5], v[36:37]
	v_add_f64_e32 v[16:17], v[16:17], v[32:33]
	v_add_f64_e32 v[14:15], v[14:15], v[26:27]
	s_wait_loadcnt_dscnt 0x300
	v_mul_f64_e32 v[26:27], v[6:7], v[175:176]
	v_mul_f64_e32 v[28:29], v[8:9], v[175:176]
	v_fma_f64 v[18:19], v[4:5], v[34:35], v[18:19]
	v_fma_f64 v[22:23], v[2:3], v[34:35], -v[22:23]
	ds_load_b128 v[2:5], v1 offset:1984
	v_add_f64_e32 v[16:17], v[16:17], v[20:21]
	v_add_f64_e32 v[14:15], v[14:15], v[24:25]
	v_fma_f64 v[26:27], v[8:9], v[173:174], v[26:27]
	v_fma_f64 v[28:29], v[6:7], v[173:174], -v[28:29]
	ds_load_b128 v[6:9], v1 offset:2000
	s_wait_loadcnt_dscnt 0x201
	v_mul_f64_e32 v[20:21], v[2:3], v[40:41]
	v_mul_f64_e32 v[24:25], v[4:5], v[40:41]
	v_add_f64_e32 v[16:17], v[16:17], v[18:19]
	v_add_f64_e32 v[14:15], v[14:15], v[22:23]
	s_wait_loadcnt_dscnt 0x100
	v_mul_f64_e32 v[18:19], v[6:7], v[171:172]
	v_mul_f64_e32 v[22:23], v[8:9], v[171:172]
	v_fma_f64 v[4:5], v[4:5], v[38:39], v[20:21]
	v_fma_f64 v[1:2], v[2:3], v[38:39], -v[24:25]
	v_add_f64_e32 v[16:17], v[16:17], v[26:27]
	v_add_f64_e32 v[14:15], v[14:15], v[28:29]
	v_fma_f64 v[8:9], v[8:9], v[169:170], v[18:19]
	v_fma_f64 v[6:7], v[6:7], v[169:170], -v[22:23]
	s_delay_alu instid0(VALU_DEP_4) | instskip(NEXT) | instid1(VALU_DEP_4)
	v_add_f64_e32 v[3:4], v[16:17], v[4:5]
	v_add_f64_e32 v[1:2], v[14:15], v[1:2]
	s_delay_alu instid0(VALU_DEP_2) | instskip(NEXT) | instid1(VALU_DEP_2)
	v_add_f64_e32 v[3:4], v[3:4], v[8:9]
	v_add_f64_e32 v[1:2], v[1:2], v[6:7]
	s_wait_loadcnt 0x0
	s_delay_alu instid0(VALU_DEP_2) | instskip(NEXT) | instid1(VALU_DEP_2)
	v_add_f64_e64 v[3:4], v[12:13], -v[3:4]
	v_add_f64_e64 v[1:2], v[10:11], -v[1:2]
	scratch_store_b128 off, v[1:4], off offset:176
	v_cmpx_lt_u32_e32 9, v0
	s_cbranch_execz .LBB62_385
; %bb.384:
	scratch_load_b128 v[1:4], off, s69
	v_mov_b32_e32 v5, 0
	s_delay_alu instid0(VALU_DEP_1)
	v_dual_mov_b32 v6, v5 :: v_dual_mov_b32 v7, v5
	v_mov_b32_e32 v8, v5
	scratch_store_b128 off, v[5:8], off offset:160
	s_wait_loadcnt 0x0
	ds_store_b128 v168, v[1:4]
.LBB62_385:
	s_wait_alu 0xfffe
	s_or_b32 exec_lo, exec_lo, s0
	s_wait_storecnt_dscnt 0x0
	s_barrier_signal -1
	s_barrier_wait -1
	global_inv scope:SCOPE_SE
	s_clause 0x7
	scratch_load_b128 v[2:5], off, off offset:176
	scratch_load_b128 v[6:9], off, off offset:192
	;; [unrolled: 1-line block ×8, first 2 shown]
	v_mov_b32_e32 v1, 0
	s_clause 0x1
	scratch_load_b128 v[34:37], off, off offset:304
	scratch_load_b128 v[173:176], off, off offset:320
	s_mov_b32 s0, exec_lo
	ds_load_b128 v[38:41], v1 offset:1168
	ds_load_b128 v[169:172], v1 offset:1184
	s_wait_loadcnt_dscnt 0x901
	v_mul_f64_e32 v[177:178], v[40:41], v[4:5]
	v_mul_f64_e32 v[4:5], v[38:39], v[4:5]
	s_wait_loadcnt_dscnt 0x800
	v_mul_f64_e32 v[179:180], v[169:170], v[8:9]
	v_mul_f64_e32 v[8:9], v[171:172], v[8:9]
	s_delay_alu instid0(VALU_DEP_4) | instskip(NEXT) | instid1(VALU_DEP_4)
	v_fma_f64 v[177:178], v[38:39], v[2:3], -v[177:178]
	v_fma_f64 v[181:182], v[40:41], v[2:3], v[4:5]
	ds_load_b128 v[2:5], v1 offset:1200
	scratch_load_b128 v[38:41], off, off offset:336
	v_fma_f64 v[179:180], v[171:172], v[6:7], v[179:180]
	v_fma_f64 v[185:186], v[169:170], v[6:7], -v[8:9]
	ds_load_b128 v[6:9], v1 offset:1216
	scratch_load_b128 v[169:172], off, off offset:352
	s_wait_loadcnt_dscnt 0x901
	v_mul_f64_e32 v[183:184], v[2:3], v[12:13]
	v_mul_f64_e32 v[12:13], v[4:5], v[12:13]
	s_wait_loadcnt_dscnt 0x800
	v_mul_f64_e32 v[187:188], v[6:7], v[16:17]
	v_mul_f64_e32 v[16:17], v[8:9], v[16:17]
	v_add_f64_e32 v[177:178], 0, v[177:178]
	v_add_f64_e32 v[181:182], 0, v[181:182]
	v_fma_f64 v[183:184], v[4:5], v[10:11], v[183:184]
	v_fma_f64 v[189:190], v[2:3], v[10:11], -v[12:13]
	ds_load_b128 v[2:5], v1 offset:1232
	scratch_load_b128 v[10:13], off, off offset:368
	v_add_f64_e32 v[177:178], v[177:178], v[185:186]
	v_add_f64_e32 v[179:180], v[181:182], v[179:180]
	v_fma_f64 v[185:186], v[8:9], v[14:15], v[187:188]
	v_fma_f64 v[187:188], v[6:7], v[14:15], -v[16:17]
	ds_load_b128 v[6:9], v1 offset:1248
	scratch_load_b128 v[14:17], off, off offset:384
	s_wait_loadcnt_dscnt 0x901
	v_mul_f64_e32 v[181:182], v[2:3], v[20:21]
	v_mul_f64_e32 v[20:21], v[4:5], v[20:21]
	v_add_f64_e32 v[177:178], v[177:178], v[189:190]
	v_add_f64_e32 v[179:180], v[179:180], v[183:184]
	s_wait_loadcnt_dscnt 0x800
	v_mul_f64_e32 v[183:184], v[6:7], v[24:25]
	v_mul_f64_e32 v[24:25], v[8:9], v[24:25]
	v_fma_f64 v[181:182], v[4:5], v[18:19], v[181:182]
	v_fma_f64 v[189:190], v[2:3], v[18:19], -v[20:21]
	ds_load_b128 v[2:5], v1 offset:1264
	scratch_load_b128 v[18:21], off, off offset:400
	v_add_f64_e32 v[177:178], v[177:178], v[187:188]
	v_add_f64_e32 v[179:180], v[179:180], v[185:186]
	v_fma_f64 v[183:184], v[8:9], v[22:23], v[183:184]
	v_fma_f64 v[187:188], v[6:7], v[22:23], -v[24:25]
	ds_load_b128 v[6:9], v1 offset:1280
	s_wait_loadcnt_dscnt 0x801
	v_mul_f64_e32 v[185:186], v[2:3], v[28:29]
	v_mul_f64_e32 v[28:29], v[4:5], v[28:29]
	scratch_load_b128 v[22:25], off, off offset:416
	v_add_f64_e32 v[177:178], v[177:178], v[189:190]
	v_add_f64_e32 v[179:180], v[179:180], v[181:182]
	s_wait_loadcnt_dscnt 0x800
	v_mul_f64_e32 v[181:182], v[6:7], v[32:33]
	v_mul_f64_e32 v[32:33], v[8:9], v[32:33]
	v_fma_f64 v[185:186], v[4:5], v[26:27], v[185:186]
	v_fma_f64 v[189:190], v[2:3], v[26:27], -v[28:29]
	ds_load_b128 v[2:5], v1 offset:1296
	scratch_load_b128 v[26:29], off, off offset:432
	v_add_f64_e32 v[177:178], v[177:178], v[187:188]
	v_add_f64_e32 v[179:180], v[179:180], v[183:184]
	v_fma_f64 v[181:182], v[8:9], v[30:31], v[181:182]
	v_fma_f64 v[187:188], v[6:7], v[30:31], -v[32:33]
	ds_load_b128 v[6:9], v1 offset:1312
	s_wait_loadcnt_dscnt 0x801
	v_mul_f64_e32 v[183:184], v[2:3], v[36:37]
	v_mul_f64_e32 v[36:37], v[4:5], v[36:37]
	scratch_load_b128 v[30:33], off, off offset:448
	v_add_f64_e32 v[177:178], v[177:178], v[189:190]
	v_add_f64_e32 v[179:180], v[179:180], v[185:186]
	s_wait_loadcnt_dscnt 0x800
	v_mul_f64_e32 v[185:186], v[6:7], v[175:176]
	v_mul_f64_e32 v[175:176], v[8:9], v[175:176]
	v_fma_f64 v[183:184], v[4:5], v[34:35], v[183:184]
	v_fma_f64 v[189:190], v[2:3], v[34:35], -v[36:37]
	ds_load_b128 v[2:5], v1 offset:1328
	scratch_load_b128 v[34:37], off, off offset:464
	v_add_f64_e32 v[177:178], v[177:178], v[187:188]
	v_add_f64_e32 v[179:180], v[179:180], v[181:182]
	v_fma_f64 v[185:186], v[8:9], v[173:174], v[185:186]
	v_fma_f64 v[187:188], v[6:7], v[173:174], -v[175:176]
	ds_load_b128 v[6:9], v1 offset:1344
	scratch_load_b128 v[173:176], off, off offset:480
	s_wait_loadcnt_dscnt 0x901
	v_mul_f64_e32 v[181:182], v[2:3], v[40:41]
	v_mul_f64_e32 v[40:41], v[4:5], v[40:41]
	v_add_f64_e32 v[177:178], v[177:178], v[189:190]
	v_add_f64_e32 v[179:180], v[179:180], v[183:184]
	s_wait_loadcnt_dscnt 0x800
	v_mul_f64_e32 v[183:184], v[6:7], v[171:172]
	v_mul_f64_e32 v[171:172], v[8:9], v[171:172]
	v_fma_f64 v[181:182], v[4:5], v[38:39], v[181:182]
	v_fma_f64 v[189:190], v[2:3], v[38:39], -v[40:41]
	ds_load_b128 v[2:5], v1 offset:1360
	scratch_load_b128 v[38:41], off, off offset:496
	v_add_f64_e32 v[177:178], v[177:178], v[187:188]
	v_add_f64_e32 v[179:180], v[179:180], v[185:186]
	v_fma_f64 v[183:184], v[8:9], v[169:170], v[183:184]
	v_fma_f64 v[187:188], v[6:7], v[169:170], -v[171:172]
	ds_load_b128 v[6:9], v1 offset:1376
	s_wait_loadcnt_dscnt 0x801
	v_mul_f64_e32 v[185:186], v[2:3], v[12:13]
	v_mul_f64_e32 v[12:13], v[4:5], v[12:13]
	scratch_load_b128 v[169:172], off, off offset:512
	v_add_f64_e32 v[177:178], v[177:178], v[189:190]
	v_add_f64_e32 v[179:180], v[179:180], v[181:182]
	s_wait_loadcnt_dscnt 0x800
	v_mul_f64_e32 v[181:182], v[6:7], v[16:17]
	v_mul_f64_e32 v[16:17], v[8:9], v[16:17]
	v_fma_f64 v[185:186], v[4:5], v[10:11], v[185:186]
	v_fma_f64 v[189:190], v[2:3], v[10:11], -v[12:13]
	ds_load_b128 v[2:5], v1 offset:1392
	scratch_load_b128 v[10:13], off, off offset:528
	v_add_f64_e32 v[177:178], v[177:178], v[187:188]
	v_add_f64_e32 v[179:180], v[179:180], v[183:184]
	v_fma_f64 v[181:182], v[8:9], v[14:15], v[181:182]
	v_fma_f64 v[187:188], v[6:7], v[14:15], -v[16:17]
	ds_load_b128 v[6:9], v1 offset:1408
	s_wait_loadcnt_dscnt 0x801
	v_mul_f64_e32 v[183:184], v[2:3], v[20:21]
	v_mul_f64_e32 v[20:21], v[4:5], v[20:21]
	scratch_load_b128 v[14:17], off, off offset:544
	;; [unrolled: 18-line block ×16, first 2 shown]
	v_add_f64_e32 v[177:178], v[177:178], v[189:190]
	v_add_f64_e32 v[179:180], v[179:180], v[181:182]
	s_wait_loadcnt_dscnt 0x800
	v_mul_f64_e32 v[181:182], v[6:7], v[16:17]
	v_mul_f64_e32 v[16:17], v[8:9], v[16:17]
	v_fma_f64 v[185:186], v[4:5], v[10:11], v[185:186]
	v_fma_f64 v[189:190], v[2:3], v[10:11], -v[12:13]
	ds_load_b128 v[2:5], v1 offset:1872
	scratch_load_b128 v[10:13], off, off offset:1008
	v_add_f64_e32 v[177:178], v[177:178], v[187:188]
	v_add_f64_e32 v[179:180], v[179:180], v[183:184]
	v_fma_f64 v[181:182], v[8:9], v[14:15], v[181:182]
	v_fma_f64 v[14:15], v[6:7], v[14:15], -v[16:17]
	ds_load_b128 v[6:9], v1 offset:1888
	s_wait_loadcnt_dscnt 0x801
	v_mul_f64_e32 v[183:184], v[2:3], v[20:21]
	v_mul_f64_e32 v[20:21], v[4:5], v[20:21]
	v_add_f64_e32 v[16:17], v[177:178], v[189:190]
	v_add_f64_e32 v[177:178], v[179:180], v[185:186]
	s_wait_loadcnt_dscnt 0x700
	v_mul_f64_e32 v[179:180], v[6:7], v[24:25]
	v_mul_f64_e32 v[24:25], v[8:9], v[24:25]
	v_fma_f64 v[183:184], v[4:5], v[18:19], v[183:184]
	v_fma_f64 v[18:19], v[2:3], v[18:19], -v[20:21]
	ds_load_b128 v[2:5], v1 offset:1904
	v_add_f64_e32 v[14:15], v[16:17], v[14:15]
	v_add_f64_e32 v[16:17], v[177:178], v[181:182]
	v_fma_f64 v[177:178], v[8:9], v[22:23], v[179:180]
	v_fma_f64 v[22:23], v[6:7], v[22:23], -v[24:25]
	ds_load_b128 v[6:9], v1 offset:1920
	s_wait_loadcnt_dscnt 0x500
	v_mul_f64_e32 v[179:180], v[6:7], v[32:33]
	v_mul_f64_e32 v[32:33], v[8:9], v[32:33]
	v_add_f64_e32 v[18:19], v[14:15], v[18:19]
	v_add_f64_e32 v[24:25], v[16:17], v[183:184]
	scratch_load_b128 v[14:17], off, off offset:160
	v_mul_f64_e32 v[20:21], v[2:3], v[28:29]
	v_mul_f64_e32 v[28:29], v[4:5], v[28:29]
	v_add_f64_e32 v[18:19], v[18:19], v[22:23]
	v_add_f64_e32 v[22:23], v[24:25], v[177:178]
	s_delay_alu instid0(VALU_DEP_4) | instskip(NEXT) | instid1(VALU_DEP_4)
	v_fma_f64 v[20:21], v[4:5], v[26:27], v[20:21]
	v_fma_f64 v[26:27], v[2:3], v[26:27], -v[28:29]
	ds_load_b128 v[2:5], v1 offset:1936
	s_wait_loadcnt_dscnt 0x500
	v_mul_f64_e32 v[24:25], v[2:3], v[36:37]
	v_mul_f64_e32 v[28:29], v[4:5], v[36:37]
	v_fma_f64 v[36:37], v[8:9], v[30:31], v[179:180]
	v_fma_f64 v[30:31], v[6:7], v[30:31], -v[32:33]
	ds_load_b128 v[6:9], v1 offset:1952
	v_add_f64_e32 v[20:21], v[22:23], v[20:21]
	v_add_f64_e32 v[18:19], v[18:19], v[26:27]
	v_fma_f64 v[24:25], v[4:5], v[34:35], v[24:25]
	v_fma_f64 v[28:29], v[2:3], v[34:35], -v[28:29]
	ds_load_b128 v[2:5], v1 offset:1968
	s_wait_loadcnt_dscnt 0x401
	v_mul_f64_e32 v[22:23], v[6:7], v[175:176]
	v_mul_f64_e32 v[26:27], v[8:9], v[175:176]
	v_add_f64_e32 v[20:21], v[20:21], v[36:37]
	v_add_f64_e32 v[18:19], v[18:19], v[30:31]
	s_wait_loadcnt_dscnt 0x300
	v_mul_f64_e32 v[30:31], v[2:3], v[40:41]
	v_mul_f64_e32 v[32:33], v[4:5], v[40:41]
	v_fma_f64 v[22:23], v[8:9], v[173:174], v[22:23]
	v_fma_f64 v[26:27], v[6:7], v[173:174], -v[26:27]
	ds_load_b128 v[6:9], v1 offset:1984
	v_add_f64_e32 v[20:21], v[20:21], v[24:25]
	v_add_f64_e32 v[18:19], v[18:19], v[28:29]
	v_fma_f64 v[30:31], v[4:5], v[38:39], v[30:31]
	v_fma_f64 v[32:33], v[2:3], v[38:39], -v[32:33]
	ds_load_b128 v[2:5], v1 offset:2000
	s_wait_loadcnt_dscnt 0x201
	v_mul_f64_e32 v[24:25], v[6:7], v[171:172]
	v_mul_f64_e32 v[28:29], v[8:9], v[171:172]
	v_add_f64_e32 v[20:21], v[20:21], v[22:23]
	v_add_f64_e32 v[18:19], v[18:19], v[26:27]
	s_wait_loadcnt_dscnt 0x100
	v_mul_f64_e32 v[22:23], v[2:3], v[12:13]
	v_mul_f64_e32 v[12:13], v[4:5], v[12:13]
	v_fma_f64 v[8:9], v[8:9], v[169:170], v[24:25]
	v_fma_f64 v[6:7], v[6:7], v[169:170], -v[28:29]
	v_add_f64_e32 v[20:21], v[20:21], v[30:31]
	v_add_f64_e32 v[18:19], v[18:19], v[32:33]
	v_fma_f64 v[4:5], v[4:5], v[10:11], v[22:23]
	v_fma_f64 v[2:3], v[2:3], v[10:11], -v[12:13]
	s_delay_alu instid0(VALU_DEP_4) | instskip(NEXT) | instid1(VALU_DEP_4)
	v_add_f64_e32 v[8:9], v[20:21], v[8:9]
	v_add_f64_e32 v[6:7], v[18:19], v[6:7]
	s_delay_alu instid0(VALU_DEP_2) | instskip(NEXT) | instid1(VALU_DEP_2)
	v_add_f64_e32 v[4:5], v[8:9], v[4:5]
	v_add_f64_e32 v[2:3], v[6:7], v[2:3]
	s_wait_loadcnt 0x0
	s_delay_alu instid0(VALU_DEP_2) | instskip(NEXT) | instid1(VALU_DEP_2)
	v_add_f64_e64 v[4:5], v[16:17], -v[4:5]
	v_add_f64_e64 v[2:3], v[14:15], -v[2:3]
	scratch_store_b128 off, v[2:5], off offset:160
	v_cmpx_lt_u32_e32 8, v0
	s_cbranch_execz .LBB62_387
; %bb.386:
	scratch_load_b128 v[5:8], off, s70
	v_dual_mov_b32 v2, v1 :: v_dual_mov_b32 v3, v1
	v_mov_b32_e32 v4, v1
	scratch_store_b128 off, v[1:4], off offset:144
	s_wait_loadcnt 0x0
	ds_store_b128 v168, v[5:8]
.LBB62_387:
	s_wait_alu 0xfffe
	s_or_b32 exec_lo, exec_lo, s0
	s_wait_storecnt_dscnt 0x0
	s_barrier_signal -1
	s_barrier_wait -1
	global_inv scope:SCOPE_SE
	s_clause 0x7
	scratch_load_b128 v[2:5], off, off offset:160
	scratch_load_b128 v[6:9], off, off offset:176
	;; [unrolled: 1-line block ×8, first 2 shown]
	ds_load_b128 v[38:41], v1 offset:1152
	ds_load_b128 v[169:172], v1 offset:1168
	s_clause 0x1
	scratch_load_b128 v[34:37], off, off offset:288
	scratch_load_b128 v[173:176], off, off offset:304
	s_mov_b32 s0, exec_lo
	s_wait_loadcnt_dscnt 0x901
	v_mul_f64_e32 v[177:178], v[40:41], v[4:5]
	v_mul_f64_e32 v[4:5], v[38:39], v[4:5]
	s_wait_loadcnt_dscnt 0x800
	v_mul_f64_e32 v[179:180], v[169:170], v[8:9]
	v_mul_f64_e32 v[8:9], v[171:172], v[8:9]
	s_delay_alu instid0(VALU_DEP_4) | instskip(NEXT) | instid1(VALU_DEP_4)
	v_fma_f64 v[177:178], v[38:39], v[2:3], -v[177:178]
	v_fma_f64 v[181:182], v[40:41], v[2:3], v[4:5]
	ds_load_b128 v[2:5], v1 offset:1184
	scratch_load_b128 v[38:41], off, off offset:320
	v_fma_f64 v[179:180], v[171:172], v[6:7], v[179:180]
	v_fma_f64 v[185:186], v[169:170], v[6:7], -v[8:9]
	ds_load_b128 v[6:9], v1 offset:1200
	scratch_load_b128 v[169:172], off, off offset:336
	s_wait_loadcnt_dscnt 0x901
	v_mul_f64_e32 v[183:184], v[2:3], v[12:13]
	v_mul_f64_e32 v[12:13], v[4:5], v[12:13]
	s_wait_loadcnt_dscnt 0x800
	v_mul_f64_e32 v[187:188], v[6:7], v[16:17]
	v_mul_f64_e32 v[16:17], v[8:9], v[16:17]
	v_add_f64_e32 v[177:178], 0, v[177:178]
	v_add_f64_e32 v[181:182], 0, v[181:182]
	v_fma_f64 v[183:184], v[4:5], v[10:11], v[183:184]
	v_fma_f64 v[189:190], v[2:3], v[10:11], -v[12:13]
	ds_load_b128 v[2:5], v1 offset:1216
	scratch_load_b128 v[10:13], off, off offset:352
	v_add_f64_e32 v[177:178], v[177:178], v[185:186]
	v_add_f64_e32 v[179:180], v[181:182], v[179:180]
	v_fma_f64 v[185:186], v[8:9], v[14:15], v[187:188]
	v_fma_f64 v[187:188], v[6:7], v[14:15], -v[16:17]
	ds_load_b128 v[6:9], v1 offset:1232
	scratch_load_b128 v[14:17], off, off offset:368
	s_wait_loadcnt_dscnt 0x901
	v_mul_f64_e32 v[181:182], v[2:3], v[20:21]
	v_mul_f64_e32 v[20:21], v[4:5], v[20:21]
	v_add_f64_e32 v[177:178], v[177:178], v[189:190]
	v_add_f64_e32 v[179:180], v[179:180], v[183:184]
	s_wait_loadcnt_dscnt 0x800
	v_mul_f64_e32 v[183:184], v[6:7], v[24:25]
	v_mul_f64_e32 v[24:25], v[8:9], v[24:25]
	v_fma_f64 v[181:182], v[4:5], v[18:19], v[181:182]
	v_fma_f64 v[189:190], v[2:3], v[18:19], -v[20:21]
	ds_load_b128 v[2:5], v1 offset:1248
	scratch_load_b128 v[18:21], off, off offset:384
	v_add_f64_e32 v[177:178], v[177:178], v[187:188]
	v_add_f64_e32 v[179:180], v[179:180], v[185:186]
	v_fma_f64 v[183:184], v[8:9], v[22:23], v[183:184]
	v_fma_f64 v[187:188], v[6:7], v[22:23], -v[24:25]
	ds_load_b128 v[6:9], v1 offset:1264
	s_wait_loadcnt_dscnt 0x801
	v_mul_f64_e32 v[185:186], v[2:3], v[28:29]
	v_mul_f64_e32 v[28:29], v[4:5], v[28:29]
	scratch_load_b128 v[22:25], off, off offset:400
	v_add_f64_e32 v[177:178], v[177:178], v[189:190]
	v_add_f64_e32 v[179:180], v[179:180], v[181:182]
	s_wait_loadcnt_dscnt 0x800
	v_mul_f64_e32 v[181:182], v[6:7], v[32:33]
	v_mul_f64_e32 v[32:33], v[8:9], v[32:33]
	v_fma_f64 v[185:186], v[4:5], v[26:27], v[185:186]
	v_fma_f64 v[189:190], v[2:3], v[26:27], -v[28:29]
	ds_load_b128 v[2:5], v1 offset:1280
	scratch_load_b128 v[26:29], off, off offset:416
	v_add_f64_e32 v[177:178], v[177:178], v[187:188]
	v_add_f64_e32 v[179:180], v[179:180], v[183:184]
	v_fma_f64 v[181:182], v[8:9], v[30:31], v[181:182]
	v_fma_f64 v[187:188], v[6:7], v[30:31], -v[32:33]
	ds_load_b128 v[6:9], v1 offset:1296
	s_wait_loadcnt_dscnt 0x801
	v_mul_f64_e32 v[183:184], v[2:3], v[36:37]
	v_mul_f64_e32 v[36:37], v[4:5], v[36:37]
	scratch_load_b128 v[30:33], off, off offset:432
	v_add_f64_e32 v[177:178], v[177:178], v[189:190]
	v_add_f64_e32 v[179:180], v[179:180], v[185:186]
	s_wait_loadcnt_dscnt 0x800
	v_mul_f64_e32 v[185:186], v[6:7], v[175:176]
	v_mul_f64_e32 v[175:176], v[8:9], v[175:176]
	v_fma_f64 v[183:184], v[4:5], v[34:35], v[183:184]
	v_fma_f64 v[189:190], v[2:3], v[34:35], -v[36:37]
	ds_load_b128 v[2:5], v1 offset:1312
	scratch_load_b128 v[34:37], off, off offset:448
	v_add_f64_e32 v[177:178], v[177:178], v[187:188]
	v_add_f64_e32 v[179:180], v[179:180], v[181:182]
	v_fma_f64 v[185:186], v[8:9], v[173:174], v[185:186]
	v_fma_f64 v[187:188], v[6:7], v[173:174], -v[175:176]
	ds_load_b128 v[6:9], v1 offset:1328
	scratch_load_b128 v[173:176], off, off offset:464
	s_wait_loadcnt_dscnt 0x901
	v_mul_f64_e32 v[181:182], v[2:3], v[40:41]
	v_mul_f64_e32 v[40:41], v[4:5], v[40:41]
	v_add_f64_e32 v[177:178], v[177:178], v[189:190]
	v_add_f64_e32 v[179:180], v[179:180], v[183:184]
	s_wait_loadcnt_dscnt 0x800
	v_mul_f64_e32 v[183:184], v[6:7], v[171:172]
	v_mul_f64_e32 v[171:172], v[8:9], v[171:172]
	v_fma_f64 v[181:182], v[4:5], v[38:39], v[181:182]
	v_fma_f64 v[189:190], v[2:3], v[38:39], -v[40:41]
	ds_load_b128 v[2:5], v1 offset:1344
	scratch_load_b128 v[38:41], off, off offset:480
	v_add_f64_e32 v[177:178], v[177:178], v[187:188]
	v_add_f64_e32 v[179:180], v[179:180], v[185:186]
	v_fma_f64 v[183:184], v[8:9], v[169:170], v[183:184]
	v_fma_f64 v[187:188], v[6:7], v[169:170], -v[171:172]
	ds_load_b128 v[6:9], v1 offset:1360
	s_wait_loadcnt_dscnt 0x801
	v_mul_f64_e32 v[185:186], v[2:3], v[12:13]
	v_mul_f64_e32 v[12:13], v[4:5], v[12:13]
	scratch_load_b128 v[169:172], off, off offset:496
	v_add_f64_e32 v[177:178], v[177:178], v[189:190]
	v_add_f64_e32 v[179:180], v[179:180], v[181:182]
	s_wait_loadcnt_dscnt 0x800
	v_mul_f64_e32 v[181:182], v[6:7], v[16:17]
	v_mul_f64_e32 v[16:17], v[8:9], v[16:17]
	v_fma_f64 v[185:186], v[4:5], v[10:11], v[185:186]
	v_fma_f64 v[189:190], v[2:3], v[10:11], -v[12:13]
	ds_load_b128 v[2:5], v1 offset:1376
	scratch_load_b128 v[10:13], off, off offset:512
	v_add_f64_e32 v[177:178], v[177:178], v[187:188]
	v_add_f64_e32 v[179:180], v[179:180], v[183:184]
	v_fma_f64 v[181:182], v[8:9], v[14:15], v[181:182]
	v_fma_f64 v[187:188], v[6:7], v[14:15], -v[16:17]
	ds_load_b128 v[6:9], v1 offset:1392
	s_wait_loadcnt_dscnt 0x801
	v_mul_f64_e32 v[183:184], v[2:3], v[20:21]
	v_mul_f64_e32 v[20:21], v[4:5], v[20:21]
	scratch_load_b128 v[14:17], off, off offset:528
	;; [unrolled: 18-line block ×17, first 2 shown]
	v_add_f64_e32 v[177:178], v[177:178], v[189:190]
	v_add_f64_e32 v[179:180], v[179:180], v[185:186]
	s_wait_loadcnt_dscnt 0x800
	v_mul_f64_e32 v[185:186], v[6:7], v[24:25]
	v_mul_f64_e32 v[24:25], v[8:9], v[24:25]
	v_fma_f64 v[183:184], v[4:5], v[18:19], v[183:184]
	v_fma_f64 v[18:19], v[2:3], v[18:19], -v[20:21]
	ds_load_b128 v[2:5], v1 offset:1888
	v_add_f64_e32 v[20:21], v[177:178], v[187:188]
	v_add_f64_e32 v[177:178], v[179:180], v[181:182]
	v_fma_f64 v[181:182], v[8:9], v[22:23], v[185:186]
	v_fma_f64 v[22:23], v[6:7], v[22:23], -v[24:25]
	ds_load_b128 v[6:9], v1 offset:1904
	s_wait_loadcnt_dscnt 0x701
	v_mul_f64_e32 v[179:180], v[2:3], v[28:29]
	v_mul_f64_e32 v[28:29], v[4:5], v[28:29]
	v_add_f64_e32 v[18:19], v[20:21], v[18:19]
	v_add_f64_e32 v[20:21], v[177:178], v[183:184]
	s_delay_alu instid0(VALU_DEP_4) | instskip(NEXT) | instid1(VALU_DEP_4)
	v_fma_f64 v[177:178], v[4:5], v[26:27], v[179:180]
	v_fma_f64 v[26:27], v[2:3], v[26:27], -v[28:29]
	ds_load_b128 v[2:5], v1 offset:1920
	v_add_f64_e32 v[22:23], v[18:19], v[22:23]
	v_add_f64_e32 v[28:29], v[20:21], v[181:182]
	scratch_load_b128 v[18:21], off, off offset:144
	s_wait_loadcnt_dscnt 0x701
	v_mul_f64_e32 v[24:25], v[6:7], v[32:33]
	v_mul_f64_e32 v[32:33], v[8:9], v[32:33]
	v_add_f64_e32 v[22:23], v[22:23], v[26:27]
	v_add_f64_e32 v[26:27], v[28:29], v[177:178]
	s_delay_alu instid0(VALU_DEP_4) | instskip(NEXT) | instid1(VALU_DEP_4)
	v_fma_f64 v[24:25], v[8:9], v[30:31], v[24:25]
	v_fma_f64 v[30:31], v[6:7], v[30:31], -v[32:33]
	ds_load_b128 v[6:9], v1 offset:1936
	s_wait_loadcnt_dscnt 0x601
	v_mul_f64_e32 v[179:180], v[2:3], v[36:37]
	v_mul_f64_e32 v[36:37], v[4:5], v[36:37]
	s_wait_loadcnt_dscnt 0x500
	v_mul_f64_e32 v[28:29], v[6:7], v[175:176]
	v_mul_f64_e32 v[32:33], v[8:9], v[175:176]
	v_add_f64_e32 v[24:25], v[26:27], v[24:25]
	v_add_f64_e32 v[22:23], v[22:23], v[30:31]
	v_fma_f64 v[175:176], v[4:5], v[34:35], v[179:180]
	v_fma_f64 v[34:35], v[2:3], v[34:35], -v[36:37]
	ds_load_b128 v[2:5], v1 offset:1952
	v_fma_f64 v[28:29], v[8:9], v[173:174], v[28:29]
	v_fma_f64 v[32:33], v[6:7], v[173:174], -v[32:33]
	ds_load_b128 v[6:9], v1 offset:1968
	s_wait_loadcnt_dscnt 0x401
	v_mul_f64_e32 v[26:27], v[2:3], v[40:41]
	v_mul_f64_e32 v[30:31], v[4:5], v[40:41]
	v_add_f64_e32 v[24:25], v[24:25], v[175:176]
	v_add_f64_e32 v[22:23], v[22:23], v[34:35]
	s_wait_loadcnt_dscnt 0x300
	v_mul_f64_e32 v[34:35], v[6:7], v[171:172]
	v_mul_f64_e32 v[36:37], v[8:9], v[171:172]
	v_fma_f64 v[26:27], v[4:5], v[38:39], v[26:27]
	v_fma_f64 v[30:31], v[2:3], v[38:39], -v[30:31]
	ds_load_b128 v[2:5], v1 offset:1984
	v_add_f64_e32 v[24:25], v[24:25], v[28:29]
	v_add_f64_e32 v[22:23], v[22:23], v[32:33]
	v_fma_f64 v[32:33], v[8:9], v[169:170], v[34:35]
	v_fma_f64 v[34:35], v[6:7], v[169:170], -v[36:37]
	ds_load_b128 v[6:9], v1 offset:2000
	s_wait_loadcnt_dscnt 0x201
	v_mul_f64_e32 v[28:29], v[2:3], v[12:13]
	v_mul_f64_e32 v[12:13], v[4:5], v[12:13]
	v_add_f64_e32 v[24:25], v[24:25], v[26:27]
	v_add_f64_e32 v[22:23], v[22:23], v[30:31]
	s_wait_loadcnt_dscnt 0x100
	v_mul_f64_e32 v[26:27], v[6:7], v[16:17]
	v_mul_f64_e32 v[16:17], v[8:9], v[16:17]
	v_fma_f64 v[4:5], v[4:5], v[10:11], v[28:29]
	v_fma_f64 v[1:2], v[2:3], v[10:11], -v[12:13]
	v_add_f64_e32 v[12:13], v[24:25], v[32:33]
	v_add_f64_e32 v[10:11], v[22:23], v[34:35]
	v_fma_f64 v[8:9], v[8:9], v[14:15], v[26:27]
	v_fma_f64 v[6:7], v[6:7], v[14:15], -v[16:17]
	s_delay_alu instid0(VALU_DEP_4) | instskip(NEXT) | instid1(VALU_DEP_4)
	v_add_f64_e32 v[3:4], v[12:13], v[4:5]
	v_add_f64_e32 v[1:2], v[10:11], v[1:2]
	s_delay_alu instid0(VALU_DEP_2) | instskip(NEXT) | instid1(VALU_DEP_2)
	v_add_f64_e32 v[3:4], v[3:4], v[8:9]
	v_add_f64_e32 v[1:2], v[1:2], v[6:7]
	s_wait_loadcnt 0x0
	s_delay_alu instid0(VALU_DEP_2) | instskip(NEXT) | instid1(VALU_DEP_2)
	v_add_f64_e64 v[3:4], v[20:21], -v[3:4]
	v_add_f64_e64 v[1:2], v[18:19], -v[1:2]
	scratch_store_b128 off, v[1:4], off offset:144
	v_cmpx_lt_u32_e32 7, v0
	s_cbranch_execz .LBB62_389
; %bb.388:
	scratch_load_b128 v[1:4], off, s71
	v_mov_b32_e32 v5, 0
	s_delay_alu instid0(VALU_DEP_1)
	v_dual_mov_b32 v6, v5 :: v_dual_mov_b32 v7, v5
	v_mov_b32_e32 v8, v5
	scratch_store_b128 off, v[5:8], off offset:128
	s_wait_loadcnt 0x0
	ds_store_b128 v168, v[1:4]
.LBB62_389:
	s_wait_alu 0xfffe
	s_or_b32 exec_lo, exec_lo, s0
	s_wait_storecnt_dscnt 0x0
	s_barrier_signal -1
	s_barrier_wait -1
	global_inv scope:SCOPE_SE
	s_clause 0x7
	scratch_load_b128 v[2:5], off, off offset:144
	scratch_load_b128 v[6:9], off, off offset:160
	;; [unrolled: 1-line block ×8, first 2 shown]
	v_mov_b32_e32 v1, 0
	s_clause 0x1
	scratch_load_b128 v[34:37], off, off offset:272
	scratch_load_b128 v[173:176], off, off offset:288
	s_mov_b32 s0, exec_lo
	ds_load_b128 v[38:41], v1 offset:1136
	ds_load_b128 v[169:172], v1 offset:1152
	s_wait_loadcnt_dscnt 0x901
	v_mul_f64_e32 v[177:178], v[40:41], v[4:5]
	v_mul_f64_e32 v[4:5], v[38:39], v[4:5]
	s_wait_loadcnt_dscnt 0x800
	v_mul_f64_e32 v[179:180], v[169:170], v[8:9]
	v_mul_f64_e32 v[8:9], v[171:172], v[8:9]
	s_delay_alu instid0(VALU_DEP_4) | instskip(NEXT) | instid1(VALU_DEP_4)
	v_fma_f64 v[177:178], v[38:39], v[2:3], -v[177:178]
	v_fma_f64 v[181:182], v[40:41], v[2:3], v[4:5]
	ds_load_b128 v[2:5], v1 offset:1168
	scratch_load_b128 v[38:41], off, off offset:304
	v_fma_f64 v[179:180], v[171:172], v[6:7], v[179:180]
	v_fma_f64 v[185:186], v[169:170], v[6:7], -v[8:9]
	ds_load_b128 v[6:9], v1 offset:1184
	scratch_load_b128 v[169:172], off, off offset:320
	s_wait_loadcnt_dscnt 0x901
	v_mul_f64_e32 v[183:184], v[2:3], v[12:13]
	v_mul_f64_e32 v[12:13], v[4:5], v[12:13]
	s_wait_loadcnt_dscnt 0x800
	v_mul_f64_e32 v[187:188], v[6:7], v[16:17]
	v_mul_f64_e32 v[16:17], v[8:9], v[16:17]
	v_add_f64_e32 v[177:178], 0, v[177:178]
	v_add_f64_e32 v[181:182], 0, v[181:182]
	v_fma_f64 v[183:184], v[4:5], v[10:11], v[183:184]
	v_fma_f64 v[189:190], v[2:3], v[10:11], -v[12:13]
	ds_load_b128 v[2:5], v1 offset:1200
	scratch_load_b128 v[10:13], off, off offset:336
	v_add_f64_e32 v[177:178], v[177:178], v[185:186]
	v_add_f64_e32 v[179:180], v[181:182], v[179:180]
	v_fma_f64 v[185:186], v[8:9], v[14:15], v[187:188]
	v_fma_f64 v[187:188], v[6:7], v[14:15], -v[16:17]
	ds_load_b128 v[6:9], v1 offset:1216
	scratch_load_b128 v[14:17], off, off offset:352
	s_wait_loadcnt_dscnt 0x901
	v_mul_f64_e32 v[181:182], v[2:3], v[20:21]
	v_mul_f64_e32 v[20:21], v[4:5], v[20:21]
	v_add_f64_e32 v[177:178], v[177:178], v[189:190]
	v_add_f64_e32 v[179:180], v[179:180], v[183:184]
	s_wait_loadcnt_dscnt 0x800
	v_mul_f64_e32 v[183:184], v[6:7], v[24:25]
	v_mul_f64_e32 v[24:25], v[8:9], v[24:25]
	v_fma_f64 v[181:182], v[4:5], v[18:19], v[181:182]
	v_fma_f64 v[189:190], v[2:3], v[18:19], -v[20:21]
	ds_load_b128 v[2:5], v1 offset:1232
	scratch_load_b128 v[18:21], off, off offset:368
	v_add_f64_e32 v[177:178], v[177:178], v[187:188]
	v_add_f64_e32 v[179:180], v[179:180], v[185:186]
	v_fma_f64 v[183:184], v[8:9], v[22:23], v[183:184]
	v_fma_f64 v[187:188], v[6:7], v[22:23], -v[24:25]
	ds_load_b128 v[6:9], v1 offset:1248
	s_wait_loadcnt_dscnt 0x801
	v_mul_f64_e32 v[185:186], v[2:3], v[28:29]
	v_mul_f64_e32 v[28:29], v[4:5], v[28:29]
	scratch_load_b128 v[22:25], off, off offset:384
	v_add_f64_e32 v[177:178], v[177:178], v[189:190]
	v_add_f64_e32 v[179:180], v[179:180], v[181:182]
	s_wait_loadcnt_dscnt 0x800
	v_mul_f64_e32 v[181:182], v[6:7], v[32:33]
	v_mul_f64_e32 v[32:33], v[8:9], v[32:33]
	v_fma_f64 v[185:186], v[4:5], v[26:27], v[185:186]
	v_fma_f64 v[189:190], v[2:3], v[26:27], -v[28:29]
	ds_load_b128 v[2:5], v1 offset:1264
	scratch_load_b128 v[26:29], off, off offset:400
	v_add_f64_e32 v[177:178], v[177:178], v[187:188]
	v_add_f64_e32 v[179:180], v[179:180], v[183:184]
	v_fma_f64 v[181:182], v[8:9], v[30:31], v[181:182]
	v_fma_f64 v[187:188], v[6:7], v[30:31], -v[32:33]
	ds_load_b128 v[6:9], v1 offset:1280
	s_wait_loadcnt_dscnt 0x801
	v_mul_f64_e32 v[183:184], v[2:3], v[36:37]
	v_mul_f64_e32 v[36:37], v[4:5], v[36:37]
	scratch_load_b128 v[30:33], off, off offset:416
	v_add_f64_e32 v[177:178], v[177:178], v[189:190]
	v_add_f64_e32 v[179:180], v[179:180], v[185:186]
	s_wait_loadcnt_dscnt 0x800
	v_mul_f64_e32 v[185:186], v[6:7], v[175:176]
	v_mul_f64_e32 v[175:176], v[8:9], v[175:176]
	v_fma_f64 v[183:184], v[4:5], v[34:35], v[183:184]
	v_fma_f64 v[189:190], v[2:3], v[34:35], -v[36:37]
	ds_load_b128 v[2:5], v1 offset:1296
	scratch_load_b128 v[34:37], off, off offset:432
	v_add_f64_e32 v[177:178], v[177:178], v[187:188]
	v_add_f64_e32 v[179:180], v[179:180], v[181:182]
	v_fma_f64 v[185:186], v[8:9], v[173:174], v[185:186]
	v_fma_f64 v[187:188], v[6:7], v[173:174], -v[175:176]
	ds_load_b128 v[6:9], v1 offset:1312
	scratch_load_b128 v[173:176], off, off offset:448
	s_wait_loadcnt_dscnt 0x901
	v_mul_f64_e32 v[181:182], v[2:3], v[40:41]
	v_mul_f64_e32 v[40:41], v[4:5], v[40:41]
	v_add_f64_e32 v[177:178], v[177:178], v[189:190]
	v_add_f64_e32 v[179:180], v[179:180], v[183:184]
	s_wait_loadcnt_dscnt 0x800
	v_mul_f64_e32 v[183:184], v[6:7], v[171:172]
	v_mul_f64_e32 v[171:172], v[8:9], v[171:172]
	v_fma_f64 v[181:182], v[4:5], v[38:39], v[181:182]
	v_fma_f64 v[189:190], v[2:3], v[38:39], -v[40:41]
	ds_load_b128 v[2:5], v1 offset:1328
	scratch_load_b128 v[38:41], off, off offset:464
	v_add_f64_e32 v[177:178], v[177:178], v[187:188]
	v_add_f64_e32 v[179:180], v[179:180], v[185:186]
	v_fma_f64 v[183:184], v[8:9], v[169:170], v[183:184]
	v_fma_f64 v[187:188], v[6:7], v[169:170], -v[171:172]
	ds_load_b128 v[6:9], v1 offset:1344
	s_wait_loadcnt_dscnt 0x801
	v_mul_f64_e32 v[185:186], v[2:3], v[12:13]
	v_mul_f64_e32 v[12:13], v[4:5], v[12:13]
	scratch_load_b128 v[169:172], off, off offset:480
	v_add_f64_e32 v[177:178], v[177:178], v[189:190]
	v_add_f64_e32 v[179:180], v[179:180], v[181:182]
	s_wait_loadcnt_dscnt 0x800
	v_mul_f64_e32 v[181:182], v[6:7], v[16:17]
	v_mul_f64_e32 v[16:17], v[8:9], v[16:17]
	v_fma_f64 v[185:186], v[4:5], v[10:11], v[185:186]
	v_fma_f64 v[189:190], v[2:3], v[10:11], -v[12:13]
	ds_load_b128 v[2:5], v1 offset:1360
	scratch_load_b128 v[10:13], off, off offset:496
	v_add_f64_e32 v[177:178], v[177:178], v[187:188]
	v_add_f64_e32 v[179:180], v[179:180], v[183:184]
	v_fma_f64 v[181:182], v[8:9], v[14:15], v[181:182]
	v_fma_f64 v[187:188], v[6:7], v[14:15], -v[16:17]
	ds_load_b128 v[6:9], v1 offset:1376
	s_wait_loadcnt_dscnt 0x801
	v_mul_f64_e32 v[183:184], v[2:3], v[20:21]
	v_mul_f64_e32 v[20:21], v[4:5], v[20:21]
	scratch_load_b128 v[14:17], off, off offset:512
	;; [unrolled: 18-line block ×17, first 2 shown]
	v_add_f64_e32 v[177:178], v[177:178], v[189:190]
	v_add_f64_e32 v[179:180], v[179:180], v[185:186]
	s_wait_loadcnt_dscnt 0x800
	v_mul_f64_e32 v[185:186], v[6:7], v[24:25]
	v_mul_f64_e32 v[24:25], v[8:9], v[24:25]
	v_fma_f64 v[183:184], v[4:5], v[18:19], v[183:184]
	v_fma_f64 v[189:190], v[2:3], v[18:19], -v[20:21]
	ds_load_b128 v[2:5], v1 offset:1872
	scratch_load_b128 v[18:21], off, off offset:1008
	v_add_f64_e32 v[177:178], v[177:178], v[187:188]
	v_add_f64_e32 v[179:180], v[179:180], v[181:182]
	v_fma_f64 v[185:186], v[8:9], v[22:23], v[185:186]
	v_fma_f64 v[22:23], v[6:7], v[22:23], -v[24:25]
	ds_load_b128 v[6:9], v1 offset:1888
	s_wait_loadcnt_dscnt 0x801
	v_mul_f64_e32 v[181:182], v[2:3], v[28:29]
	v_mul_f64_e32 v[28:29], v[4:5], v[28:29]
	v_add_f64_e32 v[24:25], v[177:178], v[189:190]
	v_add_f64_e32 v[177:178], v[179:180], v[183:184]
	s_wait_loadcnt_dscnt 0x700
	v_mul_f64_e32 v[179:180], v[6:7], v[32:33]
	v_mul_f64_e32 v[32:33], v[8:9], v[32:33]
	v_fma_f64 v[181:182], v[4:5], v[26:27], v[181:182]
	v_fma_f64 v[26:27], v[2:3], v[26:27], -v[28:29]
	ds_load_b128 v[2:5], v1 offset:1904
	v_add_f64_e32 v[22:23], v[24:25], v[22:23]
	v_add_f64_e32 v[24:25], v[177:178], v[185:186]
	v_fma_f64 v[177:178], v[8:9], v[30:31], v[179:180]
	v_fma_f64 v[30:31], v[6:7], v[30:31], -v[32:33]
	ds_load_b128 v[6:9], v1 offset:1920
	s_wait_loadcnt_dscnt 0x500
	v_mul_f64_e32 v[179:180], v[6:7], v[175:176]
	v_mul_f64_e32 v[175:176], v[8:9], v[175:176]
	v_add_f64_e32 v[26:27], v[22:23], v[26:27]
	v_add_f64_e32 v[32:33], v[24:25], v[181:182]
	scratch_load_b128 v[22:25], off, off offset:128
	v_mul_f64_e32 v[28:29], v[2:3], v[36:37]
	v_mul_f64_e32 v[36:37], v[4:5], v[36:37]
	v_add_f64_e32 v[26:27], v[26:27], v[30:31]
	v_add_f64_e32 v[30:31], v[32:33], v[177:178]
	s_delay_alu instid0(VALU_DEP_4) | instskip(NEXT) | instid1(VALU_DEP_4)
	v_fma_f64 v[28:29], v[4:5], v[34:35], v[28:29]
	v_fma_f64 v[34:35], v[2:3], v[34:35], -v[36:37]
	ds_load_b128 v[2:5], v1 offset:1936
	s_wait_loadcnt_dscnt 0x500
	v_mul_f64_e32 v[32:33], v[2:3], v[40:41]
	v_mul_f64_e32 v[36:37], v[4:5], v[40:41]
	v_fma_f64 v[40:41], v[8:9], v[173:174], v[179:180]
	v_fma_f64 v[173:174], v[6:7], v[173:174], -v[175:176]
	ds_load_b128 v[6:9], v1 offset:1952
	v_add_f64_e32 v[28:29], v[30:31], v[28:29]
	v_add_f64_e32 v[26:27], v[26:27], v[34:35]
	v_fma_f64 v[32:33], v[4:5], v[38:39], v[32:33]
	v_fma_f64 v[36:37], v[2:3], v[38:39], -v[36:37]
	ds_load_b128 v[2:5], v1 offset:1968
	s_wait_loadcnt_dscnt 0x401
	v_mul_f64_e32 v[30:31], v[6:7], v[171:172]
	v_mul_f64_e32 v[34:35], v[8:9], v[171:172]
	v_add_f64_e32 v[28:29], v[28:29], v[40:41]
	v_add_f64_e32 v[26:27], v[26:27], v[173:174]
	s_wait_loadcnt_dscnt 0x300
	v_mul_f64_e32 v[38:39], v[2:3], v[12:13]
	v_mul_f64_e32 v[12:13], v[4:5], v[12:13]
	v_fma_f64 v[30:31], v[8:9], v[169:170], v[30:31]
	v_fma_f64 v[34:35], v[6:7], v[169:170], -v[34:35]
	ds_load_b128 v[6:9], v1 offset:1984
	v_add_f64_e32 v[28:29], v[28:29], v[32:33]
	v_add_f64_e32 v[26:27], v[26:27], v[36:37]
	v_fma_f64 v[36:37], v[4:5], v[10:11], v[38:39]
	v_fma_f64 v[10:11], v[2:3], v[10:11], -v[12:13]
	ds_load_b128 v[2:5], v1 offset:2000
	s_wait_loadcnt_dscnt 0x201
	v_mul_f64_e32 v[32:33], v[6:7], v[16:17]
	v_mul_f64_e32 v[16:17], v[8:9], v[16:17]
	v_add_f64_e32 v[12:13], v[26:27], v[34:35]
	v_add_f64_e32 v[26:27], v[28:29], v[30:31]
	s_wait_loadcnt_dscnt 0x100
	v_mul_f64_e32 v[28:29], v[2:3], v[20:21]
	v_mul_f64_e32 v[20:21], v[4:5], v[20:21]
	v_fma_f64 v[8:9], v[8:9], v[14:15], v[32:33]
	v_fma_f64 v[6:7], v[6:7], v[14:15], -v[16:17]
	v_add_f64_e32 v[10:11], v[12:13], v[10:11]
	v_add_f64_e32 v[12:13], v[26:27], v[36:37]
	v_fma_f64 v[4:5], v[4:5], v[18:19], v[28:29]
	v_fma_f64 v[2:3], v[2:3], v[18:19], -v[20:21]
	s_delay_alu instid0(VALU_DEP_4) | instskip(NEXT) | instid1(VALU_DEP_4)
	v_add_f64_e32 v[6:7], v[10:11], v[6:7]
	v_add_f64_e32 v[8:9], v[12:13], v[8:9]
	s_delay_alu instid0(VALU_DEP_2) | instskip(NEXT) | instid1(VALU_DEP_2)
	v_add_f64_e32 v[2:3], v[6:7], v[2:3]
	v_add_f64_e32 v[4:5], v[8:9], v[4:5]
	s_wait_loadcnt 0x0
	s_delay_alu instid0(VALU_DEP_2) | instskip(NEXT) | instid1(VALU_DEP_2)
	v_add_f64_e64 v[2:3], v[22:23], -v[2:3]
	v_add_f64_e64 v[4:5], v[24:25], -v[4:5]
	scratch_store_b128 off, v[2:5], off offset:128
	v_cmpx_lt_u32_e32 6, v0
	s_cbranch_execz .LBB62_391
; %bb.390:
	scratch_load_b128 v[5:8], off, s72
	v_dual_mov_b32 v2, v1 :: v_dual_mov_b32 v3, v1
	v_mov_b32_e32 v4, v1
	scratch_store_b128 off, v[1:4], off offset:112
	s_wait_loadcnt 0x0
	ds_store_b128 v168, v[5:8]
.LBB62_391:
	s_wait_alu 0xfffe
	s_or_b32 exec_lo, exec_lo, s0
	s_wait_storecnt_dscnt 0x0
	s_barrier_signal -1
	s_barrier_wait -1
	global_inv scope:SCOPE_SE
	s_clause 0x7
	scratch_load_b128 v[2:5], off, off offset:128
	scratch_load_b128 v[6:9], off, off offset:144
	;; [unrolled: 1-line block ×8, first 2 shown]
	ds_load_b128 v[38:41], v1 offset:1120
	ds_load_b128 v[169:172], v1 offset:1136
	s_clause 0x1
	scratch_load_b128 v[34:37], off, off offset:256
	scratch_load_b128 v[173:176], off, off offset:272
	s_mov_b32 s0, exec_lo
	s_wait_loadcnt_dscnt 0x901
	v_mul_f64_e32 v[177:178], v[40:41], v[4:5]
	v_mul_f64_e32 v[4:5], v[38:39], v[4:5]
	s_wait_loadcnt_dscnt 0x800
	v_mul_f64_e32 v[179:180], v[169:170], v[8:9]
	v_mul_f64_e32 v[8:9], v[171:172], v[8:9]
	s_delay_alu instid0(VALU_DEP_4) | instskip(NEXT) | instid1(VALU_DEP_4)
	v_fma_f64 v[177:178], v[38:39], v[2:3], -v[177:178]
	v_fma_f64 v[181:182], v[40:41], v[2:3], v[4:5]
	ds_load_b128 v[2:5], v1 offset:1152
	scratch_load_b128 v[38:41], off, off offset:288
	v_fma_f64 v[179:180], v[171:172], v[6:7], v[179:180]
	v_fma_f64 v[185:186], v[169:170], v[6:7], -v[8:9]
	ds_load_b128 v[6:9], v1 offset:1168
	scratch_load_b128 v[169:172], off, off offset:304
	s_wait_loadcnt_dscnt 0x901
	v_mul_f64_e32 v[183:184], v[2:3], v[12:13]
	v_mul_f64_e32 v[12:13], v[4:5], v[12:13]
	s_wait_loadcnt_dscnt 0x800
	v_mul_f64_e32 v[187:188], v[6:7], v[16:17]
	v_mul_f64_e32 v[16:17], v[8:9], v[16:17]
	v_add_f64_e32 v[177:178], 0, v[177:178]
	v_add_f64_e32 v[181:182], 0, v[181:182]
	v_fma_f64 v[183:184], v[4:5], v[10:11], v[183:184]
	v_fma_f64 v[189:190], v[2:3], v[10:11], -v[12:13]
	ds_load_b128 v[2:5], v1 offset:1184
	scratch_load_b128 v[10:13], off, off offset:320
	v_add_f64_e32 v[177:178], v[177:178], v[185:186]
	v_add_f64_e32 v[179:180], v[181:182], v[179:180]
	v_fma_f64 v[185:186], v[8:9], v[14:15], v[187:188]
	v_fma_f64 v[187:188], v[6:7], v[14:15], -v[16:17]
	ds_load_b128 v[6:9], v1 offset:1200
	scratch_load_b128 v[14:17], off, off offset:336
	s_wait_loadcnt_dscnt 0x901
	v_mul_f64_e32 v[181:182], v[2:3], v[20:21]
	v_mul_f64_e32 v[20:21], v[4:5], v[20:21]
	v_add_f64_e32 v[177:178], v[177:178], v[189:190]
	v_add_f64_e32 v[179:180], v[179:180], v[183:184]
	s_wait_loadcnt_dscnt 0x800
	v_mul_f64_e32 v[183:184], v[6:7], v[24:25]
	v_mul_f64_e32 v[24:25], v[8:9], v[24:25]
	v_fma_f64 v[181:182], v[4:5], v[18:19], v[181:182]
	v_fma_f64 v[189:190], v[2:3], v[18:19], -v[20:21]
	ds_load_b128 v[2:5], v1 offset:1216
	scratch_load_b128 v[18:21], off, off offset:352
	v_add_f64_e32 v[177:178], v[177:178], v[187:188]
	v_add_f64_e32 v[179:180], v[179:180], v[185:186]
	v_fma_f64 v[183:184], v[8:9], v[22:23], v[183:184]
	v_fma_f64 v[187:188], v[6:7], v[22:23], -v[24:25]
	ds_load_b128 v[6:9], v1 offset:1232
	s_wait_loadcnt_dscnt 0x801
	v_mul_f64_e32 v[185:186], v[2:3], v[28:29]
	v_mul_f64_e32 v[28:29], v[4:5], v[28:29]
	scratch_load_b128 v[22:25], off, off offset:368
	v_add_f64_e32 v[177:178], v[177:178], v[189:190]
	v_add_f64_e32 v[179:180], v[179:180], v[181:182]
	s_wait_loadcnt_dscnt 0x800
	v_mul_f64_e32 v[181:182], v[6:7], v[32:33]
	v_mul_f64_e32 v[32:33], v[8:9], v[32:33]
	v_fma_f64 v[185:186], v[4:5], v[26:27], v[185:186]
	v_fma_f64 v[189:190], v[2:3], v[26:27], -v[28:29]
	ds_load_b128 v[2:5], v1 offset:1248
	scratch_load_b128 v[26:29], off, off offset:384
	v_add_f64_e32 v[177:178], v[177:178], v[187:188]
	v_add_f64_e32 v[179:180], v[179:180], v[183:184]
	v_fma_f64 v[181:182], v[8:9], v[30:31], v[181:182]
	v_fma_f64 v[187:188], v[6:7], v[30:31], -v[32:33]
	ds_load_b128 v[6:9], v1 offset:1264
	s_wait_loadcnt_dscnt 0x801
	v_mul_f64_e32 v[183:184], v[2:3], v[36:37]
	v_mul_f64_e32 v[36:37], v[4:5], v[36:37]
	scratch_load_b128 v[30:33], off, off offset:400
	v_add_f64_e32 v[177:178], v[177:178], v[189:190]
	v_add_f64_e32 v[179:180], v[179:180], v[185:186]
	s_wait_loadcnt_dscnt 0x800
	v_mul_f64_e32 v[185:186], v[6:7], v[175:176]
	v_mul_f64_e32 v[175:176], v[8:9], v[175:176]
	v_fma_f64 v[183:184], v[4:5], v[34:35], v[183:184]
	v_fma_f64 v[189:190], v[2:3], v[34:35], -v[36:37]
	ds_load_b128 v[2:5], v1 offset:1280
	scratch_load_b128 v[34:37], off, off offset:416
	v_add_f64_e32 v[177:178], v[177:178], v[187:188]
	v_add_f64_e32 v[179:180], v[179:180], v[181:182]
	v_fma_f64 v[185:186], v[8:9], v[173:174], v[185:186]
	v_fma_f64 v[187:188], v[6:7], v[173:174], -v[175:176]
	ds_load_b128 v[6:9], v1 offset:1296
	scratch_load_b128 v[173:176], off, off offset:432
	s_wait_loadcnt_dscnt 0x901
	v_mul_f64_e32 v[181:182], v[2:3], v[40:41]
	v_mul_f64_e32 v[40:41], v[4:5], v[40:41]
	v_add_f64_e32 v[177:178], v[177:178], v[189:190]
	v_add_f64_e32 v[179:180], v[179:180], v[183:184]
	s_wait_loadcnt_dscnt 0x800
	v_mul_f64_e32 v[183:184], v[6:7], v[171:172]
	v_mul_f64_e32 v[171:172], v[8:9], v[171:172]
	v_fma_f64 v[181:182], v[4:5], v[38:39], v[181:182]
	v_fma_f64 v[189:190], v[2:3], v[38:39], -v[40:41]
	ds_load_b128 v[2:5], v1 offset:1312
	scratch_load_b128 v[38:41], off, off offset:448
	v_add_f64_e32 v[177:178], v[177:178], v[187:188]
	v_add_f64_e32 v[179:180], v[179:180], v[185:186]
	v_fma_f64 v[183:184], v[8:9], v[169:170], v[183:184]
	v_fma_f64 v[187:188], v[6:7], v[169:170], -v[171:172]
	ds_load_b128 v[6:9], v1 offset:1328
	s_wait_loadcnt_dscnt 0x801
	v_mul_f64_e32 v[185:186], v[2:3], v[12:13]
	v_mul_f64_e32 v[12:13], v[4:5], v[12:13]
	scratch_load_b128 v[169:172], off, off offset:464
	v_add_f64_e32 v[177:178], v[177:178], v[189:190]
	v_add_f64_e32 v[179:180], v[179:180], v[181:182]
	s_wait_loadcnt_dscnt 0x800
	v_mul_f64_e32 v[181:182], v[6:7], v[16:17]
	v_mul_f64_e32 v[16:17], v[8:9], v[16:17]
	v_fma_f64 v[185:186], v[4:5], v[10:11], v[185:186]
	v_fma_f64 v[189:190], v[2:3], v[10:11], -v[12:13]
	ds_load_b128 v[2:5], v1 offset:1344
	scratch_load_b128 v[10:13], off, off offset:480
	v_add_f64_e32 v[177:178], v[177:178], v[187:188]
	v_add_f64_e32 v[179:180], v[179:180], v[183:184]
	v_fma_f64 v[181:182], v[8:9], v[14:15], v[181:182]
	v_fma_f64 v[187:188], v[6:7], v[14:15], -v[16:17]
	ds_load_b128 v[6:9], v1 offset:1360
	s_wait_loadcnt_dscnt 0x801
	v_mul_f64_e32 v[183:184], v[2:3], v[20:21]
	v_mul_f64_e32 v[20:21], v[4:5], v[20:21]
	scratch_load_b128 v[14:17], off, off offset:496
	;; [unrolled: 18-line block ×18, first 2 shown]
	v_add_f64_e32 v[177:178], v[177:178], v[189:190]
	v_add_f64_e32 v[179:180], v[179:180], v[183:184]
	s_wait_loadcnt_dscnt 0x800
	v_mul_f64_e32 v[183:184], v[6:7], v[32:33]
	v_mul_f64_e32 v[32:33], v[8:9], v[32:33]
	v_fma_f64 v[181:182], v[4:5], v[26:27], v[181:182]
	v_fma_f64 v[26:27], v[2:3], v[26:27], -v[28:29]
	ds_load_b128 v[2:5], v1 offset:1888
	v_add_f64_e32 v[28:29], v[177:178], v[187:188]
	v_add_f64_e32 v[177:178], v[179:180], v[185:186]
	v_fma_f64 v[183:184], v[8:9], v[30:31], v[183:184]
	v_fma_f64 v[30:31], v[6:7], v[30:31], -v[32:33]
	ds_load_b128 v[6:9], v1 offset:1904
	s_wait_loadcnt_dscnt 0x701
	v_mul_f64_e32 v[179:180], v[2:3], v[36:37]
	v_mul_f64_e32 v[36:37], v[4:5], v[36:37]
	v_add_f64_e32 v[26:27], v[28:29], v[26:27]
	v_add_f64_e32 v[28:29], v[177:178], v[181:182]
	s_delay_alu instid0(VALU_DEP_4) | instskip(NEXT) | instid1(VALU_DEP_4)
	v_fma_f64 v[177:178], v[4:5], v[34:35], v[179:180]
	v_fma_f64 v[34:35], v[2:3], v[34:35], -v[36:37]
	ds_load_b128 v[2:5], v1 offset:1920
	v_add_f64_e32 v[30:31], v[26:27], v[30:31]
	v_add_f64_e32 v[36:37], v[28:29], v[183:184]
	scratch_load_b128 v[26:29], off, off offset:112
	s_wait_loadcnt_dscnt 0x701
	v_mul_f64_e32 v[32:33], v[6:7], v[175:176]
	v_mul_f64_e32 v[175:176], v[8:9], v[175:176]
	v_add_f64_e32 v[30:31], v[30:31], v[34:35]
	v_add_f64_e32 v[34:35], v[36:37], v[177:178]
	s_delay_alu instid0(VALU_DEP_4) | instskip(NEXT) | instid1(VALU_DEP_4)
	v_fma_f64 v[32:33], v[8:9], v[173:174], v[32:33]
	v_fma_f64 v[173:174], v[6:7], v[173:174], -v[175:176]
	ds_load_b128 v[6:9], v1 offset:1936
	s_wait_loadcnt_dscnt 0x601
	v_mul_f64_e32 v[179:180], v[2:3], v[40:41]
	v_mul_f64_e32 v[40:41], v[4:5], v[40:41]
	s_wait_loadcnt_dscnt 0x500
	v_mul_f64_e32 v[36:37], v[6:7], v[171:172]
	v_mul_f64_e32 v[171:172], v[8:9], v[171:172]
	v_add_f64_e32 v[32:33], v[34:35], v[32:33]
	v_add_f64_e32 v[30:31], v[30:31], v[173:174]
	v_fma_f64 v[175:176], v[4:5], v[38:39], v[179:180]
	v_fma_f64 v[38:39], v[2:3], v[38:39], -v[40:41]
	ds_load_b128 v[2:5], v1 offset:1952
	v_fma_f64 v[36:37], v[8:9], v[169:170], v[36:37]
	v_fma_f64 v[40:41], v[6:7], v[169:170], -v[171:172]
	ds_load_b128 v[6:9], v1 offset:1968
	s_wait_loadcnt_dscnt 0x401
	v_mul_f64_e32 v[34:35], v[2:3], v[12:13]
	v_mul_f64_e32 v[12:13], v[4:5], v[12:13]
	v_add_f64_e32 v[32:33], v[32:33], v[175:176]
	v_add_f64_e32 v[30:31], v[30:31], v[38:39]
	s_wait_loadcnt_dscnt 0x300
	v_mul_f64_e32 v[38:39], v[6:7], v[16:17]
	v_mul_f64_e32 v[16:17], v[8:9], v[16:17]
	v_fma_f64 v[34:35], v[4:5], v[10:11], v[34:35]
	v_fma_f64 v[10:11], v[2:3], v[10:11], -v[12:13]
	ds_load_b128 v[2:5], v1 offset:1984
	v_add_f64_e32 v[12:13], v[30:31], v[40:41]
	v_add_f64_e32 v[30:31], v[32:33], v[36:37]
	v_fma_f64 v[36:37], v[8:9], v[14:15], v[38:39]
	v_fma_f64 v[14:15], v[6:7], v[14:15], -v[16:17]
	ds_load_b128 v[6:9], v1 offset:2000
	s_wait_loadcnt_dscnt 0x201
	v_mul_f64_e32 v[32:33], v[2:3], v[20:21]
	v_mul_f64_e32 v[20:21], v[4:5], v[20:21]
	s_wait_loadcnt_dscnt 0x100
	v_mul_f64_e32 v[16:17], v[6:7], v[24:25]
	v_mul_f64_e32 v[24:25], v[8:9], v[24:25]
	v_add_f64_e32 v[10:11], v[12:13], v[10:11]
	v_add_f64_e32 v[12:13], v[30:31], v[34:35]
	v_fma_f64 v[4:5], v[4:5], v[18:19], v[32:33]
	v_fma_f64 v[1:2], v[2:3], v[18:19], -v[20:21]
	v_fma_f64 v[8:9], v[8:9], v[22:23], v[16:17]
	v_fma_f64 v[6:7], v[6:7], v[22:23], -v[24:25]
	v_add_f64_e32 v[10:11], v[10:11], v[14:15]
	v_add_f64_e32 v[12:13], v[12:13], v[36:37]
	s_delay_alu instid0(VALU_DEP_2) | instskip(NEXT) | instid1(VALU_DEP_2)
	v_add_f64_e32 v[1:2], v[10:11], v[1:2]
	v_add_f64_e32 v[3:4], v[12:13], v[4:5]
	s_delay_alu instid0(VALU_DEP_2) | instskip(NEXT) | instid1(VALU_DEP_2)
	v_add_f64_e32 v[1:2], v[1:2], v[6:7]
	v_add_f64_e32 v[3:4], v[3:4], v[8:9]
	s_wait_loadcnt 0x0
	s_delay_alu instid0(VALU_DEP_2) | instskip(NEXT) | instid1(VALU_DEP_2)
	v_add_f64_e64 v[1:2], v[26:27], -v[1:2]
	v_add_f64_e64 v[3:4], v[28:29], -v[3:4]
	scratch_store_b128 off, v[1:4], off offset:112
	v_cmpx_lt_u32_e32 5, v0
	s_cbranch_execz .LBB62_393
; %bb.392:
	scratch_load_b128 v[1:4], off, s73
	v_mov_b32_e32 v5, 0
	s_delay_alu instid0(VALU_DEP_1)
	v_dual_mov_b32 v6, v5 :: v_dual_mov_b32 v7, v5
	v_mov_b32_e32 v8, v5
	scratch_store_b128 off, v[5:8], off offset:96
	s_wait_loadcnt 0x0
	ds_store_b128 v168, v[1:4]
.LBB62_393:
	s_wait_alu 0xfffe
	s_or_b32 exec_lo, exec_lo, s0
	s_wait_storecnt_dscnt 0x0
	s_barrier_signal -1
	s_barrier_wait -1
	global_inv scope:SCOPE_SE
	s_clause 0x7
	scratch_load_b128 v[2:5], off, off offset:112
	scratch_load_b128 v[6:9], off, off offset:128
	;; [unrolled: 1-line block ×8, first 2 shown]
	v_mov_b32_e32 v1, 0
	s_clause 0x1
	scratch_load_b128 v[34:37], off, off offset:240
	scratch_load_b128 v[173:176], off, off offset:256
	s_mov_b32 s0, exec_lo
	ds_load_b128 v[38:41], v1 offset:1104
	ds_load_b128 v[169:172], v1 offset:1120
	s_wait_loadcnt_dscnt 0x901
	v_mul_f64_e32 v[177:178], v[40:41], v[4:5]
	v_mul_f64_e32 v[4:5], v[38:39], v[4:5]
	s_wait_loadcnt_dscnt 0x800
	v_mul_f64_e32 v[179:180], v[169:170], v[8:9]
	v_mul_f64_e32 v[8:9], v[171:172], v[8:9]
	s_delay_alu instid0(VALU_DEP_4) | instskip(NEXT) | instid1(VALU_DEP_4)
	v_fma_f64 v[177:178], v[38:39], v[2:3], -v[177:178]
	v_fma_f64 v[181:182], v[40:41], v[2:3], v[4:5]
	ds_load_b128 v[2:5], v1 offset:1136
	scratch_load_b128 v[38:41], off, off offset:272
	v_fma_f64 v[179:180], v[171:172], v[6:7], v[179:180]
	v_fma_f64 v[185:186], v[169:170], v[6:7], -v[8:9]
	ds_load_b128 v[6:9], v1 offset:1152
	scratch_load_b128 v[169:172], off, off offset:288
	s_wait_loadcnt_dscnt 0x901
	v_mul_f64_e32 v[183:184], v[2:3], v[12:13]
	v_mul_f64_e32 v[12:13], v[4:5], v[12:13]
	s_wait_loadcnt_dscnt 0x800
	v_mul_f64_e32 v[187:188], v[6:7], v[16:17]
	v_mul_f64_e32 v[16:17], v[8:9], v[16:17]
	v_add_f64_e32 v[177:178], 0, v[177:178]
	v_add_f64_e32 v[181:182], 0, v[181:182]
	v_fma_f64 v[183:184], v[4:5], v[10:11], v[183:184]
	v_fma_f64 v[189:190], v[2:3], v[10:11], -v[12:13]
	ds_load_b128 v[2:5], v1 offset:1168
	scratch_load_b128 v[10:13], off, off offset:304
	v_add_f64_e32 v[177:178], v[177:178], v[185:186]
	v_add_f64_e32 v[179:180], v[181:182], v[179:180]
	v_fma_f64 v[185:186], v[8:9], v[14:15], v[187:188]
	v_fma_f64 v[187:188], v[6:7], v[14:15], -v[16:17]
	ds_load_b128 v[6:9], v1 offset:1184
	scratch_load_b128 v[14:17], off, off offset:320
	s_wait_loadcnt_dscnt 0x901
	v_mul_f64_e32 v[181:182], v[2:3], v[20:21]
	v_mul_f64_e32 v[20:21], v[4:5], v[20:21]
	v_add_f64_e32 v[177:178], v[177:178], v[189:190]
	v_add_f64_e32 v[179:180], v[179:180], v[183:184]
	s_wait_loadcnt_dscnt 0x800
	v_mul_f64_e32 v[183:184], v[6:7], v[24:25]
	v_mul_f64_e32 v[24:25], v[8:9], v[24:25]
	v_fma_f64 v[181:182], v[4:5], v[18:19], v[181:182]
	v_fma_f64 v[189:190], v[2:3], v[18:19], -v[20:21]
	ds_load_b128 v[2:5], v1 offset:1200
	scratch_load_b128 v[18:21], off, off offset:336
	v_add_f64_e32 v[177:178], v[177:178], v[187:188]
	v_add_f64_e32 v[179:180], v[179:180], v[185:186]
	v_fma_f64 v[183:184], v[8:9], v[22:23], v[183:184]
	v_fma_f64 v[187:188], v[6:7], v[22:23], -v[24:25]
	ds_load_b128 v[6:9], v1 offset:1216
	s_wait_loadcnt_dscnt 0x801
	v_mul_f64_e32 v[185:186], v[2:3], v[28:29]
	v_mul_f64_e32 v[28:29], v[4:5], v[28:29]
	scratch_load_b128 v[22:25], off, off offset:352
	v_add_f64_e32 v[177:178], v[177:178], v[189:190]
	v_add_f64_e32 v[179:180], v[179:180], v[181:182]
	s_wait_loadcnt_dscnt 0x800
	v_mul_f64_e32 v[181:182], v[6:7], v[32:33]
	v_mul_f64_e32 v[32:33], v[8:9], v[32:33]
	v_fma_f64 v[185:186], v[4:5], v[26:27], v[185:186]
	v_fma_f64 v[189:190], v[2:3], v[26:27], -v[28:29]
	ds_load_b128 v[2:5], v1 offset:1232
	scratch_load_b128 v[26:29], off, off offset:368
	v_add_f64_e32 v[177:178], v[177:178], v[187:188]
	v_add_f64_e32 v[179:180], v[179:180], v[183:184]
	v_fma_f64 v[181:182], v[8:9], v[30:31], v[181:182]
	v_fma_f64 v[187:188], v[6:7], v[30:31], -v[32:33]
	ds_load_b128 v[6:9], v1 offset:1248
	s_wait_loadcnt_dscnt 0x801
	v_mul_f64_e32 v[183:184], v[2:3], v[36:37]
	v_mul_f64_e32 v[36:37], v[4:5], v[36:37]
	scratch_load_b128 v[30:33], off, off offset:384
	v_add_f64_e32 v[177:178], v[177:178], v[189:190]
	v_add_f64_e32 v[179:180], v[179:180], v[185:186]
	s_wait_loadcnt_dscnt 0x800
	v_mul_f64_e32 v[185:186], v[6:7], v[175:176]
	v_mul_f64_e32 v[175:176], v[8:9], v[175:176]
	v_fma_f64 v[183:184], v[4:5], v[34:35], v[183:184]
	v_fma_f64 v[189:190], v[2:3], v[34:35], -v[36:37]
	ds_load_b128 v[2:5], v1 offset:1264
	scratch_load_b128 v[34:37], off, off offset:400
	v_add_f64_e32 v[177:178], v[177:178], v[187:188]
	v_add_f64_e32 v[179:180], v[179:180], v[181:182]
	v_fma_f64 v[185:186], v[8:9], v[173:174], v[185:186]
	v_fma_f64 v[187:188], v[6:7], v[173:174], -v[175:176]
	ds_load_b128 v[6:9], v1 offset:1280
	scratch_load_b128 v[173:176], off, off offset:416
	s_wait_loadcnt_dscnt 0x901
	v_mul_f64_e32 v[181:182], v[2:3], v[40:41]
	v_mul_f64_e32 v[40:41], v[4:5], v[40:41]
	v_add_f64_e32 v[177:178], v[177:178], v[189:190]
	v_add_f64_e32 v[179:180], v[179:180], v[183:184]
	s_wait_loadcnt_dscnt 0x800
	v_mul_f64_e32 v[183:184], v[6:7], v[171:172]
	v_mul_f64_e32 v[171:172], v[8:9], v[171:172]
	v_fma_f64 v[181:182], v[4:5], v[38:39], v[181:182]
	v_fma_f64 v[189:190], v[2:3], v[38:39], -v[40:41]
	ds_load_b128 v[2:5], v1 offset:1296
	scratch_load_b128 v[38:41], off, off offset:432
	v_add_f64_e32 v[177:178], v[177:178], v[187:188]
	v_add_f64_e32 v[179:180], v[179:180], v[185:186]
	v_fma_f64 v[183:184], v[8:9], v[169:170], v[183:184]
	v_fma_f64 v[187:188], v[6:7], v[169:170], -v[171:172]
	ds_load_b128 v[6:9], v1 offset:1312
	s_wait_loadcnt_dscnt 0x801
	v_mul_f64_e32 v[185:186], v[2:3], v[12:13]
	v_mul_f64_e32 v[12:13], v[4:5], v[12:13]
	scratch_load_b128 v[169:172], off, off offset:448
	v_add_f64_e32 v[177:178], v[177:178], v[189:190]
	v_add_f64_e32 v[179:180], v[179:180], v[181:182]
	s_wait_loadcnt_dscnt 0x800
	v_mul_f64_e32 v[181:182], v[6:7], v[16:17]
	v_mul_f64_e32 v[16:17], v[8:9], v[16:17]
	v_fma_f64 v[185:186], v[4:5], v[10:11], v[185:186]
	v_fma_f64 v[189:190], v[2:3], v[10:11], -v[12:13]
	ds_load_b128 v[2:5], v1 offset:1328
	scratch_load_b128 v[10:13], off, off offset:464
	v_add_f64_e32 v[177:178], v[177:178], v[187:188]
	v_add_f64_e32 v[179:180], v[179:180], v[183:184]
	v_fma_f64 v[181:182], v[8:9], v[14:15], v[181:182]
	v_fma_f64 v[187:188], v[6:7], v[14:15], -v[16:17]
	ds_load_b128 v[6:9], v1 offset:1344
	s_wait_loadcnt_dscnt 0x801
	v_mul_f64_e32 v[183:184], v[2:3], v[20:21]
	v_mul_f64_e32 v[20:21], v[4:5], v[20:21]
	scratch_load_b128 v[14:17], off, off offset:480
	;; [unrolled: 18-line block ×18, first 2 shown]
	v_add_f64_e32 v[177:178], v[177:178], v[189:190]
	v_add_f64_e32 v[179:180], v[179:180], v[183:184]
	s_wait_loadcnt_dscnt 0x800
	v_mul_f64_e32 v[183:184], v[6:7], v[32:33]
	v_mul_f64_e32 v[32:33], v[8:9], v[32:33]
	v_fma_f64 v[181:182], v[4:5], v[26:27], v[181:182]
	v_fma_f64 v[189:190], v[2:3], v[26:27], -v[28:29]
	ds_load_b128 v[2:5], v1 offset:1872
	scratch_load_b128 v[26:29], off, off offset:1008
	v_add_f64_e32 v[177:178], v[177:178], v[187:188]
	v_add_f64_e32 v[179:180], v[179:180], v[185:186]
	v_fma_f64 v[183:184], v[8:9], v[30:31], v[183:184]
	v_fma_f64 v[30:31], v[6:7], v[30:31], -v[32:33]
	ds_load_b128 v[6:9], v1 offset:1888
	s_wait_loadcnt_dscnt 0x801
	v_mul_f64_e32 v[185:186], v[2:3], v[36:37]
	v_mul_f64_e32 v[36:37], v[4:5], v[36:37]
	v_add_f64_e32 v[32:33], v[177:178], v[189:190]
	v_add_f64_e32 v[177:178], v[179:180], v[181:182]
	s_wait_loadcnt_dscnt 0x700
	v_mul_f64_e32 v[179:180], v[6:7], v[175:176]
	v_mul_f64_e32 v[175:176], v[8:9], v[175:176]
	v_fma_f64 v[181:182], v[4:5], v[34:35], v[185:186]
	v_fma_f64 v[34:35], v[2:3], v[34:35], -v[36:37]
	ds_load_b128 v[2:5], v1 offset:1904
	v_add_f64_e32 v[30:31], v[32:33], v[30:31]
	v_add_f64_e32 v[32:33], v[177:178], v[183:184]
	v_fma_f64 v[177:178], v[8:9], v[173:174], v[179:180]
	v_fma_f64 v[173:174], v[6:7], v[173:174], -v[175:176]
	ds_load_b128 v[6:9], v1 offset:1920
	s_wait_loadcnt_dscnt 0x500
	v_mul_f64_e32 v[179:180], v[6:7], v[171:172]
	v_mul_f64_e32 v[171:172], v[8:9], v[171:172]
	v_add_f64_e32 v[34:35], v[30:31], v[34:35]
	v_add_f64_e32 v[175:176], v[32:33], v[181:182]
	scratch_load_b128 v[30:33], off, off offset:96
	v_mul_f64_e32 v[36:37], v[2:3], v[40:41]
	v_mul_f64_e32 v[40:41], v[4:5], v[40:41]
	v_add_f64_e32 v[34:35], v[34:35], v[173:174]
	s_delay_alu instid0(VALU_DEP_3) | instskip(NEXT) | instid1(VALU_DEP_3)
	v_fma_f64 v[36:37], v[4:5], v[38:39], v[36:37]
	v_fma_f64 v[38:39], v[2:3], v[38:39], -v[40:41]
	v_add_f64_e32 v[40:41], v[175:176], v[177:178]
	ds_load_b128 v[2:5], v1 offset:1936
	v_fma_f64 v[175:176], v[8:9], v[169:170], v[179:180]
	v_fma_f64 v[169:170], v[6:7], v[169:170], -v[171:172]
	ds_load_b128 v[6:9], v1 offset:1952
	s_wait_loadcnt_dscnt 0x501
	v_mul_f64_e32 v[173:174], v[2:3], v[12:13]
	v_mul_f64_e32 v[12:13], v[4:5], v[12:13]
	v_add_f64_e32 v[34:35], v[34:35], v[38:39]
	v_add_f64_e32 v[36:37], v[40:41], v[36:37]
	s_wait_loadcnt_dscnt 0x400
	v_mul_f64_e32 v[38:39], v[6:7], v[16:17]
	v_mul_f64_e32 v[16:17], v[8:9], v[16:17]
	v_fma_f64 v[40:41], v[4:5], v[10:11], v[173:174]
	v_fma_f64 v[10:11], v[2:3], v[10:11], -v[12:13]
	ds_load_b128 v[2:5], v1 offset:1968
	v_add_f64_e32 v[12:13], v[34:35], v[169:170]
	v_add_f64_e32 v[34:35], v[36:37], v[175:176]
	v_fma_f64 v[38:39], v[8:9], v[14:15], v[38:39]
	v_fma_f64 v[14:15], v[6:7], v[14:15], -v[16:17]
	ds_load_b128 v[6:9], v1 offset:1984
	s_wait_loadcnt_dscnt 0x301
	v_mul_f64_e32 v[36:37], v[2:3], v[20:21]
	v_mul_f64_e32 v[20:21], v[4:5], v[20:21]
	s_wait_loadcnt_dscnt 0x200
	v_mul_f64_e32 v[16:17], v[6:7], v[24:25]
	v_mul_f64_e32 v[24:25], v[8:9], v[24:25]
	v_add_f64_e32 v[10:11], v[12:13], v[10:11]
	v_add_f64_e32 v[12:13], v[34:35], v[40:41]
	v_fma_f64 v[34:35], v[4:5], v[18:19], v[36:37]
	v_fma_f64 v[18:19], v[2:3], v[18:19], -v[20:21]
	ds_load_b128 v[2:5], v1 offset:2000
	v_fma_f64 v[8:9], v[8:9], v[22:23], v[16:17]
	v_fma_f64 v[6:7], v[6:7], v[22:23], -v[24:25]
	s_wait_loadcnt_dscnt 0x100
	v_mul_f64_e32 v[20:21], v[4:5], v[28:29]
	v_add_f64_e32 v[10:11], v[10:11], v[14:15]
	v_add_f64_e32 v[12:13], v[12:13], v[38:39]
	v_mul_f64_e32 v[14:15], v[2:3], v[28:29]
	s_delay_alu instid0(VALU_DEP_4) | instskip(NEXT) | instid1(VALU_DEP_4)
	v_fma_f64 v[2:3], v[2:3], v[26:27], -v[20:21]
	v_add_f64_e32 v[10:11], v[10:11], v[18:19]
	s_delay_alu instid0(VALU_DEP_4) | instskip(NEXT) | instid1(VALU_DEP_4)
	v_add_f64_e32 v[12:13], v[12:13], v[34:35]
	v_fma_f64 v[4:5], v[4:5], v[26:27], v[14:15]
	s_delay_alu instid0(VALU_DEP_3) | instskip(NEXT) | instid1(VALU_DEP_3)
	v_add_f64_e32 v[6:7], v[10:11], v[6:7]
	v_add_f64_e32 v[8:9], v[12:13], v[8:9]
	s_delay_alu instid0(VALU_DEP_2) | instskip(NEXT) | instid1(VALU_DEP_2)
	v_add_f64_e32 v[2:3], v[6:7], v[2:3]
	v_add_f64_e32 v[4:5], v[8:9], v[4:5]
	s_wait_loadcnt 0x0
	s_delay_alu instid0(VALU_DEP_2) | instskip(NEXT) | instid1(VALU_DEP_2)
	v_add_f64_e64 v[2:3], v[30:31], -v[2:3]
	v_add_f64_e64 v[4:5], v[32:33], -v[4:5]
	scratch_store_b128 off, v[2:5], off offset:96
	v_cmpx_lt_u32_e32 4, v0
	s_cbranch_execz .LBB62_395
; %bb.394:
	scratch_load_b128 v[5:8], off, s56
	v_dual_mov_b32 v2, v1 :: v_dual_mov_b32 v3, v1
	v_mov_b32_e32 v4, v1
	scratch_store_b128 off, v[1:4], off offset:80
	s_wait_loadcnt 0x0
	ds_store_b128 v168, v[5:8]
.LBB62_395:
	s_wait_alu 0xfffe
	s_or_b32 exec_lo, exec_lo, s0
	s_wait_storecnt_dscnt 0x0
	s_barrier_signal -1
	s_barrier_wait -1
	global_inv scope:SCOPE_SE
	s_clause 0x7
	scratch_load_b128 v[2:5], off, off offset:96
	scratch_load_b128 v[6:9], off, off offset:112
	;; [unrolled: 1-line block ×8, first 2 shown]
	ds_load_b128 v[38:41], v1 offset:1088
	ds_load_b128 v[169:172], v1 offset:1104
	s_clause 0x1
	scratch_load_b128 v[34:37], off, off offset:224
	scratch_load_b128 v[173:176], off, off offset:240
	s_mov_b32 s0, exec_lo
	s_wait_loadcnt_dscnt 0x901
	v_mul_f64_e32 v[177:178], v[40:41], v[4:5]
	v_mul_f64_e32 v[4:5], v[38:39], v[4:5]
	s_wait_loadcnt_dscnt 0x800
	v_mul_f64_e32 v[179:180], v[169:170], v[8:9]
	v_mul_f64_e32 v[8:9], v[171:172], v[8:9]
	s_delay_alu instid0(VALU_DEP_4) | instskip(NEXT) | instid1(VALU_DEP_4)
	v_fma_f64 v[177:178], v[38:39], v[2:3], -v[177:178]
	v_fma_f64 v[181:182], v[40:41], v[2:3], v[4:5]
	ds_load_b128 v[2:5], v1 offset:1120
	scratch_load_b128 v[38:41], off, off offset:256
	v_fma_f64 v[179:180], v[171:172], v[6:7], v[179:180]
	v_fma_f64 v[185:186], v[169:170], v[6:7], -v[8:9]
	ds_load_b128 v[6:9], v1 offset:1136
	scratch_load_b128 v[169:172], off, off offset:272
	s_wait_loadcnt_dscnt 0x901
	v_mul_f64_e32 v[183:184], v[2:3], v[12:13]
	v_mul_f64_e32 v[12:13], v[4:5], v[12:13]
	s_wait_loadcnt_dscnt 0x800
	v_mul_f64_e32 v[187:188], v[6:7], v[16:17]
	v_mul_f64_e32 v[16:17], v[8:9], v[16:17]
	v_add_f64_e32 v[177:178], 0, v[177:178]
	v_add_f64_e32 v[181:182], 0, v[181:182]
	v_fma_f64 v[183:184], v[4:5], v[10:11], v[183:184]
	v_fma_f64 v[189:190], v[2:3], v[10:11], -v[12:13]
	ds_load_b128 v[2:5], v1 offset:1152
	scratch_load_b128 v[10:13], off, off offset:288
	v_add_f64_e32 v[177:178], v[177:178], v[185:186]
	v_add_f64_e32 v[179:180], v[181:182], v[179:180]
	v_fma_f64 v[185:186], v[8:9], v[14:15], v[187:188]
	v_fma_f64 v[187:188], v[6:7], v[14:15], -v[16:17]
	ds_load_b128 v[6:9], v1 offset:1168
	scratch_load_b128 v[14:17], off, off offset:304
	s_wait_loadcnt_dscnt 0x901
	v_mul_f64_e32 v[181:182], v[2:3], v[20:21]
	v_mul_f64_e32 v[20:21], v[4:5], v[20:21]
	v_add_f64_e32 v[177:178], v[177:178], v[189:190]
	v_add_f64_e32 v[179:180], v[179:180], v[183:184]
	s_wait_loadcnt_dscnt 0x800
	v_mul_f64_e32 v[183:184], v[6:7], v[24:25]
	v_mul_f64_e32 v[24:25], v[8:9], v[24:25]
	v_fma_f64 v[181:182], v[4:5], v[18:19], v[181:182]
	v_fma_f64 v[189:190], v[2:3], v[18:19], -v[20:21]
	ds_load_b128 v[2:5], v1 offset:1184
	scratch_load_b128 v[18:21], off, off offset:320
	v_add_f64_e32 v[177:178], v[177:178], v[187:188]
	v_add_f64_e32 v[179:180], v[179:180], v[185:186]
	v_fma_f64 v[183:184], v[8:9], v[22:23], v[183:184]
	v_fma_f64 v[187:188], v[6:7], v[22:23], -v[24:25]
	ds_load_b128 v[6:9], v1 offset:1200
	s_wait_loadcnt_dscnt 0x801
	v_mul_f64_e32 v[185:186], v[2:3], v[28:29]
	v_mul_f64_e32 v[28:29], v[4:5], v[28:29]
	scratch_load_b128 v[22:25], off, off offset:336
	v_add_f64_e32 v[177:178], v[177:178], v[189:190]
	v_add_f64_e32 v[179:180], v[179:180], v[181:182]
	s_wait_loadcnt_dscnt 0x800
	v_mul_f64_e32 v[181:182], v[6:7], v[32:33]
	v_mul_f64_e32 v[32:33], v[8:9], v[32:33]
	v_fma_f64 v[185:186], v[4:5], v[26:27], v[185:186]
	v_fma_f64 v[189:190], v[2:3], v[26:27], -v[28:29]
	ds_load_b128 v[2:5], v1 offset:1216
	scratch_load_b128 v[26:29], off, off offset:352
	v_add_f64_e32 v[177:178], v[177:178], v[187:188]
	v_add_f64_e32 v[179:180], v[179:180], v[183:184]
	v_fma_f64 v[181:182], v[8:9], v[30:31], v[181:182]
	v_fma_f64 v[187:188], v[6:7], v[30:31], -v[32:33]
	ds_load_b128 v[6:9], v1 offset:1232
	s_wait_loadcnt_dscnt 0x801
	v_mul_f64_e32 v[183:184], v[2:3], v[36:37]
	v_mul_f64_e32 v[36:37], v[4:5], v[36:37]
	scratch_load_b128 v[30:33], off, off offset:368
	v_add_f64_e32 v[177:178], v[177:178], v[189:190]
	v_add_f64_e32 v[179:180], v[179:180], v[185:186]
	s_wait_loadcnt_dscnt 0x800
	v_mul_f64_e32 v[185:186], v[6:7], v[175:176]
	v_mul_f64_e32 v[175:176], v[8:9], v[175:176]
	v_fma_f64 v[183:184], v[4:5], v[34:35], v[183:184]
	v_fma_f64 v[189:190], v[2:3], v[34:35], -v[36:37]
	ds_load_b128 v[2:5], v1 offset:1248
	scratch_load_b128 v[34:37], off, off offset:384
	v_add_f64_e32 v[177:178], v[177:178], v[187:188]
	v_add_f64_e32 v[179:180], v[179:180], v[181:182]
	v_fma_f64 v[185:186], v[8:9], v[173:174], v[185:186]
	v_fma_f64 v[187:188], v[6:7], v[173:174], -v[175:176]
	ds_load_b128 v[6:9], v1 offset:1264
	scratch_load_b128 v[173:176], off, off offset:400
	s_wait_loadcnt_dscnt 0x901
	v_mul_f64_e32 v[181:182], v[2:3], v[40:41]
	v_mul_f64_e32 v[40:41], v[4:5], v[40:41]
	v_add_f64_e32 v[177:178], v[177:178], v[189:190]
	v_add_f64_e32 v[179:180], v[179:180], v[183:184]
	s_wait_loadcnt_dscnt 0x800
	v_mul_f64_e32 v[183:184], v[6:7], v[171:172]
	v_mul_f64_e32 v[171:172], v[8:9], v[171:172]
	v_fma_f64 v[181:182], v[4:5], v[38:39], v[181:182]
	v_fma_f64 v[189:190], v[2:3], v[38:39], -v[40:41]
	ds_load_b128 v[2:5], v1 offset:1280
	scratch_load_b128 v[38:41], off, off offset:416
	v_add_f64_e32 v[177:178], v[177:178], v[187:188]
	v_add_f64_e32 v[179:180], v[179:180], v[185:186]
	v_fma_f64 v[183:184], v[8:9], v[169:170], v[183:184]
	v_fma_f64 v[187:188], v[6:7], v[169:170], -v[171:172]
	ds_load_b128 v[6:9], v1 offset:1296
	s_wait_loadcnt_dscnt 0x801
	v_mul_f64_e32 v[185:186], v[2:3], v[12:13]
	v_mul_f64_e32 v[12:13], v[4:5], v[12:13]
	scratch_load_b128 v[169:172], off, off offset:432
	v_add_f64_e32 v[177:178], v[177:178], v[189:190]
	v_add_f64_e32 v[179:180], v[179:180], v[181:182]
	s_wait_loadcnt_dscnt 0x800
	v_mul_f64_e32 v[181:182], v[6:7], v[16:17]
	v_mul_f64_e32 v[16:17], v[8:9], v[16:17]
	v_fma_f64 v[185:186], v[4:5], v[10:11], v[185:186]
	v_fma_f64 v[189:190], v[2:3], v[10:11], -v[12:13]
	ds_load_b128 v[2:5], v1 offset:1312
	scratch_load_b128 v[10:13], off, off offset:448
	v_add_f64_e32 v[177:178], v[177:178], v[187:188]
	v_add_f64_e32 v[179:180], v[179:180], v[183:184]
	v_fma_f64 v[181:182], v[8:9], v[14:15], v[181:182]
	v_fma_f64 v[187:188], v[6:7], v[14:15], -v[16:17]
	ds_load_b128 v[6:9], v1 offset:1328
	s_wait_loadcnt_dscnt 0x801
	v_mul_f64_e32 v[183:184], v[2:3], v[20:21]
	v_mul_f64_e32 v[20:21], v[4:5], v[20:21]
	scratch_load_b128 v[14:17], off, off offset:464
	;; [unrolled: 18-line block ×19, first 2 shown]
	v_add_f64_e32 v[177:178], v[177:178], v[189:190]
	v_add_f64_e32 v[179:180], v[179:180], v[181:182]
	s_wait_loadcnt_dscnt 0x800
	v_mul_f64_e32 v[181:182], v[6:7], v[175:176]
	v_mul_f64_e32 v[175:176], v[8:9], v[175:176]
	v_fma_f64 v[185:186], v[4:5], v[34:35], v[185:186]
	v_fma_f64 v[34:35], v[2:3], v[34:35], -v[36:37]
	ds_load_b128 v[2:5], v1 offset:1888
	v_add_f64_e32 v[36:37], v[177:178], v[187:188]
	v_add_f64_e32 v[177:178], v[179:180], v[183:184]
	v_fma_f64 v[181:182], v[8:9], v[173:174], v[181:182]
	v_fma_f64 v[173:174], v[6:7], v[173:174], -v[175:176]
	ds_load_b128 v[6:9], v1 offset:1904
	s_wait_loadcnt_dscnt 0x701
	v_mul_f64_e32 v[179:180], v[2:3], v[40:41]
	v_mul_f64_e32 v[40:41], v[4:5], v[40:41]
	v_add_f64_e32 v[34:35], v[36:37], v[34:35]
	v_add_f64_e32 v[36:37], v[177:178], v[185:186]
	s_delay_alu instid0(VALU_DEP_4) | instskip(NEXT) | instid1(VALU_DEP_4)
	v_fma_f64 v[177:178], v[4:5], v[38:39], v[179:180]
	v_fma_f64 v[38:39], v[2:3], v[38:39], -v[40:41]
	ds_load_b128 v[2:5], v1 offset:1920
	v_add_f64_e32 v[40:41], v[34:35], v[173:174]
	v_add_f64_e32 v[173:174], v[36:37], v[181:182]
	scratch_load_b128 v[34:37], off, off offset:80
	s_wait_loadcnt_dscnt 0x701
	v_mul_f64_e32 v[175:176], v[6:7], v[171:172]
	v_mul_f64_e32 v[171:172], v[8:9], v[171:172]
	v_add_f64_e32 v[38:39], v[40:41], v[38:39]
	v_add_f64_e32 v[40:41], v[173:174], v[177:178]
	s_delay_alu instid0(VALU_DEP_4) | instskip(NEXT) | instid1(VALU_DEP_4)
	v_fma_f64 v[175:176], v[8:9], v[169:170], v[175:176]
	v_fma_f64 v[169:170], v[6:7], v[169:170], -v[171:172]
	ds_load_b128 v[6:9], v1 offset:1936
	s_wait_loadcnt_dscnt 0x601
	v_mul_f64_e32 v[179:180], v[2:3], v[12:13]
	v_mul_f64_e32 v[12:13], v[4:5], v[12:13]
	s_wait_loadcnt_dscnt 0x500
	v_mul_f64_e32 v[171:172], v[6:7], v[16:17]
	v_mul_f64_e32 v[16:17], v[8:9], v[16:17]
	s_delay_alu instid0(VALU_DEP_4) | instskip(NEXT) | instid1(VALU_DEP_4)
	v_fma_f64 v[173:174], v[4:5], v[10:11], v[179:180]
	v_fma_f64 v[10:11], v[2:3], v[10:11], -v[12:13]
	v_add_f64_e32 v[12:13], v[38:39], v[169:170]
	v_add_f64_e32 v[38:39], v[40:41], v[175:176]
	ds_load_b128 v[2:5], v1 offset:1952
	v_fma_f64 v[169:170], v[8:9], v[14:15], v[171:172]
	v_fma_f64 v[14:15], v[6:7], v[14:15], -v[16:17]
	ds_load_b128 v[6:9], v1 offset:1968
	s_wait_loadcnt_dscnt 0x401
	v_mul_f64_e32 v[40:41], v[2:3], v[20:21]
	v_mul_f64_e32 v[20:21], v[4:5], v[20:21]
	v_add_f64_e32 v[10:11], v[12:13], v[10:11]
	v_add_f64_e32 v[12:13], v[38:39], v[173:174]
	s_wait_loadcnt_dscnt 0x300
	v_mul_f64_e32 v[16:17], v[6:7], v[24:25]
	v_mul_f64_e32 v[24:25], v[8:9], v[24:25]
	v_fma_f64 v[38:39], v[4:5], v[18:19], v[40:41]
	v_fma_f64 v[18:19], v[2:3], v[18:19], -v[20:21]
	ds_load_b128 v[2:5], v1 offset:1984
	v_add_f64_e32 v[10:11], v[10:11], v[14:15]
	v_add_f64_e32 v[12:13], v[12:13], v[169:170]
	v_fma_f64 v[16:17], v[8:9], v[22:23], v[16:17]
	v_fma_f64 v[22:23], v[6:7], v[22:23], -v[24:25]
	ds_load_b128 v[6:9], v1 offset:2000
	s_wait_loadcnt_dscnt 0x201
	v_mul_f64_e32 v[14:15], v[2:3], v[28:29]
	v_mul_f64_e32 v[20:21], v[4:5], v[28:29]
	s_wait_loadcnt_dscnt 0x100
	v_mul_f64_e32 v[24:25], v[8:9], v[32:33]
	v_add_f64_e32 v[10:11], v[10:11], v[18:19]
	v_add_f64_e32 v[12:13], v[12:13], v[38:39]
	v_mul_f64_e32 v[18:19], v[6:7], v[32:33]
	v_fma_f64 v[4:5], v[4:5], v[26:27], v[14:15]
	v_fma_f64 v[1:2], v[2:3], v[26:27], -v[20:21]
	v_fma_f64 v[6:7], v[6:7], v[30:31], -v[24:25]
	v_add_f64_e32 v[10:11], v[10:11], v[22:23]
	v_add_f64_e32 v[12:13], v[12:13], v[16:17]
	v_fma_f64 v[8:9], v[8:9], v[30:31], v[18:19]
	s_delay_alu instid0(VALU_DEP_3) | instskip(NEXT) | instid1(VALU_DEP_3)
	v_add_f64_e32 v[1:2], v[10:11], v[1:2]
	v_add_f64_e32 v[3:4], v[12:13], v[4:5]
	s_delay_alu instid0(VALU_DEP_2) | instskip(NEXT) | instid1(VALU_DEP_2)
	v_add_f64_e32 v[1:2], v[1:2], v[6:7]
	v_add_f64_e32 v[3:4], v[3:4], v[8:9]
	s_wait_loadcnt 0x0
	s_delay_alu instid0(VALU_DEP_2) | instskip(NEXT) | instid1(VALU_DEP_2)
	v_add_f64_e64 v[1:2], v[34:35], -v[1:2]
	v_add_f64_e64 v[3:4], v[36:37], -v[3:4]
	scratch_store_b128 off, v[1:4], off offset:80
	v_cmpx_lt_u32_e32 3, v0
	s_cbranch_execz .LBB62_397
; %bb.396:
	scratch_load_b128 v[1:4], off, s57
	v_mov_b32_e32 v5, 0
	s_delay_alu instid0(VALU_DEP_1)
	v_dual_mov_b32 v6, v5 :: v_dual_mov_b32 v7, v5
	v_mov_b32_e32 v8, v5
	scratch_store_b128 off, v[5:8], off offset:64
	s_wait_loadcnt 0x0
	ds_store_b128 v168, v[1:4]
.LBB62_397:
	s_wait_alu 0xfffe
	s_or_b32 exec_lo, exec_lo, s0
	s_wait_storecnt_dscnt 0x0
	s_barrier_signal -1
	s_barrier_wait -1
	global_inv scope:SCOPE_SE
	s_clause 0x7
	scratch_load_b128 v[2:5], off, off offset:80
	scratch_load_b128 v[6:9], off, off offset:96
	;; [unrolled: 1-line block ×8, first 2 shown]
	v_mov_b32_e32 v1, 0
	s_clause 0x1
	scratch_load_b128 v[34:37], off, off offset:208
	scratch_load_b128 v[173:176], off, off offset:224
	s_mov_b32 s0, exec_lo
	ds_load_b128 v[38:41], v1 offset:1072
	ds_load_b128 v[169:172], v1 offset:1088
	s_wait_loadcnt_dscnt 0x901
	v_mul_f64_e32 v[177:178], v[40:41], v[4:5]
	v_mul_f64_e32 v[4:5], v[38:39], v[4:5]
	s_wait_loadcnt_dscnt 0x800
	v_mul_f64_e32 v[179:180], v[169:170], v[8:9]
	v_mul_f64_e32 v[8:9], v[171:172], v[8:9]
	s_delay_alu instid0(VALU_DEP_4) | instskip(NEXT) | instid1(VALU_DEP_4)
	v_fma_f64 v[177:178], v[38:39], v[2:3], -v[177:178]
	v_fma_f64 v[181:182], v[40:41], v[2:3], v[4:5]
	ds_load_b128 v[2:5], v1 offset:1104
	scratch_load_b128 v[38:41], off, off offset:240
	v_fma_f64 v[179:180], v[171:172], v[6:7], v[179:180]
	v_fma_f64 v[185:186], v[169:170], v[6:7], -v[8:9]
	ds_load_b128 v[6:9], v1 offset:1120
	scratch_load_b128 v[169:172], off, off offset:256
	s_wait_loadcnt_dscnt 0x901
	v_mul_f64_e32 v[183:184], v[2:3], v[12:13]
	v_mul_f64_e32 v[12:13], v[4:5], v[12:13]
	s_wait_loadcnt_dscnt 0x800
	v_mul_f64_e32 v[187:188], v[6:7], v[16:17]
	v_mul_f64_e32 v[16:17], v[8:9], v[16:17]
	v_add_f64_e32 v[177:178], 0, v[177:178]
	v_add_f64_e32 v[181:182], 0, v[181:182]
	v_fma_f64 v[183:184], v[4:5], v[10:11], v[183:184]
	v_fma_f64 v[189:190], v[2:3], v[10:11], -v[12:13]
	ds_load_b128 v[2:5], v1 offset:1136
	scratch_load_b128 v[10:13], off, off offset:272
	v_add_f64_e32 v[177:178], v[177:178], v[185:186]
	v_add_f64_e32 v[179:180], v[181:182], v[179:180]
	v_fma_f64 v[185:186], v[8:9], v[14:15], v[187:188]
	v_fma_f64 v[187:188], v[6:7], v[14:15], -v[16:17]
	ds_load_b128 v[6:9], v1 offset:1152
	scratch_load_b128 v[14:17], off, off offset:288
	s_wait_loadcnt_dscnt 0x901
	v_mul_f64_e32 v[181:182], v[2:3], v[20:21]
	v_mul_f64_e32 v[20:21], v[4:5], v[20:21]
	v_add_f64_e32 v[177:178], v[177:178], v[189:190]
	v_add_f64_e32 v[179:180], v[179:180], v[183:184]
	s_wait_loadcnt_dscnt 0x800
	v_mul_f64_e32 v[183:184], v[6:7], v[24:25]
	v_mul_f64_e32 v[24:25], v[8:9], v[24:25]
	v_fma_f64 v[181:182], v[4:5], v[18:19], v[181:182]
	v_fma_f64 v[189:190], v[2:3], v[18:19], -v[20:21]
	ds_load_b128 v[2:5], v1 offset:1168
	scratch_load_b128 v[18:21], off, off offset:304
	v_add_f64_e32 v[177:178], v[177:178], v[187:188]
	v_add_f64_e32 v[179:180], v[179:180], v[185:186]
	v_fma_f64 v[183:184], v[8:9], v[22:23], v[183:184]
	v_fma_f64 v[187:188], v[6:7], v[22:23], -v[24:25]
	ds_load_b128 v[6:9], v1 offset:1184
	s_wait_loadcnt_dscnt 0x801
	v_mul_f64_e32 v[185:186], v[2:3], v[28:29]
	v_mul_f64_e32 v[28:29], v[4:5], v[28:29]
	scratch_load_b128 v[22:25], off, off offset:320
	v_add_f64_e32 v[177:178], v[177:178], v[189:190]
	v_add_f64_e32 v[179:180], v[179:180], v[181:182]
	s_wait_loadcnt_dscnt 0x800
	v_mul_f64_e32 v[181:182], v[6:7], v[32:33]
	v_mul_f64_e32 v[32:33], v[8:9], v[32:33]
	v_fma_f64 v[185:186], v[4:5], v[26:27], v[185:186]
	v_fma_f64 v[189:190], v[2:3], v[26:27], -v[28:29]
	ds_load_b128 v[2:5], v1 offset:1200
	scratch_load_b128 v[26:29], off, off offset:336
	v_add_f64_e32 v[177:178], v[177:178], v[187:188]
	v_add_f64_e32 v[179:180], v[179:180], v[183:184]
	v_fma_f64 v[181:182], v[8:9], v[30:31], v[181:182]
	v_fma_f64 v[187:188], v[6:7], v[30:31], -v[32:33]
	ds_load_b128 v[6:9], v1 offset:1216
	s_wait_loadcnt_dscnt 0x801
	v_mul_f64_e32 v[183:184], v[2:3], v[36:37]
	v_mul_f64_e32 v[36:37], v[4:5], v[36:37]
	scratch_load_b128 v[30:33], off, off offset:352
	v_add_f64_e32 v[177:178], v[177:178], v[189:190]
	v_add_f64_e32 v[179:180], v[179:180], v[185:186]
	s_wait_loadcnt_dscnt 0x800
	v_mul_f64_e32 v[185:186], v[6:7], v[175:176]
	v_mul_f64_e32 v[175:176], v[8:9], v[175:176]
	v_fma_f64 v[183:184], v[4:5], v[34:35], v[183:184]
	v_fma_f64 v[189:190], v[2:3], v[34:35], -v[36:37]
	ds_load_b128 v[2:5], v1 offset:1232
	scratch_load_b128 v[34:37], off, off offset:368
	v_add_f64_e32 v[177:178], v[177:178], v[187:188]
	v_add_f64_e32 v[179:180], v[179:180], v[181:182]
	v_fma_f64 v[185:186], v[8:9], v[173:174], v[185:186]
	v_fma_f64 v[187:188], v[6:7], v[173:174], -v[175:176]
	ds_load_b128 v[6:9], v1 offset:1248
	scratch_load_b128 v[173:176], off, off offset:384
	s_wait_loadcnt_dscnt 0x901
	v_mul_f64_e32 v[181:182], v[2:3], v[40:41]
	v_mul_f64_e32 v[40:41], v[4:5], v[40:41]
	v_add_f64_e32 v[177:178], v[177:178], v[189:190]
	v_add_f64_e32 v[179:180], v[179:180], v[183:184]
	s_wait_loadcnt_dscnt 0x800
	v_mul_f64_e32 v[183:184], v[6:7], v[171:172]
	v_mul_f64_e32 v[171:172], v[8:9], v[171:172]
	v_fma_f64 v[181:182], v[4:5], v[38:39], v[181:182]
	v_fma_f64 v[189:190], v[2:3], v[38:39], -v[40:41]
	ds_load_b128 v[2:5], v1 offset:1264
	scratch_load_b128 v[38:41], off, off offset:400
	v_add_f64_e32 v[177:178], v[177:178], v[187:188]
	v_add_f64_e32 v[179:180], v[179:180], v[185:186]
	v_fma_f64 v[183:184], v[8:9], v[169:170], v[183:184]
	v_fma_f64 v[187:188], v[6:7], v[169:170], -v[171:172]
	ds_load_b128 v[6:9], v1 offset:1280
	s_wait_loadcnt_dscnt 0x801
	v_mul_f64_e32 v[185:186], v[2:3], v[12:13]
	v_mul_f64_e32 v[12:13], v[4:5], v[12:13]
	scratch_load_b128 v[169:172], off, off offset:416
	v_add_f64_e32 v[177:178], v[177:178], v[189:190]
	v_add_f64_e32 v[179:180], v[179:180], v[181:182]
	s_wait_loadcnt_dscnt 0x800
	v_mul_f64_e32 v[181:182], v[6:7], v[16:17]
	v_mul_f64_e32 v[16:17], v[8:9], v[16:17]
	v_fma_f64 v[185:186], v[4:5], v[10:11], v[185:186]
	v_fma_f64 v[189:190], v[2:3], v[10:11], -v[12:13]
	ds_load_b128 v[2:5], v1 offset:1296
	scratch_load_b128 v[10:13], off, off offset:432
	v_add_f64_e32 v[177:178], v[177:178], v[187:188]
	v_add_f64_e32 v[179:180], v[179:180], v[183:184]
	v_fma_f64 v[181:182], v[8:9], v[14:15], v[181:182]
	v_fma_f64 v[187:188], v[6:7], v[14:15], -v[16:17]
	ds_load_b128 v[6:9], v1 offset:1312
	s_wait_loadcnt_dscnt 0x801
	v_mul_f64_e32 v[183:184], v[2:3], v[20:21]
	v_mul_f64_e32 v[20:21], v[4:5], v[20:21]
	scratch_load_b128 v[14:17], off, off offset:448
	;; [unrolled: 18-line block ×19, first 2 shown]
	v_add_f64_e32 v[177:178], v[177:178], v[189:190]
	v_add_f64_e32 v[179:180], v[179:180], v[181:182]
	s_wait_loadcnt_dscnt 0x800
	v_mul_f64_e32 v[181:182], v[6:7], v[175:176]
	v_mul_f64_e32 v[175:176], v[8:9], v[175:176]
	v_fma_f64 v[185:186], v[4:5], v[34:35], v[185:186]
	v_fma_f64 v[189:190], v[2:3], v[34:35], -v[36:37]
	ds_load_b128 v[2:5], v1 offset:1872
	scratch_load_b128 v[34:37], off, off offset:1008
	v_add_f64_e32 v[177:178], v[177:178], v[187:188]
	v_add_f64_e32 v[179:180], v[179:180], v[183:184]
	v_fma_f64 v[181:182], v[8:9], v[173:174], v[181:182]
	v_fma_f64 v[173:174], v[6:7], v[173:174], -v[175:176]
	ds_load_b128 v[6:9], v1 offset:1888
	s_wait_loadcnt_dscnt 0x801
	v_mul_f64_e32 v[183:184], v[2:3], v[40:41]
	v_mul_f64_e32 v[40:41], v[4:5], v[40:41]
	v_add_f64_e32 v[175:176], v[177:178], v[189:190]
	v_add_f64_e32 v[177:178], v[179:180], v[185:186]
	s_wait_loadcnt_dscnt 0x700
	v_mul_f64_e32 v[179:180], v[6:7], v[171:172]
	v_mul_f64_e32 v[171:172], v[8:9], v[171:172]
	v_fma_f64 v[183:184], v[4:5], v[38:39], v[183:184]
	v_fma_f64 v[38:39], v[2:3], v[38:39], -v[40:41]
	ds_load_b128 v[2:5], v1 offset:1904
	v_add_f64_e32 v[40:41], v[175:176], v[173:174]
	v_add_f64_e32 v[173:174], v[177:178], v[181:182]
	v_fma_f64 v[177:178], v[8:9], v[169:170], v[179:180]
	v_fma_f64 v[169:170], v[6:7], v[169:170], -v[171:172]
	ds_load_b128 v[6:9], v1 offset:1920
	s_wait_loadcnt_dscnt 0x500
	v_mul_f64_e32 v[179:180], v[6:7], v[16:17]
	v_mul_f64_e32 v[16:17], v[8:9], v[16:17]
	v_add_f64_e32 v[171:172], v[40:41], v[38:39]
	v_add_f64_e32 v[173:174], v[173:174], v[183:184]
	scratch_load_b128 v[38:41], off, off offset:64
	v_mul_f64_e32 v[175:176], v[2:3], v[12:13]
	v_mul_f64_e32 v[12:13], v[4:5], v[12:13]
	s_delay_alu instid0(VALU_DEP_2) | instskip(NEXT) | instid1(VALU_DEP_2)
	v_fma_f64 v[175:176], v[4:5], v[10:11], v[175:176]
	v_fma_f64 v[10:11], v[2:3], v[10:11], -v[12:13]
	v_add_f64_e32 v[12:13], v[171:172], v[169:170]
	v_add_f64_e32 v[169:170], v[173:174], v[177:178]
	ds_load_b128 v[2:5], v1 offset:1936
	v_fma_f64 v[173:174], v[8:9], v[14:15], v[179:180]
	v_fma_f64 v[14:15], v[6:7], v[14:15], -v[16:17]
	ds_load_b128 v[6:9], v1 offset:1952
	s_wait_loadcnt_dscnt 0x501
	v_mul_f64_e32 v[171:172], v[2:3], v[20:21]
	v_mul_f64_e32 v[20:21], v[4:5], v[20:21]
	s_wait_loadcnt_dscnt 0x400
	v_mul_f64_e32 v[16:17], v[6:7], v[24:25]
	v_mul_f64_e32 v[24:25], v[8:9], v[24:25]
	v_add_f64_e32 v[10:11], v[12:13], v[10:11]
	v_add_f64_e32 v[12:13], v[169:170], v[175:176]
	v_fma_f64 v[169:170], v[4:5], v[18:19], v[171:172]
	v_fma_f64 v[18:19], v[2:3], v[18:19], -v[20:21]
	ds_load_b128 v[2:5], v1 offset:1968
	v_fma_f64 v[16:17], v[8:9], v[22:23], v[16:17]
	v_fma_f64 v[22:23], v[6:7], v[22:23], -v[24:25]
	ds_load_b128 v[6:9], v1 offset:1984
	v_add_f64_e32 v[10:11], v[10:11], v[14:15]
	v_add_f64_e32 v[12:13], v[12:13], v[173:174]
	s_wait_loadcnt_dscnt 0x301
	v_mul_f64_e32 v[14:15], v[2:3], v[28:29]
	v_mul_f64_e32 v[20:21], v[4:5], v[28:29]
	s_wait_loadcnt_dscnt 0x200
	v_mul_f64_e32 v[24:25], v[8:9], v[32:33]
	v_add_f64_e32 v[10:11], v[10:11], v[18:19]
	v_add_f64_e32 v[12:13], v[12:13], v[169:170]
	v_mul_f64_e32 v[18:19], v[6:7], v[32:33]
	v_fma_f64 v[14:15], v[4:5], v[26:27], v[14:15]
	v_fma_f64 v[20:21], v[2:3], v[26:27], -v[20:21]
	ds_load_b128 v[2:5], v1 offset:2000
	v_fma_f64 v[6:7], v[6:7], v[30:31], -v[24:25]
	v_add_f64_e32 v[10:11], v[10:11], v[22:23]
	v_add_f64_e32 v[12:13], v[12:13], v[16:17]
	s_wait_loadcnt_dscnt 0x100
	v_mul_f64_e32 v[16:17], v[2:3], v[36:37]
	v_mul_f64_e32 v[22:23], v[4:5], v[36:37]
	v_fma_f64 v[8:9], v[8:9], v[30:31], v[18:19]
	v_add_f64_e32 v[10:11], v[10:11], v[20:21]
	v_add_f64_e32 v[12:13], v[12:13], v[14:15]
	v_fma_f64 v[4:5], v[4:5], v[34:35], v[16:17]
	v_fma_f64 v[2:3], v[2:3], v[34:35], -v[22:23]
	s_delay_alu instid0(VALU_DEP_4) | instskip(NEXT) | instid1(VALU_DEP_4)
	v_add_f64_e32 v[6:7], v[10:11], v[6:7]
	v_add_f64_e32 v[8:9], v[12:13], v[8:9]
	s_delay_alu instid0(VALU_DEP_2) | instskip(NEXT) | instid1(VALU_DEP_2)
	v_add_f64_e32 v[2:3], v[6:7], v[2:3]
	v_add_f64_e32 v[4:5], v[8:9], v[4:5]
	s_wait_loadcnt 0x0
	s_delay_alu instid0(VALU_DEP_2) | instskip(NEXT) | instid1(VALU_DEP_2)
	v_add_f64_e64 v[2:3], v[38:39], -v[2:3]
	v_add_f64_e64 v[4:5], v[40:41], -v[4:5]
	scratch_store_b128 off, v[2:5], off offset:64
	v_cmpx_lt_u32_e32 2, v0
	s_cbranch_execz .LBB62_399
; %bb.398:
	scratch_load_b128 v[5:8], off, s58
	v_dual_mov_b32 v2, v1 :: v_dual_mov_b32 v3, v1
	v_mov_b32_e32 v4, v1
	scratch_store_b128 off, v[1:4], off offset:48
	s_wait_loadcnt 0x0
	ds_store_b128 v168, v[5:8]
.LBB62_399:
	s_wait_alu 0xfffe
	s_or_b32 exec_lo, exec_lo, s0
	s_wait_storecnt_dscnt 0x0
	s_barrier_signal -1
	s_barrier_wait -1
	global_inv scope:SCOPE_SE
	s_clause 0x7
	scratch_load_b128 v[2:5], off, off offset:64
	scratch_load_b128 v[6:9], off, off offset:80
	;; [unrolled: 1-line block ×8, first 2 shown]
	ds_load_b128 v[38:41], v1 offset:1056
	ds_load_b128 v[169:172], v1 offset:1072
	s_clause 0x1
	scratch_load_b128 v[34:37], off, off offset:192
	scratch_load_b128 v[173:176], off, off offset:208
	s_mov_b32 s0, exec_lo
	s_wait_loadcnt_dscnt 0x901
	v_mul_f64_e32 v[177:178], v[40:41], v[4:5]
	v_mul_f64_e32 v[4:5], v[38:39], v[4:5]
	s_wait_loadcnt_dscnt 0x800
	v_mul_f64_e32 v[179:180], v[169:170], v[8:9]
	v_mul_f64_e32 v[8:9], v[171:172], v[8:9]
	s_delay_alu instid0(VALU_DEP_4) | instskip(NEXT) | instid1(VALU_DEP_4)
	v_fma_f64 v[177:178], v[38:39], v[2:3], -v[177:178]
	v_fma_f64 v[181:182], v[40:41], v[2:3], v[4:5]
	ds_load_b128 v[2:5], v1 offset:1088
	scratch_load_b128 v[38:41], off, off offset:224
	v_fma_f64 v[179:180], v[171:172], v[6:7], v[179:180]
	v_fma_f64 v[185:186], v[169:170], v[6:7], -v[8:9]
	ds_load_b128 v[6:9], v1 offset:1104
	scratch_load_b128 v[169:172], off, off offset:240
	s_wait_loadcnt_dscnt 0x901
	v_mul_f64_e32 v[183:184], v[2:3], v[12:13]
	v_mul_f64_e32 v[12:13], v[4:5], v[12:13]
	s_wait_loadcnt_dscnt 0x800
	v_mul_f64_e32 v[187:188], v[6:7], v[16:17]
	v_mul_f64_e32 v[16:17], v[8:9], v[16:17]
	v_add_f64_e32 v[177:178], 0, v[177:178]
	v_add_f64_e32 v[181:182], 0, v[181:182]
	v_fma_f64 v[183:184], v[4:5], v[10:11], v[183:184]
	v_fma_f64 v[189:190], v[2:3], v[10:11], -v[12:13]
	ds_load_b128 v[2:5], v1 offset:1120
	scratch_load_b128 v[10:13], off, off offset:256
	v_add_f64_e32 v[177:178], v[177:178], v[185:186]
	v_add_f64_e32 v[179:180], v[181:182], v[179:180]
	v_fma_f64 v[185:186], v[8:9], v[14:15], v[187:188]
	v_fma_f64 v[187:188], v[6:7], v[14:15], -v[16:17]
	ds_load_b128 v[6:9], v1 offset:1136
	scratch_load_b128 v[14:17], off, off offset:272
	s_wait_loadcnt_dscnt 0x901
	v_mul_f64_e32 v[181:182], v[2:3], v[20:21]
	v_mul_f64_e32 v[20:21], v[4:5], v[20:21]
	v_add_f64_e32 v[177:178], v[177:178], v[189:190]
	v_add_f64_e32 v[179:180], v[179:180], v[183:184]
	s_wait_loadcnt_dscnt 0x800
	v_mul_f64_e32 v[183:184], v[6:7], v[24:25]
	v_mul_f64_e32 v[24:25], v[8:9], v[24:25]
	v_fma_f64 v[181:182], v[4:5], v[18:19], v[181:182]
	v_fma_f64 v[189:190], v[2:3], v[18:19], -v[20:21]
	ds_load_b128 v[2:5], v1 offset:1152
	scratch_load_b128 v[18:21], off, off offset:288
	v_add_f64_e32 v[177:178], v[177:178], v[187:188]
	v_add_f64_e32 v[179:180], v[179:180], v[185:186]
	v_fma_f64 v[183:184], v[8:9], v[22:23], v[183:184]
	v_fma_f64 v[187:188], v[6:7], v[22:23], -v[24:25]
	ds_load_b128 v[6:9], v1 offset:1168
	s_wait_loadcnt_dscnt 0x801
	v_mul_f64_e32 v[185:186], v[2:3], v[28:29]
	v_mul_f64_e32 v[28:29], v[4:5], v[28:29]
	scratch_load_b128 v[22:25], off, off offset:304
	v_add_f64_e32 v[177:178], v[177:178], v[189:190]
	v_add_f64_e32 v[179:180], v[179:180], v[181:182]
	s_wait_loadcnt_dscnt 0x800
	v_mul_f64_e32 v[181:182], v[6:7], v[32:33]
	v_mul_f64_e32 v[32:33], v[8:9], v[32:33]
	v_fma_f64 v[185:186], v[4:5], v[26:27], v[185:186]
	v_fma_f64 v[189:190], v[2:3], v[26:27], -v[28:29]
	ds_load_b128 v[2:5], v1 offset:1184
	scratch_load_b128 v[26:29], off, off offset:320
	v_add_f64_e32 v[177:178], v[177:178], v[187:188]
	v_add_f64_e32 v[179:180], v[179:180], v[183:184]
	v_fma_f64 v[181:182], v[8:9], v[30:31], v[181:182]
	v_fma_f64 v[187:188], v[6:7], v[30:31], -v[32:33]
	ds_load_b128 v[6:9], v1 offset:1200
	s_wait_loadcnt_dscnt 0x801
	v_mul_f64_e32 v[183:184], v[2:3], v[36:37]
	v_mul_f64_e32 v[36:37], v[4:5], v[36:37]
	scratch_load_b128 v[30:33], off, off offset:336
	v_add_f64_e32 v[177:178], v[177:178], v[189:190]
	v_add_f64_e32 v[179:180], v[179:180], v[185:186]
	s_wait_loadcnt_dscnt 0x800
	v_mul_f64_e32 v[185:186], v[6:7], v[175:176]
	v_mul_f64_e32 v[175:176], v[8:9], v[175:176]
	v_fma_f64 v[183:184], v[4:5], v[34:35], v[183:184]
	v_fma_f64 v[189:190], v[2:3], v[34:35], -v[36:37]
	ds_load_b128 v[2:5], v1 offset:1216
	scratch_load_b128 v[34:37], off, off offset:352
	v_add_f64_e32 v[177:178], v[177:178], v[187:188]
	v_add_f64_e32 v[179:180], v[179:180], v[181:182]
	v_fma_f64 v[185:186], v[8:9], v[173:174], v[185:186]
	v_fma_f64 v[187:188], v[6:7], v[173:174], -v[175:176]
	ds_load_b128 v[6:9], v1 offset:1232
	scratch_load_b128 v[173:176], off, off offset:368
	s_wait_loadcnt_dscnt 0x901
	v_mul_f64_e32 v[181:182], v[2:3], v[40:41]
	v_mul_f64_e32 v[40:41], v[4:5], v[40:41]
	v_add_f64_e32 v[177:178], v[177:178], v[189:190]
	v_add_f64_e32 v[179:180], v[179:180], v[183:184]
	s_wait_loadcnt_dscnt 0x800
	v_mul_f64_e32 v[183:184], v[6:7], v[171:172]
	v_mul_f64_e32 v[171:172], v[8:9], v[171:172]
	v_fma_f64 v[181:182], v[4:5], v[38:39], v[181:182]
	v_fma_f64 v[189:190], v[2:3], v[38:39], -v[40:41]
	ds_load_b128 v[2:5], v1 offset:1248
	scratch_load_b128 v[38:41], off, off offset:384
	v_add_f64_e32 v[177:178], v[177:178], v[187:188]
	v_add_f64_e32 v[179:180], v[179:180], v[185:186]
	v_fma_f64 v[183:184], v[8:9], v[169:170], v[183:184]
	v_fma_f64 v[187:188], v[6:7], v[169:170], -v[171:172]
	ds_load_b128 v[6:9], v1 offset:1264
	s_wait_loadcnt_dscnt 0x801
	v_mul_f64_e32 v[185:186], v[2:3], v[12:13]
	v_mul_f64_e32 v[12:13], v[4:5], v[12:13]
	scratch_load_b128 v[169:172], off, off offset:400
	v_add_f64_e32 v[177:178], v[177:178], v[189:190]
	v_add_f64_e32 v[179:180], v[179:180], v[181:182]
	s_wait_loadcnt_dscnt 0x800
	v_mul_f64_e32 v[181:182], v[6:7], v[16:17]
	v_mul_f64_e32 v[16:17], v[8:9], v[16:17]
	v_fma_f64 v[185:186], v[4:5], v[10:11], v[185:186]
	v_fma_f64 v[189:190], v[2:3], v[10:11], -v[12:13]
	ds_load_b128 v[2:5], v1 offset:1280
	scratch_load_b128 v[10:13], off, off offset:416
	v_add_f64_e32 v[177:178], v[177:178], v[187:188]
	v_add_f64_e32 v[179:180], v[179:180], v[183:184]
	v_fma_f64 v[181:182], v[8:9], v[14:15], v[181:182]
	v_fma_f64 v[187:188], v[6:7], v[14:15], -v[16:17]
	ds_load_b128 v[6:9], v1 offset:1296
	s_wait_loadcnt_dscnt 0x801
	v_mul_f64_e32 v[183:184], v[2:3], v[20:21]
	v_mul_f64_e32 v[20:21], v[4:5], v[20:21]
	scratch_load_b128 v[14:17], off, off offset:432
	;; [unrolled: 18-line block ×11, first 2 shown]
	v_add_f64_e32 v[177:178], v[177:178], v[189:190]
	v_add_f64_e32 v[179:180], v[179:180], v[185:186]
	s_wait_loadcnt_dscnt 0x800
	v_mul_f64_e32 v[185:186], v[6:7], v[16:17]
	v_mul_f64_e32 v[16:17], v[8:9], v[16:17]
	v_fma_f64 v[183:184], v[4:5], v[10:11], v[183:184]
	v_fma_f64 v[189:190], v[2:3], v[10:11], -v[12:13]
	scratch_load_b128 v[10:13], off, off offset:736
	ds_load_b128 v[2:5], v1 offset:1600
	v_add_f64_e32 v[177:178], v[177:178], v[187:188]
	v_add_f64_e32 v[179:180], v[179:180], v[181:182]
	v_fma_f64 v[185:186], v[8:9], v[14:15], v[185:186]
	v_fma_f64 v[187:188], v[6:7], v[14:15], -v[16:17]
	ds_load_b128 v[6:9], v1 offset:1616
	s_wait_loadcnt_dscnt 0x801
	v_mul_f64_e32 v[181:182], v[2:3], v[20:21]
	v_mul_f64_e32 v[20:21], v[4:5], v[20:21]
	scratch_load_b128 v[14:17], off, off offset:752
	v_add_f64_e32 v[177:178], v[177:178], v[189:190]
	v_add_f64_e32 v[179:180], v[179:180], v[183:184]
	s_wait_loadcnt_dscnt 0x800
	v_mul_f64_e32 v[183:184], v[6:7], v[24:25]
	v_mul_f64_e32 v[24:25], v[8:9], v[24:25]
	v_fma_f64 v[181:182], v[4:5], v[18:19], v[181:182]
	v_fma_f64 v[189:190], v[2:3], v[18:19], -v[20:21]
	ds_load_b128 v[2:5], v1 offset:1632
	scratch_load_b128 v[18:21], off, off offset:768
	v_add_f64_e32 v[177:178], v[177:178], v[187:188]
	v_add_f64_e32 v[179:180], v[179:180], v[185:186]
	v_fma_f64 v[183:184], v[8:9], v[22:23], v[183:184]
	v_fma_f64 v[187:188], v[6:7], v[22:23], -v[24:25]
	ds_load_b128 v[6:9], v1 offset:1648
	s_wait_loadcnt_dscnt 0x801
	v_mul_f64_e32 v[185:186], v[2:3], v[28:29]
	v_mul_f64_e32 v[28:29], v[4:5], v[28:29]
	scratch_load_b128 v[22:25], off, off offset:784
	v_add_f64_e32 v[177:178], v[177:178], v[189:190]
	v_add_f64_e32 v[179:180], v[179:180], v[181:182]
	s_wait_loadcnt_dscnt 0x800
	v_mul_f64_e32 v[181:182], v[6:7], v[32:33]
	v_mul_f64_e32 v[32:33], v[8:9], v[32:33]
	v_fma_f64 v[185:186], v[4:5], v[26:27], v[185:186]
	v_fma_f64 v[189:190], v[2:3], v[26:27], -v[28:29]
	ds_load_b128 v[2:5], v1 offset:1664
	scratch_load_b128 v[26:29], off, off offset:800
	;; [unrolled: 18-line block ×4, first 2 shown]
	v_add_f64_e32 v[177:178], v[177:178], v[187:188]
	v_add_f64_e32 v[179:180], v[179:180], v[185:186]
	v_fma_f64 v[183:184], v[8:9], v[169:170], v[183:184]
	v_fma_f64 v[187:188], v[6:7], v[169:170], -v[171:172]
	ds_load_b128 v[6:9], v1 offset:1744
	s_wait_loadcnt_dscnt 0x801
	v_mul_f64_e32 v[185:186], v[2:3], v[12:13]
	v_mul_f64_e32 v[12:13], v[4:5], v[12:13]
	scratch_load_b128 v[169:172], off, off offset:880
	v_add_f64_e32 v[177:178], v[177:178], v[189:190]
	v_add_f64_e32 v[179:180], v[179:180], v[181:182]
	s_wait_loadcnt_dscnt 0x800
	v_mul_f64_e32 v[181:182], v[6:7], v[16:17]
	v_mul_f64_e32 v[16:17], v[8:9], v[16:17]
	v_fma_f64 v[185:186], v[4:5], v[10:11], v[185:186]
	v_fma_f64 v[189:190], v[2:3], v[10:11], -v[12:13]
	scratch_load_b128 v[10:13], off, off offset:896
	ds_load_b128 v[2:5], v1 offset:1760
	v_add_f64_e32 v[177:178], v[177:178], v[187:188]
	v_add_f64_e32 v[179:180], v[179:180], v[183:184]
	v_fma_f64 v[181:182], v[8:9], v[14:15], v[181:182]
	v_fma_f64 v[187:188], v[6:7], v[14:15], -v[16:17]
	ds_load_b128 v[6:9], v1 offset:1776
	s_wait_loadcnt_dscnt 0x801
	v_mul_f64_e32 v[183:184], v[2:3], v[20:21]
	v_mul_f64_e32 v[20:21], v[4:5], v[20:21]
	scratch_load_b128 v[14:17], off, off offset:912
	v_add_f64_e32 v[177:178], v[177:178], v[189:190]
	v_add_f64_e32 v[179:180], v[179:180], v[185:186]
	s_wait_loadcnt_dscnt 0x800
	v_mul_f64_e32 v[185:186], v[6:7], v[24:25]
	v_mul_f64_e32 v[24:25], v[8:9], v[24:25]
	v_fma_f64 v[183:184], v[4:5], v[18:19], v[183:184]
	v_fma_f64 v[189:190], v[2:3], v[18:19], -v[20:21]
	ds_load_b128 v[2:5], v1 offset:1792
	scratch_load_b128 v[18:21], off, off offset:928
	v_add_f64_e32 v[177:178], v[177:178], v[187:188]
	v_add_f64_e32 v[179:180], v[179:180], v[181:182]
	v_fma_f64 v[185:186], v[8:9], v[22:23], v[185:186]
	v_fma_f64 v[187:188], v[6:7], v[22:23], -v[24:25]
	ds_load_b128 v[6:9], v1 offset:1808
	s_wait_loadcnt_dscnt 0x801
	v_mul_f64_e32 v[181:182], v[2:3], v[28:29]
	v_mul_f64_e32 v[28:29], v[4:5], v[28:29]
	scratch_load_b128 v[22:25], off, off offset:944
	v_add_f64_e32 v[177:178], v[177:178], v[189:190]
	v_add_f64_e32 v[179:180], v[179:180], v[183:184]
	s_wait_loadcnt_dscnt 0x800
	v_mul_f64_e32 v[183:184], v[6:7], v[32:33]
	v_mul_f64_e32 v[32:33], v[8:9], v[32:33]
	v_fma_f64 v[181:182], v[4:5], v[26:27], v[181:182]
	v_fma_f64 v[189:190], v[2:3], v[26:27], -v[28:29]
	ds_load_b128 v[2:5], v1 offset:1824
	scratch_load_b128 v[26:29], off, off offset:960
	;; [unrolled: 18-line block ×3, first 2 shown]
	v_add_f64_e32 v[177:178], v[177:178], v[187:188]
	v_add_f64_e32 v[179:180], v[179:180], v[183:184]
	v_fma_f64 v[181:182], v[8:9], v[173:174], v[181:182]
	v_fma_f64 v[187:188], v[6:7], v[173:174], -v[175:176]
	ds_load_b128 v[6:9], v1 offset:1872
	s_wait_loadcnt_dscnt 0x801
	v_mul_f64_e32 v[183:184], v[2:3], v[40:41]
	v_mul_f64_e32 v[40:41], v[4:5], v[40:41]
	scratch_load_b128 v[173:176], off, off offset:1008
	v_add_f64_e32 v[177:178], v[177:178], v[189:190]
	v_add_f64_e32 v[179:180], v[179:180], v[185:186]
	v_fma_f64 v[183:184], v[4:5], v[38:39], v[183:184]
	v_fma_f64 v[38:39], v[2:3], v[38:39], -v[40:41]
	ds_load_b128 v[2:5], v1 offset:1888
	v_add_f64_e32 v[40:41], v[177:178], v[187:188]
	v_add_f64_e32 v[177:178], v[179:180], v[181:182]
	s_wait_loadcnt_dscnt 0x700
	v_mul_f64_e32 v[179:180], v[2:3], v[12:13]
	v_mul_f64_e32 v[12:13], v[4:5], v[12:13]
	s_delay_alu instid0(VALU_DEP_4) | instskip(NEXT) | instid1(VALU_DEP_4)
	v_add_f64_e32 v[38:39], v[40:41], v[38:39]
	v_add_f64_e32 v[40:41], v[177:178], v[183:184]
	s_delay_alu instid0(VALU_DEP_4) | instskip(NEXT) | instid1(VALU_DEP_4)
	v_fma_f64 v[177:178], v[4:5], v[10:11], v[179:180]
	v_fma_f64 v[179:180], v[2:3], v[10:11], -v[12:13]
	scratch_load_b128 v[10:13], off, off offset:48
	v_mul_f64_e32 v[185:186], v[6:7], v[171:172]
	v_mul_f64_e32 v[171:172], v[8:9], v[171:172]
	ds_load_b128 v[2:5], v1 offset:1920
	v_fma_f64 v[181:182], v[8:9], v[169:170], v[185:186]
	v_fma_f64 v[169:170], v[6:7], v[169:170], -v[171:172]
	ds_load_b128 v[6:9], v1 offset:1904
	s_wait_loadcnt_dscnt 0x700
	v_mul_f64_e32 v[171:172], v[6:7], v[16:17]
	v_mul_f64_e32 v[16:17], v[8:9], v[16:17]
	v_add_f64_e32 v[40:41], v[40:41], v[181:182]
	v_add_f64_e32 v[38:39], v[38:39], v[169:170]
	s_wait_loadcnt 0x6
	v_mul_f64_e32 v[169:170], v[2:3], v[20:21]
	v_mul_f64_e32 v[20:21], v[4:5], v[20:21]
	v_fma_f64 v[171:172], v[8:9], v[14:15], v[171:172]
	v_fma_f64 v[14:15], v[6:7], v[14:15], -v[16:17]
	ds_load_b128 v[6:9], v1 offset:1936
	v_add_f64_e32 v[16:17], v[38:39], v[179:180]
	v_add_f64_e32 v[38:39], v[40:41], v[177:178]
	v_fma_f64 v[169:170], v[4:5], v[18:19], v[169:170]
	v_fma_f64 v[18:19], v[2:3], v[18:19], -v[20:21]
	ds_load_b128 v[2:5], v1 offset:1952
	s_wait_loadcnt_dscnt 0x501
	v_mul_f64_e32 v[40:41], v[6:7], v[24:25]
	v_mul_f64_e32 v[24:25], v[8:9], v[24:25]
	s_wait_loadcnt_dscnt 0x400
	v_mul_f64_e32 v[20:21], v[2:3], v[28:29]
	v_mul_f64_e32 v[28:29], v[4:5], v[28:29]
	v_add_f64_e32 v[14:15], v[16:17], v[14:15]
	v_add_f64_e32 v[16:17], v[38:39], v[171:172]
	v_fma_f64 v[38:39], v[8:9], v[22:23], v[40:41]
	v_fma_f64 v[22:23], v[6:7], v[22:23], -v[24:25]
	ds_load_b128 v[6:9], v1 offset:1968
	v_fma_f64 v[20:21], v[4:5], v[26:27], v[20:21]
	v_fma_f64 v[26:27], v[2:3], v[26:27], -v[28:29]
	ds_load_b128 v[2:5], v1 offset:1984
	s_wait_loadcnt_dscnt 0x301
	v_mul_f64_e32 v[24:25], v[8:9], v[32:33]
	v_add_f64_e32 v[14:15], v[14:15], v[18:19]
	v_add_f64_e32 v[16:17], v[16:17], v[169:170]
	v_mul_f64_e32 v[18:19], v[6:7], v[32:33]
	s_wait_loadcnt_dscnt 0x200
	v_mul_f64_e32 v[28:29], v[4:5], v[36:37]
	v_fma_f64 v[24:25], v[6:7], v[30:31], -v[24:25]
	v_add_f64_e32 v[14:15], v[14:15], v[22:23]
	v_add_f64_e32 v[16:17], v[16:17], v[38:39]
	v_mul_f64_e32 v[22:23], v[2:3], v[36:37]
	v_fma_f64 v[18:19], v[8:9], v[30:31], v[18:19]
	ds_load_b128 v[6:9], v1 offset:2000
	v_fma_f64 v[1:2], v[2:3], v[34:35], -v[28:29]
	v_add_f64_e32 v[14:15], v[14:15], v[26:27]
	v_add_f64_e32 v[16:17], v[16:17], v[20:21]
	s_wait_loadcnt_dscnt 0x100
	v_mul_f64_e32 v[20:21], v[6:7], v[175:176]
	v_mul_f64_e32 v[26:27], v[8:9], v[175:176]
	v_fma_f64 v[4:5], v[4:5], v[34:35], v[22:23]
	v_add_f64_e32 v[14:15], v[14:15], v[24:25]
	v_add_f64_e32 v[16:17], v[16:17], v[18:19]
	v_fma_f64 v[8:9], v[8:9], v[173:174], v[20:21]
	v_fma_f64 v[6:7], v[6:7], v[173:174], -v[26:27]
	s_delay_alu instid0(VALU_DEP_4) | instskip(NEXT) | instid1(VALU_DEP_4)
	v_add_f64_e32 v[1:2], v[14:15], v[1:2]
	v_add_f64_e32 v[3:4], v[16:17], v[4:5]
	s_delay_alu instid0(VALU_DEP_2) | instskip(NEXT) | instid1(VALU_DEP_2)
	v_add_f64_e32 v[1:2], v[1:2], v[6:7]
	v_add_f64_e32 v[3:4], v[3:4], v[8:9]
	s_wait_loadcnt 0x0
	s_delay_alu instid0(VALU_DEP_2) | instskip(NEXT) | instid1(VALU_DEP_2)
	v_add_f64_e64 v[1:2], v[10:11], -v[1:2]
	v_add_f64_e64 v[3:4], v[12:13], -v[3:4]
	scratch_store_b128 off, v[1:4], off offset:48
	v_cmpx_lt_u32_e32 1, v0
	s_cbranch_execz .LBB62_401
; %bb.400:
	scratch_load_b128 v[1:4], off, s59
	v_mov_b32_e32 v5, 0
	s_delay_alu instid0(VALU_DEP_1)
	v_dual_mov_b32 v6, v5 :: v_dual_mov_b32 v7, v5
	v_mov_b32_e32 v8, v5
	scratch_store_b128 off, v[5:8], off offset:32
	s_wait_loadcnt 0x0
	ds_store_b128 v168, v[1:4]
.LBB62_401:
	s_wait_alu 0xfffe
	s_or_b32 exec_lo, exec_lo, s0
	s_wait_storecnt_dscnt 0x0
	s_barrier_signal -1
	s_barrier_wait -1
	global_inv scope:SCOPE_SE
	s_clause 0x7
	scratch_load_b128 v[2:5], off, off offset:48
	scratch_load_b128 v[6:9], off, off offset:64
	;; [unrolled: 1-line block ×8, first 2 shown]
	v_mov_b32_e32 v1, 0
	s_clause 0x1
	scratch_load_b128 v[34:37], off, off offset:176
	scratch_load_b128 v[173:176], off, off offset:192
	s_mov_b32 s0, exec_lo
	ds_load_b128 v[38:41], v1 offset:1040
	ds_load_b128 v[169:172], v1 offset:1056
	s_wait_loadcnt_dscnt 0x901
	v_mul_f64_e32 v[177:178], v[40:41], v[4:5]
	v_mul_f64_e32 v[4:5], v[38:39], v[4:5]
	s_wait_loadcnt_dscnt 0x800
	v_mul_f64_e32 v[179:180], v[169:170], v[8:9]
	v_mul_f64_e32 v[8:9], v[171:172], v[8:9]
	s_delay_alu instid0(VALU_DEP_4) | instskip(NEXT) | instid1(VALU_DEP_4)
	v_fma_f64 v[177:178], v[38:39], v[2:3], -v[177:178]
	v_fma_f64 v[181:182], v[40:41], v[2:3], v[4:5]
	ds_load_b128 v[2:5], v1 offset:1072
	scratch_load_b128 v[38:41], off, off offset:208
	v_fma_f64 v[179:180], v[171:172], v[6:7], v[179:180]
	v_fma_f64 v[185:186], v[169:170], v[6:7], -v[8:9]
	ds_load_b128 v[6:9], v1 offset:1088
	scratch_load_b128 v[169:172], off, off offset:224
	s_wait_loadcnt_dscnt 0x901
	v_mul_f64_e32 v[183:184], v[2:3], v[12:13]
	v_mul_f64_e32 v[12:13], v[4:5], v[12:13]
	s_wait_loadcnt_dscnt 0x800
	v_mul_f64_e32 v[187:188], v[6:7], v[16:17]
	v_mul_f64_e32 v[16:17], v[8:9], v[16:17]
	v_add_f64_e32 v[177:178], 0, v[177:178]
	v_add_f64_e32 v[181:182], 0, v[181:182]
	v_fma_f64 v[183:184], v[4:5], v[10:11], v[183:184]
	v_fma_f64 v[189:190], v[2:3], v[10:11], -v[12:13]
	ds_load_b128 v[2:5], v1 offset:1104
	scratch_load_b128 v[10:13], off, off offset:240
	v_add_f64_e32 v[177:178], v[177:178], v[185:186]
	v_add_f64_e32 v[179:180], v[181:182], v[179:180]
	v_fma_f64 v[185:186], v[8:9], v[14:15], v[187:188]
	v_fma_f64 v[187:188], v[6:7], v[14:15], -v[16:17]
	ds_load_b128 v[6:9], v1 offset:1120
	scratch_load_b128 v[14:17], off, off offset:256
	s_wait_loadcnt_dscnt 0x901
	v_mul_f64_e32 v[181:182], v[2:3], v[20:21]
	v_mul_f64_e32 v[20:21], v[4:5], v[20:21]
	v_add_f64_e32 v[177:178], v[177:178], v[189:190]
	v_add_f64_e32 v[179:180], v[179:180], v[183:184]
	s_wait_loadcnt_dscnt 0x800
	v_mul_f64_e32 v[183:184], v[6:7], v[24:25]
	v_mul_f64_e32 v[24:25], v[8:9], v[24:25]
	v_fma_f64 v[181:182], v[4:5], v[18:19], v[181:182]
	v_fma_f64 v[189:190], v[2:3], v[18:19], -v[20:21]
	ds_load_b128 v[2:5], v1 offset:1136
	scratch_load_b128 v[18:21], off, off offset:272
	v_add_f64_e32 v[177:178], v[177:178], v[187:188]
	v_add_f64_e32 v[179:180], v[179:180], v[185:186]
	v_fma_f64 v[183:184], v[8:9], v[22:23], v[183:184]
	v_fma_f64 v[187:188], v[6:7], v[22:23], -v[24:25]
	ds_load_b128 v[6:9], v1 offset:1152
	s_wait_loadcnt_dscnt 0x801
	v_mul_f64_e32 v[185:186], v[2:3], v[28:29]
	v_mul_f64_e32 v[28:29], v[4:5], v[28:29]
	scratch_load_b128 v[22:25], off, off offset:288
	v_add_f64_e32 v[177:178], v[177:178], v[189:190]
	v_add_f64_e32 v[179:180], v[179:180], v[181:182]
	s_wait_loadcnt_dscnt 0x800
	v_mul_f64_e32 v[181:182], v[6:7], v[32:33]
	v_mul_f64_e32 v[32:33], v[8:9], v[32:33]
	v_fma_f64 v[185:186], v[4:5], v[26:27], v[185:186]
	v_fma_f64 v[189:190], v[2:3], v[26:27], -v[28:29]
	ds_load_b128 v[2:5], v1 offset:1168
	scratch_load_b128 v[26:29], off, off offset:304
	v_add_f64_e32 v[177:178], v[177:178], v[187:188]
	v_add_f64_e32 v[179:180], v[179:180], v[183:184]
	v_fma_f64 v[181:182], v[8:9], v[30:31], v[181:182]
	v_fma_f64 v[187:188], v[6:7], v[30:31], -v[32:33]
	ds_load_b128 v[6:9], v1 offset:1184
	s_wait_loadcnt_dscnt 0x801
	v_mul_f64_e32 v[183:184], v[2:3], v[36:37]
	v_mul_f64_e32 v[36:37], v[4:5], v[36:37]
	scratch_load_b128 v[30:33], off, off offset:320
	v_add_f64_e32 v[177:178], v[177:178], v[189:190]
	v_add_f64_e32 v[179:180], v[179:180], v[185:186]
	s_wait_loadcnt_dscnt 0x800
	v_mul_f64_e32 v[185:186], v[6:7], v[175:176]
	v_mul_f64_e32 v[175:176], v[8:9], v[175:176]
	v_fma_f64 v[183:184], v[4:5], v[34:35], v[183:184]
	v_fma_f64 v[189:190], v[2:3], v[34:35], -v[36:37]
	ds_load_b128 v[2:5], v1 offset:1200
	scratch_load_b128 v[34:37], off, off offset:336
	v_add_f64_e32 v[177:178], v[177:178], v[187:188]
	v_add_f64_e32 v[179:180], v[179:180], v[181:182]
	v_fma_f64 v[185:186], v[8:9], v[173:174], v[185:186]
	v_fma_f64 v[187:188], v[6:7], v[173:174], -v[175:176]
	ds_load_b128 v[6:9], v1 offset:1216
	scratch_load_b128 v[173:176], off, off offset:352
	s_wait_loadcnt_dscnt 0x901
	v_mul_f64_e32 v[181:182], v[2:3], v[40:41]
	v_mul_f64_e32 v[40:41], v[4:5], v[40:41]
	v_add_f64_e32 v[177:178], v[177:178], v[189:190]
	v_add_f64_e32 v[179:180], v[179:180], v[183:184]
	s_wait_loadcnt_dscnt 0x800
	v_mul_f64_e32 v[183:184], v[6:7], v[171:172]
	v_mul_f64_e32 v[171:172], v[8:9], v[171:172]
	v_fma_f64 v[181:182], v[4:5], v[38:39], v[181:182]
	v_fma_f64 v[189:190], v[2:3], v[38:39], -v[40:41]
	ds_load_b128 v[2:5], v1 offset:1232
	scratch_load_b128 v[38:41], off, off offset:368
	v_add_f64_e32 v[177:178], v[177:178], v[187:188]
	v_add_f64_e32 v[179:180], v[179:180], v[185:186]
	v_fma_f64 v[183:184], v[8:9], v[169:170], v[183:184]
	v_fma_f64 v[187:188], v[6:7], v[169:170], -v[171:172]
	ds_load_b128 v[6:9], v1 offset:1248
	s_wait_loadcnt_dscnt 0x801
	v_mul_f64_e32 v[185:186], v[2:3], v[12:13]
	v_mul_f64_e32 v[12:13], v[4:5], v[12:13]
	scratch_load_b128 v[169:172], off, off offset:384
	v_add_f64_e32 v[177:178], v[177:178], v[189:190]
	v_add_f64_e32 v[179:180], v[179:180], v[181:182]
	s_wait_loadcnt_dscnt 0x800
	v_mul_f64_e32 v[181:182], v[6:7], v[16:17]
	v_mul_f64_e32 v[16:17], v[8:9], v[16:17]
	v_fma_f64 v[185:186], v[4:5], v[10:11], v[185:186]
	v_fma_f64 v[189:190], v[2:3], v[10:11], -v[12:13]
	ds_load_b128 v[2:5], v1 offset:1264
	scratch_load_b128 v[10:13], off, off offset:400
	v_add_f64_e32 v[177:178], v[177:178], v[187:188]
	v_add_f64_e32 v[179:180], v[179:180], v[183:184]
	v_fma_f64 v[181:182], v[8:9], v[14:15], v[181:182]
	v_fma_f64 v[187:188], v[6:7], v[14:15], -v[16:17]
	ds_load_b128 v[6:9], v1 offset:1280
	s_wait_loadcnt_dscnt 0x801
	v_mul_f64_e32 v[183:184], v[2:3], v[20:21]
	v_mul_f64_e32 v[20:21], v[4:5], v[20:21]
	scratch_load_b128 v[14:17], off, off offset:416
	;; [unrolled: 18-line block ×20, first 2 shown]
	v_add_f64_e32 v[177:178], v[177:178], v[189:190]
	v_add_f64_e32 v[179:180], v[179:180], v[185:186]
	s_wait_loadcnt_dscnt 0x800
	v_mul_f64_e32 v[185:186], v[6:7], v[171:172]
	v_mul_f64_e32 v[171:172], v[8:9], v[171:172]
	v_fma_f64 v[183:184], v[4:5], v[38:39], v[183:184]
	v_fma_f64 v[189:190], v[2:3], v[38:39], -v[40:41]
	ds_load_b128 v[2:5], v1 offset:1872
	scratch_load_b128 v[38:41], off, off offset:1008
	v_add_f64_e32 v[177:178], v[177:178], v[187:188]
	v_add_f64_e32 v[179:180], v[179:180], v[181:182]
	v_fma_f64 v[185:186], v[8:9], v[169:170], v[185:186]
	v_fma_f64 v[169:170], v[6:7], v[169:170], -v[171:172]
	ds_load_b128 v[6:9], v1 offset:1888
	s_wait_loadcnt_dscnt 0x801
	v_mul_f64_e32 v[181:182], v[2:3], v[12:13]
	v_mul_f64_e32 v[12:13], v[4:5], v[12:13]
	v_add_f64_e32 v[171:172], v[177:178], v[189:190]
	v_add_f64_e32 v[177:178], v[179:180], v[183:184]
	s_wait_loadcnt_dscnt 0x700
	v_mul_f64_e32 v[179:180], v[6:7], v[16:17]
	v_mul_f64_e32 v[16:17], v[8:9], v[16:17]
	v_fma_f64 v[181:182], v[4:5], v[10:11], v[181:182]
	v_fma_f64 v[10:11], v[2:3], v[10:11], -v[12:13]
	ds_load_b128 v[2:5], v1 offset:1904
	v_add_f64_e32 v[12:13], v[171:172], v[169:170]
	v_add_f64_e32 v[169:170], v[177:178], v[185:186]
	v_fma_f64 v[177:178], v[8:9], v[14:15], v[179:180]
	v_fma_f64 v[14:15], v[6:7], v[14:15], -v[16:17]
	ds_load_b128 v[6:9], v1 offset:1920
	s_wait_loadcnt_dscnt 0x500
	v_mul_f64_e32 v[179:180], v[6:7], v[24:25]
	v_mul_f64_e32 v[24:25], v[8:9], v[24:25]
	v_add_f64_e32 v[16:17], v[12:13], v[10:11]
	v_add_f64_e32 v[169:170], v[169:170], v[181:182]
	scratch_load_b128 v[10:13], off, off offset:32
	v_mul_f64_e32 v[171:172], v[2:3], v[20:21]
	v_mul_f64_e32 v[20:21], v[4:5], v[20:21]
	v_add_f64_e32 v[14:15], v[16:17], v[14:15]
	v_add_f64_e32 v[16:17], v[169:170], v[177:178]
	v_fma_f64 v[169:170], v[8:9], v[22:23], v[179:180]
	v_fma_f64 v[171:172], v[4:5], v[18:19], v[171:172]
	v_fma_f64 v[18:19], v[2:3], v[18:19], -v[20:21]
	ds_load_b128 v[2:5], v1 offset:1936
	v_fma_f64 v[22:23], v[6:7], v[22:23], -v[24:25]
	ds_load_b128 v[6:9], v1 offset:1952
	s_wait_loadcnt_dscnt 0x501
	v_mul_f64_e32 v[20:21], v[2:3], v[28:29]
	v_mul_f64_e32 v[28:29], v[4:5], v[28:29]
	s_wait_loadcnt_dscnt 0x400
	v_mul_f64_e32 v[24:25], v[8:9], v[32:33]
	v_add_f64_e32 v[16:17], v[16:17], v[171:172]
	v_add_f64_e32 v[14:15], v[14:15], v[18:19]
	v_mul_f64_e32 v[18:19], v[6:7], v[32:33]
	v_fma_f64 v[20:21], v[4:5], v[26:27], v[20:21]
	v_fma_f64 v[26:27], v[2:3], v[26:27], -v[28:29]
	ds_load_b128 v[2:5], v1 offset:1968
	v_fma_f64 v[24:25], v[6:7], v[30:31], -v[24:25]
	v_add_f64_e32 v[16:17], v[16:17], v[169:170]
	v_add_f64_e32 v[14:15], v[14:15], v[22:23]
	v_fma_f64 v[18:19], v[8:9], v[30:31], v[18:19]
	ds_load_b128 v[6:9], v1 offset:1984
	s_wait_loadcnt_dscnt 0x301
	v_mul_f64_e32 v[22:23], v[2:3], v[36:37]
	v_mul_f64_e32 v[28:29], v[4:5], v[36:37]
	v_add_f64_e32 v[16:17], v[16:17], v[20:21]
	v_add_f64_e32 v[14:15], v[14:15], v[26:27]
	s_wait_loadcnt_dscnt 0x200
	v_mul_f64_e32 v[20:21], v[6:7], v[175:176]
	v_mul_f64_e32 v[26:27], v[8:9], v[175:176]
	v_fma_f64 v[22:23], v[4:5], v[34:35], v[22:23]
	v_fma_f64 v[28:29], v[2:3], v[34:35], -v[28:29]
	ds_load_b128 v[2:5], v1 offset:2000
	v_add_f64_e32 v[16:17], v[16:17], v[18:19]
	v_add_f64_e32 v[14:15], v[14:15], v[24:25]
	s_wait_loadcnt_dscnt 0x100
	v_mul_f64_e32 v[18:19], v[2:3], v[40:41]
	v_mul_f64_e32 v[24:25], v[4:5], v[40:41]
	v_fma_f64 v[8:9], v[8:9], v[173:174], v[20:21]
	v_fma_f64 v[6:7], v[6:7], v[173:174], -v[26:27]
	v_add_f64_e32 v[16:17], v[16:17], v[22:23]
	v_add_f64_e32 v[14:15], v[14:15], v[28:29]
	v_fma_f64 v[4:5], v[4:5], v[38:39], v[18:19]
	v_fma_f64 v[2:3], v[2:3], v[38:39], -v[24:25]
	s_delay_alu instid0(VALU_DEP_4) | instskip(NEXT) | instid1(VALU_DEP_4)
	v_add_f64_e32 v[8:9], v[16:17], v[8:9]
	v_add_f64_e32 v[6:7], v[14:15], v[6:7]
	s_delay_alu instid0(VALU_DEP_2) | instskip(NEXT) | instid1(VALU_DEP_2)
	v_add_f64_e32 v[4:5], v[8:9], v[4:5]
	v_add_f64_e32 v[2:3], v[6:7], v[2:3]
	s_wait_loadcnt 0x0
	s_delay_alu instid0(VALU_DEP_2) | instskip(NEXT) | instid1(VALU_DEP_2)
	v_add_f64_e64 v[4:5], v[12:13], -v[4:5]
	v_add_f64_e64 v[2:3], v[10:11], -v[2:3]
	scratch_store_b128 off, v[2:5], off offset:32
	v_cmpx_ne_u32_e32 0, v0
	s_cbranch_execz .LBB62_403
; %bb.402:
	scratch_load_b128 v[5:8], off, off offset:16
	v_dual_mov_b32 v2, v1 :: v_dual_mov_b32 v3, v1
	v_mov_b32_e32 v4, v1
	scratch_store_b128 off, v[1:4], off offset:16
	s_wait_loadcnt 0x0
	ds_store_b128 v168, v[5:8]
.LBB62_403:
	s_wait_alu 0xfffe
	s_or_b32 exec_lo, exec_lo, s0
	s_wait_storecnt_dscnt 0x0
	s_barrier_signal -1
	s_barrier_wait -1
	global_inv scope:SCOPE_SE
	s_clause 0x7
	scratch_load_b128 v[2:5], off, off offset:32
	scratch_load_b128 v[6:9], off, off offset:48
	;; [unrolled: 1-line block ×8, first 2 shown]
	ds_load_b128 v[38:41], v1 offset:1024
	ds_load_b128 v[168:171], v1 offset:1040
	s_clause 0x1
	scratch_load_b128 v[34:37], off, off offset:160
	scratch_load_b128 v[172:175], off, off offset:176
	s_and_b32 vcc_lo, exec_lo, s20
	s_wait_loadcnt_dscnt 0x901
	v_mul_f64_e32 v[176:177], v[40:41], v[4:5]
	v_mul_f64_e32 v[4:5], v[38:39], v[4:5]
	s_wait_loadcnt_dscnt 0x800
	v_mul_f64_e32 v[178:179], v[168:169], v[8:9]
	v_mul_f64_e32 v[8:9], v[170:171], v[8:9]
	s_delay_alu instid0(VALU_DEP_4) | instskip(NEXT) | instid1(VALU_DEP_4)
	v_fma_f64 v[176:177], v[38:39], v[2:3], -v[176:177]
	v_fma_f64 v[180:181], v[40:41], v[2:3], v[4:5]
	ds_load_b128 v[2:5], v1 offset:1056
	scratch_load_b128 v[38:41], off, off offset:192
	v_fma_f64 v[178:179], v[170:171], v[6:7], v[178:179]
	v_fma_f64 v[184:185], v[168:169], v[6:7], -v[8:9]
	ds_load_b128 v[6:9], v1 offset:1072
	scratch_load_b128 v[168:171], off, off offset:208
	s_wait_loadcnt_dscnt 0x901
	v_mul_f64_e32 v[182:183], v[2:3], v[12:13]
	v_mul_f64_e32 v[12:13], v[4:5], v[12:13]
	s_wait_loadcnt_dscnt 0x800
	v_mul_f64_e32 v[186:187], v[6:7], v[16:17]
	v_mul_f64_e32 v[16:17], v[8:9], v[16:17]
	v_add_f64_e32 v[176:177], 0, v[176:177]
	v_add_f64_e32 v[180:181], 0, v[180:181]
	v_fma_f64 v[182:183], v[4:5], v[10:11], v[182:183]
	v_fma_f64 v[188:189], v[2:3], v[10:11], -v[12:13]
	ds_load_b128 v[2:5], v1 offset:1088
	scratch_load_b128 v[10:13], off, off offset:224
	v_add_f64_e32 v[176:177], v[176:177], v[184:185]
	v_add_f64_e32 v[178:179], v[180:181], v[178:179]
	v_fma_f64 v[184:185], v[8:9], v[14:15], v[186:187]
	v_fma_f64 v[186:187], v[6:7], v[14:15], -v[16:17]
	ds_load_b128 v[6:9], v1 offset:1104
	scratch_load_b128 v[14:17], off, off offset:240
	s_wait_loadcnt_dscnt 0x901
	v_mul_f64_e32 v[180:181], v[2:3], v[20:21]
	v_mul_f64_e32 v[20:21], v[4:5], v[20:21]
	v_add_f64_e32 v[176:177], v[176:177], v[188:189]
	v_add_f64_e32 v[178:179], v[178:179], v[182:183]
	s_wait_loadcnt_dscnt 0x800
	v_mul_f64_e32 v[182:183], v[6:7], v[24:25]
	v_mul_f64_e32 v[24:25], v[8:9], v[24:25]
	v_fma_f64 v[180:181], v[4:5], v[18:19], v[180:181]
	v_fma_f64 v[188:189], v[2:3], v[18:19], -v[20:21]
	ds_load_b128 v[2:5], v1 offset:1120
	scratch_load_b128 v[18:21], off, off offset:256
	v_add_f64_e32 v[176:177], v[176:177], v[186:187]
	v_add_f64_e32 v[178:179], v[178:179], v[184:185]
	v_fma_f64 v[182:183], v[8:9], v[22:23], v[182:183]
	v_fma_f64 v[186:187], v[6:7], v[22:23], -v[24:25]
	ds_load_b128 v[6:9], v1 offset:1136
	s_wait_loadcnt_dscnt 0x801
	v_mul_f64_e32 v[184:185], v[2:3], v[28:29]
	v_mul_f64_e32 v[28:29], v[4:5], v[28:29]
	scratch_load_b128 v[22:25], off, off offset:272
	v_add_f64_e32 v[176:177], v[176:177], v[188:189]
	v_add_f64_e32 v[178:179], v[178:179], v[180:181]
	s_wait_loadcnt_dscnt 0x800
	v_mul_f64_e32 v[180:181], v[6:7], v[32:33]
	v_mul_f64_e32 v[32:33], v[8:9], v[32:33]
	v_fma_f64 v[184:185], v[4:5], v[26:27], v[184:185]
	v_fma_f64 v[188:189], v[2:3], v[26:27], -v[28:29]
	ds_load_b128 v[2:5], v1 offset:1152
	scratch_load_b128 v[26:29], off, off offset:288
	v_add_f64_e32 v[176:177], v[176:177], v[186:187]
	v_add_f64_e32 v[178:179], v[178:179], v[182:183]
	v_fma_f64 v[180:181], v[8:9], v[30:31], v[180:181]
	v_fma_f64 v[186:187], v[6:7], v[30:31], -v[32:33]
	ds_load_b128 v[6:9], v1 offset:1168
	s_wait_loadcnt_dscnt 0x801
	v_mul_f64_e32 v[182:183], v[2:3], v[36:37]
	v_mul_f64_e32 v[36:37], v[4:5], v[36:37]
	scratch_load_b128 v[30:33], off, off offset:304
	v_add_f64_e32 v[176:177], v[176:177], v[188:189]
	v_add_f64_e32 v[178:179], v[178:179], v[184:185]
	s_wait_loadcnt_dscnt 0x800
	v_mul_f64_e32 v[184:185], v[6:7], v[174:175]
	v_mul_f64_e32 v[174:175], v[8:9], v[174:175]
	v_fma_f64 v[182:183], v[4:5], v[34:35], v[182:183]
	v_fma_f64 v[188:189], v[2:3], v[34:35], -v[36:37]
	ds_load_b128 v[2:5], v1 offset:1184
	scratch_load_b128 v[34:37], off, off offset:320
	v_add_f64_e32 v[176:177], v[176:177], v[186:187]
	v_add_f64_e32 v[178:179], v[178:179], v[180:181]
	v_fma_f64 v[184:185], v[8:9], v[172:173], v[184:185]
	v_fma_f64 v[186:187], v[6:7], v[172:173], -v[174:175]
	ds_load_b128 v[6:9], v1 offset:1200
	scratch_load_b128 v[172:175], off, off offset:336
	s_wait_loadcnt_dscnt 0x901
	v_mul_f64_e32 v[180:181], v[2:3], v[40:41]
	v_mul_f64_e32 v[40:41], v[4:5], v[40:41]
	v_add_f64_e32 v[176:177], v[176:177], v[188:189]
	v_add_f64_e32 v[178:179], v[178:179], v[182:183]
	s_wait_loadcnt_dscnt 0x800
	v_mul_f64_e32 v[182:183], v[6:7], v[170:171]
	v_mul_f64_e32 v[170:171], v[8:9], v[170:171]
	v_fma_f64 v[180:181], v[4:5], v[38:39], v[180:181]
	v_fma_f64 v[188:189], v[2:3], v[38:39], -v[40:41]
	ds_load_b128 v[2:5], v1 offset:1216
	scratch_load_b128 v[38:41], off, off offset:352
	v_add_f64_e32 v[176:177], v[176:177], v[186:187]
	v_add_f64_e32 v[178:179], v[178:179], v[184:185]
	v_fma_f64 v[182:183], v[8:9], v[168:169], v[182:183]
	v_fma_f64 v[186:187], v[6:7], v[168:169], -v[170:171]
	ds_load_b128 v[6:9], v1 offset:1232
	s_wait_loadcnt_dscnt 0x801
	v_mul_f64_e32 v[184:185], v[2:3], v[12:13]
	v_mul_f64_e32 v[12:13], v[4:5], v[12:13]
	scratch_load_b128 v[168:171], off, off offset:368
	v_add_f64_e32 v[176:177], v[176:177], v[188:189]
	v_add_f64_e32 v[178:179], v[178:179], v[180:181]
	s_wait_loadcnt_dscnt 0x800
	v_mul_f64_e32 v[180:181], v[6:7], v[16:17]
	v_mul_f64_e32 v[16:17], v[8:9], v[16:17]
	v_fma_f64 v[184:185], v[4:5], v[10:11], v[184:185]
	v_fma_f64 v[188:189], v[2:3], v[10:11], -v[12:13]
	ds_load_b128 v[2:5], v1 offset:1248
	scratch_load_b128 v[10:13], off, off offset:384
	v_add_f64_e32 v[176:177], v[176:177], v[186:187]
	v_add_f64_e32 v[178:179], v[178:179], v[182:183]
	v_fma_f64 v[180:181], v[8:9], v[14:15], v[180:181]
	v_fma_f64 v[186:187], v[6:7], v[14:15], -v[16:17]
	ds_load_b128 v[6:9], v1 offset:1264
	s_wait_loadcnt_dscnt 0x801
	v_mul_f64_e32 v[182:183], v[2:3], v[20:21]
	v_mul_f64_e32 v[20:21], v[4:5], v[20:21]
	scratch_load_b128 v[14:17], off, off offset:400
	;; [unrolled: 18-line block ×21, first 2 shown]
	v_add_f64_e32 v[176:177], v[176:177], v[188:189]
	v_add_f64_e32 v[178:179], v[178:179], v[182:183]
	s_wait_loadcnt_dscnt 0x800
	v_mul_f64_e32 v[182:183], v[6:7], v[16:17]
	v_mul_f64_e32 v[16:17], v[8:9], v[16:17]
	v_fma_f64 v[180:181], v[4:5], v[10:11], v[180:181]
	v_fma_f64 v[10:11], v[2:3], v[10:11], -v[12:13]
	ds_load_b128 v[2:5], v1 offset:1888
	v_add_f64_e32 v[12:13], v[176:177], v[186:187]
	v_add_f64_e32 v[176:177], v[178:179], v[184:185]
	v_fma_f64 v[182:183], v[8:9], v[14:15], v[182:183]
	v_fma_f64 v[14:15], v[6:7], v[14:15], -v[16:17]
	ds_load_b128 v[6:9], v1 offset:1904
	s_wait_loadcnt_dscnt 0x701
	v_mul_f64_e32 v[178:179], v[2:3], v[20:21]
	v_mul_f64_e32 v[20:21], v[4:5], v[20:21]
	v_add_f64_e32 v[10:11], v[12:13], v[10:11]
	v_add_f64_e32 v[12:13], v[176:177], v[180:181]
	s_delay_alu instid0(VALU_DEP_4) | instskip(NEXT) | instid1(VALU_DEP_4)
	v_fma_f64 v[176:177], v[4:5], v[18:19], v[178:179]
	v_fma_f64 v[18:19], v[2:3], v[18:19], -v[20:21]
	ds_load_b128 v[2:5], v1 offset:1920
	v_add_f64_e32 v[14:15], v[10:11], v[14:15]
	v_add_f64_e32 v[20:21], v[12:13], v[182:183]
	scratch_load_b128 v[10:13], off, off offset:16
	s_wait_loadcnt_dscnt 0x701
	v_mul_f64_e32 v[16:17], v[6:7], v[24:25]
	v_mul_f64_e32 v[24:25], v[8:9], v[24:25]
	v_add_f64_e32 v[14:15], v[14:15], v[18:19]
	v_add_f64_e32 v[18:19], v[20:21], v[176:177]
	s_delay_alu instid0(VALU_DEP_4) | instskip(NEXT) | instid1(VALU_DEP_4)
	v_fma_f64 v[16:17], v[8:9], v[22:23], v[16:17]
	v_fma_f64 v[22:23], v[6:7], v[22:23], -v[24:25]
	ds_load_b128 v[6:9], v1 offset:1936
	s_wait_loadcnt_dscnt 0x601
	v_mul_f64_e32 v[178:179], v[2:3], v[28:29]
	v_mul_f64_e32 v[28:29], v[4:5], v[28:29]
	s_wait_loadcnt_dscnt 0x500
	v_mul_f64_e32 v[20:21], v[6:7], v[32:33]
	v_mul_f64_e32 v[24:25], v[8:9], v[32:33]
	v_add_f64_e32 v[16:17], v[18:19], v[16:17]
	v_add_f64_e32 v[14:15], v[14:15], v[22:23]
	v_fma_f64 v[32:33], v[4:5], v[26:27], v[178:179]
	v_fma_f64 v[26:27], v[2:3], v[26:27], -v[28:29]
	ds_load_b128 v[2:5], v1 offset:1952
	v_fma_f64 v[20:21], v[8:9], v[30:31], v[20:21]
	v_fma_f64 v[24:25], v[6:7], v[30:31], -v[24:25]
	ds_load_b128 v[6:9], v1 offset:1968
	s_wait_loadcnt_dscnt 0x401
	v_mul_f64_e32 v[18:19], v[2:3], v[36:37]
	v_mul_f64_e32 v[22:23], v[4:5], v[36:37]
	v_add_f64_e32 v[16:17], v[16:17], v[32:33]
	v_add_f64_e32 v[14:15], v[14:15], v[26:27]
	s_wait_loadcnt_dscnt 0x300
	v_mul_f64_e32 v[26:27], v[6:7], v[174:175]
	v_mul_f64_e32 v[28:29], v[8:9], v[174:175]
	v_fma_f64 v[18:19], v[4:5], v[34:35], v[18:19]
	v_fma_f64 v[22:23], v[2:3], v[34:35], -v[22:23]
	ds_load_b128 v[2:5], v1 offset:1984
	v_add_f64_e32 v[16:17], v[16:17], v[20:21]
	v_add_f64_e32 v[14:15], v[14:15], v[24:25]
	v_fma_f64 v[26:27], v[8:9], v[172:173], v[26:27]
	v_fma_f64 v[28:29], v[6:7], v[172:173], -v[28:29]
	ds_load_b128 v[6:9], v1 offset:2000
	s_wait_loadcnt_dscnt 0x201
	v_mul_f64_e32 v[20:21], v[2:3], v[40:41]
	v_mul_f64_e32 v[24:25], v[4:5], v[40:41]
	s_wait_loadcnt_dscnt 0x100
	v_mul_f64_e32 v[0:1], v[6:7], v[170:171]
	v_add_f64_e32 v[16:17], v[16:17], v[18:19]
	v_add_f64_e32 v[14:15], v[14:15], v[22:23]
	v_mul_f64_e32 v[18:19], v[8:9], v[170:171]
	v_fma_f64 v[4:5], v[4:5], v[38:39], v[20:21]
	v_fma_f64 v[2:3], v[2:3], v[38:39], -v[24:25]
	v_fma_f64 v[0:1], v[8:9], v[168:169], v[0:1]
	v_add_f64_e32 v[16:17], v[16:17], v[26:27]
	v_add_f64_e32 v[14:15], v[14:15], v[28:29]
	v_fma_f64 v[6:7], v[6:7], v[168:169], -v[18:19]
	s_delay_alu instid0(VALU_DEP_3) | instskip(NEXT) | instid1(VALU_DEP_3)
	v_add_f64_e32 v[4:5], v[16:17], v[4:5]
	v_add_f64_e32 v[2:3], v[14:15], v[2:3]
	s_delay_alu instid0(VALU_DEP_2) | instskip(NEXT) | instid1(VALU_DEP_2)
	v_add_f64_e32 v[4:5], v[4:5], v[0:1]
	v_add_f64_e32 v[2:3], v[2:3], v[6:7]
	s_wait_loadcnt 0x0
	s_delay_alu instid0(VALU_DEP_1) | instskip(NEXT) | instid1(VALU_DEP_3)
	v_add_f64_e64 v[0:1], v[10:11], -v[2:3]
	v_add_f64_e64 v[2:3], v[12:13], -v[4:5]
	scratch_store_b128 off, v[0:3], off offset:16
	s_wait_alu 0xfffe
	s_cbranch_vccz .LBB62_528
; %bb.404:
	v_mov_b32_e32 v0, 0
	global_load_b32 v1, v0, s[16:17] offset:244
	s_wait_loadcnt 0x0
	v_cmp_ne_u32_e32 vcc_lo, 62, v1
	s_cbranch_vccz .LBB62_406
; %bb.405:
	v_lshlrev_b32_e32 v1, 4, v1
	s_delay_alu instid0(VALU_DEP_1)
	v_add_nc_u32_e32 v9, 16, v1
	s_clause 0x1
	scratch_load_b128 v[1:4], v9, off offset:-16
	scratch_load_b128 v[5:8], off, s5
	s_wait_loadcnt 0x1
	scratch_store_b128 off, v[1:4], s5
	s_wait_loadcnt 0x0
	scratch_store_b128 v9, v[5:8], off offset:-16
.LBB62_406:
	global_load_b32 v0, v0, s[16:17] offset:240
	s_wait_loadcnt 0x0
	v_cmp_eq_u32_e32 vcc_lo, 61, v0
	s_cbranch_vccnz .LBB62_408
; %bb.407:
	v_lshlrev_b32_e32 v0, 4, v0
	s_delay_alu instid0(VALU_DEP_1)
	v_add_nc_u32_e32 v8, 16, v0
	s_clause 0x1
	scratch_load_b128 v[0:3], v8, off offset:-16
	scratch_load_b128 v[4:7], off, s4
	s_wait_loadcnt 0x1
	scratch_store_b128 off, v[0:3], s4
	s_wait_loadcnt 0x0
	scratch_store_b128 v8, v[4:7], off offset:-16
.LBB62_408:
	v_mov_b32_e32 v0, 0
	global_load_b32 v1, v0, s[16:17] offset:236
	s_wait_loadcnt 0x0
	v_cmp_eq_u32_e32 vcc_lo, 60, v1
	s_cbranch_vccnz .LBB62_410
; %bb.409:
	v_lshlrev_b32_e32 v1, 4, v1
	s_delay_alu instid0(VALU_DEP_1)
	v_add_nc_u32_e32 v9, 16, v1
	s_clause 0x1
	scratch_load_b128 v[1:4], v9, off offset:-16
	scratch_load_b128 v[5:8], off, s10
	s_wait_loadcnt 0x1
	scratch_store_b128 off, v[1:4], s10
	s_wait_loadcnt 0x0
	scratch_store_b128 v9, v[5:8], off offset:-16
.LBB62_410:
	global_load_b32 v0, v0, s[16:17] offset:232
	s_wait_loadcnt 0x0
	v_cmp_eq_u32_e32 vcc_lo, 59, v0
	s_cbranch_vccnz .LBB62_412
; %bb.411:
	v_lshlrev_b32_e32 v0, 4, v0
	s_delay_alu instid0(VALU_DEP_1)
	v_add_nc_u32_e32 v8, 16, v0
	s_clause 0x1
	scratch_load_b128 v[0:3], v8, off offset:-16
	scratch_load_b128 v[4:7], off, s9
	s_wait_loadcnt 0x1
	scratch_store_b128 off, v[0:3], s9
	s_wait_loadcnt 0x0
	scratch_store_b128 v8, v[4:7], off offset:-16
.LBB62_412:
	v_mov_b32_e32 v0, 0
	global_load_b32 v1, v0, s[16:17] offset:228
	s_wait_loadcnt 0x0
	v_cmp_eq_u32_e32 vcc_lo, 58, v1
	s_cbranch_vccnz .LBB62_414
; %bb.413:
	v_lshlrev_b32_e32 v1, 4, v1
	s_delay_alu instid0(VALU_DEP_1)
	v_add_nc_u32_e32 v9, 16, v1
	s_clause 0x1
	scratch_load_b128 v[1:4], v9, off offset:-16
	scratch_load_b128 v[5:8], off, s13
	s_wait_loadcnt 0x1
	scratch_store_b128 off, v[1:4], s13
	s_wait_loadcnt 0x0
	scratch_store_b128 v9, v[5:8], off offset:-16
.LBB62_414:
	;; [unrolled: 33-line block ×30, first 2 shown]
	global_load_b32 v0, v0, s[16:17]
	s_wait_loadcnt 0x0
	v_cmp_eq_u32_e32 vcc_lo, 1, v0
	s_cbranch_vccnz .LBB62_528
; %bb.527:
	v_lshlrev_b32_e32 v0, 4, v0
	s_delay_alu instid0(VALU_DEP_1)
	v_add_nc_u32_e32 v8, 16, v0
	scratch_load_b128 v[0:3], v8, off offset:-16
	scratch_load_b128 v[4:7], off, off offset:16
	s_wait_loadcnt 0x1
	scratch_store_b128 off, v[0:3], off offset:16
	s_wait_loadcnt 0x0
	scratch_store_b128 v8, v[4:7], off offset:-16
.LBB62_528:
	scratch_load_b128 v[0:3], off, off offset:16
	s_clause 0xd
	scratch_load_b128 v[4:7], off, s59
	scratch_load_b128 v[8:11], off, s58
	;; [unrolled: 1-line block ×14, first 2 shown]
	s_wait_loadcnt 0xe
	global_store_b128 v[42:43], v[0:3], off
	s_clause 0x1
	scratch_load_b128 v[0:3], off, s63
	scratch_load_b128 v[40:43], off, s62
	s_wait_loadcnt 0xf
	global_store_b128 v[44:45], v[4:7], off
	s_wait_loadcnt 0xe
	global_store_b128 v[46:47], v[8:11], off
	s_clause 0x2
	scratch_load_b128 v[4:7], off, s61
	scratch_load_b128 v[8:11], off, s60
	scratch_load_b128 v[44:47], off, s55
	s_wait_loadcnt 0x10
	global_store_b128 v[48:49], v[12:15], off
	scratch_load_b128 v[12:15], off, s54
	s_wait_loadcnt 0x10
	global_store_b128 v[52:53], v[16:19], off
	s_clause 0x1
	scratch_load_b128 v[16:19], off, s53
	scratch_load_b128 v[188:191], off, s52
	s_wait_loadcnt 0x11
	global_store_b128 v[56:57], v[20:23], off
	scratch_load_b128 v[20:23], off, s51
	s_wait_loadcnt 0x11
	global_store_b128 v[70:71], v[24:27], off
	;; [unrolled: 3-line block ×3, first 2 shown]
	s_clause 0x1
	scratch_load_b128 v[28:31], off, s48
	scratch_load_b128 v[192:195], off, s49
	s_wait_loadcnt 0x12
	global_store_b128 v[60:61], v[32:35], off
	s_clause 0x1
	scratch_load_b128 v[32:35], off, s47
	scratch_load_b128 v[196:199], off, s46
	s_wait_loadcnt 0x13
	global_store_b128 v[54:55], v[36:39], off
	s_wait_loadcnt 0x12
	global_store_b128 v[74:75], v[168:171], off
	s_clause 0x2
	scratch_load_b128 v[36:39], off, s45
	scratch_load_b128 v[52:55], off, s44
	scratch_load_b128 v[168:171], off, s43
	s_wait_loadcnt 0x14
	global_store_b128 v[50:51], v[172:175], off
	s_wait_loadcnt 0x13
	global_store_b128 v[66:67], v[176:179], off
	s_clause 0x2
	scratch_load_b128 v[48:51], off, s42
	;; [unrolled: 8-line block ×3, first 2 shown]
	scratch_load_b128 v[176:179], off, s38
	s_wait_loadcnt 0x15
	global_store_b128 v[72:73], v[0:3], off
	s_clause 0x1
	scratch_load_b128 v[0:3], off, s36
	scratch_load_b128 v[70:73], off, s37
	s_wait_loadcnt 0x16
	global_store_b128 v[76:77], v[40:43], off
	s_clause 0x1
	scratch_load_b128 v[40:43], off, s33
	scratch_load_b128 v[74:77], off, s31
	s_wait_loadcnt 0x17
	global_store_b128 v[62:63], v[4:7], off
	s_wait_loadcnt 0x16
	global_store_b128 v[88:89], v[8:11], off
	s_clause 0x1
	scratch_load_b128 v[4:7], off, s30
	scratch_load_b128 v[8:11], off, s26
	s_wait_loadcnt 0x17
	global_store_b128 v[80:81], v[44:47], off
	s_clause 0x1
	scratch_load_b128 v[44:47], off, s34
	scratch_load_b128 v[60:63], off, s35
	s_wait_loadcnt 0x18
	global_store_b128 v[84:85], v[12:15], off
	s_clause 0x1
	scratch_load_b128 v[12:15], off, s29
	scratch_load_b128 v[80:83], off, s27
	s_wait_loadcnt 0x19
	global_store_b128 v[68:69], v[16:19], off
	s_wait_loadcnt 0x18
	global_store_b128 v[94:95], v[188:191], off
	s_clause 0x1
	scratch_load_b128 v[16:19], off, s28
	;; [unrolled: 17-line block ×4, first 2 shown]
	scratch_load_b128 v[52:55], off, s4
	s_wait_loadcnt 0x1d
	global_store_b128 v[102:103], v[168:171], off
	s_clause 0x1
	scratch_load_b128 v[96:99], off, s5
	scratch_load_b128 v[100:103], off, s8
	s_wait_loadcnt 0x1e
	global_store_b128 v[106:107], v[48:51], off
	s_wait_loadcnt 0x1d
	global_store_b128 v[108:109], v[64:67], off
	;; [unrolled: 2-line block ×31, first 2 shown]
	s_nop 0
	s_sendmsg sendmsg(MSG_DEALLOC_VGPRS)
	s_endpgm
	.section	.rodata,"a",@progbits
	.p2align	6, 0x0
	.amdhsa_kernel _ZN9rocsolver6v33100L18getri_kernel_smallILi63E19rocblas_complex_numIdEPS3_EEvT1_iilPiilS6_bb
		.amdhsa_group_segment_fixed_size 2024
		.amdhsa_private_segment_fixed_size 1040
		.amdhsa_kernarg_size 60
		.amdhsa_user_sgpr_count 2
		.amdhsa_user_sgpr_dispatch_ptr 0
		.amdhsa_user_sgpr_queue_ptr 0
		.amdhsa_user_sgpr_kernarg_segment_ptr 1
		.amdhsa_user_sgpr_dispatch_id 0
		.amdhsa_user_sgpr_private_segment_size 0
		.amdhsa_wavefront_size32 1
		.amdhsa_uses_dynamic_stack 0
		.amdhsa_enable_private_segment 1
		.amdhsa_system_sgpr_workgroup_id_x 1
		.amdhsa_system_sgpr_workgroup_id_y 0
		.amdhsa_system_sgpr_workgroup_id_z 0
		.amdhsa_system_sgpr_workgroup_info 0
		.amdhsa_system_vgpr_workitem_id 0
		.amdhsa_next_free_vgpr 210
		.amdhsa_next_free_sgpr 85
		.amdhsa_reserve_vcc 1
		.amdhsa_float_round_mode_32 0
		.amdhsa_float_round_mode_16_64 0
		.amdhsa_float_denorm_mode_32 3
		.amdhsa_float_denorm_mode_16_64 3
		.amdhsa_fp16_overflow 0
		.amdhsa_workgroup_processor_mode 1
		.amdhsa_memory_ordered 1
		.amdhsa_forward_progress 1
		.amdhsa_inst_pref_size 255
		.amdhsa_round_robin_scheduling 0
		.amdhsa_exception_fp_ieee_invalid_op 0
		.amdhsa_exception_fp_denorm_src 0
		.amdhsa_exception_fp_ieee_div_zero 0
		.amdhsa_exception_fp_ieee_overflow 0
		.amdhsa_exception_fp_ieee_underflow 0
		.amdhsa_exception_fp_ieee_inexact 0
		.amdhsa_exception_int_div_zero 0
	.end_amdhsa_kernel
	.section	.text._ZN9rocsolver6v33100L18getri_kernel_smallILi63E19rocblas_complex_numIdEPS3_EEvT1_iilPiilS6_bb,"axG",@progbits,_ZN9rocsolver6v33100L18getri_kernel_smallILi63E19rocblas_complex_numIdEPS3_EEvT1_iilPiilS6_bb,comdat
.Lfunc_end62:
	.size	_ZN9rocsolver6v33100L18getri_kernel_smallILi63E19rocblas_complex_numIdEPS3_EEvT1_iilPiilS6_bb, .Lfunc_end62-_ZN9rocsolver6v33100L18getri_kernel_smallILi63E19rocblas_complex_numIdEPS3_EEvT1_iilPiilS6_bb
                                        ; -- End function
	.set _ZN9rocsolver6v33100L18getri_kernel_smallILi63E19rocblas_complex_numIdEPS3_EEvT1_iilPiilS6_bb.num_vgpr, 210
	.set _ZN9rocsolver6v33100L18getri_kernel_smallILi63E19rocblas_complex_numIdEPS3_EEvT1_iilPiilS6_bb.num_agpr, 0
	.set _ZN9rocsolver6v33100L18getri_kernel_smallILi63E19rocblas_complex_numIdEPS3_EEvT1_iilPiilS6_bb.numbered_sgpr, 85
	.set _ZN9rocsolver6v33100L18getri_kernel_smallILi63E19rocblas_complex_numIdEPS3_EEvT1_iilPiilS6_bb.num_named_barrier, 0
	.set _ZN9rocsolver6v33100L18getri_kernel_smallILi63E19rocblas_complex_numIdEPS3_EEvT1_iilPiilS6_bb.private_seg_size, 1040
	.set _ZN9rocsolver6v33100L18getri_kernel_smallILi63E19rocblas_complex_numIdEPS3_EEvT1_iilPiilS6_bb.uses_vcc, 1
	.set _ZN9rocsolver6v33100L18getri_kernel_smallILi63E19rocblas_complex_numIdEPS3_EEvT1_iilPiilS6_bb.uses_flat_scratch, 1
	.set _ZN9rocsolver6v33100L18getri_kernel_smallILi63E19rocblas_complex_numIdEPS3_EEvT1_iilPiilS6_bb.has_dyn_sized_stack, 0
	.set _ZN9rocsolver6v33100L18getri_kernel_smallILi63E19rocblas_complex_numIdEPS3_EEvT1_iilPiilS6_bb.has_recursion, 0
	.set _ZN9rocsolver6v33100L18getri_kernel_smallILi63E19rocblas_complex_numIdEPS3_EEvT1_iilPiilS6_bb.has_indirect_call, 0
	.section	.AMDGPU.csdata,"",@progbits
; Kernel info:
; codeLenInByte = 152164
; TotalNumSgprs: 87
; NumVgprs: 210
; ScratchSize: 1040
; MemoryBound: 0
; FloatMode: 240
; IeeeMode: 1
; LDSByteSize: 2024 bytes/workgroup (compile time only)
; SGPRBlocks: 0
; VGPRBlocks: 26
; NumSGPRsForWavesPerEU: 87
; NumVGPRsForWavesPerEU: 210
; Occupancy: 7
; WaveLimiterHint : 1
; COMPUTE_PGM_RSRC2:SCRATCH_EN: 1
; COMPUTE_PGM_RSRC2:USER_SGPR: 2
; COMPUTE_PGM_RSRC2:TRAP_HANDLER: 0
; COMPUTE_PGM_RSRC2:TGID_X_EN: 1
; COMPUTE_PGM_RSRC2:TGID_Y_EN: 0
; COMPUTE_PGM_RSRC2:TGID_Z_EN: 0
; COMPUTE_PGM_RSRC2:TIDIG_COMP_CNT: 0
	.section	.text._ZN9rocsolver6v33100L18getri_kernel_smallILi64E19rocblas_complex_numIdEPS3_EEvT1_iilPiilS6_bb,"axG",@progbits,_ZN9rocsolver6v33100L18getri_kernel_smallILi64E19rocblas_complex_numIdEPS3_EEvT1_iilPiilS6_bb,comdat
	.globl	_ZN9rocsolver6v33100L18getri_kernel_smallILi64E19rocblas_complex_numIdEPS3_EEvT1_iilPiilS6_bb ; -- Begin function _ZN9rocsolver6v33100L18getri_kernel_smallILi64E19rocblas_complex_numIdEPS3_EEvT1_iilPiilS6_bb
	.p2align	8
	.type	_ZN9rocsolver6v33100L18getri_kernel_smallILi64E19rocblas_complex_numIdEPS3_EEvT1_iilPiilS6_bb,@function
_ZN9rocsolver6v33100L18getri_kernel_smallILi64E19rocblas_complex_numIdEPS3_EEvT1_iilPiilS6_bb: ; @_ZN9rocsolver6v33100L18getri_kernel_smallILi64E19rocblas_complex_numIdEPS3_EEvT1_iilPiilS6_bb
; %bb.0:
	s_mov_b32 s2, exec_lo
	v_cmpx_gt_u32_e32 64, v0
	s_cbranch_execz .LBB63_282
; %bb.1:
	s_clause 0x2
	s_load_b32 s2, s[0:1], 0x38
	s_load_b128 s[12:15], s[0:1], 0x10
	s_load_b128 s[4:7], s[0:1], 0x28
	s_mov_b32 s18, ttmp9
                                        ; implicit-def: $sgpr16_sgpr17
	s_wait_kmcnt 0x0
	s_bitcmp1_b32 s2, 8
	s_cselect_b32 s20, -1, 0
	s_bfe_u32 s2, s2, 0x10008
	s_ashr_i32 s19, ttmp9, 31
	s_cmp_eq_u32 s2, 0
	s_cbranch_scc1 .LBB63_3
; %bb.2:
	s_load_b32 s2, s[0:1], 0x20
	s_mul_u64 s[4:5], s[4:5], s[18:19]
	s_delay_alu instid0(SALU_CYCLE_1) | instskip(NEXT) | instid1(SALU_CYCLE_1)
	s_lshl_b64 s[4:5], s[4:5], 2
	s_add_nc_u64 s[4:5], s[14:15], s[4:5]
	s_wait_kmcnt 0x0
	s_ashr_i32 s3, s2, 31
	s_delay_alu instid0(SALU_CYCLE_1) | instskip(NEXT) | instid1(SALU_CYCLE_1)
	s_lshl_b64 s[2:3], s[2:3], 2
	s_add_nc_u64 s[16:17], s[4:5], s[2:3]
.LBB63_3:
	s_clause 0x1
	s_load_b128 s[8:11], s[0:1], 0x0
	s_load_b32 s2, s[0:1], 0x38
	s_mul_u64 s[0:1], s[12:13], s[18:19]
	v_lshlrev_b32_e32 v33, 4, v0
	s_lshl_b64 s[0:1], s[0:1], 4
	s_movk_i32 s12, 0xe0
	s_movk_i32 s21, 0x120
	;; [unrolled: 1-line block ×7, first 2 shown]
	s_add_co_i32 s65, s12, 16
	s_add_co_i32 s61, s21, 16
	;; [unrolled: 1-line block ×4, first 2 shown]
	s_movk_i32 s37, 0x200
	s_movk_i32 s39, 0x220
	s_add_co_i32 s64, s13, 16
	s_add_co_i32 s13, s31, 16
	s_wait_kmcnt 0x0
	v_add3_u32 v5, s11, s11, v0
	s_ashr_i32 s5, s10, 31
	s_mov_b32 s4, s10
	s_add_nc_u64 s[0:1], s[8:9], s[0:1]
	s_lshl_b64 s[4:5], s[4:5], 4
	v_add_nc_u32_e32 v7, s11, v5
	v_ashrrev_i32_e32 v6, 31, v5
	s_add_nc_u64 s[0:1], s[0:1], s[4:5]
	s_ashr_i32 s9, s11, 31
	v_add_co_u32 v46, s3, s0, v33
	v_add_nc_u32_e32 v9, s11, v7
	v_ashrrev_i32_e32 v8, 31, v7
	s_mov_b32 s8, s11
	v_lshlrev_b64_e32 v[11:12], 4, v[5:6]
	v_add_co_ci_u32_e64 v47, null, s1, 0, s3
	v_add_nc_u32_e32 v15, s11, v9
	s_lshl_b64 s[8:9], s[8:9], 4
	v_lshlrev_b64_e32 v[13:14], 4, v[7:8]
	v_ashrrev_i32_e32 v10, 31, v9
	v_add_co_u32 v48, vcc_lo, v46, s8
	s_delay_alu instid0(VALU_DEP_1)
	v_add_co_ci_u32_e64 v49, null, s9, v47, vcc_lo
	v_add_co_u32 v50, vcc_lo, s0, v11
	v_ashrrev_i32_e32 v16, 31, v15
	v_add_nc_u32_e32 v11, s11, v15
	v_lshlrev_b64_e32 v[9:10], 4, v[9:10]
	s_wait_alu 0xfffd
	v_add_co_ci_u32_e64 v51, null, s1, v12, vcc_lo
	v_add_co_u32 v52, vcc_lo, s0, v13
	s_wait_alu 0xfffd
	v_add_co_ci_u32_e64 v53, null, s1, v14, vcc_lo
	v_lshlrev_b64_e32 v[13:14], 4, v[15:16]
	v_ashrrev_i32_e32 v12, 31, v11
	v_add_nc_u32_e32 v15, s11, v11
	v_add_co_u32 v54, vcc_lo, s0, v9
	s_wait_alu 0xfffd
	v_add_co_ci_u32_e64 v55, null, s1, v10, vcc_lo
	v_lshlrev_b64_e32 v[9:10], 4, v[11:12]
	v_ashrrev_i32_e32 v16, 31, v15
	v_add_nc_u32_e32 v11, s11, v15
	;; [unrolled: 6-line block ×8, first 2 shown]
	v_add_co_u32 v68, vcc_lo, s0, v13
	s_wait_alu 0xfffd
	v_add_co_ci_u32_e64 v69, null, s1, v14, vcc_lo
	v_lshlrev_b64_e32 v[13:14], 4, v[15:16]
	v_add_nc_u32_e32 v15, s11, v11
	v_ashrrev_i32_e32 v12, 31, v11
	s_clause 0x1
	global_load_b128 v[1:4], v33, s[0:1]
	global_load_b128 v[5:8], v[48:49], off
	v_add_co_u32 v70, vcc_lo, s0, v9
	v_ashrrev_i32_e32 v16, 31, v15
	s_clause 0x1
	global_load_b128 v[34:37], v[50:51], off
	global_load_b128 v[38:41], v[52:53], off
	s_wait_alu 0xfffd
	v_add_co_ci_u32_e64 v71, null, s1, v10, vcc_lo
	v_lshlrev_b64_e32 v[9:10], 4, v[11:12]
	v_add_co_u32 v72, vcc_lo, s0, v13
	s_wait_alu 0xfffd
	v_add_co_ci_u32_e64 v73, null, s1, v14, vcc_lo
	v_lshlrev_b64_e32 v[13:14], 4, v[15:16]
	s_delay_alu instid0(VALU_DEP_4) | instskip(SKIP_3) | instid1(VALU_DEP_4)
	v_add_co_u32 v74, vcc_lo, s0, v9
	s_wait_alu 0xfffd
	v_add_co_ci_u32_e64 v75, null, s1, v10, vcc_lo
	v_add_nc_u32_e32 v11, s11, v15
	v_add_co_u32 v76, vcc_lo, s0, v13
	s_wait_alu 0xfffd
	v_add_co_ci_u32_e64 v77, null, s1, v14, vcc_lo
	s_clause 0x8
	global_load_b128 v[42:45], v[54:55], off
	global_load_b128 v[138:141], v[56:57], off
	;; [unrolled: 1-line block ×9, first 2 shown]
	v_ashrrev_i32_e32 v12, 31, v11
	v_add_nc_u32_e32 v15, s11, v11
	s_clause 0x2
	global_load_b128 v[170:173], v[72:73], off
	global_load_b128 v[174:177], v[74:75], off
	global_load_b128 v[178:181], v[76:77], off
	s_movk_i32 s9, 0xb0
	v_lshlrev_b64_e32 v[9:10], 4, v[11:12]
	v_add_nc_u32_e32 v11, s11, v15
	v_ashrrev_i32_e32 v16, 31, v15
	s_movk_i32 s8, 0xa0
	s_movk_i32 s10, 0xc0
	s_wait_alu 0xfffe
	s_add_co_i32 s68, s9, 16
	v_ashrrev_i32_e32 v12, 31, v11
	v_lshlrev_b64_e32 v[13:14], 4, v[15:16]
	v_add_co_u32 v78, vcc_lo, s0, v9
	s_wait_alu 0xfffd
	v_add_co_ci_u32_e64 v79, null, s1, v10, vcc_lo
	v_lshlrev_b64_e32 v[9:10], 4, v[11:12]
	s_delay_alu instid0(VALU_DEP_4)
	v_add_co_u32 v80, vcc_lo, s0, v13
	s_wait_alu 0xfffd
	v_add_co_ci_u32_e64 v81, null, s1, v14, vcc_lo
	global_load_b128 v[182:185], v[78:79], off
	v_add_co_u32 v82, vcc_lo, s0, v9
	s_wait_alu 0xfffd
	v_add_co_ci_u32_e64 v83, null, s1, v10, vcc_lo
	s_clause 0x1
	global_load_b128 v[186:189], v[80:81], off
	global_load_b128 v[190:193], v[82:83], off
	v_add_nc_u32_e32 v15, s11, v11
	s_add_co_i32 s9, s36, 16
	s_movk_i32 s5, 0x90
	s_movk_i32 s38, 0x210
	;; [unrolled: 1-line block ×3, first 2 shown]
	v_ashrrev_i32_e32 v16, 31, v15
	v_add_nc_u32_e32 v11, s11, v15
	s_add_co_i32 s69, s8, 16
	s_add_co_i32 s67, s10, 16
	;; [unrolled: 1-line block ×3, first 2 shown]
	v_lshlrev_b64_e32 v[13:14], 4, v[15:16]
	v_ashrrev_i32_e32 v12, 31, v11
	v_add_nc_u32_e32 v15, s11, v11
	s_add_co_i32 s8, s39, 16
	s_movk_i32 s4, 0x80
	s_movk_i32 s40, 0x230
	v_lshlrev_b64_e32 v[9:10], 4, v[11:12]
	v_add_nc_u32_e32 v11, s11, v15
	v_ashrrev_i32_e32 v16, 31, v15
	v_add_co_u32 v84, vcc_lo, s0, v13
	s_wait_alu 0xfffd
	v_add_co_ci_u32_e64 v85, null, s1, v14, vcc_lo
	v_ashrrev_i32_e32 v12, 31, v11
	v_lshlrev_b64_e32 v[13:14], 4, v[15:16]
	v_add_co_u32 v86, vcc_lo, s0, v9
	s_wait_alu 0xfffd
	v_add_co_ci_u32_e64 v87, null, s1, v10, vcc_lo
	v_lshlrev_b64_e32 v[9:10], 4, v[11:12]
	s_delay_alu instid0(VALU_DEP_4)
	v_add_co_u32 v90, vcc_lo, s0, v13
	s_wait_alu 0xfffd
	v_add_co_ci_u32_e64 v91, null, s1, v14, vcc_lo
	s_movk_i32 s41, 0x240
	v_add_co_u32 v88, vcc_lo, s0, v9
	v_add_nc_u32_e32 v9, s11, v11
	s_wait_alu 0xfffd
	v_add_co_ci_u32_e64 v89, null, s1, v10, vcc_lo
	s_clause 0x3
	global_load_b128 v[194:197], v[84:85], off
	global_load_b128 v[198:201], v[86:87], off
	global_load_b128 v[202:205], v[90:91], off
	global_load_b128 v[206:209], v[88:89], off
	s_movk_i32 s44, 0x270
	v_add_nc_u32_e32 v11, s11, v9
	v_ashrrev_i32_e32 v10, 31, v9
	s_add_co_i32 s70, s5, 16
	s_add_co_i32 s5, s38, 16
	;; [unrolled: 1-line block ×3, first 2 shown]
	v_add_nc_u32_e32 v13, s11, v11
	v_lshlrev_b64_e32 v[9:10], 4, v[9:10]
	v_ashrrev_i32_e32 v12, 31, v11
	s_movk_i32 s34, 0x1d0
	s_movk_i32 s42, 0x250
	v_add_nc_u32_e32 v15, s11, v13
	v_ashrrev_i32_e32 v14, 31, v13
	v_lshlrev_b64_e32 v[11:12], 4, v[11:12]
	v_add_co_u32 v92, vcc_lo, s0, v9
	s_delay_alu instid0(VALU_DEP_4)
	v_add_nc_u32_e32 v17, s11, v15
	v_ashrrev_i32_e32 v16, 31, v15
	s_wait_alu 0xfffd
	v_add_co_ci_u32_e64 v93, null, s1, v10, vcc_lo
	v_lshlrev_b64_e32 v[9:10], 4, v[13:14]
	v_add_nc_u32_e32 v21, s11, v17
	v_ashrrev_i32_e32 v18, 31, v17
	v_lshlrev_b64_e32 v[19:20], 4, v[15:16]
	v_add_co_u32 v94, vcc_lo, s0, v11
	s_delay_alu instid0(VALU_DEP_4)
	v_add_nc_u32_e32 v25, s11, v21
	v_ashrrev_i32_e32 v22, 31, v21
	v_lshlrev_b64_e32 v[17:18], 4, v[17:18]
	s_wait_alu 0xfffd
	v_add_co_ci_u32_e64 v95, null, s1, v12, vcc_lo
	v_add_nc_u32_e32 v29, s11, v25
	v_ashrrev_i32_e32 v26, 31, v25
	v_add_co_u32 v96, vcc_lo, s0, v9
	v_lshlrev_b64_e32 v[27:28], 4, v[21:22]
	s_delay_alu instid0(VALU_DEP_4)
	v_add_nc_u32_e32 v106, s11, v29
	v_ashrrev_i32_e32 v30, 31, v29
	s_wait_alu 0xfffd
	v_add_co_ci_u32_e64 v97, null, s1, v10, vcc_lo
	v_add_co_u32 v98, vcc_lo, s0, v19
	v_add_nc_u32_e32 v110, s11, v106
	v_ashrrev_i32_e32 v107, 31, v106
	v_lshlrev_b64_e32 v[25:26], 4, v[25:26]
	s_wait_alu 0xfffd
	v_add_co_ci_u32_e64 v99, null, s1, v20, vcc_lo
	v_add_co_u32 v100, vcc_lo, s0, v17
	v_lshlrev_b64_e32 v[108:109], 4, v[29:30]
	v_add_nc_u32_e32 v114, s11, v110
	s_wait_alu 0xfffd
	v_add_co_ci_u32_e64 v101, null, s1, v18, vcc_lo
	v_add_co_u32 v102, vcc_lo, s0, v27
	v_lshlrev_b64_e32 v[112:113], 4, v[106:107]
	s_wait_alu 0xfffd
	v_add_co_ci_u32_e64 v103, null, s1, v28, vcc_lo
	v_add_co_u32 v104, vcc_lo, s0, v25
	v_ashrrev_i32_e32 v115, 31, v114
	v_add_nc_u32_e32 v116, s11, v114
	s_wait_alu 0xfffd
	v_add_co_ci_u32_e64 v105, null, s1, v26, vcc_lo
	v_add_co_u32 v106, vcc_lo, s0, v108
	s_wait_alu 0xfffd
	v_add_co_ci_u32_e64 v107, null, s1, v109, vcc_lo
	v_add_co_u32 v108, vcc_lo, s0, v112
	s_wait_alu 0xfffd
	v_add_co_ci_u32_e64 v109, null, s1, v113, vcc_lo
	v_lshlrev_b64_e32 v[112:113], 4, v[114:115]
	v_add_nc_u32_e32 v114, s11, v116
	v_ashrrev_i32_e32 v111, 31, v110
	v_ashrrev_i32_e32 v117, 31, v116
	s_clause 0x3
	global_load_b128 v[9:12], v[92:93], off
	global_load_b128 v[13:16], v[94:95], off
	;; [unrolled: 1-line block ×4, first 2 shown]
	v_add_nc_u32_e32 v118, s11, v114
	v_lshlrev_b64_e32 v[110:111], 4, v[110:111]
	v_ashrrev_i32_e32 v115, 31, v114
	v_lshlrev_b64_e32 v[116:117], 4, v[116:117]
	s_clause 0x1
	global_load_b128 v[29:32], v[100:101], off
	global_load_b128 v[25:28], v[102:103], off
	v_add_nc_u32_e32 v122, s11, v118
	v_ashrrev_i32_e32 v119, 31, v118
	v_add_co_u32 v110, vcc_lo, s0, v110
	v_lshlrev_b64_e32 v[120:121], 4, v[114:115]
	s_wait_alu 0xfffd
	v_add_co_ci_u32_e64 v111, null, s1, v111, vcc_lo
	v_add_co_u32 v112, vcc_lo, s0, v112
	v_ashrrev_i32_e32 v123, 31, v122
	v_add_nc_u32_e32 v124, s11, v122
	s_wait_alu 0xfffd
	v_add_co_ci_u32_e64 v113, null, s1, v113, vcc_lo
	v_add_co_u32 v114, vcc_lo, s0, v116
	s_wait_alu 0xfffd
	v_add_co_ci_u32_e64 v115, null, s1, v117, vcc_lo
	v_add_co_u32 v116, vcc_lo, s0, v120
	s_wait_alu 0xfffd
	v_add_co_ci_u32_e64 v117, null, s1, v121, vcc_lo
	v_lshlrev_b64_e32 v[120:121], 4, v[122:123]
	v_add_nc_u32_e32 v122, s11, v124
	v_ashrrev_i32_e32 v125, 31, v124
	v_lshlrev_b64_e32 v[118:119], 4, v[118:119]
	s_movk_i32 s45, 0x280
	s_movk_i32 s49, 0x2a0
	v_add_nc_u32_e32 v126, s11, v122
	v_ashrrev_i32_e32 v123, 31, v122
	v_lshlrev_b64_e32 v[124:125], 4, v[124:125]
	v_add_co_u32 v118, vcc_lo, s0, v118
	s_delay_alu instid0(VALU_DEP_4) | instskip(NEXT) | instid1(VALU_DEP_4)
	v_add_nc_u32_e32 v130, s11, v126
	v_lshlrev_b64_e32 v[128:129], 4, v[122:123]
	s_wait_alu 0xfffd
	v_add_co_ci_u32_e64 v119, null, s1, v119, vcc_lo
	v_add_co_u32 v120, vcc_lo, s0, v120
	v_ashrrev_i32_e32 v131, 31, v130
	v_add_nc_u32_e32 v132, s11, v130
	s_wait_alu 0xfffd
	v_add_co_ci_u32_e64 v121, null, s1, v121, vcc_lo
	v_add_co_u32 v122, vcc_lo, s0, v124
	s_wait_alu 0xfffd
	v_add_co_ci_u32_e64 v123, null, s1, v125, vcc_lo
	v_add_co_u32 v124, vcc_lo, s0, v128
	s_wait_alu 0xfffd
	v_add_co_ci_u32_e64 v125, null, s1, v129, vcc_lo
	v_lshlrev_b64_e32 v[128:129], 4, v[130:131]
	v_add_nc_u32_e32 v130, s11, v132
	v_ashrrev_i32_e32 v127, 31, v126
	v_ashrrev_i32_e32 v133, 31, v132
	s_add_co_i32 s71, s4, 16
	s_add_co_i32 s4, s40, 16
	v_add_nc_u32_e32 v134, s11, v130
	v_lshlrev_b64_e32 v[126:127], 4, v[126:127]
	v_ashrrev_i32_e32 v131, 31, v130
	v_lshlrev_b64_e32 v[132:133], 4, v[132:133]
	s_add_co_i32 s51, s41, 16
	v_add_nc_u32_e32 v214, s11, v134
	v_ashrrev_i32_e32 v135, 31, v134
	v_add_co_u32 v126, vcc_lo, s0, v126
	v_lshlrev_b64_e32 v[136:137], 4, v[130:131]
	s_delay_alu instid0(VALU_DEP_4)
	v_ashrrev_i32_e32 v215, 31, v214
	v_add_nc_u32_e32 v216, s11, v214
	s_wait_alu 0xfffd
	v_add_co_ci_u32_e64 v127, null, s1, v127, vcc_lo
	v_add_co_u32 v128, vcc_lo, s0, v128
	s_wait_alu 0xfffd
	v_add_co_ci_u32_e64 v129, null, s1, v129, vcc_lo
	v_add_co_u32 v130, vcc_lo, s0, v132
	s_wait_alu 0xfffd
	v_add_co_ci_u32_e64 v131, null, s1, v133, vcc_lo
	v_add_co_u32 v132, vcc_lo, s0, v136
	s_wait_alu 0xfffd
	v_add_co_ci_u32_e64 v133, null, s1, v137, vcc_lo
	v_ashrrev_i32_e32 v217, 31, v216
	s_add_co_i32 s41, s44, 16
	s_movk_i32 s14, 0x100
	s_movk_i32 s15, 0x110
	;; [unrolled: 1-line block ×6, first 2 shown]
	s_add_co_i32 s47, s42, 16
	s_add_co_i32 s42, s45, 16
	s_movk_i32 s22, 0x130
	s_movk_i32 s23, 0x140
	;; [unrolled: 1-line block ×6, first 2 shown]
	s_add_co_i32 s63, s14, 16
	s_add_co_i32 s62, s15, 16
	;; [unrolled: 1-line block ×6, first 2 shown]
	s_movk_i32 s3, 0x70
	s_movk_i32 s24, 0x150
	;; [unrolled: 1-line block ×3, first 2 shown]
	s_add_co_i32 s60, s22, 16
	s_add_co_i32 s26, s23, 16
	;; [unrolled: 1-line block ×6, first 2 shown]
	s_wait_alu 0xfffe
	s_add_co_i32 s72, s3, 16
	s_add_co_i32 s24, s24, 16
	;; [unrolled: 1-line block ×3, first 2 shown]
	s_mov_b32 s58, 32
	s_mov_b32 s57, 48
	;; [unrolled: 1-line block ×3, first 2 shown]
	s_movk_i32 s55, 0x50
	s_wait_loadcnt 0x1c
	scratch_store_b128 off, v[1:4], off offset:16
	s_clause 0x1
	global_load_b128 v[1:4], v[104:105], off
	global_load_b128 v[210:213], v[106:107], off
	s_wait_loadcnt 0x1d
	scratch_store_b128 off, v[5:8], off offset:32
	s_wait_loadcnt 0x1c
	scratch_store_b128 off, v[34:37], off offset:48
	s_wait_loadcnt 0x1b
	scratch_store_b128 off, v[38:41], off offset:64
	v_lshlrev_b64_e32 v[40:41], 4, v[214:215]
	v_add_nc_u32_e32 v214, s11, v216
	v_lshlrev_b64_e32 v[38:39], 4, v[134:135]
	s_clause 0x1
	global_load_b128 v[5:8], v[108:109], off
	global_load_b128 v[34:37], v[110:111], off
	v_add_nc_u32_e32 v222, s11, v214
	v_ashrrev_i32_e32 v215, 31, v214
	v_add_co_u32 v134, vcc_lo, s0, v38
	s_wait_alu 0xfffd
	v_add_co_ci_u32_e64 v135, null, s1, v39, vcc_lo
	v_ashrrev_i32_e32 v223, 31, v222
	v_add_co_u32 v136, vcc_lo, s0, v40
	s_wait_alu 0xfffd
	v_add_co_ci_u32_e64 v137, null, s1, v41, vcc_lo
	s_wait_loadcnt 0x1c
	scratch_store_b128 off, v[42:45], off offset:80
	s_wait_loadcnt 0x1b
	scratch_store_b128 off, v[138:141], off offset:96
	;; [unrolled: 2-line block ×3, first 2 shown]
	s_clause 0x1
	global_load_b128 v[38:41], v[112:113], off
	global_load_b128 v[42:45], v[114:115], off
	s_wait_loadcnt 0x1b
	scratch_store_b128 off, v[146:149], off offset:128
	s_wait_loadcnt 0x1a
	scratch_store_b128 off, v[150:153], off offset:144
	;; [unrolled: 2-line block ×3, first 2 shown]
	v_lshlrev_b64_e32 v[138:139], 4, v[216:217]
	v_lshlrev_b64_e32 v[140:141], 4, v[214:215]
	s_clause 0x1
	global_load_b128 v[214:217], v[116:117], off
	global_load_b128 v[218:221], v[118:119], off
	s_wait_loadcnt 0x1a
	scratch_store_b128 off, v[158:161], off offset:176
	s_wait_loadcnt 0x19
	scratch_store_b128 off, v[162:165], off offset:192
	;; [unrolled: 2-line block ×3, first 2 shown]
	v_add_nc_u32_e32 v142, s11, v222
	v_lshlrev_b64_e32 v[144:145], 4, v[222:223]
	s_clause 0x1
	global_load_b128 v[222:225], v[120:121], off
	global_load_b128 v[226:229], v[122:123], off
	s_wait_loadcnt 0x19
	scratch_store_b128 off, v[170:173], off offset:224
	s_wait_loadcnt 0x18
	scratch_store_b128 off, v[174:177], off offset:240
	;; [unrolled: 2-line block ×3, first 2 shown]
	s_clause 0x1
	global_load_b128 v[170:173], v[124:125], off
	global_load_b128 v[174:177], v[126:127], off
	v_add_nc_u32_e32 v146, s11, v142
	v_ashrrev_i32_e32 v143, 31, v142
	v_add_co_u32 v138, vcc_lo, s0, v138
	s_wait_alu 0xfffd
	v_add_co_ci_u32_e64 v139, null, s1, v139, vcc_lo
	v_add_nc_u32_e32 v150, s11, v146
	v_lshlrev_b64_e32 v[148:149], 4, v[142:143]
	v_add_co_u32 v140, vcc_lo, s0, v140
	s_wait_alu 0xfffd
	v_add_co_ci_u32_e64 v141, null, s1, v141, vcc_lo
	s_wait_loadcnt 0x18
	scratch_store_b128 off, v[182:185], off offset:272
	s_wait_loadcnt 0x17
	scratch_store_b128 off, v[186:189], off offset:288
	s_wait_loadcnt 0x16
	scratch_store_b128 off, v[190:193], off offset:304
	s_clause 0x1
	global_load_b128 v[178:181], v[128:129], off
	global_load_b128 v[182:185], v[130:131], off
	v_ashrrev_i32_e32 v151, 31, v150
	v_add_nc_u32_e32 v152, s11, v150
	v_add_co_u32 v142, vcc_lo, s0, v144
	s_wait_alu 0xfffd
	v_add_co_ci_u32_e64 v143, null, s1, v145, vcc_lo
	v_add_co_u32 v144, vcc_lo, s0, v148
	v_ashrrev_i32_e32 v147, 31, v146
	s_wait_alu 0xfffd
	v_add_co_ci_u32_e64 v145, null, s1, v149, vcc_lo
	v_lshlrev_b64_e32 v[148:149], 4, v[150:151]
	v_add_nc_u32_e32 v150, s11, v152
	v_ashrrev_i32_e32 v153, 31, v152
	v_lshlrev_b64_e32 v[146:147], 4, v[146:147]
	s_delay_alu instid0(VALU_DEP_3) | instskip(SKIP_1) | instid1(VALU_DEP_4)
	v_ashrrev_i32_e32 v151, 31, v150
	v_add_nc_u32_e32 v154, s11, v150
	v_lshlrev_b64_e32 v[152:153], 4, v[152:153]
	s_delay_alu instid0(VALU_DEP_4) | instskip(NEXT) | instid1(VALU_DEP_4)
	v_add_co_u32 v146, vcc_lo, s0, v146
	v_lshlrev_b64_e32 v[156:157], 4, v[150:151]
	s_delay_alu instid0(VALU_DEP_4)
	v_add_nc_u32_e32 v158, s11, v154
	s_wait_alu 0xfffd
	v_add_co_ci_u32_e64 v147, null, s1, v147, vcc_lo
	v_add_co_u32 v148, vcc_lo, s0, v148
	s_wait_alu 0xfffd
	v_add_co_ci_u32_e64 v149, null, s1, v149, vcc_lo
	v_add_co_u32 v150, vcc_lo, s0, v152
	;; [unrolled: 3-line block ×3, first 2 shown]
	v_add_nc_u32_e32 v156, s11, v158
	v_ashrrev_i32_e32 v155, 31, v154
	v_ashrrev_i32_e32 v159, 31, v158
	s_wait_alu 0xfffd
	v_add_co_ci_u32_e64 v153, null, s1, v157, vcc_lo
	v_add_nc_u32_e32 v160, s11, v156
	v_ashrrev_i32_e32 v157, 31, v156
	v_lshlrev_b64_e32 v[154:155], 4, v[154:155]
	v_lshlrev_b64_e32 v[158:159], 4, v[158:159]
	s_wait_loadcnt 0x17
	scratch_store_b128 off, v[194:197], off offset:320
	v_add_nc_u32_e32 v164, s11, v160
	v_lshlrev_b64_e32 v[162:163], 4, v[156:157]
	v_ashrrev_i32_e32 v161, 31, v160
	v_add_co_u32 v154, vcc_lo, s0, v154
	s_delay_alu instid0(VALU_DEP_4)
	v_ashrrev_i32_e32 v165, 31, v164
	v_add_nc_u32_e32 v166, s11, v164
	s_wait_alu 0xfffd
	v_add_co_ci_u32_e64 v155, null, s1, v155, vcc_lo
	v_add_co_u32 v156, vcc_lo, s0, v158
	s_wait_alu 0xfffd
	v_add_co_ci_u32_e64 v157, null, s1, v159, vcc_lo
	v_add_co_u32 v158, vcc_lo, s0, v162
	s_wait_alu 0xfffd
	v_add_co_ci_u32_e64 v159, null, s1, v163, vcc_lo
	v_lshlrev_b64_e32 v[162:163], 4, v[164:165]
	v_add_nc_u32_e32 v164, s11, v166
	v_ashrrev_i32_e32 v167, 31, v166
	v_lshlrev_b64_e32 v[160:161], 4, v[160:161]
	s_wait_loadcnt 0x16
	scratch_store_b128 off, v[198:201], off offset:336
	s_wait_loadcnt 0x15
	scratch_store_b128 off, v[202:205], off offset:352
	;; [unrolled: 2-line block ×3, first 2 shown]
	v_add_nc_u32_e32 v230, s11, v164
	v_ashrrev_i32_e32 v165, 31, v164
	v_lshlrev_b64_e32 v[166:167], 4, v[166:167]
	v_add_co_u32 v160, vcc_lo, s0, v160
	s_delay_alu instid0(VALU_DEP_4) | instskip(NEXT) | instid1(VALU_DEP_4)
	v_ashrrev_i32_e32 v231, 31, v230
	v_lshlrev_b64_e32 v[168:169], 4, v[164:165]
	s_wait_alu 0xfffd
	v_add_co_ci_u32_e64 v161, null, s1, v161, vcc_lo
	v_add_co_u32 v162, vcc_lo, s0, v162
	v_lshlrev_b64_e32 v[186:187], 4, v[230:231]
	s_wait_alu 0xfffd
	v_add_co_ci_u32_e64 v163, null, s1, v163, vcc_lo
	v_add_co_u32 v164, vcc_lo, s0, v166
	s_wait_alu 0xfffd
	v_add_co_ci_u32_e64 v165, null, s1, v167, vcc_lo
	v_add_co_u32 v166, vcc_lo, s0, v168
	;; [unrolled: 3-line block ×3, first 2 shown]
	s_wait_alu 0xfffd
	v_add_co_ci_u32_e64 v169, null, s1, v187, vcc_lo
	global_load_b128 v[186:189], v[132:133], off
	s_wait_loadcnt 0x14
	scratch_store_b128 off, v[9:12], off offset:384
	global_load_b128 v[9:12], v[134:135], off
	s_wait_loadcnt 0x14
	scratch_store_b128 off, v[13:16], off offset:400
	s_wait_loadcnt 0x13
	scratch_store_b128 off, v[21:24], off offset:416
	s_clause 0x1
	global_load_b128 v[13:16], v[136:137], off
	global_load_b128 v[21:24], v[138:139], off
	s_wait_loadcnt 0x14
	scratch_store_b128 off, v[17:20], off offset:432
	s_wait_loadcnt 0x13
	scratch_store_b128 off, v[29:32], off offset:448
	s_clause 0x1
	global_load_b128 v[17:20], v[140:141], off
	;; [unrolled: 7-line block ×7, first 2 shown]
	global_load_b128 v[202:205], v[162:163], off
	s_wait_loadcnt 0x14
	scratch_store_b128 off, v[226:229], off offset:624
	s_wait_loadcnt 0x13
	scratch_store_b128 off, v[170:173], off offset:640
	v_add_nc_u32_e32 v170, s11, v230
	s_clause 0x1
	global_load_b128 v[206:209], v[164:165], off
	global_load_b128 v[210:213], v[166:167], off
	s_wait_loadcnt 0x14
	scratch_store_b128 off, v[174:177], off offset:656
	global_load_b128 v[174:177], v[168:169], off
	v_add_nc_u32_e32 v172, s11, v170
	v_ashrrev_i32_e32 v171, 31, v170
	s_movk_i32 s11, 0xd0
	s_wait_alu 0xfffe
	s_add_co_i32 s66, s11, 16
	v_ashrrev_i32_e32 v173, 31, v172
	v_lshlrev_b64_e32 v[170:171], 4, v[170:171]
	s_add_co_i32 s11, s34, 16
	s_add_co_i32 s34, s49, 16
	s_delay_alu instid0(VALU_DEP_2) | instskip(NEXT) | instid1(VALU_DEP_2)
	v_lshlrev_b64_e32 v[172:173], 4, v[172:173]
	v_add_co_u32 v170, vcc_lo, s0, v170
	s_wait_alu 0xfffd
	v_add_co_ci_u32_e64 v171, null, s1, v171, vcc_lo
	s_delay_alu instid0(VALU_DEP_3)
	v_add_co_u32 v172, vcc_lo, s0, v172
	s_wait_alu 0xfffd
	v_add_co_ci_u32_e64 v173, null, s1, v173, vcc_lo
	s_wait_loadcnt 0x14
	scratch_store_b128 off, v[178:181], off offset:672
	global_load_b128 v[178:181], v[170:171], off
	s_wait_loadcnt 0x14
	scratch_store_b128 off, v[182:185], off offset:688
	global_load_b128 v[182:185], v[172:173], off
	s_movk_i32 s0, 0x50
	s_movk_i32 s1, 0x60
	s_wait_alu 0xfffe
	s_add_co_i32 s74, s0, 16
	s_add_co_i32 s73, s1, 16
	s_movk_i32 s0, 0x2e0
	s_movk_i32 s1, 0x2f0
	s_wait_alu 0xfffe
	s_add_co_i32 s35, s0, 16
	s_add_co_i32 s28, s1, 16
	;; [unrolled: 5-line block ×10, first 2 shown]
	s_bitcmp0_b32 s2, 0
	s_mov_b32 s1, -1
	s_wait_loadcnt 0x14
	scratch_store_b128 off, v[186:189], off offset:704
	s_wait_loadcnt 0x13
	scratch_store_b128 off, v[9:12], off offset:720
	;; [unrolled: 2-line block ×21, first 2 shown]
	s_cbranch_scc1 .LBB63_280
; %bb.4:
	v_cmp_eq_u32_e64 s0, 0, v0
	s_and_saveexec_b32 s1, s0
; %bb.5:
	v_mov_b32_e32 v1, 0
	ds_store_b32 v1, v1 offset:2048
; %bb.6:
	s_wait_alu 0xfffe
	s_or_b32 exec_lo, exec_lo, s1
	s_wait_storecnt_dscnt 0x0
	s_barrier_signal -1
	s_barrier_wait -1
	global_inv scope:SCOPE_SE
	scratch_load_b128 v[1:4], v33, off offset:16
	s_wait_loadcnt 0x0
	v_cmp_eq_f64_e32 vcc_lo, 0, v[1:2]
	v_cmp_eq_f64_e64 s1, 0, v[3:4]
	s_and_b32 s1, vcc_lo, s1
	s_wait_alu 0xfffe
	s_and_saveexec_b32 s2, s1
	s_cbranch_execz .LBB63_10
; %bb.7:
	v_mov_b32_e32 v1, 0
	s_mov_b32 s3, 0
	ds_load_b32 v2, v1 offset:2048
	s_wait_dscnt 0x0
	v_readfirstlane_b32 s1, v2
	v_add_nc_u32_e32 v2, 1, v0
	s_cmp_eq_u32 s1, 0
	s_delay_alu instid0(VALU_DEP_1) | instskip(SKIP_1) | instid1(SALU_CYCLE_1)
	v_cmp_gt_i32_e32 vcc_lo, s1, v2
	s_cselect_b32 s75, -1, 0
	s_or_b32 s75, s75, vcc_lo
	s_delay_alu instid0(SALU_CYCLE_1)
	s_and_b32 exec_lo, exec_lo, s75
	s_cbranch_execz .LBB63_10
; %bb.8:
	v_mov_b32_e32 v3, s1
.LBB63_9:                               ; =>This Inner Loop Header: Depth=1
	ds_cmpstore_rtn_b32 v3, v1, v2, v3 offset:2048
	s_wait_dscnt 0x0
	v_cmp_ne_u32_e32 vcc_lo, 0, v3
	v_cmp_le_i32_e64 s1, v3, v2
	s_and_b32 s1, vcc_lo, s1
	s_wait_alu 0xfffe
	s_and_b32 s1, exec_lo, s1
	s_wait_alu 0xfffe
	s_or_b32 s3, s1, s3
	s_wait_alu 0xfffe
	s_and_not1_b32 exec_lo, exec_lo, s3
	s_cbranch_execnz .LBB63_9
.LBB63_10:
	s_wait_alu 0xfffe
	s_or_b32 exec_lo, exec_lo, s2
	v_mov_b32_e32 v1, 0
	s_barrier_signal -1
	s_barrier_wait -1
	global_inv scope:SCOPE_SE
	ds_load_b32 v2, v1 offset:2048
	s_and_saveexec_b32 s1, s0
	s_cbranch_execz .LBB63_12
; %bb.11:
	s_lshl_b64 s[2:3], s[18:19], 2
	s_wait_alu 0xfffe
	s_add_nc_u64 s[2:3], s[6:7], s[2:3]
	s_wait_dscnt 0x0
	global_store_b32 v1, v2, s[2:3]
.LBB63_12:
	s_wait_alu 0xfffe
	s_or_b32 exec_lo, exec_lo, s1
	s_wait_dscnt 0x0
	v_cmp_ne_u32_e32 vcc_lo, 0, v2
	s_mov_b32 s1, 0
	s_cbranch_vccnz .LBB63_280
; %bb.13:
	v_add_nc_u32_e32 v13, 16, v33
                                        ; implicit-def: $vgpr1_vgpr2
                                        ; implicit-def: $vgpr9_vgpr10
	scratch_load_b128 v[5:8], v13, off
	s_wait_loadcnt 0x0
	v_cmp_ngt_f64_e64 s1, |v[5:6]|, |v[7:8]|
	s_wait_alu 0xfffe
	s_and_saveexec_b32 s2, s1
	s_wait_alu 0xfffe
	s_xor_b32 s1, exec_lo, s2
	s_cbranch_execz .LBB63_15
; %bb.14:
	v_div_scale_f64 v[1:2], null, v[7:8], v[7:8], v[5:6]
	v_div_scale_f64 v[11:12], vcc_lo, v[5:6], v[7:8], v[5:6]
	s_delay_alu instid0(VALU_DEP_2) | instskip(NEXT) | instid1(TRANS32_DEP_1)
	v_rcp_f64_e32 v[3:4], v[1:2]
	v_fma_f64 v[9:10], -v[1:2], v[3:4], 1.0
	s_delay_alu instid0(VALU_DEP_1) | instskip(NEXT) | instid1(VALU_DEP_1)
	v_fma_f64 v[3:4], v[3:4], v[9:10], v[3:4]
	v_fma_f64 v[9:10], -v[1:2], v[3:4], 1.0
	s_delay_alu instid0(VALU_DEP_1) | instskip(NEXT) | instid1(VALU_DEP_1)
	v_fma_f64 v[3:4], v[3:4], v[9:10], v[3:4]
	v_mul_f64_e32 v[9:10], v[11:12], v[3:4]
	s_delay_alu instid0(VALU_DEP_1) | instskip(SKIP_1) | instid1(VALU_DEP_1)
	v_fma_f64 v[1:2], -v[1:2], v[9:10], v[11:12]
	s_wait_alu 0xfffd
	v_div_fmas_f64 v[1:2], v[1:2], v[3:4], v[9:10]
	s_delay_alu instid0(VALU_DEP_1) | instskip(NEXT) | instid1(VALU_DEP_1)
	v_div_fixup_f64 v[1:2], v[1:2], v[7:8], v[5:6]
	v_fma_f64 v[3:4], v[5:6], v[1:2], v[7:8]
	s_delay_alu instid0(VALU_DEP_1) | instskip(SKIP_1) | instid1(VALU_DEP_2)
	v_div_scale_f64 v[5:6], null, v[3:4], v[3:4], 1.0
	v_div_scale_f64 v[11:12], vcc_lo, 1.0, v[3:4], 1.0
	v_rcp_f64_e32 v[7:8], v[5:6]
	s_delay_alu instid0(TRANS32_DEP_1) | instskip(NEXT) | instid1(VALU_DEP_1)
	v_fma_f64 v[9:10], -v[5:6], v[7:8], 1.0
	v_fma_f64 v[7:8], v[7:8], v[9:10], v[7:8]
	s_delay_alu instid0(VALU_DEP_1) | instskip(NEXT) | instid1(VALU_DEP_1)
	v_fma_f64 v[9:10], -v[5:6], v[7:8], 1.0
	v_fma_f64 v[7:8], v[7:8], v[9:10], v[7:8]
	s_delay_alu instid0(VALU_DEP_1) | instskip(NEXT) | instid1(VALU_DEP_1)
	v_mul_f64_e32 v[9:10], v[11:12], v[7:8]
	v_fma_f64 v[5:6], -v[5:6], v[9:10], v[11:12]
	s_wait_alu 0xfffd
	s_delay_alu instid0(VALU_DEP_1) | instskip(NEXT) | instid1(VALU_DEP_1)
	v_div_fmas_f64 v[5:6], v[5:6], v[7:8], v[9:10]
	v_div_fixup_f64 v[3:4], v[5:6], v[3:4], 1.0
                                        ; implicit-def: $vgpr5_vgpr6
	s_delay_alu instid0(VALU_DEP_1) | instskip(SKIP_1) | instid1(VALU_DEP_2)
	v_mul_f64_e32 v[1:2], v[1:2], v[3:4]
	v_xor_b32_e32 v4, 0x80000000, v4
	v_xor_b32_e32 v10, 0x80000000, v2
	s_delay_alu instid0(VALU_DEP_3)
	v_mov_b32_e32 v9, v1
.LBB63_15:
	s_wait_alu 0xfffe
	s_and_not1_saveexec_b32 s1, s1
	s_cbranch_execz .LBB63_17
; %bb.16:
	v_div_scale_f64 v[1:2], null, v[5:6], v[5:6], v[7:8]
	v_div_scale_f64 v[11:12], vcc_lo, v[7:8], v[5:6], v[7:8]
	s_delay_alu instid0(VALU_DEP_2) | instskip(NEXT) | instid1(TRANS32_DEP_1)
	v_rcp_f64_e32 v[3:4], v[1:2]
	v_fma_f64 v[9:10], -v[1:2], v[3:4], 1.0
	s_delay_alu instid0(VALU_DEP_1) | instskip(NEXT) | instid1(VALU_DEP_1)
	v_fma_f64 v[3:4], v[3:4], v[9:10], v[3:4]
	v_fma_f64 v[9:10], -v[1:2], v[3:4], 1.0
	s_delay_alu instid0(VALU_DEP_1) | instskip(NEXT) | instid1(VALU_DEP_1)
	v_fma_f64 v[3:4], v[3:4], v[9:10], v[3:4]
	v_mul_f64_e32 v[9:10], v[11:12], v[3:4]
	s_delay_alu instid0(VALU_DEP_1) | instskip(SKIP_1) | instid1(VALU_DEP_1)
	v_fma_f64 v[1:2], -v[1:2], v[9:10], v[11:12]
	s_wait_alu 0xfffd
	v_div_fmas_f64 v[1:2], v[1:2], v[3:4], v[9:10]
	s_delay_alu instid0(VALU_DEP_1) | instskip(NEXT) | instid1(VALU_DEP_1)
	v_div_fixup_f64 v[3:4], v[1:2], v[5:6], v[7:8]
	v_fma_f64 v[1:2], v[7:8], v[3:4], v[5:6]
	s_delay_alu instid0(VALU_DEP_1) | instskip(NEXT) | instid1(VALU_DEP_1)
	v_div_scale_f64 v[5:6], null, v[1:2], v[1:2], 1.0
	v_rcp_f64_e32 v[7:8], v[5:6]
	s_delay_alu instid0(TRANS32_DEP_1) | instskip(NEXT) | instid1(VALU_DEP_1)
	v_fma_f64 v[9:10], -v[5:6], v[7:8], 1.0
	v_fma_f64 v[7:8], v[7:8], v[9:10], v[7:8]
	s_delay_alu instid0(VALU_DEP_1) | instskip(NEXT) | instid1(VALU_DEP_1)
	v_fma_f64 v[9:10], -v[5:6], v[7:8], 1.0
	v_fma_f64 v[7:8], v[7:8], v[9:10], v[7:8]
	v_div_scale_f64 v[9:10], vcc_lo, 1.0, v[1:2], 1.0
	s_delay_alu instid0(VALU_DEP_1) | instskip(NEXT) | instid1(VALU_DEP_1)
	v_mul_f64_e32 v[11:12], v[9:10], v[7:8]
	v_fma_f64 v[5:6], -v[5:6], v[11:12], v[9:10]
	s_wait_alu 0xfffd
	s_delay_alu instid0(VALU_DEP_1) | instskip(NEXT) | instid1(VALU_DEP_1)
	v_div_fmas_f64 v[5:6], v[5:6], v[7:8], v[11:12]
	v_div_fixup_f64 v[1:2], v[5:6], v[1:2], 1.0
	s_delay_alu instid0(VALU_DEP_1)
	v_mul_f64_e64 v[3:4], v[3:4], -v[1:2]
	v_xor_b32_e32 v10, 0x80000000, v2
	v_mov_b32_e32 v9, v1
.LBB63_17:
	s_wait_alu 0xfffe
	s_or_b32 exec_lo, exec_lo, s1
	scratch_store_b128 v13, v[1:4], off
	scratch_load_b128 v[14:17], off, s58
	v_xor_b32_e32 v12, 0x80000000, v4
	v_mov_b32_e32 v11, v3
	v_or_b32_e32 v5, 0x400, v33
	ds_store_b128 v33, v[9:12]
	s_wait_loadcnt 0x0
	ds_store_b128 v33, v[14:17] offset:1024
	s_wait_storecnt_dscnt 0x0
	s_barrier_signal -1
	s_barrier_wait -1
	global_inv scope:SCOPE_SE
	s_and_saveexec_b32 s1, s0
	s_cbranch_execz .LBB63_19
; %bb.18:
	scratch_load_b128 v[1:4], v13, off
	ds_load_b128 v[6:9], v5
	v_mov_b32_e32 v10, 0
	ds_load_b128 v[14:17], v10 offset:16
	s_wait_loadcnt_dscnt 0x1
	v_mul_f64_e32 v[10:11], v[6:7], v[3:4]
	v_mul_f64_e32 v[3:4], v[8:9], v[3:4]
	s_delay_alu instid0(VALU_DEP_2) | instskip(NEXT) | instid1(VALU_DEP_2)
	v_fma_f64 v[8:9], v[8:9], v[1:2], v[10:11]
	v_fma_f64 v[1:2], v[6:7], v[1:2], -v[3:4]
	s_delay_alu instid0(VALU_DEP_2) | instskip(NEXT) | instid1(VALU_DEP_2)
	v_add_f64_e32 v[3:4], 0, v[8:9]
	v_add_f64_e32 v[1:2], 0, v[1:2]
	s_wait_dscnt 0x0
	s_delay_alu instid0(VALU_DEP_2) | instskip(NEXT) | instid1(VALU_DEP_2)
	v_mul_f64_e32 v[6:7], v[3:4], v[16:17]
	v_mul_f64_e32 v[8:9], v[1:2], v[16:17]
	s_delay_alu instid0(VALU_DEP_2) | instskip(NEXT) | instid1(VALU_DEP_2)
	v_fma_f64 v[1:2], v[1:2], v[14:15], -v[6:7]
	v_fma_f64 v[3:4], v[3:4], v[14:15], v[8:9]
	scratch_store_b128 off, v[1:4], off offset:32
.LBB63_19:
	s_wait_alu 0xfffe
	s_or_b32 exec_lo, exec_lo, s1
	s_wait_loadcnt 0x0
	s_wait_storecnt 0x0
	s_barrier_signal -1
	s_barrier_wait -1
	global_inv scope:SCOPE_SE
	scratch_load_b128 v[1:4], off, s57
	v_cmp_gt_u32_e32 vcc_lo, 2, v0
	s_wait_loadcnt 0x0
	ds_store_b128 v5, v[1:4]
	s_wait_dscnt 0x0
	s_barrier_signal -1
	s_barrier_wait -1
	global_inv scope:SCOPE_SE
	s_and_saveexec_b32 s1, vcc_lo
	s_cbranch_execz .LBB63_23
; %bb.20:
	scratch_load_b128 v[1:4], v13, off
	ds_load_b128 v[6:9], v5
	s_wait_loadcnt_dscnt 0x0
	v_mul_f64_e32 v[10:11], v[8:9], v[3:4]
	v_mul_f64_e32 v[3:4], v[6:7], v[3:4]
	s_delay_alu instid0(VALU_DEP_2) | instskip(NEXT) | instid1(VALU_DEP_2)
	v_fma_f64 v[6:7], v[6:7], v[1:2], -v[10:11]
	v_fma_f64 v[3:4], v[8:9], v[1:2], v[3:4]
	s_delay_alu instid0(VALU_DEP_2) | instskip(NEXT) | instid1(VALU_DEP_2)
	v_add_f64_e32 v[1:2], 0, v[6:7]
	v_add_f64_e32 v[3:4], 0, v[3:4]
	s_and_saveexec_b32 s2, s0
	s_cbranch_execz .LBB63_22
; %bb.21:
	scratch_load_b128 v[6:9], off, off offset:32
	v_mov_b32_e32 v10, 0
	ds_load_b128 v[14:17], v10 offset:1040
	s_wait_loadcnt_dscnt 0x0
	v_mul_f64_e32 v[10:11], v[14:15], v[8:9]
	v_mul_f64_e32 v[8:9], v[16:17], v[8:9]
	s_delay_alu instid0(VALU_DEP_2) | instskip(NEXT) | instid1(VALU_DEP_2)
	v_fma_f64 v[10:11], v[16:17], v[6:7], v[10:11]
	v_fma_f64 v[6:7], v[14:15], v[6:7], -v[8:9]
	s_delay_alu instid0(VALU_DEP_2) | instskip(NEXT) | instid1(VALU_DEP_2)
	v_add_f64_e32 v[3:4], v[3:4], v[10:11]
	v_add_f64_e32 v[1:2], v[1:2], v[6:7]
.LBB63_22:
	s_wait_alu 0xfffe
	s_or_b32 exec_lo, exec_lo, s2
	v_mov_b32_e32 v6, 0
	ds_load_b128 v[6:9], v6 offset:32
	s_wait_dscnt 0x0
	v_mul_f64_e32 v[10:11], v[3:4], v[8:9]
	v_mul_f64_e32 v[8:9], v[1:2], v[8:9]
	s_delay_alu instid0(VALU_DEP_2) | instskip(NEXT) | instid1(VALU_DEP_2)
	v_fma_f64 v[1:2], v[1:2], v[6:7], -v[10:11]
	v_fma_f64 v[3:4], v[3:4], v[6:7], v[8:9]
	scratch_store_b128 off, v[1:4], off offset:48
.LBB63_23:
	s_wait_alu 0xfffe
	s_or_b32 exec_lo, exec_lo, s1
	s_wait_loadcnt 0x0
	s_wait_storecnt 0x0
	s_barrier_signal -1
	s_barrier_wait -1
	global_inv scope:SCOPE_SE
	scratch_load_b128 v[1:4], off, s56
	v_add_nc_u32_e32 v6, -1, v0
	s_mov_b32 s2, exec_lo
	s_wait_loadcnt 0x0
	ds_store_b128 v5, v[1:4]
	s_wait_dscnt 0x0
	s_barrier_signal -1
	s_barrier_wait -1
	global_inv scope:SCOPE_SE
	v_cmpx_gt_u32_e32 3, v0
	s_cbranch_execz .LBB63_27
; %bb.24:
	v_mov_b32_e32 v1, 0
	v_mov_b32_e32 v3, 0
	v_dual_mov_b32 v2, 0 :: v_dual_add_nc_u32 v7, -1, v0
	v_or_b32_e32 v8, 0x400, v33
	v_mov_b32_e32 v4, 0
	v_or_b32_e32 v9, 8, v13
	s_mov_b32 s3, 0
.LBB63_25:                              ; =>This Inner Loop Header: Depth=1
	scratch_load_b128 v[14:17], v9, off offset:-8
	ds_load_b128 v[18:21], v8
	v_add_nc_u32_e32 v7, 1, v7
	v_add_nc_u32_e32 v8, 16, v8
	;; [unrolled: 1-line block ×3, first 2 shown]
	s_delay_alu instid0(VALU_DEP_3)
	v_cmp_lt_u32_e64 s1, 1, v7
	s_wait_alu 0xfffe
	s_or_b32 s3, s1, s3
	s_wait_loadcnt_dscnt 0x0
	v_mul_f64_e32 v[10:11], v[20:21], v[16:17]
	v_mul_f64_e32 v[16:17], v[18:19], v[16:17]
	s_delay_alu instid0(VALU_DEP_2) | instskip(NEXT) | instid1(VALU_DEP_2)
	v_fma_f64 v[10:11], v[18:19], v[14:15], -v[10:11]
	v_fma_f64 v[14:15], v[20:21], v[14:15], v[16:17]
	s_delay_alu instid0(VALU_DEP_2) | instskip(NEXT) | instid1(VALU_DEP_2)
	v_add_f64_e32 v[3:4], v[3:4], v[10:11]
	v_add_f64_e32 v[1:2], v[1:2], v[14:15]
	s_wait_alu 0xfffe
	s_and_not1_b32 exec_lo, exec_lo, s3
	s_cbranch_execnz .LBB63_25
; %bb.26:
	s_or_b32 exec_lo, exec_lo, s3
	v_mov_b32_e32 v7, 0
	ds_load_b128 v[7:10], v7 offset:48
	s_wait_dscnt 0x0
	v_mul_f64_e32 v[11:12], v[1:2], v[9:10]
	v_mul_f64_e32 v[14:15], v[3:4], v[9:10]
	s_delay_alu instid0(VALU_DEP_2) | instskip(NEXT) | instid1(VALU_DEP_2)
	v_fma_f64 v[9:10], v[3:4], v[7:8], -v[11:12]
	v_fma_f64 v[11:12], v[1:2], v[7:8], v[14:15]
	scratch_store_b128 off, v[9:12], off offset:64
.LBB63_27:
	s_wait_alu 0xfffe
	s_or_b32 exec_lo, exec_lo, s2
	s_wait_loadcnt 0x0
	s_wait_storecnt 0x0
	s_barrier_signal -1
	s_barrier_wait -1
	global_inv scope:SCOPE_SE
	scratch_load_b128 v[1:4], off, s55
	v_cmp_gt_u32_e64 s1, 4, v0
	s_wait_loadcnt 0x0
	ds_store_b128 v5, v[1:4]
	s_wait_dscnt 0x0
	s_barrier_signal -1
	s_barrier_wait -1
	global_inv scope:SCOPE_SE
	s_and_saveexec_b32 s3, s1
	s_cbranch_execz .LBB63_31
; %bb.28:
	v_mov_b32_e32 v1, 0
	v_mov_b32_e32 v3, 0
	v_dual_mov_b32 v2, 0 :: v_dual_add_nc_u32 v7, -1, v0
	v_or_b32_e32 v8, 0x400, v33
	v_mov_b32_e32 v4, 0
	v_or_b32_e32 v9, 8, v13
	s_mov_b32 s75, 0
.LBB63_29:                              ; =>This Inner Loop Header: Depth=1
	scratch_load_b128 v[14:17], v9, off offset:-8
	ds_load_b128 v[18:21], v8
	v_add_nc_u32_e32 v7, 1, v7
	v_add_nc_u32_e32 v8, 16, v8
	;; [unrolled: 1-line block ×3, first 2 shown]
	s_delay_alu instid0(VALU_DEP_3) | instskip(SKIP_4) | instid1(VALU_DEP_2)
	v_cmp_lt_u32_e64 s2, 2, v7
	s_or_b32 s75, s2, s75
	s_wait_loadcnt_dscnt 0x0
	v_mul_f64_e32 v[10:11], v[20:21], v[16:17]
	v_mul_f64_e32 v[16:17], v[18:19], v[16:17]
	v_fma_f64 v[10:11], v[18:19], v[14:15], -v[10:11]
	s_delay_alu instid0(VALU_DEP_2) | instskip(NEXT) | instid1(VALU_DEP_2)
	v_fma_f64 v[14:15], v[20:21], v[14:15], v[16:17]
	v_add_f64_e32 v[3:4], v[3:4], v[10:11]
	s_delay_alu instid0(VALU_DEP_2)
	v_add_f64_e32 v[1:2], v[1:2], v[14:15]
	s_and_not1_b32 exec_lo, exec_lo, s75
	s_cbranch_execnz .LBB63_29
; %bb.30:
	s_or_b32 exec_lo, exec_lo, s75
	v_mov_b32_e32 v7, 0
	ds_load_b128 v[7:10], v7 offset:64
	s_wait_dscnt 0x0
	v_mul_f64_e32 v[11:12], v[1:2], v[9:10]
	v_mul_f64_e32 v[14:15], v[3:4], v[9:10]
	s_delay_alu instid0(VALU_DEP_2) | instskip(NEXT) | instid1(VALU_DEP_2)
	v_fma_f64 v[9:10], v[3:4], v[7:8], -v[11:12]
	v_fma_f64 v[11:12], v[1:2], v[7:8], v[14:15]
	scratch_store_b128 off, v[9:12], off offset:80
.LBB63_31:
	s_wait_alu 0xfffe
	s_or_b32 exec_lo, exec_lo, s3
	s_wait_loadcnt 0x0
	s_wait_storecnt 0x0
	s_barrier_signal -1
	s_barrier_wait -1
	global_inv scope:SCOPE_SE
	scratch_load_b128 v[1:4], off, s74
	s_mov_b32 s3, exec_lo
	s_wait_loadcnt 0x0
	ds_store_b128 v5, v[1:4]
	s_wait_dscnt 0x0
	s_barrier_signal -1
	s_barrier_wait -1
	global_inv scope:SCOPE_SE
	v_cmpx_gt_u32_e32 5, v0
	s_cbranch_execz .LBB63_35
; %bb.32:
	v_mov_b32_e32 v1, 0
	v_mov_b32_e32 v3, 0
	v_dual_mov_b32 v2, 0 :: v_dual_add_nc_u32 v7, -1, v0
	v_or_b32_e32 v8, 0x400, v33
	v_mov_b32_e32 v4, 0
	v_or_b32_e32 v9, 8, v13
	s_mov_b32 s75, 0
.LBB63_33:                              ; =>This Inner Loop Header: Depth=1
	scratch_load_b128 v[14:17], v9, off offset:-8
	ds_load_b128 v[18:21], v8
	v_add_nc_u32_e32 v7, 1, v7
	v_add_nc_u32_e32 v8, 16, v8
	;; [unrolled: 1-line block ×3, first 2 shown]
	s_delay_alu instid0(VALU_DEP_3) | instskip(SKIP_4) | instid1(VALU_DEP_2)
	v_cmp_lt_u32_e64 s2, 3, v7
	s_or_b32 s75, s2, s75
	s_wait_loadcnt_dscnt 0x0
	v_mul_f64_e32 v[10:11], v[20:21], v[16:17]
	v_mul_f64_e32 v[16:17], v[18:19], v[16:17]
	v_fma_f64 v[10:11], v[18:19], v[14:15], -v[10:11]
	s_delay_alu instid0(VALU_DEP_2) | instskip(NEXT) | instid1(VALU_DEP_2)
	v_fma_f64 v[14:15], v[20:21], v[14:15], v[16:17]
	v_add_f64_e32 v[3:4], v[3:4], v[10:11]
	s_delay_alu instid0(VALU_DEP_2)
	v_add_f64_e32 v[1:2], v[1:2], v[14:15]
	s_and_not1_b32 exec_lo, exec_lo, s75
	s_cbranch_execnz .LBB63_33
; %bb.34:
	s_or_b32 exec_lo, exec_lo, s75
	v_mov_b32_e32 v7, 0
	ds_load_b128 v[7:10], v7 offset:80
	s_wait_dscnt 0x0
	v_mul_f64_e32 v[11:12], v[1:2], v[9:10]
	v_mul_f64_e32 v[14:15], v[3:4], v[9:10]
	s_delay_alu instid0(VALU_DEP_2) | instskip(NEXT) | instid1(VALU_DEP_2)
	v_fma_f64 v[9:10], v[3:4], v[7:8], -v[11:12]
	v_fma_f64 v[11:12], v[1:2], v[7:8], v[14:15]
	scratch_store_b128 off, v[9:12], off offset:96
.LBB63_35:
	s_wait_alu 0xfffe
	s_or_b32 exec_lo, exec_lo, s3
	s_wait_loadcnt 0x0
	s_wait_storecnt 0x0
	s_barrier_signal -1
	s_barrier_wait -1
	global_inv scope:SCOPE_SE
	scratch_load_b128 v[1:4], off, s73
	v_cmp_gt_u32_e64 s2, 6, v0
	s_wait_loadcnt 0x0
	ds_store_b128 v5, v[1:4]
	s_wait_dscnt 0x0
	s_barrier_signal -1
	s_barrier_wait -1
	global_inv scope:SCOPE_SE
	s_and_saveexec_b32 s75, s2
	s_cbranch_execz .LBB63_39
; %bb.36:
	v_mov_b32_e32 v1, 0
	v_mov_b32_e32 v3, 0
	v_dual_mov_b32 v2, 0 :: v_dual_add_nc_u32 v7, -1, v0
	v_or_b32_e32 v8, 0x400, v33
	v_mov_b32_e32 v4, 0
	v_or_b32_e32 v9, 8, v13
	s_mov_b32 s76, 0
.LBB63_37:                              ; =>This Inner Loop Header: Depth=1
	scratch_load_b128 v[14:17], v9, off offset:-8
	ds_load_b128 v[18:21], v8
	v_add_nc_u32_e32 v7, 1, v7
	v_add_nc_u32_e32 v8, 16, v8
	;; [unrolled: 1-line block ×3, first 2 shown]
	s_delay_alu instid0(VALU_DEP_3) | instskip(SKIP_4) | instid1(VALU_DEP_2)
	v_cmp_lt_u32_e64 s3, 4, v7
	s_or_b32 s76, s3, s76
	s_wait_loadcnt_dscnt 0x0
	v_mul_f64_e32 v[10:11], v[20:21], v[16:17]
	v_mul_f64_e32 v[16:17], v[18:19], v[16:17]
	v_fma_f64 v[10:11], v[18:19], v[14:15], -v[10:11]
	s_delay_alu instid0(VALU_DEP_2) | instskip(NEXT) | instid1(VALU_DEP_2)
	v_fma_f64 v[14:15], v[20:21], v[14:15], v[16:17]
	v_add_f64_e32 v[3:4], v[3:4], v[10:11]
	s_delay_alu instid0(VALU_DEP_2)
	v_add_f64_e32 v[1:2], v[1:2], v[14:15]
	s_and_not1_b32 exec_lo, exec_lo, s76
	s_cbranch_execnz .LBB63_37
; %bb.38:
	s_or_b32 exec_lo, exec_lo, s76
	v_mov_b32_e32 v7, 0
	ds_load_b128 v[7:10], v7 offset:96
	s_wait_dscnt 0x0
	v_mul_f64_e32 v[11:12], v[1:2], v[9:10]
	v_mul_f64_e32 v[14:15], v[3:4], v[9:10]
	s_delay_alu instid0(VALU_DEP_2) | instskip(NEXT) | instid1(VALU_DEP_2)
	v_fma_f64 v[9:10], v[3:4], v[7:8], -v[11:12]
	v_fma_f64 v[11:12], v[1:2], v[7:8], v[14:15]
	scratch_store_b128 off, v[9:12], off offset:112
.LBB63_39:
	s_or_b32 exec_lo, exec_lo, s75
	s_wait_loadcnt 0x0
	s_wait_storecnt 0x0
	s_barrier_signal -1
	s_barrier_wait -1
	global_inv scope:SCOPE_SE
	scratch_load_b128 v[1:4], off, s72
	s_mov_b32 s75, exec_lo
	s_wait_loadcnt 0x0
	ds_store_b128 v5, v[1:4]
	s_wait_dscnt 0x0
	s_barrier_signal -1
	s_barrier_wait -1
	global_inv scope:SCOPE_SE
	v_cmpx_gt_u32_e32 7, v0
	s_cbranch_execz .LBB63_43
; %bb.40:
	v_mov_b32_e32 v1, 0
	v_mov_b32_e32 v3, 0
	v_dual_mov_b32 v2, 0 :: v_dual_add_nc_u32 v7, -1, v0
	v_or_b32_e32 v8, 0x400, v33
	v_mov_b32_e32 v4, 0
	v_or_b32_e32 v9, 8, v13
	s_mov_b32 s76, 0
.LBB63_41:                              ; =>This Inner Loop Header: Depth=1
	scratch_load_b128 v[14:17], v9, off offset:-8
	ds_load_b128 v[18:21], v8
	v_add_nc_u32_e32 v7, 1, v7
	v_add_nc_u32_e32 v8, 16, v8
	;; [unrolled: 1-line block ×3, first 2 shown]
	s_delay_alu instid0(VALU_DEP_3) | instskip(SKIP_4) | instid1(VALU_DEP_2)
	v_cmp_lt_u32_e64 s3, 5, v7
	s_or_b32 s76, s3, s76
	s_wait_loadcnt_dscnt 0x0
	v_mul_f64_e32 v[10:11], v[20:21], v[16:17]
	v_mul_f64_e32 v[16:17], v[18:19], v[16:17]
	v_fma_f64 v[10:11], v[18:19], v[14:15], -v[10:11]
	s_delay_alu instid0(VALU_DEP_2) | instskip(NEXT) | instid1(VALU_DEP_2)
	v_fma_f64 v[14:15], v[20:21], v[14:15], v[16:17]
	v_add_f64_e32 v[3:4], v[3:4], v[10:11]
	s_delay_alu instid0(VALU_DEP_2)
	v_add_f64_e32 v[1:2], v[1:2], v[14:15]
	s_and_not1_b32 exec_lo, exec_lo, s76
	s_cbranch_execnz .LBB63_41
; %bb.42:
	s_or_b32 exec_lo, exec_lo, s76
	v_mov_b32_e32 v7, 0
	ds_load_b128 v[7:10], v7 offset:112
	s_wait_dscnt 0x0
	v_mul_f64_e32 v[11:12], v[1:2], v[9:10]
	v_mul_f64_e32 v[14:15], v[3:4], v[9:10]
	s_delay_alu instid0(VALU_DEP_2) | instskip(NEXT) | instid1(VALU_DEP_2)
	v_fma_f64 v[9:10], v[3:4], v[7:8], -v[11:12]
	v_fma_f64 v[11:12], v[1:2], v[7:8], v[14:15]
	scratch_store_b128 off, v[9:12], off offset:128
.LBB63_43:
	s_or_b32 exec_lo, exec_lo, s75
	s_wait_loadcnt 0x0
	s_wait_storecnt 0x0
	s_barrier_signal -1
	s_barrier_wait -1
	global_inv scope:SCOPE_SE
	scratch_load_b128 v[1:4], off, s71
	s_mov_b32 s75, exec_lo
	s_wait_loadcnt 0x0
	ds_store_b128 v5, v[1:4]
	s_wait_dscnt 0x0
	s_barrier_signal -1
	s_barrier_wait -1
	global_inv scope:SCOPE_SE
	v_cmpx_gt_u32_e32 8, v0
	s_cbranch_execz .LBB63_59
; %bb.44:
	scratch_load_b128 v[1:4], v13, off
	ds_load_b128 v[7:10], v5
	s_mov_b32 s76, exec_lo
	s_wait_loadcnt_dscnt 0x0
	v_mul_f64_e32 v[11:12], v[9:10], v[3:4]
	v_mul_f64_e32 v[3:4], v[7:8], v[3:4]
	s_delay_alu instid0(VALU_DEP_2) | instskip(NEXT) | instid1(VALU_DEP_2)
	v_fma_f64 v[7:8], v[7:8], v[1:2], -v[11:12]
	v_fma_f64 v[1:2], v[9:10], v[1:2], v[3:4]
	s_delay_alu instid0(VALU_DEP_2) | instskip(NEXT) | instid1(VALU_DEP_2)
	v_add_f64_e32 v[3:4], 0, v[7:8]
	v_add_f64_e32 v[1:2], 0, v[1:2]
	v_cmpx_ne_u32_e32 7, v0
	s_cbranch_execz .LBB63_58
; %bb.45:
	scratch_load_b128 v[7:10], v13, off offset:16
	ds_load_b128 v[14:17], v5 offset:16
	s_wait_loadcnt_dscnt 0x0
	v_mul_f64_e32 v[11:12], v[16:17], v[9:10]
	v_mul_f64_e32 v[9:10], v[14:15], v[9:10]
	s_delay_alu instid0(VALU_DEP_2) | instskip(NEXT) | instid1(VALU_DEP_2)
	v_fma_f64 v[11:12], v[14:15], v[7:8], -v[11:12]
	v_fma_f64 v[7:8], v[16:17], v[7:8], v[9:10]
	s_delay_alu instid0(VALU_DEP_2) | instskip(NEXT) | instid1(VALU_DEP_2)
	v_add_f64_e32 v[3:4], v[3:4], v[11:12]
	v_add_f64_e32 v[1:2], v[1:2], v[7:8]
	s_and_saveexec_b32 s3, s2
	s_cbranch_execz .LBB63_57
; %bb.46:
	scratch_load_b128 v[7:10], v13, off offset:32
	ds_load_b128 v[14:17], v5 offset:32
	s_mov_b32 s77, exec_lo
	s_wait_loadcnt_dscnt 0x0
	v_mul_f64_e32 v[11:12], v[16:17], v[9:10]
	v_mul_f64_e32 v[9:10], v[14:15], v[9:10]
	s_delay_alu instid0(VALU_DEP_2) | instskip(NEXT) | instid1(VALU_DEP_2)
	v_fma_f64 v[11:12], v[14:15], v[7:8], -v[11:12]
	v_fma_f64 v[7:8], v[16:17], v[7:8], v[9:10]
	s_delay_alu instid0(VALU_DEP_2) | instskip(NEXT) | instid1(VALU_DEP_2)
	v_add_f64_e32 v[3:4], v[3:4], v[11:12]
	v_add_f64_e32 v[1:2], v[1:2], v[7:8]
	v_cmpx_ne_u32_e32 5, v0
	s_cbranch_execz .LBB63_56
; %bb.47:
	scratch_load_b128 v[7:10], v13, off offset:48
	ds_load_b128 v[14:17], v5 offset:48
	s_wait_loadcnt_dscnt 0x0
	v_mul_f64_e32 v[11:12], v[16:17], v[9:10]
	v_mul_f64_e32 v[9:10], v[14:15], v[9:10]
	s_delay_alu instid0(VALU_DEP_2) | instskip(NEXT) | instid1(VALU_DEP_2)
	v_fma_f64 v[11:12], v[14:15], v[7:8], -v[11:12]
	v_fma_f64 v[7:8], v[16:17], v[7:8], v[9:10]
	s_delay_alu instid0(VALU_DEP_2) | instskip(NEXT) | instid1(VALU_DEP_2)
	v_add_f64_e32 v[3:4], v[3:4], v[11:12]
	v_add_f64_e32 v[1:2], v[1:2], v[7:8]
	s_and_saveexec_b32 s2, s1
	s_cbranch_execz .LBB63_55
; %bb.48:
	scratch_load_b128 v[7:10], v13, off offset:64
	ds_load_b128 v[14:17], v5 offset:64
	s_mov_b32 s78, exec_lo
	s_wait_loadcnt_dscnt 0x0
	v_mul_f64_e32 v[11:12], v[16:17], v[9:10]
	v_mul_f64_e32 v[9:10], v[14:15], v[9:10]
	s_delay_alu instid0(VALU_DEP_2) | instskip(NEXT) | instid1(VALU_DEP_2)
	v_fma_f64 v[11:12], v[14:15], v[7:8], -v[11:12]
	v_fma_f64 v[7:8], v[16:17], v[7:8], v[9:10]
	s_delay_alu instid0(VALU_DEP_2) | instskip(NEXT) | instid1(VALU_DEP_2)
	v_add_f64_e32 v[3:4], v[3:4], v[11:12]
	v_add_f64_e32 v[1:2], v[1:2], v[7:8]
	v_cmpx_ne_u32_e32 3, v0
	s_cbranch_execz .LBB63_54
; %bb.49:
	scratch_load_b128 v[7:10], v13, off offset:80
	ds_load_b128 v[14:17], v5 offset:80
	s_wait_loadcnt_dscnt 0x0
	v_mul_f64_e32 v[11:12], v[16:17], v[9:10]
	v_mul_f64_e32 v[9:10], v[14:15], v[9:10]
	s_delay_alu instid0(VALU_DEP_2) | instskip(NEXT) | instid1(VALU_DEP_2)
	v_fma_f64 v[11:12], v[14:15], v[7:8], -v[11:12]
	v_fma_f64 v[7:8], v[16:17], v[7:8], v[9:10]
	s_delay_alu instid0(VALU_DEP_2) | instskip(NEXT) | instid1(VALU_DEP_2)
	v_add_f64_e32 v[3:4], v[3:4], v[11:12]
	v_add_f64_e32 v[1:2], v[1:2], v[7:8]
	s_and_saveexec_b32 s1, vcc_lo
	s_cbranch_execz .LBB63_53
; %bb.50:
	scratch_load_b128 v[7:10], v13, off offset:96
	ds_load_b128 v[14:17], v5 offset:96
	s_wait_loadcnt_dscnt 0x0
	v_mul_f64_e32 v[11:12], v[16:17], v[9:10]
	v_mul_f64_e32 v[9:10], v[14:15], v[9:10]
	s_delay_alu instid0(VALU_DEP_2) | instskip(NEXT) | instid1(VALU_DEP_2)
	v_fma_f64 v[11:12], v[14:15], v[7:8], -v[11:12]
	v_fma_f64 v[7:8], v[16:17], v[7:8], v[9:10]
	s_delay_alu instid0(VALU_DEP_2) | instskip(NEXT) | instid1(VALU_DEP_2)
	v_add_f64_e32 v[3:4], v[3:4], v[11:12]
	v_add_f64_e32 v[1:2], v[1:2], v[7:8]
	s_and_saveexec_b32 s79, s0
	s_cbranch_execz .LBB63_52
; %bb.51:
	scratch_load_b128 v[7:10], v13, off offset:112
	ds_load_b128 v[14:17], v5 offset:112
	s_wait_loadcnt_dscnt 0x0
	v_mul_f64_e32 v[11:12], v[16:17], v[9:10]
	v_mul_f64_e32 v[9:10], v[14:15], v[9:10]
	s_delay_alu instid0(VALU_DEP_2) | instskip(NEXT) | instid1(VALU_DEP_2)
	v_fma_f64 v[11:12], v[14:15], v[7:8], -v[11:12]
	v_fma_f64 v[7:8], v[16:17], v[7:8], v[9:10]
	s_delay_alu instid0(VALU_DEP_2) | instskip(NEXT) | instid1(VALU_DEP_2)
	v_add_f64_e32 v[3:4], v[3:4], v[11:12]
	v_add_f64_e32 v[1:2], v[1:2], v[7:8]
.LBB63_52:
	s_or_b32 exec_lo, exec_lo, s79
.LBB63_53:
	s_wait_alu 0xfffe
	s_or_b32 exec_lo, exec_lo, s1
.LBB63_54:
	s_delay_alu instid0(SALU_CYCLE_1)
	s_or_b32 exec_lo, exec_lo, s78
.LBB63_55:
	s_wait_alu 0xfffe
	s_or_b32 exec_lo, exec_lo, s2
.LBB63_56:
	s_delay_alu instid0(SALU_CYCLE_1)
	s_or_b32 exec_lo, exec_lo, s77
.LBB63_57:
	s_wait_alu 0xfffe
	s_or_b32 exec_lo, exec_lo, s3
.LBB63_58:
	s_delay_alu instid0(SALU_CYCLE_1)
	s_or_b32 exec_lo, exec_lo, s76
	v_mov_b32_e32 v7, 0
	ds_load_b128 v[7:10], v7 offset:128
	s_wait_dscnt 0x0
	v_mul_f64_e32 v[11:12], v[1:2], v[9:10]
	v_mul_f64_e32 v[14:15], v[3:4], v[9:10]
	s_delay_alu instid0(VALU_DEP_2) | instskip(NEXT) | instid1(VALU_DEP_2)
	v_fma_f64 v[9:10], v[3:4], v[7:8], -v[11:12]
	v_fma_f64 v[11:12], v[1:2], v[7:8], v[14:15]
	scratch_store_b128 off, v[9:12], off offset:144
.LBB63_59:
	s_or_b32 exec_lo, exec_lo, s75
	s_wait_loadcnt 0x0
	s_wait_storecnt 0x0
	s_barrier_signal -1
	s_barrier_wait -1
	global_inv scope:SCOPE_SE
	scratch_load_b128 v[1:4], off, s70
	s_mov_b32 s0, exec_lo
	s_wait_loadcnt 0x0
	ds_store_b128 v5, v[1:4]
	s_wait_dscnt 0x0
	s_barrier_signal -1
	s_barrier_wait -1
	global_inv scope:SCOPE_SE
	v_cmpx_gt_u32_e32 9, v0
	s_cbranch_execz .LBB63_63
; %bb.60:
	v_mov_b32_e32 v1, 0
	v_mov_b32_e32 v3, 0
	v_dual_mov_b32 v2, 0 :: v_dual_add_nc_u32 v7, -1, v0
	v_or_b32_e32 v8, 0x400, v33
	v_mov_b32_e32 v4, 0
	v_or_b32_e32 v9, 8, v13
	s_mov_b32 s1, 0
.LBB63_61:                              ; =>This Inner Loop Header: Depth=1
	scratch_load_b128 v[14:17], v9, off offset:-8
	ds_load_b128 v[18:21], v8
	v_add_nc_u32_e32 v7, 1, v7
	v_add_nc_u32_e32 v8, 16, v8
	v_add_nc_u32_e32 v9, 16, v9
	s_delay_alu instid0(VALU_DEP_3)
	v_cmp_lt_u32_e32 vcc_lo, 7, v7
	s_wait_alu 0xfffe
	s_or_b32 s1, vcc_lo, s1
	s_wait_loadcnt_dscnt 0x0
	v_mul_f64_e32 v[10:11], v[20:21], v[16:17]
	v_mul_f64_e32 v[16:17], v[18:19], v[16:17]
	s_delay_alu instid0(VALU_DEP_2) | instskip(NEXT) | instid1(VALU_DEP_2)
	v_fma_f64 v[10:11], v[18:19], v[14:15], -v[10:11]
	v_fma_f64 v[14:15], v[20:21], v[14:15], v[16:17]
	s_delay_alu instid0(VALU_DEP_2) | instskip(NEXT) | instid1(VALU_DEP_2)
	v_add_f64_e32 v[3:4], v[3:4], v[10:11]
	v_add_f64_e32 v[1:2], v[1:2], v[14:15]
	s_wait_alu 0xfffe
	s_and_not1_b32 exec_lo, exec_lo, s1
	s_cbranch_execnz .LBB63_61
; %bb.62:
	s_or_b32 exec_lo, exec_lo, s1
	v_mov_b32_e32 v7, 0
	ds_load_b128 v[7:10], v7 offset:144
	s_wait_dscnt 0x0
	v_mul_f64_e32 v[11:12], v[1:2], v[9:10]
	v_mul_f64_e32 v[14:15], v[3:4], v[9:10]
	s_delay_alu instid0(VALU_DEP_2) | instskip(NEXT) | instid1(VALU_DEP_2)
	v_fma_f64 v[9:10], v[3:4], v[7:8], -v[11:12]
	v_fma_f64 v[11:12], v[1:2], v[7:8], v[14:15]
	scratch_store_b128 off, v[9:12], off offset:160
.LBB63_63:
	s_wait_alu 0xfffe
	s_or_b32 exec_lo, exec_lo, s0
	s_wait_loadcnt 0x0
	s_wait_storecnt 0x0
	s_barrier_signal -1
	s_barrier_wait -1
	global_inv scope:SCOPE_SE
	scratch_load_b128 v[1:4], off, s69
	s_mov_b32 s0, exec_lo
	s_wait_loadcnt 0x0
	ds_store_b128 v5, v[1:4]
	s_wait_dscnt 0x0
	s_barrier_signal -1
	s_barrier_wait -1
	global_inv scope:SCOPE_SE
	v_cmpx_gt_u32_e32 10, v0
	s_cbranch_execz .LBB63_67
; %bb.64:
	v_mov_b32_e32 v1, 0
	v_mov_b32_e32 v3, 0
	v_dual_mov_b32 v2, 0 :: v_dual_add_nc_u32 v7, -1, v0
	v_or_b32_e32 v8, 0x400, v33
	v_mov_b32_e32 v4, 0
	v_or_b32_e32 v9, 8, v13
	s_mov_b32 s1, 0
.LBB63_65:                              ; =>This Inner Loop Header: Depth=1
	scratch_load_b128 v[14:17], v9, off offset:-8
	ds_load_b128 v[18:21], v8
	v_add_nc_u32_e32 v7, 1, v7
	v_add_nc_u32_e32 v8, 16, v8
	v_add_nc_u32_e32 v9, 16, v9
	s_delay_alu instid0(VALU_DEP_3)
	v_cmp_lt_u32_e32 vcc_lo, 8, v7
	s_wait_alu 0xfffe
	s_or_b32 s1, vcc_lo, s1
	s_wait_loadcnt_dscnt 0x0
	v_mul_f64_e32 v[10:11], v[20:21], v[16:17]
	v_mul_f64_e32 v[16:17], v[18:19], v[16:17]
	s_delay_alu instid0(VALU_DEP_2) | instskip(NEXT) | instid1(VALU_DEP_2)
	v_fma_f64 v[10:11], v[18:19], v[14:15], -v[10:11]
	v_fma_f64 v[14:15], v[20:21], v[14:15], v[16:17]
	s_delay_alu instid0(VALU_DEP_2) | instskip(NEXT) | instid1(VALU_DEP_2)
	v_add_f64_e32 v[3:4], v[3:4], v[10:11]
	v_add_f64_e32 v[1:2], v[1:2], v[14:15]
	s_wait_alu 0xfffe
	s_and_not1_b32 exec_lo, exec_lo, s1
	s_cbranch_execnz .LBB63_65
; %bb.66:
	s_or_b32 exec_lo, exec_lo, s1
	v_mov_b32_e32 v7, 0
	ds_load_b128 v[7:10], v7 offset:160
	s_wait_dscnt 0x0
	v_mul_f64_e32 v[11:12], v[1:2], v[9:10]
	v_mul_f64_e32 v[14:15], v[3:4], v[9:10]
	s_delay_alu instid0(VALU_DEP_2) | instskip(NEXT) | instid1(VALU_DEP_2)
	v_fma_f64 v[9:10], v[3:4], v[7:8], -v[11:12]
	v_fma_f64 v[11:12], v[1:2], v[7:8], v[14:15]
	scratch_store_b128 off, v[9:12], off offset:176
.LBB63_67:
	s_wait_alu 0xfffe
	;; [unrolled: 59-line block ×10, first 2 shown]
	s_or_b32 exec_lo, exec_lo, s0
	s_wait_loadcnt 0x0
	s_wait_storecnt 0x0
	s_barrier_signal -1
	s_barrier_wait -1
	global_inv scope:SCOPE_SE
	scratch_load_b128 v[1:4], off, s60
	s_mov_b32 s0, exec_lo
	s_wait_loadcnt 0x0
	ds_store_b128 v5, v[1:4]
	s_wait_dscnt 0x0
	s_barrier_signal -1
	s_barrier_wait -1
	global_inv scope:SCOPE_SE
	v_cmpx_gt_u32_e32 19, v0
	s_cbranch_execz .LBB63_103
; %bb.100:
	v_mov_b32_e32 v1, 0
	v_mov_b32_e32 v3, 0
	v_dual_mov_b32 v2, 0 :: v_dual_add_nc_u32 v7, -1, v0
	v_or_b32_e32 v8, 0x400, v33
	v_mov_b32_e32 v4, 0
	v_or_b32_e32 v9, 8, v13
	s_mov_b32 s1, 0
.LBB63_101:                             ; =>This Inner Loop Header: Depth=1
	scratch_load_b128 v[14:17], v9, off offset:-8
	ds_load_b128 v[18:21], v8
	v_add_nc_u32_e32 v7, 1, v7
	v_add_nc_u32_e32 v8, 16, v8
	v_add_nc_u32_e32 v9, 16, v9
	s_delay_alu instid0(VALU_DEP_3)
	v_cmp_lt_u32_e32 vcc_lo, 17, v7
	s_wait_alu 0xfffe
	s_or_b32 s1, vcc_lo, s1
	s_wait_loadcnt_dscnt 0x0
	v_mul_f64_e32 v[10:11], v[20:21], v[16:17]
	v_mul_f64_e32 v[16:17], v[18:19], v[16:17]
	s_delay_alu instid0(VALU_DEP_2) | instskip(NEXT) | instid1(VALU_DEP_2)
	v_fma_f64 v[10:11], v[18:19], v[14:15], -v[10:11]
	v_fma_f64 v[14:15], v[20:21], v[14:15], v[16:17]
	s_delay_alu instid0(VALU_DEP_2) | instskip(NEXT) | instid1(VALU_DEP_2)
	v_add_f64_e32 v[3:4], v[3:4], v[10:11]
	v_add_f64_e32 v[1:2], v[1:2], v[14:15]
	s_wait_alu 0xfffe
	s_and_not1_b32 exec_lo, exec_lo, s1
	s_cbranch_execnz .LBB63_101
; %bb.102:
	s_or_b32 exec_lo, exec_lo, s1
	v_mov_b32_e32 v7, 0
	ds_load_b128 v[7:10], v7 offset:304
	s_wait_dscnt 0x0
	v_mul_f64_e32 v[11:12], v[1:2], v[9:10]
	v_mul_f64_e32 v[14:15], v[3:4], v[9:10]
	s_delay_alu instid0(VALU_DEP_2) | instskip(NEXT) | instid1(VALU_DEP_2)
	v_fma_f64 v[9:10], v[3:4], v[7:8], -v[11:12]
	v_fma_f64 v[11:12], v[1:2], v[7:8], v[14:15]
	scratch_store_b128 off, v[9:12], off offset:320
.LBB63_103:
	s_wait_alu 0xfffe
	s_or_b32 exec_lo, exec_lo, s0
	s_wait_loadcnt 0x0
	s_wait_storecnt 0x0
	s_barrier_signal -1
	s_barrier_wait -1
	global_inv scope:SCOPE_SE
	scratch_load_b128 v[1:4], off, s26
	s_mov_b32 s0, exec_lo
	s_wait_loadcnt 0x0
	ds_store_b128 v5, v[1:4]
	s_wait_dscnt 0x0
	s_barrier_signal -1
	s_barrier_wait -1
	global_inv scope:SCOPE_SE
	v_cmpx_gt_u32_e32 20, v0
	s_cbranch_execz .LBB63_107
; %bb.104:
	v_mov_b32_e32 v1, 0
	v_mov_b32_e32 v3, 0
	v_dual_mov_b32 v2, 0 :: v_dual_add_nc_u32 v7, -1, v0
	v_or_b32_e32 v8, 0x400, v33
	v_mov_b32_e32 v4, 0
	v_or_b32_e32 v9, 8, v13
	s_mov_b32 s1, 0
.LBB63_105:                             ; =>This Inner Loop Header: Depth=1
	scratch_load_b128 v[14:17], v9, off offset:-8
	ds_load_b128 v[18:21], v8
	v_add_nc_u32_e32 v7, 1, v7
	v_add_nc_u32_e32 v8, 16, v8
	v_add_nc_u32_e32 v9, 16, v9
	s_delay_alu instid0(VALU_DEP_3)
	v_cmp_lt_u32_e32 vcc_lo, 18, v7
	s_wait_alu 0xfffe
	s_or_b32 s1, vcc_lo, s1
	s_wait_loadcnt_dscnt 0x0
	v_mul_f64_e32 v[10:11], v[20:21], v[16:17]
	v_mul_f64_e32 v[16:17], v[18:19], v[16:17]
	s_delay_alu instid0(VALU_DEP_2) | instskip(NEXT) | instid1(VALU_DEP_2)
	v_fma_f64 v[10:11], v[18:19], v[14:15], -v[10:11]
	v_fma_f64 v[14:15], v[20:21], v[14:15], v[16:17]
	s_delay_alu instid0(VALU_DEP_2) | instskip(NEXT) | instid1(VALU_DEP_2)
	v_add_f64_e32 v[3:4], v[3:4], v[10:11]
	v_add_f64_e32 v[1:2], v[1:2], v[14:15]
	s_wait_alu 0xfffe
	s_and_not1_b32 exec_lo, exec_lo, s1
	s_cbranch_execnz .LBB63_105
; %bb.106:
	s_or_b32 exec_lo, exec_lo, s1
	v_mov_b32_e32 v7, 0
	ds_load_b128 v[7:10], v7 offset:320
	s_wait_dscnt 0x0
	v_mul_f64_e32 v[11:12], v[1:2], v[9:10]
	v_mul_f64_e32 v[14:15], v[3:4], v[9:10]
	s_delay_alu instid0(VALU_DEP_2) | instskip(NEXT) | instid1(VALU_DEP_2)
	v_fma_f64 v[9:10], v[3:4], v[7:8], -v[11:12]
	v_fma_f64 v[11:12], v[1:2], v[7:8], v[14:15]
	scratch_store_b128 off, v[9:12], off offset:336
.LBB63_107:
	s_wait_alu 0xfffe
	;; [unrolled: 59-line block ×44, first 2 shown]
	s_or_b32 exec_lo, exec_lo, s0
	s_wait_loadcnt 0x0
	s_wait_storecnt 0x0
	s_barrier_signal -1
	s_barrier_wait -1
	global_inv scope:SCOPE_SE
	scratch_load_b128 v[1:4], off, s59
	s_mov_b32 s0, exec_lo
	s_wait_loadcnt 0x0
	ds_store_b128 v5, v[1:4]
	s_wait_dscnt 0x0
	s_barrier_signal -1
	s_barrier_wait -1
	global_inv scope:SCOPE_SE
	v_cmpx_ne_u32_e32 63, v0
	s_cbranch_execz .LBB63_279
; %bb.276:
	v_mov_b32_e32 v1, 0
	v_dual_mov_b32 v2, 0 :: v_dual_mov_b32 v3, 0
	v_mov_b32_e32 v4, 0
	v_or_b32_e32 v7, 8, v13
	s_mov_b32 s1, 0
.LBB63_277:                             ; =>This Inner Loop Header: Depth=1
	scratch_load_b128 v[8:11], v7, off offset:-8
	ds_load_b128 v[12:15], v5
	v_add_nc_u32_e32 v6, 1, v6
	v_add_nc_u32_e32 v5, 16, v5
	;; [unrolled: 1-line block ×3, first 2 shown]
	s_delay_alu instid0(VALU_DEP_3)
	v_cmp_lt_u32_e32 vcc_lo, 61, v6
	s_wait_alu 0xfffe
	s_or_b32 s1, vcc_lo, s1
	s_wait_loadcnt_dscnt 0x0
	v_mul_f64_e32 v[16:17], v[14:15], v[10:11]
	v_mul_f64_e32 v[10:11], v[12:13], v[10:11]
	s_delay_alu instid0(VALU_DEP_2) | instskip(NEXT) | instid1(VALU_DEP_2)
	v_fma_f64 v[12:13], v[12:13], v[8:9], -v[16:17]
	v_fma_f64 v[8:9], v[14:15], v[8:9], v[10:11]
	s_delay_alu instid0(VALU_DEP_2) | instskip(NEXT) | instid1(VALU_DEP_2)
	v_add_f64_e32 v[3:4], v[3:4], v[12:13]
	v_add_f64_e32 v[1:2], v[1:2], v[8:9]
	s_wait_alu 0xfffe
	s_and_not1_b32 exec_lo, exec_lo, s1
	s_cbranch_execnz .LBB63_277
; %bb.278:
	s_or_b32 exec_lo, exec_lo, s1
	v_mov_b32_e32 v5, 0
	ds_load_b128 v[5:8], v5 offset:1008
	s_wait_dscnt 0x0
	v_mul_f64_e32 v[9:10], v[1:2], v[7:8]
	v_mul_f64_e32 v[7:8], v[3:4], v[7:8]
	s_delay_alu instid0(VALU_DEP_2) | instskip(NEXT) | instid1(VALU_DEP_2)
	v_fma_f64 v[3:4], v[3:4], v[5:6], -v[9:10]
	v_fma_f64 v[5:6], v[1:2], v[5:6], v[7:8]
	scratch_store_b128 off, v[3:6], off offset:1024
.LBB63_279:
	s_wait_alu 0xfffe
	s_or_b32 exec_lo, exec_lo, s0
	s_mov_b32 s1, -1
	s_wait_loadcnt 0x0
	s_wait_storecnt 0x0
	s_barrier_signal -1
	s_barrier_wait -1
	global_inv scope:SCOPE_SE
.LBB63_280:
	s_wait_alu 0xfffe
	s_and_b32 vcc_lo, exec_lo, s1
	s_wait_alu 0xfffe
	s_cbranch_vccz .LBB63_282
; %bb.281:
	v_mov_b32_e32 v1, 0
	s_lshl_b64 s[0:1], s[18:19], 2
	s_wait_alu 0xfffe
	s_add_nc_u64 s[0:1], s[6:7], s[0:1]
	global_load_b32 v1, v1, s[0:1]
	s_wait_loadcnt 0x0
	v_cmp_ne_u32_e32 vcc_lo, 0, v1
	s_cbranch_vccz .LBB63_283
.LBB63_282:
	s_nop 0
	s_sendmsg sendmsg(MSG_DEALLOC_VGPRS)
	s_endpgm
.LBB63_283:
	v_lshl_or_b32 v174, v0, 4, 0x400
	s_mov_b32 s0, exec_lo
	v_cmpx_eq_u32_e32 63, v0
	s_cbranch_execz .LBB63_285
; %bb.284:
	scratch_load_b128 v[1:4], off, s54
	v_mov_b32_e32 v5, 0
	s_delay_alu instid0(VALU_DEP_1)
	v_dual_mov_b32 v6, v5 :: v_dual_mov_b32 v7, v5
	v_mov_b32_e32 v8, v5
	scratch_store_b128 off, v[5:8], off offset:1008
	s_wait_loadcnt 0x0
	ds_store_b128 v174, v[1:4]
.LBB63_285:
	s_wait_alu 0xfffe
	s_or_b32 exec_lo, exec_lo, s0
	s_wait_storecnt_dscnt 0x0
	s_barrier_signal -1
	s_barrier_wait -1
	global_inv scope:SCOPE_SE
	s_clause 0x1
	scratch_load_b128 v[2:5], off, off offset:1024
	scratch_load_b128 v[6:9], off, off offset:1008
	v_mov_b32_e32 v1, 0
	s_mov_b32 s0, exec_lo
	ds_load_b128 v[10:13], v1 offset:2032
	s_wait_loadcnt_dscnt 0x100
	v_mul_f64_e32 v[14:15], v[12:13], v[4:5]
	v_mul_f64_e32 v[4:5], v[10:11], v[4:5]
	s_delay_alu instid0(VALU_DEP_2) | instskip(NEXT) | instid1(VALU_DEP_2)
	v_fma_f64 v[10:11], v[10:11], v[2:3], -v[14:15]
	v_fma_f64 v[2:3], v[12:13], v[2:3], v[4:5]
	s_delay_alu instid0(VALU_DEP_2) | instskip(NEXT) | instid1(VALU_DEP_2)
	v_add_f64_e32 v[4:5], 0, v[10:11]
	v_add_f64_e32 v[10:11], 0, v[2:3]
	s_wait_loadcnt 0x0
	s_delay_alu instid0(VALU_DEP_2) | instskip(NEXT) | instid1(VALU_DEP_2)
	v_add_f64_e64 v[2:3], v[6:7], -v[4:5]
	v_add_f64_e64 v[4:5], v[8:9], -v[10:11]
	scratch_store_b128 off, v[2:5], off offset:1008
	v_cmpx_lt_u32_e32 61, v0
	s_cbranch_execz .LBB63_287
; %bb.286:
	scratch_load_b128 v[5:8], off, s50
	v_dual_mov_b32 v2, v1 :: v_dual_mov_b32 v3, v1
	v_mov_b32_e32 v4, v1
	scratch_store_b128 off, v[1:4], off offset:992
	s_wait_loadcnt 0x0
	ds_store_b128 v174, v[5:8]
.LBB63_287:
	s_wait_alu 0xfffe
	s_or_b32 exec_lo, exec_lo, s0
	s_wait_storecnt_dscnt 0x0
	s_barrier_signal -1
	s_barrier_wait -1
	global_inv scope:SCOPE_SE
	s_clause 0x2
	scratch_load_b128 v[2:5], off, off offset:1008
	scratch_load_b128 v[6:9], off, off offset:1024
	;; [unrolled: 1-line block ×3, first 2 shown]
	ds_load_b128 v[14:17], v1 offset:2016
	ds_load_b128 v[18:21], v1 offset:2032
	s_mov_b32 s0, exec_lo
	s_wait_loadcnt_dscnt 0x201
	v_mul_f64_e32 v[22:23], v[16:17], v[4:5]
	v_mul_f64_e32 v[4:5], v[14:15], v[4:5]
	s_wait_loadcnt_dscnt 0x100
	v_mul_f64_e32 v[24:25], v[18:19], v[8:9]
	v_mul_f64_e32 v[8:9], v[20:21], v[8:9]
	s_delay_alu instid0(VALU_DEP_4) | instskip(NEXT) | instid1(VALU_DEP_4)
	v_fma_f64 v[14:15], v[14:15], v[2:3], -v[22:23]
	v_fma_f64 v[1:2], v[16:17], v[2:3], v[4:5]
	s_delay_alu instid0(VALU_DEP_4) | instskip(NEXT) | instid1(VALU_DEP_4)
	v_fma_f64 v[3:4], v[20:21], v[6:7], v[24:25]
	v_fma_f64 v[5:6], v[18:19], v[6:7], -v[8:9]
	s_delay_alu instid0(VALU_DEP_4) | instskip(NEXT) | instid1(VALU_DEP_4)
	v_add_f64_e32 v[7:8], 0, v[14:15]
	v_add_f64_e32 v[1:2], 0, v[1:2]
	s_delay_alu instid0(VALU_DEP_2) | instskip(NEXT) | instid1(VALU_DEP_2)
	v_add_f64_e32 v[5:6], v[7:8], v[5:6]
	v_add_f64_e32 v[3:4], v[1:2], v[3:4]
	s_wait_loadcnt 0x0
	s_delay_alu instid0(VALU_DEP_2) | instskip(NEXT) | instid1(VALU_DEP_2)
	v_add_f64_e64 v[1:2], v[10:11], -v[5:6]
	v_add_f64_e64 v[3:4], v[12:13], -v[3:4]
	scratch_store_b128 off, v[1:4], off offset:992
	v_cmpx_lt_u32_e32 60, v0
	s_cbranch_execz .LBB63_289
; %bb.288:
	scratch_load_b128 v[1:4], off, s53
	v_mov_b32_e32 v5, 0
	s_delay_alu instid0(VALU_DEP_1)
	v_dual_mov_b32 v6, v5 :: v_dual_mov_b32 v7, v5
	v_mov_b32_e32 v8, v5
	scratch_store_b128 off, v[5:8], off offset:976
	s_wait_loadcnt 0x0
	ds_store_b128 v174, v[1:4]
.LBB63_289:
	s_wait_alu 0xfffe
	s_or_b32 exec_lo, exec_lo, s0
	s_wait_storecnt_dscnt 0x0
	s_barrier_signal -1
	s_barrier_wait -1
	global_inv scope:SCOPE_SE
	s_clause 0x3
	scratch_load_b128 v[2:5], off, off offset:992
	scratch_load_b128 v[6:9], off, off offset:1008
	;; [unrolled: 1-line block ×4, first 2 shown]
	v_mov_b32_e32 v1, 0
	ds_load_b128 v[18:21], v1 offset:2000
	ds_load_b128 v[22:25], v1 offset:2016
	s_mov_b32 s0, exec_lo
	s_wait_loadcnt_dscnt 0x301
	v_mul_f64_e32 v[26:27], v[20:21], v[4:5]
	v_mul_f64_e32 v[4:5], v[18:19], v[4:5]
	s_wait_loadcnt_dscnt 0x200
	v_mul_f64_e32 v[28:29], v[22:23], v[8:9]
	v_mul_f64_e32 v[8:9], v[24:25], v[8:9]
	s_delay_alu instid0(VALU_DEP_4) | instskip(NEXT) | instid1(VALU_DEP_4)
	v_fma_f64 v[18:19], v[18:19], v[2:3], -v[26:27]
	v_fma_f64 v[20:21], v[20:21], v[2:3], v[4:5]
	ds_load_b128 v[2:5], v1 offset:2032
	v_fma_f64 v[24:25], v[24:25], v[6:7], v[28:29]
	v_fma_f64 v[6:7], v[22:23], v[6:7], -v[8:9]
	s_wait_loadcnt_dscnt 0x100
	v_mul_f64_e32 v[26:27], v[2:3], v[12:13]
	v_mul_f64_e32 v[12:13], v[4:5], v[12:13]
	v_add_f64_e32 v[8:9], 0, v[18:19]
	v_add_f64_e32 v[18:19], 0, v[20:21]
	s_delay_alu instid0(VALU_DEP_4) | instskip(NEXT) | instid1(VALU_DEP_4)
	v_fma_f64 v[4:5], v[4:5], v[10:11], v[26:27]
	v_fma_f64 v[2:3], v[2:3], v[10:11], -v[12:13]
	s_delay_alu instid0(VALU_DEP_4) | instskip(NEXT) | instid1(VALU_DEP_4)
	v_add_f64_e32 v[6:7], v[8:9], v[6:7]
	v_add_f64_e32 v[8:9], v[18:19], v[24:25]
	s_delay_alu instid0(VALU_DEP_2) | instskip(NEXT) | instid1(VALU_DEP_2)
	v_add_f64_e32 v[2:3], v[6:7], v[2:3]
	v_add_f64_e32 v[4:5], v[8:9], v[4:5]
	s_wait_loadcnt 0x0
	s_delay_alu instid0(VALU_DEP_2) | instskip(NEXT) | instid1(VALU_DEP_2)
	v_add_f64_e64 v[2:3], v[14:15], -v[2:3]
	v_add_f64_e64 v[4:5], v[16:17], -v[4:5]
	scratch_store_b128 off, v[2:5], off offset:976
	v_cmpx_lt_u32_e32 59, v0
	s_cbranch_execz .LBB63_291
; %bb.290:
	scratch_load_b128 v[5:8], off, s46
	v_dual_mov_b32 v2, v1 :: v_dual_mov_b32 v3, v1
	v_mov_b32_e32 v4, v1
	scratch_store_b128 off, v[1:4], off offset:960
	s_wait_loadcnt 0x0
	ds_store_b128 v174, v[5:8]
.LBB63_291:
	s_wait_alu 0xfffe
	s_or_b32 exec_lo, exec_lo, s0
	s_wait_storecnt_dscnt 0x0
	s_barrier_signal -1
	s_barrier_wait -1
	global_inv scope:SCOPE_SE
	s_clause 0x4
	scratch_load_b128 v[2:5], off, off offset:976
	scratch_load_b128 v[6:9], off, off offset:992
	scratch_load_b128 v[10:13], off, off offset:1008
	scratch_load_b128 v[14:17], off, off offset:1024
	scratch_load_b128 v[18:21], off, off offset:960
	ds_load_b128 v[22:25], v1 offset:1984
	ds_load_b128 v[26:29], v1 offset:2000
	s_mov_b32 s0, exec_lo
	s_wait_loadcnt_dscnt 0x401
	v_mul_f64_e32 v[30:31], v[24:25], v[4:5]
	v_mul_f64_e32 v[4:5], v[22:23], v[4:5]
	s_wait_loadcnt_dscnt 0x300
	v_mul_f64_e32 v[32:33], v[26:27], v[8:9]
	v_mul_f64_e32 v[8:9], v[28:29], v[8:9]
	s_delay_alu instid0(VALU_DEP_4) | instskip(NEXT) | instid1(VALU_DEP_4)
	v_fma_f64 v[30:31], v[22:23], v[2:3], -v[30:31]
	v_fma_f64 v[34:35], v[24:25], v[2:3], v[4:5]
	ds_load_b128 v[2:5], v1 offset:2016
	ds_load_b128 v[22:25], v1 offset:2032
	v_fma_f64 v[28:29], v[28:29], v[6:7], v[32:33]
	v_fma_f64 v[6:7], v[26:27], v[6:7], -v[8:9]
	s_wait_loadcnt_dscnt 0x201
	v_mul_f64_e32 v[36:37], v[2:3], v[12:13]
	v_mul_f64_e32 v[12:13], v[4:5], v[12:13]
	v_add_f64_e32 v[8:9], 0, v[30:31]
	v_add_f64_e32 v[26:27], 0, v[34:35]
	s_wait_loadcnt_dscnt 0x100
	v_mul_f64_e32 v[30:31], v[22:23], v[16:17]
	v_mul_f64_e32 v[16:17], v[24:25], v[16:17]
	v_fma_f64 v[4:5], v[4:5], v[10:11], v[36:37]
	v_fma_f64 v[1:2], v[2:3], v[10:11], -v[12:13]
	v_add_f64_e32 v[6:7], v[8:9], v[6:7]
	v_add_f64_e32 v[8:9], v[26:27], v[28:29]
	v_fma_f64 v[10:11], v[24:25], v[14:15], v[30:31]
	v_fma_f64 v[12:13], v[22:23], v[14:15], -v[16:17]
	s_delay_alu instid0(VALU_DEP_4) | instskip(NEXT) | instid1(VALU_DEP_4)
	v_add_f64_e32 v[1:2], v[6:7], v[1:2]
	v_add_f64_e32 v[3:4], v[8:9], v[4:5]
	s_delay_alu instid0(VALU_DEP_2) | instskip(NEXT) | instid1(VALU_DEP_2)
	v_add_f64_e32 v[1:2], v[1:2], v[12:13]
	v_add_f64_e32 v[3:4], v[3:4], v[10:11]
	s_wait_loadcnt 0x0
	s_delay_alu instid0(VALU_DEP_2) | instskip(NEXT) | instid1(VALU_DEP_2)
	v_add_f64_e64 v[1:2], v[18:19], -v[1:2]
	v_add_f64_e64 v[3:4], v[20:21], -v[3:4]
	scratch_store_b128 off, v[1:4], off offset:960
	v_cmpx_lt_u32_e32 58, v0
	s_cbranch_execz .LBB63_293
; %bb.292:
	scratch_load_b128 v[1:4], off, s52
	v_mov_b32_e32 v5, 0
	s_delay_alu instid0(VALU_DEP_1)
	v_dual_mov_b32 v6, v5 :: v_dual_mov_b32 v7, v5
	v_mov_b32_e32 v8, v5
	scratch_store_b128 off, v[5:8], off offset:944
	s_wait_loadcnt 0x0
	ds_store_b128 v174, v[1:4]
.LBB63_293:
	s_wait_alu 0xfffe
	s_or_b32 exec_lo, exec_lo, s0
	s_wait_storecnt_dscnt 0x0
	s_barrier_signal -1
	s_barrier_wait -1
	global_inv scope:SCOPE_SE
	s_clause 0x5
	scratch_load_b128 v[2:5], off, off offset:960
	scratch_load_b128 v[6:9], off, off offset:976
	;; [unrolled: 1-line block ×6, first 2 shown]
	v_mov_b32_e32 v1, 0
	ds_load_b128 v[26:29], v1 offset:1968
	ds_load_b128 v[30:33], v1 offset:1984
	s_mov_b32 s0, exec_lo
	s_wait_loadcnt_dscnt 0x501
	v_mul_f64_e32 v[34:35], v[28:29], v[4:5]
	v_mul_f64_e32 v[4:5], v[26:27], v[4:5]
	s_wait_loadcnt_dscnt 0x400
	v_mul_f64_e32 v[36:37], v[30:31], v[8:9]
	v_mul_f64_e32 v[8:9], v[32:33], v[8:9]
	s_delay_alu instid0(VALU_DEP_4) | instskip(NEXT) | instid1(VALU_DEP_4)
	v_fma_f64 v[34:35], v[26:27], v[2:3], -v[34:35]
	v_fma_f64 v[38:39], v[28:29], v[2:3], v[4:5]
	ds_load_b128 v[2:5], v1 offset:2000
	ds_load_b128 v[26:29], v1 offset:2016
	v_fma_f64 v[32:33], v[32:33], v[6:7], v[36:37]
	v_fma_f64 v[6:7], v[30:31], v[6:7], -v[8:9]
	s_wait_loadcnt_dscnt 0x301
	v_mul_f64_e32 v[40:41], v[2:3], v[12:13]
	v_mul_f64_e32 v[12:13], v[4:5], v[12:13]
	v_add_f64_e32 v[8:9], 0, v[34:35]
	v_add_f64_e32 v[30:31], 0, v[38:39]
	s_wait_loadcnt_dscnt 0x200
	v_mul_f64_e32 v[34:35], v[26:27], v[16:17]
	v_mul_f64_e32 v[16:17], v[28:29], v[16:17]
	v_fma_f64 v[36:37], v[4:5], v[10:11], v[40:41]
	v_fma_f64 v[10:11], v[2:3], v[10:11], -v[12:13]
	ds_load_b128 v[2:5], v1 offset:2032
	v_add_f64_e32 v[6:7], v[8:9], v[6:7]
	v_add_f64_e32 v[8:9], v[30:31], v[32:33]
	v_fma_f64 v[28:29], v[28:29], v[14:15], v[34:35]
	v_fma_f64 v[14:15], v[26:27], v[14:15], -v[16:17]
	s_wait_loadcnt_dscnt 0x100
	v_mul_f64_e32 v[12:13], v[2:3], v[20:21]
	v_mul_f64_e32 v[20:21], v[4:5], v[20:21]
	v_add_f64_e32 v[6:7], v[6:7], v[10:11]
	v_add_f64_e32 v[8:9], v[8:9], v[36:37]
	s_delay_alu instid0(VALU_DEP_4) | instskip(NEXT) | instid1(VALU_DEP_4)
	v_fma_f64 v[4:5], v[4:5], v[18:19], v[12:13]
	v_fma_f64 v[2:3], v[2:3], v[18:19], -v[20:21]
	s_delay_alu instid0(VALU_DEP_4) | instskip(NEXT) | instid1(VALU_DEP_4)
	v_add_f64_e32 v[6:7], v[6:7], v[14:15]
	v_add_f64_e32 v[8:9], v[8:9], v[28:29]
	s_delay_alu instid0(VALU_DEP_2) | instskip(NEXT) | instid1(VALU_DEP_2)
	v_add_f64_e32 v[2:3], v[6:7], v[2:3]
	v_add_f64_e32 v[4:5], v[8:9], v[4:5]
	s_wait_loadcnt 0x0
	s_delay_alu instid0(VALU_DEP_2) | instskip(NEXT) | instid1(VALU_DEP_2)
	v_add_f64_e64 v[2:3], v[22:23], -v[2:3]
	v_add_f64_e64 v[4:5], v[24:25], -v[4:5]
	scratch_store_b128 off, v[2:5], off offset:944
	v_cmpx_lt_u32_e32 57, v0
	s_cbranch_execz .LBB63_295
; %bb.294:
	scratch_load_b128 v[5:8], off, s45
	v_dual_mov_b32 v2, v1 :: v_dual_mov_b32 v3, v1
	v_mov_b32_e32 v4, v1
	scratch_store_b128 off, v[1:4], off offset:928
	s_wait_loadcnt 0x0
	ds_store_b128 v174, v[5:8]
.LBB63_295:
	s_wait_alu 0xfffe
	s_or_b32 exec_lo, exec_lo, s0
	s_wait_storecnt_dscnt 0x0
	s_barrier_signal -1
	s_barrier_wait -1
	global_inv scope:SCOPE_SE
	s_clause 0x5
	scratch_load_b128 v[2:5], off, off offset:944
	scratch_load_b128 v[6:9], off, off offset:960
	;; [unrolled: 1-line block ×6, first 2 shown]
	ds_load_b128 v[26:29], v1 offset:1952
	ds_load_b128 v[34:37], v1 offset:1968
	scratch_load_b128 v[30:33], off, off offset:928
	s_mov_b32 s0, exec_lo
	s_wait_loadcnt_dscnt 0x601
	v_mul_f64_e32 v[38:39], v[28:29], v[4:5]
	v_mul_f64_e32 v[4:5], v[26:27], v[4:5]
	s_wait_loadcnt_dscnt 0x500
	v_mul_f64_e32 v[40:41], v[34:35], v[8:9]
	v_mul_f64_e32 v[8:9], v[36:37], v[8:9]
	s_delay_alu instid0(VALU_DEP_4) | instskip(NEXT) | instid1(VALU_DEP_4)
	v_fma_f64 v[38:39], v[26:27], v[2:3], -v[38:39]
	v_fma_f64 v[42:43], v[28:29], v[2:3], v[4:5]
	ds_load_b128 v[2:5], v1 offset:1984
	ds_load_b128 v[26:29], v1 offset:2000
	v_fma_f64 v[36:37], v[36:37], v[6:7], v[40:41]
	v_fma_f64 v[6:7], v[34:35], v[6:7], -v[8:9]
	s_wait_loadcnt_dscnt 0x401
	v_mul_f64_e32 v[44:45], v[2:3], v[12:13]
	v_mul_f64_e32 v[12:13], v[4:5], v[12:13]
	v_add_f64_e32 v[8:9], 0, v[38:39]
	v_add_f64_e32 v[34:35], 0, v[42:43]
	s_wait_loadcnt_dscnt 0x300
	v_mul_f64_e32 v[38:39], v[26:27], v[16:17]
	v_mul_f64_e32 v[16:17], v[28:29], v[16:17]
	v_fma_f64 v[40:41], v[4:5], v[10:11], v[44:45]
	v_fma_f64 v[10:11], v[2:3], v[10:11], -v[12:13]
	v_add_f64_e32 v[12:13], v[8:9], v[6:7]
	v_add_f64_e32 v[34:35], v[34:35], v[36:37]
	ds_load_b128 v[2:5], v1 offset:2016
	ds_load_b128 v[6:9], v1 offset:2032
	v_fma_f64 v[28:29], v[28:29], v[14:15], v[38:39]
	v_fma_f64 v[14:15], v[26:27], v[14:15], -v[16:17]
	s_wait_loadcnt_dscnt 0x201
	v_mul_f64_e32 v[36:37], v[2:3], v[20:21]
	v_mul_f64_e32 v[20:21], v[4:5], v[20:21]
	s_wait_loadcnt_dscnt 0x100
	v_mul_f64_e32 v[16:17], v[6:7], v[24:25]
	v_mul_f64_e32 v[24:25], v[8:9], v[24:25]
	v_add_f64_e32 v[10:11], v[12:13], v[10:11]
	v_add_f64_e32 v[12:13], v[34:35], v[40:41]
	v_fma_f64 v[4:5], v[4:5], v[18:19], v[36:37]
	v_fma_f64 v[1:2], v[2:3], v[18:19], -v[20:21]
	v_fma_f64 v[8:9], v[8:9], v[22:23], v[16:17]
	v_fma_f64 v[6:7], v[6:7], v[22:23], -v[24:25]
	v_add_f64_e32 v[10:11], v[10:11], v[14:15]
	v_add_f64_e32 v[12:13], v[12:13], v[28:29]
	s_delay_alu instid0(VALU_DEP_2) | instskip(NEXT) | instid1(VALU_DEP_2)
	v_add_f64_e32 v[1:2], v[10:11], v[1:2]
	v_add_f64_e32 v[3:4], v[12:13], v[4:5]
	s_delay_alu instid0(VALU_DEP_2) | instskip(NEXT) | instid1(VALU_DEP_2)
	v_add_f64_e32 v[1:2], v[1:2], v[6:7]
	v_add_f64_e32 v[3:4], v[3:4], v[8:9]
	s_wait_loadcnt 0x0
	s_delay_alu instid0(VALU_DEP_2) | instskip(NEXT) | instid1(VALU_DEP_2)
	v_add_f64_e64 v[1:2], v[30:31], -v[1:2]
	v_add_f64_e64 v[3:4], v[32:33], -v[3:4]
	scratch_store_b128 off, v[1:4], off offset:928
	v_cmpx_lt_u32_e32 56, v0
	s_cbranch_execz .LBB63_297
; %bb.296:
	scratch_load_b128 v[1:4], off, s49
	v_mov_b32_e32 v5, 0
	s_delay_alu instid0(VALU_DEP_1)
	v_dual_mov_b32 v6, v5 :: v_dual_mov_b32 v7, v5
	v_mov_b32_e32 v8, v5
	scratch_store_b128 off, v[5:8], off offset:912
	s_wait_loadcnt 0x0
	ds_store_b128 v174, v[1:4]
.LBB63_297:
	s_wait_alu 0xfffe
	s_or_b32 exec_lo, exec_lo, s0
	s_wait_storecnt_dscnt 0x0
	s_barrier_signal -1
	s_barrier_wait -1
	global_inv scope:SCOPE_SE
	s_clause 0x6
	scratch_load_b128 v[2:5], off, off offset:928
	scratch_load_b128 v[6:9], off, off offset:944
	;; [unrolled: 1-line block ×7, first 2 shown]
	v_mov_b32_e32 v1, 0
	scratch_load_b128 v[34:37], off, off offset:912
	s_mov_b32 s0, exec_lo
	ds_load_b128 v[30:33], v1 offset:1936
	ds_load_b128 v[38:41], v1 offset:1952
	s_wait_loadcnt_dscnt 0x701
	v_mul_f64_e32 v[42:43], v[32:33], v[4:5]
	v_mul_f64_e32 v[4:5], v[30:31], v[4:5]
	s_wait_loadcnt_dscnt 0x600
	v_mul_f64_e32 v[44:45], v[38:39], v[8:9]
	v_mul_f64_e32 v[8:9], v[40:41], v[8:9]
	s_delay_alu instid0(VALU_DEP_4) | instskip(NEXT) | instid1(VALU_DEP_4)
	v_fma_f64 v[42:43], v[30:31], v[2:3], -v[42:43]
	v_fma_f64 v[175:176], v[32:33], v[2:3], v[4:5]
	ds_load_b128 v[2:5], v1 offset:1968
	ds_load_b128 v[30:33], v1 offset:1984
	v_fma_f64 v[40:41], v[40:41], v[6:7], v[44:45]
	v_fma_f64 v[6:7], v[38:39], v[6:7], -v[8:9]
	s_wait_loadcnt_dscnt 0x501
	v_mul_f64_e32 v[177:178], v[2:3], v[12:13]
	v_mul_f64_e32 v[12:13], v[4:5], v[12:13]
	v_add_f64_e32 v[8:9], 0, v[42:43]
	v_add_f64_e32 v[38:39], 0, v[175:176]
	s_wait_loadcnt_dscnt 0x400
	v_mul_f64_e32 v[42:43], v[30:31], v[16:17]
	v_mul_f64_e32 v[16:17], v[32:33], v[16:17]
	v_fma_f64 v[44:45], v[4:5], v[10:11], v[177:178]
	v_fma_f64 v[10:11], v[2:3], v[10:11], -v[12:13]
	v_add_f64_e32 v[12:13], v[8:9], v[6:7]
	v_add_f64_e32 v[38:39], v[38:39], v[40:41]
	ds_load_b128 v[2:5], v1 offset:2000
	ds_load_b128 v[6:9], v1 offset:2016
	v_fma_f64 v[32:33], v[32:33], v[14:15], v[42:43]
	v_fma_f64 v[14:15], v[30:31], v[14:15], -v[16:17]
	s_wait_loadcnt_dscnt 0x301
	v_mul_f64_e32 v[40:41], v[2:3], v[20:21]
	v_mul_f64_e32 v[20:21], v[4:5], v[20:21]
	s_wait_loadcnt_dscnt 0x200
	v_mul_f64_e32 v[16:17], v[6:7], v[24:25]
	v_mul_f64_e32 v[24:25], v[8:9], v[24:25]
	v_add_f64_e32 v[10:11], v[12:13], v[10:11]
	v_add_f64_e32 v[12:13], v[38:39], v[44:45]
	v_fma_f64 v[30:31], v[4:5], v[18:19], v[40:41]
	v_fma_f64 v[18:19], v[2:3], v[18:19], -v[20:21]
	ds_load_b128 v[2:5], v1 offset:2032
	v_fma_f64 v[8:9], v[8:9], v[22:23], v[16:17]
	v_fma_f64 v[6:7], v[6:7], v[22:23], -v[24:25]
	v_add_f64_e32 v[10:11], v[10:11], v[14:15]
	v_add_f64_e32 v[12:13], v[12:13], v[32:33]
	s_wait_loadcnt_dscnt 0x100
	v_mul_f64_e32 v[14:15], v[2:3], v[28:29]
	v_mul_f64_e32 v[20:21], v[4:5], v[28:29]
	s_delay_alu instid0(VALU_DEP_4) | instskip(NEXT) | instid1(VALU_DEP_4)
	v_add_f64_e32 v[10:11], v[10:11], v[18:19]
	v_add_f64_e32 v[12:13], v[12:13], v[30:31]
	s_delay_alu instid0(VALU_DEP_4) | instskip(NEXT) | instid1(VALU_DEP_4)
	v_fma_f64 v[4:5], v[4:5], v[26:27], v[14:15]
	v_fma_f64 v[2:3], v[2:3], v[26:27], -v[20:21]
	s_delay_alu instid0(VALU_DEP_4) | instskip(NEXT) | instid1(VALU_DEP_4)
	v_add_f64_e32 v[6:7], v[10:11], v[6:7]
	v_add_f64_e32 v[8:9], v[12:13], v[8:9]
	s_delay_alu instid0(VALU_DEP_2) | instskip(NEXT) | instid1(VALU_DEP_2)
	v_add_f64_e32 v[2:3], v[6:7], v[2:3]
	v_add_f64_e32 v[4:5], v[8:9], v[4:5]
	s_wait_loadcnt 0x0
	s_delay_alu instid0(VALU_DEP_2) | instskip(NEXT) | instid1(VALU_DEP_2)
	v_add_f64_e64 v[2:3], v[34:35], -v[2:3]
	v_add_f64_e64 v[4:5], v[36:37], -v[4:5]
	scratch_store_b128 off, v[2:5], off offset:912
	v_cmpx_lt_u32_e32 55, v0
	s_cbranch_execz .LBB63_299
; %bb.298:
	scratch_load_b128 v[5:8], off, s40
	v_dual_mov_b32 v2, v1 :: v_dual_mov_b32 v3, v1
	v_mov_b32_e32 v4, v1
	scratch_store_b128 off, v[1:4], off offset:896
	s_wait_loadcnt 0x0
	ds_store_b128 v174, v[5:8]
.LBB63_299:
	s_wait_alu 0xfffe
	s_or_b32 exec_lo, exec_lo, s0
	s_wait_storecnt_dscnt 0x0
	s_barrier_signal -1
	s_barrier_wait -1
	global_inv scope:SCOPE_SE
	s_clause 0x7
	scratch_load_b128 v[2:5], off, off offset:912
	scratch_load_b128 v[6:9], off, off offset:928
	;; [unrolled: 1-line block ×8, first 2 shown]
	ds_load_b128 v[34:37], v1 offset:1920
	ds_load_b128 v[38:41], v1 offset:1936
	scratch_load_b128 v[42:45], off, off offset:896
	s_mov_b32 s0, exec_lo
	s_wait_loadcnt_dscnt 0x801
	v_mul_f64_e32 v[175:176], v[36:37], v[4:5]
	v_mul_f64_e32 v[4:5], v[34:35], v[4:5]
	s_wait_loadcnt_dscnt 0x700
	v_mul_f64_e32 v[177:178], v[38:39], v[8:9]
	v_mul_f64_e32 v[8:9], v[40:41], v[8:9]
	s_delay_alu instid0(VALU_DEP_4) | instskip(NEXT) | instid1(VALU_DEP_4)
	v_fma_f64 v[175:176], v[34:35], v[2:3], -v[175:176]
	v_fma_f64 v[179:180], v[36:37], v[2:3], v[4:5]
	ds_load_b128 v[2:5], v1 offset:1952
	ds_load_b128 v[34:37], v1 offset:1968
	v_fma_f64 v[40:41], v[40:41], v[6:7], v[177:178]
	v_fma_f64 v[6:7], v[38:39], v[6:7], -v[8:9]
	s_wait_loadcnt_dscnt 0x601
	v_mul_f64_e32 v[181:182], v[2:3], v[12:13]
	v_mul_f64_e32 v[12:13], v[4:5], v[12:13]
	v_add_f64_e32 v[8:9], 0, v[175:176]
	v_add_f64_e32 v[38:39], 0, v[179:180]
	s_wait_loadcnt_dscnt 0x500
	v_mul_f64_e32 v[175:176], v[34:35], v[16:17]
	v_mul_f64_e32 v[16:17], v[36:37], v[16:17]
	v_fma_f64 v[177:178], v[4:5], v[10:11], v[181:182]
	v_fma_f64 v[10:11], v[2:3], v[10:11], -v[12:13]
	v_add_f64_e32 v[12:13], v[8:9], v[6:7]
	v_add_f64_e32 v[38:39], v[38:39], v[40:41]
	ds_load_b128 v[2:5], v1 offset:1984
	ds_load_b128 v[6:9], v1 offset:2000
	v_fma_f64 v[36:37], v[36:37], v[14:15], v[175:176]
	v_fma_f64 v[14:15], v[34:35], v[14:15], -v[16:17]
	s_wait_loadcnt_dscnt 0x401
	v_mul_f64_e32 v[40:41], v[2:3], v[20:21]
	v_mul_f64_e32 v[20:21], v[4:5], v[20:21]
	s_wait_loadcnt_dscnt 0x300
	v_mul_f64_e32 v[16:17], v[6:7], v[24:25]
	v_mul_f64_e32 v[24:25], v[8:9], v[24:25]
	v_add_f64_e32 v[10:11], v[12:13], v[10:11]
	v_add_f64_e32 v[12:13], v[38:39], v[177:178]
	v_fma_f64 v[34:35], v[4:5], v[18:19], v[40:41]
	v_fma_f64 v[18:19], v[2:3], v[18:19], -v[20:21]
	v_fma_f64 v[8:9], v[8:9], v[22:23], v[16:17]
	v_fma_f64 v[6:7], v[6:7], v[22:23], -v[24:25]
	v_add_f64_e32 v[14:15], v[10:11], v[14:15]
	v_add_f64_e32 v[20:21], v[12:13], v[36:37]
	ds_load_b128 v[2:5], v1 offset:2016
	ds_load_b128 v[10:13], v1 offset:2032
	s_wait_loadcnt_dscnt 0x201
	v_mul_f64_e32 v[36:37], v[2:3], v[28:29]
	v_mul_f64_e32 v[28:29], v[4:5], v[28:29]
	v_add_f64_e32 v[14:15], v[14:15], v[18:19]
	v_add_f64_e32 v[16:17], v[20:21], v[34:35]
	s_wait_loadcnt_dscnt 0x100
	v_mul_f64_e32 v[18:19], v[10:11], v[32:33]
	v_mul_f64_e32 v[20:21], v[12:13], v[32:33]
	v_fma_f64 v[4:5], v[4:5], v[26:27], v[36:37]
	v_fma_f64 v[1:2], v[2:3], v[26:27], -v[28:29]
	v_add_f64_e32 v[6:7], v[14:15], v[6:7]
	v_add_f64_e32 v[8:9], v[16:17], v[8:9]
	v_fma_f64 v[12:13], v[12:13], v[30:31], v[18:19]
	v_fma_f64 v[10:11], v[10:11], v[30:31], -v[20:21]
	s_delay_alu instid0(VALU_DEP_4) | instskip(NEXT) | instid1(VALU_DEP_4)
	v_add_f64_e32 v[1:2], v[6:7], v[1:2]
	v_add_f64_e32 v[3:4], v[8:9], v[4:5]
	s_delay_alu instid0(VALU_DEP_2) | instskip(NEXT) | instid1(VALU_DEP_2)
	v_add_f64_e32 v[1:2], v[1:2], v[10:11]
	v_add_f64_e32 v[3:4], v[3:4], v[12:13]
	s_wait_loadcnt 0x0
	s_delay_alu instid0(VALU_DEP_2) | instskip(NEXT) | instid1(VALU_DEP_2)
	v_add_f64_e64 v[1:2], v[42:43], -v[1:2]
	v_add_f64_e64 v[3:4], v[44:45], -v[3:4]
	scratch_store_b128 off, v[1:4], off offset:896
	v_cmpx_lt_u32_e32 54, v0
	s_cbranch_execz .LBB63_301
; %bb.300:
	scratch_load_b128 v[1:4], off, s44
	v_mov_b32_e32 v5, 0
	s_delay_alu instid0(VALU_DEP_1)
	v_dual_mov_b32 v6, v5 :: v_dual_mov_b32 v7, v5
	v_mov_b32_e32 v8, v5
	scratch_store_b128 off, v[5:8], off offset:880
	s_wait_loadcnt 0x0
	ds_store_b128 v174, v[1:4]
.LBB63_301:
	s_wait_alu 0xfffe
	s_or_b32 exec_lo, exec_lo, s0
	s_wait_storecnt_dscnt 0x0
	s_barrier_signal -1
	s_barrier_wait -1
	global_inv scope:SCOPE_SE
	s_clause 0x7
	scratch_load_b128 v[2:5], off, off offset:896
	scratch_load_b128 v[6:9], off, off offset:912
	;; [unrolled: 1-line block ×8, first 2 shown]
	v_mov_b32_e32 v1, 0
	s_mov_b32 s0, exec_lo
	ds_load_b128 v[34:37], v1 offset:1904
	s_clause 0x1
	scratch_load_b128 v[38:41], off, off offset:1024
	scratch_load_b128 v[42:45], off, off offset:880
	ds_load_b128 v[175:178], v1 offset:1920
	s_wait_loadcnt_dscnt 0x901
	v_mul_f64_e32 v[179:180], v[36:37], v[4:5]
	v_mul_f64_e32 v[4:5], v[34:35], v[4:5]
	s_wait_loadcnt_dscnt 0x800
	v_mul_f64_e32 v[181:182], v[175:176], v[8:9]
	v_mul_f64_e32 v[8:9], v[177:178], v[8:9]
	s_delay_alu instid0(VALU_DEP_4) | instskip(NEXT) | instid1(VALU_DEP_4)
	v_fma_f64 v[179:180], v[34:35], v[2:3], -v[179:180]
	v_fma_f64 v[183:184], v[36:37], v[2:3], v[4:5]
	ds_load_b128 v[2:5], v1 offset:1936
	ds_load_b128 v[34:37], v1 offset:1952
	v_fma_f64 v[177:178], v[177:178], v[6:7], v[181:182]
	v_fma_f64 v[6:7], v[175:176], v[6:7], -v[8:9]
	s_wait_loadcnt_dscnt 0x701
	v_mul_f64_e32 v[185:186], v[2:3], v[12:13]
	v_mul_f64_e32 v[12:13], v[4:5], v[12:13]
	v_add_f64_e32 v[8:9], 0, v[179:180]
	v_add_f64_e32 v[175:176], 0, v[183:184]
	s_wait_loadcnt_dscnt 0x600
	v_mul_f64_e32 v[179:180], v[34:35], v[16:17]
	v_mul_f64_e32 v[16:17], v[36:37], v[16:17]
	v_fma_f64 v[181:182], v[4:5], v[10:11], v[185:186]
	v_fma_f64 v[10:11], v[2:3], v[10:11], -v[12:13]
	v_add_f64_e32 v[12:13], v[8:9], v[6:7]
	v_add_f64_e32 v[175:176], v[175:176], v[177:178]
	ds_load_b128 v[2:5], v1 offset:1968
	ds_load_b128 v[6:9], v1 offset:1984
	v_fma_f64 v[36:37], v[36:37], v[14:15], v[179:180]
	v_fma_f64 v[14:15], v[34:35], v[14:15], -v[16:17]
	s_wait_loadcnt_dscnt 0x501
	v_mul_f64_e32 v[177:178], v[2:3], v[20:21]
	v_mul_f64_e32 v[20:21], v[4:5], v[20:21]
	s_wait_loadcnt_dscnt 0x400
	v_mul_f64_e32 v[16:17], v[6:7], v[24:25]
	v_mul_f64_e32 v[24:25], v[8:9], v[24:25]
	v_add_f64_e32 v[10:11], v[12:13], v[10:11]
	v_add_f64_e32 v[12:13], v[175:176], v[181:182]
	v_fma_f64 v[34:35], v[4:5], v[18:19], v[177:178]
	v_fma_f64 v[18:19], v[2:3], v[18:19], -v[20:21]
	v_fma_f64 v[8:9], v[8:9], v[22:23], v[16:17]
	v_fma_f64 v[6:7], v[6:7], v[22:23], -v[24:25]
	v_add_f64_e32 v[14:15], v[10:11], v[14:15]
	v_add_f64_e32 v[20:21], v[12:13], v[36:37]
	ds_load_b128 v[2:5], v1 offset:2000
	ds_load_b128 v[10:13], v1 offset:2016
	s_wait_loadcnt_dscnt 0x301
	v_mul_f64_e32 v[36:37], v[2:3], v[28:29]
	v_mul_f64_e32 v[28:29], v[4:5], v[28:29]
	v_add_f64_e32 v[14:15], v[14:15], v[18:19]
	v_add_f64_e32 v[16:17], v[20:21], v[34:35]
	s_wait_loadcnt_dscnt 0x200
	v_mul_f64_e32 v[18:19], v[10:11], v[32:33]
	v_mul_f64_e32 v[20:21], v[12:13], v[32:33]
	v_fma_f64 v[22:23], v[4:5], v[26:27], v[36:37]
	v_fma_f64 v[24:25], v[2:3], v[26:27], -v[28:29]
	ds_load_b128 v[2:5], v1 offset:2032
	v_add_f64_e32 v[6:7], v[14:15], v[6:7]
	v_add_f64_e32 v[8:9], v[16:17], v[8:9]
	v_fma_f64 v[12:13], v[12:13], v[30:31], v[18:19]
	v_fma_f64 v[10:11], v[10:11], v[30:31], -v[20:21]
	s_wait_loadcnt_dscnt 0x100
	v_mul_f64_e32 v[14:15], v[2:3], v[40:41]
	v_mul_f64_e32 v[16:17], v[4:5], v[40:41]
	v_add_f64_e32 v[6:7], v[6:7], v[24:25]
	v_add_f64_e32 v[8:9], v[8:9], v[22:23]
	s_delay_alu instid0(VALU_DEP_4) | instskip(NEXT) | instid1(VALU_DEP_4)
	v_fma_f64 v[4:5], v[4:5], v[38:39], v[14:15]
	v_fma_f64 v[2:3], v[2:3], v[38:39], -v[16:17]
	s_delay_alu instid0(VALU_DEP_4) | instskip(NEXT) | instid1(VALU_DEP_4)
	v_add_f64_e32 v[6:7], v[6:7], v[10:11]
	v_add_f64_e32 v[8:9], v[8:9], v[12:13]
	s_delay_alu instid0(VALU_DEP_2) | instskip(NEXT) | instid1(VALU_DEP_2)
	v_add_f64_e32 v[2:3], v[6:7], v[2:3]
	v_add_f64_e32 v[4:5], v[8:9], v[4:5]
	s_wait_loadcnt 0x0
	s_delay_alu instid0(VALU_DEP_2) | instskip(NEXT) | instid1(VALU_DEP_2)
	v_add_f64_e64 v[2:3], v[42:43], -v[2:3]
	v_add_f64_e64 v[4:5], v[44:45], -v[4:5]
	scratch_store_b128 off, v[2:5], off offset:880
	v_cmpx_lt_u32_e32 53, v0
	s_cbranch_execz .LBB63_303
; %bb.302:
	scratch_load_b128 v[5:8], off, s38
	v_dual_mov_b32 v2, v1 :: v_dual_mov_b32 v3, v1
	v_mov_b32_e32 v4, v1
	scratch_store_b128 off, v[1:4], off offset:864
	s_wait_loadcnt 0x0
	ds_store_b128 v174, v[5:8]
.LBB63_303:
	s_wait_alu 0xfffe
	s_or_b32 exec_lo, exec_lo, s0
	s_wait_storecnt_dscnt 0x0
	s_barrier_signal -1
	s_barrier_wait -1
	global_inv scope:SCOPE_SE
	s_clause 0x7
	scratch_load_b128 v[2:5], off, off offset:880
	scratch_load_b128 v[6:9], off, off offset:896
	scratch_load_b128 v[10:13], off, off offset:912
	scratch_load_b128 v[14:17], off, off offset:928
	scratch_load_b128 v[18:21], off, off offset:944
	scratch_load_b128 v[22:25], off, off offset:960
	scratch_load_b128 v[26:29], off, off offset:976
	scratch_load_b128 v[30:33], off, off offset:992
	ds_load_b128 v[34:37], v1 offset:1888
	ds_load_b128 v[42:45], v1 offset:1904
	s_clause 0x1
	scratch_load_b128 v[38:41], off, off offset:1008
	scratch_load_b128 v[175:178], off, off offset:1024
	s_mov_b32 s0, exec_lo
	s_wait_loadcnt_dscnt 0x901
	v_mul_f64_e32 v[179:180], v[36:37], v[4:5]
	v_mul_f64_e32 v[4:5], v[34:35], v[4:5]
	s_wait_loadcnt_dscnt 0x800
	v_mul_f64_e32 v[181:182], v[42:43], v[8:9]
	v_mul_f64_e32 v[8:9], v[44:45], v[8:9]
	s_delay_alu instid0(VALU_DEP_4) | instskip(NEXT) | instid1(VALU_DEP_4)
	v_fma_f64 v[34:35], v[34:35], v[2:3], -v[179:180]
	v_fma_f64 v[36:37], v[36:37], v[2:3], v[4:5]
	ds_load_b128 v[2:5], v1 offset:1920
	v_fma_f64 v[44:45], v[44:45], v[6:7], v[181:182]
	v_fma_f64 v[42:43], v[42:43], v[6:7], -v[8:9]
	ds_load_b128 v[6:9], v1 offset:1936
	s_wait_loadcnt_dscnt 0x701
	v_mul_f64_e32 v[179:180], v[2:3], v[12:13]
	v_mul_f64_e32 v[12:13], v[4:5], v[12:13]
	s_wait_loadcnt_dscnt 0x600
	v_mul_f64_e32 v[181:182], v[6:7], v[16:17]
	v_mul_f64_e32 v[16:17], v[8:9], v[16:17]
	v_add_f64_e32 v[34:35], 0, v[34:35]
	v_add_f64_e32 v[36:37], 0, v[36:37]
	v_fma_f64 v[179:180], v[4:5], v[10:11], v[179:180]
	v_fma_f64 v[183:184], v[2:3], v[10:11], -v[12:13]
	ds_load_b128 v[2:5], v1 offset:1952
	scratch_load_b128 v[10:13], off, off offset:864
	v_add_f64_e32 v[34:35], v[34:35], v[42:43]
	v_add_f64_e32 v[36:37], v[36:37], v[44:45]
	v_fma_f64 v[44:45], v[8:9], v[14:15], v[181:182]
	v_fma_f64 v[14:15], v[6:7], v[14:15], -v[16:17]
	ds_load_b128 v[6:9], v1 offset:1968
	s_wait_loadcnt_dscnt 0x601
	v_mul_f64_e32 v[42:43], v[2:3], v[20:21]
	v_mul_f64_e32 v[20:21], v[4:5], v[20:21]
	v_add_f64_e32 v[16:17], v[34:35], v[183:184]
	v_add_f64_e32 v[34:35], v[36:37], v[179:180]
	s_wait_loadcnt_dscnt 0x500
	v_mul_f64_e32 v[36:37], v[6:7], v[24:25]
	v_mul_f64_e32 v[24:25], v[8:9], v[24:25]
	v_fma_f64 v[42:43], v[4:5], v[18:19], v[42:43]
	v_fma_f64 v[18:19], v[2:3], v[18:19], -v[20:21]
	ds_load_b128 v[2:5], v1 offset:1984
	v_add_f64_e32 v[14:15], v[16:17], v[14:15]
	v_add_f64_e32 v[16:17], v[34:35], v[44:45]
	v_fma_f64 v[34:35], v[8:9], v[22:23], v[36:37]
	v_fma_f64 v[22:23], v[6:7], v[22:23], -v[24:25]
	ds_load_b128 v[6:9], v1 offset:2000
	s_wait_loadcnt_dscnt 0x401
	v_mul_f64_e32 v[20:21], v[2:3], v[28:29]
	v_mul_f64_e32 v[28:29], v[4:5], v[28:29]
	s_wait_loadcnt_dscnt 0x300
	v_mul_f64_e32 v[24:25], v[8:9], v[32:33]
	v_add_f64_e32 v[14:15], v[14:15], v[18:19]
	v_add_f64_e32 v[16:17], v[16:17], v[42:43]
	v_mul_f64_e32 v[18:19], v[6:7], v[32:33]
	v_fma_f64 v[20:21], v[4:5], v[26:27], v[20:21]
	v_fma_f64 v[26:27], v[2:3], v[26:27], -v[28:29]
	ds_load_b128 v[2:5], v1 offset:2016
	v_fma_f64 v[24:25], v[6:7], v[30:31], -v[24:25]
	v_add_f64_e32 v[14:15], v[14:15], v[22:23]
	v_add_f64_e32 v[16:17], v[16:17], v[34:35]
	v_fma_f64 v[18:19], v[8:9], v[30:31], v[18:19]
	ds_load_b128 v[6:9], v1 offset:2032
	s_wait_loadcnt_dscnt 0x201
	v_mul_f64_e32 v[22:23], v[2:3], v[40:41]
	v_mul_f64_e32 v[28:29], v[4:5], v[40:41]
	v_add_f64_e32 v[14:15], v[14:15], v[26:27]
	v_add_f64_e32 v[16:17], v[16:17], v[20:21]
	s_wait_loadcnt_dscnt 0x100
	v_mul_f64_e32 v[20:21], v[6:7], v[177:178]
	v_mul_f64_e32 v[26:27], v[8:9], v[177:178]
	v_fma_f64 v[4:5], v[4:5], v[38:39], v[22:23]
	v_fma_f64 v[1:2], v[2:3], v[38:39], -v[28:29]
	v_add_f64_e32 v[14:15], v[14:15], v[24:25]
	v_add_f64_e32 v[16:17], v[16:17], v[18:19]
	v_fma_f64 v[8:9], v[8:9], v[175:176], v[20:21]
	v_fma_f64 v[6:7], v[6:7], v[175:176], -v[26:27]
	s_delay_alu instid0(VALU_DEP_4) | instskip(NEXT) | instid1(VALU_DEP_4)
	v_add_f64_e32 v[1:2], v[14:15], v[1:2]
	v_add_f64_e32 v[3:4], v[16:17], v[4:5]
	s_delay_alu instid0(VALU_DEP_2) | instskip(NEXT) | instid1(VALU_DEP_2)
	v_add_f64_e32 v[1:2], v[1:2], v[6:7]
	v_add_f64_e32 v[3:4], v[3:4], v[8:9]
	s_wait_loadcnt 0x0
	s_delay_alu instid0(VALU_DEP_2) | instskip(NEXT) | instid1(VALU_DEP_2)
	v_add_f64_e64 v[1:2], v[10:11], -v[1:2]
	v_add_f64_e64 v[3:4], v[12:13], -v[3:4]
	scratch_store_b128 off, v[1:4], off offset:864
	v_cmpx_lt_u32_e32 52, v0
	s_cbranch_execz .LBB63_305
; %bb.304:
	scratch_load_b128 v[1:4], off, s43
	v_mov_b32_e32 v5, 0
	s_delay_alu instid0(VALU_DEP_1)
	v_dual_mov_b32 v6, v5 :: v_dual_mov_b32 v7, v5
	v_mov_b32_e32 v8, v5
	scratch_store_b128 off, v[5:8], off offset:848
	s_wait_loadcnt 0x0
	ds_store_b128 v174, v[1:4]
.LBB63_305:
	s_wait_alu 0xfffe
	s_or_b32 exec_lo, exec_lo, s0
	s_wait_storecnt_dscnt 0x0
	s_barrier_signal -1
	s_barrier_wait -1
	global_inv scope:SCOPE_SE
	s_clause 0x7
	scratch_load_b128 v[2:5], off, off offset:864
	scratch_load_b128 v[6:9], off, off offset:880
	;; [unrolled: 1-line block ×8, first 2 shown]
	v_mov_b32_e32 v1, 0
	s_clause 0x1
	scratch_load_b128 v[38:41], off, off offset:992
	scratch_load_b128 v[175:178], off, off offset:1008
	s_mov_b32 s0, exec_lo
	ds_load_b128 v[34:37], v1 offset:1872
	ds_load_b128 v[42:45], v1 offset:1888
	s_wait_loadcnt_dscnt 0x901
	v_mul_f64_e32 v[179:180], v[36:37], v[4:5]
	v_mul_f64_e32 v[4:5], v[34:35], v[4:5]
	s_wait_loadcnt_dscnt 0x800
	v_mul_f64_e32 v[181:182], v[42:43], v[8:9]
	v_mul_f64_e32 v[8:9], v[44:45], v[8:9]
	s_delay_alu instid0(VALU_DEP_4) | instskip(NEXT) | instid1(VALU_DEP_4)
	v_fma_f64 v[179:180], v[34:35], v[2:3], -v[179:180]
	v_fma_f64 v[183:184], v[36:37], v[2:3], v[4:5]
	ds_load_b128 v[2:5], v1 offset:1904
	scratch_load_b128 v[34:37], off, off offset:1024
	v_fma_f64 v[44:45], v[44:45], v[6:7], v[181:182]
	v_fma_f64 v[42:43], v[42:43], v[6:7], -v[8:9]
	ds_load_b128 v[6:9], v1 offset:1920
	s_wait_loadcnt_dscnt 0x801
	v_mul_f64_e32 v[185:186], v[2:3], v[12:13]
	v_mul_f64_e32 v[12:13], v[4:5], v[12:13]
	v_add_f64_e32 v[179:180], 0, v[179:180]
	v_add_f64_e32 v[181:182], 0, v[183:184]
	s_wait_loadcnt_dscnt 0x700
	v_mul_f64_e32 v[183:184], v[6:7], v[16:17]
	v_mul_f64_e32 v[16:17], v[8:9], v[16:17]
	v_fma_f64 v[185:186], v[4:5], v[10:11], v[185:186]
	v_fma_f64 v[10:11], v[2:3], v[10:11], -v[12:13]
	ds_load_b128 v[2:5], v1 offset:1936
	v_add_f64_e32 v[12:13], v[179:180], v[42:43]
	v_add_f64_e32 v[42:43], v[181:182], v[44:45]
	v_fma_f64 v[179:180], v[8:9], v[14:15], v[183:184]
	v_fma_f64 v[14:15], v[6:7], v[14:15], -v[16:17]
	ds_load_b128 v[6:9], v1 offset:1952
	s_wait_loadcnt_dscnt 0x601
	v_mul_f64_e32 v[44:45], v[2:3], v[20:21]
	v_mul_f64_e32 v[20:21], v[4:5], v[20:21]
	s_wait_loadcnt_dscnt 0x500
	v_mul_f64_e32 v[181:182], v[6:7], v[24:25]
	v_mul_f64_e32 v[24:25], v[8:9], v[24:25]
	v_add_f64_e32 v[16:17], v[12:13], v[10:11]
	v_add_f64_e32 v[42:43], v[42:43], v[185:186]
	scratch_load_b128 v[10:13], off, off offset:848
	v_fma_f64 v[44:45], v[4:5], v[18:19], v[44:45]
	v_fma_f64 v[18:19], v[2:3], v[18:19], -v[20:21]
	ds_load_b128 v[2:5], v1 offset:1968
	v_add_f64_e32 v[14:15], v[16:17], v[14:15]
	v_add_f64_e32 v[16:17], v[42:43], v[179:180]
	v_fma_f64 v[42:43], v[8:9], v[22:23], v[181:182]
	v_fma_f64 v[22:23], v[6:7], v[22:23], -v[24:25]
	ds_load_b128 v[6:9], v1 offset:1984
	s_wait_loadcnt_dscnt 0x501
	v_mul_f64_e32 v[20:21], v[2:3], v[28:29]
	v_mul_f64_e32 v[28:29], v[4:5], v[28:29]
	s_wait_loadcnt_dscnt 0x400
	v_mul_f64_e32 v[24:25], v[8:9], v[32:33]
	v_add_f64_e32 v[14:15], v[14:15], v[18:19]
	v_add_f64_e32 v[16:17], v[16:17], v[44:45]
	v_mul_f64_e32 v[18:19], v[6:7], v[32:33]
	v_fma_f64 v[20:21], v[4:5], v[26:27], v[20:21]
	v_fma_f64 v[26:27], v[2:3], v[26:27], -v[28:29]
	ds_load_b128 v[2:5], v1 offset:2000
	v_fma_f64 v[24:25], v[6:7], v[30:31], -v[24:25]
	v_add_f64_e32 v[14:15], v[14:15], v[22:23]
	v_add_f64_e32 v[16:17], v[16:17], v[42:43]
	v_fma_f64 v[18:19], v[8:9], v[30:31], v[18:19]
	ds_load_b128 v[6:9], v1 offset:2016
	s_wait_loadcnt_dscnt 0x301
	v_mul_f64_e32 v[22:23], v[2:3], v[40:41]
	v_mul_f64_e32 v[28:29], v[4:5], v[40:41]
	v_add_f64_e32 v[14:15], v[14:15], v[26:27]
	v_add_f64_e32 v[16:17], v[16:17], v[20:21]
	s_wait_loadcnt_dscnt 0x200
	v_mul_f64_e32 v[20:21], v[6:7], v[177:178]
	v_mul_f64_e32 v[26:27], v[8:9], v[177:178]
	v_fma_f64 v[22:23], v[4:5], v[38:39], v[22:23]
	v_fma_f64 v[28:29], v[2:3], v[38:39], -v[28:29]
	ds_load_b128 v[2:5], v1 offset:2032
	v_add_f64_e32 v[14:15], v[14:15], v[24:25]
	v_add_f64_e32 v[16:17], v[16:17], v[18:19]
	v_fma_f64 v[8:9], v[8:9], v[175:176], v[20:21]
	v_fma_f64 v[6:7], v[6:7], v[175:176], -v[26:27]
	s_wait_loadcnt_dscnt 0x100
	v_mul_f64_e32 v[18:19], v[2:3], v[36:37]
	v_mul_f64_e32 v[24:25], v[4:5], v[36:37]
	v_add_f64_e32 v[14:15], v[14:15], v[28:29]
	v_add_f64_e32 v[16:17], v[16:17], v[22:23]
	s_delay_alu instid0(VALU_DEP_4) | instskip(NEXT) | instid1(VALU_DEP_4)
	v_fma_f64 v[4:5], v[4:5], v[34:35], v[18:19]
	v_fma_f64 v[2:3], v[2:3], v[34:35], -v[24:25]
	s_delay_alu instid0(VALU_DEP_4) | instskip(NEXT) | instid1(VALU_DEP_4)
	v_add_f64_e32 v[6:7], v[14:15], v[6:7]
	v_add_f64_e32 v[8:9], v[16:17], v[8:9]
	s_delay_alu instid0(VALU_DEP_2) | instskip(NEXT) | instid1(VALU_DEP_2)
	v_add_f64_e32 v[2:3], v[6:7], v[2:3]
	v_add_f64_e32 v[4:5], v[8:9], v[4:5]
	s_wait_loadcnt 0x0
	s_delay_alu instid0(VALU_DEP_2) | instskip(NEXT) | instid1(VALU_DEP_2)
	v_add_f64_e64 v[2:3], v[10:11], -v[2:3]
	v_add_f64_e64 v[4:5], v[12:13], -v[4:5]
	scratch_store_b128 off, v[2:5], off offset:848
	v_cmpx_lt_u32_e32 51, v0
	s_cbranch_execz .LBB63_307
; %bb.306:
	scratch_load_b128 v[5:8], off, s37
	v_dual_mov_b32 v2, v1 :: v_dual_mov_b32 v3, v1
	v_mov_b32_e32 v4, v1
	scratch_store_b128 off, v[1:4], off offset:832
	s_wait_loadcnt 0x0
	ds_store_b128 v174, v[5:8]
.LBB63_307:
	s_wait_alu 0xfffe
	s_or_b32 exec_lo, exec_lo, s0
	s_wait_storecnt_dscnt 0x0
	s_barrier_signal -1
	s_barrier_wait -1
	global_inv scope:SCOPE_SE
	s_clause 0x7
	scratch_load_b128 v[2:5], off, off offset:848
	scratch_load_b128 v[6:9], off, off offset:864
	;; [unrolled: 1-line block ×8, first 2 shown]
	ds_load_b128 v[34:37], v1 offset:1856
	ds_load_b128 v[42:45], v1 offset:1872
	s_clause 0x1
	scratch_load_b128 v[38:41], off, off offset:976
	scratch_load_b128 v[175:178], off, off offset:992
	s_mov_b32 s0, exec_lo
	s_wait_loadcnt_dscnt 0x901
	v_mul_f64_e32 v[179:180], v[36:37], v[4:5]
	v_mul_f64_e32 v[4:5], v[34:35], v[4:5]
	s_wait_loadcnt_dscnt 0x800
	v_mul_f64_e32 v[181:182], v[42:43], v[8:9]
	v_mul_f64_e32 v[8:9], v[44:45], v[8:9]
	s_delay_alu instid0(VALU_DEP_4) | instskip(NEXT) | instid1(VALU_DEP_4)
	v_fma_f64 v[179:180], v[34:35], v[2:3], -v[179:180]
	v_fma_f64 v[183:184], v[36:37], v[2:3], v[4:5]
	ds_load_b128 v[2:5], v1 offset:1888
	scratch_load_b128 v[34:37], off, off offset:1008
	v_fma_f64 v[181:182], v[44:45], v[6:7], v[181:182]
	v_fma_f64 v[187:188], v[42:43], v[6:7], -v[8:9]
	ds_load_b128 v[6:9], v1 offset:1904
	scratch_load_b128 v[42:45], off, off offset:1024
	s_wait_loadcnt_dscnt 0x901
	v_mul_f64_e32 v[185:186], v[2:3], v[12:13]
	v_mul_f64_e32 v[12:13], v[4:5], v[12:13]
	s_wait_loadcnt_dscnt 0x800
	v_mul_f64_e32 v[189:190], v[6:7], v[16:17]
	v_mul_f64_e32 v[16:17], v[8:9], v[16:17]
	v_add_f64_e32 v[179:180], 0, v[179:180]
	v_add_f64_e32 v[183:184], 0, v[183:184]
	v_fma_f64 v[185:186], v[4:5], v[10:11], v[185:186]
	v_fma_f64 v[10:11], v[2:3], v[10:11], -v[12:13]
	ds_load_b128 v[2:5], v1 offset:1920
	v_add_f64_e32 v[12:13], v[179:180], v[187:188]
	v_add_f64_e32 v[179:180], v[183:184], v[181:182]
	v_fma_f64 v[183:184], v[8:9], v[14:15], v[189:190]
	v_fma_f64 v[14:15], v[6:7], v[14:15], -v[16:17]
	ds_load_b128 v[6:9], v1 offset:1936
	s_wait_loadcnt_dscnt 0x701
	v_mul_f64_e32 v[181:182], v[2:3], v[20:21]
	v_mul_f64_e32 v[20:21], v[4:5], v[20:21]
	s_wait_loadcnt_dscnt 0x600
	v_mul_f64_e32 v[16:17], v[6:7], v[24:25]
	v_mul_f64_e32 v[24:25], v[8:9], v[24:25]
	v_add_f64_e32 v[10:11], v[12:13], v[10:11]
	v_add_f64_e32 v[12:13], v[179:180], v[185:186]
	v_fma_f64 v[179:180], v[4:5], v[18:19], v[181:182]
	v_fma_f64 v[18:19], v[2:3], v[18:19], -v[20:21]
	ds_load_b128 v[2:5], v1 offset:1952
	v_fma_f64 v[16:17], v[8:9], v[22:23], v[16:17]
	v_fma_f64 v[22:23], v[6:7], v[22:23], -v[24:25]
	ds_load_b128 v[6:9], v1 offset:1968
	s_wait_loadcnt_dscnt 0x501
	v_mul_f64_e32 v[181:182], v[2:3], v[28:29]
	v_mul_f64_e32 v[28:29], v[4:5], v[28:29]
	v_add_f64_e32 v[14:15], v[10:11], v[14:15]
	v_add_f64_e32 v[20:21], v[12:13], v[183:184]
	scratch_load_b128 v[10:13], off, off offset:832
	s_wait_loadcnt_dscnt 0x500
	v_mul_f64_e32 v[24:25], v[8:9], v[32:33]
	v_add_f64_e32 v[14:15], v[14:15], v[18:19]
	v_add_f64_e32 v[18:19], v[20:21], v[179:180]
	v_mul_f64_e32 v[20:21], v[6:7], v[32:33]
	v_fma_f64 v[32:33], v[4:5], v[26:27], v[181:182]
	v_fma_f64 v[26:27], v[2:3], v[26:27], -v[28:29]
	ds_load_b128 v[2:5], v1 offset:1984
	v_fma_f64 v[24:25], v[6:7], v[30:31], -v[24:25]
	v_add_f64_e32 v[14:15], v[14:15], v[22:23]
	v_add_f64_e32 v[16:17], v[18:19], v[16:17]
	v_fma_f64 v[20:21], v[8:9], v[30:31], v[20:21]
	ds_load_b128 v[6:9], v1 offset:2000
	s_wait_loadcnt_dscnt 0x401
	v_mul_f64_e32 v[18:19], v[2:3], v[40:41]
	v_mul_f64_e32 v[22:23], v[4:5], v[40:41]
	s_wait_loadcnt_dscnt 0x300
	v_mul_f64_e32 v[28:29], v[8:9], v[177:178]
	v_add_f64_e32 v[14:15], v[14:15], v[26:27]
	v_add_f64_e32 v[16:17], v[16:17], v[32:33]
	v_mul_f64_e32 v[26:27], v[6:7], v[177:178]
	v_fma_f64 v[18:19], v[4:5], v[38:39], v[18:19]
	v_fma_f64 v[22:23], v[2:3], v[38:39], -v[22:23]
	ds_load_b128 v[2:5], v1 offset:2016
	v_fma_f64 v[28:29], v[6:7], v[175:176], -v[28:29]
	v_add_f64_e32 v[14:15], v[14:15], v[24:25]
	v_add_f64_e32 v[16:17], v[16:17], v[20:21]
	v_fma_f64 v[26:27], v[8:9], v[175:176], v[26:27]
	ds_load_b128 v[6:9], v1 offset:2032
	s_wait_loadcnt_dscnt 0x201
	v_mul_f64_e32 v[20:21], v[2:3], v[36:37]
	v_mul_f64_e32 v[24:25], v[4:5], v[36:37]
	v_add_f64_e32 v[14:15], v[14:15], v[22:23]
	v_add_f64_e32 v[16:17], v[16:17], v[18:19]
	s_wait_loadcnt_dscnt 0x100
	v_mul_f64_e32 v[18:19], v[6:7], v[44:45]
	v_mul_f64_e32 v[22:23], v[8:9], v[44:45]
	v_fma_f64 v[4:5], v[4:5], v[34:35], v[20:21]
	v_fma_f64 v[1:2], v[2:3], v[34:35], -v[24:25]
	v_add_f64_e32 v[14:15], v[14:15], v[28:29]
	v_add_f64_e32 v[16:17], v[16:17], v[26:27]
	v_fma_f64 v[8:9], v[8:9], v[42:43], v[18:19]
	v_fma_f64 v[6:7], v[6:7], v[42:43], -v[22:23]
	s_delay_alu instid0(VALU_DEP_4) | instskip(NEXT) | instid1(VALU_DEP_4)
	v_add_f64_e32 v[1:2], v[14:15], v[1:2]
	v_add_f64_e32 v[3:4], v[16:17], v[4:5]
	s_delay_alu instid0(VALU_DEP_2) | instskip(NEXT) | instid1(VALU_DEP_2)
	v_add_f64_e32 v[1:2], v[1:2], v[6:7]
	v_add_f64_e32 v[3:4], v[3:4], v[8:9]
	s_wait_loadcnt 0x0
	s_delay_alu instid0(VALU_DEP_2) | instskip(NEXT) | instid1(VALU_DEP_2)
	v_add_f64_e64 v[1:2], v[10:11], -v[1:2]
	v_add_f64_e64 v[3:4], v[12:13], -v[3:4]
	scratch_store_b128 off, v[1:4], off offset:832
	v_cmpx_lt_u32_e32 50, v0
	s_cbranch_execz .LBB63_309
; %bb.308:
	scratch_load_b128 v[1:4], off, s39
	v_mov_b32_e32 v5, 0
	s_delay_alu instid0(VALU_DEP_1)
	v_dual_mov_b32 v6, v5 :: v_dual_mov_b32 v7, v5
	v_mov_b32_e32 v8, v5
	scratch_store_b128 off, v[5:8], off offset:816
	s_wait_loadcnt 0x0
	ds_store_b128 v174, v[1:4]
.LBB63_309:
	s_wait_alu 0xfffe
	s_or_b32 exec_lo, exec_lo, s0
	s_wait_storecnt_dscnt 0x0
	s_barrier_signal -1
	s_barrier_wait -1
	global_inv scope:SCOPE_SE
	s_clause 0x7
	scratch_load_b128 v[2:5], off, off offset:832
	scratch_load_b128 v[6:9], off, off offset:848
	;; [unrolled: 1-line block ×8, first 2 shown]
	v_mov_b32_e32 v1, 0
	s_mov_b32 s0, exec_lo
	ds_load_b128 v[34:37], v1 offset:1840
	s_clause 0x1
	scratch_load_b128 v[38:41], off, off offset:960
	scratch_load_b128 v[42:45], off, off offset:816
	ds_load_b128 v[175:178], v1 offset:1856
	scratch_load_b128 v[179:182], off, off offset:976
	s_wait_loadcnt_dscnt 0xa01
	v_mul_f64_e32 v[183:184], v[36:37], v[4:5]
	v_mul_f64_e32 v[4:5], v[34:35], v[4:5]
	s_delay_alu instid0(VALU_DEP_2) | instskip(NEXT) | instid1(VALU_DEP_2)
	v_fma_f64 v[189:190], v[34:35], v[2:3], -v[183:184]
	v_fma_f64 v[191:192], v[36:37], v[2:3], v[4:5]
	ds_load_b128 v[2:5], v1 offset:1872
	s_wait_loadcnt_dscnt 0x901
	v_mul_f64_e32 v[187:188], v[175:176], v[8:9]
	v_mul_f64_e32 v[8:9], v[177:178], v[8:9]
	scratch_load_b128 v[34:37], off, off offset:992
	ds_load_b128 v[183:186], v1 offset:1888
	s_wait_loadcnt_dscnt 0x901
	v_mul_f64_e32 v[193:194], v[2:3], v[12:13]
	v_mul_f64_e32 v[12:13], v[4:5], v[12:13]
	v_fma_f64 v[177:178], v[177:178], v[6:7], v[187:188]
	v_fma_f64 v[175:176], v[175:176], v[6:7], -v[8:9]
	v_add_f64_e32 v[187:188], 0, v[189:190]
	v_add_f64_e32 v[189:190], 0, v[191:192]
	scratch_load_b128 v[6:9], off, off offset:1008
	v_fma_f64 v[193:194], v[4:5], v[10:11], v[193:194]
	v_fma_f64 v[195:196], v[2:3], v[10:11], -v[12:13]
	ds_load_b128 v[2:5], v1 offset:1904
	s_wait_loadcnt_dscnt 0x901
	v_mul_f64_e32 v[191:192], v[183:184], v[16:17]
	v_mul_f64_e32 v[16:17], v[185:186], v[16:17]
	scratch_load_b128 v[10:13], off, off offset:1024
	v_add_f64_e32 v[187:188], v[187:188], v[175:176]
	v_add_f64_e32 v[189:190], v[189:190], v[177:178]
	s_wait_loadcnt_dscnt 0x900
	v_mul_f64_e32 v[197:198], v[2:3], v[20:21]
	v_mul_f64_e32 v[20:21], v[4:5], v[20:21]
	ds_load_b128 v[175:178], v1 offset:1920
	v_fma_f64 v[185:186], v[185:186], v[14:15], v[191:192]
	v_fma_f64 v[14:15], v[183:184], v[14:15], -v[16:17]
	v_add_f64_e32 v[16:17], v[187:188], v[195:196]
	v_add_f64_e32 v[183:184], v[189:190], v[193:194]
	s_wait_loadcnt_dscnt 0x800
	v_mul_f64_e32 v[187:188], v[175:176], v[24:25]
	v_mul_f64_e32 v[24:25], v[177:178], v[24:25]
	v_fma_f64 v[189:190], v[4:5], v[18:19], v[197:198]
	v_fma_f64 v[18:19], v[2:3], v[18:19], -v[20:21]
	v_add_f64_e32 v[20:21], v[16:17], v[14:15]
	v_add_f64_e32 v[183:184], v[183:184], v[185:186]
	ds_load_b128 v[2:5], v1 offset:1936
	ds_load_b128 v[14:17], v1 offset:1952
	v_fma_f64 v[177:178], v[177:178], v[22:23], v[187:188]
	v_fma_f64 v[22:23], v[175:176], v[22:23], -v[24:25]
	s_wait_loadcnt_dscnt 0x701
	v_mul_f64_e32 v[185:186], v[2:3], v[28:29]
	v_mul_f64_e32 v[28:29], v[4:5], v[28:29]
	s_wait_loadcnt_dscnt 0x600
	v_mul_f64_e32 v[24:25], v[14:15], v[32:33]
	v_mul_f64_e32 v[32:33], v[16:17], v[32:33]
	v_add_f64_e32 v[18:19], v[20:21], v[18:19]
	v_add_f64_e32 v[20:21], v[183:184], v[189:190]
	v_fma_f64 v[175:176], v[4:5], v[26:27], v[185:186]
	v_fma_f64 v[26:27], v[2:3], v[26:27], -v[28:29]
	v_fma_f64 v[16:17], v[16:17], v[30:31], v[24:25]
	v_fma_f64 v[14:15], v[14:15], v[30:31], -v[32:33]
	v_add_f64_e32 v[22:23], v[18:19], v[22:23]
	v_add_f64_e32 v[28:29], v[20:21], v[177:178]
	ds_load_b128 v[2:5], v1 offset:1968
	ds_load_b128 v[18:21], v1 offset:1984
	s_wait_loadcnt_dscnt 0x501
	v_mul_f64_e32 v[177:178], v[2:3], v[40:41]
	v_mul_f64_e32 v[40:41], v[4:5], v[40:41]
	v_add_f64_e32 v[22:23], v[22:23], v[26:27]
	v_add_f64_e32 v[24:25], v[28:29], v[175:176]
	s_wait_loadcnt_dscnt 0x300
	v_mul_f64_e32 v[26:27], v[18:19], v[181:182]
	v_mul_f64_e32 v[28:29], v[20:21], v[181:182]
	v_fma_f64 v[30:31], v[4:5], v[38:39], v[177:178]
	v_fma_f64 v[32:33], v[2:3], v[38:39], -v[40:41]
	v_add_f64_e32 v[22:23], v[22:23], v[14:15]
	v_add_f64_e32 v[24:25], v[24:25], v[16:17]
	ds_load_b128 v[2:5], v1 offset:2000
	ds_load_b128 v[14:17], v1 offset:2016
	v_fma_f64 v[20:21], v[20:21], v[179:180], v[26:27]
	v_fma_f64 v[18:19], v[18:19], v[179:180], -v[28:29]
	s_wait_loadcnt_dscnt 0x201
	v_mul_f64_e32 v[38:39], v[2:3], v[36:37]
	v_mul_f64_e32 v[36:37], v[4:5], v[36:37]
	v_add_f64_e32 v[22:23], v[22:23], v[32:33]
	v_add_f64_e32 v[24:25], v[24:25], v[30:31]
	s_wait_loadcnt_dscnt 0x100
	v_mul_f64_e32 v[26:27], v[14:15], v[8:9]
	v_mul_f64_e32 v[8:9], v[16:17], v[8:9]
	v_fma_f64 v[28:29], v[4:5], v[34:35], v[38:39]
	v_fma_f64 v[30:31], v[2:3], v[34:35], -v[36:37]
	ds_load_b128 v[2:5], v1 offset:2032
	v_add_f64_e32 v[18:19], v[22:23], v[18:19]
	v_add_f64_e32 v[20:21], v[24:25], v[20:21]
	s_wait_loadcnt_dscnt 0x0
	v_mul_f64_e32 v[22:23], v[2:3], v[12:13]
	v_mul_f64_e32 v[12:13], v[4:5], v[12:13]
	v_fma_f64 v[16:17], v[16:17], v[6:7], v[26:27]
	v_fma_f64 v[6:7], v[14:15], v[6:7], -v[8:9]
	v_add_f64_e32 v[8:9], v[18:19], v[30:31]
	v_add_f64_e32 v[14:15], v[20:21], v[28:29]
	v_fma_f64 v[4:5], v[4:5], v[10:11], v[22:23]
	v_fma_f64 v[2:3], v[2:3], v[10:11], -v[12:13]
	s_delay_alu instid0(VALU_DEP_4) | instskip(NEXT) | instid1(VALU_DEP_4)
	v_add_f64_e32 v[6:7], v[8:9], v[6:7]
	v_add_f64_e32 v[8:9], v[14:15], v[16:17]
	s_delay_alu instid0(VALU_DEP_2) | instskip(NEXT) | instid1(VALU_DEP_2)
	v_add_f64_e32 v[2:3], v[6:7], v[2:3]
	v_add_f64_e32 v[4:5], v[8:9], v[4:5]
	s_delay_alu instid0(VALU_DEP_2) | instskip(NEXT) | instid1(VALU_DEP_2)
	v_add_f64_e64 v[2:3], v[42:43], -v[2:3]
	v_add_f64_e64 v[4:5], v[44:45], -v[4:5]
	scratch_store_b128 off, v[2:5], off offset:816
	v_cmpx_lt_u32_e32 49, v0
	s_cbranch_execz .LBB63_311
; %bb.310:
	scratch_load_b128 v[5:8], off, s31
	v_dual_mov_b32 v2, v1 :: v_dual_mov_b32 v3, v1
	v_mov_b32_e32 v4, v1
	scratch_store_b128 off, v[1:4], off offset:800
	s_wait_loadcnt 0x0
	ds_store_b128 v174, v[5:8]
.LBB63_311:
	s_wait_alu 0xfffe
	s_or_b32 exec_lo, exec_lo, s0
	s_wait_storecnt_dscnt 0x0
	s_barrier_signal -1
	s_barrier_wait -1
	global_inv scope:SCOPE_SE
	s_clause 0x8
	scratch_load_b128 v[2:5], off, off offset:816
	scratch_load_b128 v[6:9], off, off offset:832
	;; [unrolled: 1-line block ×9, first 2 shown]
	ds_load_b128 v[38:41], v1 offset:1824
	ds_load_b128 v[42:45], v1 offset:1840
	s_clause 0x1
	scratch_load_b128 v[175:178], off, off offset:800
	scratch_load_b128 v[179:182], off, off offset:960
	s_mov_b32 s0, exec_lo
	s_wait_loadcnt_dscnt 0xa01
	v_mul_f64_e32 v[183:184], v[40:41], v[4:5]
	v_mul_f64_e32 v[4:5], v[38:39], v[4:5]
	s_wait_loadcnt_dscnt 0x900
	v_mul_f64_e32 v[187:188], v[42:43], v[8:9]
	v_mul_f64_e32 v[8:9], v[44:45], v[8:9]
	s_delay_alu instid0(VALU_DEP_4) | instskip(NEXT) | instid1(VALU_DEP_4)
	v_fma_f64 v[189:190], v[38:39], v[2:3], -v[183:184]
	v_fma_f64 v[191:192], v[40:41], v[2:3], v[4:5]
	ds_load_b128 v[2:5], v1 offset:1856
	ds_load_b128 v[183:186], v1 offset:1872
	scratch_load_b128 v[38:41], off, off offset:976
	v_fma_f64 v[44:45], v[44:45], v[6:7], v[187:188]
	v_fma_f64 v[42:43], v[42:43], v[6:7], -v[8:9]
	scratch_load_b128 v[6:9], off, off offset:992
	s_wait_loadcnt_dscnt 0xa01
	v_mul_f64_e32 v[193:194], v[2:3], v[12:13]
	v_mul_f64_e32 v[12:13], v[4:5], v[12:13]
	v_add_f64_e32 v[187:188], 0, v[189:190]
	v_add_f64_e32 v[189:190], 0, v[191:192]
	s_wait_loadcnt_dscnt 0x900
	v_mul_f64_e32 v[191:192], v[183:184], v[16:17]
	v_mul_f64_e32 v[16:17], v[185:186], v[16:17]
	v_fma_f64 v[193:194], v[4:5], v[10:11], v[193:194]
	v_fma_f64 v[195:196], v[2:3], v[10:11], -v[12:13]
	ds_load_b128 v[2:5], v1 offset:1888
	scratch_load_b128 v[10:13], off, off offset:1008
	v_add_f64_e32 v[187:188], v[187:188], v[42:43]
	v_add_f64_e32 v[189:190], v[189:190], v[44:45]
	ds_load_b128 v[42:45], v1 offset:1904
	v_fma_f64 v[185:186], v[185:186], v[14:15], v[191:192]
	v_fma_f64 v[183:184], v[183:184], v[14:15], -v[16:17]
	scratch_load_b128 v[14:17], off, off offset:1024
	s_wait_loadcnt_dscnt 0xa01
	v_mul_f64_e32 v[197:198], v[2:3], v[20:21]
	v_mul_f64_e32 v[20:21], v[4:5], v[20:21]
	s_wait_loadcnt_dscnt 0x900
	v_mul_f64_e32 v[191:192], v[42:43], v[24:25]
	v_mul_f64_e32 v[24:25], v[44:45], v[24:25]
	v_add_f64_e32 v[187:188], v[187:188], v[195:196]
	v_add_f64_e32 v[189:190], v[189:190], v[193:194]
	v_fma_f64 v[193:194], v[4:5], v[18:19], v[197:198]
	v_fma_f64 v[195:196], v[2:3], v[18:19], -v[20:21]
	ds_load_b128 v[2:5], v1 offset:1920
	ds_load_b128 v[18:21], v1 offset:1936
	v_fma_f64 v[44:45], v[44:45], v[22:23], v[191:192]
	v_fma_f64 v[22:23], v[42:43], v[22:23], -v[24:25]
	v_add_f64_e32 v[183:184], v[187:188], v[183:184]
	v_add_f64_e32 v[185:186], v[189:190], v[185:186]
	s_wait_loadcnt_dscnt 0x801
	v_mul_f64_e32 v[187:188], v[2:3], v[28:29]
	v_mul_f64_e32 v[28:29], v[4:5], v[28:29]
	s_delay_alu instid0(VALU_DEP_4) | instskip(NEXT) | instid1(VALU_DEP_4)
	v_add_f64_e32 v[24:25], v[183:184], v[195:196]
	v_add_f64_e32 v[42:43], v[185:186], v[193:194]
	s_wait_loadcnt_dscnt 0x700
	v_mul_f64_e32 v[183:184], v[18:19], v[32:33]
	v_mul_f64_e32 v[32:33], v[20:21], v[32:33]
	v_fma_f64 v[185:186], v[4:5], v[26:27], v[187:188]
	v_fma_f64 v[26:27], v[2:3], v[26:27], -v[28:29]
	v_add_f64_e32 v[28:29], v[24:25], v[22:23]
	v_add_f64_e32 v[42:43], v[42:43], v[44:45]
	ds_load_b128 v[2:5], v1 offset:1952
	ds_load_b128 v[22:25], v1 offset:1968
	v_fma_f64 v[20:21], v[20:21], v[30:31], v[183:184]
	v_fma_f64 v[18:19], v[18:19], v[30:31], -v[32:33]
	s_wait_loadcnt_dscnt 0x601
	v_mul_f64_e32 v[44:45], v[2:3], v[36:37]
	v_mul_f64_e32 v[36:37], v[4:5], v[36:37]
	s_wait_loadcnt_dscnt 0x400
	v_mul_f64_e32 v[30:31], v[22:23], v[181:182]
	v_mul_f64_e32 v[32:33], v[24:25], v[181:182]
	v_add_f64_e32 v[26:27], v[28:29], v[26:27]
	v_add_f64_e32 v[28:29], v[42:43], v[185:186]
	v_fma_f64 v[42:43], v[4:5], v[34:35], v[44:45]
	v_fma_f64 v[34:35], v[2:3], v[34:35], -v[36:37]
	v_fma_f64 v[24:25], v[24:25], v[179:180], v[30:31]
	v_fma_f64 v[22:23], v[22:23], v[179:180], -v[32:33]
	v_add_f64_e32 v[26:27], v[26:27], v[18:19]
	v_add_f64_e32 v[28:29], v[28:29], v[20:21]
	ds_load_b128 v[2:5], v1 offset:1984
	ds_load_b128 v[18:21], v1 offset:2000
	s_wait_loadcnt_dscnt 0x301
	v_mul_f64_e32 v[36:37], v[2:3], v[40:41]
	v_mul_f64_e32 v[40:41], v[4:5], v[40:41]
	s_wait_loadcnt_dscnt 0x200
	v_mul_f64_e32 v[30:31], v[18:19], v[8:9]
	v_mul_f64_e32 v[8:9], v[20:21], v[8:9]
	v_add_f64_e32 v[26:27], v[26:27], v[34:35]
	v_add_f64_e32 v[28:29], v[28:29], v[42:43]
	v_fma_f64 v[32:33], v[4:5], v[38:39], v[36:37]
	v_fma_f64 v[34:35], v[2:3], v[38:39], -v[40:41]
	v_fma_f64 v[20:21], v[20:21], v[6:7], v[30:31]
	v_fma_f64 v[6:7], v[18:19], v[6:7], -v[8:9]
	v_add_f64_e32 v[26:27], v[26:27], v[22:23]
	v_add_f64_e32 v[28:29], v[28:29], v[24:25]
	ds_load_b128 v[2:5], v1 offset:2016
	ds_load_b128 v[22:25], v1 offset:2032
	s_wait_loadcnt_dscnt 0x101
	v_mul_f64_e32 v[36:37], v[2:3], v[12:13]
	v_mul_f64_e32 v[12:13], v[4:5], v[12:13]
	v_add_f64_e32 v[8:9], v[26:27], v[34:35]
	v_add_f64_e32 v[18:19], v[28:29], v[32:33]
	s_wait_loadcnt_dscnt 0x0
	v_mul_f64_e32 v[26:27], v[22:23], v[16:17]
	v_mul_f64_e32 v[16:17], v[24:25], v[16:17]
	v_fma_f64 v[4:5], v[4:5], v[10:11], v[36:37]
	v_fma_f64 v[1:2], v[2:3], v[10:11], -v[12:13]
	v_add_f64_e32 v[6:7], v[8:9], v[6:7]
	v_add_f64_e32 v[8:9], v[18:19], v[20:21]
	v_fma_f64 v[10:11], v[24:25], v[14:15], v[26:27]
	v_fma_f64 v[12:13], v[22:23], v[14:15], -v[16:17]
	s_delay_alu instid0(VALU_DEP_4) | instskip(NEXT) | instid1(VALU_DEP_4)
	v_add_f64_e32 v[1:2], v[6:7], v[1:2]
	v_add_f64_e32 v[3:4], v[8:9], v[4:5]
	s_delay_alu instid0(VALU_DEP_2) | instskip(NEXT) | instid1(VALU_DEP_2)
	v_add_f64_e32 v[1:2], v[1:2], v[12:13]
	v_add_f64_e32 v[3:4], v[3:4], v[10:11]
	s_delay_alu instid0(VALU_DEP_2) | instskip(NEXT) | instid1(VALU_DEP_2)
	v_add_f64_e64 v[1:2], v[175:176], -v[1:2]
	v_add_f64_e64 v[3:4], v[177:178], -v[3:4]
	scratch_store_b128 off, v[1:4], off offset:800
	v_cmpx_lt_u32_e32 48, v0
	s_cbranch_execz .LBB63_313
; %bb.312:
	scratch_load_b128 v[1:4], off, s36
	v_mov_b32_e32 v5, 0
	s_delay_alu instid0(VALU_DEP_1)
	v_dual_mov_b32 v6, v5 :: v_dual_mov_b32 v7, v5
	v_mov_b32_e32 v8, v5
	scratch_store_b128 off, v[5:8], off offset:784
	s_wait_loadcnt 0x0
	ds_store_b128 v174, v[1:4]
.LBB63_313:
	s_wait_alu 0xfffe
	s_or_b32 exec_lo, exec_lo, s0
	s_wait_storecnt_dscnt 0x0
	s_barrier_signal -1
	s_barrier_wait -1
	global_inv scope:SCOPE_SE
	s_clause 0x7
	scratch_load_b128 v[2:5], off, off offset:800
	scratch_load_b128 v[6:9], off, off offset:816
	;; [unrolled: 1-line block ×8, first 2 shown]
	v_mov_b32_e32 v1, 0
	s_mov_b32 s0, exec_lo
	ds_load_b128 v[34:37], v1 offset:1808
	s_clause 0x1
	scratch_load_b128 v[38:41], off, off offset:928
	scratch_load_b128 v[42:45], off, off offset:784
	ds_load_b128 v[175:178], v1 offset:1824
	scratch_load_b128 v[179:182], off, off offset:944
	s_wait_loadcnt_dscnt 0xa01
	v_mul_f64_e32 v[183:184], v[36:37], v[4:5]
	v_mul_f64_e32 v[4:5], v[34:35], v[4:5]
	s_delay_alu instid0(VALU_DEP_2) | instskip(NEXT) | instid1(VALU_DEP_2)
	v_fma_f64 v[189:190], v[34:35], v[2:3], -v[183:184]
	v_fma_f64 v[191:192], v[36:37], v[2:3], v[4:5]
	ds_load_b128 v[2:5], v1 offset:1840
	s_wait_loadcnt_dscnt 0x901
	v_mul_f64_e32 v[187:188], v[175:176], v[8:9]
	v_mul_f64_e32 v[8:9], v[177:178], v[8:9]
	scratch_load_b128 v[34:37], off, off offset:960
	ds_load_b128 v[183:186], v1 offset:1856
	s_wait_loadcnt_dscnt 0x901
	v_mul_f64_e32 v[193:194], v[2:3], v[12:13]
	v_mul_f64_e32 v[12:13], v[4:5], v[12:13]
	v_fma_f64 v[177:178], v[177:178], v[6:7], v[187:188]
	v_fma_f64 v[175:176], v[175:176], v[6:7], -v[8:9]
	v_add_f64_e32 v[187:188], 0, v[189:190]
	v_add_f64_e32 v[189:190], 0, v[191:192]
	scratch_load_b128 v[6:9], off, off offset:976
	v_fma_f64 v[193:194], v[4:5], v[10:11], v[193:194]
	v_fma_f64 v[195:196], v[2:3], v[10:11], -v[12:13]
	ds_load_b128 v[2:5], v1 offset:1872
	s_wait_loadcnt_dscnt 0x901
	v_mul_f64_e32 v[191:192], v[183:184], v[16:17]
	v_mul_f64_e32 v[16:17], v[185:186], v[16:17]
	scratch_load_b128 v[10:13], off, off offset:992
	v_add_f64_e32 v[187:188], v[187:188], v[175:176]
	v_add_f64_e32 v[189:190], v[189:190], v[177:178]
	s_wait_loadcnt_dscnt 0x900
	v_mul_f64_e32 v[197:198], v[2:3], v[20:21]
	v_mul_f64_e32 v[20:21], v[4:5], v[20:21]
	ds_load_b128 v[175:178], v1 offset:1888
	v_fma_f64 v[185:186], v[185:186], v[14:15], v[191:192]
	v_fma_f64 v[183:184], v[183:184], v[14:15], -v[16:17]
	scratch_load_b128 v[14:17], off, off offset:1008
	v_add_f64_e32 v[187:188], v[187:188], v[195:196]
	v_add_f64_e32 v[189:190], v[189:190], v[193:194]
	v_fma_f64 v[193:194], v[4:5], v[18:19], v[197:198]
	v_fma_f64 v[195:196], v[2:3], v[18:19], -v[20:21]
	ds_load_b128 v[2:5], v1 offset:1904
	s_wait_loadcnt_dscnt 0x901
	v_mul_f64_e32 v[191:192], v[175:176], v[24:25]
	v_mul_f64_e32 v[24:25], v[177:178], v[24:25]
	scratch_load_b128 v[18:21], off, off offset:1024
	s_wait_loadcnt_dscnt 0x900
	v_mul_f64_e32 v[197:198], v[2:3], v[28:29]
	v_mul_f64_e32 v[28:29], v[4:5], v[28:29]
	v_add_f64_e32 v[187:188], v[187:188], v[183:184]
	v_add_f64_e32 v[189:190], v[189:190], v[185:186]
	ds_load_b128 v[183:186], v1 offset:1920
	v_fma_f64 v[177:178], v[177:178], v[22:23], v[191:192]
	v_fma_f64 v[22:23], v[175:176], v[22:23], -v[24:25]
	v_add_f64_e32 v[24:25], v[187:188], v[195:196]
	v_add_f64_e32 v[175:176], v[189:190], v[193:194]
	s_wait_loadcnt_dscnt 0x800
	v_mul_f64_e32 v[187:188], v[183:184], v[32:33]
	v_mul_f64_e32 v[32:33], v[185:186], v[32:33]
	v_fma_f64 v[189:190], v[4:5], v[26:27], v[197:198]
	v_fma_f64 v[26:27], v[2:3], v[26:27], -v[28:29]
	v_add_f64_e32 v[28:29], v[24:25], v[22:23]
	v_add_f64_e32 v[175:176], v[175:176], v[177:178]
	ds_load_b128 v[2:5], v1 offset:1936
	ds_load_b128 v[22:25], v1 offset:1952
	v_fma_f64 v[185:186], v[185:186], v[30:31], v[187:188]
	v_fma_f64 v[30:31], v[183:184], v[30:31], -v[32:33]
	s_wait_loadcnt_dscnt 0x701
	v_mul_f64_e32 v[177:178], v[2:3], v[40:41]
	v_mul_f64_e32 v[40:41], v[4:5], v[40:41]
	s_wait_loadcnt_dscnt 0x500
	v_mul_f64_e32 v[32:33], v[22:23], v[181:182]
	v_add_f64_e32 v[26:27], v[28:29], v[26:27]
	v_add_f64_e32 v[28:29], v[175:176], v[189:190]
	v_mul_f64_e32 v[175:176], v[24:25], v[181:182]
	v_fma_f64 v[177:178], v[4:5], v[38:39], v[177:178]
	v_fma_f64 v[38:39], v[2:3], v[38:39], -v[40:41]
	v_fma_f64 v[24:25], v[24:25], v[179:180], v[32:33]
	v_add_f64_e32 v[30:31], v[26:27], v[30:31]
	v_add_f64_e32 v[40:41], v[28:29], v[185:186]
	ds_load_b128 v[2:5], v1 offset:1968
	ds_load_b128 v[26:29], v1 offset:1984
	v_fma_f64 v[22:23], v[22:23], v[179:180], -v[175:176]
	s_wait_loadcnt_dscnt 0x401
	v_mul_f64_e32 v[181:182], v[2:3], v[36:37]
	v_mul_f64_e32 v[36:37], v[4:5], v[36:37]
	v_add_f64_e32 v[30:31], v[30:31], v[38:39]
	v_add_f64_e32 v[32:33], v[40:41], v[177:178]
	s_wait_loadcnt_dscnt 0x300
	v_mul_f64_e32 v[38:39], v[26:27], v[8:9]
	v_mul_f64_e32 v[8:9], v[28:29], v[8:9]
	v_fma_f64 v[40:41], v[4:5], v[34:35], v[181:182]
	v_fma_f64 v[34:35], v[2:3], v[34:35], -v[36:37]
	v_add_f64_e32 v[30:31], v[30:31], v[22:23]
	v_add_f64_e32 v[32:33], v[32:33], v[24:25]
	ds_load_b128 v[2:5], v1 offset:2000
	ds_load_b128 v[22:25], v1 offset:2016
	v_fma_f64 v[28:29], v[28:29], v[6:7], v[38:39]
	v_fma_f64 v[6:7], v[26:27], v[6:7], -v[8:9]
	s_wait_loadcnt_dscnt 0x201
	v_mul_f64_e32 v[36:37], v[2:3], v[12:13]
	v_mul_f64_e32 v[12:13], v[4:5], v[12:13]
	v_add_f64_e32 v[8:9], v[30:31], v[34:35]
	v_add_f64_e32 v[26:27], v[32:33], v[40:41]
	s_wait_loadcnt_dscnt 0x100
	v_mul_f64_e32 v[30:31], v[22:23], v[16:17]
	v_mul_f64_e32 v[16:17], v[24:25], v[16:17]
	v_fma_f64 v[32:33], v[4:5], v[10:11], v[36:37]
	v_fma_f64 v[10:11], v[2:3], v[10:11], -v[12:13]
	ds_load_b128 v[2:5], v1 offset:2032
	v_add_f64_e32 v[6:7], v[8:9], v[6:7]
	v_add_f64_e32 v[8:9], v[26:27], v[28:29]
	v_fma_f64 v[24:25], v[24:25], v[14:15], v[30:31]
	v_fma_f64 v[14:15], v[22:23], v[14:15], -v[16:17]
	s_wait_loadcnt_dscnt 0x0
	v_mul_f64_e32 v[12:13], v[2:3], v[20:21]
	v_mul_f64_e32 v[20:21], v[4:5], v[20:21]
	v_add_f64_e32 v[6:7], v[6:7], v[10:11]
	v_add_f64_e32 v[8:9], v[8:9], v[32:33]
	s_delay_alu instid0(VALU_DEP_4) | instskip(NEXT) | instid1(VALU_DEP_4)
	v_fma_f64 v[4:5], v[4:5], v[18:19], v[12:13]
	v_fma_f64 v[2:3], v[2:3], v[18:19], -v[20:21]
	s_delay_alu instid0(VALU_DEP_4) | instskip(NEXT) | instid1(VALU_DEP_4)
	v_add_f64_e32 v[6:7], v[6:7], v[14:15]
	v_add_f64_e32 v[8:9], v[8:9], v[24:25]
	s_delay_alu instid0(VALU_DEP_2) | instskip(NEXT) | instid1(VALU_DEP_2)
	v_add_f64_e32 v[2:3], v[6:7], v[2:3]
	v_add_f64_e32 v[4:5], v[8:9], v[4:5]
	s_delay_alu instid0(VALU_DEP_2) | instskip(NEXT) | instid1(VALU_DEP_2)
	v_add_f64_e64 v[2:3], v[42:43], -v[2:3]
	v_add_f64_e64 v[4:5], v[44:45], -v[4:5]
	scratch_store_b128 off, v[2:5], off offset:784
	v_cmpx_lt_u32_e32 47, v0
	s_cbranch_execz .LBB63_315
; %bb.314:
	scratch_load_b128 v[5:8], off, s28
	v_dual_mov_b32 v2, v1 :: v_dual_mov_b32 v3, v1
	v_mov_b32_e32 v4, v1
	scratch_store_b128 off, v[1:4], off offset:768
	s_wait_loadcnt 0x0
	ds_store_b128 v174, v[5:8]
.LBB63_315:
	s_wait_alu 0xfffe
	s_or_b32 exec_lo, exec_lo, s0
	s_wait_storecnt_dscnt 0x0
	s_barrier_signal -1
	s_barrier_wait -1
	global_inv scope:SCOPE_SE
	s_clause 0x8
	scratch_load_b128 v[2:5], off, off offset:784
	scratch_load_b128 v[6:9], off, off offset:800
	;; [unrolled: 1-line block ×9, first 2 shown]
	ds_load_b128 v[38:41], v1 offset:1792
	ds_load_b128 v[42:45], v1 offset:1808
	s_clause 0x1
	scratch_load_b128 v[175:178], off, off offset:768
	scratch_load_b128 v[179:182], off, off offset:928
	s_mov_b32 s0, exec_lo
	s_wait_loadcnt_dscnt 0xa01
	v_mul_f64_e32 v[183:184], v[40:41], v[4:5]
	v_mul_f64_e32 v[4:5], v[38:39], v[4:5]
	s_wait_loadcnt_dscnt 0x900
	v_mul_f64_e32 v[187:188], v[42:43], v[8:9]
	v_mul_f64_e32 v[8:9], v[44:45], v[8:9]
	s_delay_alu instid0(VALU_DEP_4) | instskip(NEXT) | instid1(VALU_DEP_4)
	v_fma_f64 v[189:190], v[38:39], v[2:3], -v[183:184]
	v_fma_f64 v[191:192], v[40:41], v[2:3], v[4:5]
	ds_load_b128 v[2:5], v1 offset:1824
	ds_load_b128 v[183:186], v1 offset:1840
	scratch_load_b128 v[38:41], off, off offset:944
	v_fma_f64 v[44:45], v[44:45], v[6:7], v[187:188]
	v_fma_f64 v[42:43], v[42:43], v[6:7], -v[8:9]
	scratch_load_b128 v[6:9], off, off offset:960
	s_wait_loadcnt_dscnt 0xa01
	v_mul_f64_e32 v[193:194], v[2:3], v[12:13]
	v_mul_f64_e32 v[12:13], v[4:5], v[12:13]
	v_add_f64_e32 v[187:188], 0, v[189:190]
	v_add_f64_e32 v[189:190], 0, v[191:192]
	s_wait_loadcnt_dscnt 0x900
	v_mul_f64_e32 v[191:192], v[183:184], v[16:17]
	v_mul_f64_e32 v[16:17], v[185:186], v[16:17]
	v_fma_f64 v[193:194], v[4:5], v[10:11], v[193:194]
	v_fma_f64 v[195:196], v[2:3], v[10:11], -v[12:13]
	ds_load_b128 v[2:5], v1 offset:1856
	scratch_load_b128 v[10:13], off, off offset:976
	v_add_f64_e32 v[187:188], v[187:188], v[42:43]
	v_add_f64_e32 v[189:190], v[189:190], v[44:45]
	ds_load_b128 v[42:45], v1 offset:1872
	v_fma_f64 v[185:186], v[185:186], v[14:15], v[191:192]
	v_fma_f64 v[183:184], v[183:184], v[14:15], -v[16:17]
	scratch_load_b128 v[14:17], off, off offset:992
	s_wait_loadcnt_dscnt 0xa01
	v_mul_f64_e32 v[197:198], v[2:3], v[20:21]
	v_mul_f64_e32 v[20:21], v[4:5], v[20:21]
	s_wait_loadcnt_dscnt 0x900
	v_mul_f64_e32 v[191:192], v[42:43], v[24:25]
	v_mul_f64_e32 v[24:25], v[44:45], v[24:25]
	v_add_f64_e32 v[187:188], v[187:188], v[195:196]
	v_add_f64_e32 v[189:190], v[189:190], v[193:194]
	v_fma_f64 v[193:194], v[4:5], v[18:19], v[197:198]
	v_fma_f64 v[195:196], v[2:3], v[18:19], -v[20:21]
	ds_load_b128 v[2:5], v1 offset:1888
	scratch_load_b128 v[18:21], off, off offset:1008
	v_fma_f64 v[44:45], v[44:45], v[22:23], v[191:192]
	v_fma_f64 v[42:43], v[42:43], v[22:23], -v[24:25]
	scratch_load_b128 v[22:25], off, off offset:1024
	v_add_f64_e32 v[187:188], v[187:188], v[183:184]
	v_add_f64_e32 v[189:190], v[189:190], v[185:186]
	ds_load_b128 v[183:186], v1 offset:1904
	s_wait_loadcnt_dscnt 0xa01
	v_mul_f64_e32 v[197:198], v[2:3], v[28:29]
	v_mul_f64_e32 v[28:29], v[4:5], v[28:29]
	s_wait_loadcnt_dscnt 0x900
	v_mul_f64_e32 v[191:192], v[183:184], v[32:33]
	v_mul_f64_e32 v[32:33], v[185:186], v[32:33]
	v_add_f64_e32 v[187:188], v[187:188], v[195:196]
	v_add_f64_e32 v[189:190], v[189:190], v[193:194]
	v_fma_f64 v[193:194], v[4:5], v[26:27], v[197:198]
	v_fma_f64 v[195:196], v[2:3], v[26:27], -v[28:29]
	ds_load_b128 v[2:5], v1 offset:1920
	ds_load_b128 v[26:29], v1 offset:1936
	v_fma_f64 v[185:186], v[185:186], v[30:31], v[191:192]
	v_fma_f64 v[30:31], v[183:184], v[30:31], -v[32:33]
	v_add_f64_e32 v[42:43], v[187:188], v[42:43]
	v_add_f64_e32 v[44:45], v[189:190], v[44:45]
	s_wait_loadcnt_dscnt 0x801
	v_mul_f64_e32 v[187:188], v[2:3], v[36:37]
	v_mul_f64_e32 v[36:37], v[4:5], v[36:37]
	s_delay_alu instid0(VALU_DEP_4) | instskip(NEXT) | instid1(VALU_DEP_4)
	v_add_f64_e32 v[32:33], v[42:43], v[195:196]
	v_add_f64_e32 v[42:43], v[44:45], v[193:194]
	s_wait_loadcnt_dscnt 0x600
	v_mul_f64_e32 v[44:45], v[26:27], v[181:182]
	v_mul_f64_e32 v[181:182], v[28:29], v[181:182]
	v_fma_f64 v[183:184], v[4:5], v[34:35], v[187:188]
	v_fma_f64 v[34:35], v[2:3], v[34:35], -v[36:37]
	v_add_f64_e32 v[36:37], v[32:33], v[30:31]
	v_add_f64_e32 v[42:43], v[42:43], v[185:186]
	ds_load_b128 v[2:5], v1 offset:1952
	ds_load_b128 v[30:33], v1 offset:1968
	v_fma_f64 v[28:29], v[28:29], v[179:180], v[44:45]
	v_fma_f64 v[26:27], v[26:27], v[179:180], -v[181:182]
	s_wait_loadcnt_dscnt 0x501
	v_mul_f64_e32 v[185:186], v[2:3], v[40:41]
	v_mul_f64_e32 v[40:41], v[4:5], v[40:41]
	v_add_f64_e32 v[34:35], v[36:37], v[34:35]
	v_add_f64_e32 v[36:37], v[42:43], v[183:184]
	s_wait_loadcnt_dscnt 0x400
	v_mul_f64_e32 v[42:43], v[30:31], v[8:9]
	v_mul_f64_e32 v[8:9], v[32:33], v[8:9]
	v_fma_f64 v[44:45], v[4:5], v[38:39], v[185:186]
	v_fma_f64 v[38:39], v[2:3], v[38:39], -v[40:41]
	v_add_f64_e32 v[34:35], v[34:35], v[26:27]
	v_add_f64_e32 v[36:37], v[36:37], v[28:29]
	ds_load_b128 v[2:5], v1 offset:1984
	ds_load_b128 v[26:29], v1 offset:2000
	v_fma_f64 v[32:33], v[32:33], v[6:7], v[42:43]
	v_fma_f64 v[6:7], v[30:31], v[6:7], -v[8:9]
	s_wait_loadcnt_dscnt 0x301
	v_mul_f64_e32 v[40:41], v[2:3], v[12:13]
	v_mul_f64_e32 v[12:13], v[4:5], v[12:13]
	;; [unrolled: 16-line block ×3, first 2 shown]
	s_wait_loadcnt_dscnt 0x0
	v_mul_f64_e32 v[16:17], v[6:7], v[24:25]
	v_mul_f64_e32 v[24:25], v[8:9], v[24:25]
	v_add_f64_e32 v[10:11], v[12:13], v[10:11]
	v_add_f64_e32 v[12:13], v[30:31], v[36:37]
	v_fma_f64 v[4:5], v[4:5], v[18:19], v[32:33]
	v_fma_f64 v[1:2], v[2:3], v[18:19], -v[20:21]
	v_fma_f64 v[8:9], v[8:9], v[22:23], v[16:17]
	v_fma_f64 v[6:7], v[6:7], v[22:23], -v[24:25]
	v_add_f64_e32 v[10:11], v[10:11], v[14:15]
	v_add_f64_e32 v[12:13], v[12:13], v[28:29]
	s_delay_alu instid0(VALU_DEP_2) | instskip(NEXT) | instid1(VALU_DEP_2)
	v_add_f64_e32 v[1:2], v[10:11], v[1:2]
	v_add_f64_e32 v[3:4], v[12:13], v[4:5]
	s_delay_alu instid0(VALU_DEP_2) | instskip(NEXT) | instid1(VALU_DEP_2)
	;; [unrolled: 3-line block ×3, first 2 shown]
	v_add_f64_e64 v[1:2], v[175:176], -v[1:2]
	v_add_f64_e64 v[3:4], v[177:178], -v[3:4]
	scratch_store_b128 off, v[1:4], off offset:768
	v_cmpx_lt_u32_e32 46, v0
	s_cbranch_execz .LBB63_317
; %bb.316:
	scratch_load_b128 v[1:4], off, s35
	v_mov_b32_e32 v5, 0
	s_delay_alu instid0(VALU_DEP_1)
	v_dual_mov_b32 v6, v5 :: v_dual_mov_b32 v7, v5
	v_mov_b32_e32 v8, v5
	scratch_store_b128 off, v[5:8], off offset:752
	s_wait_loadcnt 0x0
	ds_store_b128 v174, v[1:4]
.LBB63_317:
	s_wait_alu 0xfffe
	s_or_b32 exec_lo, exec_lo, s0
	s_wait_storecnt_dscnt 0x0
	s_barrier_signal -1
	s_barrier_wait -1
	global_inv scope:SCOPE_SE
	s_clause 0x7
	scratch_load_b128 v[2:5], off, off offset:768
	scratch_load_b128 v[6:9], off, off offset:784
	;; [unrolled: 1-line block ×8, first 2 shown]
	v_mov_b32_e32 v1, 0
	s_mov_b32 s0, exec_lo
	ds_load_b128 v[34:37], v1 offset:1776
	s_clause 0x1
	scratch_load_b128 v[38:41], off, off offset:896
	scratch_load_b128 v[42:45], off, off offset:752
	ds_load_b128 v[175:178], v1 offset:1792
	scratch_load_b128 v[179:182], off, off offset:912
	s_wait_loadcnt_dscnt 0xa01
	v_mul_f64_e32 v[183:184], v[36:37], v[4:5]
	v_mul_f64_e32 v[4:5], v[34:35], v[4:5]
	s_delay_alu instid0(VALU_DEP_2) | instskip(NEXT) | instid1(VALU_DEP_2)
	v_fma_f64 v[189:190], v[34:35], v[2:3], -v[183:184]
	v_fma_f64 v[191:192], v[36:37], v[2:3], v[4:5]
	ds_load_b128 v[2:5], v1 offset:1808
	s_wait_loadcnt_dscnt 0x901
	v_mul_f64_e32 v[187:188], v[175:176], v[8:9]
	v_mul_f64_e32 v[8:9], v[177:178], v[8:9]
	scratch_load_b128 v[34:37], off, off offset:928
	ds_load_b128 v[183:186], v1 offset:1824
	s_wait_loadcnt_dscnt 0x901
	v_mul_f64_e32 v[193:194], v[2:3], v[12:13]
	v_mul_f64_e32 v[12:13], v[4:5], v[12:13]
	v_fma_f64 v[177:178], v[177:178], v[6:7], v[187:188]
	v_fma_f64 v[175:176], v[175:176], v[6:7], -v[8:9]
	v_add_f64_e32 v[187:188], 0, v[189:190]
	v_add_f64_e32 v[189:190], 0, v[191:192]
	scratch_load_b128 v[6:9], off, off offset:944
	v_fma_f64 v[193:194], v[4:5], v[10:11], v[193:194]
	v_fma_f64 v[195:196], v[2:3], v[10:11], -v[12:13]
	ds_load_b128 v[2:5], v1 offset:1840
	s_wait_loadcnt_dscnt 0x901
	v_mul_f64_e32 v[191:192], v[183:184], v[16:17]
	v_mul_f64_e32 v[16:17], v[185:186], v[16:17]
	scratch_load_b128 v[10:13], off, off offset:960
	v_add_f64_e32 v[187:188], v[187:188], v[175:176]
	v_add_f64_e32 v[189:190], v[189:190], v[177:178]
	s_wait_loadcnt_dscnt 0x900
	v_mul_f64_e32 v[197:198], v[2:3], v[20:21]
	v_mul_f64_e32 v[20:21], v[4:5], v[20:21]
	ds_load_b128 v[175:178], v1 offset:1856
	v_fma_f64 v[185:186], v[185:186], v[14:15], v[191:192]
	v_fma_f64 v[183:184], v[183:184], v[14:15], -v[16:17]
	scratch_load_b128 v[14:17], off, off offset:976
	v_add_f64_e32 v[187:188], v[187:188], v[195:196]
	v_add_f64_e32 v[189:190], v[189:190], v[193:194]
	v_fma_f64 v[193:194], v[4:5], v[18:19], v[197:198]
	v_fma_f64 v[195:196], v[2:3], v[18:19], -v[20:21]
	ds_load_b128 v[2:5], v1 offset:1872
	s_wait_loadcnt_dscnt 0x901
	v_mul_f64_e32 v[191:192], v[175:176], v[24:25]
	v_mul_f64_e32 v[24:25], v[177:178], v[24:25]
	scratch_load_b128 v[18:21], off, off offset:992
	s_wait_loadcnt_dscnt 0x900
	v_mul_f64_e32 v[197:198], v[2:3], v[28:29]
	v_mul_f64_e32 v[28:29], v[4:5], v[28:29]
	v_add_f64_e32 v[187:188], v[187:188], v[183:184]
	v_add_f64_e32 v[189:190], v[189:190], v[185:186]
	ds_load_b128 v[183:186], v1 offset:1888
	v_fma_f64 v[177:178], v[177:178], v[22:23], v[191:192]
	v_fma_f64 v[175:176], v[175:176], v[22:23], -v[24:25]
	scratch_load_b128 v[22:25], off, off offset:1008
	v_add_f64_e32 v[187:188], v[187:188], v[195:196]
	v_add_f64_e32 v[189:190], v[189:190], v[193:194]
	v_fma_f64 v[193:194], v[4:5], v[26:27], v[197:198]
	v_fma_f64 v[195:196], v[2:3], v[26:27], -v[28:29]
	ds_load_b128 v[2:5], v1 offset:1904
	s_wait_loadcnt_dscnt 0x901
	v_mul_f64_e32 v[191:192], v[183:184], v[32:33]
	v_mul_f64_e32 v[32:33], v[185:186], v[32:33]
	scratch_load_b128 v[26:29], off, off offset:1024
	s_wait_loadcnt_dscnt 0x900
	v_mul_f64_e32 v[197:198], v[2:3], v[40:41]
	v_mul_f64_e32 v[40:41], v[4:5], v[40:41]
	v_add_f64_e32 v[187:188], v[187:188], v[175:176]
	v_add_f64_e32 v[189:190], v[189:190], v[177:178]
	ds_load_b128 v[175:178], v1 offset:1920
	v_fma_f64 v[185:186], v[185:186], v[30:31], v[191:192]
	v_fma_f64 v[30:31], v[183:184], v[30:31], -v[32:33]
	v_add_f64_e32 v[32:33], v[187:188], v[195:196]
	v_add_f64_e32 v[183:184], v[189:190], v[193:194]
	s_wait_loadcnt_dscnt 0x700
	v_mul_f64_e32 v[187:188], v[175:176], v[181:182]
	v_mul_f64_e32 v[181:182], v[177:178], v[181:182]
	v_fma_f64 v[189:190], v[4:5], v[38:39], v[197:198]
	v_fma_f64 v[38:39], v[2:3], v[38:39], -v[40:41]
	v_add_f64_e32 v[40:41], v[32:33], v[30:31]
	v_add_f64_e32 v[183:184], v[183:184], v[185:186]
	ds_load_b128 v[2:5], v1 offset:1936
	ds_load_b128 v[30:33], v1 offset:1952
	v_fma_f64 v[177:178], v[177:178], v[179:180], v[187:188]
	v_fma_f64 v[175:176], v[175:176], v[179:180], -v[181:182]
	s_wait_loadcnt_dscnt 0x601
	v_mul_f64_e32 v[185:186], v[2:3], v[36:37]
	v_mul_f64_e32 v[36:37], v[4:5], v[36:37]
	v_add_f64_e32 v[38:39], v[40:41], v[38:39]
	v_add_f64_e32 v[40:41], v[183:184], v[189:190]
	s_wait_loadcnt_dscnt 0x500
	v_mul_f64_e32 v[179:180], v[30:31], v[8:9]
	v_mul_f64_e32 v[8:9], v[32:33], v[8:9]
	v_fma_f64 v[181:182], v[4:5], v[34:35], v[185:186]
	v_fma_f64 v[183:184], v[2:3], v[34:35], -v[36:37]
	ds_load_b128 v[2:5], v1 offset:1968
	ds_load_b128 v[34:37], v1 offset:1984
	v_add_f64_e32 v[38:39], v[38:39], v[175:176]
	v_add_f64_e32 v[40:41], v[40:41], v[177:178]
	s_wait_loadcnt_dscnt 0x401
	v_mul_f64_e32 v[175:176], v[2:3], v[12:13]
	v_mul_f64_e32 v[12:13], v[4:5], v[12:13]
	v_fma_f64 v[32:33], v[32:33], v[6:7], v[179:180]
	v_fma_f64 v[6:7], v[30:31], v[6:7], -v[8:9]
	v_add_f64_e32 v[8:9], v[38:39], v[183:184]
	v_add_f64_e32 v[30:31], v[40:41], v[181:182]
	s_wait_loadcnt_dscnt 0x300
	v_mul_f64_e32 v[38:39], v[34:35], v[16:17]
	v_mul_f64_e32 v[16:17], v[36:37], v[16:17]
	v_fma_f64 v[40:41], v[4:5], v[10:11], v[175:176]
	v_fma_f64 v[10:11], v[2:3], v[10:11], -v[12:13]
	v_add_f64_e32 v[12:13], v[8:9], v[6:7]
	v_add_f64_e32 v[30:31], v[30:31], v[32:33]
	ds_load_b128 v[2:5], v1 offset:2000
	ds_load_b128 v[6:9], v1 offset:2016
	v_fma_f64 v[36:37], v[36:37], v[14:15], v[38:39]
	v_fma_f64 v[14:15], v[34:35], v[14:15], -v[16:17]
	s_wait_loadcnt_dscnt 0x201
	v_mul_f64_e32 v[32:33], v[2:3], v[20:21]
	v_mul_f64_e32 v[20:21], v[4:5], v[20:21]
	s_wait_loadcnt_dscnt 0x100
	v_mul_f64_e32 v[16:17], v[6:7], v[24:25]
	v_mul_f64_e32 v[24:25], v[8:9], v[24:25]
	v_add_f64_e32 v[10:11], v[12:13], v[10:11]
	v_add_f64_e32 v[12:13], v[30:31], v[40:41]
	v_fma_f64 v[30:31], v[4:5], v[18:19], v[32:33]
	v_fma_f64 v[18:19], v[2:3], v[18:19], -v[20:21]
	ds_load_b128 v[2:5], v1 offset:2032
	v_fma_f64 v[8:9], v[8:9], v[22:23], v[16:17]
	v_fma_f64 v[6:7], v[6:7], v[22:23], -v[24:25]
	v_add_f64_e32 v[10:11], v[10:11], v[14:15]
	v_add_f64_e32 v[12:13], v[12:13], v[36:37]
	s_wait_loadcnt_dscnt 0x0
	v_mul_f64_e32 v[14:15], v[2:3], v[28:29]
	v_mul_f64_e32 v[20:21], v[4:5], v[28:29]
	s_delay_alu instid0(VALU_DEP_4) | instskip(NEXT) | instid1(VALU_DEP_4)
	v_add_f64_e32 v[10:11], v[10:11], v[18:19]
	v_add_f64_e32 v[12:13], v[12:13], v[30:31]
	s_delay_alu instid0(VALU_DEP_4) | instskip(NEXT) | instid1(VALU_DEP_4)
	v_fma_f64 v[4:5], v[4:5], v[26:27], v[14:15]
	v_fma_f64 v[2:3], v[2:3], v[26:27], -v[20:21]
	s_delay_alu instid0(VALU_DEP_4) | instskip(NEXT) | instid1(VALU_DEP_4)
	v_add_f64_e32 v[6:7], v[10:11], v[6:7]
	v_add_f64_e32 v[8:9], v[12:13], v[8:9]
	s_delay_alu instid0(VALU_DEP_2) | instskip(NEXT) | instid1(VALU_DEP_2)
	v_add_f64_e32 v[2:3], v[6:7], v[2:3]
	v_add_f64_e32 v[4:5], v[8:9], v[4:5]
	s_delay_alu instid0(VALU_DEP_2) | instskip(NEXT) | instid1(VALU_DEP_2)
	v_add_f64_e64 v[2:3], v[42:43], -v[2:3]
	v_add_f64_e64 v[4:5], v[44:45], -v[4:5]
	scratch_store_b128 off, v[2:5], off offset:752
	v_cmpx_lt_u32_e32 45, v0
	s_cbranch_execz .LBB63_319
; %bb.318:
	scratch_load_b128 v[5:8], off, s27
	v_dual_mov_b32 v2, v1 :: v_dual_mov_b32 v3, v1
	v_mov_b32_e32 v4, v1
	scratch_store_b128 off, v[1:4], off offset:736
	s_wait_loadcnt 0x0
	ds_store_b128 v174, v[5:8]
.LBB63_319:
	s_wait_alu 0xfffe
	s_or_b32 exec_lo, exec_lo, s0
	s_wait_storecnt_dscnt 0x0
	s_barrier_signal -1
	s_barrier_wait -1
	global_inv scope:SCOPE_SE
	s_clause 0x8
	scratch_load_b128 v[2:5], off, off offset:752
	scratch_load_b128 v[6:9], off, off offset:768
	;; [unrolled: 1-line block ×9, first 2 shown]
	ds_load_b128 v[38:41], v1 offset:1760
	ds_load_b128 v[42:45], v1 offset:1776
	s_clause 0x1
	scratch_load_b128 v[175:178], off, off offset:736
	scratch_load_b128 v[179:182], off, off offset:896
	s_mov_b32 s0, exec_lo
	s_wait_loadcnt_dscnt 0xa01
	v_mul_f64_e32 v[183:184], v[40:41], v[4:5]
	v_mul_f64_e32 v[4:5], v[38:39], v[4:5]
	s_wait_loadcnt_dscnt 0x900
	v_mul_f64_e32 v[187:188], v[42:43], v[8:9]
	v_mul_f64_e32 v[8:9], v[44:45], v[8:9]
	s_delay_alu instid0(VALU_DEP_4) | instskip(NEXT) | instid1(VALU_DEP_4)
	v_fma_f64 v[189:190], v[38:39], v[2:3], -v[183:184]
	v_fma_f64 v[191:192], v[40:41], v[2:3], v[4:5]
	ds_load_b128 v[2:5], v1 offset:1792
	ds_load_b128 v[183:186], v1 offset:1808
	scratch_load_b128 v[38:41], off, off offset:912
	v_fma_f64 v[44:45], v[44:45], v[6:7], v[187:188]
	v_fma_f64 v[42:43], v[42:43], v[6:7], -v[8:9]
	scratch_load_b128 v[6:9], off, off offset:928
	s_wait_loadcnt_dscnt 0xa01
	v_mul_f64_e32 v[193:194], v[2:3], v[12:13]
	v_mul_f64_e32 v[12:13], v[4:5], v[12:13]
	v_add_f64_e32 v[187:188], 0, v[189:190]
	v_add_f64_e32 v[189:190], 0, v[191:192]
	s_wait_loadcnt_dscnt 0x900
	v_mul_f64_e32 v[191:192], v[183:184], v[16:17]
	v_mul_f64_e32 v[16:17], v[185:186], v[16:17]
	v_fma_f64 v[193:194], v[4:5], v[10:11], v[193:194]
	v_fma_f64 v[195:196], v[2:3], v[10:11], -v[12:13]
	ds_load_b128 v[2:5], v1 offset:1824
	scratch_load_b128 v[10:13], off, off offset:944
	v_add_f64_e32 v[187:188], v[187:188], v[42:43]
	v_add_f64_e32 v[189:190], v[189:190], v[44:45]
	ds_load_b128 v[42:45], v1 offset:1840
	v_fma_f64 v[185:186], v[185:186], v[14:15], v[191:192]
	v_fma_f64 v[183:184], v[183:184], v[14:15], -v[16:17]
	scratch_load_b128 v[14:17], off, off offset:960
	s_wait_loadcnt_dscnt 0xa01
	v_mul_f64_e32 v[197:198], v[2:3], v[20:21]
	v_mul_f64_e32 v[20:21], v[4:5], v[20:21]
	s_wait_loadcnt_dscnt 0x900
	v_mul_f64_e32 v[191:192], v[42:43], v[24:25]
	v_mul_f64_e32 v[24:25], v[44:45], v[24:25]
	v_add_f64_e32 v[187:188], v[187:188], v[195:196]
	v_add_f64_e32 v[189:190], v[189:190], v[193:194]
	v_fma_f64 v[193:194], v[4:5], v[18:19], v[197:198]
	v_fma_f64 v[195:196], v[2:3], v[18:19], -v[20:21]
	ds_load_b128 v[2:5], v1 offset:1856
	scratch_load_b128 v[18:21], off, off offset:976
	v_fma_f64 v[44:45], v[44:45], v[22:23], v[191:192]
	v_fma_f64 v[42:43], v[42:43], v[22:23], -v[24:25]
	scratch_load_b128 v[22:25], off, off offset:992
	v_add_f64_e32 v[187:188], v[187:188], v[183:184]
	v_add_f64_e32 v[189:190], v[189:190], v[185:186]
	ds_load_b128 v[183:186], v1 offset:1872
	s_wait_loadcnt_dscnt 0xa01
	v_mul_f64_e32 v[197:198], v[2:3], v[28:29]
	v_mul_f64_e32 v[28:29], v[4:5], v[28:29]
	s_wait_loadcnt_dscnt 0x900
	v_mul_f64_e32 v[191:192], v[183:184], v[32:33]
	v_mul_f64_e32 v[32:33], v[185:186], v[32:33]
	v_add_f64_e32 v[187:188], v[187:188], v[195:196]
	v_add_f64_e32 v[189:190], v[189:190], v[193:194]
	v_fma_f64 v[193:194], v[4:5], v[26:27], v[197:198]
	v_fma_f64 v[195:196], v[2:3], v[26:27], -v[28:29]
	ds_load_b128 v[2:5], v1 offset:1888
	scratch_load_b128 v[26:29], off, off offset:1008
	v_fma_f64 v[185:186], v[185:186], v[30:31], v[191:192]
	v_fma_f64 v[183:184], v[183:184], v[30:31], -v[32:33]
	scratch_load_b128 v[30:33], off, off offset:1024
	v_add_f64_e32 v[187:188], v[187:188], v[42:43]
	v_add_f64_e32 v[189:190], v[189:190], v[44:45]
	ds_load_b128 v[42:45], v1 offset:1904
	s_wait_loadcnt_dscnt 0xa01
	v_mul_f64_e32 v[197:198], v[2:3], v[36:37]
	v_mul_f64_e32 v[36:37], v[4:5], v[36:37]
	s_wait_loadcnt_dscnt 0x800
	v_mul_f64_e32 v[191:192], v[42:43], v[181:182]
	v_mul_f64_e32 v[181:182], v[44:45], v[181:182]
	v_add_f64_e32 v[187:188], v[187:188], v[195:196]
	v_add_f64_e32 v[189:190], v[189:190], v[193:194]
	v_fma_f64 v[193:194], v[4:5], v[34:35], v[197:198]
	v_fma_f64 v[195:196], v[2:3], v[34:35], -v[36:37]
	ds_load_b128 v[2:5], v1 offset:1920
	ds_load_b128 v[34:37], v1 offset:1936
	v_fma_f64 v[44:45], v[44:45], v[179:180], v[191:192]
	v_fma_f64 v[42:43], v[42:43], v[179:180], -v[181:182]
	v_add_f64_e32 v[183:184], v[187:188], v[183:184]
	v_add_f64_e32 v[185:186], v[189:190], v[185:186]
	s_wait_loadcnt_dscnt 0x701
	v_mul_f64_e32 v[187:188], v[2:3], v[40:41]
	v_mul_f64_e32 v[40:41], v[4:5], v[40:41]
	s_delay_alu instid0(VALU_DEP_4) | instskip(NEXT) | instid1(VALU_DEP_4)
	v_add_f64_e32 v[179:180], v[183:184], v[195:196]
	v_add_f64_e32 v[181:182], v[185:186], v[193:194]
	s_wait_loadcnt_dscnt 0x600
	v_mul_f64_e32 v[183:184], v[34:35], v[8:9]
	v_mul_f64_e32 v[8:9], v[36:37], v[8:9]
	v_fma_f64 v[185:186], v[4:5], v[38:39], v[187:188]
	v_fma_f64 v[187:188], v[2:3], v[38:39], -v[40:41]
	ds_load_b128 v[2:5], v1 offset:1952
	ds_load_b128 v[38:41], v1 offset:1968
	v_add_f64_e32 v[42:43], v[179:180], v[42:43]
	v_add_f64_e32 v[44:45], v[181:182], v[44:45]
	v_fma_f64 v[36:37], v[36:37], v[6:7], v[183:184]
	s_wait_loadcnt_dscnt 0x501
	v_mul_f64_e32 v[179:180], v[2:3], v[12:13]
	v_mul_f64_e32 v[12:13], v[4:5], v[12:13]
	v_fma_f64 v[6:7], v[34:35], v[6:7], -v[8:9]
	v_add_f64_e32 v[8:9], v[42:43], v[187:188]
	v_add_f64_e32 v[34:35], v[44:45], v[185:186]
	s_wait_loadcnt_dscnt 0x400
	v_mul_f64_e32 v[42:43], v[38:39], v[16:17]
	v_mul_f64_e32 v[16:17], v[40:41], v[16:17]
	v_fma_f64 v[44:45], v[4:5], v[10:11], v[179:180]
	v_fma_f64 v[10:11], v[2:3], v[10:11], -v[12:13]
	v_add_f64_e32 v[12:13], v[8:9], v[6:7]
	v_add_f64_e32 v[34:35], v[34:35], v[36:37]
	ds_load_b128 v[2:5], v1 offset:1984
	ds_load_b128 v[6:9], v1 offset:2000
	v_fma_f64 v[40:41], v[40:41], v[14:15], v[42:43]
	v_fma_f64 v[14:15], v[38:39], v[14:15], -v[16:17]
	s_wait_loadcnt_dscnt 0x301
	v_mul_f64_e32 v[36:37], v[2:3], v[20:21]
	v_mul_f64_e32 v[20:21], v[4:5], v[20:21]
	s_wait_loadcnt_dscnt 0x200
	v_mul_f64_e32 v[16:17], v[6:7], v[24:25]
	v_mul_f64_e32 v[24:25], v[8:9], v[24:25]
	v_add_f64_e32 v[10:11], v[12:13], v[10:11]
	v_add_f64_e32 v[12:13], v[34:35], v[44:45]
	v_fma_f64 v[34:35], v[4:5], v[18:19], v[36:37]
	v_fma_f64 v[18:19], v[2:3], v[18:19], -v[20:21]
	v_fma_f64 v[8:9], v[8:9], v[22:23], v[16:17]
	v_fma_f64 v[6:7], v[6:7], v[22:23], -v[24:25]
	v_add_f64_e32 v[14:15], v[10:11], v[14:15]
	v_add_f64_e32 v[20:21], v[12:13], v[40:41]
	ds_load_b128 v[2:5], v1 offset:2016
	ds_load_b128 v[10:13], v1 offset:2032
	s_wait_loadcnt_dscnt 0x101
	v_mul_f64_e32 v[36:37], v[2:3], v[28:29]
	v_mul_f64_e32 v[28:29], v[4:5], v[28:29]
	v_add_f64_e32 v[14:15], v[14:15], v[18:19]
	v_add_f64_e32 v[16:17], v[20:21], v[34:35]
	s_wait_loadcnt_dscnt 0x0
	v_mul_f64_e32 v[18:19], v[10:11], v[32:33]
	v_mul_f64_e32 v[20:21], v[12:13], v[32:33]
	v_fma_f64 v[4:5], v[4:5], v[26:27], v[36:37]
	v_fma_f64 v[1:2], v[2:3], v[26:27], -v[28:29]
	v_add_f64_e32 v[6:7], v[14:15], v[6:7]
	v_add_f64_e32 v[8:9], v[16:17], v[8:9]
	v_fma_f64 v[12:13], v[12:13], v[30:31], v[18:19]
	v_fma_f64 v[10:11], v[10:11], v[30:31], -v[20:21]
	s_delay_alu instid0(VALU_DEP_4) | instskip(NEXT) | instid1(VALU_DEP_4)
	v_add_f64_e32 v[1:2], v[6:7], v[1:2]
	v_add_f64_e32 v[3:4], v[8:9], v[4:5]
	s_delay_alu instid0(VALU_DEP_2) | instskip(NEXT) | instid1(VALU_DEP_2)
	v_add_f64_e32 v[1:2], v[1:2], v[10:11]
	v_add_f64_e32 v[3:4], v[3:4], v[12:13]
	s_delay_alu instid0(VALU_DEP_2) | instskip(NEXT) | instid1(VALU_DEP_2)
	v_add_f64_e64 v[1:2], v[175:176], -v[1:2]
	v_add_f64_e64 v[3:4], v[177:178], -v[3:4]
	scratch_store_b128 off, v[1:4], off offset:736
	v_cmpx_lt_u32_e32 44, v0
	s_cbranch_execz .LBB63_321
; %bb.320:
	scratch_load_b128 v[1:4], off, s30
	v_mov_b32_e32 v5, 0
	s_delay_alu instid0(VALU_DEP_1)
	v_dual_mov_b32 v6, v5 :: v_dual_mov_b32 v7, v5
	v_mov_b32_e32 v8, v5
	scratch_store_b128 off, v[5:8], off offset:720
	s_wait_loadcnt 0x0
	ds_store_b128 v174, v[1:4]
.LBB63_321:
	s_wait_alu 0xfffe
	s_or_b32 exec_lo, exec_lo, s0
	s_wait_storecnt_dscnt 0x0
	s_barrier_signal -1
	s_barrier_wait -1
	global_inv scope:SCOPE_SE
	s_clause 0x7
	scratch_load_b128 v[2:5], off, off offset:736
	scratch_load_b128 v[6:9], off, off offset:752
	;; [unrolled: 1-line block ×8, first 2 shown]
	v_mov_b32_e32 v1, 0
	s_mov_b32 s0, exec_lo
	ds_load_b128 v[34:37], v1 offset:1744
	s_clause 0x1
	scratch_load_b128 v[38:41], off, off offset:864
	scratch_load_b128 v[42:45], off, off offset:720
	ds_load_b128 v[175:178], v1 offset:1760
	scratch_load_b128 v[179:182], off, off offset:880
	s_wait_loadcnt_dscnt 0xa01
	v_mul_f64_e32 v[183:184], v[36:37], v[4:5]
	v_mul_f64_e32 v[4:5], v[34:35], v[4:5]
	s_delay_alu instid0(VALU_DEP_2) | instskip(NEXT) | instid1(VALU_DEP_2)
	v_fma_f64 v[189:190], v[34:35], v[2:3], -v[183:184]
	v_fma_f64 v[191:192], v[36:37], v[2:3], v[4:5]
	ds_load_b128 v[2:5], v1 offset:1776
	s_wait_loadcnt_dscnt 0x901
	v_mul_f64_e32 v[187:188], v[175:176], v[8:9]
	v_mul_f64_e32 v[8:9], v[177:178], v[8:9]
	scratch_load_b128 v[34:37], off, off offset:896
	ds_load_b128 v[183:186], v1 offset:1792
	s_wait_loadcnt_dscnt 0x901
	v_mul_f64_e32 v[193:194], v[2:3], v[12:13]
	v_mul_f64_e32 v[12:13], v[4:5], v[12:13]
	v_fma_f64 v[177:178], v[177:178], v[6:7], v[187:188]
	v_fma_f64 v[175:176], v[175:176], v[6:7], -v[8:9]
	v_add_f64_e32 v[187:188], 0, v[189:190]
	v_add_f64_e32 v[189:190], 0, v[191:192]
	scratch_load_b128 v[6:9], off, off offset:912
	v_fma_f64 v[193:194], v[4:5], v[10:11], v[193:194]
	v_fma_f64 v[195:196], v[2:3], v[10:11], -v[12:13]
	ds_load_b128 v[2:5], v1 offset:1808
	s_wait_loadcnt_dscnt 0x901
	v_mul_f64_e32 v[191:192], v[183:184], v[16:17]
	v_mul_f64_e32 v[16:17], v[185:186], v[16:17]
	scratch_load_b128 v[10:13], off, off offset:928
	v_add_f64_e32 v[187:188], v[187:188], v[175:176]
	v_add_f64_e32 v[189:190], v[189:190], v[177:178]
	s_wait_loadcnt_dscnt 0x900
	v_mul_f64_e32 v[197:198], v[2:3], v[20:21]
	v_mul_f64_e32 v[20:21], v[4:5], v[20:21]
	ds_load_b128 v[175:178], v1 offset:1824
	v_fma_f64 v[185:186], v[185:186], v[14:15], v[191:192]
	v_fma_f64 v[183:184], v[183:184], v[14:15], -v[16:17]
	scratch_load_b128 v[14:17], off, off offset:944
	v_add_f64_e32 v[187:188], v[187:188], v[195:196]
	v_add_f64_e32 v[189:190], v[189:190], v[193:194]
	v_fma_f64 v[193:194], v[4:5], v[18:19], v[197:198]
	v_fma_f64 v[195:196], v[2:3], v[18:19], -v[20:21]
	ds_load_b128 v[2:5], v1 offset:1840
	s_wait_loadcnt_dscnt 0x901
	v_mul_f64_e32 v[191:192], v[175:176], v[24:25]
	v_mul_f64_e32 v[24:25], v[177:178], v[24:25]
	scratch_load_b128 v[18:21], off, off offset:960
	s_wait_loadcnt_dscnt 0x900
	v_mul_f64_e32 v[197:198], v[2:3], v[28:29]
	v_mul_f64_e32 v[28:29], v[4:5], v[28:29]
	v_add_f64_e32 v[187:188], v[187:188], v[183:184]
	v_add_f64_e32 v[189:190], v[189:190], v[185:186]
	ds_load_b128 v[183:186], v1 offset:1856
	v_fma_f64 v[177:178], v[177:178], v[22:23], v[191:192]
	v_fma_f64 v[175:176], v[175:176], v[22:23], -v[24:25]
	scratch_load_b128 v[22:25], off, off offset:976
	v_add_f64_e32 v[187:188], v[187:188], v[195:196]
	v_add_f64_e32 v[189:190], v[189:190], v[193:194]
	v_fma_f64 v[193:194], v[4:5], v[26:27], v[197:198]
	v_fma_f64 v[195:196], v[2:3], v[26:27], -v[28:29]
	ds_load_b128 v[2:5], v1 offset:1872
	s_wait_loadcnt_dscnt 0x901
	v_mul_f64_e32 v[191:192], v[183:184], v[32:33]
	v_mul_f64_e32 v[32:33], v[185:186], v[32:33]
	scratch_load_b128 v[26:29], off, off offset:992
	s_wait_loadcnt_dscnt 0x900
	v_mul_f64_e32 v[197:198], v[2:3], v[40:41]
	v_mul_f64_e32 v[40:41], v[4:5], v[40:41]
	v_add_f64_e32 v[187:188], v[187:188], v[175:176]
	v_add_f64_e32 v[189:190], v[189:190], v[177:178]
	ds_load_b128 v[175:178], v1 offset:1888
	v_fma_f64 v[185:186], v[185:186], v[30:31], v[191:192]
	v_fma_f64 v[183:184], v[183:184], v[30:31], -v[32:33]
	scratch_load_b128 v[30:33], off, off offset:1008
	v_add_f64_e32 v[187:188], v[187:188], v[195:196]
	v_add_f64_e32 v[189:190], v[189:190], v[193:194]
	v_fma_f64 v[195:196], v[4:5], v[38:39], v[197:198]
	v_fma_f64 v[197:198], v[2:3], v[38:39], -v[40:41]
	ds_load_b128 v[2:5], v1 offset:1904
	s_wait_loadcnt_dscnt 0x801
	v_mul_f64_e32 v[191:192], v[175:176], v[181:182]
	v_mul_f64_e32 v[193:194], v[177:178], v[181:182]
	scratch_load_b128 v[38:41], off, off offset:1024
	v_add_f64_e32 v[187:188], v[187:188], v[183:184]
	v_add_f64_e32 v[185:186], v[189:190], v[185:186]
	ds_load_b128 v[181:184], v1 offset:1920
	v_fma_f64 v[177:178], v[177:178], v[179:180], v[191:192]
	v_fma_f64 v[175:176], v[175:176], v[179:180], -v[193:194]
	s_wait_loadcnt_dscnt 0x801
	v_mul_f64_e32 v[189:190], v[2:3], v[36:37]
	v_mul_f64_e32 v[36:37], v[4:5], v[36:37]
	v_add_f64_e32 v[179:180], v[187:188], v[197:198]
	v_add_f64_e32 v[185:186], v[185:186], v[195:196]
	s_delay_alu instid0(VALU_DEP_4) | instskip(NEXT) | instid1(VALU_DEP_4)
	v_fma_f64 v[189:190], v[4:5], v[34:35], v[189:190]
	v_fma_f64 v[191:192], v[2:3], v[34:35], -v[36:37]
	s_wait_loadcnt_dscnt 0x700
	v_mul_f64_e32 v[187:188], v[181:182], v[8:9]
	v_mul_f64_e32 v[8:9], v[183:184], v[8:9]
	ds_load_b128 v[2:5], v1 offset:1936
	ds_load_b128 v[34:37], v1 offset:1952
	v_add_f64_e32 v[175:176], v[179:180], v[175:176]
	v_add_f64_e32 v[177:178], v[185:186], v[177:178]
	s_wait_loadcnt_dscnt 0x601
	v_mul_f64_e32 v[179:180], v[2:3], v[12:13]
	v_mul_f64_e32 v[12:13], v[4:5], v[12:13]
	v_fma_f64 v[183:184], v[183:184], v[6:7], v[187:188]
	v_fma_f64 v[6:7], v[181:182], v[6:7], -v[8:9]
	v_add_f64_e32 v[8:9], v[175:176], v[191:192]
	v_add_f64_e32 v[175:176], v[177:178], v[189:190]
	s_wait_loadcnt_dscnt 0x500
	v_mul_f64_e32 v[177:178], v[34:35], v[16:17]
	v_mul_f64_e32 v[16:17], v[36:37], v[16:17]
	v_fma_f64 v[179:180], v[4:5], v[10:11], v[179:180]
	v_fma_f64 v[10:11], v[2:3], v[10:11], -v[12:13]
	v_add_f64_e32 v[12:13], v[8:9], v[6:7]
	v_add_f64_e32 v[175:176], v[175:176], v[183:184]
	ds_load_b128 v[2:5], v1 offset:1968
	ds_load_b128 v[6:9], v1 offset:1984
	v_fma_f64 v[36:37], v[36:37], v[14:15], v[177:178]
	v_fma_f64 v[14:15], v[34:35], v[14:15], -v[16:17]
	s_wait_loadcnt_dscnt 0x401
	v_mul_f64_e32 v[181:182], v[2:3], v[20:21]
	v_mul_f64_e32 v[20:21], v[4:5], v[20:21]
	s_wait_loadcnt_dscnt 0x300
	v_mul_f64_e32 v[16:17], v[6:7], v[24:25]
	v_mul_f64_e32 v[24:25], v[8:9], v[24:25]
	v_add_f64_e32 v[10:11], v[12:13], v[10:11]
	v_add_f64_e32 v[12:13], v[175:176], v[179:180]
	v_fma_f64 v[34:35], v[4:5], v[18:19], v[181:182]
	v_fma_f64 v[18:19], v[2:3], v[18:19], -v[20:21]
	v_fma_f64 v[8:9], v[8:9], v[22:23], v[16:17]
	v_fma_f64 v[6:7], v[6:7], v[22:23], -v[24:25]
	v_add_f64_e32 v[14:15], v[10:11], v[14:15]
	v_add_f64_e32 v[20:21], v[12:13], v[36:37]
	ds_load_b128 v[2:5], v1 offset:2000
	ds_load_b128 v[10:13], v1 offset:2016
	s_wait_loadcnt_dscnt 0x201
	v_mul_f64_e32 v[36:37], v[2:3], v[28:29]
	v_mul_f64_e32 v[28:29], v[4:5], v[28:29]
	v_add_f64_e32 v[14:15], v[14:15], v[18:19]
	v_add_f64_e32 v[16:17], v[20:21], v[34:35]
	s_wait_loadcnt_dscnt 0x100
	v_mul_f64_e32 v[18:19], v[10:11], v[32:33]
	v_mul_f64_e32 v[20:21], v[12:13], v[32:33]
	v_fma_f64 v[22:23], v[4:5], v[26:27], v[36:37]
	v_fma_f64 v[24:25], v[2:3], v[26:27], -v[28:29]
	ds_load_b128 v[2:5], v1 offset:2032
	v_add_f64_e32 v[6:7], v[14:15], v[6:7]
	v_add_f64_e32 v[8:9], v[16:17], v[8:9]
	v_fma_f64 v[12:13], v[12:13], v[30:31], v[18:19]
	v_fma_f64 v[10:11], v[10:11], v[30:31], -v[20:21]
	s_wait_loadcnt_dscnt 0x0
	v_mul_f64_e32 v[14:15], v[2:3], v[40:41]
	v_mul_f64_e32 v[16:17], v[4:5], v[40:41]
	v_add_f64_e32 v[6:7], v[6:7], v[24:25]
	v_add_f64_e32 v[8:9], v[8:9], v[22:23]
	s_delay_alu instid0(VALU_DEP_4) | instskip(NEXT) | instid1(VALU_DEP_4)
	v_fma_f64 v[4:5], v[4:5], v[38:39], v[14:15]
	v_fma_f64 v[2:3], v[2:3], v[38:39], -v[16:17]
	s_delay_alu instid0(VALU_DEP_4) | instskip(NEXT) | instid1(VALU_DEP_4)
	v_add_f64_e32 v[6:7], v[6:7], v[10:11]
	v_add_f64_e32 v[8:9], v[8:9], v[12:13]
	s_delay_alu instid0(VALU_DEP_2) | instskip(NEXT) | instid1(VALU_DEP_2)
	v_add_f64_e32 v[2:3], v[6:7], v[2:3]
	v_add_f64_e32 v[4:5], v[8:9], v[4:5]
	s_delay_alu instid0(VALU_DEP_2) | instskip(NEXT) | instid1(VALU_DEP_2)
	v_add_f64_e64 v[2:3], v[42:43], -v[2:3]
	v_add_f64_e64 v[4:5], v[44:45], -v[4:5]
	scratch_store_b128 off, v[2:5], off offset:720
	v_cmpx_lt_u32_e32 43, v0
	s_cbranch_execz .LBB63_323
; %bb.322:
	scratch_load_b128 v[5:8], off, s29
	v_dual_mov_b32 v2, v1 :: v_dual_mov_b32 v3, v1
	v_mov_b32_e32 v4, v1
	scratch_store_b128 off, v[1:4], off offset:704
	s_wait_loadcnt 0x0
	ds_store_b128 v174, v[5:8]
.LBB63_323:
	s_wait_alu 0xfffe
	s_or_b32 exec_lo, exec_lo, s0
	s_wait_storecnt_dscnt 0x0
	s_barrier_signal -1
	s_barrier_wait -1
	global_inv scope:SCOPE_SE
	s_clause 0x8
	scratch_load_b128 v[2:5], off, off offset:720
	scratch_load_b128 v[6:9], off, off offset:736
	;; [unrolled: 1-line block ×9, first 2 shown]
	ds_load_b128 v[38:41], v1 offset:1728
	ds_load_b128 v[42:45], v1 offset:1744
	s_clause 0x1
	scratch_load_b128 v[175:178], off, off offset:704
	scratch_load_b128 v[179:182], off, off offset:864
	s_mov_b32 s0, exec_lo
	s_wait_loadcnt_dscnt 0xa01
	v_mul_f64_e32 v[183:184], v[40:41], v[4:5]
	v_mul_f64_e32 v[4:5], v[38:39], v[4:5]
	s_wait_loadcnt_dscnt 0x900
	v_mul_f64_e32 v[187:188], v[42:43], v[8:9]
	v_mul_f64_e32 v[8:9], v[44:45], v[8:9]
	s_delay_alu instid0(VALU_DEP_4) | instskip(NEXT) | instid1(VALU_DEP_4)
	v_fma_f64 v[189:190], v[38:39], v[2:3], -v[183:184]
	v_fma_f64 v[191:192], v[40:41], v[2:3], v[4:5]
	ds_load_b128 v[2:5], v1 offset:1760
	ds_load_b128 v[183:186], v1 offset:1776
	scratch_load_b128 v[38:41], off, off offset:880
	v_fma_f64 v[44:45], v[44:45], v[6:7], v[187:188]
	v_fma_f64 v[42:43], v[42:43], v[6:7], -v[8:9]
	scratch_load_b128 v[6:9], off, off offset:896
	s_wait_loadcnt_dscnt 0xa01
	v_mul_f64_e32 v[193:194], v[2:3], v[12:13]
	v_mul_f64_e32 v[12:13], v[4:5], v[12:13]
	v_add_f64_e32 v[187:188], 0, v[189:190]
	v_add_f64_e32 v[189:190], 0, v[191:192]
	s_wait_loadcnt_dscnt 0x900
	v_mul_f64_e32 v[191:192], v[183:184], v[16:17]
	v_mul_f64_e32 v[16:17], v[185:186], v[16:17]
	v_fma_f64 v[193:194], v[4:5], v[10:11], v[193:194]
	v_fma_f64 v[195:196], v[2:3], v[10:11], -v[12:13]
	ds_load_b128 v[2:5], v1 offset:1792
	scratch_load_b128 v[10:13], off, off offset:912
	v_add_f64_e32 v[187:188], v[187:188], v[42:43]
	v_add_f64_e32 v[189:190], v[189:190], v[44:45]
	ds_load_b128 v[42:45], v1 offset:1808
	v_fma_f64 v[185:186], v[185:186], v[14:15], v[191:192]
	v_fma_f64 v[183:184], v[183:184], v[14:15], -v[16:17]
	scratch_load_b128 v[14:17], off, off offset:928
	s_wait_loadcnt_dscnt 0xa01
	v_mul_f64_e32 v[197:198], v[2:3], v[20:21]
	v_mul_f64_e32 v[20:21], v[4:5], v[20:21]
	s_wait_loadcnt_dscnt 0x900
	v_mul_f64_e32 v[191:192], v[42:43], v[24:25]
	v_mul_f64_e32 v[24:25], v[44:45], v[24:25]
	v_add_f64_e32 v[187:188], v[187:188], v[195:196]
	v_add_f64_e32 v[189:190], v[189:190], v[193:194]
	v_fma_f64 v[193:194], v[4:5], v[18:19], v[197:198]
	v_fma_f64 v[195:196], v[2:3], v[18:19], -v[20:21]
	ds_load_b128 v[2:5], v1 offset:1824
	scratch_load_b128 v[18:21], off, off offset:944
	v_fma_f64 v[44:45], v[44:45], v[22:23], v[191:192]
	v_fma_f64 v[42:43], v[42:43], v[22:23], -v[24:25]
	scratch_load_b128 v[22:25], off, off offset:960
	v_add_f64_e32 v[187:188], v[187:188], v[183:184]
	v_add_f64_e32 v[189:190], v[189:190], v[185:186]
	ds_load_b128 v[183:186], v1 offset:1840
	s_wait_loadcnt_dscnt 0xa01
	v_mul_f64_e32 v[197:198], v[2:3], v[28:29]
	v_mul_f64_e32 v[28:29], v[4:5], v[28:29]
	s_wait_loadcnt_dscnt 0x900
	v_mul_f64_e32 v[191:192], v[183:184], v[32:33]
	v_mul_f64_e32 v[32:33], v[185:186], v[32:33]
	v_add_f64_e32 v[187:188], v[187:188], v[195:196]
	v_add_f64_e32 v[189:190], v[189:190], v[193:194]
	v_fma_f64 v[193:194], v[4:5], v[26:27], v[197:198]
	v_fma_f64 v[195:196], v[2:3], v[26:27], -v[28:29]
	ds_load_b128 v[2:5], v1 offset:1856
	scratch_load_b128 v[26:29], off, off offset:976
	v_fma_f64 v[185:186], v[185:186], v[30:31], v[191:192]
	v_fma_f64 v[183:184], v[183:184], v[30:31], -v[32:33]
	scratch_load_b128 v[30:33], off, off offset:992
	v_add_f64_e32 v[187:188], v[187:188], v[42:43]
	v_add_f64_e32 v[189:190], v[189:190], v[44:45]
	ds_load_b128 v[42:45], v1 offset:1872
	s_wait_loadcnt_dscnt 0xa01
	v_mul_f64_e32 v[197:198], v[2:3], v[36:37]
	v_mul_f64_e32 v[36:37], v[4:5], v[36:37]
	s_wait_loadcnt_dscnt 0x800
	v_mul_f64_e32 v[191:192], v[42:43], v[181:182]
	v_add_f64_e32 v[187:188], v[187:188], v[195:196]
	v_add_f64_e32 v[189:190], v[189:190], v[193:194]
	v_mul_f64_e32 v[193:194], v[44:45], v[181:182]
	v_fma_f64 v[195:196], v[4:5], v[34:35], v[197:198]
	v_fma_f64 v[197:198], v[2:3], v[34:35], -v[36:37]
	ds_load_b128 v[2:5], v1 offset:1888
	scratch_load_b128 v[34:37], off, off offset:1008
	v_fma_f64 v[44:45], v[44:45], v[179:180], v[191:192]
	v_add_f64_e32 v[187:188], v[187:188], v[183:184]
	v_add_f64_e32 v[185:186], v[189:190], v[185:186]
	ds_load_b128 v[181:184], v1 offset:1904
	v_fma_f64 v[179:180], v[42:43], v[179:180], -v[193:194]
	s_wait_loadcnt_dscnt 0x801
	v_mul_f64_e32 v[189:190], v[2:3], v[40:41]
	v_mul_f64_e32 v[199:200], v[4:5], v[40:41]
	scratch_load_b128 v[40:43], off, off offset:1024
	s_wait_loadcnt_dscnt 0x800
	v_mul_f64_e32 v[191:192], v[181:182], v[8:9]
	v_mul_f64_e32 v[8:9], v[183:184], v[8:9]
	v_add_f64_e32 v[187:188], v[187:188], v[197:198]
	v_add_f64_e32 v[185:186], v[185:186], v[195:196]
	v_fma_f64 v[189:190], v[4:5], v[38:39], v[189:190]
	v_fma_f64 v[38:39], v[2:3], v[38:39], -v[199:200]
	v_fma_f64 v[183:184], v[183:184], v[6:7], v[191:192]
	v_fma_f64 v[6:7], v[181:182], v[6:7], -v[8:9]
	v_add_f64_e32 v[179:180], v[187:188], v[179:180]
	v_add_f64_e32 v[44:45], v[185:186], v[44:45]
	ds_load_b128 v[2:5], v1 offset:1920
	ds_load_b128 v[185:188], v1 offset:1936
	s_wait_loadcnt_dscnt 0x701
	v_mul_f64_e32 v[193:194], v[2:3], v[12:13]
	v_mul_f64_e32 v[12:13], v[4:5], v[12:13]
	v_add_f64_e32 v[8:9], v[179:180], v[38:39]
	v_add_f64_e32 v[38:39], v[44:45], v[189:190]
	s_wait_loadcnt_dscnt 0x600
	v_mul_f64_e32 v[44:45], v[185:186], v[16:17]
	v_mul_f64_e32 v[16:17], v[187:188], v[16:17]
	v_fma_f64 v[179:180], v[4:5], v[10:11], v[193:194]
	v_fma_f64 v[10:11], v[2:3], v[10:11], -v[12:13]
	v_add_f64_e32 v[12:13], v[8:9], v[6:7]
	v_add_f64_e32 v[38:39], v[38:39], v[183:184]
	ds_load_b128 v[2:5], v1 offset:1952
	ds_load_b128 v[6:9], v1 offset:1968
	v_fma_f64 v[44:45], v[187:188], v[14:15], v[44:45]
	v_fma_f64 v[14:15], v[185:186], v[14:15], -v[16:17]
	s_wait_loadcnt_dscnt 0x501
	v_mul_f64_e32 v[181:182], v[2:3], v[20:21]
	v_mul_f64_e32 v[20:21], v[4:5], v[20:21]
	s_wait_loadcnt_dscnt 0x400
	v_mul_f64_e32 v[16:17], v[6:7], v[24:25]
	v_mul_f64_e32 v[24:25], v[8:9], v[24:25]
	v_add_f64_e32 v[10:11], v[12:13], v[10:11]
	v_add_f64_e32 v[12:13], v[38:39], v[179:180]
	v_fma_f64 v[38:39], v[4:5], v[18:19], v[181:182]
	v_fma_f64 v[18:19], v[2:3], v[18:19], -v[20:21]
	v_fma_f64 v[8:9], v[8:9], v[22:23], v[16:17]
	v_fma_f64 v[6:7], v[6:7], v[22:23], -v[24:25]
	v_add_f64_e32 v[14:15], v[10:11], v[14:15]
	v_add_f64_e32 v[20:21], v[12:13], v[44:45]
	ds_load_b128 v[2:5], v1 offset:1984
	ds_load_b128 v[10:13], v1 offset:2000
	s_wait_loadcnt_dscnt 0x301
	v_mul_f64_e32 v[44:45], v[2:3], v[28:29]
	v_mul_f64_e32 v[28:29], v[4:5], v[28:29]
	v_add_f64_e32 v[14:15], v[14:15], v[18:19]
	v_add_f64_e32 v[16:17], v[20:21], v[38:39]
	s_wait_loadcnt_dscnt 0x200
	v_mul_f64_e32 v[18:19], v[10:11], v[32:33]
	v_mul_f64_e32 v[20:21], v[12:13], v[32:33]
	v_fma_f64 v[22:23], v[4:5], v[26:27], v[44:45]
	v_fma_f64 v[24:25], v[2:3], v[26:27], -v[28:29]
	v_add_f64_e32 v[14:15], v[14:15], v[6:7]
	v_add_f64_e32 v[16:17], v[16:17], v[8:9]
	ds_load_b128 v[2:5], v1 offset:2016
	ds_load_b128 v[6:9], v1 offset:2032
	v_fma_f64 v[12:13], v[12:13], v[30:31], v[18:19]
	v_fma_f64 v[10:11], v[10:11], v[30:31], -v[20:21]
	s_wait_loadcnt_dscnt 0x101
	v_mul_f64_e32 v[26:27], v[2:3], v[36:37]
	v_mul_f64_e32 v[28:29], v[4:5], v[36:37]
	s_wait_loadcnt_dscnt 0x0
	v_mul_f64_e32 v[18:19], v[6:7], v[42:43]
	v_add_f64_e32 v[14:15], v[14:15], v[24:25]
	v_add_f64_e32 v[16:17], v[16:17], v[22:23]
	v_mul_f64_e32 v[20:21], v[8:9], v[42:43]
	v_fma_f64 v[4:5], v[4:5], v[34:35], v[26:27]
	v_fma_f64 v[1:2], v[2:3], v[34:35], -v[28:29]
	v_fma_f64 v[8:9], v[8:9], v[40:41], v[18:19]
	v_add_f64_e32 v[10:11], v[14:15], v[10:11]
	v_add_f64_e32 v[12:13], v[16:17], v[12:13]
	v_fma_f64 v[6:7], v[6:7], v[40:41], -v[20:21]
	s_delay_alu instid0(VALU_DEP_3) | instskip(NEXT) | instid1(VALU_DEP_3)
	v_add_f64_e32 v[1:2], v[10:11], v[1:2]
	v_add_f64_e32 v[3:4], v[12:13], v[4:5]
	s_delay_alu instid0(VALU_DEP_2) | instskip(NEXT) | instid1(VALU_DEP_2)
	v_add_f64_e32 v[1:2], v[1:2], v[6:7]
	v_add_f64_e32 v[3:4], v[3:4], v[8:9]
	s_delay_alu instid0(VALU_DEP_2) | instskip(NEXT) | instid1(VALU_DEP_2)
	v_add_f64_e64 v[1:2], v[175:176], -v[1:2]
	v_add_f64_e64 v[3:4], v[177:178], -v[3:4]
	scratch_store_b128 off, v[1:4], off offset:704
	v_cmpx_lt_u32_e32 42, v0
	s_cbranch_execz .LBB63_325
; %bb.324:
	scratch_load_b128 v[1:4], off, s34
	v_mov_b32_e32 v5, 0
	s_delay_alu instid0(VALU_DEP_1)
	v_dual_mov_b32 v6, v5 :: v_dual_mov_b32 v7, v5
	v_mov_b32_e32 v8, v5
	scratch_store_b128 off, v[5:8], off offset:688
	s_wait_loadcnt 0x0
	ds_store_b128 v174, v[1:4]
.LBB63_325:
	s_wait_alu 0xfffe
	s_or_b32 exec_lo, exec_lo, s0
	s_wait_storecnt_dscnt 0x0
	s_barrier_signal -1
	s_barrier_wait -1
	global_inv scope:SCOPE_SE
	s_clause 0x7
	scratch_load_b128 v[2:5], off, off offset:704
	scratch_load_b128 v[6:9], off, off offset:720
	;; [unrolled: 1-line block ×8, first 2 shown]
	v_mov_b32_e32 v1, 0
	s_mov_b32 s0, exec_lo
	ds_load_b128 v[34:37], v1 offset:1712
	s_clause 0x1
	scratch_load_b128 v[38:41], off, off offset:832
	scratch_load_b128 v[42:45], off, off offset:688
	ds_load_b128 v[175:178], v1 offset:1728
	scratch_load_b128 v[179:182], off, off offset:848
	s_wait_loadcnt_dscnt 0xa01
	v_mul_f64_e32 v[183:184], v[36:37], v[4:5]
	v_mul_f64_e32 v[4:5], v[34:35], v[4:5]
	s_delay_alu instid0(VALU_DEP_2) | instskip(NEXT) | instid1(VALU_DEP_2)
	v_fma_f64 v[189:190], v[34:35], v[2:3], -v[183:184]
	v_fma_f64 v[191:192], v[36:37], v[2:3], v[4:5]
	ds_load_b128 v[2:5], v1 offset:1744
	s_wait_loadcnt_dscnt 0x901
	v_mul_f64_e32 v[187:188], v[175:176], v[8:9]
	v_mul_f64_e32 v[8:9], v[177:178], v[8:9]
	scratch_load_b128 v[34:37], off, off offset:864
	ds_load_b128 v[183:186], v1 offset:1760
	s_wait_loadcnt_dscnt 0x901
	v_mul_f64_e32 v[193:194], v[2:3], v[12:13]
	v_mul_f64_e32 v[12:13], v[4:5], v[12:13]
	v_fma_f64 v[177:178], v[177:178], v[6:7], v[187:188]
	v_fma_f64 v[175:176], v[175:176], v[6:7], -v[8:9]
	v_add_f64_e32 v[187:188], 0, v[189:190]
	v_add_f64_e32 v[189:190], 0, v[191:192]
	scratch_load_b128 v[6:9], off, off offset:880
	v_fma_f64 v[193:194], v[4:5], v[10:11], v[193:194]
	v_fma_f64 v[195:196], v[2:3], v[10:11], -v[12:13]
	ds_load_b128 v[2:5], v1 offset:1776
	s_wait_loadcnt_dscnt 0x901
	v_mul_f64_e32 v[191:192], v[183:184], v[16:17]
	v_mul_f64_e32 v[16:17], v[185:186], v[16:17]
	scratch_load_b128 v[10:13], off, off offset:896
	v_add_f64_e32 v[187:188], v[187:188], v[175:176]
	v_add_f64_e32 v[189:190], v[189:190], v[177:178]
	s_wait_loadcnt_dscnt 0x900
	v_mul_f64_e32 v[197:198], v[2:3], v[20:21]
	v_mul_f64_e32 v[20:21], v[4:5], v[20:21]
	ds_load_b128 v[175:178], v1 offset:1792
	v_fma_f64 v[185:186], v[185:186], v[14:15], v[191:192]
	v_fma_f64 v[183:184], v[183:184], v[14:15], -v[16:17]
	scratch_load_b128 v[14:17], off, off offset:912
	v_add_f64_e32 v[187:188], v[187:188], v[195:196]
	v_add_f64_e32 v[189:190], v[189:190], v[193:194]
	v_fma_f64 v[193:194], v[4:5], v[18:19], v[197:198]
	v_fma_f64 v[195:196], v[2:3], v[18:19], -v[20:21]
	ds_load_b128 v[2:5], v1 offset:1808
	s_wait_loadcnt_dscnt 0x901
	v_mul_f64_e32 v[191:192], v[175:176], v[24:25]
	v_mul_f64_e32 v[24:25], v[177:178], v[24:25]
	scratch_load_b128 v[18:21], off, off offset:928
	s_wait_loadcnt_dscnt 0x900
	v_mul_f64_e32 v[197:198], v[2:3], v[28:29]
	v_mul_f64_e32 v[28:29], v[4:5], v[28:29]
	v_add_f64_e32 v[187:188], v[187:188], v[183:184]
	v_add_f64_e32 v[189:190], v[189:190], v[185:186]
	ds_load_b128 v[183:186], v1 offset:1824
	v_fma_f64 v[177:178], v[177:178], v[22:23], v[191:192]
	v_fma_f64 v[175:176], v[175:176], v[22:23], -v[24:25]
	scratch_load_b128 v[22:25], off, off offset:944
	v_add_f64_e32 v[187:188], v[187:188], v[195:196]
	v_add_f64_e32 v[189:190], v[189:190], v[193:194]
	v_fma_f64 v[193:194], v[4:5], v[26:27], v[197:198]
	v_fma_f64 v[195:196], v[2:3], v[26:27], -v[28:29]
	ds_load_b128 v[2:5], v1 offset:1840
	s_wait_loadcnt_dscnt 0x901
	v_mul_f64_e32 v[191:192], v[183:184], v[32:33]
	v_mul_f64_e32 v[32:33], v[185:186], v[32:33]
	scratch_load_b128 v[26:29], off, off offset:960
	s_wait_loadcnt_dscnt 0x900
	v_mul_f64_e32 v[197:198], v[2:3], v[40:41]
	v_mul_f64_e32 v[40:41], v[4:5], v[40:41]
	v_add_f64_e32 v[187:188], v[187:188], v[175:176]
	v_add_f64_e32 v[189:190], v[189:190], v[177:178]
	ds_load_b128 v[175:178], v1 offset:1856
	v_fma_f64 v[185:186], v[185:186], v[30:31], v[191:192]
	v_fma_f64 v[183:184], v[183:184], v[30:31], -v[32:33]
	scratch_load_b128 v[30:33], off, off offset:976
	v_add_f64_e32 v[187:188], v[187:188], v[195:196]
	v_add_f64_e32 v[189:190], v[189:190], v[193:194]
	v_fma_f64 v[195:196], v[4:5], v[38:39], v[197:198]
	v_fma_f64 v[197:198], v[2:3], v[38:39], -v[40:41]
	ds_load_b128 v[2:5], v1 offset:1872
	s_wait_loadcnt_dscnt 0x801
	v_mul_f64_e32 v[191:192], v[175:176], v[181:182]
	v_mul_f64_e32 v[193:194], v[177:178], v[181:182]
	scratch_load_b128 v[38:41], off, off offset:992
	v_add_f64_e32 v[187:188], v[187:188], v[183:184]
	v_add_f64_e32 v[185:186], v[189:190], v[185:186]
	ds_load_b128 v[181:184], v1 offset:1888
	v_fma_f64 v[191:192], v[177:178], v[179:180], v[191:192]
	v_fma_f64 v[179:180], v[175:176], v[179:180], -v[193:194]
	scratch_load_b128 v[175:178], off, off offset:1008
	s_wait_loadcnt_dscnt 0x901
	v_mul_f64_e32 v[189:190], v[2:3], v[36:37]
	v_mul_f64_e32 v[36:37], v[4:5], v[36:37]
	v_add_f64_e32 v[187:188], v[187:188], v[197:198]
	v_add_f64_e32 v[185:186], v[185:186], v[195:196]
	s_delay_alu instid0(VALU_DEP_4) | instskip(NEXT) | instid1(VALU_DEP_4)
	v_fma_f64 v[189:190], v[4:5], v[34:35], v[189:190]
	v_fma_f64 v[195:196], v[2:3], v[34:35], -v[36:37]
	ds_load_b128 v[2:5], v1 offset:1904
	s_wait_loadcnt_dscnt 0x801
	v_mul_f64_e32 v[193:194], v[181:182], v[8:9]
	v_mul_f64_e32 v[8:9], v[183:184], v[8:9]
	scratch_load_b128 v[34:37], off, off offset:1024
	s_wait_loadcnt_dscnt 0x800
	v_mul_f64_e32 v[197:198], v[2:3], v[12:13]
	v_add_f64_e32 v[179:180], v[187:188], v[179:180]
	v_add_f64_e32 v[191:192], v[185:186], v[191:192]
	v_mul_f64_e32 v[12:13], v[4:5], v[12:13]
	ds_load_b128 v[185:188], v1 offset:1920
	v_fma_f64 v[183:184], v[183:184], v[6:7], v[193:194]
	v_fma_f64 v[6:7], v[181:182], v[6:7], -v[8:9]
	s_wait_loadcnt_dscnt 0x700
	v_mul_f64_e32 v[181:182], v[185:186], v[16:17]
	v_add_f64_e32 v[8:9], v[179:180], v[195:196]
	v_add_f64_e32 v[179:180], v[191:192], v[189:190]
	v_mul_f64_e32 v[16:17], v[187:188], v[16:17]
	v_fma_f64 v[189:190], v[4:5], v[10:11], v[197:198]
	v_fma_f64 v[10:11], v[2:3], v[10:11], -v[12:13]
	v_fma_f64 v[181:182], v[187:188], v[14:15], v[181:182]
	v_add_f64_e32 v[12:13], v[8:9], v[6:7]
	v_add_f64_e32 v[179:180], v[179:180], v[183:184]
	ds_load_b128 v[2:5], v1 offset:1936
	ds_load_b128 v[6:9], v1 offset:1952
	v_fma_f64 v[14:15], v[185:186], v[14:15], -v[16:17]
	s_wait_loadcnt_dscnt 0x601
	v_mul_f64_e32 v[183:184], v[2:3], v[20:21]
	v_mul_f64_e32 v[20:21], v[4:5], v[20:21]
	s_wait_loadcnt_dscnt 0x500
	v_mul_f64_e32 v[16:17], v[6:7], v[24:25]
	v_mul_f64_e32 v[24:25], v[8:9], v[24:25]
	v_add_f64_e32 v[10:11], v[12:13], v[10:11]
	v_add_f64_e32 v[12:13], v[179:180], v[189:190]
	v_fma_f64 v[179:180], v[4:5], v[18:19], v[183:184]
	v_fma_f64 v[18:19], v[2:3], v[18:19], -v[20:21]
	v_fma_f64 v[8:9], v[8:9], v[22:23], v[16:17]
	v_fma_f64 v[6:7], v[6:7], v[22:23], -v[24:25]
	v_add_f64_e32 v[14:15], v[10:11], v[14:15]
	v_add_f64_e32 v[20:21], v[12:13], v[181:182]
	ds_load_b128 v[2:5], v1 offset:1968
	ds_load_b128 v[10:13], v1 offset:1984
	s_wait_loadcnt_dscnt 0x401
	v_mul_f64_e32 v[181:182], v[2:3], v[28:29]
	v_mul_f64_e32 v[28:29], v[4:5], v[28:29]
	v_add_f64_e32 v[14:15], v[14:15], v[18:19]
	v_add_f64_e32 v[16:17], v[20:21], v[179:180]
	s_wait_loadcnt_dscnt 0x300
	v_mul_f64_e32 v[18:19], v[10:11], v[32:33]
	v_mul_f64_e32 v[20:21], v[12:13], v[32:33]
	v_fma_f64 v[22:23], v[4:5], v[26:27], v[181:182]
	v_fma_f64 v[24:25], v[2:3], v[26:27], -v[28:29]
	v_add_f64_e32 v[14:15], v[14:15], v[6:7]
	v_add_f64_e32 v[16:17], v[16:17], v[8:9]
	ds_load_b128 v[2:5], v1 offset:2000
	ds_load_b128 v[6:9], v1 offset:2016
	v_fma_f64 v[12:13], v[12:13], v[30:31], v[18:19]
	v_fma_f64 v[10:11], v[10:11], v[30:31], -v[20:21]
	s_wait_loadcnt_dscnt 0x201
	v_mul_f64_e32 v[26:27], v[2:3], v[40:41]
	v_mul_f64_e32 v[28:29], v[4:5], v[40:41]
	s_wait_loadcnt_dscnt 0x100
	v_mul_f64_e32 v[18:19], v[6:7], v[177:178]
	v_mul_f64_e32 v[20:21], v[8:9], v[177:178]
	v_add_f64_e32 v[14:15], v[14:15], v[24:25]
	v_add_f64_e32 v[16:17], v[16:17], v[22:23]
	v_fma_f64 v[22:23], v[4:5], v[38:39], v[26:27]
	v_fma_f64 v[24:25], v[2:3], v[38:39], -v[28:29]
	ds_load_b128 v[2:5], v1 offset:2032
	v_fma_f64 v[8:9], v[8:9], v[175:176], v[18:19]
	v_fma_f64 v[6:7], v[6:7], v[175:176], -v[20:21]
	v_add_f64_e32 v[10:11], v[14:15], v[10:11]
	v_add_f64_e32 v[12:13], v[16:17], v[12:13]
	s_wait_loadcnt_dscnt 0x0
	v_mul_f64_e32 v[14:15], v[2:3], v[36:37]
	v_mul_f64_e32 v[16:17], v[4:5], v[36:37]
	s_delay_alu instid0(VALU_DEP_4) | instskip(NEXT) | instid1(VALU_DEP_4)
	v_add_f64_e32 v[10:11], v[10:11], v[24:25]
	v_add_f64_e32 v[12:13], v[12:13], v[22:23]
	s_delay_alu instid0(VALU_DEP_4) | instskip(NEXT) | instid1(VALU_DEP_4)
	v_fma_f64 v[4:5], v[4:5], v[34:35], v[14:15]
	v_fma_f64 v[2:3], v[2:3], v[34:35], -v[16:17]
	s_delay_alu instid0(VALU_DEP_4) | instskip(NEXT) | instid1(VALU_DEP_4)
	v_add_f64_e32 v[6:7], v[10:11], v[6:7]
	v_add_f64_e32 v[8:9], v[12:13], v[8:9]
	s_delay_alu instid0(VALU_DEP_2) | instskip(NEXT) | instid1(VALU_DEP_2)
	v_add_f64_e32 v[2:3], v[6:7], v[2:3]
	v_add_f64_e32 v[4:5], v[8:9], v[4:5]
	s_delay_alu instid0(VALU_DEP_2) | instskip(NEXT) | instid1(VALU_DEP_2)
	v_add_f64_e64 v[2:3], v[42:43], -v[2:3]
	v_add_f64_e64 v[4:5], v[44:45], -v[4:5]
	scratch_store_b128 off, v[2:5], off offset:688
	v_cmpx_lt_u32_e32 41, v0
	s_cbranch_execz .LBB63_327
; %bb.326:
	scratch_load_b128 v[5:8], off, s33
	v_dual_mov_b32 v2, v1 :: v_dual_mov_b32 v3, v1
	v_mov_b32_e32 v4, v1
	scratch_store_b128 off, v[1:4], off offset:672
	s_wait_loadcnt 0x0
	ds_store_b128 v174, v[5:8]
.LBB63_327:
	s_wait_alu 0xfffe
	s_or_b32 exec_lo, exec_lo, s0
	s_wait_storecnt_dscnt 0x0
	s_barrier_signal -1
	s_barrier_wait -1
	global_inv scope:SCOPE_SE
	s_clause 0x8
	scratch_load_b128 v[2:5], off, off offset:688
	scratch_load_b128 v[6:9], off, off offset:704
	;; [unrolled: 1-line block ×9, first 2 shown]
	ds_load_b128 v[38:41], v1 offset:1696
	ds_load_b128 v[42:45], v1 offset:1712
	s_clause 0x1
	scratch_load_b128 v[175:178], off, off offset:672
	scratch_load_b128 v[179:182], off, off offset:832
	s_mov_b32 s0, exec_lo
	s_wait_loadcnt_dscnt 0xa01
	v_mul_f64_e32 v[183:184], v[40:41], v[4:5]
	v_mul_f64_e32 v[4:5], v[38:39], v[4:5]
	s_wait_loadcnt_dscnt 0x900
	v_mul_f64_e32 v[187:188], v[42:43], v[8:9]
	v_mul_f64_e32 v[8:9], v[44:45], v[8:9]
	s_delay_alu instid0(VALU_DEP_4) | instskip(NEXT) | instid1(VALU_DEP_4)
	v_fma_f64 v[189:190], v[38:39], v[2:3], -v[183:184]
	v_fma_f64 v[191:192], v[40:41], v[2:3], v[4:5]
	ds_load_b128 v[2:5], v1 offset:1728
	ds_load_b128 v[183:186], v1 offset:1744
	scratch_load_b128 v[38:41], off, off offset:848
	v_fma_f64 v[44:45], v[44:45], v[6:7], v[187:188]
	v_fma_f64 v[42:43], v[42:43], v[6:7], -v[8:9]
	scratch_load_b128 v[6:9], off, off offset:864
	s_wait_loadcnt_dscnt 0xa01
	v_mul_f64_e32 v[193:194], v[2:3], v[12:13]
	v_mul_f64_e32 v[12:13], v[4:5], v[12:13]
	v_add_f64_e32 v[187:188], 0, v[189:190]
	v_add_f64_e32 v[189:190], 0, v[191:192]
	s_wait_loadcnt_dscnt 0x900
	v_mul_f64_e32 v[191:192], v[183:184], v[16:17]
	v_mul_f64_e32 v[16:17], v[185:186], v[16:17]
	v_fma_f64 v[193:194], v[4:5], v[10:11], v[193:194]
	v_fma_f64 v[195:196], v[2:3], v[10:11], -v[12:13]
	ds_load_b128 v[2:5], v1 offset:1760
	scratch_load_b128 v[10:13], off, off offset:880
	v_add_f64_e32 v[187:188], v[187:188], v[42:43]
	v_add_f64_e32 v[189:190], v[189:190], v[44:45]
	ds_load_b128 v[42:45], v1 offset:1776
	v_fma_f64 v[185:186], v[185:186], v[14:15], v[191:192]
	v_fma_f64 v[183:184], v[183:184], v[14:15], -v[16:17]
	scratch_load_b128 v[14:17], off, off offset:896
	s_wait_loadcnt_dscnt 0xa01
	v_mul_f64_e32 v[197:198], v[2:3], v[20:21]
	v_mul_f64_e32 v[20:21], v[4:5], v[20:21]
	s_wait_loadcnt_dscnt 0x900
	v_mul_f64_e32 v[191:192], v[42:43], v[24:25]
	v_mul_f64_e32 v[24:25], v[44:45], v[24:25]
	v_add_f64_e32 v[187:188], v[187:188], v[195:196]
	v_add_f64_e32 v[189:190], v[189:190], v[193:194]
	v_fma_f64 v[193:194], v[4:5], v[18:19], v[197:198]
	v_fma_f64 v[195:196], v[2:3], v[18:19], -v[20:21]
	ds_load_b128 v[2:5], v1 offset:1792
	scratch_load_b128 v[18:21], off, off offset:912
	v_fma_f64 v[44:45], v[44:45], v[22:23], v[191:192]
	v_fma_f64 v[42:43], v[42:43], v[22:23], -v[24:25]
	scratch_load_b128 v[22:25], off, off offset:928
	v_add_f64_e32 v[187:188], v[187:188], v[183:184]
	v_add_f64_e32 v[189:190], v[189:190], v[185:186]
	ds_load_b128 v[183:186], v1 offset:1808
	s_wait_loadcnt_dscnt 0xa01
	v_mul_f64_e32 v[197:198], v[2:3], v[28:29]
	v_mul_f64_e32 v[28:29], v[4:5], v[28:29]
	s_wait_loadcnt_dscnt 0x900
	v_mul_f64_e32 v[191:192], v[183:184], v[32:33]
	v_mul_f64_e32 v[32:33], v[185:186], v[32:33]
	v_add_f64_e32 v[187:188], v[187:188], v[195:196]
	v_add_f64_e32 v[189:190], v[189:190], v[193:194]
	v_fma_f64 v[193:194], v[4:5], v[26:27], v[197:198]
	v_fma_f64 v[195:196], v[2:3], v[26:27], -v[28:29]
	ds_load_b128 v[2:5], v1 offset:1824
	scratch_load_b128 v[26:29], off, off offset:944
	v_fma_f64 v[185:186], v[185:186], v[30:31], v[191:192]
	v_fma_f64 v[183:184], v[183:184], v[30:31], -v[32:33]
	scratch_load_b128 v[30:33], off, off offset:960
	v_add_f64_e32 v[187:188], v[187:188], v[42:43]
	v_add_f64_e32 v[189:190], v[189:190], v[44:45]
	ds_load_b128 v[42:45], v1 offset:1840
	s_wait_loadcnt_dscnt 0xa01
	v_mul_f64_e32 v[197:198], v[2:3], v[36:37]
	v_mul_f64_e32 v[36:37], v[4:5], v[36:37]
	s_wait_loadcnt_dscnt 0x800
	v_mul_f64_e32 v[191:192], v[42:43], v[181:182]
	v_add_f64_e32 v[187:188], v[187:188], v[195:196]
	v_add_f64_e32 v[189:190], v[189:190], v[193:194]
	v_mul_f64_e32 v[193:194], v[44:45], v[181:182]
	v_fma_f64 v[195:196], v[4:5], v[34:35], v[197:198]
	v_fma_f64 v[197:198], v[2:3], v[34:35], -v[36:37]
	ds_load_b128 v[2:5], v1 offset:1856
	scratch_load_b128 v[34:37], off, off offset:976
	v_fma_f64 v[44:45], v[44:45], v[179:180], v[191:192]
	v_add_f64_e32 v[187:188], v[187:188], v[183:184]
	v_add_f64_e32 v[185:186], v[189:190], v[185:186]
	ds_load_b128 v[181:184], v1 offset:1872
	v_fma_f64 v[179:180], v[42:43], v[179:180], -v[193:194]
	s_wait_loadcnt_dscnt 0x801
	v_mul_f64_e32 v[189:190], v[2:3], v[40:41]
	v_mul_f64_e32 v[199:200], v[4:5], v[40:41]
	scratch_load_b128 v[40:43], off, off offset:992
	s_wait_loadcnt_dscnt 0x800
	v_mul_f64_e32 v[193:194], v[181:182], v[8:9]
	v_mul_f64_e32 v[8:9], v[183:184], v[8:9]
	v_add_f64_e32 v[187:188], v[187:188], v[197:198]
	v_add_f64_e32 v[185:186], v[185:186], v[195:196]
	v_fma_f64 v[195:196], v[4:5], v[38:39], v[189:190]
	v_fma_f64 v[38:39], v[2:3], v[38:39], -v[199:200]
	ds_load_b128 v[2:5], v1 offset:1888
	ds_load_b128 v[189:192], v1 offset:1904
	v_fma_f64 v[183:184], v[183:184], v[6:7], v[193:194]
	v_fma_f64 v[181:182], v[181:182], v[6:7], -v[8:9]
	scratch_load_b128 v[6:9], off, off offset:1024
	v_add_f64_e32 v[179:180], v[187:188], v[179:180]
	v_add_f64_e32 v[44:45], v[185:186], v[44:45]
	scratch_load_b128 v[185:188], off, off offset:1008
	s_wait_loadcnt_dscnt 0x901
	v_mul_f64_e32 v[197:198], v[2:3], v[12:13]
	v_mul_f64_e32 v[12:13], v[4:5], v[12:13]
	v_add_f64_e32 v[38:39], v[179:180], v[38:39]
	v_add_f64_e32 v[44:45], v[44:45], v[195:196]
	s_wait_loadcnt_dscnt 0x800
	v_mul_f64_e32 v[179:180], v[189:190], v[16:17]
	v_mul_f64_e32 v[16:17], v[191:192], v[16:17]
	v_fma_f64 v[193:194], v[4:5], v[10:11], v[197:198]
	v_fma_f64 v[195:196], v[2:3], v[10:11], -v[12:13]
	ds_load_b128 v[2:5], v1 offset:1920
	ds_load_b128 v[10:13], v1 offset:1936
	v_add_f64_e32 v[38:39], v[38:39], v[181:182]
	v_add_f64_e32 v[44:45], v[44:45], v[183:184]
	s_wait_loadcnt_dscnt 0x701
	v_mul_f64_e32 v[181:182], v[2:3], v[20:21]
	v_mul_f64_e32 v[20:21], v[4:5], v[20:21]
	v_fma_f64 v[179:180], v[191:192], v[14:15], v[179:180]
	v_fma_f64 v[14:15], v[189:190], v[14:15], -v[16:17]
	v_add_f64_e32 v[16:17], v[38:39], v[195:196]
	v_add_f64_e32 v[38:39], v[44:45], v[193:194]
	s_wait_loadcnt_dscnt 0x600
	v_mul_f64_e32 v[44:45], v[10:11], v[24:25]
	v_mul_f64_e32 v[24:25], v[12:13], v[24:25]
	v_fma_f64 v[181:182], v[4:5], v[18:19], v[181:182]
	v_fma_f64 v[18:19], v[2:3], v[18:19], -v[20:21]
	v_add_f64_e32 v[20:21], v[16:17], v[14:15]
	v_add_f64_e32 v[38:39], v[38:39], v[179:180]
	ds_load_b128 v[2:5], v1 offset:1952
	ds_load_b128 v[14:17], v1 offset:1968
	v_fma_f64 v[12:13], v[12:13], v[22:23], v[44:45]
	v_fma_f64 v[10:11], v[10:11], v[22:23], -v[24:25]
	s_wait_loadcnt_dscnt 0x501
	v_mul_f64_e32 v[179:180], v[2:3], v[28:29]
	v_mul_f64_e32 v[28:29], v[4:5], v[28:29]
	s_wait_loadcnt_dscnt 0x400
	v_mul_f64_e32 v[22:23], v[14:15], v[32:33]
	v_mul_f64_e32 v[24:25], v[16:17], v[32:33]
	v_add_f64_e32 v[18:19], v[20:21], v[18:19]
	v_add_f64_e32 v[20:21], v[38:39], v[181:182]
	v_fma_f64 v[32:33], v[4:5], v[26:27], v[179:180]
	v_fma_f64 v[26:27], v[2:3], v[26:27], -v[28:29]
	v_fma_f64 v[16:17], v[16:17], v[30:31], v[22:23]
	v_fma_f64 v[14:15], v[14:15], v[30:31], -v[24:25]
	v_add_f64_e32 v[18:19], v[18:19], v[10:11]
	v_add_f64_e32 v[20:21], v[20:21], v[12:13]
	ds_load_b128 v[2:5], v1 offset:1984
	ds_load_b128 v[10:13], v1 offset:2000
	s_wait_loadcnt_dscnt 0x301
	v_mul_f64_e32 v[28:29], v[2:3], v[36:37]
	v_mul_f64_e32 v[36:37], v[4:5], v[36:37]
	s_wait_loadcnt_dscnt 0x200
	v_mul_f64_e32 v[22:23], v[10:11], v[42:43]
	v_add_f64_e32 v[18:19], v[18:19], v[26:27]
	v_add_f64_e32 v[20:21], v[20:21], v[32:33]
	v_mul_f64_e32 v[24:25], v[12:13], v[42:43]
	v_fma_f64 v[26:27], v[4:5], v[34:35], v[28:29]
	v_fma_f64 v[28:29], v[2:3], v[34:35], -v[36:37]
	v_fma_f64 v[12:13], v[12:13], v[40:41], v[22:23]
	v_add_f64_e32 v[18:19], v[18:19], v[14:15]
	v_add_f64_e32 v[20:21], v[20:21], v[16:17]
	ds_load_b128 v[2:5], v1 offset:2016
	ds_load_b128 v[14:17], v1 offset:2032
	v_fma_f64 v[10:11], v[10:11], v[40:41], -v[24:25]
	s_wait_loadcnt_dscnt 0x1
	v_mul_f64_e32 v[30:31], v[2:3], v[187:188]
	v_mul_f64_e32 v[32:33], v[4:5], v[187:188]
	s_wait_dscnt 0x0
	v_mul_f64_e32 v[22:23], v[14:15], v[8:9]
	v_mul_f64_e32 v[8:9], v[16:17], v[8:9]
	v_add_f64_e32 v[18:19], v[18:19], v[28:29]
	v_add_f64_e32 v[20:21], v[20:21], v[26:27]
	v_fma_f64 v[4:5], v[4:5], v[185:186], v[30:31]
	v_fma_f64 v[1:2], v[2:3], v[185:186], -v[32:33]
	v_fma_f64 v[16:17], v[16:17], v[6:7], v[22:23]
	v_fma_f64 v[6:7], v[14:15], v[6:7], -v[8:9]
	v_add_f64_e32 v[10:11], v[18:19], v[10:11]
	v_add_f64_e32 v[12:13], v[20:21], v[12:13]
	s_delay_alu instid0(VALU_DEP_2) | instskip(NEXT) | instid1(VALU_DEP_2)
	v_add_f64_e32 v[1:2], v[10:11], v[1:2]
	v_add_f64_e32 v[3:4], v[12:13], v[4:5]
	s_delay_alu instid0(VALU_DEP_2) | instskip(NEXT) | instid1(VALU_DEP_2)
	;; [unrolled: 3-line block ×3, first 2 shown]
	v_add_f64_e64 v[1:2], v[175:176], -v[1:2]
	v_add_f64_e64 v[3:4], v[177:178], -v[3:4]
	scratch_store_b128 off, v[1:4], off offset:672
	v_cmpx_lt_u32_e32 40, v0
	s_cbranch_execz .LBB63_329
; %bb.328:
	scratch_load_b128 v[1:4], off, s42
	v_mov_b32_e32 v5, 0
	s_delay_alu instid0(VALU_DEP_1)
	v_dual_mov_b32 v6, v5 :: v_dual_mov_b32 v7, v5
	v_mov_b32_e32 v8, v5
	scratch_store_b128 off, v[5:8], off offset:656
	s_wait_loadcnt 0x0
	ds_store_b128 v174, v[1:4]
.LBB63_329:
	s_wait_alu 0xfffe
	s_or_b32 exec_lo, exec_lo, s0
	s_wait_storecnt_dscnt 0x0
	s_barrier_signal -1
	s_barrier_wait -1
	global_inv scope:SCOPE_SE
	s_clause 0x7
	scratch_load_b128 v[2:5], off, off offset:672
	scratch_load_b128 v[6:9], off, off offset:688
	;; [unrolled: 1-line block ×8, first 2 shown]
	v_mov_b32_e32 v1, 0
	s_mov_b32 s0, exec_lo
	ds_load_b128 v[34:37], v1 offset:1680
	s_clause 0x1
	scratch_load_b128 v[38:41], off, off offset:800
	scratch_load_b128 v[42:45], off, off offset:656
	ds_load_b128 v[175:178], v1 offset:1696
	scratch_load_b128 v[179:182], off, off offset:816
	s_wait_loadcnt_dscnt 0xa01
	v_mul_f64_e32 v[183:184], v[36:37], v[4:5]
	v_mul_f64_e32 v[4:5], v[34:35], v[4:5]
	s_delay_alu instid0(VALU_DEP_2) | instskip(NEXT) | instid1(VALU_DEP_2)
	v_fma_f64 v[189:190], v[34:35], v[2:3], -v[183:184]
	v_fma_f64 v[191:192], v[36:37], v[2:3], v[4:5]
	ds_load_b128 v[2:5], v1 offset:1712
	s_wait_loadcnt_dscnt 0x901
	v_mul_f64_e32 v[187:188], v[175:176], v[8:9]
	v_mul_f64_e32 v[8:9], v[177:178], v[8:9]
	scratch_load_b128 v[34:37], off, off offset:832
	ds_load_b128 v[183:186], v1 offset:1728
	s_wait_loadcnt_dscnt 0x901
	v_mul_f64_e32 v[193:194], v[2:3], v[12:13]
	v_mul_f64_e32 v[12:13], v[4:5], v[12:13]
	v_fma_f64 v[177:178], v[177:178], v[6:7], v[187:188]
	v_fma_f64 v[175:176], v[175:176], v[6:7], -v[8:9]
	v_add_f64_e32 v[187:188], 0, v[189:190]
	v_add_f64_e32 v[189:190], 0, v[191:192]
	scratch_load_b128 v[6:9], off, off offset:848
	v_fma_f64 v[193:194], v[4:5], v[10:11], v[193:194]
	v_fma_f64 v[195:196], v[2:3], v[10:11], -v[12:13]
	ds_load_b128 v[2:5], v1 offset:1744
	s_wait_loadcnt_dscnt 0x901
	v_mul_f64_e32 v[191:192], v[183:184], v[16:17]
	v_mul_f64_e32 v[16:17], v[185:186], v[16:17]
	scratch_load_b128 v[10:13], off, off offset:864
	v_add_f64_e32 v[187:188], v[187:188], v[175:176]
	v_add_f64_e32 v[189:190], v[189:190], v[177:178]
	s_wait_loadcnt_dscnt 0x900
	v_mul_f64_e32 v[197:198], v[2:3], v[20:21]
	v_mul_f64_e32 v[20:21], v[4:5], v[20:21]
	ds_load_b128 v[175:178], v1 offset:1760
	v_fma_f64 v[185:186], v[185:186], v[14:15], v[191:192]
	v_fma_f64 v[183:184], v[183:184], v[14:15], -v[16:17]
	scratch_load_b128 v[14:17], off, off offset:880
	v_add_f64_e32 v[187:188], v[187:188], v[195:196]
	v_add_f64_e32 v[189:190], v[189:190], v[193:194]
	v_fma_f64 v[193:194], v[4:5], v[18:19], v[197:198]
	v_fma_f64 v[195:196], v[2:3], v[18:19], -v[20:21]
	ds_load_b128 v[2:5], v1 offset:1776
	s_wait_loadcnt_dscnt 0x901
	v_mul_f64_e32 v[191:192], v[175:176], v[24:25]
	v_mul_f64_e32 v[24:25], v[177:178], v[24:25]
	scratch_load_b128 v[18:21], off, off offset:896
	s_wait_loadcnt_dscnt 0x900
	v_mul_f64_e32 v[197:198], v[2:3], v[28:29]
	v_mul_f64_e32 v[28:29], v[4:5], v[28:29]
	v_add_f64_e32 v[187:188], v[187:188], v[183:184]
	v_add_f64_e32 v[189:190], v[189:190], v[185:186]
	ds_load_b128 v[183:186], v1 offset:1792
	v_fma_f64 v[177:178], v[177:178], v[22:23], v[191:192]
	v_fma_f64 v[175:176], v[175:176], v[22:23], -v[24:25]
	scratch_load_b128 v[22:25], off, off offset:912
	v_add_f64_e32 v[187:188], v[187:188], v[195:196]
	v_add_f64_e32 v[189:190], v[189:190], v[193:194]
	v_fma_f64 v[193:194], v[4:5], v[26:27], v[197:198]
	v_fma_f64 v[195:196], v[2:3], v[26:27], -v[28:29]
	ds_load_b128 v[2:5], v1 offset:1808
	s_wait_loadcnt_dscnt 0x901
	v_mul_f64_e32 v[191:192], v[183:184], v[32:33]
	v_mul_f64_e32 v[32:33], v[185:186], v[32:33]
	scratch_load_b128 v[26:29], off, off offset:928
	s_wait_loadcnt_dscnt 0x900
	v_mul_f64_e32 v[197:198], v[2:3], v[40:41]
	v_mul_f64_e32 v[40:41], v[4:5], v[40:41]
	v_add_f64_e32 v[187:188], v[187:188], v[175:176]
	v_add_f64_e32 v[189:190], v[189:190], v[177:178]
	ds_load_b128 v[175:178], v1 offset:1824
	v_fma_f64 v[185:186], v[185:186], v[30:31], v[191:192]
	v_fma_f64 v[183:184], v[183:184], v[30:31], -v[32:33]
	scratch_load_b128 v[30:33], off, off offset:944
	v_add_f64_e32 v[187:188], v[187:188], v[195:196]
	v_add_f64_e32 v[189:190], v[189:190], v[193:194]
	v_fma_f64 v[195:196], v[4:5], v[38:39], v[197:198]
	v_fma_f64 v[197:198], v[2:3], v[38:39], -v[40:41]
	ds_load_b128 v[2:5], v1 offset:1840
	s_wait_loadcnt_dscnt 0x801
	v_mul_f64_e32 v[191:192], v[175:176], v[181:182]
	v_mul_f64_e32 v[193:194], v[177:178], v[181:182]
	scratch_load_b128 v[38:41], off, off offset:960
	v_add_f64_e32 v[187:188], v[187:188], v[183:184]
	v_add_f64_e32 v[185:186], v[189:190], v[185:186]
	ds_load_b128 v[181:184], v1 offset:1856
	v_fma_f64 v[191:192], v[177:178], v[179:180], v[191:192]
	v_fma_f64 v[179:180], v[175:176], v[179:180], -v[193:194]
	scratch_load_b128 v[175:178], off, off offset:976
	s_wait_loadcnt_dscnt 0x901
	v_mul_f64_e32 v[189:190], v[2:3], v[36:37]
	v_mul_f64_e32 v[36:37], v[4:5], v[36:37]
	v_add_f64_e32 v[187:188], v[187:188], v[197:198]
	v_add_f64_e32 v[185:186], v[185:186], v[195:196]
	s_delay_alu instid0(VALU_DEP_4) | instskip(NEXT) | instid1(VALU_DEP_4)
	v_fma_f64 v[189:190], v[4:5], v[34:35], v[189:190]
	v_fma_f64 v[195:196], v[2:3], v[34:35], -v[36:37]
	ds_load_b128 v[2:5], v1 offset:1872
	s_wait_loadcnt_dscnt 0x801
	v_mul_f64_e32 v[193:194], v[181:182], v[8:9]
	v_mul_f64_e32 v[8:9], v[183:184], v[8:9]
	scratch_load_b128 v[34:37], off, off offset:992
	s_wait_loadcnt_dscnt 0x800
	v_mul_f64_e32 v[197:198], v[2:3], v[12:13]
	v_add_f64_e32 v[179:180], v[187:188], v[179:180]
	v_add_f64_e32 v[191:192], v[185:186], v[191:192]
	v_mul_f64_e32 v[12:13], v[4:5], v[12:13]
	ds_load_b128 v[185:188], v1 offset:1888
	v_fma_f64 v[183:184], v[183:184], v[6:7], v[193:194]
	v_fma_f64 v[181:182], v[181:182], v[6:7], -v[8:9]
	scratch_load_b128 v[6:9], off, off offset:1008
	v_fma_f64 v[193:194], v[4:5], v[10:11], v[197:198]
	v_add_f64_e32 v[179:180], v[179:180], v[195:196]
	v_add_f64_e32 v[189:190], v[191:192], v[189:190]
	v_fma_f64 v[195:196], v[2:3], v[10:11], -v[12:13]
	ds_load_b128 v[2:5], v1 offset:1904
	s_wait_loadcnt_dscnt 0x801
	v_mul_f64_e32 v[191:192], v[185:186], v[16:17]
	v_mul_f64_e32 v[16:17], v[187:188], v[16:17]
	scratch_load_b128 v[10:13], off, off offset:1024
	v_add_f64_e32 v[197:198], v[179:180], v[181:182]
	v_add_f64_e32 v[183:184], v[189:190], v[183:184]
	s_wait_loadcnt_dscnt 0x800
	v_mul_f64_e32 v[189:190], v[2:3], v[20:21]
	v_mul_f64_e32 v[20:21], v[4:5], v[20:21]
	v_fma_f64 v[187:188], v[187:188], v[14:15], v[191:192]
	v_fma_f64 v[14:15], v[185:186], v[14:15], -v[16:17]
	ds_load_b128 v[179:182], v1 offset:1920
	s_wait_loadcnt_dscnt 0x700
	v_mul_f64_e32 v[185:186], v[179:180], v[24:25]
	v_mul_f64_e32 v[24:25], v[181:182], v[24:25]
	v_add_f64_e32 v[16:17], v[197:198], v[195:196]
	v_add_f64_e32 v[183:184], v[183:184], v[193:194]
	v_fma_f64 v[189:190], v[4:5], v[18:19], v[189:190]
	v_fma_f64 v[18:19], v[2:3], v[18:19], -v[20:21]
	v_fma_f64 v[181:182], v[181:182], v[22:23], v[185:186]
	v_fma_f64 v[22:23], v[179:180], v[22:23], -v[24:25]
	v_add_f64_e32 v[20:21], v[16:17], v[14:15]
	v_add_f64_e32 v[183:184], v[183:184], v[187:188]
	ds_load_b128 v[2:5], v1 offset:1936
	ds_load_b128 v[14:17], v1 offset:1952
	s_wait_loadcnt_dscnt 0x601
	v_mul_f64_e32 v[187:188], v[2:3], v[28:29]
	v_mul_f64_e32 v[28:29], v[4:5], v[28:29]
	s_wait_loadcnt_dscnt 0x500
	v_mul_f64_e32 v[24:25], v[14:15], v[32:33]
	v_mul_f64_e32 v[32:33], v[16:17], v[32:33]
	v_add_f64_e32 v[18:19], v[20:21], v[18:19]
	v_add_f64_e32 v[20:21], v[183:184], v[189:190]
	v_fma_f64 v[179:180], v[4:5], v[26:27], v[187:188]
	v_fma_f64 v[26:27], v[2:3], v[26:27], -v[28:29]
	v_fma_f64 v[16:17], v[16:17], v[30:31], v[24:25]
	v_fma_f64 v[14:15], v[14:15], v[30:31], -v[32:33]
	v_add_f64_e32 v[22:23], v[18:19], v[22:23]
	v_add_f64_e32 v[28:29], v[20:21], v[181:182]
	ds_load_b128 v[2:5], v1 offset:1968
	ds_load_b128 v[18:21], v1 offset:1984
	s_wait_loadcnt_dscnt 0x401
	v_mul_f64_e32 v[181:182], v[2:3], v[40:41]
	v_mul_f64_e32 v[40:41], v[4:5], v[40:41]
	v_add_f64_e32 v[22:23], v[22:23], v[26:27]
	v_add_f64_e32 v[24:25], v[28:29], v[179:180]
	s_wait_loadcnt_dscnt 0x300
	v_mul_f64_e32 v[26:27], v[18:19], v[177:178]
	v_mul_f64_e32 v[28:29], v[20:21], v[177:178]
	v_fma_f64 v[30:31], v[4:5], v[38:39], v[181:182]
	v_fma_f64 v[32:33], v[2:3], v[38:39], -v[40:41]
	v_add_f64_e32 v[22:23], v[22:23], v[14:15]
	v_add_f64_e32 v[24:25], v[24:25], v[16:17]
	ds_load_b128 v[2:5], v1 offset:2000
	ds_load_b128 v[14:17], v1 offset:2016
	v_fma_f64 v[20:21], v[20:21], v[175:176], v[26:27]
	v_fma_f64 v[18:19], v[18:19], v[175:176], -v[28:29]
	s_wait_loadcnt_dscnt 0x201
	v_mul_f64_e32 v[38:39], v[2:3], v[36:37]
	v_mul_f64_e32 v[36:37], v[4:5], v[36:37]
	s_wait_loadcnt_dscnt 0x100
	v_mul_f64_e32 v[26:27], v[14:15], v[8:9]
	v_mul_f64_e32 v[8:9], v[16:17], v[8:9]
	v_add_f64_e32 v[22:23], v[22:23], v[32:33]
	v_add_f64_e32 v[24:25], v[24:25], v[30:31]
	v_fma_f64 v[28:29], v[4:5], v[34:35], v[38:39]
	v_fma_f64 v[30:31], v[2:3], v[34:35], -v[36:37]
	ds_load_b128 v[2:5], v1 offset:2032
	v_fma_f64 v[16:17], v[16:17], v[6:7], v[26:27]
	v_fma_f64 v[6:7], v[14:15], v[6:7], -v[8:9]
	v_add_f64_e32 v[18:19], v[22:23], v[18:19]
	v_add_f64_e32 v[20:21], v[24:25], v[20:21]
	s_wait_loadcnt_dscnt 0x0
	v_mul_f64_e32 v[22:23], v[2:3], v[12:13]
	v_mul_f64_e32 v[12:13], v[4:5], v[12:13]
	s_delay_alu instid0(VALU_DEP_4) | instskip(NEXT) | instid1(VALU_DEP_4)
	v_add_f64_e32 v[8:9], v[18:19], v[30:31]
	v_add_f64_e32 v[14:15], v[20:21], v[28:29]
	s_delay_alu instid0(VALU_DEP_4) | instskip(NEXT) | instid1(VALU_DEP_4)
	v_fma_f64 v[4:5], v[4:5], v[10:11], v[22:23]
	v_fma_f64 v[2:3], v[2:3], v[10:11], -v[12:13]
	s_delay_alu instid0(VALU_DEP_4) | instskip(NEXT) | instid1(VALU_DEP_4)
	v_add_f64_e32 v[6:7], v[8:9], v[6:7]
	v_add_f64_e32 v[8:9], v[14:15], v[16:17]
	s_delay_alu instid0(VALU_DEP_2) | instskip(NEXT) | instid1(VALU_DEP_2)
	v_add_f64_e32 v[2:3], v[6:7], v[2:3]
	v_add_f64_e32 v[4:5], v[8:9], v[4:5]
	s_delay_alu instid0(VALU_DEP_2) | instskip(NEXT) | instid1(VALU_DEP_2)
	v_add_f64_e64 v[2:3], v[42:43], -v[2:3]
	v_add_f64_e64 v[4:5], v[44:45], -v[4:5]
	scratch_store_b128 off, v[2:5], off offset:656
	v_cmpx_lt_u32_e32 39, v0
	s_cbranch_execz .LBB63_331
; %bb.330:
	scratch_load_b128 v[5:8], off, s41
	v_dual_mov_b32 v2, v1 :: v_dual_mov_b32 v3, v1
	v_mov_b32_e32 v4, v1
	scratch_store_b128 off, v[1:4], off offset:640
	s_wait_loadcnt 0x0
	ds_store_b128 v174, v[5:8]
.LBB63_331:
	s_wait_alu 0xfffe
	s_or_b32 exec_lo, exec_lo, s0
	s_wait_storecnt_dscnt 0x0
	s_barrier_signal -1
	s_barrier_wait -1
	global_inv scope:SCOPE_SE
	s_clause 0x8
	scratch_load_b128 v[2:5], off, off offset:656
	scratch_load_b128 v[6:9], off, off offset:672
	;; [unrolled: 1-line block ×9, first 2 shown]
	ds_load_b128 v[38:41], v1 offset:1664
	ds_load_b128 v[42:45], v1 offset:1680
	s_clause 0x1
	scratch_load_b128 v[175:178], off, off offset:640
	scratch_load_b128 v[179:182], off, off offset:800
	s_mov_b32 s0, exec_lo
	s_wait_loadcnt_dscnt 0xa01
	v_mul_f64_e32 v[183:184], v[40:41], v[4:5]
	v_mul_f64_e32 v[4:5], v[38:39], v[4:5]
	s_wait_loadcnt_dscnt 0x900
	v_mul_f64_e32 v[187:188], v[42:43], v[8:9]
	v_mul_f64_e32 v[8:9], v[44:45], v[8:9]
	s_delay_alu instid0(VALU_DEP_4) | instskip(NEXT) | instid1(VALU_DEP_4)
	v_fma_f64 v[189:190], v[38:39], v[2:3], -v[183:184]
	v_fma_f64 v[191:192], v[40:41], v[2:3], v[4:5]
	ds_load_b128 v[2:5], v1 offset:1696
	ds_load_b128 v[183:186], v1 offset:1712
	scratch_load_b128 v[38:41], off, off offset:816
	v_fma_f64 v[44:45], v[44:45], v[6:7], v[187:188]
	v_fma_f64 v[42:43], v[42:43], v[6:7], -v[8:9]
	scratch_load_b128 v[6:9], off, off offset:832
	s_wait_loadcnt_dscnt 0xa01
	v_mul_f64_e32 v[193:194], v[2:3], v[12:13]
	v_mul_f64_e32 v[12:13], v[4:5], v[12:13]
	v_add_f64_e32 v[187:188], 0, v[189:190]
	v_add_f64_e32 v[189:190], 0, v[191:192]
	s_wait_loadcnt_dscnt 0x900
	v_mul_f64_e32 v[191:192], v[183:184], v[16:17]
	v_mul_f64_e32 v[16:17], v[185:186], v[16:17]
	v_fma_f64 v[193:194], v[4:5], v[10:11], v[193:194]
	v_fma_f64 v[195:196], v[2:3], v[10:11], -v[12:13]
	ds_load_b128 v[2:5], v1 offset:1728
	scratch_load_b128 v[10:13], off, off offset:848
	v_add_f64_e32 v[187:188], v[187:188], v[42:43]
	v_add_f64_e32 v[189:190], v[189:190], v[44:45]
	ds_load_b128 v[42:45], v1 offset:1744
	v_fma_f64 v[185:186], v[185:186], v[14:15], v[191:192]
	v_fma_f64 v[183:184], v[183:184], v[14:15], -v[16:17]
	scratch_load_b128 v[14:17], off, off offset:864
	s_wait_loadcnt_dscnt 0xa01
	v_mul_f64_e32 v[197:198], v[2:3], v[20:21]
	v_mul_f64_e32 v[20:21], v[4:5], v[20:21]
	s_wait_loadcnt_dscnt 0x900
	v_mul_f64_e32 v[191:192], v[42:43], v[24:25]
	v_mul_f64_e32 v[24:25], v[44:45], v[24:25]
	v_add_f64_e32 v[187:188], v[187:188], v[195:196]
	v_add_f64_e32 v[189:190], v[189:190], v[193:194]
	v_fma_f64 v[193:194], v[4:5], v[18:19], v[197:198]
	v_fma_f64 v[195:196], v[2:3], v[18:19], -v[20:21]
	ds_load_b128 v[2:5], v1 offset:1760
	scratch_load_b128 v[18:21], off, off offset:880
	v_fma_f64 v[44:45], v[44:45], v[22:23], v[191:192]
	v_fma_f64 v[42:43], v[42:43], v[22:23], -v[24:25]
	scratch_load_b128 v[22:25], off, off offset:896
	v_add_f64_e32 v[187:188], v[187:188], v[183:184]
	v_add_f64_e32 v[189:190], v[189:190], v[185:186]
	ds_load_b128 v[183:186], v1 offset:1776
	s_wait_loadcnt_dscnt 0xa01
	v_mul_f64_e32 v[197:198], v[2:3], v[28:29]
	v_mul_f64_e32 v[28:29], v[4:5], v[28:29]
	s_wait_loadcnt_dscnt 0x900
	v_mul_f64_e32 v[191:192], v[183:184], v[32:33]
	v_mul_f64_e32 v[32:33], v[185:186], v[32:33]
	v_add_f64_e32 v[187:188], v[187:188], v[195:196]
	v_add_f64_e32 v[189:190], v[189:190], v[193:194]
	v_fma_f64 v[193:194], v[4:5], v[26:27], v[197:198]
	v_fma_f64 v[195:196], v[2:3], v[26:27], -v[28:29]
	ds_load_b128 v[2:5], v1 offset:1792
	scratch_load_b128 v[26:29], off, off offset:912
	v_fma_f64 v[185:186], v[185:186], v[30:31], v[191:192]
	v_fma_f64 v[183:184], v[183:184], v[30:31], -v[32:33]
	scratch_load_b128 v[30:33], off, off offset:928
	v_add_f64_e32 v[187:188], v[187:188], v[42:43]
	v_add_f64_e32 v[189:190], v[189:190], v[44:45]
	ds_load_b128 v[42:45], v1 offset:1808
	s_wait_loadcnt_dscnt 0xa01
	v_mul_f64_e32 v[197:198], v[2:3], v[36:37]
	v_mul_f64_e32 v[36:37], v[4:5], v[36:37]
	s_wait_loadcnt_dscnt 0x800
	v_mul_f64_e32 v[191:192], v[42:43], v[181:182]
	v_add_f64_e32 v[187:188], v[187:188], v[195:196]
	v_add_f64_e32 v[189:190], v[189:190], v[193:194]
	v_mul_f64_e32 v[193:194], v[44:45], v[181:182]
	v_fma_f64 v[195:196], v[4:5], v[34:35], v[197:198]
	v_fma_f64 v[197:198], v[2:3], v[34:35], -v[36:37]
	ds_load_b128 v[2:5], v1 offset:1824
	scratch_load_b128 v[34:37], off, off offset:944
	v_fma_f64 v[44:45], v[44:45], v[179:180], v[191:192]
	v_add_f64_e32 v[187:188], v[187:188], v[183:184]
	v_add_f64_e32 v[185:186], v[189:190], v[185:186]
	ds_load_b128 v[181:184], v1 offset:1840
	v_fma_f64 v[179:180], v[42:43], v[179:180], -v[193:194]
	s_wait_loadcnt_dscnt 0x801
	v_mul_f64_e32 v[189:190], v[2:3], v[40:41]
	v_mul_f64_e32 v[199:200], v[4:5], v[40:41]
	scratch_load_b128 v[40:43], off, off offset:960
	s_wait_loadcnt_dscnt 0x800
	v_mul_f64_e32 v[193:194], v[181:182], v[8:9]
	v_mul_f64_e32 v[8:9], v[183:184], v[8:9]
	v_add_f64_e32 v[187:188], v[187:188], v[197:198]
	v_add_f64_e32 v[185:186], v[185:186], v[195:196]
	v_fma_f64 v[195:196], v[4:5], v[38:39], v[189:190]
	v_fma_f64 v[38:39], v[2:3], v[38:39], -v[199:200]
	ds_load_b128 v[2:5], v1 offset:1856
	ds_load_b128 v[189:192], v1 offset:1872
	v_fma_f64 v[183:184], v[183:184], v[6:7], v[193:194]
	v_fma_f64 v[181:182], v[181:182], v[6:7], -v[8:9]
	scratch_load_b128 v[6:9], off, off offset:992
	v_add_f64_e32 v[179:180], v[187:188], v[179:180]
	v_add_f64_e32 v[44:45], v[185:186], v[44:45]
	scratch_load_b128 v[185:188], off, off offset:976
	s_wait_loadcnt_dscnt 0x901
	v_mul_f64_e32 v[197:198], v[2:3], v[12:13]
	v_mul_f64_e32 v[12:13], v[4:5], v[12:13]
	s_wait_loadcnt_dscnt 0x800
	v_mul_f64_e32 v[193:194], v[189:190], v[16:17]
	v_mul_f64_e32 v[16:17], v[191:192], v[16:17]
	v_add_f64_e32 v[38:39], v[179:180], v[38:39]
	v_add_f64_e32 v[44:45], v[44:45], v[195:196]
	v_fma_f64 v[195:196], v[4:5], v[10:11], v[197:198]
	v_fma_f64 v[197:198], v[2:3], v[10:11], -v[12:13]
	ds_load_b128 v[2:5], v1 offset:1888
	scratch_load_b128 v[10:13], off, off offset:1008
	v_fma_f64 v[191:192], v[191:192], v[14:15], v[193:194]
	v_fma_f64 v[189:190], v[189:190], v[14:15], -v[16:17]
	scratch_load_b128 v[14:17], off, off offset:1024
	v_add_f64_e32 v[38:39], v[38:39], v[181:182]
	v_add_f64_e32 v[44:45], v[44:45], v[183:184]
	ds_load_b128 v[179:182], v1 offset:1904
	s_wait_loadcnt_dscnt 0x901
	v_mul_f64_e32 v[183:184], v[2:3], v[20:21]
	v_mul_f64_e32 v[20:21], v[4:5], v[20:21]
	s_wait_loadcnt_dscnt 0x800
	v_mul_f64_e32 v[193:194], v[179:180], v[24:25]
	v_mul_f64_e32 v[24:25], v[181:182], v[24:25]
	v_add_f64_e32 v[38:39], v[38:39], v[197:198]
	v_add_f64_e32 v[44:45], v[44:45], v[195:196]
	v_fma_f64 v[183:184], v[4:5], v[18:19], v[183:184]
	v_fma_f64 v[195:196], v[2:3], v[18:19], -v[20:21]
	ds_load_b128 v[2:5], v1 offset:1920
	ds_load_b128 v[18:21], v1 offset:1936
	v_fma_f64 v[181:182], v[181:182], v[22:23], v[193:194]
	v_fma_f64 v[22:23], v[179:180], v[22:23], -v[24:25]
	v_add_f64_e32 v[38:39], v[38:39], v[189:190]
	v_add_f64_e32 v[44:45], v[44:45], v[191:192]
	s_wait_loadcnt_dscnt 0x701
	v_mul_f64_e32 v[189:190], v[2:3], v[28:29]
	v_mul_f64_e32 v[28:29], v[4:5], v[28:29]
	s_delay_alu instid0(VALU_DEP_4) | instskip(NEXT) | instid1(VALU_DEP_4)
	v_add_f64_e32 v[24:25], v[38:39], v[195:196]
	v_add_f64_e32 v[38:39], v[44:45], v[183:184]
	s_wait_loadcnt_dscnt 0x600
	v_mul_f64_e32 v[44:45], v[18:19], v[32:33]
	v_mul_f64_e32 v[32:33], v[20:21], v[32:33]
	v_fma_f64 v[179:180], v[4:5], v[26:27], v[189:190]
	v_fma_f64 v[26:27], v[2:3], v[26:27], -v[28:29]
	v_add_f64_e32 v[28:29], v[24:25], v[22:23]
	v_add_f64_e32 v[38:39], v[38:39], v[181:182]
	ds_load_b128 v[2:5], v1 offset:1952
	ds_load_b128 v[22:25], v1 offset:1968
	v_fma_f64 v[20:21], v[20:21], v[30:31], v[44:45]
	v_fma_f64 v[18:19], v[18:19], v[30:31], -v[32:33]
	s_wait_loadcnt_dscnt 0x501
	v_mul_f64_e32 v[181:182], v[2:3], v[36:37]
	v_mul_f64_e32 v[36:37], v[4:5], v[36:37]
	s_wait_loadcnt_dscnt 0x400
	v_mul_f64_e32 v[30:31], v[22:23], v[42:43]
	v_add_f64_e32 v[26:27], v[28:29], v[26:27]
	v_add_f64_e32 v[28:29], v[38:39], v[179:180]
	v_mul_f64_e32 v[32:33], v[24:25], v[42:43]
	v_fma_f64 v[38:39], v[4:5], v[34:35], v[181:182]
	v_fma_f64 v[34:35], v[2:3], v[34:35], -v[36:37]
	v_fma_f64 v[24:25], v[24:25], v[40:41], v[30:31]
	v_add_f64_e32 v[26:27], v[26:27], v[18:19]
	v_add_f64_e32 v[28:29], v[28:29], v[20:21]
	ds_load_b128 v[2:5], v1 offset:1984
	ds_load_b128 v[18:21], v1 offset:2000
	v_fma_f64 v[22:23], v[22:23], v[40:41], -v[32:33]
	s_wait_loadcnt_dscnt 0x201
	v_mul_f64_e32 v[36:37], v[2:3], v[187:188]
	v_mul_f64_e32 v[42:43], v[4:5], v[187:188]
	s_wait_dscnt 0x0
	v_mul_f64_e32 v[30:31], v[18:19], v[8:9]
	v_mul_f64_e32 v[8:9], v[20:21], v[8:9]
	v_add_f64_e32 v[26:27], v[26:27], v[34:35]
	v_add_f64_e32 v[28:29], v[28:29], v[38:39]
	v_fma_f64 v[32:33], v[4:5], v[185:186], v[36:37]
	v_fma_f64 v[34:35], v[2:3], v[185:186], -v[42:43]
	v_fma_f64 v[20:21], v[20:21], v[6:7], v[30:31]
	v_fma_f64 v[6:7], v[18:19], v[6:7], -v[8:9]
	v_add_f64_e32 v[26:27], v[26:27], v[22:23]
	v_add_f64_e32 v[28:29], v[28:29], v[24:25]
	ds_load_b128 v[2:5], v1 offset:2016
	ds_load_b128 v[22:25], v1 offset:2032
	s_wait_loadcnt_dscnt 0x101
	v_mul_f64_e32 v[36:37], v[2:3], v[12:13]
	v_mul_f64_e32 v[12:13], v[4:5], v[12:13]
	v_add_f64_e32 v[8:9], v[26:27], v[34:35]
	v_add_f64_e32 v[18:19], v[28:29], v[32:33]
	s_wait_loadcnt_dscnt 0x0
	v_mul_f64_e32 v[26:27], v[22:23], v[16:17]
	v_mul_f64_e32 v[16:17], v[24:25], v[16:17]
	v_fma_f64 v[4:5], v[4:5], v[10:11], v[36:37]
	v_fma_f64 v[1:2], v[2:3], v[10:11], -v[12:13]
	v_add_f64_e32 v[6:7], v[8:9], v[6:7]
	v_add_f64_e32 v[8:9], v[18:19], v[20:21]
	v_fma_f64 v[10:11], v[24:25], v[14:15], v[26:27]
	v_fma_f64 v[12:13], v[22:23], v[14:15], -v[16:17]
	s_delay_alu instid0(VALU_DEP_4) | instskip(NEXT) | instid1(VALU_DEP_4)
	v_add_f64_e32 v[1:2], v[6:7], v[1:2]
	v_add_f64_e32 v[3:4], v[8:9], v[4:5]
	s_delay_alu instid0(VALU_DEP_2) | instskip(NEXT) | instid1(VALU_DEP_2)
	v_add_f64_e32 v[1:2], v[1:2], v[12:13]
	v_add_f64_e32 v[3:4], v[3:4], v[10:11]
	s_delay_alu instid0(VALU_DEP_2) | instskip(NEXT) | instid1(VALU_DEP_2)
	v_add_f64_e64 v[1:2], v[175:176], -v[1:2]
	v_add_f64_e64 v[3:4], v[177:178], -v[3:4]
	scratch_store_b128 off, v[1:4], off offset:640
	v_cmpx_lt_u32_e32 38, v0
	s_cbranch_execz .LBB63_333
; %bb.332:
	scratch_load_b128 v[1:4], off, s48
	v_mov_b32_e32 v5, 0
	s_delay_alu instid0(VALU_DEP_1)
	v_dual_mov_b32 v6, v5 :: v_dual_mov_b32 v7, v5
	v_mov_b32_e32 v8, v5
	scratch_store_b128 off, v[5:8], off offset:624
	s_wait_loadcnt 0x0
	ds_store_b128 v174, v[1:4]
.LBB63_333:
	s_wait_alu 0xfffe
	s_or_b32 exec_lo, exec_lo, s0
	s_wait_storecnt_dscnt 0x0
	s_barrier_signal -1
	s_barrier_wait -1
	global_inv scope:SCOPE_SE
	s_clause 0x7
	scratch_load_b128 v[2:5], off, off offset:640
	scratch_load_b128 v[6:9], off, off offset:656
	;; [unrolled: 1-line block ×8, first 2 shown]
	v_mov_b32_e32 v1, 0
	s_mov_b32 s0, exec_lo
	ds_load_b128 v[34:37], v1 offset:1648
	s_clause 0x1
	scratch_load_b128 v[38:41], off, off offset:768
	scratch_load_b128 v[42:45], off, off offset:624
	ds_load_b128 v[175:178], v1 offset:1664
	scratch_load_b128 v[179:182], off, off offset:784
	s_wait_loadcnt_dscnt 0xa01
	v_mul_f64_e32 v[183:184], v[36:37], v[4:5]
	v_mul_f64_e32 v[4:5], v[34:35], v[4:5]
	s_delay_alu instid0(VALU_DEP_2) | instskip(NEXT) | instid1(VALU_DEP_2)
	v_fma_f64 v[189:190], v[34:35], v[2:3], -v[183:184]
	v_fma_f64 v[191:192], v[36:37], v[2:3], v[4:5]
	ds_load_b128 v[2:5], v1 offset:1680
	s_wait_loadcnt_dscnt 0x901
	v_mul_f64_e32 v[187:188], v[175:176], v[8:9]
	v_mul_f64_e32 v[8:9], v[177:178], v[8:9]
	scratch_load_b128 v[34:37], off, off offset:800
	ds_load_b128 v[183:186], v1 offset:1696
	s_wait_loadcnt_dscnt 0x901
	v_mul_f64_e32 v[193:194], v[2:3], v[12:13]
	v_mul_f64_e32 v[12:13], v[4:5], v[12:13]
	v_fma_f64 v[177:178], v[177:178], v[6:7], v[187:188]
	v_fma_f64 v[175:176], v[175:176], v[6:7], -v[8:9]
	v_add_f64_e32 v[187:188], 0, v[189:190]
	v_add_f64_e32 v[189:190], 0, v[191:192]
	scratch_load_b128 v[6:9], off, off offset:816
	v_fma_f64 v[193:194], v[4:5], v[10:11], v[193:194]
	v_fma_f64 v[195:196], v[2:3], v[10:11], -v[12:13]
	ds_load_b128 v[2:5], v1 offset:1712
	s_wait_loadcnt_dscnt 0x901
	v_mul_f64_e32 v[191:192], v[183:184], v[16:17]
	v_mul_f64_e32 v[16:17], v[185:186], v[16:17]
	scratch_load_b128 v[10:13], off, off offset:832
	v_add_f64_e32 v[187:188], v[187:188], v[175:176]
	v_add_f64_e32 v[189:190], v[189:190], v[177:178]
	s_wait_loadcnt_dscnt 0x900
	v_mul_f64_e32 v[197:198], v[2:3], v[20:21]
	v_mul_f64_e32 v[20:21], v[4:5], v[20:21]
	ds_load_b128 v[175:178], v1 offset:1728
	v_fma_f64 v[185:186], v[185:186], v[14:15], v[191:192]
	v_fma_f64 v[183:184], v[183:184], v[14:15], -v[16:17]
	scratch_load_b128 v[14:17], off, off offset:848
	v_add_f64_e32 v[187:188], v[187:188], v[195:196]
	v_add_f64_e32 v[189:190], v[189:190], v[193:194]
	v_fma_f64 v[193:194], v[4:5], v[18:19], v[197:198]
	v_fma_f64 v[195:196], v[2:3], v[18:19], -v[20:21]
	ds_load_b128 v[2:5], v1 offset:1744
	s_wait_loadcnt_dscnt 0x901
	v_mul_f64_e32 v[191:192], v[175:176], v[24:25]
	v_mul_f64_e32 v[24:25], v[177:178], v[24:25]
	scratch_load_b128 v[18:21], off, off offset:864
	s_wait_loadcnt_dscnt 0x900
	v_mul_f64_e32 v[197:198], v[2:3], v[28:29]
	v_mul_f64_e32 v[28:29], v[4:5], v[28:29]
	v_add_f64_e32 v[187:188], v[187:188], v[183:184]
	v_add_f64_e32 v[189:190], v[189:190], v[185:186]
	ds_load_b128 v[183:186], v1 offset:1760
	v_fma_f64 v[177:178], v[177:178], v[22:23], v[191:192]
	v_fma_f64 v[175:176], v[175:176], v[22:23], -v[24:25]
	scratch_load_b128 v[22:25], off, off offset:880
	v_add_f64_e32 v[187:188], v[187:188], v[195:196]
	v_add_f64_e32 v[189:190], v[189:190], v[193:194]
	v_fma_f64 v[193:194], v[4:5], v[26:27], v[197:198]
	v_fma_f64 v[195:196], v[2:3], v[26:27], -v[28:29]
	ds_load_b128 v[2:5], v1 offset:1776
	s_wait_loadcnt_dscnt 0x901
	v_mul_f64_e32 v[191:192], v[183:184], v[32:33]
	v_mul_f64_e32 v[32:33], v[185:186], v[32:33]
	scratch_load_b128 v[26:29], off, off offset:896
	s_wait_loadcnt_dscnt 0x900
	v_mul_f64_e32 v[197:198], v[2:3], v[40:41]
	v_mul_f64_e32 v[40:41], v[4:5], v[40:41]
	v_add_f64_e32 v[187:188], v[187:188], v[175:176]
	v_add_f64_e32 v[189:190], v[189:190], v[177:178]
	ds_load_b128 v[175:178], v1 offset:1792
	v_fma_f64 v[185:186], v[185:186], v[30:31], v[191:192]
	v_fma_f64 v[183:184], v[183:184], v[30:31], -v[32:33]
	scratch_load_b128 v[30:33], off, off offset:912
	v_add_f64_e32 v[187:188], v[187:188], v[195:196]
	v_add_f64_e32 v[189:190], v[189:190], v[193:194]
	v_fma_f64 v[195:196], v[4:5], v[38:39], v[197:198]
	v_fma_f64 v[197:198], v[2:3], v[38:39], -v[40:41]
	ds_load_b128 v[2:5], v1 offset:1808
	s_wait_loadcnt_dscnt 0x801
	v_mul_f64_e32 v[191:192], v[175:176], v[181:182]
	v_mul_f64_e32 v[193:194], v[177:178], v[181:182]
	scratch_load_b128 v[38:41], off, off offset:928
	v_add_f64_e32 v[187:188], v[187:188], v[183:184]
	v_add_f64_e32 v[185:186], v[189:190], v[185:186]
	ds_load_b128 v[181:184], v1 offset:1824
	v_fma_f64 v[191:192], v[177:178], v[179:180], v[191:192]
	v_fma_f64 v[179:180], v[175:176], v[179:180], -v[193:194]
	scratch_load_b128 v[175:178], off, off offset:944
	s_wait_loadcnt_dscnt 0x901
	v_mul_f64_e32 v[189:190], v[2:3], v[36:37]
	v_mul_f64_e32 v[36:37], v[4:5], v[36:37]
	v_add_f64_e32 v[187:188], v[187:188], v[197:198]
	v_add_f64_e32 v[185:186], v[185:186], v[195:196]
	s_delay_alu instid0(VALU_DEP_4) | instskip(NEXT) | instid1(VALU_DEP_4)
	v_fma_f64 v[189:190], v[4:5], v[34:35], v[189:190]
	v_fma_f64 v[195:196], v[2:3], v[34:35], -v[36:37]
	ds_load_b128 v[2:5], v1 offset:1840
	s_wait_loadcnt_dscnt 0x801
	v_mul_f64_e32 v[193:194], v[181:182], v[8:9]
	v_mul_f64_e32 v[8:9], v[183:184], v[8:9]
	scratch_load_b128 v[34:37], off, off offset:960
	s_wait_loadcnt_dscnt 0x800
	v_mul_f64_e32 v[197:198], v[2:3], v[12:13]
	v_add_f64_e32 v[179:180], v[187:188], v[179:180]
	v_add_f64_e32 v[191:192], v[185:186], v[191:192]
	v_mul_f64_e32 v[12:13], v[4:5], v[12:13]
	ds_load_b128 v[185:188], v1 offset:1856
	v_fma_f64 v[183:184], v[183:184], v[6:7], v[193:194]
	v_fma_f64 v[181:182], v[181:182], v[6:7], -v[8:9]
	scratch_load_b128 v[6:9], off, off offset:976
	v_fma_f64 v[193:194], v[4:5], v[10:11], v[197:198]
	v_add_f64_e32 v[179:180], v[179:180], v[195:196]
	v_add_f64_e32 v[189:190], v[191:192], v[189:190]
	v_fma_f64 v[195:196], v[2:3], v[10:11], -v[12:13]
	ds_load_b128 v[2:5], v1 offset:1872
	s_wait_loadcnt_dscnt 0x801
	v_mul_f64_e32 v[191:192], v[185:186], v[16:17]
	v_mul_f64_e32 v[16:17], v[187:188], v[16:17]
	scratch_load_b128 v[10:13], off, off offset:992
	v_add_f64_e32 v[197:198], v[179:180], v[181:182]
	v_add_f64_e32 v[183:184], v[189:190], v[183:184]
	s_wait_loadcnt_dscnt 0x800
	v_mul_f64_e32 v[189:190], v[2:3], v[20:21]
	v_mul_f64_e32 v[20:21], v[4:5], v[20:21]
	v_fma_f64 v[187:188], v[187:188], v[14:15], v[191:192]
	v_fma_f64 v[185:186], v[185:186], v[14:15], -v[16:17]
	ds_load_b128 v[179:182], v1 offset:1888
	scratch_load_b128 v[14:17], off, off offset:1008
	v_add_f64_e32 v[191:192], v[197:198], v[195:196]
	v_add_f64_e32 v[183:184], v[183:184], v[193:194]
	v_fma_f64 v[189:190], v[4:5], v[18:19], v[189:190]
	v_fma_f64 v[195:196], v[2:3], v[18:19], -v[20:21]
	ds_load_b128 v[2:5], v1 offset:1904
	s_wait_loadcnt_dscnt 0x801
	v_mul_f64_e32 v[193:194], v[179:180], v[24:25]
	v_mul_f64_e32 v[24:25], v[181:182], v[24:25]
	scratch_load_b128 v[18:21], off, off offset:1024
	s_wait_loadcnt_dscnt 0x800
	v_mul_f64_e32 v[197:198], v[2:3], v[28:29]
	v_mul_f64_e32 v[28:29], v[4:5], v[28:29]
	v_add_f64_e32 v[191:192], v[191:192], v[185:186]
	v_add_f64_e32 v[187:188], v[183:184], v[187:188]
	ds_load_b128 v[183:186], v1 offset:1920
	v_fma_f64 v[181:182], v[181:182], v[22:23], v[193:194]
	v_fma_f64 v[22:23], v[179:180], v[22:23], -v[24:25]
	v_add_f64_e32 v[24:25], v[191:192], v[195:196]
	v_add_f64_e32 v[179:180], v[187:188], v[189:190]
	s_wait_loadcnt_dscnt 0x700
	v_mul_f64_e32 v[187:188], v[183:184], v[32:33]
	v_mul_f64_e32 v[32:33], v[185:186], v[32:33]
	v_fma_f64 v[189:190], v[4:5], v[26:27], v[197:198]
	v_fma_f64 v[26:27], v[2:3], v[26:27], -v[28:29]
	v_add_f64_e32 v[28:29], v[24:25], v[22:23]
	v_add_f64_e32 v[179:180], v[179:180], v[181:182]
	ds_load_b128 v[2:5], v1 offset:1936
	ds_load_b128 v[22:25], v1 offset:1952
	v_fma_f64 v[185:186], v[185:186], v[30:31], v[187:188]
	v_fma_f64 v[30:31], v[183:184], v[30:31], -v[32:33]
	s_wait_loadcnt_dscnt 0x601
	v_mul_f64_e32 v[181:182], v[2:3], v[40:41]
	v_mul_f64_e32 v[40:41], v[4:5], v[40:41]
	s_wait_loadcnt_dscnt 0x500
	v_mul_f64_e32 v[32:33], v[22:23], v[177:178]
	v_mul_f64_e32 v[177:178], v[24:25], v[177:178]
	v_add_f64_e32 v[26:27], v[28:29], v[26:27]
	v_add_f64_e32 v[28:29], v[179:180], v[189:190]
	v_fma_f64 v[179:180], v[4:5], v[38:39], v[181:182]
	v_fma_f64 v[38:39], v[2:3], v[38:39], -v[40:41]
	v_fma_f64 v[24:25], v[24:25], v[175:176], v[32:33]
	v_fma_f64 v[22:23], v[22:23], v[175:176], -v[177:178]
	v_add_f64_e32 v[30:31], v[26:27], v[30:31]
	v_add_f64_e32 v[40:41], v[28:29], v[185:186]
	ds_load_b128 v[2:5], v1 offset:1968
	ds_load_b128 v[26:29], v1 offset:1984
	s_wait_loadcnt_dscnt 0x401
	v_mul_f64_e32 v[181:182], v[2:3], v[36:37]
	v_mul_f64_e32 v[36:37], v[4:5], v[36:37]
	v_add_f64_e32 v[30:31], v[30:31], v[38:39]
	v_add_f64_e32 v[32:33], v[40:41], v[179:180]
	s_wait_loadcnt_dscnt 0x300
	v_mul_f64_e32 v[38:39], v[26:27], v[8:9]
	v_mul_f64_e32 v[8:9], v[28:29], v[8:9]
	v_fma_f64 v[40:41], v[4:5], v[34:35], v[181:182]
	v_fma_f64 v[34:35], v[2:3], v[34:35], -v[36:37]
	v_add_f64_e32 v[30:31], v[30:31], v[22:23]
	v_add_f64_e32 v[32:33], v[32:33], v[24:25]
	ds_load_b128 v[2:5], v1 offset:2000
	ds_load_b128 v[22:25], v1 offset:2016
	v_fma_f64 v[28:29], v[28:29], v[6:7], v[38:39]
	v_fma_f64 v[6:7], v[26:27], v[6:7], -v[8:9]
	s_wait_loadcnt_dscnt 0x201
	v_mul_f64_e32 v[36:37], v[2:3], v[12:13]
	v_mul_f64_e32 v[12:13], v[4:5], v[12:13]
	v_add_f64_e32 v[8:9], v[30:31], v[34:35]
	v_add_f64_e32 v[26:27], v[32:33], v[40:41]
	s_wait_loadcnt_dscnt 0x100
	v_mul_f64_e32 v[30:31], v[22:23], v[16:17]
	v_mul_f64_e32 v[16:17], v[24:25], v[16:17]
	v_fma_f64 v[32:33], v[4:5], v[10:11], v[36:37]
	v_fma_f64 v[10:11], v[2:3], v[10:11], -v[12:13]
	ds_load_b128 v[2:5], v1 offset:2032
	v_add_f64_e32 v[6:7], v[8:9], v[6:7]
	v_add_f64_e32 v[8:9], v[26:27], v[28:29]
	v_fma_f64 v[24:25], v[24:25], v[14:15], v[30:31]
	v_fma_f64 v[14:15], v[22:23], v[14:15], -v[16:17]
	s_wait_loadcnt_dscnt 0x0
	v_mul_f64_e32 v[12:13], v[2:3], v[20:21]
	v_mul_f64_e32 v[20:21], v[4:5], v[20:21]
	v_add_f64_e32 v[6:7], v[6:7], v[10:11]
	v_add_f64_e32 v[8:9], v[8:9], v[32:33]
	s_delay_alu instid0(VALU_DEP_4) | instskip(NEXT) | instid1(VALU_DEP_4)
	v_fma_f64 v[4:5], v[4:5], v[18:19], v[12:13]
	v_fma_f64 v[2:3], v[2:3], v[18:19], -v[20:21]
	s_delay_alu instid0(VALU_DEP_4) | instskip(NEXT) | instid1(VALU_DEP_4)
	v_add_f64_e32 v[6:7], v[6:7], v[14:15]
	v_add_f64_e32 v[8:9], v[8:9], v[24:25]
	s_delay_alu instid0(VALU_DEP_2) | instskip(NEXT) | instid1(VALU_DEP_2)
	v_add_f64_e32 v[2:3], v[6:7], v[2:3]
	v_add_f64_e32 v[4:5], v[8:9], v[4:5]
	s_delay_alu instid0(VALU_DEP_2) | instskip(NEXT) | instid1(VALU_DEP_2)
	v_add_f64_e64 v[2:3], v[42:43], -v[2:3]
	v_add_f64_e64 v[4:5], v[44:45], -v[4:5]
	scratch_store_b128 off, v[2:5], off offset:624
	v_cmpx_lt_u32_e32 37, v0
	s_cbranch_execz .LBB63_335
; %bb.334:
	scratch_load_b128 v[5:8], off, s47
	v_dual_mov_b32 v2, v1 :: v_dual_mov_b32 v3, v1
	v_mov_b32_e32 v4, v1
	scratch_store_b128 off, v[1:4], off offset:608
	s_wait_loadcnt 0x0
	ds_store_b128 v174, v[5:8]
.LBB63_335:
	s_wait_alu 0xfffe
	s_or_b32 exec_lo, exec_lo, s0
	s_wait_storecnt_dscnt 0x0
	s_barrier_signal -1
	s_barrier_wait -1
	global_inv scope:SCOPE_SE
	s_clause 0x8
	scratch_load_b128 v[2:5], off, off offset:624
	scratch_load_b128 v[6:9], off, off offset:640
	;; [unrolled: 1-line block ×9, first 2 shown]
	ds_load_b128 v[38:41], v1 offset:1632
	ds_load_b128 v[42:45], v1 offset:1648
	s_clause 0x1
	scratch_load_b128 v[175:178], off, off offset:608
	scratch_load_b128 v[179:182], off, off offset:768
	s_mov_b32 s0, exec_lo
	s_wait_loadcnt_dscnt 0xa01
	v_mul_f64_e32 v[183:184], v[40:41], v[4:5]
	v_mul_f64_e32 v[4:5], v[38:39], v[4:5]
	s_wait_loadcnt_dscnt 0x900
	v_mul_f64_e32 v[187:188], v[42:43], v[8:9]
	v_mul_f64_e32 v[8:9], v[44:45], v[8:9]
	s_delay_alu instid0(VALU_DEP_4) | instskip(NEXT) | instid1(VALU_DEP_4)
	v_fma_f64 v[189:190], v[38:39], v[2:3], -v[183:184]
	v_fma_f64 v[191:192], v[40:41], v[2:3], v[4:5]
	ds_load_b128 v[2:5], v1 offset:1664
	ds_load_b128 v[183:186], v1 offset:1680
	scratch_load_b128 v[38:41], off, off offset:784
	v_fma_f64 v[44:45], v[44:45], v[6:7], v[187:188]
	v_fma_f64 v[42:43], v[42:43], v[6:7], -v[8:9]
	scratch_load_b128 v[6:9], off, off offset:800
	s_wait_loadcnt_dscnt 0xa01
	v_mul_f64_e32 v[193:194], v[2:3], v[12:13]
	v_mul_f64_e32 v[12:13], v[4:5], v[12:13]
	v_add_f64_e32 v[187:188], 0, v[189:190]
	v_add_f64_e32 v[189:190], 0, v[191:192]
	s_wait_loadcnt_dscnt 0x900
	v_mul_f64_e32 v[191:192], v[183:184], v[16:17]
	v_mul_f64_e32 v[16:17], v[185:186], v[16:17]
	v_fma_f64 v[193:194], v[4:5], v[10:11], v[193:194]
	v_fma_f64 v[195:196], v[2:3], v[10:11], -v[12:13]
	ds_load_b128 v[2:5], v1 offset:1696
	scratch_load_b128 v[10:13], off, off offset:816
	v_add_f64_e32 v[187:188], v[187:188], v[42:43]
	v_add_f64_e32 v[189:190], v[189:190], v[44:45]
	ds_load_b128 v[42:45], v1 offset:1712
	v_fma_f64 v[185:186], v[185:186], v[14:15], v[191:192]
	v_fma_f64 v[183:184], v[183:184], v[14:15], -v[16:17]
	scratch_load_b128 v[14:17], off, off offset:832
	s_wait_loadcnt_dscnt 0xa01
	v_mul_f64_e32 v[197:198], v[2:3], v[20:21]
	v_mul_f64_e32 v[20:21], v[4:5], v[20:21]
	s_wait_loadcnt_dscnt 0x900
	v_mul_f64_e32 v[191:192], v[42:43], v[24:25]
	v_mul_f64_e32 v[24:25], v[44:45], v[24:25]
	v_add_f64_e32 v[187:188], v[187:188], v[195:196]
	v_add_f64_e32 v[189:190], v[189:190], v[193:194]
	v_fma_f64 v[193:194], v[4:5], v[18:19], v[197:198]
	v_fma_f64 v[195:196], v[2:3], v[18:19], -v[20:21]
	ds_load_b128 v[2:5], v1 offset:1728
	scratch_load_b128 v[18:21], off, off offset:848
	v_fma_f64 v[44:45], v[44:45], v[22:23], v[191:192]
	v_fma_f64 v[42:43], v[42:43], v[22:23], -v[24:25]
	scratch_load_b128 v[22:25], off, off offset:864
	v_add_f64_e32 v[187:188], v[187:188], v[183:184]
	v_add_f64_e32 v[189:190], v[189:190], v[185:186]
	ds_load_b128 v[183:186], v1 offset:1744
	s_wait_loadcnt_dscnt 0xa01
	v_mul_f64_e32 v[197:198], v[2:3], v[28:29]
	v_mul_f64_e32 v[28:29], v[4:5], v[28:29]
	s_wait_loadcnt_dscnt 0x900
	v_mul_f64_e32 v[191:192], v[183:184], v[32:33]
	v_mul_f64_e32 v[32:33], v[185:186], v[32:33]
	v_add_f64_e32 v[187:188], v[187:188], v[195:196]
	v_add_f64_e32 v[189:190], v[189:190], v[193:194]
	v_fma_f64 v[193:194], v[4:5], v[26:27], v[197:198]
	v_fma_f64 v[195:196], v[2:3], v[26:27], -v[28:29]
	ds_load_b128 v[2:5], v1 offset:1760
	scratch_load_b128 v[26:29], off, off offset:880
	v_fma_f64 v[185:186], v[185:186], v[30:31], v[191:192]
	v_fma_f64 v[183:184], v[183:184], v[30:31], -v[32:33]
	scratch_load_b128 v[30:33], off, off offset:896
	v_add_f64_e32 v[187:188], v[187:188], v[42:43]
	v_add_f64_e32 v[189:190], v[189:190], v[44:45]
	ds_load_b128 v[42:45], v1 offset:1776
	s_wait_loadcnt_dscnt 0xa01
	v_mul_f64_e32 v[197:198], v[2:3], v[36:37]
	v_mul_f64_e32 v[36:37], v[4:5], v[36:37]
	s_wait_loadcnt_dscnt 0x800
	v_mul_f64_e32 v[191:192], v[42:43], v[181:182]
	v_add_f64_e32 v[187:188], v[187:188], v[195:196]
	v_add_f64_e32 v[189:190], v[189:190], v[193:194]
	v_mul_f64_e32 v[193:194], v[44:45], v[181:182]
	v_fma_f64 v[195:196], v[4:5], v[34:35], v[197:198]
	v_fma_f64 v[197:198], v[2:3], v[34:35], -v[36:37]
	ds_load_b128 v[2:5], v1 offset:1792
	scratch_load_b128 v[34:37], off, off offset:912
	v_fma_f64 v[44:45], v[44:45], v[179:180], v[191:192]
	v_add_f64_e32 v[187:188], v[187:188], v[183:184]
	v_add_f64_e32 v[185:186], v[189:190], v[185:186]
	ds_load_b128 v[181:184], v1 offset:1808
	v_fma_f64 v[179:180], v[42:43], v[179:180], -v[193:194]
	s_wait_loadcnt_dscnt 0x801
	v_mul_f64_e32 v[189:190], v[2:3], v[40:41]
	v_mul_f64_e32 v[199:200], v[4:5], v[40:41]
	scratch_load_b128 v[40:43], off, off offset:928
	s_wait_loadcnt_dscnt 0x800
	v_mul_f64_e32 v[193:194], v[181:182], v[8:9]
	v_mul_f64_e32 v[8:9], v[183:184], v[8:9]
	v_add_f64_e32 v[187:188], v[187:188], v[197:198]
	v_add_f64_e32 v[185:186], v[185:186], v[195:196]
	v_fma_f64 v[195:196], v[4:5], v[38:39], v[189:190]
	v_fma_f64 v[38:39], v[2:3], v[38:39], -v[199:200]
	ds_load_b128 v[2:5], v1 offset:1824
	ds_load_b128 v[189:192], v1 offset:1840
	v_fma_f64 v[183:184], v[183:184], v[6:7], v[193:194]
	v_fma_f64 v[181:182], v[181:182], v[6:7], -v[8:9]
	scratch_load_b128 v[6:9], off, off offset:960
	v_add_f64_e32 v[179:180], v[187:188], v[179:180]
	v_add_f64_e32 v[44:45], v[185:186], v[44:45]
	scratch_load_b128 v[185:188], off, off offset:944
	s_wait_loadcnt_dscnt 0x901
	v_mul_f64_e32 v[197:198], v[2:3], v[12:13]
	v_mul_f64_e32 v[12:13], v[4:5], v[12:13]
	s_wait_loadcnt_dscnt 0x800
	v_mul_f64_e32 v[193:194], v[189:190], v[16:17]
	v_mul_f64_e32 v[16:17], v[191:192], v[16:17]
	v_add_f64_e32 v[38:39], v[179:180], v[38:39]
	v_add_f64_e32 v[44:45], v[44:45], v[195:196]
	v_fma_f64 v[195:196], v[4:5], v[10:11], v[197:198]
	v_fma_f64 v[197:198], v[2:3], v[10:11], -v[12:13]
	ds_load_b128 v[2:5], v1 offset:1856
	scratch_load_b128 v[10:13], off, off offset:976
	v_fma_f64 v[191:192], v[191:192], v[14:15], v[193:194]
	v_fma_f64 v[189:190], v[189:190], v[14:15], -v[16:17]
	scratch_load_b128 v[14:17], off, off offset:992
	v_add_f64_e32 v[38:39], v[38:39], v[181:182]
	v_add_f64_e32 v[44:45], v[44:45], v[183:184]
	ds_load_b128 v[179:182], v1 offset:1872
	s_wait_loadcnt_dscnt 0x901
	v_mul_f64_e32 v[183:184], v[2:3], v[20:21]
	v_mul_f64_e32 v[20:21], v[4:5], v[20:21]
	s_wait_loadcnt_dscnt 0x800
	v_mul_f64_e32 v[193:194], v[179:180], v[24:25]
	v_mul_f64_e32 v[24:25], v[181:182], v[24:25]
	v_add_f64_e32 v[38:39], v[38:39], v[197:198]
	v_add_f64_e32 v[44:45], v[44:45], v[195:196]
	v_fma_f64 v[183:184], v[4:5], v[18:19], v[183:184]
	v_fma_f64 v[195:196], v[2:3], v[18:19], -v[20:21]
	ds_load_b128 v[2:5], v1 offset:1888
	scratch_load_b128 v[18:21], off, off offset:1008
	v_fma_f64 v[181:182], v[181:182], v[22:23], v[193:194]
	v_fma_f64 v[179:180], v[179:180], v[22:23], -v[24:25]
	scratch_load_b128 v[22:25], off, off offset:1024
	v_add_f64_e32 v[38:39], v[38:39], v[189:190]
	v_add_f64_e32 v[44:45], v[44:45], v[191:192]
	ds_load_b128 v[189:192], v1 offset:1904
	s_wait_loadcnt_dscnt 0x901
	v_mul_f64_e32 v[197:198], v[2:3], v[28:29]
	v_mul_f64_e32 v[28:29], v[4:5], v[28:29]
	v_add_f64_e32 v[38:39], v[38:39], v[195:196]
	v_add_f64_e32 v[44:45], v[44:45], v[183:184]
	s_wait_loadcnt_dscnt 0x800
	v_mul_f64_e32 v[183:184], v[189:190], v[32:33]
	v_mul_f64_e32 v[32:33], v[191:192], v[32:33]
	v_fma_f64 v[193:194], v[4:5], v[26:27], v[197:198]
	v_fma_f64 v[195:196], v[2:3], v[26:27], -v[28:29]
	ds_load_b128 v[2:5], v1 offset:1920
	ds_load_b128 v[26:29], v1 offset:1936
	v_add_f64_e32 v[38:39], v[38:39], v[179:180]
	v_add_f64_e32 v[44:45], v[44:45], v[181:182]
	s_wait_loadcnt_dscnt 0x701
	v_mul_f64_e32 v[179:180], v[2:3], v[36:37]
	v_mul_f64_e32 v[36:37], v[4:5], v[36:37]
	v_fma_f64 v[181:182], v[191:192], v[30:31], v[183:184]
	v_fma_f64 v[30:31], v[189:190], v[30:31], -v[32:33]
	v_add_f64_e32 v[32:33], v[38:39], v[195:196]
	v_add_f64_e32 v[38:39], v[44:45], v[193:194]
	s_wait_loadcnt_dscnt 0x600
	v_mul_f64_e32 v[44:45], v[26:27], v[42:43]
	v_mul_f64_e32 v[42:43], v[28:29], v[42:43]
	v_fma_f64 v[179:180], v[4:5], v[34:35], v[179:180]
	v_fma_f64 v[34:35], v[2:3], v[34:35], -v[36:37]
	v_add_f64_e32 v[36:37], v[32:33], v[30:31]
	v_add_f64_e32 v[38:39], v[38:39], v[181:182]
	ds_load_b128 v[2:5], v1 offset:1952
	ds_load_b128 v[30:33], v1 offset:1968
	v_fma_f64 v[28:29], v[28:29], v[40:41], v[44:45]
	v_fma_f64 v[26:27], v[26:27], v[40:41], -v[42:43]
	s_wait_loadcnt_dscnt 0x401
	v_mul_f64_e32 v[181:182], v[2:3], v[187:188]
	v_mul_f64_e32 v[183:184], v[4:5], v[187:188]
	v_add_f64_e32 v[34:35], v[36:37], v[34:35]
	v_add_f64_e32 v[36:37], v[38:39], v[179:180]
	s_wait_dscnt 0x0
	v_mul_f64_e32 v[38:39], v[30:31], v[8:9]
	v_mul_f64_e32 v[8:9], v[32:33], v[8:9]
	v_fma_f64 v[40:41], v[4:5], v[185:186], v[181:182]
	v_fma_f64 v[42:43], v[2:3], v[185:186], -v[183:184]
	v_add_f64_e32 v[34:35], v[34:35], v[26:27]
	v_add_f64_e32 v[36:37], v[36:37], v[28:29]
	ds_load_b128 v[2:5], v1 offset:1984
	ds_load_b128 v[26:29], v1 offset:2000
	v_fma_f64 v[32:33], v[32:33], v[6:7], v[38:39]
	v_fma_f64 v[6:7], v[30:31], v[6:7], -v[8:9]
	s_wait_loadcnt_dscnt 0x301
	v_mul_f64_e32 v[44:45], v[2:3], v[12:13]
	v_mul_f64_e32 v[12:13], v[4:5], v[12:13]
	v_add_f64_e32 v[8:9], v[34:35], v[42:43]
	v_add_f64_e32 v[30:31], v[36:37], v[40:41]
	s_wait_loadcnt_dscnt 0x200
	v_mul_f64_e32 v[34:35], v[26:27], v[16:17]
	v_mul_f64_e32 v[16:17], v[28:29], v[16:17]
	v_fma_f64 v[36:37], v[4:5], v[10:11], v[44:45]
	v_fma_f64 v[10:11], v[2:3], v[10:11], -v[12:13]
	v_add_f64_e32 v[12:13], v[8:9], v[6:7]
	v_add_f64_e32 v[30:31], v[30:31], v[32:33]
	ds_load_b128 v[2:5], v1 offset:2016
	ds_load_b128 v[6:9], v1 offset:2032
	v_fma_f64 v[28:29], v[28:29], v[14:15], v[34:35]
	v_fma_f64 v[14:15], v[26:27], v[14:15], -v[16:17]
	s_wait_loadcnt_dscnt 0x101
	v_mul_f64_e32 v[32:33], v[2:3], v[20:21]
	v_mul_f64_e32 v[20:21], v[4:5], v[20:21]
	s_wait_loadcnt_dscnt 0x0
	v_mul_f64_e32 v[16:17], v[6:7], v[24:25]
	v_mul_f64_e32 v[24:25], v[8:9], v[24:25]
	v_add_f64_e32 v[10:11], v[12:13], v[10:11]
	v_add_f64_e32 v[12:13], v[30:31], v[36:37]
	v_fma_f64 v[4:5], v[4:5], v[18:19], v[32:33]
	v_fma_f64 v[1:2], v[2:3], v[18:19], -v[20:21]
	v_fma_f64 v[8:9], v[8:9], v[22:23], v[16:17]
	v_fma_f64 v[6:7], v[6:7], v[22:23], -v[24:25]
	v_add_f64_e32 v[10:11], v[10:11], v[14:15]
	v_add_f64_e32 v[12:13], v[12:13], v[28:29]
	s_delay_alu instid0(VALU_DEP_2) | instskip(NEXT) | instid1(VALU_DEP_2)
	v_add_f64_e32 v[1:2], v[10:11], v[1:2]
	v_add_f64_e32 v[3:4], v[12:13], v[4:5]
	s_delay_alu instid0(VALU_DEP_2) | instskip(NEXT) | instid1(VALU_DEP_2)
	;; [unrolled: 3-line block ×3, first 2 shown]
	v_add_f64_e64 v[1:2], v[175:176], -v[1:2]
	v_add_f64_e64 v[3:4], v[177:178], -v[3:4]
	scratch_store_b128 off, v[1:4], off offset:608
	v_cmpx_lt_u32_e32 36, v0
	s_cbranch_execz .LBB63_337
; %bb.336:
	scratch_load_b128 v[1:4], off, s51
	v_mov_b32_e32 v5, 0
	s_delay_alu instid0(VALU_DEP_1)
	v_dual_mov_b32 v6, v5 :: v_dual_mov_b32 v7, v5
	v_mov_b32_e32 v8, v5
	scratch_store_b128 off, v[5:8], off offset:592
	s_wait_loadcnt 0x0
	ds_store_b128 v174, v[1:4]
.LBB63_337:
	s_wait_alu 0xfffe
	s_or_b32 exec_lo, exec_lo, s0
	s_wait_storecnt_dscnt 0x0
	s_barrier_signal -1
	s_barrier_wait -1
	global_inv scope:SCOPE_SE
	s_clause 0x7
	scratch_load_b128 v[2:5], off, off offset:608
	scratch_load_b128 v[6:9], off, off offset:624
	;; [unrolled: 1-line block ×8, first 2 shown]
	v_mov_b32_e32 v1, 0
	s_mov_b32 s0, exec_lo
	ds_load_b128 v[34:37], v1 offset:1616
	s_clause 0x1
	scratch_load_b128 v[38:41], off, off offset:736
	scratch_load_b128 v[42:45], off, off offset:592
	ds_load_b128 v[175:178], v1 offset:1632
	scratch_load_b128 v[179:182], off, off offset:752
	s_wait_loadcnt_dscnt 0xa01
	v_mul_f64_e32 v[183:184], v[36:37], v[4:5]
	v_mul_f64_e32 v[4:5], v[34:35], v[4:5]
	s_delay_alu instid0(VALU_DEP_2) | instskip(NEXT) | instid1(VALU_DEP_2)
	v_fma_f64 v[189:190], v[34:35], v[2:3], -v[183:184]
	v_fma_f64 v[191:192], v[36:37], v[2:3], v[4:5]
	ds_load_b128 v[2:5], v1 offset:1648
	s_wait_loadcnt_dscnt 0x901
	v_mul_f64_e32 v[187:188], v[175:176], v[8:9]
	v_mul_f64_e32 v[8:9], v[177:178], v[8:9]
	scratch_load_b128 v[34:37], off, off offset:768
	ds_load_b128 v[183:186], v1 offset:1664
	s_wait_loadcnt_dscnt 0x901
	v_mul_f64_e32 v[193:194], v[2:3], v[12:13]
	v_mul_f64_e32 v[12:13], v[4:5], v[12:13]
	v_fma_f64 v[177:178], v[177:178], v[6:7], v[187:188]
	v_fma_f64 v[175:176], v[175:176], v[6:7], -v[8:9]
	v_add_f64_e32 v[187:188], 0, v[189:190]
	v_add_f64_e32 v[189:190], 0, v[191:192]
	scratch_load_b128 v[6:9], off, off offset:784
	v_fma_f64 v[193:194], v[4:5], v[10:11], v[193:194]
	v_fma_f64 v[195:196], v[2:3], v[10:11], -v[12:13]
	ds_load_b128 v[2:5], v1 offset:1680
	s_wait_loadcnt_dscnt 0x901
	v_mul_f64_e32 v[191:192], v[183:184], v[16:17]
	v_mul_f64_e32 v[16:17], v[185:186], v[16:17]
	scratch_load_b128 v[10:13], off, off offset:800
	v_add_f64_e32 v[187:188], v[187:188], v[175:176]
	v_add_f64_e32 v[189:190], v[189:190], v[177:178]
	s_wait_loadcnt_dscnt 0x900
	v_mul_f64_e32 v[197:198], v[2:3], v[20:21]
	v_mul_f64_e32 v[20:21], v[4:5], v[20:21]
	ds_load_b128 v[175:178], v1 offset:1696
	v_fma_f64 v[185:186], v[185:186], v[14:15], v[191:192]
	v_fma_f64 v[183:184], v[183:184], v[14:15], -v[16:17]
	scratch_load_b128 v[14:17], off, off offset:816
	v_add_f64_e32 v[187:188], v[187:188], v[195:196]
	v_add_f64_e32 v[189:190], v[189:190], v[193:194]
	v_fma_f64 v[193:194], v[4:5], v[18:19], v[197:198]
	v_fma_f64 v[195:196], v[2:3], v[18:19], -v[20:21]
	ds_load_b128 v[2:5], v1 offset:1712
	s_wait_loadcnt_dscnt 0x901
	v_mul_f64_e32 v[191:192], v[175:176], v[24:25]
	v_mul_f64_e32 v[24:25], v[177:178], v[24:25]
	scratch_load_b128 v[18:21], off, off offset:832
	s_wait_loadcnt_dscnt 0x900
	v_mul_f64_e32 v[197:198], v[2:3], v[28:29]
	v_mul_f64_e32 v[28:29], v[4:5], v[28:29]
	v_add_f64_e32 v[187:188], v[187:188], v[183:184]
	v_add_f64_e32 v[189:190], v[189:190], v[185:186]
	ds_load_b128 v[183:186], v1 offset:1728
	v_fma_f64 v[177:178], v[177:178], v[22:23], v[191:192]
	v_fma_f64 v[175:176], v[175:176], v[22:23], -v[24:25]
	scratch_load_b128 v[22:25], off, off offset:848
	v_add_f64_e32 v[187:188], v[187:188], v[195:196]
	v_add_f64_e32 v[189:190], v[189:190], v[193:194]
	v_fma_f64 v[193:194], v[4:5], v[26:27], v[197:198]
	v_fma_f64 v[195:196], v[2:3], v[26:27], -v[28:29]
	ds_load_b128 v[2:5], v1 offset:1744
	s_wait_loadcnt_dscnt 0x901
	v_mul_f64_e32 v[191:192], v[183:184], v[32:33]
	v_mul_f64_e32 v[32:33], v[185:186], v[32:33]
	scratch_load_b128 v[26:29], off, off offset:864
	s_wait_loadcnt_dscnt 0x900
	v_mul_f64_e32 v[197:198], v[2:3], v[40:41]
	v_mul_f64_e32 v[40:41], v[4:5], v[40:41]
	v_add_f64_e32 v[187:188], v[187:188], v[175:176]
	v_add_f64_e32 v[189:190], v[189:190], v[177:178]
	ds_load_b128 v[175:178], v1 offset:1760
	v_fma_f64 v[185:186], v[185:186], v[30:31], v[191:192]
	v_fma_f64 v[183:184], v[183:184], v[30:31], -v[32:33]
	scratch_load_b128 v[30:33], off, off offset:880
	v_add_f64_e32 v[187:188], v[187:188], v[195:196]
	v_add_f64_e32 v[189:190], v[189:190], v[193:194]
	v_fma_f64 v[195:196], v[4:5], v[38:39], v[197:198]
	v_fma_f64 v[197:198], v[2:3], v[38:39], -v[40:41]
	ds_load_b128 v[2:5], v1 offset:1776
	s_wait_loadcnt_dscnt 0x801
	v_mul_f64_e32 v[191:192], v[175:176], v[181:182]
	v_mul_f64_e32 v[193:194], v[177:178], v[181:182]
	scratch_load_b128 v[38:41], off, off offset:896
	v_add_f64_e32 v[187:188], v[187:188], v[183:184]
	v_add_f64_e32 v[185:186], v[189:190], v[185:186]
	ds_load_b128 v[181:184], v1 offset:1792
	v_fma_f64 v[191:192], v[177:178], v[179:180], v[191:192]
	v_fma_f64 v[179:180], v[175:176], v[179:180], -v[193:194]
	scratch_load_b128 v[175:178], off, off offset:912
	s_wait_loadcnt_dscnt 0x901
	v_mul_f64_e32 v[189:190], v[2:3], v[36:37]
	v_mul_f64_e32 v[36:37], v[4:5], v[36:37]
	v_add_f64_e32 v[187:188], v[187:188], v[197:198]
	v_add_f64_e32 v[185:186], v[185:186], v[195:196]
	s_delay_alu instid0(VALU_DEP_4) | instskip(NEXT) | instid1(VALU_DEP_4)
	v_fma_f64 v[189:190], v[4:5], v[34:35], v[189:190]
	v_fma_f64 v[195:196], v[2:3], v[34:35], -v[36:37]
	ds_load_b128 v[2:5], v1 offset:1808
	s_wait_loadcnt_dscnt 0x801
	v_mul_f64_e32 v[193:194], v[181:182], v[8:9]
	v_mul_f64_e32 v[8:9], v[183:184], v[8:9]
	scratch_load_b128 v[34:37], off, off offset:928
	s_wait_loadcnt_dscnt 0x800
	v_mul_f64_e32 v[197:198], v[2:3], v[12:13]
	v_add_f64_e32 v[179:180], v[187:188], v[179:180]
	v_add_f64_e32 v[191:192], v[185:186], v[191:192]
	v_mul_f64_e32 v[12:13], v[4:5], v[12:13]
	ds_load_b128 v[185:188], v1 offset:1824
	v_fma_f64 v[183:184], v[183:184], v[6:7], v[193:194]
	v_fma_f64 v[181:182], v[181:182], v[6:7], -v[8:9]
	scratch_load_b128 v[6:9], off, off offset:944
	v_fma_f64 v[193:194], v[4:5], v[10:11], v[197:198]
	v_add_f64_e32 v[179:180], v[179:180], v[195:196]
	v_add_f64_e32 v[189:190], v[191:192], v[189:190]
	v_fma_f64 v[195:196], v[2:3], v[10:11], -v[12:13]
	ds_load_b128 v[2:5], v1 offset:1840
	s_wait_loadcnt_dscnt 0x801
	v_mul_f64_e32 v[191:192], v[185:186], v[16:17]
	v_mul_f64_e32 v[16:17], v[187:188], v[16:17]
	scratch_load_b128 v[10:13], off, off offset:960
	v_add_f64_e32 v[197:198], v[179:180], v[181:182]
	v_add_f64_e32 v[183:184], v[189:190], v[183:184]
	s_wait_loadcnt_dscnt 0x800
	v_mul_f64_e32 v[189:190], v[2:3], v[20:21]
	v_mul_f64_e32 v[20:21], v[4:5], v[20:21]
	v_fma_f64 v[187:188], v[187:188], v[14:15], v[191:192]
	v_fma_f64 v[185:186], v[185:186], v[14:15], -v[16:17]
	ds_load_b128 v[179:182], v1 offset:1856
	scratch_load_b128 v[14:17], off, off offset:976
	v_add_f64_e32 v[191:192], v[197:198], v[195:196]
	v_add_f64_e32 v[183:184], v[183:184], v[193:194]
	v_fma_f64 v[189:190], v[4:5], v[18:19], v[189:190]
	v_fma_f64 v[195:196], v[2:3], v[18:19], -v[20:21]
	ds_load_b128 v[2:5], v1 offset:1872
	s_wait_loadcnt_dscnt 0x801
	v_mul_f64_e32 v[193:194], v[179:180], v[24:25]
	v_mul_f64_e32 v[24:25], v[181:182], v[24:25]
	scratch_load_b128 v[18:21], off, off offset:992
	s_wait_loadcnt_dscnt 0x800
	v_mul_f64_e32 v[197:198], v[2:3], v[28:29]
	v_mul_f64_e32 v[28:29], v[4:5], v[28:29]
	v_add_f64_e32 v[191:192], v[191:192], v[185:186]
	v_add_f64_e32 v[187:188], v[183:184], v[187:188]
	ds_load_b128 v[183:186], v1 offset:1888
	v_fma_f64 v[181:182], v[181:182], v[22:23], v[193:194]
	v_fma_f64 v[179:180], v[179:180], v[22:23], -v[24:25]
	scratch_load_b128 v[22:25], off, off offset:1008
	v_fma_f64 v[193:194], v[4:5], v[26:27], v[197:198]
	v_add_f64_e32 v[191:192], v[191:192], v[195:196]
	v_add_f64_e32 v[187:188], v[187:188], v[189:190]
	v_fma_f64 v[195:196], v[2:3], v[26:27], -v[28:29]
	ds_load_b128 v[2:5], v1 offset:1904
	s_wait_loadcnt_dscnt 0x801
	v_mul_f64_e32 v[189:190], v[183:184], v[32:33]
	v_mul_f64_e32 v[32:33], v[185:186], v[32:33]
	scratch_load_b128 v[26:29], off, off offset:1024
	s_wait_loadcnt_dscnt 0x800
	v_mul_f64_e32 v[197:198], v[2:3], v[40:41]
	v_mul_f64_e32 v[40:41], v[4:5], v[40:41]
	v_add_f64_e32 v[191:192], v[191:192], v[179:180]
	v_add_f64_e32 v[187:188], v[187:188], v[181:182]
	ds_load_b128 v[179:182], v1 offset:1920
	v_fma_f64 v[185:186], v[185:186], v[30:31], v[189:190]
	v_fma_f64 v[30:31], v[183:184], v[30:31], -v[32:33]
	v_fma_f64 v[189:190], v[4:5], v[38:39], v[197:198]
	v_fma_f64 v[38:39], v[2:3], v[38:39], -v[40:41]
	v_add_f64_e32 v[32:33], v[191:192], v[195:196]
	v_add_f64_e32 v[183:184], v[187:188], v[193:194]
	s_wait_loadcnt_dscnt 0x700
	v_mul_f64_e32 v[187:188], v[179:180], v[177:178]
	v_mul_f64_e32 v[177:178], v[181:182], v[177:178]
	s_delay_alu instid0(VALU_DEP_4) | instskip(NEXT) | instid1(VALU_DEP_4)
	v_add_f64_e32 v[40:41], v[32:33], v[30:31]
	v_add_f64_e32 v[183:184], v[183:184], v[185:186]
	ds_load_b128 v[2:5], v1 offset:1936
	ds_load_b128 v[30:33], v1 offset:1952
	v_fma_f64 v[181:182], v[181:182], v[175:176], v[187:188]
	v_fma_f64 v[175:176], v[179:180], v[175:176], -v[177:178]
	s_wait_loadcnt_dscnt 0x601
	v_mul_f64_e32 v[185:186], v[2:3], v[36:37]
	v_mul_f64_e32 v[36:37], v[4:5], v[36:37]
	s_wait_loadcnt_dscnt 0x500
	v_mul_f64_e32 v[177:178], v[30:31], v[8:9]
	v_mul_f64_e32 v[8:9], v[32:33], v[8:9]
	v_add_f64_e32 v[38:39], v[40:41], v[38:39]
	v_add_f64_e32 v[40:41], v[183:184], v[189:190]
	v_fma_f64 v[179:180], v[4:5], v[34:35], v[185:186]
	v_fma_f64 v[183:184], v[2:3], v[34:35], -v[36:37]
	ds_load_b128 v[2:5], v1 offset:1968
	ds_load_b128 v[34:37], v1 offset:1984
	v_fma_f64 v[32:33], v[32:33], v[6:7], v[177:178]
	v_fma_f64 v[6:7], v[30:31], v[6:7], -v[8:9]
	v_add_f64_e32 v[38:39], v[38:39], v[175:176]
	v_add_f64_e32 v[40:41], v[40:41], v[181:182]
	s_wait_loadcnt_dscnt 0x401
	v_mul_f64_e32 v[175:176], v[2:3], v[12:13]
	v_mul_f64_e32 v[12:13], v[4:5], v[12:13]
	s_delay_alu instid0(VALU_DEP_4) | instskip(NEXT) | instid1(VALU_DEP_4)
	v_add_f64_e32 v[8:9], v[38:39], v[183:184]
	v_add_f64_e32 v[30:31], v[40:41], v[179:180]
	s_wait_loadcnt_dscnt 0x300
	v_mul_f64_e32 v[38:39], v[34:35], v[16:17]
	v_mul_f64_e32 v[16:17], v[36:37], v[16:17]
	v_fma_f64 v[40:41], v[4:5], v[10:11], v[175:176]
	v_fma_f64 v[10:11], v[2:3], v[10:11], -v[12:13]
	v_add_f64_e32 v[12:13], v[8:9], v[6:7]
	v_add_f64_e32 v[30:31], v[30:31], v[32:33]
	ds_load_b128 v[2:5], v1 offset:2000
	ds_load_b128 v[6:9], v1 offset:2016
	v_fma_f64 v[36:37], v[36:37], v[14:15], v[38:39]
	v_fma_f64 v[14:15], v[34:35], v[14:15], -v[16:17]
	s_wait_loadcnt_dscnt 0x201
	v_mul_f64_e32 v[32:33], v[2:3], v[20:21]
	v_mul_f64_e32 v[20:21], v[4:5], v[20:21]
	s_wait_loadcnt_dscnt 0x100
	v_mul_f64_e32 v[16:17], v[6:7], v[24:25]
	v_mul_f64_e32 v[24:25], v[8:9], v[24:25]
	v_add_f64_e32 v[10:11], v[12:13], v[10:11]
	v_add_f64_e32 v[12:13], v[30:31], v[40:41]
	v_fma_f64 v[30:31], v[4:5], v[18:19], v[32:33]
	v_fma_f64 v[18:19], v[2:3], v[18:19], -v[20:21]
	ds_load_b128 v[2:5], v1 offset:2032
	v_fma_f64 v[8:9], v[8:9], v[22:23], v[16:17]
	v_fma_f64 v[6:7], v[6:7], v[22:23], -v[24:25]
	v_add_f64_e32 v[10:11], v[10:11], v[14:15]
	v_add_f64_e32 v[12:13], v[12:13], v[36:37]
	s_wait_loadcnt_dscnt 0x0
	v_mul_f64_e32 v[14:15], v[2:3], v[28:29]
	v_mul_f64_e32 v[20:21], v[4:5], v[28:29]
	s_delay_alu instid0(VALU_DEP_4) | instskip(NEXT) | instid1(VALU_DEP_4)
	v_add_f64_e32 v[10:11], v[10:11], v[18:19]
	v_add_f64_e32 v[12:13], v[12:13], v[30:31]
	s_delay_alu instid0(VALU_DEP_4) | instskip(NEXT) | instid1(VALU_DEP_4)
	v_fma_f64 v[4:5], v[4:5], v[26:27], v[14:15]
	v_fma_f64 v[2:3], v[2:3], v[26:27], -v[20:21]
	s_delay_alu instid0(VALU_DEP_4) | instskip(NEXT) | instid1(VALU_DEP_4)
	v_add_f64_e32 v[6:7], v[10:11], v[6:7]
	v_add_f64_e32 v[8:9], v[12:13], v[8:9]
	s_delay_alu instid0(VALU_DEP_2) | instskip(NEXT) | instid1(VALU_DEP_2)
	v_add_f64_e32 v[2:3], v[6:7], v[2:3]
	v_add_f64_e32 v[4:5], v[8:9], v[4:5]
	s_delay_alu instid0(VALU_DEP_2) | instskip(NEXT) | instid1(VALU_DEP_2)
	v_add_f64_e64 v[2:3], v[42:43], -v[2:3]
	v_add_f64_e64 v[4:5], v[44:45], -v[4:5]
	scratch_store_b128 off, v[2:5], off offset:592
	v_cmpx_lt_u32_e32 35, v0
	s_cbranch_execz .LBB63_339
; %bb.338:
	scratch_load_b128 v[5:8], off, s4
	v_dual_mov_b32 v2, v1 :: v_dual_mov_b32 v3, v1
	v_mov_b32_e32 v4, v1
	scratch_store_b128 off, v[1:4], off offset:576
	s_wait_loadcnt 0x0
	ds_store_b128 v174, v[5:8]
.LBB63_339:
	s_wait_alu 0xfffe
	s_or_b32 exec_lo, exec_lo, s0
	s_wait_storecnt_dscnt 0x0
	s_barrier_signal -1
	s_barrier_wait -1
	global_inv scope:SCOPE_SE
	s_clause 0x8
	scratch_load_b128 v[2:5], off, off offset:592
	scratch_load_b128 v[6:9], off, off offset:608
	;; [unrolled: 1-line block ×9, first 2 shown]
	ds_load_b128 v[38:41], v1 offset:1600
	ds_load_b128 v[42:45], v1 offset:1616
	s_clause 0x1
	scratch_load_b128 v[175:178], off, off offset:576
	scratch_load_b128 v[179:182], off, off offset:736
	s_mov_b32 s0, exec_lo
	s_wait_loadcnt_dscnt 0xa01
	v_mul_f64_e32 v[183:184], v[40:41], v[4:5]
	v_mul_f64_e32 v[4:5], v[38:39], v[4:5]
	s_wait_loadcnt_dscnt 0x900
	v_mul_f64_e32 v[187:188], v[42:43], v[8:9]
	v_mul_f64_e32 v[8:9], v[44:45], v[8:9]
	s_delay_alu instid0(VALU_DEP_4) | instskip(NEXT) | instid1(VALU_DEP_4)
	v_fma_f64 v[189:190], v[38:39], v[2:3], -v[183:184]
	v_fma_f64 v[191:192], v[40:41], v[2:3], v[4:5]
	ds_load_b128 v[2:5], v1 offset:1632
	ds_load_b128 v[183:186], v1 offset:1648
	scratch_load_b128 v[38:41], off, off offset:752
	v_fma_f64 v[44:45], v[44:45], v[6:7], v[187:188]
	v_fma_f64 v[42:43], v[42:43], v[6:7], -v[8:9]
	scratch_load_b128 v[6:9], off, off offset:768
	s_wait_loadcnt_dscnt 0xa01
	v_mul_f64_e32 v[193:194], v[2:3], v[12:13]
	v_mul_f64_e32 v[12:13], v[4:5], v[12:13]
	v_add_f64_e32 v[187:188], 0, v[189:190]
	v_add_f64_e32 v[189:190], 0, v[191:192]
	s_wait_loadcnt_dscnt 0x900
	v_mul_f64_e32 v[191:192], v[183:184], v[16:17]
	v_mul_f64_e32 v[16:17], v[185:186], v[16:17]
	v_fma_f64 v[193:194], v[4:5], v[10:11], v[193:194]
	v_fma_f64 v[195:196], v[2:3], v[10:11], -v[12:13]
	ds_load_b128 v[2:5], v1 offset:1664
	scratch_load_b128 v[10:13], off, off offset:784
	v_add_f64_e32 v[187:188], v[187:188], v[42:43]
	v_add_f64_e32 v[189:190], v[189:190], v[44:45]
	ds_load_b128 v[42:45], v1 offset:1680
	v_fma_f64 v[185:186], v[185:186], v[14:15], v[191:192]
	v_fma_f64 v[183:184], v[183:184], v[14:15], -v[16:17]
	scratch_load_b128 v[14:17], off, off offset:800
	s_wait_loadcnt_dscnt 0xa01
	v_mul_f64_e32 v[197:198], v[2:3], v[20:21]
	v_mul_f64_e32 v[20:21], v[4:5], v[20:21]
	s_wait_loadcnt_dscnt 0x900
	v_mul_f64_e32 v[191:192], v[42:43], v[24:25]
	v_mul_f64_e32 v[24:25], v[44:45], v[24:25]
	v_add_f64_e32 v[187:188], v[187:188], v[195:196]
	v_add_f64_e32 v[189:190], v[189:190], v[193:194]
	v_fma_f64 v[193:194], v[4:5], v[18:19], v[197:198]
	v_fma_f64 v[195:196], v[2:3], v[18:19], -v[20:21]
	ds_load_b128 v[2:5], v1 offset:1696
	scratch_load_b128 v[18:21], off, off offset:816
	v_fma_f64 v[44:45], v[44:45], v[22:23], v[191:192]
	v_fma_f64 v[42:43], v[42:43], v[22:23], -v[24:25]
	scratch_load_b128 v[22:25], off, off offset:832
	v_add_f64_e32 v[187:188], v[187:188], v[183:184]
	v_add_f64_e32 v[189:190], v[189:190], v[185:186]
	ds_load_b128 v[183:186], v1 offset:1712
	s_wait_loadcnt_dscnt 0xa01
	v_mul_f64_e32 v[197:198], v[2:3], v[28:29]
	v_mul_f64_e32 v[28:29], v[4:5], v[28:29]
	s_wait_loadcnt_dscnt 0x900
	v_mul_f64_e32 v[191:192], v[183:184], v[32:33]
	v_mul_f64_e32 v[32:33], v[185:186], v[32:33]
	v_add_f64_e32 v[187:188], v[187:188], v[195:196]
	v_add_f64_e32 v[189:190], v[189:190], v[193:194]
	v_fma_f64 v[193:194], v[4:5], v[26:27], v[197:198]
	v_fma_f64 v[195:196], v[2:3], v[26:27], -v[28:29]
	ds_load_b128 v[2:5], v1 offset:1728
	scratch_load_b128 v[26:29], off, off offset:848
	v_fma_f64 v[185:186], v[185:186], v[30:31], v[191:192]
	v_fma_f64 v[183:184], v[183:184], v[30:31], -v[32:33]
	scratch_load_b128 v[30:33], off, off offset:864
	v_add_f64_e32 v[187:188], v[187:188], v[42:43]
	v_add_f64_e32 v[189:190], v[189:190], v[44:45]
	ds_load_b128 v[42:45], v1 offset:1744
	s_wait_loadcnt_dscnt 0xa01
	v_mul_f64_e32 v[197:198], v[2:3], v[36:37]
	v_mul_f64_e32 v[36:37], v[4:5], v[36:37]
	s_wait_loadcnt_dscnt 0x800
	v_mul_f64_e32 v[191:192], v[42:43], v[181:182]
	v_add_f64_e32 v[187:188], v[187:188], v[195:196]
	v_add_f64_e32 v[189:190], v[189:190], v[193:194]
	v_mul_f64_e32 v[193:194], v[44:45], v[181:182]
	v_fma_f64 v[195:196], v[4:5], v[34:35], v[197:198]
	v_fma_f64 v[197:198], v[2:3], v[34:35], -v[36:37]
	ds_load_b128 v[2:5], v1 offset:1760
	scratch_load_b128 v[34:37], off, off offset:880
	v_fma_f64 v[44:45], v[44:45], v[179:180], v[191:192]
	v_add_f64_e32 v[187:188], v[187:188], v[183:184]
	v_add_f64_e32 v[185:186], v[189:190], v[185:186]
	ds_load_b128 v[181:184], v1 offset:1776
	v_fma_f64 v[179:180], v[42:43], v[179:180], -v[193:194]
	s_wait_loadcnt_dscnt 0x801
	v_mul_f64_e32 v[189:190], v[2:3], v[40:41]
	v_mul_f64_e32 v[199:200], v[4:5], v[40:41]
	scratch_load_b128 v[40:43], off, off offset:896
	s_wait_loadcnt_dscnt 0x800
	v_mul_f64_e32 v[193:194], v[181:182], v[8:9]
	v_mul_f64_e32 v[8:9], v[183:184], v[8:9]
	v_add_f64_e32 v[187:188], v[187:188], v[197:198]
	v_add_f64_e32 v[185:186], v[185:186], v[195:196]
	v_fma_f64 v[195:196], v[4:5], v[38:39], v[189:190]
	v_fma_f64 v[38:39], v[2:3], v[38:39], -v[199:200]
	ds_load_b128 v[2:5], v1 offset:1792
	ds_load_b128 v[189:192], v1 offset:1808
	v_fma_f64 v[183:184], v[183:184], v[6:7], v[193:194]
	v_fma_f64 v[181:182], v[181:182], v[6:7], -v[8:9]
	scratch_load_b128 v[6:9], off, off offset:928
	v_add_f64_e32 v[179:180], v[187:188], v[179:180]
	v_add_f64_e32 v[44:45], v[185:186], v[44:45]
	scratch_load_b128 v[185:188], off, off offset:912
	s_wait_loadcnt_dscnt 0x901
	v_mul_f64_e32 v[197:198], v[2:3], v[12:13]
	v_mul_f64_e32 v[12:13], v[4:5], v[12:13]
	s_wait_loadcnt_dscnt 0x800
	v_mul_f64_e32 v[193:194], v[189:190], v[16:17]
	v_mul_f64_e32 v[16:17], v[191:192], v[16:17]
	v_add_f64_e32 v[38:39], v[179:180], v[38:39]
	v_add_f64_e32 v[44:45], v[44:45], v[195:196]
	v_fma_f64 v[195:196], v[4:5], v[10:11], v[197:198]
	v_fma_f64 v[197:198], v[2:3], v[10:11], -v[12:13]
	ds_load_b128 v[2:5], v1 offset:1824
	scratch_load_b128 v[10:13], off, off offset:944
	v_fma_f64 v[191:192], v[191:192], v[14:15], v[193:194]
	v_fma_f64 v[189:190], v[189:190], v[14:15], -v[16:17]
	scratch_load_b128 v[14:17], off, off offset:960
	v_add_f64_e32 v[38:39], v[38:39], v[181:182]
	v_add_f64_e32 v[44:45], v[44:45], v[183:184]
	ds_load_b128 v[179:182], v1 offset:1840
	s_wait_loadcnt_dscnt 0x901
	v_mul_f64_e32 v[183:184], v[2:3], v[20:21]
	v_mul_f64_e32 v[20:21], v[4:5], v[20:21]
	s_wait_loadcnt_dscnt 0x800
	v_mul_f64_e32 v[193:194], v[179:180], v[24:25]
	v_mul_f64_e32 v[24:25], v[181:182], v[24:25]
	v_add_f64_e32 v[38:39], v[38:39], v[197:198]
	v_add_f64_e32 v[44:45], v[44:45], v[195:196]
	v_fma_f64 v[183:184], v[4:5], v[18:19], v[183:184]
	v_fma_f64 v[195:196], v[2:3], v[18:19], -v[20:21]
	ds_load_b128 v[2:5], v1 offset:1856
	scratch_load_b128 v[18:21], off, off offset:976
	v_fma_f64 v[181:182], v[181:182], v[22:23], v[193:194]
	v_fma_f64 v[179:180], v[179:180], v[22:23], -v[24:25]
	scratch_load_b128 v[22:25], off, off offset:992
	v_add_f64_e32 v[38:39], v[38:39], v[189:190]
	v_add_f64_e32 v[44:45], v[44:45], v[191:192]
	ds_load_b128 v[189:192], v1 offset:1872
	s_wait_loadcnt_dscnt 0x901
	v_mul_f64_e32 v[197:198], v[2:3], v[28:29]
	v_mul_f64_e32 v[28:29], v[4:5], v[28:29]
	v_add_f64_e32 v[38:39], v[38:39], v[195:196]
	v_add_f64_e32 v[44:45], v[44:45], v[183:184]
	s_wait_loadcnt_dscnt 0x800
	v_mul_f64_e32 v[183:184], v[189:190], v[32:33]
	v_mul_f64_e32 v[32:33], v[191:192], v[32:33]
	v_fma_f64 v[193:194], v[4:5], v[26:27], v[197:198]
	v_fma_f64 v[195:196], v[2:3], v[26:27], -v[28:29]
	ds_load_b128 v[2:5], v1 offset:1888
	scratch_load_b128 v[26:29], off, off offset:1008
	v_add_f64_e32 v[38:39], v[38:39], v[179:180]
	v_add_f64_e32 v[44:45], v[44:45], v[181:182]
	ds_load_b128 v[179:182], v1 offset:1904
	s_wait_loadcnt_dscnt 0x801
	v_mul_f64_e32 v[197:198], v[2:3], v[36:37]
	v_mul_f64_e32 v[36:37], v[4:5], v[36:37]
	v_fma_f64 v[183:184], v[191:192], v[30:31], v[183:184]
	v_fma_f64 v[189:190], v[189:190], v[30:31], -v[32:33]
	scratch_load_b128 v[30:33], off, off offset:1024
	s_wait_loadcnt_dscnt 0x800
	v_mul_f64_e32 v[191:192], v[179:180], v[42:43]
	v_add_f64_e32 v[38:39], v[38:39], v[195:196]
	v_add_f64_e32 v[44:45], v[44:45], v[193:194]
	v_mul_f64_e32 v[42:43], v[181:182], v[42:43]
	v_fma_f64 v[193:194], v[4:5], v[34:35], v[197:198]
	v_fma_f64 v[195:196], v[2:3], v[34:35], -v[36:37]
	ds_load_b128 v[2:5], v1 offset:1920
	ds_load_b128 v[34:37], v1 offset:1936
	v_fma_f64 v[181:182], v[181:182], v[40:41], v[191:192]
	v_add_f64_e32 v[38:39], v[38:39], v[189:190]
	v_add_f64_e32 v[44:45], v[44:45], v[183:184]
	v_fma_f64 v[40:41], v[179:180], v[40:41], -v[42:43]
	s_wait_loadcnt_dscnt 0x601
	v_mul_f64_e32 v[183:184], v[2:3], v[187:188]
	v_mul_f64_e32 v[187:188], v[4:5], v[187:188]
	v_add_f64_e32 v[38:39], v[38:39], v[195:196]
	v_add_f64_e32 v[42:43], v[44:45], v[193:194]
	s_wait_dscnt 0x0
	v_mul_f64_e32 v[44:45], v[34:35], v[8:9]
	v_mul_f64_e32 v[8:9], v[36:37], v[8:9]
	v_fma_f64 v[179:180], v[4:5], v[185:186], v[183:184]
	v_fma_f64 v[183:184], v[2:3], v[185:186], -v[187:188]
	v_add_f64_e32 v[185:186], v[38:39], v[40:41]
	v_add_f64_e32 v[42:43], v[42:43], v[181:182]
	ds_load_b128 v[2:5], v1 offset:1952
	ds_load_b128 v[38:41], v1 offset:1968
	v_fma_f64 v[36:37], v[36:37], v[6:7], v[44:45]
	v_fma_f64 v[6:7], v[34:35], v[6:7], -v[8:9]
	s_wait_loadcnt_dscnt 0x501
	v_mul_f64_e32 v[181:182], v[2:3], v[12:13]
	v_mul_f64_e32 v[12:13], v[4:5], v[12:13]
	v_add_f64_e32 v[8:9], v[185:186], v[183:184]
	v_add_f64_e32 v[34:35], v[42:43], v[179:180]
	s_wait_loadcnt_dscnt 0x400
	v_mul_f64_e32 v[42:43], v[38:39], v[16:17]
	v_mul_f64_e32 v[16:17], v[40:41], v[16:17]
	v_fma_f64 v[44:45], v[4:5], v[10:11], v[181:182]
	v_fma_f64 v[10:11], v[2:3], v[10:11], -v[12:13]
	v_add_f64_e32 v[12:13], v[8:9], v[6:7]
	v_add_f64_e32 v[34:35], v[34:35], v[36:37]
	ds_load_b128 v[2:5], v1 offset:1984
	ds_load_b128 v[6:9], v1 offset:2000
	v_fma_f64 v[40:41], v[40:41], v[14:15], v[42:43]
	v_fma_f64 v[14:15], v[38:39], v[14:15], -v[16:17]
	s_wait_loadcnt_dscnt 0x301
	v_mul_f64_e32 v[36:37], v[2:3], v[20:21]
	v_mul_f64_e32 v[20:21], v[4:5], v[20:21]
	s_wait_loadcnt_dscnt 0x200
	v_mul_f64_e32 v[16:17], v[6:7], v[24:25]
	v_mul_f64_e32 v[24:25], v[8:9], v[24:25]
	v_add_f64_e32 v[10:11], v[12:13], v[10:11]
	v_add_f64_e32 v[12:13], v[34:35], v[44:45]
	v_fma_f64 v[34:35], v[4:5], v[18:19], v[36:37]
	v_fma_f64 v[18:19], v[2:3], v[18:19], -v[20:21]
	v_fma_f64 v[8:9], v[8:9], v[22:23], v[16:17]
	v_fma_f64 v[6:7], v[6:7], v[22:23], -v[24:25]
	v_add_f64_e32 v[14:15], v[10:11], v[14:15]
	v_add_f64_e32 v[20:21], v[12:13], v[40:41]
	ds_load_b128 v[2:5], v1 offset:2016
	ds_load_b128 v[10:13], v1 offset:2032
	s_wait_loadcnt_dscnt 0x101
	v_mul_f64_e32 v[36:37], v[2:3], v[28:29]
	v_mul_f64_e32 v[28:29], v[4:5], v[28:29]
	v_add_f64_e32 v[14:15], v[14:15], v[18:19]
	v_add_f64_e32 v[16:17], v[20:21], v[34:35]
	s_wait_loadcnt_dscnt 0x0
	v_mul_f64_e32 v[18:19], v[10:11], v[32:33]
	v_mul_f64_e32 v[20:21], v[12:13], v[32:33]
	v_fma_f64 v[4:5], v[4:5], v[26:27], v[36:37]
	v_fma_f64 v[1:2], v[2:3], v[26:27], -v[28:29]
	v_add_f64_e32 v[6:7], v[14:15], v[6:7]
	v_add_f64_e32 v[8:9], v[16:17], v[8:9]
	v_fma_f64 v[12:13], v[12:13], v[30:31], v[18:19]
	v_fma_f64 v[10:11], v[10:11], v[30:31], -v[20:21]
	s_delay_alu instid0(VALU_DEP_4) | instskip(NEXT) | instid1(VALU_DEP_4)
	v_add_f64_e32 v[1:2], v[6:7], v[1:2]
	v_add_f64_e32 v[3:4], v[8:9], v[4:5]
	s_delay_alu instid0(VALU_DEP_2) | instskip(NEXT) | instid1(VALU_DEP_2)
	v_add_f64_e32 v[1:2], v[1:2], v[10:11]
	v_add_f64_e32 v[3:4], v[3:4], v[12:13]
	s_delay_alu instid0(VALU_DEP_2) | instskip(NEXT) | instid1(VALU_DEP_2)
	v_add_f64_e64 v[1:2], v[175:176], -v[1:2]
	v_add_f64_e64 v[3:4], v[177:178], -v[3:4]
	scratch_store_b128 off, v[1:4], off offset:576
	v_cmpx_lt_u32_e32 34, v0
	s_cbranch_execz .LBB63_341
; %bb.340:
	scratch_load_b128 v[1:4], off, s8
	v_mov_b32_e32 v5, 0
	s_delay_alu instid0(VALU_DEP_1)
	v_dual_mov_b32 v6, v5 :: v_dual_mov_b32 v7, v5
	v_mov_b32_e32 v8, v5
	scratch_store_b128 off, v[5:8], off offset:560
	s_wait_loadcnt 0x0
	ds_store_b128 v174, v[1:4]
.LBB63_341:
	s_wait_alu 0xfffe
	s_or_b32 exec_lo, exec_lo, s0
	s_wait_storecnt_dscnt 0x0
	s_barrier_signal -1
	s_barrier_wait -1
	global_inv scope:SCOPE_SE
	s_clause 0x7
	scratch_load_b128 v[2:5], off, off offset:576
	scratch_load_b128 v[6:9], off, off offset:592
	;; [unrolled: 1-line block ×8, first 2 shown]
	v_mov_b32_e32 v1, 0
	s_mov_b32 s0, exec_lo
	ds_load_b128 v[34:37], v1 offset:1584
	s_clause 0x1
	scratch_load_b128 v[38:41], off, off offset:704
	scratch_load_b128 v[42:45], off, off offset:560
	ds_load_b128 v[175:178], v1 offset:1600
	scratch_load_b128 v[179:182], off, off offset:720
	s_wait_loadcnt_dscnt 0xa01
	v_mul_f64_e32 v[183:184], v[36:37], v[4:5]
	v_mul_f64_e32 v[4:5], v[34:35], v[4:5]
	s_delay_alu instid0(VALU_DEP_2) | instskip(NEXT) | instid1(VALU_DEP_2)
	v_fma_f64 v[189:190], v[34:35], v[2:3], -v[183:184]
	v_fma_f64 v[191:192], v[36:37], v[2:3], v[4:5]
	ds_load_b128 v[2:5], v1 offset:1616
	s_wait_loadcnt_dscnt 0x901
	v_mul_f64_e32 v[187:188], v[175:176], v[8:9]
	v_mul_f64_e32 v[8:9], v[177:178], v[8:9]
	scratch_load_b128 v[34:37], off, off offset:736
	ds_load_b128 v[183:186], v1 offset:1632
	s_wait_loadcnt_dscnt 0x901
	v_mul_f64_e32 v[193:194], v[2:3], v[12:13]
	v_mul_f64_e32 v[12:13], v[4:5], v[12:13]
	v_fma_f64 v[177:178], v[177:178], v[6:7], v[187:188]
	v_fma_f64 v[175:176], v[175:176], v[6:7], -v[8:9]
	v_add_f64_e32 v[187:188], 0, v[189:190]
	v_add_f64_e32 v[189:190], 0, v[191:192]
	scratch_load_b128 v[6:9], off, off offset:752
	v_fma_f64 v[193:194], v[4:5], v[10:11], v[193:194]
	v_fma_f64 v[195:196], v[2:3], v[10:11], -v[12:13]
	ds_load_b128 v[2:5], v1 offset:1648
	s_wait_loadcnt_dscnt 0x901
	v_mul_f64_e32 v[191:192], v[183:184], v[16:17]
	v_mul_f64_e32 v[16:17], v[185:186], v[16:17]
	scratch_load_b128 v[10:13], off, off offset:768
	v_add_f64_e32 v[187:188], v[187:188], v[175:176]
	v_add_f64_e32 v[189:190], v[189:190], v[177:178]
	s_wait_loadcnt_dscnt 0x900
	v_mul_f64_e32 v[197:198], v[2:3], v[20:21]
	v_mul_f64_e32 v[20:21], v[4:5], v[20:21]
	ds_load_b128 v[175:178], v1 offset:1664
	v_fma_f64 v[185:186], v[185:186], v[14:15], v[191:192]
	v_fma_f64 v[183:184], v[183:184], v[14:15], -v[16:17]
	scratch_load_b128 v[14:17], off, off offset:784
	v_add_f64_e32 v[187:188], v[187:188], v[195:196]
	v_add_f64_e32 v[189:190], v[189:190], v[193:194]
	v_fma_f64 v[193:194], v[4:5], v[18:19], v[197:198]
	v_fma_f64 v[195:196], v[2:3], v[18:19], -v[20:21]
	ds_load_b128 v[2:5], v1 offset:1680
	s_wait_loadcnt_dscnt 0x901
	v_mul_f64_e32 v[191:192], v[175:176], v[24:25]
	v_mul_f64_e32 v[24:25], v[177:178], v[24:25]
	scratch_load_b128 v[18:21], off, off offset:800
	s_wait_loadcnt_dscnt 0x900
	v_mul_f64_e32 v[197:198], v[2:3], v[28:29]
	v_mul_f64_e32 v[28:29], v[4:5], v[28:29]
	v_add_f64_e32 v[187:188], v[187:188], v[183:184]
	v_add_f64_e32 v[189:190], v[189:190], v[185:186]
	ds_load_b128 v[183:186], v1 offset:1696
	v_fma_f64 v[177:178], v[177:178], v[22:23], v[191:192]
	v_fma_f64 v[175:176], v[175:176], v[22:23], -v[24:25]
	scratch_load_b128 v[22:25], off, off offset:816
	v_add_f64_e32 v[187:188], v[187:188], v[195:196]
	v_add_f64_e32 v[189:190], v[189:190], v[193:194]
	v_fma_f64 v[193:194], v[4:5], v[26:27], v[197:198]
	v_fma_f64 v[195:196], v[2:3], v[26:27], -v[28:29]
	ds_load_b128 v[2:5], v1 offset:1712
	s_wait_loadcnt_dscnt 0x901
	v_mul_f64_e32 v[191:192], v[183:184], v[32:33]
	v_mul_f64_e32 v[32:33], v[185:186], v[32:33]
	scratch_load_b128 v[26:29], off, off offset:832
	s_wait_loadcnt_dscnt 0x900
	v_mul_f64_e32 v[197:198], v[2:3], v[40:41]
	v_mul_f64_e32 v[40:41], v[4:5], v[40:41]
	v_add_f64_e32 v[187:188], v[187:188], v[175:176]
	v_add_f64_e32 v[189:190], v[189:190], v[177:178]
	ds_load_b128 v[175:178], v1 offset:1728
	v_fma_f64 v[185:186], v[185:186], v[30:31], v[191:192]
	v_fma_f64 v[183:184], v[183:184], v[30:31], -v[32:33]
	scratch_load_b128 v[30:33], off, off offset:848
	v_add_f64_e32 v[187:188], v[187:188], v[195:196]
	v_add_f64_e32 v[189:190], v[189:190], v[193:194]
	v_fma_f64 v[195:196], v[4:5], v[38:39], v[197:198]
	v_fma_f64 v[197:198], v[2:3], v[38:39], -v[40:41]
	ds_load_b128 v[2:5], v1 offset:1744
	s_wait_loadcnt_dscnt 0x801
	v_mul_f64_e32 v[191:192], v[175:176], v[181:182]
	v_mul_f64_e32 v[193:194], v[177:178], v[181:182]
	scratch_load_b128 v[38:41], off, off offset:864
	v_add_f64_e32 v[187:188], v[187:188], v[183:184]
	v_add_f64_e32 v[185:186], v[189:190], v[185:186]
	ds_load_b128 v[181:184], v1 offset:1760
	v_fma_f64 v[191:192], v[177:178], v[179:180], v[191:192]
	v_fma_f64 v[179:180], v[175:176], v[179:180], -v[193:194]
	scratch_load_b128 v[175:178], off, off offset:880
	s_wait_loadcnt_dscnt 0x901
	v_mul_f64_e32 v[189:190], v[2:3], v[36:37]
	v_mul_f64_e32 v[36:37], v[4:5], v[36:37]
	v_add_f64_e32 v[187:188], v[187:188], v[197:198]
	v_add_f64_e32 v[185:186], v[185:186], v[195:196]
	s_delay_alu instid0(VALU_DEP_4) | instskip(NEXT) | instid1(VALU_DEP_4)
	v_fma_f64 v[189:190], v[4:5], v[34:35], v[189:190]
	v_fma_f64 v[195:196], v[2:3], v[34:35], -v[36:37]
	ds_load_b128 v[2:5], v1 offset:1776
	s_wait_loadcnt_dscnt 0x801
	v_mul_f64_e32 v[193:194], v[181:182], v[8:9]
	v_mul_f64_e32 v[8:9], v[183:184], v[8:9]
	scratch_load_b128 v[34:37], off, off offset:896
	s_wait_loadcnt_dscnt 0x800
	v_mul_f64_e32 v[197:198], v[2:3], v[12:13]
	v_add_f64_e32 v[179:180], v[187:188], v[179:180]
	v_add_f64_e32 v[191:192], v[185:186], v[191:192]
	v_mul_f64_e32 v[12:13], v[4:5], v[12:13]
	ds_load_b128 v[185:188], v1 offset:1792
	v_fma_f64 v[183:184], v[183:184], v[6:7], v[193:194]
	v_fma_f64 v[181:182], v[181:182], v[6:7], -v[8:9]
	scratch_load_b128 v[6:9], off, off offset:912
	v_fma_f64 v[193:194], v[4:5], v[10:11], v[197:198]
	v_add_f64_e32 v[179:180], v[179:180], v[195:196]
	v_add_f64_e32 v[189:190], v[191:192], v[189:190]
	v_fma_f64 v[195:196], v[2:3], v[10:11], -v[12:13]
	ds_load_b128 v[2:5], v1 offset:1808
	s_wait_loadcnt_dscnt 0x801
	v_mul_f64_e32 v[191:192], v[185:186], v[16:17]
	v_mul_f64_e32 v[16:17], v[187:188], v[16:17]
	scratch_load_b128 v[10:13], off, off offset:928
	v_add_f64_e32 v[197:198], v[179:180], v[181:182]
	v_add_f64_e32 v[183:184], v[189:190], v[183:184]
	s_wait_loadcnt_dscnt 0x800
	v_mul_f64_e32 v[189:190], v[2:3], v[20:21]
	v_mul_f64_e32 v[20:21], v[4:5], v[20:21]
	v_fma_f64 v[187:188], v[187:188], v[14:15], v[191:192]
	v_fma_f64 v[185:186], v[185:186], v[14:15], -v[16:17]
	ds_load_b128 v[179:182], v1 offset:1824
	scratch_load_b128 v[14:17], off, off offset:944
	v_add_f64_e32 v[191:192], v[197:198], v[195:196]
	v_add_f64_e32 v[183:184], v[183:184], v[193:194]
	v_fma_f64 v[189:190], v[4:5], v[18:19], v[189:190]
	v_fma_f64 v[195:196], v[2:3], v[18:19], -v[20:21]
	ds_load_b128 v[2:5], v1 offset:1840
	s_wait_loadcnt_dscnt 0x801
	v_mul_f64_e32 v[193:194], v[179:180], v[24:25]
	v_mul_f64_e32 v[24:25], v[181:182], v[24:25]
	scratch_load_b128 v[18:21], off, off offset:960
	s_wait_loadcnt_dscnt 0x800
	v_mul_f64_e32 v[197:198], v[2:3], v[28:29]
	v_mul_f64_e32 v[28:29], v[4:5], v[28:29]
	v_add_f64_e32 v[191:192], v[191:192], v[185:186]
	v_add_f64_e32 v[187:188], v[183:184], v[187:188]
	ds_load_b128 v[183:186], v1 offset:1856
	v_fma_f64 v[181:182], v[181:182], v[22:23], v[193:194]
	v_fma_f64 v[179:180], v[179:180], v[22:23], -v[24:25]
	scratch_load_b128 v[22:25], off, off offset:976
	v_fma_f64 v[193:194], v[4:5], v[26:27], v[197:198]
	v_add_f64_e32 v[191:192], v[191:192], v[195:196]
	v_add_f64_e32 v[187:188], v[187:188], v[189:190]
	v_fma_f64 v[195:196], v[2:3], v[26:27], -v[28:29]
	ds_load_b128 v[2:5], v1 offset:1872
	s_wait_loadcnt_dscnt 0x801
	v_mul_f64_e32 v[189:190], v[183:184], v[32:33]
	v_mul_f64_e32 v[32:33], v[185:186], v[32:33]
	scratch_load_b128 v[26:29], off, off offset:992
	s_wait_loadcnt_dscnt 0x800
	v_mul_f64_e32 v[197:198], v[2:3], v[40:41]
	v_mul_f64_e32 v[40:41], v[4:5], v[40:41]
	v_add_f64_e32 v[191:192], v[191:192], v[179:180]
	v_add_f64_e32 v[187:188], v[187:188], v[181:182]
	ds_load_b128 v[179:182], v1 offset:1888
	v_fma_f64 v[185:186], v[185:186], v[30:31], v[189:190]
	v_fma_f64 v[183:184], v[183:184], v[30:31], -v[32:33]
	scratch_load_b128 v[30:33], off, off offset:1008
	v_add_f64_e32 v[189:190], v[191:192], v[195:196]
	v_add_f64_e32 v[187:188], v[187:188], v[193:194]
	v_fma_f64 v[193:194], v[4:5], v[38:39], v[197:198]
	v_fma_f64 v[195:196], v[2:3], v[38:39], -v[40:41]
	ds_load_b128 v[2:5], v1 offset:1904
	s_wait_loadcnt_dscnt 0x801
	v_mul_f64_e32 v[191:192], v[179:180], v[177:178]
	v_mul_f64_e32 v[177:178], v[181:182], v[177:178]
	scratch_load_b128 v[38:41], off, off offset:1024
	s_wait_loadcnt_dscnt 0x800
	v_mul_f64_e32 v[197:198], v[2:3], v[36:37]
	v_mul_f64_e32 v[36:37], v[4:5], v[36:37]
	v_add_f64_e32 v[189:190], v[189:190], v[183:184]
	v_add_f64_e32 v[187:188], v[187:188], v[185:186]
	ds_load_b128 v[183:186], v1 offset:1920
	v_fma_f64 v[181:182], v[181:182], v[175:176], v[191:192]
	v_fma_f64 v[175:176], v[179:180], v[175:176], -v[177:178]
	v_fma_f64 v[191:192], v[2:3], v[34:35], -v[36:37]
	v_add_f64_e32 v[177:178], v[189:190], v[195:196]
	v_add_f64_e32 v[179:180], v[187:188], v[193:194]
	s_wait_loadcnt_dscnt 0x700
	v_mul_f64_e32 v[187:188], v[183:184], v[8:9]
	v_mul_f64_e32 v[8:9], v[185:186], v[8:9]
	v_fma_f64 v[189:190], v[4:5], v[34:35], v[197:198]
	ds_load_b128 v[2:5], v1 offset:1936
	ds_load_b128 v[34:37], v1 offset:1952
	v_add_f64_e32 v[175:176], v[177:178], v[175:176]
	v_add_f64_e32 v[177:178], v[179:180], v[181:182]
	s_wait_loadcnt_dscnt 0x601
	v_mul_f64_e32 v[179:180], v[2:3], v[12:13]
	v_mul_f64_e32 v[12:13], v[4:5], v[12:13]
	v_fma_f64 v[181:182], v[185:186], v[6:7], v[187:188]
	v_fma_f64 v[6:7], v[183:184], v[6:7], -v[8:9]
	v_add_f64_e32 v[8:9], v[175:176], v[191:192]
	v_add_f64_e32 v[175:176], v[177:178], v[189:190]
	s_wait_loadcnt_dscnt 0x500
	v_mul_f64_e32 v[177:178], v[34:35], v[16:17]
	v_mul_f64_e32 v[16:17], v[36:37], v[16:17]
	v_fma_f64 v[179:180], v[4:5], v[10:11], v[179:180]
	v_fma_f64 v[10:11], v[2:3], v[10:11], -v[12:13]
	v_add_f64_e32 v[12:13], v[8:9], v[6:7]
	v_add_f64_e32 v[175:176], v[175:176], v[181:182]
	ds_load_b128 v[2:5], v1 offset:1968
	ds_load_b128 v[6:9], v1 offset:1984
	v_fma_f64 v[36:37], v[36:37], v[14:15], v[177:178]
	v_fma_f64 v[14:15], v[34:35], v[14:15], -v[16:17]
	s_wait_loadcnt_dscnt 0x401
	v_mul_f64_e32 v[181:182], v[2:3], v[20:21]
	v_mul_f64_e32 v[20:21], v[4:5], v[20:21]
	s_wait_loadcnt_dscnt 0x300
	v_mul_f64_e32 v[16:17], v[6:7], v[24:25]
	v_mul_f64_e32 v[24:25], v[8:9], v[24:25]
	v_add_f64_e32 v[10:11], v[12:13], v[10:11]
	v_add_f64_e32 v[12:13], v[175:176], v[179:180]
	v_fma_f64 v[34:35], v[4:5], v[18:19], v[181:182]
	v_fma_f64 v[18:19], v[2:3], v[18:19], -v[20:21]
	v_fma_f64 v[8:9], v[8:9], v[22:23], v[16:17]
	v_fma_f64 v[6:7], v[6:7], v[22:23], -v[24:25]
	v_add_f64_e32 v[14:15], v[10:11], v[14:15]
	v_add_f64_e32 v[20:21], v[12:13], v[36:37]
	ds_load_b128 v[2:5], v1 offset:2000
	ds_load_b128 v[10:13], v1 offset:2016
	s_wait_loadcnt_dscnt 0x201
	v_mul_f64_e32 v[36:37], v[2:3], v[28:29]
	v_mul_f64_e32 v[28:29], v[4:5], v[28:29]
	v_add_f64_e32 v[14:15], v[14:15], v[18:19]
	v_add_f64_e32 v[16:17], v[20:21], v[34:35]
	s_wait_loadcnt_dscnt 0x100
	v_mul_f64_e32 v[18:19], v[10:11], v[32:33]
	v_mul_f64_e32 v[20:21], v[12:13], v[32:33]
	v_fma_f64 v[22:23], v[4:5], v[26:27], v[36:37]
	v_fma_f64 v[24:25], v[2:3], v[26:27], -v[28:29]
	ds_load_b128 v[2:5], v1 offset:2032
	v_add_f64_e32 v[6:7], v[14:15], v[6:7]
	v_add_f64_e32 v[8:9], v[16:17], v[8:9]
	v_fma_f64 v[12:13], v[12:13], v[30:31], v[18:19]
	v_fma_f64 v[10:11], v[10:11], v[30:31], -v[20:21]
	s_wait_loadcnt_dscnt 0x0
	v_mul_f64_e32 v[14:15], v[2:3], v[40:41]
	v_mul_f64_e32 v[16:17], v[4:5], v[40:41]
	v_add_f64_e32 v[6:7], v[6:7], v[24:25]
	v_add_f64_e32 v[8:9], v[8:9], v[22:23]
	s_delay_alu instid0(VALU_DEP_4) | instskip(NEXT) | instid1(VALU_DEP_4)
	v_fma_f64 v[4:5], v[4:5], v[38:39], v[14:15]
	v_fma_f64 v[2:3], v[2:3], v[38:39], -v[16:17]
	s_delay_alu instid0(VALU_DEP_4) | instskip(NEXT) | instid1(VALU_DEP_4)
	v_add_f64_e32 v[6:7], v[6:7], v[10:11]
	v_add_f64_e32 v[8:9], v[8:9], v[12:13]
	s_delay_alu instid0(VALU_DEP_2) | instskip(NEXT) | instid1(VALU_DEP_2)
	v_add_f64_e32 v[2:3], v[6:7], v[2:3]
	v_add_f64_e32 v[4:5], v[8:9], v[4:5]
	s_delay_alu instid0(VALU_DEP_2) | instskip(NEXT) | instid1(VALU_DEP_2)
	v_add_f64_e64 v[2:3], v[42:43], -v[2:3]
	v_add_f64_e64 v[4:5], v[44:45], -v[4:5]
	scratch_store_b128 off, v[2:5], off offset:560
	v_cmpx_lt_u32_e32 33, v0
	s_cbranch_execz .LBB63_343
; %bb.342:
	scratch_load_b128 v[5:8], off, s5
	v_dual_mov_b32 v2, v1 :: v_dual_mov_b32 v3, v1
	v_mov_b32_e32 v4, v1
	scratch_store_b128 off, v[1:4], off offset:544
	s_wait_loadcnt 0x0
	ds_store_b128 v174, v[5:8]
.LBB63_343:
	s_wait_alu 0xfffe
	s_or_b32 exec_lo, exec_lo, s0
	s_wait_storecnt_dscnt 0x0
	s_barrier_signal -1
	s_barrier_wait -1
	global_inv scope:SCOPE_SE
	s_clause 0x8
	scratch_load_b128 v[2:5], off, off offset:560
	scratch_load_b128 v[6:9], off, off offset:576
	;; [unrolled: 1-line block ×9, first 2 shown]
	ds_load_b128 v[38:41], v1 offset:1568
	ds_load_b128 v[42:45], v1 offset:1584
	s_clause 0x1
	scratch_load_b128 v[175:178], off, off offset:544
	scratch_load_b128 v[179:182], off, off offset:704
	s_mov_b32 s0, exec_lo
	s_wait_loadcnt_dscnt 0xa01
	v_mul_f64_e32 v[183:184], v[40:41], v[4:5]
	v_mul_f64_e32 v[4:5], v[38:39], v[4:5]
	s_wait_loadcnt_dscnt 0x900
	v_mul_f64_e32 v[187:188], v[42:43], v[8:9]
	v_mul_f64_e32 v[8:9], v[44:45], v[8:9]
	s_delay_alu instid0(VALU_DEP_4) | instskip(NEXT) | instid1(VALU_DEP_4)
	v_fma_f64 v[189:190], v[38:39], v[2:3], -v[183:184]
	v_fma_f64 v[191:192], v[40:41], v[2:3], v[4:5]
	ds_load_b128 v[2:5], v1 offset:1600
	ds_load_b128 v[183:186], v1 offset:1616
	scratch_load_b128 v[38:41], off, off offset:720
	v_fma_f64 v[44:45], v[44:45], v[6:7], v[187:188]
	v_fma_f64 v[42:43], v[42:43], v[6:7], -v[8:9]
	scratch_load_b128 v[6:9], off, off offset:736
	s_wait_loadcnt_dscnt 0xa01
	v_mul_f64_e32 v[193:194], v[2:3], v[12:13]
	v_mul_f64_e32 v[12:13], v[4:5], v[12:13]
	v_add_f64_e32 v[187:188], 0, v[189:190]
	v_add_f64_e32 v[189:190], 0, v[191:192]
	s_wait_loadcnt_dscnt 0x900
	v_mul_f64_e32 v[191:192], v[183:184], v[16:17]
	v_mul_f64_e32 v[16:17], v[185:186], v[16:17]
	v_fma_f64 v[193:194], v[4:5], v[10:11], v[193:194]
	v_fma_f64 v[195:196], v[2:3], v[10:11], -v[12:13]
	ds_load_b128 v[2:5], v1 offset:1632
	scratch_load_b128 v[10:13], off, off offset:752
	v_add_f64_e32 v[187:188], v[187:188], v[42:43]
	v_add_f64_e32 v[189:190], v[189:190], v[44:45]
	ds_load_b128 v[42:45], v1 offset:1648
	v_fma_f64 v[185:186], v[185:186], v[14:15], v[191:192]
	v_fma_f64 v[183:184], v[183:184], v[14:15], -v[16:17]
	scratch_load_b128 v[14:17], off, off offset:768
	s_wait_loadcnt_dscnt 0xa01
	v_mul_f64_e32 v[197:198], v[2:3], v[20:21]
	v_mul_f64_e32 v[20:21], v[4:5], v[20:21]
	s_wait_loadcnt_dscnt 0x900
	v_mul_f64_e32 v[191:192], v[42:43], v[24:25]
	v_mul_f64_e32 v[24:25], v[44:45], v[24:25]
	v_add_f64_e32 v[187:188], v[187:188], v[195:196]
	v_add_f64_e32 v[189:190], v[189:190], v[193:194]
	v_fma_f64 v[193:194], v[4:5], v[18:19], v[197:198]
	v_fma_f64 v[195:196], v[2:3], v[18:19], -v[20:21]
	ds_load_b128 v[2:5], v1 offset:1664
	scratch_load_b128 v[18:21], off, off offset:784
	v_fma_f64 v[44:45], v[44:45], v[22:23], v[191:192]
	v_fma_f64 v[42:43], v[42:43], v[22:23], -v[24:25]
	scratch_load_b128 v[22:25], off, off offset:800
	v_add_f64_e32 v[187:188], v[187:188], v[183:184]
	v_add_f64_e32 v[189:190], v[189:190], v[185:186]
	ds_load_b128 v[183:186], v1 offset:1680
	s_wait_loadcnt_dscnt 0xa01
	v_mul_f64_e32 v[197:198], v[2:3], v[28:29]
	v_mul_f64_e32 v[28:29], v[4:5], v[28:29]
	s_wait_loadcnt_dscnt 0x900
	v_mul_f64_e32 v[191:192], v[183:184], v[32:33]
	v_mul_f64_e32 v[32:33], v[185:186], v[32:33]
	v_add_f64_e32 v[187:188], v[187:188], v[195:196]
	v_add_f64_e32 v[189:190], v[189:190], v[193:194]
	v_fma_f64 v[193:194], v[4:5], v[26:27], v[197:198]
	v_fma_f64 v[195:196], v[2:3], v[26:27], -v[28:29]
	ds_load_b128 v[2:5], v1 offset:1696
	scratch_load_b128 v[26:29], off, off offset:816
	v_fma_f64 v[185:186], v[185:186], v[30:31], v[191:192]
	v_fma_f64 v[183:184], v[183:184], v[30:31], -v[32:33]
	scratch_load_b128 v[30:33], off, off offset:832
	v_add_f64_e32 v[187:188], v[187:188], v[42:43]
	v_add_f64_e32 v[189:190], v[189:190], v[44:45]
	ds_load_b128 v[42:45], v1 offset:1712
	s_wait_loadcnt_dscnt 0xa01
	v_mul_f64_e32 v[197:198], v[2:3], v[36:37]
	v_mul_f64_e32 v[36:37], v[4:5], v[36:37]
	s_wait_loadcnt_dscnt 0x800
	v_mul_f64_e32 v[191:192], v[42:43], v[181:182]
	v_add_f64_e32 v[187:188], v[187:188], v[195:196]
	v_add_f64_e32 v[189:190], v[189:190], v[193:194]
	v_mul_f64_e32 v[193:194], v[44:45], v[181:182]
	v_fma_f64 v[195:196], v[4:5], v[34:35], v[197:198]
	v_fma_f64 v[197:198], v[2:3], v[34:35], -v[36:37]
	ds_load_b128 v[2:5], v1 offset:1728
	scratch_load_b128 v[34:37], off, off offset:848
	v_fma_f64 v[44:45], v[44:45], v[179:180], v[191:192]
	v_add_f64_e32 v[187:188], v[187:188], v[183:184]
	v_add_f64_e32 v[185:186], v[189:190], v[185:186]
	ds_load_b128 v[181:184], v1 offset:1744
	v_fma_f64 v[179:180], v[42:43], v[179:180], -v[193:194]
	s_wait_loadcnt_dscnt 0x801
	v_mul_f64_e32 v[189:190], v[2:3], v[40:41]
	v_mul_f64_e32 v[199:200], v[4:5], v[40:41]
	scratch_load_b128 v[40:43], off, off offset:864
	s_wait_loadcnt_dscnt 0x800
	v_mul_f64_e32 v[193:194], v[181:182], v[8:9]
	v_mul_f64_e32 v[8:9], v[183:184], v[8:9]
	v_add_f64_e32 v[187:188], v[187:188], v[197:198]
	v_add_f64_e32 v[185:186], v[185:186], v[195:196]
	v_fma_f64 v[195:196], v[4:5], v[38:39], v[189:190]
	v_fma_f64 v[38:39], v[2:3], v[38:39], -v[199:200]
	ds_load_b128 v[2:5], v1 offset:1760
	ds_load_b128 v[189:192], v1 offset:1776
	v_fma_f64 v[183:184], v[183:184], v[6:7], v[193:194]
	v_fma_f64 v[181:182], v[181:182], v[6:7], -v[8:9]
	scratch_load_b128 v[6:9], off, off offset:896
	v_add_f64_e32 v[179:180], v[187:188], v[179:180]
	v_add_f64_e32 v[44:45], v[185:186], v[44:45]
	scratch_load_b128 v[185:188], off, off offset:880
	s_wait_loadcnt_dscnt 0x901
	v_mul_f64_e32 v[197:198], v[2:3], v[12:13]
	v_mul_f64_e32 v[12:13], v[4:5], v[12:13]
	s_wait_loadcnt_dscnt 0x800
	v_mul_f64_e32 v[193:194], v[189:190], v[16:17]
	v_mul_f64_e32 v[16:17], v[191:192], v[16:17]
	v_add_f64_e32 v[38:39], v[179:180], v[38:39]
	v_add_f64_e32 v[44:45], v[44:45], v[195:196]
	v_fma_f64 v[195:196], v[4:5], v[10:11], v[197:198]
	v_fma_f64 v[197:198], v[2:3], v[10:11], -v[12:13]
	ds_load_b128 v[2:5], v1 offset:1792
	scratch_load_b128 v[10:13], off, off offset:912
	v_fma_f64 v[191:192], v[191:192], v[14:15], v[193:194]
	v_fma_f64 v[189:190], v[189:190], v[14:15], -v[16:17]
	scratch_load_b128 v[14:17], off, off offset:928
	v_add_f64_e32 v[38:39], v[38:39], v[181:182]
	v_add_f64_e32 v[44:45], v[44:45], v[183:184]
	ds_load_b128 v[179:182], v1 offset:1808
	s_wait_loadcnt_dscnt 0x901
	v_mul_f64_e32 v[183:184], v[2:3], v[20:21]
	v_mul_f64_e32 v[20:21], v[4:5], v[20:21]
	s_wait_loadcnt_dscnt 0x800
	v_mul_f64_e32 v[193:194], v[179:180], v[24:25]
	v_mul_f64_e32 v[24:25], v[181:182], v[24:25]
	v_add_f64_e32 v[38:39], v[38:39], v[197:198]
	v_add_f64_e32 v[44:45], v[44:45], v[195:196]
	v_fma_f64 v[183:184], v[4:5], v[18:19], v[183:184]
	v_fma_f64 v[195:196], v[2:3], v[18:19], -v[20:21]
	ds_load_b128 v[2:5], v1 offset:1824
	scratch_load_b128 v[18:21], off, off offset:944
	v_fma_f64 v[181:182], v[181:182], v[22:23], v[193:194]
	v_fma_f64 v[179:180], v[179:180], v[22:23], -v[24:25]
	scratch_load_b128 v[22:25], off, off offset:960
	v_add_f64_e32 v[38:39], v[38:39], v[189:190]
	v_add_f64_e32 v[44:45], v[44:45], v[191:192]
	ds_load_b128 v[189:192], v1 offset:1840
	s_wait_loadcnt_dscnt 0x901
	v_mul_f64_e32 v[197:198], v[2:3], v[28:29]
	v_mul_f64_e32 v[28:29], v[4:5], v[28:29]
	v_add_f64_e32 v[38:39], v[38:39], v[195:196]
	v_add_f64_e32 v[44:45], v[44:45], v[183:184]
	s_wait_loadcnt_dscnt 0x800
	v_mul_f64_e32 v[183:184], v[189:190], v[32:33]
	v_mul_f64_e32 v[32:33], v[191:192], v[32:33]
	v_fma_f64 v[193:194], v[4:5], v[26:27], v[197:198]
	v_fma_f64 v[195:196], v[2:3], v[26:27], -v[28:29]
	ds_load_b128 v[2:5], v1 offset:1856
	scratch_load_b128 v[26:29], off, off offset:976
	v_add_f64_e32 v[38:39], v[38:39], v[179:180]
	v_add_f64_e32 v[44:45], v[44:45], v[181:182]
	ds_load_b128 v[179:182], v1 offset:1872
	s_wait_loadcnt_dscnt 0x801
	v_mul_f64_e32 v[197:198], v[2:3], v[36:37]
	v_mul_f64_e32 v[36:37], v[4:5], v[36:37]
	v_fma_f64 v[183:184], v[191:192], v[30:31], v[183:184]
	v_fma_f64 v[189:190], v[189:190], v[30:31], -v[32:33]
	scratch_load_b128 v[30:33], off, off offset:992
	s_wait_loadcnt_dscnt 0x800
	v_mul_f64_e32 v[191:192], v[179:180], v[42:43]
	v_add_f64_e32 v[38:39], v[38:39], v[195:196]
	v_add_f64_e32 v[44:45], v[44:45], v[193:194]
	v_mul_f64_e32 v[193:194], v[181:182], v[42:43]
	v_fma_f64 v[195:196], v[4:5], v[34:35], v[197:198]
	v_fma_f64 v[197:198], v[2:3], v[34:35], -v[36:37]
	ds_load_b128 v[2:5], v1 offset:1888
	scratch_load_b128 v[34:37], off, off offset:1008
	v_fma_f64 v[181:182], v[181:182], v[40:41], v[191:192]
	v_add_f64_e32 v[38:39], v[38:39], v[189:190]
	v_add_f64_e32 v[183:184], v[44:45], v[183:184]
	ds_load_b128 v[42:45], v1 offset:1904
	v_fma_f64 v[179:180], v[179:180], v[40:41], -v[193:194]
	s_wait_loadcnt_dscnt 0x701
	v_mul_f64_e32 v[189:190], v[2:3], v[187:188]
	v_mul_f64_e32 v[187:188], v[4:5], v[187:188]
	s_wait_dscnt 0x0
	v_mul_f64_e32 v[193:194], v[42:43], v[8:9]
	v_mul_f64_e32 v[8:9], v[44:45], v[8:9]
	v_add_f64_e32 v[191:192], v[38:39], v[197:198]
	v_add_f64_e32 v[183:184], v[183:184], v[195:196]
	scratch_load_b128 v[38:41], off, off offset:1024
	v_fma_f64 v[189:190], v[4:5], v[185:186], v[189:190]
	v_fma_f64 v[185:186], v[2:3], v[185:186], -v[187:188]
	v_fma_f64 v[44:45], v[44:45], v[6:7], v[193:194]
	v_fma_f64 v[6:7], v[42:43], v[6:7], -v[8:9]
	v_add_f64_e32 v[187:188], v[191:192], v[179:180]
	v_add_f64_e32 v[183:184], v[183:184], v[181:182]
	ds_load_b128 v[2:5], v1 offset:1920
	ds_load_b128 v[179:182], v1 offset:1936
	s_wait_loadcnt_dscnt 0x701
	v_mul_f64_e32 v[191:192], v[2:3], v[12:13]
	v_mul_f64_e32 v[12:13], v[4:5], v[12:13]
	v_add_f64_e32 v[8:9], v[187:188], v[185:186]
	v_add_f64_e32 v[42:43], v[183:184], v[189:190]
	s_wait_loadcnt_dscnt 0x600
	v_mul_f64_e32 v[183:184], v[179:180], v[16:17]
	v_mul_f64_e32 v[16:17], v[181:182], v[16:17]
	v_fma_f64 v[185:186], v[4:5], v[10:11], v[191:192]
	v_fma_f64 v[10:11], v[2:3], v[10:11], -v[12:13]
	v_add_f64_e32 v[12:13], v[8:9], v[6:7]
	v_add_f64_e32 v[42:43], v[42:43], v[44:45]
	ds_load_b128 v[2:5], v1 offset:1952
	ds_load_b128 v[6:9], v1 offset:1968
	v_fma_f64 v[181:182], v[181:182], v[14:15], v[183:184]
	v_fma_f64 v[14:15], v[179:180], v[14:15], -v[16:17]
	s_wait_loadcnt_dscnt 0x501
	v_mul_f64_e32 v[44:45], v[2:3], v[20:21]
	v_mul_f64_e32 v[20:21], v[4:5], v[20:21]
	s_wait_loadcnt_dscnt 0x400
	v_mul_f64_e32 v[16:17], v[6:7], v[24:25]
	v_mul_f64_e32 v[24:25], v[8:9], v[24:25]
	v_add_f64_e32 v[10:11], v[12:13], v[10:11]
	v_add_f64_e32 v[12:13], v[42:43], v[185:186]
	v_fma_f64 v[42:43], v[4:5], v[18:19], v[44:45]
	v_fma_f64 v[18:19], v[2:3], v[18:19], -v[20:21]
	v_fma_f64 v[8:9], v[8:9], v[22:23], v[16:17]
	v_fma_f64 v[6:7], v[6:7], v[22:23], -v[24:25]
	v_add_f64_e32 v[14:15], v[10:11], v[14:15]
	v_add_f64_e32 v[20:21], v[12:13], v[181:182]
	ds_load_b128 v[2:5], v1 offset:1984
	ds_load_b128 v[10:13], v1 offset:2000
	s_wait_loadcnt_dscnt 0x301
	v_mul_f64_e32 v[44:45], v[2:3], v[28:29]
	v_mul_f64_e32 v[28:29], v[4:5], v[28:29]
	v_add_f64_e32 v[14:15], v[14:15], v[18:19]
	v_add_f64_e32 v[16:17], v[20:21], v[42:43]
	s_wait_loadcnt_dscnt 0x200
	v_mul_f64_e32 v[18:19], v[10:11], v[32:33]
	v_mul_f64_e32 v[20:21], v[12:13], v[32:33]
	v_fma_f64 v[22:23], v[4:5], v[26:27], v[44:45]
	v_fma_f64 v[24:25], v[2:3], v[26:27], -v[28:29]
	v_add_f64_e32 v[14:15], v[14:15], v[6:7]
	v_add_f64_e32 v[16:17], v[16:17], v[8:9]
	ds_load_b128 v[2:5], v1 offset:2016
	ds_load_b128 v[6:9], v1 offset:2032
	v_fma_f64 v[12:13], v[12:13], v[30:31], v[18:19]
	v_fma_f64 v[10:11], v[10:11], v[30:31], -v[20:21]
	s_wait_loadcnt_dscnt 0x101
	v_mul_f64_e32 v[26:27], v[2:3], v[36:37]
	v_mul_f64_e32 v[28:29], v[4:5], v[36:37]
	v_add_f64_e32 v[14:15], v[14:15], v[24:25]
	v_add_f64_e32 v[16:17], v[16:17], v[22:23]
	s_wait_loadcnt_dscnt 0x0
	v_mul_f64_e32 v[18:19], v[6:7], v[40:41]
	v_mul_f64_e32 v[20:21], v[8:9], v[40:41]
	v_fma_f64 v[4:5], v[4:5], v[34:35], v[26:27]
	v_fma_f64 v[1:2], v[2:3], v[34:35], -v[28:29]
	v_add_f64_e32 v[10:11], v[14:15], v[10:11]
	v_add_f64_e32 v[12:13], v[16:17], v[12:13]
	v_fma_f64 v[8:9], v[8:9], v[38:39], v[18:19]
	v_fma_f64 v[6:7], v[6:7], v[38:39], -v[20:21]
	s_delay_alu instid0(VALU_DEP_4) | instskip(NEXT) | instid1(VALU_DEP_4)
	v_add_f64_e32 v[1:2], v[10:11], v[1:2]
	v_add_f64_e32 v[3:4], v[12:13], v[4:5]
	s_delay_alu instid0(VALU_DEP_2) | instskip(NEXT) | instid1(VALU_DEP_2)
	v_add_f64_e32 v[1:2], v[1:2], v[6:7]
	v_add_f64_e32 v[3:4], v[3:4], v[8:9]
	s_delay_alu instid0(VALU_DEP_2) | instskip(NEXT) | instid1(VALU_DEP_2)
	v_add_f64_e64 v[1:2], v[175:176], -v[1:2]
	v_add_f64_e64 v[3:4], v[177:178], -v[3:4]
	scratch_store_b128 off, v[1:4], off offset:544
	v_cmpx_lt_u32_e32 32, v0
	s_cbranch_execz .LBB63_345
; %bb.344:
	scratch_load_b128 v[1:4], off, s10
	v_mov_b32_e32 v5, 0
	s_delay_alu instid0(VALU_DEP_1)
	v_dual_mov_b32 v6, v5 :: v_dual_mov_b32 v7, v5
	v_mov_b32_e32 v8, v5
	scratch_store_b128 off, v[5:8], off offset:528
	s_wait_loadcnt 0x0
	ds_store_b128 v174, v[1:4]
.LBB63_345:
	s_wait_alu 0xfffe
	s_or_b32 exec_lo, exec_lo, s0
	s_wait_storecnt_dscnt 0x0
	s_barrier_signal -1
	s_barrier_wait -1
	global_inv scope:SCOPE_SE
	s_clause 0x7
	scratch_load_b128 v[2:5], off, off offset:544
	scratch_load_b128 v[6:9], off, off offset:560
	;; [unrolled: 1-line block ×8, first 2 shown]
	v_mov_b32_e32 v1, 0
	s_mov_b32 s0, exec_lo
	ds_load_b128 v[34:37], v1 offset:1552
	s_clause 0x1
	scratch_load_b128 v[38:41], off, off offset:672
	scratch_load_b128 v[42:45], off, off offset:528
	ds_load_b128 v[175:178], v1 offset:1568
	scratch_load_b128 v[179:182], off, off offset:688
	s_wait_loadcnt_dscnt 0xa01
	v_mul_f64_e32 v[183:184], v[36:37], v[4:5]
	v_mul_f64_e32 v[4:5], v[34:35], v[4:5]
	s_delay_alu instid0(VALU_DEP_2) | instskip(NEXT) | instid1(VALU_DEP_2)
	v_fma_f64 v[189:190], v[34:35], v[2:3], -v[183:184]
	v_fma_f64 v[191:192], v[36:37], v[2:3], v[4:5]
	ds_load_b128 v[2:5], v1 offset:1584
	s_wait_loadcnt_dscnt 0x901
	v_mul_f64_e32 v[187:188], v[175:176], v[8:9]
	v_mul_f64_e32 v[8:9], v[177:178], v[8:9]
	scratch_load_b128 v[34:37], off, off offset:704
	ds_load_b128 v[183:186], v1 offset:1600
	s_wait_loadcnt_dscnt 0x901
	v_mul_f64_e32 v[193:194], v[2:3], v[12:13]
	v_mul_f64_e32 v[12:13], v[4:5], v[12:13]
	v_fma_f64 v[177:178], v[177:178], v[6:7], v[187:188]
	v_fma_f64 v[175:176], v[175:176], v[6:7], -v[8:9]
	v_add_f64_e32 v[187:188], 0, v[189:190]
	v_add_f64_e32 v[189:190], 0, v[191:192]
	scratch_load_b128 v[6:9], off, off offset:720
	v_fma_f64 v[193:194], v[4:5], v[10:11], v[193:194]
	v_fma_f64 v[195:196], v[2:3], v[10:11], -v[12:13]
	ds_load_b128 v[2:5], v1 offset:1616
	s_wait_loadcnt_dscnt 0x901
	v_mul_f64_e32 v[191:192], v[183:184], v[16:17]
	v_mul_f64_e32 v[16:17], v[185:186], v[16:17]
	scratch_load_b128 v[10:13], off, off offset:736
	v_add_f64_e32 v[187:188], v[187:188], v[175:176]
	v_add_f64_e32 v[189:190], v[189:190], v[177:178]
	s_wait_loadcnt_dscnt 0x900
	v_mul_f64_e32 v[197:198], v[2:3], v[20:21]
	v_mul_f64_e32 v[20:21], v[4:5], v[20:21]
	ds_load_b128 v[175:178], v1 offset:1632
	v_fma_f64 v[185:186], v[185:186], v[14:15], v[191:192]
	v_fma_f64 v[183:184], v[183:184], v[14:15], -v[16:17]
	scratch_load_b128 v[14:17], off, off offset:752
	v_add_f64_e32 v[187:188], v[187:188], v[195:196]
	v_add_f64_e32 v[189:190], v[189:190], v[193:194]
	v_fma_f64 v[193:194], v[4:5], v[18:19], v[197:198]
	v_fma_f64 v[195:196], v[2:3], v[18:19], -v[20:21]
	ds_load_b128 v[2:5], v1 offset:1648
	s_wait_loadcnt_dscnt 0x901
	v_mul_f64_e32 v[191:192], v[175:176], v[24:25]
	v_mul_f64_e32 v[24:25], v[177:178], v[24:25]
	scratch_load_b128 v[18:21], off, off offset:768
	s_wait_loadcnt_dscnt 0x900
	v_mul_f64_e32 v[197:198], v[2:3], v[28:29]
	v_mul_f64_e32 v[28:29], v[4:5], v[28:29]
	v_add_f64_e32 v[187:188], v[187:188], v[183:184]
	v_add_f64_e32 v[189:190], v[189:190], v[185:186]
	ds_load_b128 v[183:186], v1 offset:1664
	v_fma_f64 v[177:178], v[177:178], v[22:23], v[191:192]
	v_fma_f64 v[175:176], v[175:176], v[22:23], -v[24:25]
	scratch_load_b128 v[22:25], off, off offset:784
	v_add_f64_e32 v[187:188], v[187:188], v[195:196]
	v_add_f64_e32 v[189:190], v[189:190], v[193:194]
	v_fma_f64 v[193:194], v[4:5], v[26:27], v[197:198]
	v_fma_f64 v[195:196], v[2:3], v[26:27], -v[28:29]
	ds_load_b128 v[2:5], v1 offset:1680
	s_wait_loadcnt_dscnt 0x901
	v_mul_f64_e32 v[191:192], v[183:184], v[32:33]
	v_mul_f64_e32 v[32:33], v[185:186], v[32:33]
	scratch_load_b128 v[26:29], off, off offset:800
	s_wait_loadcnt_dscnt 0x900
	v_mul_f64_e32 v[197:198], v[2:3], v[40:41]
	v_mul_f64_e32 v[40:41], v[4:5], v[40:41]
	v_add_f64_e32 v[187:188], v[187:188], v[175:176]
	v_add_f64_e32 v[189:190], v[189:190], v[177:178]
	ds_load_b128 v[175:178], v1 offset:1696
	v_fma_f64 v[185:186], v[185:186], v[30:31], v[191:192]
	v_fma_f64 v[183:184], v[183:184], v[30:31], -v[32:33]
	scratch_load_b128 v[30:33], off, off offset:816
	v_add_f64_e32 v[187:188], v[187:188], v[195:196]
	v_add_f64_e32 v[189:190], v[189:190], v[193:194]
	v_fma_f64 v[195:196], v[4:5], v[38:39], v[197:198]
	v_fma_f64 v[197:198], v[2:3], v[38:39], -v[40:41]
	ds_load_b128 v[2:5], v1 offset:1712
	s_wait_loadcnt_dscnt 0x801
	v_mul_f64_e32 v[191:192], v[175:176], v[181:182]
	v_mul_f64_e32 v[193:194], v[177:178], v[181:182]
	scratch_load_b128 v[38:41], off, off offset:832
	v_add_f64_e32 v[187:188], v[187:188], v[183:184]
	v_add_f64_e32 v[185:186], v[189:190], v[185:186]
	ds_load_b128 v[181:184], v1 offset:1728
	v_fma_f64 v[191:192], v[177:178], v[179:180], v[191:192]
	v_fma_f64 v[179:180], v[175:176], v[179:180], -v[193:194]
	scratch_load_b128 v[175:178], off, off offset:848
	s_wait_loadcnt_dscnt 0x901
	v_mul_f64_e32 v[189:190], v[2:3], v[36:37]
	v_mul_f64_e32 v[36:37], v[4:5], v[36:37]
	v_add_f64_e32 v[187:188], v[187:188], v[197:198]
	v_add_f64_e32 v[185:186], v[185:186], v[195:196]
	s_delay_alu instid0(VALU_DEP_4) | instskip(NEXT) | instid1(VALU_DEP_4)
	v_fma_f64 v[189:190], v[4:5], v[34:35], v[189:190]
	v_fma_f64 v[195:196], v[2:3], v[34:35], -v[36:37]
	ds_load_b128 v[2:5], v1 offset:1744
	s_wait_loadcnt_dscnt 0x801
	v_mul_f64_e32 v[193:194], v[181:182], v[8:9]
	v_mul_f64_e32 v[8:9], v[183:184], v[8:9]
	scratch_load_b128 v[34:37], off, off offset:864
	s_wait_loadcnt_dscnt 0x800
	v_mul_f64_e32 v[197:198], v[2:3], v[12:13]
	v_add_f64_e32 v[179:180], v[187:188], v[179:180]
	v_add_f64_e32 v[191:192], v[185:186], v[191:192]
	v_mul_f64_e32 v[12:13], v[4:5], v[12:13]
	ds_load_b128 v[185:188], v1 offset:1760
	v_fma_f64 v[183:184], v[183:184], v[6:7], v[193:194]
	v_fma_f64 v[181:182], v[181:182], v[6:7], -v[8:9]
	scratch_load_b128 v[6:9], off, off offset:880
	v_fma_f64 v[193:194], v[4:5], v[10:11], v[197:198]
	v_add_f64_e32 v[179:180], v[179:180], v[195:196]
	v_add_f64_e32 v[189:190], v[191:192], v[189:190]
	v_fma_f64 v[195:196], v[2:3], v[10:11], -v[12:13]
	ds_load_b128 v[2:5], v1 offset:1776
	s_wait_loadcnt_dscnt 0x801
	v_mul_f64_e32 v[191:192], v[185:186], v[16:17]
	v_mul_f64_e32 v[16:17], v[187:188], v[16:17]
	scratch_load_b128 v[10:13], off, off offset:896
	v_add_f64_e32 v[197:198], v[179:180], v[181:182]
	v_add_f64_e32 v[183:184], v[189:190], v[183:184]
	s_wait_loadcnt_dscnt 0x800
	v_mul_f64_e32 v[189:190], v[2:3], v[20:21]
	v_mul_f64_e32 v[20:21], v[4:5], v[20:21]
	v_fma_f64 v[187:188], v[187:188], v[14:15], v[191:192]
	v_fma_f64 v[185:186], v[185:186], v[14:15], -v[16:17]
	ds_load_b128 v[179:182], v1 offset:1792
	scratch_load_b128 v[14:17], off, off offset:912
	v_add_f64_e32 v[191:192], v[197:198], v[195:196]
	v_add_f64_e32 v[183:184], v[183:184], v[193:194]
	v_fma_f64 v[189:190], v[4:5], v[18:19], v[189:190]
	v_fma_f64 v[195:196], v[2:3], v[18:19], -v[20:21]
	ds_load_b128 v[2:5], v1 offset:1808
	s_wait_loadcnt_dscnt 0x801
	v_mul_f64_e32 v[193:194], v[179:180], v[24:25]
	v_mul_f64_e32 v[24:25], v[181:182], v[24:25]
	scratch_load_b128 v[18:21], off, off offset:928
	s_wait_loadcnt_dscnt 0x800
	v_mul_f64_e32 v[197:198], v[2:3], v[28:29]
	v_mul_f64_e32 v[28:29], v[4:5], v[28:29]
	v_add_f64_e32 v[191:192], v[191:192], v[185:186]
	v_add_f64_e32 v[187:188], v[183:184], v[187:188]
	ds_load_b128 v[183:186], v1 offset:1824
	v_fma_f64 v[181:182], v[181:182], v[22:23], v[193:194]
	v_fma_f64 v[179:180], v[179:180], v[22:23], -v[24:25]
	scratch_load_b128 v[22:25], off, off offset:944
	v_fma_f64 v[193:194], v[4:5], v[26:27], v[197:198]
	v_add_f64_e32 v[191:192], v[191:192], v[195:196]
	v_add_f64_e32 v[187:188], v[187:188], v[189:190]
	v_fma_f64 v[195:196], v[2:3], v[26:27], -v[28:29]
	ds_load_b128 v[2:5], v1 offset:1840
	s_wait_loadcnt_dscnt 0x801
	v_mul_f64_e32 v[189:190], v[183:184], v[32:33]
	v_mul_f64_e32 v[32:33], v[185:186], v[32:33]
	scratch_load_b128 v[26:29], off, off offset:960
	s_wait_loadcnt_dscnt 0x800
	v_mul_f64_e32 v[197:198], v[2:3], v[40:41]
	v_mul_f64_e32 v[40:41], v[4:5], v[40:41]
	v_add_f64_e32 v[191:192], v[191:192], v[179:180]
	v_add_f64_e32 v[187:188], v[187:188], v[181:182]
	ds_load_b128 v[179:182], v1 offset:1856
	v_fma_f64 v[185:186], v[185:186], v[30:31], v[189:190]
	v_fma_f64 v[183:184], v[183:184], v[30:31], -v[32:33]
	scratch_load_b128 v[30:33], off, off offset:976
	v_add_f64_e32 v[189:190], v[191:192], v[195:196]
	v_add_f64_e32 v[187:188], v[187:188], v[193:194]
	v_fma_f64 v[193:194], v[4:5], v[38:39], v[197:198]
	v_fma_f64 v[195:196], v[2:3], v[38:39], -v[40:41]
	ds_load_b128 v[2:5], v1 offset:1872
	s_wait_loadcnt_dscnt 0x801
	v_mul_f64_e32 v[191:192], v[179:180], v[177:178]
	v_mul_f64_e32 v[177:178], v[181:182], v[177:178]
	scratch_load_b128 v[38:41], off, off offset:992
	s_wait_loadcnt_dscnt 0x800
	v_mul_f64_e32 v[197:198], v[2:3], v[36:37]
	v_mul_f64_e32 v[36:37], v[4:5], v[36:37]
	v_add_f64_e32 v[189:190], v[189:190], v[183:184]
	v_add_f64_e32 v[187:188], v[187:188], v[185:186]
	ds_load_b128 v[183:186], v1 offset:1888
	v_fma_f64 v[181:182], v[181:182], v[175:176], v[191:192]
	v_fma_f64 v[179:180], v[179:180], v[175:176], -v[177:178]
	scratch_load_b128 v[175:178], off, off offset:1008
	v_add_f64_e32 v[189:190], v[189:190], v[195:196]
	v_add_f64_e32 v[187:188], v[187:188], v[193:194]
	v_fma_f64 v[193:194], v[4:5], v[34:35], v[197:198]
	v_fma_f64 v[195:196], v[2:3], v[34:35], -v[36:37]
	ds_load_b128 v[2:5], v1 offset:1904
	s_wait_loadcnt_dscnt 0x801
	v_mul_f64_e32 v[191:192], v[183:184], v[8:9]
	v_mul_f64_e32 v[8:9], v[185:186], v[8:9]
	scratch_load_b128 v[34:37], off, off offset:1024
	s_wait_loadcnt_dscnt 0x800
	v_mul_f64_e32 v[197:198], v[2:3], v[12:13]
	v_mul_f64_e32 v[12:13], v[4:5], v[12:13]
	v_add_f64_e32 v[189:190], v[189:190], v[179:180]
	v_add_f64_e32 v[187:188], v[187:188], v[181:182]
	ds_load_b128 v[179:182], v1 offset:1920
	v_fma_f64 v[185:186], v[185:186], v[6:7], v[191:192]
	v_fma_f64 v[6:7], v[183:184], v[6:7], -v[8:9]
	v_add_f64_e32 v[8:9], v[189:190], v[195:196]
	v_add_f64_e32 v[183:184], v[187:188], v[193:194]
	s_wait_loadcnt_dscnt 0x700
	v_mul_f64_e32 v[187:188], v[179:180], v[16:17]
	v_mul_f64_e32 v[16:17], v[181:182], v[16:17]
	v_fma_f64 v[189:190], v[4:5], v[10:11], v[197:198]
	v_fma_f64 v[10:11], v[2:3], v[10:11], -v[12:13]
	v_add_f64_e32 v[12:13], v[8:9], v[6:7]
	v_add_f64_e32 v[183:184], v[183:184], v[185:186]
	ds_load_b128 v[2:5], v1 offset:1936
	ds_load_b128 v[6:9], v1 offset:1952
	v_fma_f64 v[181:182], v[181:182], v[14:15], v[187:188]
	v_fma_f64 v[14:15], v[179:180], v[14:15], -v[16:17]
	s_wait_loadcnt_dscnt 0x601
	v_mul_f64_e32 v[185:186], v[2:3], v[20:21]
	v_mul_f64_e32 v[20:21], v[4:5], v[20:21]
	s_wait_loadcnt_dscnt 0x500
	v_mul_f64_e32 v[16:17], v[6:7], v[24:25]
	v_mul_f64_e32 v[24:25], v[8:9], v[24:25]
	v_add_f64_e32 v[10:11], v[12:13], v[10:11]
	v_add_f64_e32 v[12:13], v[183:184], v[189:190]
	v_fma_f64 v[179:180], v[4:5], v[18:19], v[185:186]
	v_fma_f64 v[18:19], v[2:3], v[18:19], -v[20:21]
	v_fma_f64 v[8:9], v[8:9], v[22:23], v[16:17]
	v_fma_f64 v[6:7], v[6:7], v[22:23], -v[24:25]
	v_add_f64_e32 v[14:15], v[10:11], v[14:15]
	v_add_f64_e32 v[20:21], v[12:13], v[181:182]
	ds_load_b128 v[2:5], v1 offset:1968
	ds_load_b128 v[10:13], v1 offset:1984
	s_wait_loadcnt_dscnt 0x401
	v_mul_f64_e32 v[181:182], v[2:3], v[28:29]
	v_mul_f64_e32 v[28:29], v[4:5], v[28:29]
	v_add_f64_e32 v[14:15], v[14:15], v[18:19]
	v_add_f64_e32 v[16:17], v[20:21], v[179:180]
	s_wait_loadcnt_dscnt 0x300
	v_mul_f64_e32 v[18:19], v[10:11], v[32:33]
	v_mul_f64_e32 v[20:21], v[12:13], v[32:33]
	v_fma_f64 v[22:23], v[4:5], v[26:27], v[181:182]
	v_fma_f64 v[24:25], v[2:3], v[26:27], -v[28:29]
	v_add_f64_e32 v[14:15], v[14:15], v[6:7]
	v_add_f64_e32 v[16:17], v[16:17], v[8:9]
	ds_load_b128 v[2:5], v1 offset:2000
	ds_load_b128 v[6:9], v1 offset:2016
	v_fma_f64 v[12:13], v[12:13], v[30:31], v[18:19]
	v_fma_f64 v[10:11], v[10:11], v[30:31], -v[20:21]
	s_wait_loadcnt_dscnt 0x201
	v_mul_f64_e32 v[26:27], v[2:3], v[40:41]
	v_mul_f64_e32 v[28:29], v[4:5], v[40:41]
	s_wait_loadcnt_dscnt 0x100
	v_mul_f64_e32 v[18:19], v[6:7], v[177:178]
	v_mul_f64_e32 v[20:21], v[8:9], v[177:178]
	v_add_f64_e32 v[14:15], v[14:15], v[24:25]
	v_add_f64_e32 v[16:17], v[16:17], v[22:23]
	v_fma_f64 v[22:23], v[4:5], v[38:39], v[26:27]
	v_fma_f64 v[24:25], v[2:3], v[38:39], -v[28:29]
	ds_load_b128 v[2:5], v1 offset:2032
	v_fma_f64 v[8:9], v[8:9], v[175:176], v[18:19]
	v_fma_f64 v[6:7], v[6:7], v[175:176], -v[20:21]
	v_add_f64_e32 v[10:11], v[14:15], v[10:11]
	v_add_f64_e32 v[12:13], v[16:17], v[12:13]
	s_wait_loadcnt_dscnt 0x0
	v_mul_f64_e32 v[14:15], v[2:3], v[36:37]
	v_mul_f64_e32 v[16:17], v[4:5], v[36:37]
	s_delay_alu instid0(VALU_DEP_4) | instskip(NEXT) | instid1(VALU_DEP_4)
	v_add_f64_e32 v[10:11], v[10:11], v[24:25]
	v_add_f64_e32 v[12:13], v[12:13], v[22:23]
	s_delay_alu instid0(VALU_DEP_4) | instskip(NEXT) | instid1(VALU_DEP_4)
	v_fma_f64 v[4:5], v[4:5], v[34:35], v[14:15]
	v_fma_f64 v[2:3], v[2:3], v[34:35], -v[16:17]
	s_delay_alu instid0(VALU_DEP_4) | instskip(NEXT) | instid1(VALU_DEP_4)
	v_add_f64_e32 v[6:7], v[10:11], v[6:7]
	v_add_f64_e32 v[8:9], v[12:13], v[8:9]
	s_delay_alu instid0(VALU_DEP_2) | instskip(NEXT) | instid1(VALU_DEP_2)
	v_add_f64_e32 v[2:3], v[6:7], v[2:3]
	v_add_f64_e32 v[4:5], v[8:9], v[4:5]
	s_delay_alu instid0(VALU_DEP_2) | instskip(NEXT) | instid1(VALU_DEP_2)
	v_add_f64_e64 v[2:3], v[42:43], -v[2:3]
	v_add_f64_e64 v[4:5], v[44:45], -v[4:5]
	scratch_store_b128 off, v[2:5], off offset:528
	v_cmpx_lt_u32_e32 31, v0
	s_cbranch_execz .LBB63_347
; %bb.346:
	scratch_load_b128 v[5:8], off, s9
	v_dual_mov_b32 v2, v1 :: v_dual_mov_b32 v3, v1
	v_mov_b32_e32 v4, v1
	scratch_store_b128 off, v[1:4], off offset:512
	s_wait_loadcnt 0x0
	ds_store_b128 v174, v[5:8]
.LBB63_347:
	s_wait_alu 0xfffe
	s_or_b32 exec_lo, exec_lo, s0
	s_wait_storecnt_dscnt 0x0
	s_barrier_signal -1
	s_barrier_wait -1
	global_inv scope:SCOPE_SE
	s_clause 0x8
	scratch_load_b128 v[2:5], off, off offset:528
	scratch_load_b128 v[6:9], off, off offset:544
	scratch_load_b128 v[10:13], off, off offset:560
	scratch_load_b128 v[14:17], off, off offset:576
	scratch_load_b128 v[18:21], off, off offset:592
	scratch_load_b128 v[22:25], off, off offset:608
	scratch_load_b128 v[26:29], off, off offset:624
	scratch_load_b128 v[30:33], off, off offset:640
	scratch_load_b128 v[34:37], off, off offset:656
	ds_load_b128 v[38:41], v1 offset:1536
	ds_load_b128 v[42:45], v1 offset:1552
	s_clause 0x1
	scratch_load_b128 v[175:178], off, off offset:512
	scratch_load_b128 v[179:182], off, off offset:672
	s_mov_b32 s0, exec_lo
	s_wait_loadcnt_dscnt 0xa01
	v_mul_f64_e32 v[183:184], v[40:41], v[4:5]
	v_mul_f64_e32 v[4:5], v[38:39], v[4:5]
	s_wait_loadcnt_dscnt 0x900
	v_mul_f64_e32 v[187:188], v[42:43], v[8:9]
	v_mul_f64_e32 v[8:9], v[44:45], v[8:9]
	s_delay_alu instid0(VALU_DEP_4) | instskip(NEXT) | instid1(VALU_DEP_4)
	v_fma_f64 v[189:190], v[38:39], v[2:3], -v[183:184]
	v_fma_f64 v[191:192], v[40:41], v[2:3], v[4:5]
	ds_load_b128 v[2:5], v1 offset:1568
	ds_load_b128 v[183:186], v1 offset:1584
	scratch_load_b128 v[38:41], off, off offset:688
	v_fma_f64 v[44:45], v[44:45], v[6:7], v[187:188]
	v_fma_f64 v[42:43], v[42:43], v[6:7], -v[8:9]
	scratch_load_b128 v[6:9], off, off offset:704
	s_wait_loadcnt_dscnt 0xa01
	v_mul_f64_e32 v[193:194], v[2:3], v[12:13]
	v_mul_f64_e32 v[12:13], v[4:5], v[12:13]
	v_add_f64_e32 v[187:188], 0, v[189:190]
	v_add_f64_e32 v[189:190], 0, v[191:192]
	s_wait_loadcnt_dscnt 0x900
	v_mul_f64_e32 v[191:192], v[183:184], v[16:17]
	v_mul_f64_e32 v[16:17], v[185:186], v[16:17]
	v_fma_f64 v[193:194], v[4:5], v[10:11], v[193:194]
	v_fma_f64 v[195:196], v[2:3], v[10:11], -v[12:13]
	ds_load_b128 v[2:5], v1 offset:1600
	scratch_load_b128 v[10:13], off, off offset:720
	v_add_f64_e32 v[187:188], v[187:188], v[42:43]
	v_add_f64_e32 v[189:190], v[189:190], v[44:45]
	ds_load_b128 v[42:45], v1 offset:1616
	v_fma_f64 v[185:186], v[185:186], v[14:15], v[191:192]
	v_fma_f64 v[183:184], v[183:184], v[14:15], -v[16:17]
	scratch_load_b128 v[14:17], off, off offset:736
	s_wait_loadcnt_dscnt 0xa01
	v_mul_f64_e32 v[197:198], v[2:3], v[20:21]
	v_mul_f64_e32 v[20:21], v[4:5], v[20:21]
	s_wait_loadcnt_dscnt 0x900
	v_mul_f64_e32 v[191:192], v[42:43], v[24:25]
	v_mul_f64_e32 v[24:25], v[44:45], v[24:25]
	v_add_f64_e32 v[187:188], v[187:188], v[195:196]
	v_add_f64_e32 v[189:190], v[189:190], v[193:194]
	v_fma_f64 v[193:194], v[4:5], v[18:19], v[197:198]
	v_fma_f64 v[195:196], v[2:3], v[18:19], -v[20:21]
	ds_load_b128 v[2:5], v1 offset:1632
	scratch_load_b128 v[18:21], off, off offset:752
	v_fma_f64 v[44:45], v[44:45], v[22:23], v[191:192]
	v_fma_f64 v[42:43], v[42:43], v[22:23], -v[24:25]
	scratch_load_b128 v[22:25], off, off offset:768
	v_add_f64_e32 v[187:188], v[187:188], v[183:184]
	v_add_f64_e32 v[189:190], v[189:190], v[185:186]
	ds_load_b128 v[183:186], v1 offset:1648
	s_wait_loadcnt_dscnt 0xa01
	v_mul_f64_e32 v[197:198], v[2:3], v[28:29]
	v_mul_f64_e32 v[28:29], v[4:5], v[28:29]
	s_wait_loadcnt_dscnt 0x900
	v_mul_f64_e32 v[191:192], v[183:184], v[32:33]
	v_mul_f64_e32 v[32:33], v[185:186], v[32:33]
	v_add_f64_e32 v[187:188], v[187:188], v[195:196]
	v_add_f64_e32 v[189:190], v[189:190], v[193:194]
	v_fma_f64 v[193:194], v[4:5], v[26:27], v[197:198]
	v_fma_f64 v[195:196], v[2:3], v[26:27], -v[28:29]
	ds_load_b128 v[2:5], v1 offset:1664
	scratch_load_b128 v[26:29], off, off offset:784
	v_fma_f64 v[185:186], v[185:186], v[30:31], v[191:192]
	v_fma_f64 v[183:184], v[183:184], v[30:31], -v[32:33]
	scratch_load_b128 v[30:33], off, off offset:800
	v_add_f64_e32 v[187:188], v[187:188], v[42:43]
	v_add_f64_e32 v[189:190], v[189:190], v[44:45]
	ds_load_b128 v[42:45], v1 offset:1680
	s_wait_loadcnt_dscnt 0xa01
	v_mul_f64_e32 v[197:198], v[2:3], v[36:37]
	v_mul_f64_e32 v[36:37], v[4:5], v[36:37]
	s_wait_loadcnt_dscnt 0x800
	v_mul_f64_e32 v[191:192], v[42:43], v[181:182]
	v_add_f64_e32 v[187:188], v[187:188], v[195:196]
	v_add_f64_e32 v[189:190], v[189:190], v[193:194]
	v_mul_f64_e32 v[193:194], v[44:45], v[181:182]
	v_fma_f64 v[195:196], v[4:5], v[34:35], v[197:198]
	v_fma_f64 v[197:198], v[2:3], v[34:35], -v[36:37]
	ds_load_b128 v[2:5], v1 offset:1696
	scratch_load_b128 v[34:37], off, off offset:816
	v_fma_f64 v[44:45], v[44:45], v[179:180], v[191:192]
	v_add_f64_e32 v[187:188], v[187:188], v[183:184]
	v_add_f64_e32 v[185:186], v[189:190], v[185:186]
	ds_load_b128 v[181:184], v1 offset:1712
	v_fma_f64 v[179:180], v[42:43], v[179:180], -v[193:194]
	s_wait_loadcnt_dscnt 0x801
	v_mul_f64_e32 v[189:190], v[2:3], v[40:41]
	v_mul_f64_e32 v[199:200], v[4:5], v[40:41]
	scratch_load_b128 v[40:43], off, off offset:832
	s_wait_loadcnt_dscnt 0x800
	v_mul_f64_e32 v[193:194], v[181:182], v[8:9]
	v_mul_f64_e32 v[8:9], v[183:184], v[8:9]
	v_add_f64_e32 v[187:188], v[187:188], v[197:198]
	v_add_f64_e32 v[185:186], v[185:186], v[195:196]
	v_fma_f64 v[195:196], v[4:5], v[38:39], v[189:190]
	v_fma_f64 v[38:39], v[2:3], v[38:39], -v[199:200]
	ds_load_b128 v[2:5], v1 offset:1728
	ds_load_b128 v[189:192], v1 offset:1744
	v_fma_f64 v[183:184], v[183:184], v[6:7], v[193:194]
	v_fma_f64 v[181:182], v[181:182], v[6:7], -v[8:9]
	scratch_load_b128 v[6:9], off, off offset:864
	v_add_f64_e32 v[179:180], v[187:188], v[179:180]
	v_add_f64_e32 v[44:45], v[185:186], v[44:45]
	scratch_load_b128 v[185:188], off, off offset:848
	s_wait_loadcnt_dscnt 0x901
	v_mul_f64_e32 v[197:198], v[2:3], v[12:13]
	v_mul_f64_e32 v[12:13], v[4:5], v[12:13]
	s_wait_loadcnt_dscnt 0x800
	v_mul_f64_e32 v[193:194], v[189:190], v[16:17]
	v_mul_f64_e32 v[16:17], v[191:192], v[16:17]
	v_add_f64_e32 v[38:39], v[179:180], v[38:39]
	v_add_f64_e32 v[44:45], v[44:45], v[195:196]
	v_fma_f64 v[195:196], v[4:5], v[10:11], v[197:198]
	v_fma_f64 v[197:198], v[2:3], v[10:11], -v[12:13]
	ds_load_b128 v[2:5], v1 offset:1760
	scratch_load_b128 v[10:13], off, off offset:880
	v_fma_f64 v[191:192], v[191:192], v[14:15], v[193:194]
	v_fma_f64 v[189:190], v[189:190], v[14:15], -v[16:17]
	scratch_load_b128 v[14:17], off, off offset:896
	v_add_f64_e32 v[38:39], v[38:39], v[181:182]
	v_add_f64_e32 v[44:45], v[44:45], v[183:184]
	ds_load_b128 v[179:182], v1 offset:1776
	s_wait_loadcnt_dscnt 0x901
	v_mul_f64_e32 v[183:184], v[2:3], v[20:21]
	v_mul_f64_e32 v[20:21], v[4:5], v[20:21]
	s_wait_loadcnt_dscnt 0x800
	v_mul_f64_e32 v[193:194], v[179:180], v[24:25]
	v_mul_f64_e32 v[24:25], v[181:182], v[24:25]
	v_add_f64_e32 v[38:39], v[38:39], v[197:198]
	v_add_f64_e32 v[44:45], v[44:45], v[195:196]
	v_fma_f64 v[183:184], v[4:5], v[18:19], v[183:184]
	v_fma_f64 v[195:196], v[2:3], v[18:19], -v[20:21]
	ds_load_b128 v[2:5], v1 offset:1792
	scratch_load_b128 v[18:21], off, off offset:912
	v_fma_f64 v[181:182], v[181:182], v[22:23], v[193:194]
	v_fma_f64 v[179:180], v[179:180], v[22:23], -v[24:25]
	scratch_load_b128 v[22:25], off, off offset:928
	v_add_f64_e32 v[38:39], v[38:39], v[189:190]
	v_add_f64_e32 v[44:45], v[44:45], v[191:192]
	ds_load_b128 v[189:192], v1 offset:1808
	s_wait_loadcnt_dscnt 0x901
	v_mul_f64_e32 v[197:198], v[2:3], v[28:29]
	v_mul_f64_e32 v[28:29], v[4:5], v[28:29]
	v_add_f64_e32 v[38:39], v[38:39], v[195:196]
	v_add_f64_e32 v[44:45], v[44:45], v[183:184]
	s_wait_loadcnt_dscnt 0x800
	v_mul_f64_e32 v[183:184], v[189:190], v[32:33]
	v_mul_f64_e32 v[32:33], v[191:192], v[32:33]
	v_fma_f64 v[193:194], v[4:5], v[26:27], v[197:198]
	v_fma_f64 v[195:196], v[2:3], v[26:27], -v[28:29]
	ds_load_b128 v[2:5], v1 offset:1824
	scratch_load_b128 v[26:29], off, off offset:944
	v_add_f64_e32 v[38:39], v[38:39], v[179:180]
	v_add_f64_e32 v[44:45], v[44:45], v[181:182]
	ds_load_b128 v[179:182], v1 offset:1840
	s_wait_loadcnt_dscnt 0x801
	v_mul_f64_e32 v[197:198], v[2:3], v[36:37]
	v_mul_f64_e32 v[36:37], v[4:5], v[36:37]
	v_fma_f64 v[183:184], v[191:192], v[30:31], v[183:184]
	v_fma_f64 v[189:190], v[189:190], v[30:31], -v[32:33]
	scratch_load_b128 v[30:33], off, off offset:960
	s_wait_loadcnt_dscnt 0x800
	v_mul_f64_e32 v[191:192], v[179:180], v[42:43]
	v_add_f64_e32 v[38:39], v[38:39], v[195:196]
	v_add_f64_e32 v[44:45], v[44:45], v[193:194]
	v_mul_f64_e32 v[193:194], v[181:182], v[42:43]
	v_fma_f64 v[195:196], v[4:5], v[34:35], v[197:198]
	v_fma_f64 v[197:198], v[2:3], v[34:35], -v[36:37]
	ds_load_b128 v[2:5], v1 offset:1856
	scratch_load_b128 v[34:37], off, off offset:976
	v_fma_f64 v[181:182], v[181:182], v[40:41], v[191:192]
	v_add_f64_e32 v[38:39], v[38:39], v[189:190]
	v_add_f64_e32 v[183:184], v[44:45], v[183:184]
	ds_load_b128 v[42:45], v1 offset:1872
	v_fma_f64 v[179:180], v[179:180], v[40:41], -v[193:194]
	s_wait_loadcnt_dscnt 0x701
	v_mul_f64_e32 v[189:190], v[2:3], v[187:188]
	v_mul_f64_e32 v[187:188], v[4:5], v[187:188]
	s_wait_dscnt 0x0
	v_mul_f64_e32 v[193:194], v[42:43], v[8:9]
	v_mul_f64_e32 v[8:9], v[44:45], v[8:9]
	v_add_f64_e32 v[191:192], v[38:39], v[197:198]
	v_add_f64_e32 v[183:184], v[183:184], v[195:196]
	scratch_load_b128 v[38:41], off, off offset:992
	v_fma_f64 v[189:190], v[4:5], v[185:186], v[189:190]
	v_fma_f64 v[187:188], v[2:3], v[185:186], -v[187:188]
	ds_load_b128 v[2:5], v1 offset:1888
	v_fma_f64 v[44:45], v[44:45], v[6:7], v[193:194]
	v_fma_f64 v[42:43], v[42:43], v[6:7], -v[8:9]
	scratch_load_b128 v[6:9], off, off offset:1024
	v_add_f64_e32 v[191:192], v[191:192], v[179:180]
	v_add_f64_e32 v[195:196], v[183:184], v[181:182]
	scratch_load_b128 v[179:182], off, off offset:1008
	ds_load_b128 v[183:186], v1 offset:1904
	s_wait_loadcnt_dscnt 0x901
	v_mul_f64_e32 v[197:198], v[2:3], v[12:13]
	v_mul_f64_e32 v[12:13], v[4:5], v[12:13]
	v_add_f64_e32 v[187:188], v[191:192], v[187:188]
	v_add_f64_e32 v[189:190], v[195:196], v[189:190]
	s_wait_loadcnt_dscnt 0x800
	v_mul_f64_e32 v[191:192], v[183:184], v[16:17]
	v_mul_f64_e32 v[16:17], v[185:186], v[16:17]
	v_fma_f64 v[193:194], v[4:5], v[10:11], v[197:198]
	v_fma_f64 v[195:196], v[2:3], v[10:11], -v[12:13]
	ds_load_b128 v[2:5], v1 offset:1920
	ds_load_b128 v[10:13], v1 offset:1936
	v_add_f64_e32 v[42:43], v[187:188], v[42:43]
	v_add_f64_e32 v[44:45], v[189:190], v[44:45]
	s_wait_loadcnt_dscnt 0x701
	v_mul_f64_e32 v[187:188], v[2:3], v[20:21]
	v_mul_f64_e32 v[20:21], v[4:5], v[20:21]
	v_fma_f64 v[185:186], v[185:186], v[14:15], v[191:192]
	v_fma_f64 v[14:15], v[183:184], v[14:15], -v[16:17]
	v_add_f64_e32 v[16:17], v[42:43], v[195:196]
	v_add_f64_e32 v[42:43], v[44:45], v[193:194]
	s_wait_loadcnt_dscnt 0x600
	v_mul_f64_e32 v[44:45], v[10:11], v[24:25]
	v_mul_f64_e32 v[24:25], v[12:13], v[24:25]
	v_fma_f64 v[183:184], v[4:5], v[18:19], v[187:188]
	v_fma_f64 v[18:19], v[2:3], v[18:19], -v[20:21]
	v_add_f64_e32 v[20:21], v[16:17], v[14:15]
	v_add_f64_e32 v[42:43], v[42:43], v[185:186]
	ds_load_b128 v[2:5], v1 offset:1952
	ds_load_b128 v[14:17], v1 offset:1968
	v_fma_f64 v[12:13], v[12:13], v[22:23], v[44:45]
	v_fma_f64 v[10:11], v[10:11], v[22:23], -v[24:25]
	s_wait_loadcnt_dscnt 0x501
	v_mul_f64_e32 v[185:186], v[2:3], v[28:29]
	v_mul_f64_e32 v[28:29], v[4:5], v[28:29]
	s_wait_loadcnt_dscnt 0x400
	v_mul_f64_e32 v[22:23], v[14:15], v[32:33]
	v_mul_f64_e32 v[24:25], v[16:17], v[32:33]
	v_add_f64_e32 v[18:19], v[20:21], v[18:19]
	v_add_f64_e32 v[20:21], v[42:43], v[183:184]
	v_fma_f64 v[32:33], v[4:5], v[26:27], v[185:186]
	v_fma_f64 v[26:27], v[2:3], v[26:27], -v[28:29]
	v_fma_f64 v[16:17], v[16:17], v[30:31], v[22:23]
	v_fma_f64 v[14:15], v[14:15], v[30:31], -v[24:25]
	v_add_f64_e32 v[18:19], v[18:19], v[10:11]
	v_add_f64_e32 v[20:21], v[20:21], v[12:13]
	ds_load_b128 v[2:5], v1 offset:1984
	ds_load_b128 v[10:13], v1 offset:2000
	s_wait_loadcnt_dscnt 0x301
	v_mul_f64_e32 v[28:29], v[2:3], v[36:37]
	v_mul_f64_e32 v[36:37], v[4:5], v[36:37]
	v_add_f64_e32 v[18:19], v[18:19], v[26:27]
	v_add_f64_e32 v[20:21], v[20:21], v[32:33]
	s_wait_loadcnt_dscnt 0x200
	v_mul_f64_e32 v[22:23], v[10:11], v[40:41]
	v_mul_f64_e32 v[24:25], v[12:13], v[40:41]
	v_fma_f64 v[26:27], v[4:5], v[34:35], v[28:29]
	v_fma_f64 v[28:29], v[2:3], v[34:35], -v[36:37]
	v_add_f64_e32 v[18:19], v[18:19], v[14:15]
	v_add_f64_e32 v[20:21], v[20:21], v[16:17]
	ds_load_b128 v[2:5], v1 offset:2016
	ds_load_b128 v[14:17], v1 offset:2032
	v_fma_f64 v[12:13], v[12:13], v[38:39], v[22:23]
	v_fma_f64 v[10:11], v[10:11], v[38:39], -v[24:25]
	s_wait_loadcnt_dscnt 0x1
	v_mul_f64_e32 v[30:31], v[2:3], v[181:182]
	v_mul_f64_e32 v[32:33], v[4:5], v[181:182]
	s_wait_dscnt 0x0
	v_mul_f64_e32 v[22:23], v[14:15], v[8:9]
	v_mul_f64_e32 v[8:9], v[16:17], v[8:9]
	v_add_f64_e32 v[18:19], v[18:19], v[28:29]
	v_add_f64_e32 v[20:21], v[20:21], v[26:27]
	v_fma_f64 v[4:5], v[4:5], v[179:180], v[30:31]
	v_fma_f64 v[1:2], v[2:3], v[179:180], -v[32:33]
	v_fma_f64 v[16:17], v[16:17], v[6:7], v[22:23]
	v_fma_f64 v[6:7], v[14:15], v[6:7], -v[8:9]
	v_add_f64_e32 v[10:11], v[18:19], v[10:11]
	v_add_f64_e32 v[12:13], v[20:21], v[12:13]
	s_delay_alu instid0(VALU_DEP_2) | instskip(NEXT) | instid1(VALU_DEP_2)
	v_add_f64_e32 v[1:2], v[10:11], v[1:2]
	v_add_f64_e32 v[3:4], v[12:13], v[4:5]
	s_delay_alu instid0(VALU_DEP_2) | instskip(NEXT) | instid1(VALU_DEP_2)
	;; [unrolled: 3-line block ×3, first 2 shown]
	v_add_f64_e64 v[1:2], v[175:176], -v[1:2]
	v_add_f64_e64 v[3:4], v[177:178], -v[3:4]
	scratch_store_b128 off, v[1:4], off offset:512
	v_cmpx_lt_u32_e32 30, v0
	s_cbranch_execz .LBB63_349
; %bb.348:
	scratch_load_b128 v[1:4], off, s12
	v_mov_b32_e32 v5, 0
	s_delay_alu instid0(VALU_DEP_1)
	v_dual_mov_b32 v6, v5 :: v_dual_mov_b32 v7, v5
	v_mov_b32_e32 v8, v5
	scratch_store_b128 off, v[5:8], off offset:496
	s_wait_loadcnt 0x0
	ds_store_b128 v174, v[1:4]
.LBB63_349:
	s_wait_alu 0xfffe
	s_or_b32 exec_lo, exec_lo, s0
	s_wait_storecnt_dscnt 0x0
	s_barrier_signal -1
	s_barrier_wait -1
	global_inv scope:SCOPE_SE
	s_clause 0x7
	scratch_load_b128 v[2:5], off, off offset:512
	scratch_load_b128 v[6:9], off, off offset:528
	;; [unrolled: 1-line block ×8, first 2 shown]
	v_mov_b32_e32 v1, 0
	s_mov_b32 s0, exec_lo
	ds_load_b128 v[34:37], v1 offset:1520
	s_clause 0x1
	scratch_load_b128 v[38:41], off, off offset:640
	scratch_load_b128 v[42:45], off, off offset:496
	ds_load_b128 v[175:178], v1 offset:1536
	scratch_load_b128 v[179:182], off, off offset:656
	s_wait_loadcnt_dscnt 0xa01
	v_mul_f64_e32 v[183:184], v[36:37], v[4:5]
	v_mul_f64_e32 v[4:5], v[34:35], v[4:5]
	s_delay_alu instid0(VALU_DEP_2) | instskip(NEXT) | instid1(VALU_DEP_2)
	v_fma_f64 v[189:190], v[34:35], v[2:3], -v[183:184]
	v_fma_f64 v[191:192], v[36:37], v[2:3], v[4:5]
	ds_load_b128 v[2:5], v1 offset:1552
	s_wait_loadcnt_dscnt 0x901
	v_mul_f64_e32 v[187:188], v[175:176], v[8:9]
	v_mul_f64_e32 v[8:9], v[177:178], v[8:9]
	scratch_load_b128 v[34:37], off, off offset:672
	ds_load_b128 v[183:186], v1 offset:1568
	s_wait_loadcnt_dscnt 0x901
	v_mul_f64_e32 v[193:194], v[2:3], v[12:13]
	v_mul_f64_e32 v[12:13], v[4:5], v[12:13]
	v_fma_f64 v[177:178], v[177:178], v[6:7], v[187:188]
	v_fma_f64 v[175:176], v[175:176], v[6:7], -v[8:9]
	v_add_f64_e32 v[187:188], 0, v[189:190]
	v_add_f64_e32 v[189:190], 0, v[191:192]
	scratch_load_b128 v[6:9], off, off offset:688
	v_fma_f64 v[193:194], v[4:5], v[10:11], v[193:194]
	v_fma_f64 v[195:196], v[2:3], v[10:11], -v[12:13]
	ds_load_b128 v[2:5], v1 offset:1584
	s_wait_loadcnt_dscnt 0x901
	v_mul_f64_e32 v[191:192], v[183:184], v[16:17]
	v_mul_f64_e32 v[16:17], v[185:186], v[16:17]
	scratch_load_b128 v[10:13], off, off offset:704
	v_add_f64_e32 v[187:188], v[187:188], v[175:176]
	v_add_f64_e32 v[189:190], v[189:190], v[177:178]
	s_wait_loadcnt_dscnt 0x900
	v_mul_f64_e32 v[197:198], v[2:3], v[20:21]
	v_mul_f64_e32 v[20:21], v[4:5], v[20:21]
	ds_load_b128 v[175:178], v1 offset:1600
	v_fma_f64 v[185:186], v[185:186], v[14:15], v[191:192]
	v_fma_f64 v[183:184], v[183:184], v[14:15], -v[16:17]
	scratch_load_b128 v[14:17], off, off offset:720
	v_add_f64_e32 v[187:188], v[187:188], v[195:196]
	v_add_f64_e32 v[189:190], v[189:190], v[193:194]
	v_fma_f64 v[193:194], v[4:5], v[18:19], v[197:198]
	v_fma_f64 v[195:196], v[2:3], v[18:19], -v[20:21]
	ds_load_b128 v[2:5], v1 offset:1616
	s_wait_loadcnt_dscnt 0x901
	v_mul_f64_e32 v[191:192], v[175:176], v[24:25]
	v_mul_f64_e32 v[24:25], v[177:178], v[24:25]
	scratch_load_b128 v[18:21], off, off offset:736
	s_wait_loadcnt_dscnt 0x900
	v_mul_f64_e32 v[197:198], v[2:3], v[28:29]
	v_mul_f64_e32 v[28:29], v[4:5], v[28:29]
	v_add_f64_e32 v[187:188], v[187:188], v[183:184]
	v_add_f64_e32 v[189:190], v[189:190], v[185:186]
	ds_load_b128 v[183:186], v1 offset:1632
	v_fma_f64 v[177:178], v[177:178], v[22:23], v[191:192]
	v_fma_f64 v[175:176], v[175:176], v[22:23], -v[24:25]
	scratch_load_b128 v[22:25], off, off offset:752
	v_add_f64_e32 v[187:188], v[187:188], v[195:196]
	v_add_f64_e32 v[189:190], v[189:190], v[193:194]
	v_fma_f64 v[193:194], v[4:5], v[26:27], v[197:198]
	v_fma_f64 v[195:196], v[2:3], v[26:27], -v[28:29]
	ds_load_b128 v[2:5], v1 offset:1648
	s_wait_loadcnt_dscnt 0x901
	v_mul_f64_e32 v[191:192], v[183:184], v[32:33]
	v_mul_f64_e32 v[32:33], v[185:186], v[32:33]
	scratch_load_b128 v[26:29], off, off offset:768
	s_wait_loadcnt_dscnt 0x900
	v_mul_f64_e32 v[197:198], v[2:3], v[40:41]
	v_mul_f64_e32 v[40:41], v[4:5], v[40:41]
	v_add_f64_e32 v[187:188], v[187:188], v[175:176]
	v_add_f64_e32 v[189:190], v[189:190], v[177:178]
	ds_load_b128 v[175:178], v1 offset:1664
	v_fma_f64 v[185:186], v[185:186], v[30:31], v[191:192]
	v_fma_f64 v[183:184], v[183:184], v[30:31], -v[32:33]
	scratch_load_b128 v[30:33], off, off offset:784
	v_add_f64_e32 v[187:188], v[187:188], v[195:196]
	v_add_f64_e32 v[189:190], v[189:190], v[193:194]
	v_fma_f64 v[195:196], v[4:5], v[38:39], v[197:198]
	v_fma_f64 v[197:198], v[2:3], v[38:39], -v[40:41]
	ds_load_b128 v[2:5], v1 offset:1680
	s_wait_loadcnt_dscnt 0x801
	v_mul_f64_e32 v[191:192], v[175:176], v[181:182]
	v_mul_f64_e32 v[193:194], v[177:178], v[181:182]
	scratch_load_b128 v[38:41], off, off offset:800
	v_add_f64_e32 v[187:188], v[187:188], v[183:184]
	v_add_f64_e32 v[185:186], v[189:190], v[185:186]
	ds_load_b128 v[181:184], v1 offset:1696
	v_fma_f64 v[191:192], v[177:178], v[179:180], v[191:192]
	v_fma_f64 v[179:180], v[175:176], v[179:180], -v[193:194]
	scratch_load_b128 v[175:178], off, off offset:816
	s_wait_loadcnt_dscnt 0x901
	v_mul_f64_e32 v[189:190], v[2:3], v[36:37]
	v_mul_f64_e32 v[36:37], v[4:5], v[36:37]
	v_add_f64_e32 v[187:188], v[187:188], v[197:198]
	v_add_f64_e32 v[185:186], v[185:186], v[195:196]
	s_delay_alu instid0(VALU_DEP_4) | instskip(NEXT) | instid1(VALU_DEP_4)
	v_fma_f64 v[189:190], v[4:5], v[34:35], v[189:190]
	v_fma_f64 v[195:196], v[2:3], v[34:35], -v[36:37]
	ds_load_b128 v[2:5], v1 offset:1712
	s_wait_loadcnt_dscnt 0x801
	v_mul_f64_e32 v[193:194], v[181:182], v[8:9]
	v_mul_f64_e32 v[8:9], v[183:184], v[8:9]
	scratch_load_b128 v[34:37], off, off offset:832
	s_wait_loadcnt_dscnt 0x800
	v_mul_f64_e32 v[197:198], v[2:3], v[12:13]
	v_add_f64_e32 v[179:180], v[187:188], v[179:180]
	v_add_f64_e32 v[191:192], v[185:186], v[191:192]
	v_mul_f64_e32 v[12:13], v[4:5], v[12:13]
	ds_load_b128 v[185:188], v1 offset:1728
	v_fma_f64 v[183:184], v[183:184], v[6:7], v[193:194]
	v_fma_f64 v[181:182], v[181:182], v[6:7], -v[8:9]
	scratch_load_b128 v[6:9], off, off offset:848
	v_fma_f64 v[193:194], v[4:5], v[10:11], v[197:198]
	v_add_f64_e32 v[179:180], v[179:180], v[195:196]
	v_add_f64_e32 v[189:190], v[191:192], v[189:190]
	v_fma_f64 v[195:196], v[2:3], v[10:11], -v[12:13]
	ds_load_b128 v[2:5], v1 offset:1744
	s_wait_loadcnt_dscnt 0x801
	v_mul_f64_e32 v[191:192], v[185:186], v[16:17]
	v_mul_f64_e32 v[16:17], v[187:188], v[16:17]
	scratch_load_b128 v[10:13], off, off offset:864
	v_add_f64_e32 v[197:198], v[179:180], v[181:182]
	v_add_f64_e32 v[183:184], v[189:190], v[183:184]
	s_wait_loadcnt_dscnt 0x800
	v_mul_f64_e32 v[189:190], v[2:3], v[20:21]
	v_mul_f64_e32 v[20:21], v[4:5], v[20:21]
	v_fma_f64 v[187:188], v[187:188], v[14:15], v[191:192]
	v_fma_f64 v[185:186], v[185:186], v[14:15], -v[16:17]
	ds_load_b128 v[179:182], v1 offset:1760
	scratch_load_b128 v[14:17], off, off offset:880
	v_add_f64_e32 v[191:192], v[197:198], v[195:196]
	v_add_f64_e32 v[183:184], v[183:184], v[193:194]
	v_fma_f64 v[189:190], v[4:5], v[18:19], v[189:190]
	v_fma_f64 v[195:196], v[2:3], v[18:19], -v[20:21]
	ds_load_b128 v[2:5], v1 offset:1776
	s_wait_loadcnt_dscnt 0x801
	v_mul_f64_e32 v[193:194], v[179:180], v[24:25]
	v_mul_f64_e32 v[24:25], v[181:182], v[24:25]
	scratch_load_b128 v[18:21], off, off offset:896
	s_wait_loadcnt_dscnt 0x800
	v_mul_f64_e32 v[197:198], v[2:3], v[28:29]
	v_mul_f64_e32 v[28:29], v[4:5], v[28:29]
	v_add_f64_e32 v[191:192], v[191:192], v[185:186]
	v_add_f64_e32 v[187:188], v[183:184], v[187:188]
	ds_load_b128 v[183:186], v1 offset:1792
	v_fma_f64 v[181:182], v[181:182], v[22:23], v[193:194]
	v_fma_f64 v[179:180], v[179:180], v[22:23], -v[24:25]
	scratch_load_b128 v[22:25], off, off offset:912
	v_fma_f64 v[193:194], v[4:5], v[26:27], v[197:198]
	v_add_f64_e32 v[191:192], v[191:192], v[195:196]
	v_add_f64_e32 v[187:188], v[187:188], v[189:190]
	v_fma_f64 v[195:196], v[2:3], v[26:27], -v[28:29]
	ds_load_b128 v[2:5], v1 offset:1808
	s_wait_loadcnt_dscnt 0x801
	v_mul_f64_e32 v[189:190], v[183:184], v[32:33]
	v_mul_f64_e32 v[32:33], v[185:186], v[32:33]
	scratch_load_b128 v[26:29], off, off offset:928
	s_wait_loadcnt_dscnt 0x800
	v_mul_f64_e32 v[197:198], v[2:3], v[40:41]
	v_mul_f64_e32 v[40:41], v[4:5], v[40:41]
	v_add_f64_e32 v[191:192], v[191:192], v[179:180]
	v_add_f64_e32 v[187:188], v[187:188], v[181:182]
	ds_load_b128 v[179:182], v1 offset:1824
	v_fma_f64 v[185:186], v[185:186], v[30:31], v[189:190]
	v_fma_f64 v[183:184], v[183:184], v[30:31], -v[32:33]
	scratch_load_b128 v[30:33], off, off offset:944
	v_add_f64_e32 v[189:190], v[191:192], v[195:196]
	v_add_f64_e32 v[187:188], v[187:188], v[193:194]
	v_fma_f64 v[193:194], v[4:5], v[38:39], v[197:198]
	v_fma_f64 v[195:196], v[2:3], v[38:39], -v[40:41]
	ds_load_b128 v[2:5], v1 offset:1840
	s_wait_loadcnt_dscnt 0x801
	v_mul_f64_e32 v[191:192], v[179:180], v[177:178]
	v_mul_f64_e32 v[177:178], v[181:182], v[177:178]
	scratch_load_b128 v[38:41], off, off offset:960
	s_wait_loadcnt_dscnt 0x800
	v_mul_f64_e32 v[197:198], v[2:3], v[36:37]
	v_mul_f64_e32 v[36:37], v[4:5], v[36:37]
	v_add_f64_e32 v[189:190], v[189:190], v[183:184]
	v_add_f64_e32 v[187:188], v[187:188], v[185:186]
	ds_load_b128 v[183:186], v1 offset:1856
	v_fma_f64 v[181:182], v[181:182], v[175:176], v[191:192]
	v_fma_f64 v[179:180], v[179:180], v[175:176], -v[177:178]
	scratch_load_b128 v[175:178], off, off offset:976
	v_add_f64_e32 v[189:190], v[189:190], v[195:196]
	v_add_f64_e32 v[187:188], v[187:188], v[193:194]
	v_fma_f64 v[193:194], v[4:5], v[34:35], v[197:198]
	;; [unrolled: 18-line block ×3, first 2 shown]
	v_fma_f64 v[195:196], v[2:3], v[10:11], -v[12:13]
	ds_load_b128 v[2:5], v1 offset:1904
	s_wait_loadcnt_dscnt 0x801
	v_mul_f64_e32 v[191:192], v[179:180], v[16:17]
	v_mul_f64_e32 v[16:17], v[181:182], v[16:17]
	scratch_load_b128 v[10:13], off, off offset:1024
	s_wait_loadcnt_dscnt 0x800
	v_mul_f64_e32 v[197:198], v[2:3], v[20:21]
	v_mul_f64_e32 v[20:21], v[4:5], v[20:21]
	v_add_f64_e32 v[189:190], v[189:190], v[183:184]
	v_add_f64_e32 v[187:188], v[187:188], v[185:186]
	ds_load_b128 v[183:186], v1 offset:1920
	v_fma_f64 v[181:182], v[181:182], v[14:15], v[191:192]
	v_fma_f64 v[14:15], v[179:180], v[14:15], -v[16:17]
	v_add_f64_e32 v[16:17], v[189:190], v[195:196]
	v_add_f64_e32 v[179:180], v[187:188], v[193:194]
	s_wait_loadcnt_dscnt 0x700
	v_mul_f64_e32 v[187:188], v[183:184], v[24:25]
	v_mul_f64_e32 v[24:25], v[185:186], v[24:25]
	v_fma_f64 v[189:190], v[4:5], v[18:19], v[197:198]
	v_fma_f64 v[18:19], v[2:3], v[18:19], -v[20:21]
	v_add_f64_e32 v[20:21], v[16:17], v[14:15]
	v_add_f64_e32 v[179:180], v[179:180], v[181:182]
	ds_load_b128 v[2:5], v1 offset:1936
	ds_load_b128 v[14:17], v1 offset:1952
	v_fma_f64 v[185:186], v[185:186], v[22:23], v[187:188]
	v_fma_f64 v[22:23], v[183:184], v[22:23], -v[24:25]
	s_wait_loadcnt_dscnt 0x601
	v_mul_f64_e32 v[181:182], v[2:3], v[28:29]
	v_mul_f64_e32 v[28:29], v[4:5], v[28:29]
	s_wait_loadcnt_dscnt 0x500
	v_mul_f64_e32 v[24:25], v[14:15], v[32:33]
	v_mul_f64_e32 v[32:33], v[16:17], v[32:33]
	v_add_f64_e32 v[18:19], v[20:21], v[18:19]
	v_add_f64_e32 v[20:21], v[179:180], v[189:190]
	v_fma_f64 v[179:180], v[4:5], v[26:27], v[181:182]
	v_fma_f64 v[26:27], v[2:3], v[26:27], -v[28:29]
	v_fma_f64 v[16:17], v[16:17], v[30:31], v[24:25]
	v_fma_f64 v[14:15], v[14:15], v[30:31], -v[32:33]
	v_add_f64_e32 v[22:23], v[18:19], v[22:23]
	v_add_f64_e32 v[28:29], v[20:21], v[185:186]
	ds_load_b128 v[2:5], v1 offset:1968
	ds_load_b128 v[18:21], v1 offset:1984
	s_wait_loadcnt_dscnt 0x401
	v_mul_f64_e32 v[181:182], v[2:3], v[40:41]
	v_mul_f64_e32 v[40:41], v[4:5], v[40:41]
	v_add_f64_e32 v[22:23], v[22:23], v[26:27]
	v_add_f64_e32 v[24:25], v[28:29], v[179:180]
	s_wait_loadcnt_dscnt 0x300
	v_mul_f64_e32 v[26:27], v[18:19], v[177:178]
	v_mul_f64_e32 v[28:29], v[20:21], v[177:178]
	v_fma_f64 v[30:31], v[4:5], v[38:39], v[181:182]
	v_fma_f64 v[32:33], v[2:3], v[38:39], -v[40:41]
	v_add_f64_e32 v[22:23], v[22:23], v[14:15]
	v_add_f64_e32 v[24:25], v[24:25], v[16:17]
	ds_load_b128 v[2:5], v1 offset:2000
	ds_load_b128 v[14:17], v1 offset:2016
	v_fma_f64 v[20:21], v[20:21], v[175:176], v[26:27]
	v_fma_f64 v[18:19], v[18:19], v[175:176], -v[28:29]
	s_wait_loadcnt_dscnt 0x201
	v_mul_f64_e32 v[38:39], v[2:3], v[36:37]
	v_mul_f64_e32 v[36:37], v[4:5], v[36:37]
	s_wait_loadcnt_dscnt 0x100
	v_mul_f64_e32 v[26:27], v[14:15], v[8:9]
	v_mul_f64_e32 v[8:9], v[16:17], v[8:9]
	v_add_f64_e32 v[22:23], v[22:23], v[32:33]
	v_add_f64_e32 v[24:25], v[24:25], v[30:31]
	v_fma_f64 v[28:29], v[4:5], v[34:35], v[38:39]
	v_fma_f64 v[30:31], v[2:3], v[34:35], -v[36:37]
	ds_load_b128 v[2:5], v1 offset:2032
	v_fma_f64 v[16:17], v[16:17], v[6:7], v[26:27]
	v_fma_f64 v[6:7], v[14:15], v[6:7], -v[8:9]
	v_add_f64_e32 v[18:19], v[22:23], v[18:19]
	v_add_f64_e32 v[20:21], v[24:25], v[20:21]
	s_wait_loadcnt_dscnt 0x0
	v_mul_f64_e32 v[22:23], v[2:3], v[12:13]
	v_mul_f64_e32 v[12:13], v[4:5], v[12:13]
	s_delay_alu instid0(VALU_DEP_4) | instskip(NEXT) | instid1(VALU_DEP_4)
	v_add_f64_e32 v[8:9], v[18:19], v[30:31]
	v_add_f64_e32 v[14:15], v[20:21], v[28:29]
	s_delay_alu instid0(VALU_DEP_4) | instskip(NEXT) | instid1(VALU_DEP_4)
	v_fma_f64 v[4:5], v[4:5], v[10:11], v[22:23]
	v_fma_f64 v[2:3], v[2:3], v[10:11], -v[12:13]
	s_delay_alu instid0(VALU_DEP_4) | instskip(NEXT) | instid1(VALU_DEP_4)
	v_add_f64_e32 v[6:7], v[8:9], v[6:7]
	v_add_f64_e32 v[8:9], v[14:15], v[16:17]
	s_delay_alu instid0(VALU_DEP_2) | instskip(NEXT) | instid1(VALU_DEP_2)
	v_add_f64_e32 v[2:3], v[6:7], v[2:3]
	v_add_f64_e32 v[4:5], v[8:9], v[4:5]
	s_delay_alu instid0(VALU_DEP_2) | instskip(NEXT) | instid1(VALU_DEP_2)
	v_add_f64_e64 v[2:3], v[42:43], -v[2:3]
	v_add_f64_e64 v[4:5], v[44:45], -v[4:5]
	scratch_store_b128 off, v[2:5], off offset:496
	v_cmpx_lt_u32_e32 29, v0
	s_cbranch_execz .LBB63_351
; %bb.350:
	scratch_load_b128 v[5:8], off, s11
	v_dual_mov_b32 v2, v1 :: v_dual_mov_b32 v3, v1
	v_mov_b32_e32 v4, v1
	scratch_store_b128 off, v[1:4], off offset:480
	s_wait_loadcnt 0x0
	ds_store_b128 v174, v[5:8]
.LBB63_351:
	s_wait_alu 0xfffe
	s_or_b32 exec_lo, exec_lo, s0
	s_wait_storecnt_dscnt 0x0
	s_barrier_signal -1
	s_barrier_wait -1
	global_inv scope:SCOPE_SE
	s_clause 0x8
	scratch_load_b128 v[2:5], off, off offset:496
	scratch_load_b128 v[6:9], off, off offset:512
	;; [unrolled: 1-line block ×9, first 2 shown]
	ds_load_b128 v[38:41], v1 offset:1504
	ds_load_b128 v[42:45], v1 offset:1520
	s_clause 0x1
	scratch_load_b128 v[175:178], off, off offset:480
	scratch_load_b128 v[179:182], off, off offset:640
	s_mov_b32 s0, exec_lo
	s_wait_loadcnt_dscnt 0xa01
	v_mul_f64_e32 v[183:184], v[40:41], v[4:5]
	v_mul_f64_e32 v[4:5], v[38:39], v[4:5]
	s_wait_loadcnt_dscnt 0x900
	v_mul_f64_e32 v[187:188], v[42:43], v[8:9]
	v_mul_f64_e32 v[8:9], v[44:45], v[8:9]
	s_delay_alu instid0(VALU_DEP_4) | instskip(NEXT) | instid1(VALU_DEP_4)
	v_fma_f64 v[189:190], v[38:39], v[2:3], -v[183:184]
	v_fma_f64 v[191:192], v[40:41], v[2:3], v[4:5]
	ds_load_b128 v[2:5], v1 offset:1536
	ds_load_b128 v[183:186], v1 offset:1552
	scratch_load_b128 v[38:41], off, off offset:656
	v_fma_f64 v[44:45], v[44:45], v[6:7], v[187:188]
	v_fma_f64 v[42:43], v[42:43], v[6:7], -v[8:9]
	scratch_load_b128 v[6:9], off, off offset:672
	s_wait_loadcnt_dscnt 0xa01
	v_mul_f64_e32 v[193:194], v[2:3], v[12:13]
	v_mul_f64_e32 v[12:13], v[4:5], v[12:13]
	v_add_f64_e32 v[187:188], 0, v[189:190]
	v_add_f64_e32 v[189:190], 0, v[191:192]
	s_wait_loadcnt_dscnt 0x900
	v_mul_f64_e32 v[191:192], v[183:184], v[16:17]
	v_mul_f64_e32 v[16:17], v[185:186], v[16:17]
	v_fma_f64 v[193:194], v[4:5], v[10:11], v[193:194]
	v_fma_f64 v[195:196], v[2:3], v[10:11], -v[12:13]
	ds_load_b128 v[2:5], v1 offset:1568
	scratch_load_b128 v[10:13], off, off offset:688
	v_add_f64_e32 v[187:188], v[187:188], v[42:43]
	v_add_f64_e32 v[189:190], v[189:190], v[44:45]
	ds_load_b128 v[42:45], v1 offset:1584
	v_fma_f64 v[185:186], v[185:186], v[14:15], v[191:192]
	v_fma_f64 v[183:184], v[183:184], v[14:15], -v[16:17]
	scratch_load_b128 v[14:17], off, off offset:704
	s_wait_loadcnt_dscnt 0xa01
	v_mul_f64_e32 v[197:198], v[2:3], v[20:21]
	v_mul_f64_e32 v[20:21], v[4:5], v[20:21]
	s_wait_loadcnt_dscnt 0x900
	v_mul_f64_e32 v[191:192], v[42:43], v[24:25]
	v_mul_f64_e32 v[24:25], v[44:45], v[24:25]
	v_add_f64_e32 v[187:188], v[187:188], v[195:196]
	v_add_f64_e32 v[189:190], v[189:190], v[193:194]
	v_fma_f64 v[193:194], v[4:5], v[18:19], v[197:198]
	v_fma_f64 v[195:196], v[2:3], v[18:19], -v[20:21]
	ds_load_b128 v[2:5], v1 offset:1600
	scratch_load_b128 v[18:21], off, off offset:720
	v_fma_f64 v[44:45], v[44:45], v[22:23], v[191:192]
	v_fma_f64 v[42:43], v[42:43], v[22:23], -v[24:25]
	scratch_load_b128 v[22:25], off, off offset:736
	v_add_f64_e32 v[187:188], v[187:188], v[183:184]
	v_add_f64_e32 v[189:190], v[189:190], v[185:186]
	ds_load_b128 v[183:186], v1 offset:1616
	s_wait_loadcnt_dscnt 0xa01
	v_mul_f64_e32 v[197:198], v[2:3], v[28:29]
	v_mul_f64_e32 v[28:29], v[4:5], v[28:29]
	s_wait_loadcnt_dscnt 0x900
	v_mul_f64_e32 v[191:192], v[183:184], v[32:33]
	v_mul_f64_e32 v[32:33], v[185:186], v[32:33]
	v_add_f64_e32 v[187:188], v[187:188], v[195:196]
	v_add_f64_e32 v[189:190], v[189:190], v[193:194]
	v_fma_f64 v[193:194], v[4:5], v[26:27], v[197:198]
	v_fma_f64 v[195:196], v[2:3], v[26:27], -v[28:29]
	ds_load_b128 v[2:5], v1 offset:1632
	scratch_load_b128 v[26:29], off, off offset:752
	v_fma_f64 v[185:186], v[185:186], v[30:31], v[191:192]
	v_fma_f64 v[183:184], v[183:184], v[30:31], -v[32:33]
	scratch_load_b128 v[30:33], off, off offset:768
	v_add_f64_e32 v[187:188], v[187:188], v[42:43]
	v_add_f64_e32 v[189:190], v[189:190], v[44:45]
	ds_load_b128 v[42:45], v1 offset:1648
	s_wait_loadcnt_dscnt 0xa01
	v_mul_f64_e32 v[197:198], v[2:3], v[36:37]
	v_mul_f64_e32 v[36:37], v[4:5], v[36:37]
	s_wait_loadcnt_dscnt 0x800
	v_mul_f64_e32 v[191:192], v[42:43], v[181:182]
	v_add_f64_e32 v[187:188], v[187:188], v[195:196]
	v_add_f64_e32 v[189:190], v[189:190], v[193:194]
	v_mul_f64_e32 v[193:194], v[44:45], v[181:182]
	v_fma_f64 v[195:196], v[4:5], v[34:35], v[197:198]
	v_fma_f64 v[197:198], v[2:3], v[34:35], -v[36:37]
	ds_load_b128 v[2:5], v1 offset:1664
	scratch_load_b128 v[34:37], off, off offset:784
	v_fma_f64 v[44:45], v[44:45], v[179:180], v[191:192]
	v_add_f64_e32 v[187:188], v[187:188], v[183:184]
	v_add_f64_e32 v[185:186], v[189:190], v[185:186]
	ds_load_b128 v[181:184], v1 offset:1680
	v_fma_f64 v[179:180], v[42:43], v[179:180], -v[193:194]
	s_wait_loadcnt_dscnt 0x801
	v_mul_f64_e32 v[189:190], v[2:3], v[40:41]
	v_mul_f64_e32 v[199:200], v[4:5], v[40:41]
	scratch_load_b128 v[40:43], off, off offset:800
	s_wait_loadcnt_dscnt 0x800
	v_mul_f64_e32 v[193:194], v[181:182], v[8:9]
	v_mul_f64_e32 v[8:9], v[183:184], v[8:9]
	v_add_f64_e32 v[187:188], v[187:188], v[197:198]
	v_add_f64_e32 v[185:186], v[185:186], v[195:196]
	v_fma_f64 v[195:196], v[4:5], v[38:39], v[189:190]
	v_fma_f64 v[38:39], v[2:3], v[38:39], -v[199:200]
	ds_load_b128 v[2:5], v1 offset:1696
	ds_load_b128 v[189:192], v1 offset:1712
	v_fma_f64 v[183:184], v[183:184], v[6:7], v[193:194]
	v_fma_f64 v[181:182], v[181:182], v[6:7], -v[8:9]
	scratch_load_b128 v[6:9], off, off offset:832
	v_add_f64_e32 v[179:180], v[187:188], v[179:180]
	v_add_f64_e32 v[44:45], v[185:186], v[44:45]
	scratch_load_b128 v[185:188], off, off offset:816
	s_wait_loadcnt_dscnt 0x901
	v_mul_f64_e32 v[197:198], v[2:3], v[12:13]
	v_mul_f64_e32 v[12:13], v[4:5], v[12:13]
	s_wait_loadcnt_dscnt 0x800
	v_mul_f64_e32 v[193:194], v[189:190], v[16:17]
	v_mul_f64_e32 v[16:17], v[191:192], v[16:17]
	v_add_f64_e32 v[38:39], v[179:180], v[38:39]
	v_add_f64_e32 v[44:45], v[44:45], v[195:196]
	v_fma_f64 v[195:196], v[4:5], v[10:11], v[197:198]
	v_fma_f64 v[197:198], v[2:3], v[10:11], -v[12:13]
	ds_load_b128 v[2:5], v1 offset:1728
	scratch_load_b128 v[10:13], off, off offset:848
	v_fma_f64 v[191:192], v[191:192], v[14:15], v[193:194]
	v_fma_f64 v[189:190], v[189:190], v[14:15], -v[16:17]
	scratch_load_b128 v[14:17], off, off offset:864
	v_add_f64_e32 v[38:39], v[38:39], v[181:182]
	v_add_f64_e32 v[44:45], v[44:45], v[183:184]
	ds_load_b128 v[179:182], v1 offset:1744
	s_wait_loadcnt_dscnt 0x901
	v_mul_f64_e32 v[183:184], v[2:3], v[20:21]
	v_mul_f64_e32 v[20:21], v[4:5], v[20:21]
	s_wait_loadcnt_dscnt 0x800
	v_mul_f64_e32 v[193:194], v[179:180], v[24:25]
	v_mul_f64_e32 v[24:25], v[181:182], v[24:25]
	v_add_f64_e32 v[38:39], v[38:39], v[197:198]
	v_add_f64_e32 v[44:45], v[44:45], v[195:196]
	v_fma_f64 v[183:184], v[4:5], v[18:19], v[183:184]
	v_fma_f64 v[195:196], v[2:3], v[18:19], -v[20:21]
	ds_load_b128 v[2:5], v1 offset:1760
	scratch_load_b128 v[18:21], off, off offset:880
	v_fma_f64 v[181:182], v[181:182], v[22:23], v[193:194]
	v_fma_f64 v[179:180], v[179:180], v[22:23], -v[24:25]
	scratch_load_b128 v[22:25], off, off offset:896
	v_add_f64_e32 v[38:39], v[38:39], v[189:190]
	v_add_f64_e32 v[44:45], v[44:45], v[191:192]
	ds_load_b128 v[189:192], v1 offset:1776
	s_wait_loadcnt_dscnt 0x901
	v_mul_f64_e32 v[197:198], v[2:3], v[28:29]
	v_mul_f64_e32 v[28:29], v[4:5], v[28:29]
	v_add_f64_e32 v[38:39], v[38:39], v[195:196]
	v_add_f64_e32 v[44:45], v[44:45], v[183:184]
	s_wait_loadcnt_dscnt 0x800
	v_mul_f64_e32 v[183:184], v[189:190], v[32:33]
	v_mul_f64_e32 v[32:33], v[191:192], v[32:33]
	v_fma_f64 v[193:194], v[4:5], v[26:27], v[197:198]
	v_fma_f64 v[195:196], v[2:3], v[26:27], -v[28:29]
	ds_load_b128 v[2:5], v1 offset:1792
	scratch_load_b128 v[26:29], off, off offset:912
	v_add_f64_e32 v[38:39], v[38:39], v[179:180]
	v_add_f64_e32 v[44:45], v[44:45], v[181:182]
	ds_load_b128 v[179:182], v1 offset:1808
	s_wait_loadcnt_dscnt 0x801
	v_mul_f64_e32 v[197:198], v[2:3], v[36:37]
	v_mul_f64_e32 v[36:37], v[4:5], v[36:37]
	v_fma_f64 v[183:184], v[191:192], v[30:31], v[183:184]
	v_fma_f64 v[189:190], v[189:190], v[30:31], -v[32:33]
	scratch_load_b128 v[30:33], off, off offset:928
	s_wait_loadcnt_dscnt 0x800
	v_mul_f64_e32 v[191:192], v[179:180], v[42:43]
	v_add_f64_e32 v[38:39], v[38:39], v[195:196]
	v_add_f64_e32 v[44:45], v[44:45], v[193:194]
	v_mul_f64_e32 v[193:194], v[181:182], v[42:43]
	v_fma_f64 v[195:196], v[4:5], v[34:35], v[197:198]
	v_fma_f64 v[197:198], v[2:3], v[34:35], -v[36:37]
	ds_load_b128 v[2:5], v1 offset:1824
	scratch_load_b128 v[34:37], off, off offset:944
	v_fma_f64 v[181:182], v[181:182], v[40:41], v[191:192]
	v_add_f64_e32 v[38:39], v[38:39], v[189:190]
	v_add_f64_e32 v[183:184], v[44:45], v[183:184]
	ds_load_b128 v[42:45], v1 offset:1840
	v_fma_f64 v[179:180], v[179:180], v[40:41], -v[193:194]
	s_wait_loadcnt_dscnt 0x701
	v_mul_f64_e32 v[189:190], v[2:3], v[187:188]
	v_mul_f64_e32 v[187:188], v[4:5], v[187:188]
	s_wait_dscnt 0x0
	v_mul_f64_e32 v[193:194], v[42:43], v[8:9]
	v_mul_f64_e32 v[8:9], v[44:45], v[8:9]
	v_add_f64_e32 v[191:192], v[38:39], v[197:198]
	v_add_f64_e32 v[183:184], v[183:184], v[195:196]
	scratch_load_b128 v[38:41], off, off offset:960
	v_fma_f64 v[189:190], v[4:5], v[185:186], v[189:190]
	v_fma_f64 v[187:188], v[2:3], v[185:186], -v[187:188]
	ds_load_b128 v[2:5], v1 offset:1856
	v_fma_f64 v[44:45], v[44:45], v[6:7], v[193:194]
	v_fma_f64 v[42:43], v[42:43], v[6:7], -v[8:9]
	scratch_load_b128 v[6:9], off, off offset:992
	v_add_f64_e32 v[191:192], v[191:192], v[179:180]
	v_add_f64_e32 v[195:196], v[183:184], v[181:182]
	scratch_load_b128 v[179:182], off, off offset:976
	ds_load_b128 v[183:186], v1 offset:1872
	s_wait_loadcnt_dscnt 0x901
	v_mul_f64_e32 v[197:198], v[2:3], v[12:13]
	v_mul_f64_e32 v[12:13], v[4:5], v[12:13]
	v_add_f64_e32 v[187:188], v[191:192], v[187:188]
	v_add_f64_e32 v[189:190], v[195:196], v[189:190]
	s_wait_loadcnt_dscnt 0x800
	v_mul_f64_e32 v[191:192], v[183:184], v[16:17]
	v_mul_f64_e32 v[16:17], v[185:186], v[16:17]
	v_fma_f64 v[193:194], v[4:5], v[10:11], v[197:198]
	v_fma_f64 v[195:196], v[2:3], v[10:11], -v[12:13]
	ds_load_b128 v[2:5], v1 offset:1888
	scratch_load_b128 v[10:13], off, off offset:1008
	v_add_f64_e32 v[187:188], v[187:188], v[42:43]
	v_add_f64_e32 v[189:190], v[189:190], v[44:45]
	ds_load_b128 v[42:45], v1 offset:1904
	s_wait_loadcnt_dscnt 0x801
	v_mul_f64_e32 v[197:198], v[2:3], v[20:21]
	v_mul_f64_e32 v[20:21], v[4:5], v[20:21]
	v_fma_f64 v[185:186], v[185:186], v[14:15], v[191:192]
	v_fma_f64 v[183:184], v[183:184], v[14:15], -v[16:17]
	scratch_load_b128 v[14:17], off, off offset:1024
	s_wait_loadcnt_dscnt 0x800
	v_mul_f64_e32 v[191:192], v[42:43], v[24:25]
	v_mul_f64_e32 v[24:25], v[44:45], v[24:25]
	v_add_f64_e32 v[187:188], v[187:188], v[195:196]
	v_add_f64_e32 v[189:190], v[189:190], v[193:194]
	v_fma_f64 v[193:194], v[4:5], v[18:19], v[197:198]
	v_fma_f64 v[195:196], v[2:3], v[18:19], -v[20:21]
	ds_load_b128 v[2:5], v1 offset:1920
	ds_load_b128 v[18:21], v1 offset:1936
	v_fma_f64 v[44:45], v[44:45], v[22:23], v[191:192]
	v_fma_f64 v[22:23], v[42:43], v[22:23], -v[24:25]
	v_add_f64_e32 v[183:184], v[187:188], v[183:184]
	v_add_f64_e32 v[185:186], v[189:190], v[185:186]
	s_wait_loadcnt_dscnt 0x701
	v_mul_f64_e32 v[187:188], v[2:3], v[28:29]
	v_mul_f64_e32 v[28:29], v[4:5], v[28:29]
	s_delay_alu instid0(VALU_DEP_4) | instskip(NEXT) | instid1(VALU_DEP_4)
	v_add_f64_e32 v[24:25], v[183:184], v[195:196]
	v_add_f64_e32 v[42:43], v[185:186], v[193:194]
	s_wait_loadcnt_dscnt 0x600
	v_mul_f64_e32 v[183:184], v[18:19], v[32:33]
	v_mul_f64_e32 v[32:33], v[20:21], v[32:33]
	v_fma_f64 v[185:186], v[4:5], v[26:27], v[187:188]
	v_fma_f64 v[26:27], v[2:3], v[26:27], -v[28:29]
	v_add_f64_e32 v[28:29], v[24:25], v[22:23]
	v_add_f64_e32 v[42:43], v[42:43], v[44:45]
	ds_load_b128 v[2:5], v1 offset:1952
	ds_load_b128 v[22:25], v1 offset:1968
	v_fma_f64 v[20:21], v[20:21], v[30:31], v[183:184]
	v_fma_f64 v[18:19], v[18:19], v[30:31], -v[32:33]
	s_wait_loadcnt_dscnt 0x501
	v_mul_f64_e32 v[44:45], v[2:3], v[36:37]
	v_mul_f64_e32 v[36:37], v[4:5], v[36:37]
	v_add_f64_e32 v[26:27], v[28:29], v[26:27]
	v_add_f64_e32 v[28:29], v[42:43], v[185:186]
	s_wait_loadcnt_dscnt 0x400
	v_mul_f64_e32 v[30:31], v[22:23], v[40:41]
	v_mul_f64_e32 v[32:33], v[24:25], v[40:41]
	v_fma_f64 v[40:41], v[4:5], v[34:35], v[44:45]
	v_fma_f64 v[34:35], v[2:3], v[34:35], -v[36:37]
	v_add_f64_e32 v[26:27], v[26:27], v[18:19]
	v_add_f64_e32 v[28:29], v[28:29], v[20:21]
	ds_load_b128 v[2:5], v1 offset:1984
	ds_load_b128 v[18:21], v1 offset:2000
	v_fma_f64 v[24:25], v[24:25], v[38:39], v[30:31]
	v_fma_f64 v[22:23], v[22:23], v[38:39], -v[32:33]
	s_wait_loadcnt_dscnt 0x201
	v_mul_f64_e32 v[36:37], v[2:3], v[181:182]
	v_mul_f64_e32 v[42:43], v[4:5], v[181:182]
	s_wait_dscnt 0x0
	v_mul_f64_e32 v[30:31], v[18:19], v[8:9]
	v_mul_f64_e32 v[8:9], v[20:21], v[8:9]
	v_add_f64_e32 v[26:27], v[26:27], v[34:35]
	v_add_f64_e32 v[28:29], v[28:29], v[40:41]
	v_fma_f64 v[32:33], v[4:5], v[179:180], v[36:37]
	v_fma_f64 v[34:35], v[2:3], v[179:180], -v[42:43]
	v_fma_f64 v[20:21], v[20:21], v[6:7], v[30:31]
	v_fma_f64 v[6:7], v[18:19], v[6:7], -v[8:9]
	v_add_f64_e32 v[26:27], v[26:27], v[22:23]
	v_add_f64_e32 v[28:29], v[28:29], v[24:25]
	ds_load_b128 v[2:5], v1 offset:2016
	ds_load_b128 v[22:25], v1 offset:2032
	s_wait_loadcnt_dscnt 0x101
	v_mul_f64_e32 v[36:37], v[2:3], v[12:13]
	v_mul_f64_e32 v[12:13], v[4:5], v[12:13]
	v_add_f64_e32 v[8:9], v[26:27], v[34:35]
	v_add_f64_e32 v[18:19], v[28:29], v[32:33]
	s_wait_loadcnt_dscnt 0x0
	v_mul_f64_e32 v[26:27], v[22:23], v[16:17]
	v_mul_f64_e32 v[16:17], v[24:25], v[16:17]
	v_fma_f64 v[4:5], v[4:5], v[10:11], v[36:37]
	v_fma_f64 v[1:2], v[2:3], v[10:11], -v[12:13]
	v_add_f64_e32 v[6:7], v[8:9], v[6:7]
	v_add_f64_e32 v[8:9], v[18:19], v[20:21]
	v_fma_f64 v[10:11], v[24:25], v[14:15], v[26:27]
	v_fma_f64 v[12:13], v[22:23], v[14:15], -v[16:17]
	s_delay_alu instid0(VALU_DEP_4) | instskip(NEXT) | instid1(VALU_DEP_4)
	v_add_f64_e32 v[1:2], v[6:7], v[1:2]
	v_add_f64_e32 v[3:4], v[8:9], v[4:5]
	s_delay_alu instid0(VALU_DEP_2) | instskip(NEXT) | instid1(VALU_DEP_2)
	v_add_f64_e32 v[1:2], v[1:2], v[12:13]
	v_add_f64_e32 v[3:4], v[3:4], v[10:11]
	s_delay_alu instid0(VALU_DEP_2) | instskip(NEXT) | instid1(VALU_DEP_2)
	v_add_f64_e64 v[1:2], v[175:176], -v[1:2]
	v_add_f64_e64 v[3:4], v[177:178], -v[3:4]
	scratch_store_b128 off, v[1:4], off offset:480
	v_cmpx_lt_u32_e32 28, v0
	s_cbranch_execz .LBB63_353
; %bb.352:
	scratch_load_b128 v[1:4], off, s14
	v_mov_b32_e32 v5, 0
	s_delay_alu instid0(VALU_DEP_1)
	v_dual_mov_b32 v6, v5 :: v_dual_mov_b32 v7, v5
	v_mov_b32_e32 v8, v5
	scratch_store_b128 off, v[5:8], off offset:464
	s_wait_loadcnt 0x0
	ds_store_b128 v174, v[1:4]
.LBB63_353:
	s_wait_alu 0xfffe
	s_or_b32 exec_lo, exec_lo, s0
	s_wait_storecnt_dscnt 0x0
	s_barrier_signal -1
	s_barrier_wait -1
	global_inv scope:SCOPE_SE
	s_clause 0x7
	scratch_load_b128 v[2:5], off, off offset:480
	scratch_load_b128 v[6:9], off, off offset:496
	;; [unrolled: 1-line block ×8, first 2 shown]
	v_mov_b32_e32 v1, 0
	s_mov_b32 s0, exec_lo
	ds_load_b128 v[38:41], v1 offset:1488
	s_clause 0x1
	scratch_load_b128 v[34:37], off, off offset:608
	scratch_load_b128 v[42:45], off, off offset:464
	ds_load_b128 v[175:178], v1 offset:1504
	scratch_load_b128 v[179:182], off, off offset:624
	s_wait_loadcnt_dscnt 0xa01
	v_mul_f64_e32 v[183:184], v[40:41], v[4:5]
	v_mul_f64_e32 v[4:5], v[38:39], v[4:5]
	s_delay_alu instid0(VALU_DEP_2) | instskip(NEXT) | instid1(VALU_DEP_2)
	v_fma_f64 v[189:190], v[38:39], v[2:3], -v[183:184]
	v_fma_f64 v[191:192], v[40:41], v[2:3], v[4:5]
	ds_load_b128 v[2:5], v1 offset:1520
	s_wait_loadcnt_dscnt 0x901
	v_mul_f64_e32 v[187:188], v[175:176], v[8:9]
	v_mul_f64_e32 v[8:9], v[177:178], v[8:9]
	scratch_load_b128 v[38:41], off, off offset:640
	ds_load_b128 v[183:186], v1 offset:1536
	s_wait_loadcnt_dscnt 0x901
	v_mul_f64_e32 v[193:194], v[2:3], v[12:13]
	v_mul_f64_e32 v[12:13], v[4:5], v[12:13]
	v_fma_f64 v[177:178], v[177:178], v[6:7], v[187:188]
	v_fma_f64 v[175:176], v[175:176], v[6:7], -v[8:9]
	v_add_f64_e32 v[187:188], 0, v[189:190]
	v_add_f64_e32 v[189:190], 0, v[191:192]
	scratch_load_b128 v[6:9], off, off offset:656
	v_fma_f64 v[193:194], v[4:5], v[10:11], v[193:194]
	v_fma_f64 v[195:196], v[2:3], v[10:11], -v[12:13]
	ds_load_b128 v[2:5], v1 offset:1552
	s_wait_loadcnt_dscnt 0x901
	v_mul_f64_e32 v[191:192], v[183:184], v[16:17]
	v_mul_f64_e32 v[16:17], v[185:186], v[16:17]
	scratch_load_b128 v[10:13], off, off offset:672
	v_add_f64_e32 v[187:188], v[187:188], v[175:176]
	v_add_f64_e32 v[189:190], v[189:190], v[177:178]
	s_wait_loadcnt_dscnt 0x900
	v_mul_f64_e32 v[197:198], v[2:3], v[20:21]
	v_mul_f64_e32 v[20:21], v[4:5], v[20:21]
	ds_load_b128 v[175:178], v1 offset:1568
	v_fma_f64 v[185:186], v[185:186], v[14:15], v[191:192]
	v_fma_f64 v[183:184], v[183:184], v[14:15], -v[16:17]
	scratch_load_b128 v[14:17], off, off offset:688
	v_add_f64_e32 v[187:188], v[187:188], v[195:196]
	v_add_f64_e32 v[189:190], v[189:190], v[193:194]
	v_fma_f64 v[193:194], v[4:5], v[18:19], v[197:198]
	v_fma_f64 v[195:196], v[2:3], v[18:19], -v[20:21]
	ds_load_b128 v[2:5], v1 offset:1584
	s_wait_loadcnt_dscnt 0x901
	v_mul_f64_e32 v[191:192], v[175:176], v[24:25]
	v_mul_f64_e32 v[24:25], v[177:178], v[24:25]
	scratch_load_b128 v[18:21], off, off offset:704
	s_wait_loadcnt_dscnt 0x900
	v_mul_f64_e32 v[197:198], v[2:3], v[28:29]
	v_mul_f64_e32 v[28:29], v[4:5], v[28:29]
	v_add_f64_e32 v[187:188], v[187:188], v[183:184]
	v_add_f64_e32 v[189:190], v[189:190], v[185:186]
	ds_load_b128 v[183:186], v1 offset:1600
	v_fma_f64 v[177:178], v[177:178], v[22:23], v[191:192]
	v_fma_f64 v[175:176], v[175:176], v[22:23], -v[24:25]
	scratch_load_b128 v[22:25], off, off offset:720
	v_add_f64_e32 v[187:188], v[187:188], v[195:196]
	v_add_f64_e32 v[189:190], v[189:190], v[193:194]
	v_fma_f64 v[193:194], v[4:5], v[26:27], v[197:198]
	v_fma_f64 v[195:196], v[2:3], v[26:27], -v[28:29]
	ds_load_b128 v[2:5], v1 offset:1616
	s_wait_loadcnt_dscnt 0x901
	v_mul_f64_e32 v[191:192], v[183:184], v[32:33]
	v_mul_f64_e32 v[32:33], v[185:186], v[32:33]
	scratch_load_b128 v[26:29], off, off offset:736
	s_wait_loadcnt_dscnt 0x900
	v_mul_f64_e32 v[197:198], v[2:3], v[36:37]
	v_mul_f64_e32 v[36:37], v[4:5], v[36:37]
	v_add_f64_e32 v[187:188], v[187:188], v[175:176]
	v_add_f64_e32 v[189:190], v[189:190], v[177:178]
	ds_load_b128 v[175:178], v1 offset:1632
	v_fma_f64 v[185:186], v[185:186], v[30:31], v[191:192]
	v_fma_f64 v[183:184], v[183:184], v[30:31], -v[32:33]
	scratch_load_b128 v[30:33], off, off offset:752
	v_add_f64_e32 v[187:188], v[187:188], v[195:196]
	v_add_f64_e32 v[189:190], v[189:190], v[193:194]
	v_fma_f64 v[195:196], v[4:5], v[34:35], v[197:198]
	v_fma_f64 v[197:198], v[2:3], v[34:35], -v[36:37]
	ds_load_b128 v[2:5], v1 offset:1648
	s_wait_loadcnt_dscnt 0x801
	v_mul_f64_e32 v[191:192], v[175:176], v[181:182]
	v_mul_f64_e32 v[193:194], v[177:178], v[181:182]
	scratch_load_b128 v[34:37], off, off offset:768
	v_add_f64_e32 v[187:188], v[187:188], v[183:184]
	v_add_f64_e32 v[185:186], v[189:190], v[185:186]
	ds_load_b128 v[181:184], v1 offset:1664
	v_fma_f64 v[191:192], v[177:178], v[179:180], v[191:192]
	v_fma_f64 v[179:180], v[175:176], v[179:180], -v[193:194]
	scratch_load_b128 v[175:178], off, off offset:784
	s_wait_loadcnt_dscnt 0x901
	v_mul_f64_e32 v[189:190], v[2:3], v[40:41]
	v_mul_f64_e32 v[40:41], v[4:5], v[40:41]
	v_add_f64_e32 v[187:188], v[187:188], v[197:198]
	v_add_f64_e32 v[185:186], v[185:186], v[195:196]
	s_delay_alu instid0(VALU_DEP_4) | instskip(NEXT) | instid1(VALU_DEP_4)
	v_fma_f64 v[189:190], v[4:5], v[38:39], v[189:190]
	v_fma_f64 v[195:196], v[2:3], v[38:39], -v[40:41]
	ds_load_b128 v[2:5], v1 offset:1680
	s_wait_loadcnt_dscnt 0x801
	v_mul_f64_e32 v[193:194], v[181:182], v[8:9]
	v_mul_f64_e32 v[8:9], v[183:184], v[8:9]
	scratch_load_b128 v[38:41], off, off offset:800
	s_wait_loadcnt_dscnt 0x800
	v_mul_f64_e32 v[197:198], v[2:3], v[12:13]
	v_add_f64_e32 v[179:180], v[187:188], v[179:180]
	v_add_f64_e32 v[191:192], v[185:186], v[191:192]
	v_mul_f64_e32 v[12:13], v[4:5], v[12:13]
	ds_load_b128 v[185:188], v1 offset:1696
	v_fma_f64 v[183:184], v[183:184], v[6:7], v[193:194]
	v_fma_f64 v[181:182], v[181:182], v[6:7], -v[8:9]
	scratch_load_b128 v[6:9], off, off offset:816
	v_fma_f64 v[193:194], v[4:5], v[10:11], v[197:198]
	v_add_f64_e32 v[179:180], v[179:180], v[195:196]
	v_add_f64_e32 v[189:190], v[191:192], v[189:190]
	v_fma_f64 v[195:196], v[2:3], v[10:11], -v[12:13]
	ds_load_b128 v[2:5], v1 offset:1712
	s_wait_loadcnt_dscnt 0x801
	v_mul_f64_e32 v[191:192], v[185:186], v[16:17]
	v_mul_f64_e32 v[16:17], v[187:188], v[16:17]
	scratch_load_b128 v[10:13], off, off offset:832
	v_add_f64_e32 v[197:198], v[179:180], v[181:182]
	v_add_f64_e32 v[183:184], v[189:190], v[183:184]
	s_wait_loadcnt_dscnt 0x800
	v_mul_f64_e32 v[189:190], v[2:3], v[20:21]
	v_mul_f64_e32 v[20:21], v[4:5], v[20:21]
	v_fma_f64 v[187:188], v[187:188], v[14:15], v[191:192]
	v_fma_f64 v[185:186], v[185:186], v[14:15], -v[16:17]
	ds_load_b128 v[179:182], v1 offset:1728
	scratch_load_b128 v[14:17], off, off offset:848
	v_add_f64_e32 v[191:192], v[197:198], v[195:196]
	v_add_f64_e32 v[183:184], v[183:184], v[193:194]
	v_fma_f64 v[189:190], v[4:5], v[18:19], v[189:190]
	v_fma_f64 v[195:196], v[2:3], v[18:19], -v[20:21]
	ds_load_b128 v[2:5], v1 offset:1744
	s_wait_loadcnt_dscnt 0x801
	v_mul_f64_e32 v[193:194], v[179:180], v[24:25]
	v_mul_f64_e32 v[24:25], v[181:182], v[24:25]
	scratch_load_b128 v[18:21], off, off offset:864
	s_wait_loadcnt_dscnt 0x800
	v_mul_f64_e32 v[197:198], v[2:3], v[28:29]
	v_mul_f64_e32 v[28:29], v[4:5], v[28:29]
	v_add_f64_e32 v[191:192], v[191:192], v[185:186]
	v_add_f64_e32 v[187:188], v[183:184], v[187:188]
	ds_load_b128 v[183:186], v1 offset:1760
	v_fma_f64 v[181:182], v[181:182], v[22:23], v[193:194]
	v_fma_f64 v[179:180], v[179:180], v[22:23], -v[24:25]
	scratch_load_b128 v[22:25], off, off offset:880
	v_fma_f64 v[193:194], v[4:5], v[26:27], v[197:198]
	v_add_f64_e32 v[191:192], v[191:192], v[195:196]
	v_add_f64_e32 v[187:188], v[187:188], v[189:190]
	v_fma_f64 v[195:196], v[2:3], v[26:27], -v[28:29]
	ds_load_b128 v[2:5], v1 offset:1776
	s_wait_loadcnt_dscnt 0x801
	v_mul_f64_e32 v[189:190], v[183:184], v[32:33]
	v_mul_f64_e32 v[32:33], v[185:186], v[32:33]
	scratch_load_b128 v[26:29], off, off offset:896
	s_wait_loadcnt_dscnt 0x800
	v_mul_f64_e32 v[197:198], v[2:3], v[36:37]
	v_mul_f64_e32 v[36:37], v[4:5], v[36:37]
	v_add_f64_e32 v[191:192], v[191:192], v[179:180]
	v_add_f64_e32 v[187:188], v[187:188], v[181:182]
	ds_load_b128 v[179:182], v1 offset:1792
	v_fma_f64 v[185:186], v[185:186], v[30:31], v[189:190]
	v_fma_f64 v[183:184], v[183:184], v[30:31], -v[32:33]
	scratch_load_b128 v[30:33], off, off offset:912
	v_add_f64_e32 v[189:190], v[191:192], v[195:196]
	v_add_f64_e32 v[187:188], v[187:188], v[193:194]
	v_fma_f64 v[193:194], v[4:5], v[34:35], v[197:198]
	v_fma_f64 v[195:196], v[2:3], v[34:35], -v[36:37]
	ds_load_b128 v[2:5], v1 offset:1808
	s_wait_loadcnt_dscnt 0x801
	v_mul_f64_e32 v[191:192], v[179:180], v[177:178]
	v_mul_f64_e32 v[177:178], v[181:182], v[177:178]
	scratch_load_b128 v[34:37], off, off offset:928
	s_wait_loadcnt_dscnt 0x800
	v_mul_f64_e32 v[197:198], v[2:3], v[40:41]
	v_mul_f64_e32 v[40:41], v[4:5], v[40:41]
	v_add_f64_e32 v[189:190], v[189:190], v[183:184]
	v_add_f64_e32 v[187:188], v[187:188], v[185:186]
	ds_load_b128 v[183:186], v1 offset:1824
	v_fma_f64 v[181:182], v[181:182], v[175:176], v[191:192]
	v_fma_f64 v[179:180], v[179:180], v[175:176], -v[177:178]
	scratch_load_b128 v[175:178], off, off offset:944
	v_add_f64_e32 v[189:190], v[189:190], v[195:196]
	v_add_f64_e32 v[187:188], v[187:188], v[193:194]
	v_fma_f64 v[193:194], v[4:5], v[38:39], v[197:198]
	v_fma_f64 v[195:196], v[2:3], v[38:39], -v[40:41]
	ds_load_b128 v[2:5], v1 offset:1840
	s_wait_loadcnt_dscnt 0x801
	v_mul_f64_e32 v[191:192], v[183:184], v[8:9]
	v_mul_f64_e32 v[8:9], v[185:186], v[8:9]
	scratch_load_b128 v[38:41], off, off offset:960
	s_wait_loadcnt_dscnt 0x800
	v_mul_f64_e32 v[197:198], v[2:3], v[12:13]
	v_mul_f64_e32 v[12:13], v[4:5], v[12:13]
	v_add_f64_e32 v[189:190], v[189:190], v[179:180]
	v_add_f64_e32 v[187:188], v[187:188], v[181:182]
	ds_load_b128 v[179:182], v1 offset:1856
	v_fma_f64 v[185:186], v[185:186], v[6:7], v[191:192]
	v_fma_f64 v[183:184], v[183:184], v[6:7], -v[8:9]
	scratch_load_b128 v[6:9], off, off offset:976
	v_add_f64_e32 v[189:190], v[189:190], v[195:196]
	v_add_f64_e32 v[187:188], v[187:188], v[193:194]
	v_fma_f64 v[193:194], v[4:5], v[10:11], v[197:198]
	v_fma_f64 v[195:196], v[2:3], v[10:11], -v[12:13]
	ds_load_b128 v[2:5], v1 offset:1872
	s_wait_loadcnt_dscnt 0x801
	v_mul_f64_e32 v[191:192], v[179:180], v[16:17]
	v_mul_f64_e32 v[16:17], v[181:182], v[16:17]
	scratch_load_b128 v[10:13], off, off offset:992
	s_wait_loadcnt_dscnt 0x800
	v_mul_f64_e32 v[197:198], v[2:3], v[20:21]
	v_mul_f64_e32 v[20:21], v[4:5], v[20:21]
	v_add_f64_e32 v[189:190], v[189:190], v[183:184]
	v_add_f64_e32 v[187:188], v[187:188], v[185:186]
	ds_load_b128 v[183:186], v1 offset:1888
	v_fma_f64 v[181:182], v[181:182], v[14:15], v[191:192]
	v_fma_f64 v[179:180], v[179:180], v[14:15], -v[16:17]
	scratch_load_b128 v[14:17], off, off offset:1008
	v_add_f64_e32 v[189:190], v[189:190], v[195:196]
	v_add_f64_e32 v[187:188], v[187:188], v[193:194]
	v_fma_f64 v[193:194], v[4:5], v[18:19], v[197:198]
	v_fma_f64 v[195:196], v[2:3], v[18:19], -v[20:21]
	ds_load_b128 v[2:5], v1 offset:1904
	s_wait_loadcnt_dscnt 0x801
	v_mul_f64_e32 v[191:192], v[183:184], v[24:25]
	v_mul_f64_e32 v[24:25], v[185:186], v[24:25]
	scratch_load_b128 v[18:21], off, off offset:1024
	s_wait_loadcnt_dscnt 0x800
	v_mul_f64_e32 v[197:198], v[2:3], v[28:29]
	v_mul_f64_e32 v[28:29], v[4:5], v[28:29]
	v_add_f64_e32 v[189:190], v[189:190], v[179:180]
	v_add_f64_e32 v[187:188], v[187:188], v[181:182]
	ds_load_b128 v[179:182], v1 offset:1920
	v_fma_f64 v[185:186], v[185:186], v[22:23], v[191:192]
	v_fma_f64 v[22:23], v[183:184], v[22:23], -v[24:25]
	v_add_f64_e32 v[24:25], v[189:190], v[195:196]
	v_add_f64_e32 v[183:184], v[187:188], v[193:194]
	s_wait_loadcnt_dscnt 0x700
	v_mul_f64_e32 v[187:188], v[179:180], v[32:33]
	v_mul_f64_e32 v[32:33], v[181:182], v[32:33]
	v_fma_f64 v[189:190], v[4:5], v[26:27], v[197:198]
	v_fma_f64 v[26:27], v[2:3], v[26:27], -v[28:29]
	v_add_f64_e32 v[28:29], v[24:25], v[22:23]
	v_add_f64_e32 v[183:184], v[183:184], v[185:186]
	ds_load_b128 v[2:5], v1 offset:1936
	ds_load_b128 v[22:25], v1 offset:1952
	v_fma_f64 v[181:182], v[181:182], v[30:31], v[187:188]
	v_fma_f64 v[30:31], v[179:180], v[30:31], -v[32:33]
	s_wait_loadcnt_dscnt 0x601
	v_mul_f64_e32 v[185:186], v[2:3], v[36:37]
	v_mul_f64_e32 v[36:37], v[4:5], v[36:37]
	s_wait_loadcnt_dscnt 0x500
	v_mul_f64_e32 v[32:33], v[22:23], v[177:178]
	v_mul_f64_e32 v[177:178], v[24:25], v[177:178]
	v_add_f64_e32 v[26:27], v[28:29], v[26:27]
	v_add_f64_e32 v[28:29], v[183:184], v[189:190]
	v_fma_f64 v[179:180], v[4:5], v[34:35], v[185:186]
	v_fma_f64 v[34:35], v[2:3], v[34:35], -v[36:37]
	v_fma_f64 v[24:25], v[24:25], v[175:176], v[32:33]
	v_fma_f64 v[22:23], v[22:23], v[175:176], -v[177:178]
	v_add_f64_e32 v[30:31], v[26:27], v[30:31]
	v_add_f64_e32 v[36:37], v[28:29], v[181:182]
	ds_load_b128 v[2:5], v1 offset:1968
	ds_load_b128 v[26:29], v1 offset:1984
	s_wait_loadcnt_dscnt 0x401
	v_mul_f64_e32 v[181:182], v[2:3], v[40:41]
	v_mul_f64_e32 v[40:41], v[4:5], v[40:41]
	v_add_f64_e32 v[30:31], v[30:31], v[34:35]
	v_add_f64_e32 v[32:33], v[36:37], v[179:180]
	s_wait_loadcnt_dscnt 0x300
	v_mul_f64_e32 v[34:35], v[26:27], v[8:9]
	v_mul_f64_e32 v[8:9], v[28:29], v[8:9]
	v_fma_f64 v[36:37], v[4:5], v[38:39], v[181:182]
	v_fma_f64 v[38:39], v[2:3], v[38:39], -v[40:41]
	v_add_f64_e32 v[30:31], v[30:31], v[22:23]
	v_add_f64_e32 v[32:33], v[32:33], v[24:25]
	ds_load_b128 v[2:5], v1 offset:2000
	ds_load_b128 v[22:25], v1 offset:2016
	v_fma_f64 v[28:29], v[28:29], v[6:7], v[34:35]
	v_fma_f64 v[6:7], v[26:27], v[6:7], -v[8:9]
	s_wait_loadcnt_dscnt 0x201
	v_mul_f64_e32 v[40:41], v[2:3], v[12:13]
	v_mul_f64_e32 v[12:13], v[4:5], v[12:13]
	v_add_f64_e32 v[8:9], v[30:31], v[38:39]
	v_add_f64_e32 v[26:27], v[32:33], v[36:37]
	s_wait_loadcnt_dscnt 0x100
	v_mul_f64_e32 v[30:31], v[22:23], v[16:17]
	v_mul_f64_e32 v[16:17], v[24:25], v[16:17]
	v_fma_f64 v[32:33], v[4:5], v[10:11], v[40:41]
	v_fma_f64 v[10:11], v[2:3], v[10:11], -v[12:13]
	ds_load_b128 v[2:5], v1 offset:2032
	v_add_f64_e32 v[6:7], v[8:9], v[6:7]
	v_add_f64_e32 v[8:9], v[26:27], v[28:29]
	v_fma_f64 v[24:25], v[24:25], v[14:15], v[30:31]
	v_fma_f64 v[14:15], v[22:23], v[14:15], -v[16:17]
	s_wait_loadcnt_dscnt 0x0
	v_mul_f64_e32 v[12:13], v[2:3], v[20:21]
	v_mul_f64_e32 v[20:21], v[4:5], v[20:21]
	v_add_f64_e32 v[6:7], v[6:7], v[10:11]
	v_add_f64_e32 v[8:9], v[8:9], v[32:33]
	s_delay_alu instid0(VALU_DEP_4) | instskip(NEXT) | instid1(VALU_DEP_4)
	v_fma_f64 v[4:5], v[4:5], v[18:19], v[12:13]
	v_fma_f64 v[2:3], v[2:3], v[18:19], -v[20:21]
	s_delay_alu instid0(VALU_DEP_4) | instskip(NEXT) | instid1(VALU_DEP_4)
	v_add_f64_e32 v[6:7], v[6:7], v[14:15]
	v_add_f64_e32 v[8:9], v[8:9], v[24:25]
	s_delay_alu instid0(VALU_DEP_2) | instskip(NEXT) | instid1(VALU_DEP_2)
	v_add_f64_e32 v[2:3], v[6:7], v[2:3]
	v_add_f64_e32 v[4:5], v[8:9], v[4:5]
	s_delay_alu instid0(VALU_DEP_2) | instskip(NEXT) | instid1(VALU_DEP_2)
	v_add_f64_e64 v[2:3], v[42:43], -v[2:3]
	v_add_f64_e64 v[4:5], v[44:45], -v[4:5]
	scratch_store_b128 off, v[2:5], off offset:464
	v_cmpx_lt_u32_e32 27, v0
	s_cbranch_execz .LBB63_355
; %bb.354:
	scratch_load_b128 v[5:8], off, s13
	v_dual_mov_b32 v2, v1 :: v_dual_mov_b32 v3, v1
	v_mov_b32_e32 v4, v1
	scratch_store_b128 off, v[1:4], off offset:448
	s_wait_loadcnt 0x0
	ds_store_b128 v174, v[5:8]
.LBB63_355:
	s_wait_alu 0xfffe
	s_or_b32 exec_lo, exec_lo, s0
	s_wait_storecnt_dscnt 0x0
	s_barrier_signal -1
	s_barrier_wait -1
	global_inv scope:SCOPE_SE
	s_clause 0x8
	scratch_load_b128 v[2:5], off, off offset:464
	scratch_load_b128 v[6:9], off, off offset:480
	;; [unrolled: 1-line block ×9, first 2 shown]
	ds_load_b128 v[38:41], v1 offset:1472
	ds_load_b128 v[42:45], v1 offset:1488
	s_clause 0x1
	scratch_load_b128 v[175:178], off, off offset:448
	scratch_load_b128 v[179:182], off, off offset:608
	s_mov_b32 s0, exec_lo
	s_wait_loadcnt_dscnt 0xa01
	v_mul_f64_e32 v[183:184], v[40:41], v[4:5]
	v_mul_f64_e32 v[4:5], v[38:39], v[4:5]
	s_wait_loadcnt_dscnt 0x900
	v_mul_f64_e32 v[187:188], v[42:43], v[8:9]
	v_mul_f64_e32 v[8:9], v[44:45], v[8:9]
	s_delay_alu instid0(VALU_DEP_4) | instskip(NEXT) | instid1(VALU_DEP_4)
	v_fma_f64 v[189:190], v[38:39], v[2:3], -v[183:184]
	v_fma_f64 v[191:192], v[40:41], v[2:3], v[4:5]
	ds_load_b128 v[2:5], v1 offset:1504
	ds_load_b128 v[183:186], v1 offset:1520
	scratch_load_b128 v[38:41], off, off offset:624
	v_fma_f64 v[44:45], v[44:45], v[6:7], v[187:188]
	v_fma_f64 v[42:43], v[42:43], v[6:7], -v[8:9]
	scratch_load_b128 v[6:9], off, off offset:640
	s_wait_loadcnt_dscnt 0xa01
	v_mul_f64_e32 v[193:194], v[2:3], v[12:13]
	v_mul_f64_e32 v[12:13], v[4:5], v[12:13]
	v_add_f64_e32 v[187:188], 0, v[189:190]
	v_add_f64_e32 v[189:190], 0, v[191:192]
	s_wait_loadcnt_dscnt 0x900
	v_mul_f64_e32 v[191:192], v[183:184], v[16:17]
	v_mul_f64_e32 v[16:17], v[185:186], v[16:17]
	v_fma_f64 v[193:194], v[4:5], v[10:11], v[193:194]
	v_fma_f64 v[195:196], v[2:3], v[10:11], -v[12:13]
	ds_load_b128 v[2:5], v1 offset:1536
	scratch_load_b128 v[10:13], off, off offset:656
	v_add_f64_e32 v[187:188], v[187:188], v[42:43]
	v_add_f64_e32 v[189:190], v[189:190], v[44:45]
	ds_load_b128 v[42:45], v1 offset:1552
	v_fma_f64 v[185:186], v[185:186], v[14:15], v[191:192]
	v_fma_f64 v[183:184], v[183:184], v[14:15], -v[16:17]
	scratch_load_b128 v[14:17], off, off offset:672
	s_wait_loadcnt_dscnt 0xa01
	v_mul_f64_e32 v[197:198], v[2:3], v[20:21]
	v_mul_f64_e32 v[20:21], v[4:5], v[20:21]
	s_wait_loadcnt_dscnt 0x900
	v_mul_f64_e32 v[191:192], v[42:43], v[24:25]
	v_mul_f64_e32 v[24:25], v[44:45], v[24:25]
	v_add_f64_e32 v[187:188], v[187:188], v[195:196]
	v_add_f64_e32 v[189:190], v[189:190], v[193:194]
	v_fma_f64 v[193:194], v[4:5], v[18:19], v[197:198]
	v_fma_f64 v[195:196], v[2:3], v[18:19], -v[20:21]
	ds_load_b128 v[2:5], v1 offset:1568
	scratch_load_b128 v[18:21], off, off offset:688
	v_fma_f64 v[44:45], v[44:45], v[22:23], v[191:192]
	v_fma_f64 v[42:43], v[42:43], v[22:23], -v[24:25]
	scratch_load_b128 v[22:25], off, off offset:704
	v_add_f64_e32 v[187:188], v[187:188], v[183:184]
	v_add_f64_e32 v[189:190], v[189:190], v[185:186]
	ds_load_b128 v[183:186], v1 offset:1584
	s_wait_loadcnt_dscnt 0xa01
	v_mul_f64_e32 v[197:198], v[2:3], v[28:29]
	v_mul_f64_e32 v[28:29], v[4:5], v[28:29]
	s_wait_loadcnt_dscnt 0x900
	v_mul_f64_e32 v[191:192], v[183:184], v[32:33]
	v_mul_f64_e32 v[32:33], v[185:186], v[32:33]
	v_add_f64_e32 v[187:188], v[187:188], v[195:196]
	v_add_f64_e32 v[189:190], v[189:190], v[193:194]
	v_fma_f64 v[193:194], v[4:5], v[26:27], v[197:198]
	v_fma_f64 v[195:196], v[2:3], v[26:27], -v[28:29]
	ds_load_b128 v[2:5], v1 offset:1600
	scratch_load_b128 v[26:29], off, off offset:720
	v_fma_f64 v[185:186], v[185:186], v[30:31], v[191:192]
	v_fma_f64 v[183:184], v[183:184], v[30:31], -v[32:33]
	scratch_load_b128 v[30:33], off, off offset:736
	v_add_f64_e32 v[187:188], v[187:188], v[42:43]
	v_add_f64_e32 v[189:190], v[189:190], v[44:45]
	ds_load_b128 v[42:45], v1 offset:1616
	s_wait_loadcnt_dscnt 0xa01
	v_mul_f64_e32 v[197:198], v[2:3], v[36:37]
	v_mul_f64_e32 v[36:37], v[4:5], v[36:37]
	s_wait_loadcnt_dscnt 0x800
	v_mul_f64_e32 v[191:192], v[42:43], v[181:182]
	v_add_f64_e32 v[187:188], v[187:188], v[195:196]
	v_add_f64_e32 v[189:190], v[189:190], v[193:194]
	v_mul_f64_e32 v[193:194], v[44:45], v[181:182]
	v_fma_f64 v[195:196], v[4:5], v[34:35], v[197:198]
	v_fma_f64 v[197:198], v[2:3], v[34:35], -v[36:37]
	ds_load_b128 v[2:5], v1 offset:1632
	scratch_load_b128 v[34:37], off, off offset:752
	v_fma_f64 v[44:45], v[44:45], v[179:180], v[191:192]
	v_add_f64_e32 v[187:188], v[187:188], v[183:184]
	v_add_f64_e32 v[185:186], v[189:190], v[185:186]
	ds_load_b128 v[181:184], v1 offset:1648
	v_fma_f64 v[179:180], v[42:43], v[179:180], -v[193:194]
	s_wait_loadcnt_dscnt 0x801
	v_mul_f64_e32 v[189:190], v[2:3], v[40:41]
	v_mul_f64_e32 v[199:200], v[4:5], v[40:41]
	scratch_load_b128 v[40:43], off, off offset:768
	s_wait_loadcnt_dscnt 0x800
	v_mul_f64_e32 v[193:194], v[181:182], v[8:9]
	v_mul_f64_e32 v[8:9], v[183:184], v[8:9]
	v_add_f64_e32 v[187:188], v[187:188], v[197:198]
	v_add_f64_e32 v[185:186], v[185:186], v[195:196]
	v_fma_f64 v[195:196], v[4:5], v[38:39], v[189:190]
	v_fma_f64 v[38:39], v[2:3], v[38:39], -v[199:200]
	ds_load_b128 v[2:5], v1 offset:1664
	ds_load_b128 v[189:192], v1 offset:1680
	v_fma_f64 v[183:184], v[183:184], v[6:7], v[193:194]
	v_fma_f64 v[181:182], v[181:182], v[6:7], -v[8:9]
	scratch_load_b128 v[6:9], off, off offset:800
	v_add_f64_e32 v[179:180], v[187:188], v[179:180]
	v_add_f64_e32 v[44:45], v[185:186], v[44:45]
	scratch_load_b128 v[185:188], off, off offset:784
	s_wait_loadcnt_dscnt 0x901
	v_mul_f64_e32 v[197:198], v[2:3], v[12:13]
	v_mul_f64_e32 v[12:13], v[4:5], v[12:13]
	s_wait_loadcnt_dscnt 0x800
	v_mul_f64_e32 v[193:194], v[189:190], v[16:17]
	v_mul_f64_e32 v[16:17], v[191:192], v[16:17]
	v_add_f64_e32 v[38:39], v[179:180], v[38:39]
	v_add_f64_e32 v[44:45], v[44:45], v[195:196]
	v_fma_f64 v[195:196], v[4:5], v[10:11], v[197:198]
	v_fma_f64 v[197:198], v[2:3], v[10:11], -v[12:13]
	ds_load_b128 v[2:5], v1 offset:1696
	scratch_load_b128 v[10:13], off, off offset:816
	v_fma_f64 v[191:192], v[191:192], v[14:15], v[193:194]
	v_fma_f64 v[189:190], v[189:190], v[14:15], -v[16:17]
	scratch_load_b128 v[14:17], off, off offset:832
	v_add_f64_e32 v[38:39], v[38:39], v[181:182]
	v_add_f64_e32 v[44:45], v[44:45], v[183:184]
	ds_load_b128 v[179:182], v1 offset:1712
	s_wait_loadcnt_dscnt 0x901
	v_mul_f64_e32 v[183:184], v[2:3], v[20:21]
	v_mul_f64_e32 v[20:21], v[4:5], v[20:21]
	s_wait_loadcnt_dscnt 0x800
	v_mul_f64_e32 v[193:194], v[179:180], v[24:25]
	v_mul_f64_e32 v[24:25], v[181:182], v[24:25]
	v_add_f64_e32 v[38:39], v[38:39], v[197:198]
	v_add_f64_e32 v[44:45], v[44:45], v[195:196]
	v_fma_f64 v[183:184], v[4:5], v[18:19], v[183:184]
	v_fma_f64 v[195:196], v[2:3], v[18:19], -v[20:21]
	ds_load_b128 v[2:5], v1 offset:1728
	scratch_load_b128 v[18:21], off, off offset:848
	v_fma_f64 v[181:182], v[181:182], v[22:23], v[193:194]
	v_fma_f64 v[179:180], v[179:180], v[22:23], -v[24:25]
	scratch_load_b128 v[22:25], off, off offset:864
	v_add_f64_e32 v[38:39], v[38:39], v[189:190]
	v_add_f64_e32 v[44:45], v[44:45], v[191:192]
	ds_load_b128 v[189:192], v1 offset:1744
	s_wait_loadcnt_dscnt 0x901
	v_mul_f64_e32 v[197:198], v[2:3], v[28:29]
	v_mul_f64_e32 v[28:29], v[4:5], v[28:29]
	v_add_f64_e32 v[38:39], v[38:39], v[195:196]
	v_add_f64_e32 v[44:45], v[44:45], v[183:184]
	s_wait_loadcnt_dscnt 0x800
	v_mul_f64_e32 v[183:184], v[189:190], v[32:33]
	v_mul_f64_e32 v[32:33], v[191:192], v[32:33]
	v_fma_f64 v[193:194], v[4:5], v[26:27], v[197:198]
	v_fma_f64 v[195:196], v[2:3], v[26:27], -v[28:29]
	ds_load_b128 v[2:5], v1 offset:1760
	scratch_load_b128 v[26:29], off, off offset:880
	v_add_f64_e32 v[38:39], v[38:39], v[179:180]
	v_add_f64_e32 v[44:45], v[44:45], v[181:182]
	ds_load_b128 v[179:182], v1 offset:1776
	s_wait_loadcnt_dscnt 0x801
	v_mul_f64_e32 v[197:198], v[2:3], v[36:37]
	v_mul_f64_e32 v[36:37], v[4:5], v[36:37]
	v_fma_f64 v[183:184], v[191:192], v[30:31], v[183:184]
	v_fma_f64 v[189:190], v[189:190], v[30:31], -v[32:33]
	scratch_load_b128 v[30:33], off, off offset:896
	s_wait_loadcnt_dscnt 0x800
	v_mul_f64_e32 v[191:192], v[179:180], v[42:43]
	v_add_f64_e32 v[38:39], v[38:39], v[195:196]
	v_add_f64_e32 v[44:45], v[44:45], v[193:194]
	v_mul_f64_e32 v[193:194], v[181:182], v[42:43]
	v_fma_f64 v[195:196], v[4:5], v[34:35], v[197:198]
	v_fma_f64 v[197:198], v[2:3], v[34:35], -v[36:37]
	ds_load_b128 v[2:5], v1 offset:1792
	scratch_load_b128 v[34:37], off, off offset:912
	v_fma_f64 v[181:182], v[181:182], v[40:41], v[191:192]
	v_add_f64_e32 v[38:39], v[38:39], v[189:190]
	v_add_f64_e32 v[183:184], v[44:45], v[183:184]
	ds_load_b128 v[42:45], v1 offset:1808
	v_fma_f64 v[179:180], v[179:180], v[40:41], -v[193:194]
	s_wait_loadcnt_dscnt 0x701
	v_mul_f64_e32 v[189:190], v[2:3], v[187:188]
	v_mul_f64_e32 v[187:188], v[4:5], v[187:188]
	s_wait_dscnt 0x0
	v_mul_f64_e32 v[193:194], v[42:43], v[8:9]
	v_mul_f64_e32 v[8:9], v[44:45], v[8:9]
	v_add_f64_e32 v[191:192], v[38:39], v[197:198]
	v_add_f64_e32 v[183:184], v[183:184], v[195:196]
	scratch_load_b128 v[38:41], off, off offset:928
	v_fma_f64 v[189:190], v[4:5], v[185:186], v[189:190]
	v_fma_f64 v[187:188], v[2:3], v[185:186], -v[187:188]
	ds_load_b128 v[2:5], v1 offset:1824
	v_fma_f64 v[44:45], v[44:45], v[6:7], v[193:194]
	v_fma_f64 v[42:43], v[42:43], v[6:7], -v[8:9]
	scratch_load_b128 v[6:9], off, off offset:960
	v_add_f64_e32 v[191:192], v[191:192], v[179:180]
	v_add_f64_e32 v[195:196], v[183:184], v[181:182]
	scratch_load_b128 v[179:182], off, off offset:944
	ds_load_b128 v[183:186], v1 offset:1840
	s_wait_loadcnt_dscnt 0x901
	v_mul_f64_e32 v[197:198], v[2:3], v[12:13]
	v_mul_f64_e32 v[12:13], v[4:5], v[12:13]
	v_add_f64_e32 v[187:188], v[191:192], v[187:188]
	v_add_f64_e32 v[189:190], v[195:196], v[189:190]
	s_wait_loadcnt_dscnt 0x800
	v_mul_f64_e32 v[191:192], v[183:184], v[16:17]
	v_mul_f64_e32 v[16:17], v[185:186], v[16:17]
	v_fma_f64 v[193:194], v[4:5], v[10:11], v[197:198]
	v_fma_f64 v[195:196], v[2:3], v[10:11], -v[12:13]
	ds_load_b128 v[2:5], v1 offset:1856
	scratch_load_b128 v[10:13], off, off offset:976
	v_add_f64_e32 v[187:188], v[187:188], v[42:43]
	v_add_f64_e32 v[189:190], v[189:190], v[44:45]
	ds_load_b128 v[42:45], v1 offset:1872
	s_wait_loadcnt_dscnt 0x801
	v_mul_f64_e32 v[197:198], v[2:3], v[20:21]
	v_mul_f64_e32 v[20:21], v[4:5], v[20:21]
	v_fma_f64 v[185:186], v[185:186], v[14:15], v[191:192]
	v_fma_f64 v[183:184], v[183:184], v[14:15], -v[16:17]
	scratch_load_b128 v[14:17], off, off offset:992
	s_wait_loadcnt_dscnt 0x800
	v_mul_f64_e32 v[191:192], v[42:43], v[24:25]
	v_mul_f64_e32 v[24:25], v[44:45], v[24:25]
	v_add_f64_e32 v[187:188], v[187:188], v[195:196]
	v_add_f64_e32 v[189:190], v[189:190], v[193:194]
	v_fma_f64 v[193:194], v[4:5], v[18:19], v[197:198]
	v_fma_f64 v[195:196], v[2:3], v[18:19], -v[20:21]
	ds_load_b128 v[2:5], v1 offset:1888
	scratch_load_b128 v[18:21], off, off offset:1008
	v_fma_f64 v[44:45], v[44:45], v[22:23], v[191:192]
	v_fma_f64 v[42:43], v[42:43], v[22:23], -v[24:25]
	scratch_load_b128 v[22:25], off, off offset:1024
	v_add_f64_e32 v[187:188], v[187:188], v[183:184]
	v_add_f64_e32 v[189:190], v[189:190], v[185:186]
	ds_load_b128 v[183:186], v1 offset:1904
	s_wait_loadcnt_dscnt 0x901
	v_mul_f64_e32 v[197:198], v[2:3], v[28:29]
	v_mul_f64_e32 v[28:29], v[4:5], v[28:29]
	s_wait_loadcnt_dscnt 0x800
	v_mul_f64_e32 v[191:192], v[183:184], v[32:33]
	v_mul_f64_e32 v[32:33], v[185:186], v[32:33]
	v_add_f64_e32 v[187:188], v[187:188], v[195:196]
	v_add_f64_e32 v[189:190], v[189:190], v[193:194]
	v_fma_f64 v[193:194], v[4:5], v[26:27], v[197:198]
	v_fma_f64 v[195:196], v[2:3], v[26:27], -v[28:29]
	ds_load_b128 v[2:5], v1 offset:1920
	ds_load_b128 v[26:29], v1 offset:1936
	v_fma_f64 v[185:186], v[185:186], v[30:31], v[191:192]
	v_fma_f64 v[30:31], v[183:184], v[30:31], -v[32:33]
	v_add_f64_e32 v[42:43], v[187:188], v[42:43]
	v_add_f64_e32 v[44:45], v[189:190], v[44:45]
	s_wait_loadcnt_dscnt 0x701
	v_mul_f64_e32 v[187:188], v[2:3], v[36:37]
	v_mul_f64_e32 v[36:37], v[4:5], v[36:37]
	s_delay_alu instid0(VALU_DEP_4) | instskip(NEXT) | instid1(VALU_DEP_4)
	v_add_f64_e32 v[32:33], v[42:43], v[195:196]
	v_add_f64_e32 v[42:43], v[44:45], v[193:194]
	s_delay_alu instid0(VALU_DEP_4) | instskip(NEXT) | instid1(VALU_DEP_4)
	v_fma_f64 v[183:184], v[4:5], v[34:35], v[187:188]
	v_fma_f64 v[34:35], v[2:3], v[34:35], -v[36:37]
	s_wait_loadcnt_dscnt 0x600
	v_mul_f64_e32 v[44:45], v[26:27], v[40:41]
	v_mul_f64_e32 v[40:41], v[28:29], v[40:41]
	v_add_f64_e32 v[36:37], v[32:33], v[30:31]
	v_add_f64_e32 v[42:43], v[42:43], v[185:186]
	ds_load_b128 v[2:5], v1 offset:1952
	ds_load_b128 v[30:33], v1 offset:1968
	v_fma_f64 v[28:29], v[28:29], v[38:39], v[44:45]
	v_fma_f64 v[26:27], v[26:27], v[38:39], -v[40:41]
	s_wait_loadcnt_dscnt 0x401
	v_mul_f64_e32 v[185:186], v[2:3], v[181:182]
	v_mul_f64_e32 v[181:182], v[4:5], v[181:182]
	s_wait_dscnt 0x0
	v_mul_f64_e32 v[38:39], v[30:31], v[8:9]
	v_mul_f64_e32 v[8:9], v[32:33], v[8:9]
	v_add_f64_e32 v[34:35], v[36:37], v[34:35]
	v_add_f64_e32 v[36:37], v[42:43], v[183:184]
	v_fma_f64 v[40:41], v[4:5], v[179:180], v[185:186]
	v_fma_f64 v[42:43], v[2:3], v[179:180], -v[181:182]
	v_fma_f64 v[32:33], v[32:33], v[6:7], v[38:39]
	v_fma_f64 v[6:7], v[30:31], v[6:7], -v[8:9]
	v_add_f64_e32 v[34:35], v[34:35], v[26:27]
	v_add_f64_e32 v[36:37], v[36:37], v[28:29]
	ds_load_b128 v[2:5], v1 offset:1984
	ds_load_b128 v[26:29], v1 offset:2000
	s_wait_loadcnt_dscnt 0x301
	v_mul_f64_e32 v[44:45], v[2:3], v[12:13]
	v_mul_f64_e32 v[12:13], v[4:5], v[12:13]
	v_add_f64_e32 v[8:9], v[34:35], v[42:43]
	v_add_f64_e32 v[30:31], v[36:37], v[40:41]
	s_wait_loadcnt_dscnt 0x200
	v_mul_f64_e32 v[34:35], v[26:27], v[16:17]
	v_mul_f64_e32 v[16:17], v[28:29], v[16:17]
	v_fma_f64 v[36:37], v[4:5], v[10:11], v[44:45]
	v_fma_f64 v[10:11], v[2:3], v[10:11], -v[12:13]
	v_add_f64_e32 v[12:13], v[8:9], v[6:7]
	v_add_f64_e32 v[30:31], v[30:31], v[32:33]
	ds_load_b128 v[2:5], v1 offset:2016
	ds_load_b128 v[6:9], v1 offset:2032
	v_fma_f64 v[28:29], v[28:29], v[14:15], v[34:35]
	v_fma_f64 v[14:15], v[26:27], v[14:15], -v[16:17]
	s_wait_loadcnt_dscnt 0x101
	v_mul_f64_e32 v[32:33], v[2:3], v[20:21]
	v_mul_f64_e32 v[20:21], v[4:5], v[20:21]
	s_wait_loadcnt_dscnt 0x0
	v_mul_f64_e32 v[16:17], v[6:7], v[24:25]
	v_mul_f64_e32 v[24:25], v[8:9], v[24:25]
	v_add_f64_e32 v[10:11], v[12:13], v[10:11]
	v_add_f64_e32 v[12:13], v[30:31], v[36:37]
	v_fma_f64 v[4:5], v[4:5], v[18:19], v[32:33]
	v_fma_f64 v[1:2], v[2:3], v[18:19], -v[20:21]
	v_fma_f64 v[8:9], v[8:9], v[22:23], v[16:17]
	v_fma_f64 v[6:7], v[6:7], v[22:23], -v[24:25]
	v_add_f64_e32 v[10:11], v[10:11], v[14:15]
	v_add_f64_e32 v[12:13], v[12:13], v[28:29]
	s_delay_alu instid0(VALU_DEP_2) | instskip(NEXT) | instid1(VALU_DEP_2)
	v_add_f64_e32 v[1:2], v[10:11], v[1:2]
	v_add_f64_e32 v[3:4], v[12:13], v[4:5]
	s_delay_alu instid0(VALU_DEP_2) | instskip(NEXT) | instid1(VALU_DEP_2)
	v_add_f64_e32 v[1:2], v[1:2], v[6:7]
	v_add_f64_e32 v[3:4], v[3:4], v[8:9]
	s_delay_alu instid0(VALU_DEP_2) | instskip(NEXT) | instid1(VALU_DEP_2)
	v_add_f64_e64 v[1:2], v[175:176], -v[1:2]
	v_add_f64_e64 v[3:4], v[177:178], -v[3:4]
	scratch_store_b128 off, v[1:4], off offset:448
	v_cmpx_lt_u32_e32 26, v0
	s_cbranch_execz .LBB63_357
; %bb.356:
	scratch_load_b128 v[1:4], off, s15
	v_mov_b32_e32 v5, 0
	s_delay_alu instid0(VALU_DEP_1)
	v_dual_mov_b32 v6, v5 :: v_dual_mov_b32 v7, v5
	v_mov_b32_e32 v8, v5
	scratch_store_b128 off, v[5:8], off offset:432
	s_wait_loadcnt 0x0
	ds_store_b128 v174, v[1:4]
.LBB63_357:
	s_wait_alu 0xfffe
	s_or_b32 exec_lo, exec_lo, s0
	s_wait_storecnt_dscnt 0x0
	s_barrier_signal -1
	s_barrier_wait -1
	global_inv scope:SCOPE_SE
	s_clause 0x7
	scratch_load_b128 v[2:5], off, off offset:448
	scratch_load_b128 v[6:9], off, off offset:464
	;; [unrolled: 1-line block ×8, first 2 shown]
	v_mov_b32_e32 v1, 0
	s_mov_b32 s0, exec_lo
	ds_load_b128 v[38:41], v1 offset:1456
	s_clause 0x1
	scratch_load_b128 v[34:37], off, off offset:576
	scratch_load_b128 v[42:45], off, off offset:432
	ds_load_b128 v[175:178], v1 offset:1472
	scratch_load_b128 v[179:182], off, off offset:592
	s_wait_loadcnt_dscnt 0xa01
	v_mul_f64_e32 v[183:184], v[40:41], v[4:5]
	v_mul_f64_e32 v[4:5], v[38:39], v[4:5]
	s_delay_alu instid0(VALU_DEP_2) | instskip(NEXT) | instid1(VALU_DEP_2)
	v_fma_f64 v[189:190], v[38:39], v[2:3], -v[183:184]
	v_fma_f64 v[191:192], v[40:41], v[2:3], v[4:5]
	ds_load_b128 v[2:5], v1 offset:1488
	s_wait_loadcnt_dscnt 0x901
	v_mul_f64_e32 v[187:188], v[175:176], v[8:9]
	v_mul_f64_e32 v[8:9], v[177:178], v[8:9]
	scratch_load_b128 v[38:41], off, off offset:608
	ds_load_b128 v[183:186], v1 offset:1504
	s_wait_loadcnt_dscnt 0x901
	v_mul_f64_e32 v[193:194], v[2:3], v[12:13]
	v_mul_f64_e32 v[12:13], v[4:5], v[12:13]
	v_fma_f64 v[177:178], v[177:178], v[6:7], v[187:188]
	v_fma_f64 v[175:176], v[175:176], v[6:7], -v[8:9]
	v_add_f64_e32 v[187:188], 0, v[189:190]
	v_add_f64_e32 v[189:190], 0, v[191:192]
	scratch_load_b128 v[6:9], off, off offset:624
	v_fma_f64 v[193:194], v[4:5], v[10:11], v[193:194]
	v_fma_f64 v[195:196], v[2:3], v[10:11], -v[12:13]
	ds_load_b128 v[2:5], v1 offset:1520
	s_wait_loadcnt_dscnt 0x901
	v_mul_f64_e32 v[191:192], v[183:184], v[16:17]
	v_mul_f64_e32 v[16:17], v[185:186], v[16:17]
	scratch_load_b128 v[10:13], off, off offset:640
	v_add_f64_e32 v[187:188], v[187:188], v[175:176]
	v_add_f64_e32 v[189:190], v[189:190], v[177:178]
	s_wait_loadcnt_dscnt 0x900
	v_mul_f64_e32 v[197:198], v[2:3], v[20:21]
	v_mul_f64_e32 v[20:21], v[4:5], v[20:21]
	ds_load_b128 v[175:178], v1 offset:1536
	v_fma_f64 v[185:186], v[185:186], v[14:15], v[191:192]
	v_fma_f64 v[183:184], v[183:184], v[14:15], -v[16:17]
	scratch_load_b128 v[14:17], off, off offset:656
	v_add_f64_e32 v[187:188], v[187:188], v[195:196]
	v_add_f64_e32 v[189:190], v[189:190], v[193:194]
	v_fma_f64 v[193:194], v[4:5], v[18:19], v[197:198]
	v_fma_f64 v[195:196], v[2:3], v[18:19], -v[20:21]
	ds_load_b128 v[2:5], v1 offset:1552
	s_wait_loadcnt_dscnt 0x901
	v_mul_f64_e32 v[191:192], v[175:176], v[24:25]
	v_mul_f64_e32 v[24:25], v[177:178], v[24:25]
	scratch_load_b128 v[18:21], off, off offset:672
	s_wait_loadcnt_dscnt 0x900
	v_mul_f64_e32 v[197:198], v[2:3], v[28:29]
	v_mul_f64_e32 v[28:29], v[4:5], v[28:29]
	v_add_f64_e32 v[187:188], v[187:188], v[183:184]
	v_add_f64_e32 v[189:190], v[189:190], v[185:186]
	ds_load_b128 v[183:186], v1 offset:1568
	v_fma_f64 v[177:178], v[177:178], v[22:23], v[191:192]
	v_fma_f64 v[175:176], v[175:176], v[22:23], -v[24:25]
	scratch_load_b128 v[22:25], off, off offset:688
	v_add_f64_e32 v[187:188], v[187:188], v[195:196]
	v_add_f64_e32 v[189:190], v[189:190], v[193:194]
	v_fma_f64 v[193:194], v[4:5], v[26:27], v[197:198]
	v_fma_f64 v[195:196], v[2:3], v[26:27], -v[28:29]
	ds_load_b128 v[2:5], v1 offset:1584
	s_wait_loadcnt_dscnt 0x901
	v_mul_f64_e32 v[191:192], v[183:184], v[32:33]
	v_mul_f64_e32 v[32:33], v[185:186], v[32:33]
	scratch_load_b128 v[26:29], off, off offset:704
	s_wait_loadcnt_dscnt 0x900
	v_mul_f64_e32 v[197:198], v[2:3], v[36:37]
	v_mul_f64_e32 v[36:37], v[4:5], v[36:37]
	v_add_f64_e32 v[187:188], v[187:188], v[175:176]
	v_add_f64_e32 v[189:190], v[189:190], v[177:178]
	ds_load_b128 v[175:178], v1 offset:1600
	v_fma_f64 v[185:186], v[185:186], v[30:31], v[191:192]
	v_fma_f64 v[183:184], v[183:184], v[30:31], -v[32:33]
	scratch_load_b128 v[30:33], off, off offset:720
	v_add_f64_e32 v[187:188], v[187:188], v[195:196]
	v_add_f64_e32 v[189:190], v[189:190], v[193:194]
	v_fma_f64 v[195:196], v[4:5], v[34:35], v[197:198]
	v_fma_f64 v[197:198], v[2:3], v[34:35], -v[36:37]
	ds_load_b128 v[2:5], v1 offset:1616
	s_wait_loadcnt_dscnt 0x801
	v_mul_f64_e32 v[191:192], v[175:176], v[181:182]
	v_mul_f64_e32 v[193:194], v[177:178], v[181:182]
	scratch_load_b128 v[34:37], off, off offset:736
	v_add_f64_e32 v[187:188], v[187:188], v[183:184]
	v_add_f64_e32 v[185:186], v[189:190], v[185:186]
	ds_load_b128 v[181:184], v1 offset:1632
	v_fma_f64 v[191:192], v[177:178], v[179:180], v[191:192]
	v_fma_f64 v[179:180], v[175:176], v[179:180], -v[193:194]
	scratch_load_b128 v[175:178], off, off offset:752
	s_wait_loadcnt_dscnt 0x901
	v_mul_f64_e32 v[189:190], v[2:3], v[40:41]
	v_mul_f64_e32 v[40:41], v[4:5], v[40:41]
	v_add_f64_e32 v[187:188], v[187:188], v[197:198]
	v_add_f64_e32 v[185:186], v[185:186], v[195:196]
	s_delay_alu instid0(VALU_DEP_4) | instskip(NEXT) | instid1(VALU_DEP_4)
	v_fma_f64 v[189:190], v[4:5], v[38:39], v[189:190]
	v_fma_f64 v[195:196], v[2:3], v[38:39], -v[40:41]
	ds_load_b128 v[2:5], v1 offset:1648
	s_wait_loadcnt_dscnt 0x801
	v_mul_f64_e32 v[193:194], v[181:182], v[8:9]
	v_mul_f64_e32 v[8:9], v[183:184], v[8:9]
	scratch_load_b128 v[38:41], off, off offset:768
	s_wait_loadcnt_dscnt 0x800
	v_mul_f64_e32 v[197:198], v[2:3], v[12:13]
	v_add_f64_e32 v[179:180], v[187:188], v[179:180]
	v_add_f64_e32 v[191:192], v[185:186], v[191:192]
	v_mul_f64_e32 v[12:13], v[4:5], v[12:13]
	ds_load_b128 v[185:188], v1 offset:1664
	v_fma_f64 v[183:184], v[183:184], v[6:7], v[193:194]
	v_fma_f64 v[181:182], v[181:182], v[6:7], -v[8:9]
	scratch_load_b128 v[6:9], off, off offset:784
	v_fma_f64 v[193:194], v[4:5], v[10:11], v[197:198]
	v_add_f64_e32 v[179:180], v[179:180], v[195:196]
	v_add_f64_e32 v[189:190], v[191:192], v[189:190]
	v_fma_f64 v[195:196], v[2:3], v[10:11], -v[12:13]
	ds_load_b128 v[2:5], v1 offset:1680
	s_wait_loadcnt_dscnt 0x801
	v_mul_f64_e32 v[191:192], v[185:186], v[16:17]
	v_mul_f64_e32 v[16:17], v[187:188], v[16:17]
	scratch_load_b128 v[10:13], off, off offset:800
	v_add_f64_e32 v[197:198], v[179:180], v[181:182]
	v_add_f64_e32 v[183:184], v[189:190], v[183:184]
	s_wait_loadcnt_dscnt 0x800
	v_mul_f64_e32 v[189:190], v[2:3], v[20:21]
	v_mul_f64_e32 v[20:21], v[4:5], v[20:21]
	v_fma_f64 v[187:188], v[187:188], v[14:15], v[191:192]
	v_fma_f64 v[185:186], v[185:186], v[14:15], -v[16:17]
	ds_load_b128 v[179:182], v1 offset:1696
	scratch_load_b128 v[14:17], off, off offset:816
	v_add_f64_e32 v[191:192], v[197:198], v[195:196]
	v_add_f64_e32 v[183:184], v[183:184], v[193:194]
	v_fma_f64 v[189:190], v[4:5], v[18:19], v[189:190]
	v_fma_f64 v[195:196], v[2:3], v[18:19], -v[20:21]
	ds_load_b128 v[2:5], v1 offset:1712
	s_wait_loadcnt_dscnt 0x801
	v_mul_f64_e32 v[193:194], v[179:180], v[24:25]
	v_mul_f64_e32 v[24:25], v[181:182], v[24:25]
	scratch_load_b128 v[18:21], off, off offset:832
	s_wait_loadcnt_dscnt 0x800
	v_mul_f64_e32 v[197:198], v[2:3], v[28:29]
	v_mul_f64_e32 v[28:29], v[4:5], v[28:29]
	v_add_f64_e32 v[191:192], v[191:192], v[185:186]
	v_add_f64_e32 v[187:188], v[183:184], v[187:188]
	ds_load_b128 v[183:186], v1 offset:1728
	v_fma_f64 v[181:182], v[181:182], v[22:23], v[193:194]
	v_fma_f64 v[179:180], v[179:180], v[22:23], -v[24:25]
	scratch_load_b128 v[22:25], off, off offset:848
	v_fma_f64 v[193:194], v[4:5], v[26:27], v[197:198]
	v_add_f64_e32 v[191:192], v[191:192], v[195:196]
	v_add_f64_e32 v[187:188], v[187:188], v[189:190]
	v_fma_f64 v[195:196], v[2:3], v[26:27], -v[28:29]
	ds_load_b128 v[2:5], v1 offset:1744
	s_wait_loadcnt_dscnt 0x801
	v_mul_f64_e32 v[189:190], v[183:184], v[32:33]
	v_mul_f64_e32 v[32:33], v[185:186], v[32:33]
	scratch_load_b128 v[26:29], off, off offset:864
	s_wait_loadcnt_dscnt 0x800
	v_mul_f64_e32 v[197:198], v[2:3], v[36:37]
	v_mul_f64_e32 v[36:37], v[4:5], v[36:37]
	v_add_f64_e32 v[191:192], v[191:192], v[179:180]
	v_add_f64_e32 v[187:188], v[187:188], v[181:182]
	ds_load_b128 v[179:182], v1 offset:1760
	v_fma_f64 v[185:186], v[185:186], v[30:31], v[189:190]
	v_fma_f64 v[183:184], v[183:184], v[30:31], -v[32:33]
	scratch_load_b128 v[30:33], off, off offset:880
	v_add_f64_e32 v[189:190], v[191:192], v[195:196]
	v_add_f64_e32 v[187:188], v[187:188], v[193:194]
	v_fma_f64 v[193:194], v[4:5], v[34:35], v[197:198]
	v_fma_f64 v[195:196], v[2:3], v[34:35], -v[36:37]
	ds_load_b128 v[2:5], v1 offset:1776
	s_wait_loadcnt_dscnt 0x801
	v_mul_f64_e32 v[191:192], v[179:180], v[177:178]
	v_mul_f64_e32 v[177:178], v[181:182], v[177:178]
	scratch_load_b128 v[34:37], off, off offset:896
	s_wait_loadcnt_dscnt 0x800
	v_mul_f64_e32 v[197:198], v[2:3], v[40:41]
	v_mul_f64_e32 v[40:41], v[4:5], v[40:41]
	v_add_f64_e32 v[189:190], v[189:190], v[183:184]
	v_add_f64_e32 v[187:188], v[187:188], v[185:186]
	ds_load_b128 v[183:186], v1 offset:1792
	v_fma_f64 v[181:182], v[181:182], v[175:176], v[191:192]
	v_fma_f64 v[179:180], v[179:180], v[175:176], -v[177:178]
	scratch_load_b128 v[175:178], off, off offset:912
	v_add_f64_e32 v[189:190], v[189:190], v[195:196]
	v_add_f64_e32 v[187:188], v[187:188], v[193:194]
	v_fma_f64 v[193:194], v[4:5], v[38:39], v[197:198]
	;; [unrolled: 18-line block ×5, first 2 shown]
	v_fma_f64 v[195:196], v[2:3], v[26:27], -v[28:29]
	ds_load_b128 v[2:5], v1 offset:1904
	s_wait_loadcnt_dscnt 0x801
	v_mul_f64_e32 v[191:192], v[179:180], v[32:33]
	v_mul_f64_e32 v[32:33], v[181:182], v[32:33]
	scratch_load_b128 v[26:29], off, off offset:1024
	s_wait_loadcnt_dscnt 0x800
	v_mul_f64_e32 v[197:198], v[2:3], v[36:37]
	v_mul_f64_e32 v[36:37], v[4:5], v[36:37]
	v_add_f64_e32 v[189:190], v[189:190], v[183:184]
	v_add_f64_e32 v[187:188], v[187:188], v[185:186]
	ds_load_b128 v[183:186], v1 offset:1920
	v_fma_f64 v[181:182], v[181:182], v[30:31], v[191:192]
	v_fma_f64 v[30:31], v[179:180], v[30:31], -v[32:33]
	v_add_f64_e32 v[32:33], v[189:190], v[195:196]
	v_add_f64_e32 v[179:180], v[187:188], v[193:194]
	s_wait_loadcnt_dscnt 0x700
	v_mul_f64_e32 v[187:188], v[183:184], v[177:178]
	v_mul_f64_e32 v[177:178], v[185:186], v[177:178]
	v_fma_f64 v[189:190], v[4:5], v[34:35], v[197:198]
	v_fma_f64 v[34:35], v[2:3], v[34:35], -v[36:37]
	v_add_f64_e32 v[36:37], v[32:33], v[30:31]
	v_add_f64_e32 v[179:180], v[179:180], v[181:182]
	ds_load_b128 v[2:5], v1 offset:1936
	ds_load_b128 v[30:33], v1 offset:1952
	v_fma_f64 v[185:186], v[185:186], v[175:176], v[187:188]
	v_fma_f64 v[175:176], v[183:184], v[175:176], -v[177:178]
	s_wait_loadcnt_dscnt 0x601
	v_mul_f64_e32 v[181:182], v[2:3], v[40:41]
	v_mul_f64_e32 v[40:41], v[4:5], v[40:41]
	s_wait_loadcnt_dscnt 0x500
	v_mul_f64_e32 v[177:178], v[30:31], v[8:9]
	v_mul_f64_e32 v[8:9], v[32:33], v[8:9]
	v_add_f64_e32 v[34:35], v[36:37], v[34:35]
	v_add_f64_e32 v[36:37], v[179:180], v[189:190]
	v_fma_f64 v[179:180], v[4:5], v[38:39], v[181:182]
	v_fma_f64 v[38:39], v[2:3], v[38:39], -v[40:41]
	v_fma_f64 v[32:33], v[32:33], v[6:7], v[177:178]
	v_fma_f64 v[6:7], v[30:31], v[6:7], -v[8:9]
	v_add_f64_e32 v[40:41], v[34:35], v[175:176]
	v_add_f64_e32 v[175:176], v[36:37], v[185:186]
	ds_load_b128 v[2:5], v1 offset:1968
	ds_load_b128 v[34:37], v1 offset:1984
	s_wait_loadcnt_dscnt 0x401
	v_mul_f64_e32 v[181:182], v[2:3], v[12:13]
	v_mul_f64_e32 v[12:13], v[4:5], v[12:13]
	v_add_f64_e32 v[8:9], v[40:41], v[38:39]
	v_add_f64_e32 v[30:31], v[175:176], v[179:180]
	s_wait_loadcnt_dscnt 0x300
	v_mul_f64_e32 v[38:39], v[34:35], v[16:17]
	v_mul_f64_e32 v[16:17], v[36:37], v[16:17]
	v_fma_f64 v[40:41], v[4:5], v[10:11], v[181:182]
	v_fma_f64 v[10:11], v[2:3], v[10:11], -v[12:13]
	v_add_f64_e32 v[12:13], v[8:9], v[6:7]
	v_add_f64_e32 v[30:31], v[30:31], v[32:33]
	ds_load_b128 v[2:5], v1 offset:2000
	ds_load_b128 v[6:9], v1 offset:2016
	v_fma_f64 v[36:37], v[36:37], v[14:15], v[38:39]
	v_fma_f64 v[14:15], v[34:35], v[14:15], -v[16:17]
	s_wait_loadcnt_dscnt 0x201
	v_mul_f64_e32 v[32:33], v[2:3], v[20:21]
	v_mul_f64_e32 v[20:21], v[4:5], v[20:21]
	s_wait_loadcnt_dscnt 0x100
	v_mul_f64_e32 v[16:17], v[6:7], v[24:25]
	v_mul_f64_e32 v[24:25], v[8:9], v[24:25]
	v_add_f64_e32 v[10:11], v[12:13], v[10:11]
	v_add_f64_e32 v[12:13], v[30:31], v[40:41]
	v_fma_f64 v[30:31], v[4:5], v[18:19], v[32:33]
	v_fma_f64 v[18:19], v[2:3], v[18:19], -v[20:21]
	ds_load_b128 v[2:5], v1 offset:2032
	v_fma_f64 v[8:9], v[8:9], v[22:23], v[16:17]
	v_fma_f64 v[6:7], v[6:7], v[22:23], -v[24:25]
	v_add_f64_e32 v[10:11], v[10:11], v[14:15]
	v_add_f64_e32 v[12:13], v[12:13], v[36:37]
	s_wait_loadcnt_dscnt 0x0
	v_mul_f64_e32 v[14:15], v[2:3], v[28:29]
	v_mul_f64_e32 v[20:21], v[4:5], v[28:29]
	s_delay_alu instid0(VALU_DEP_4) | instskip(NEXT) | instid1(VALU_DEP_4)
	v_add_f64_e32 v[10:11], v[10:11], v[18:19]
	v_add_f64_e32 v[12:13], v[12:13], v[30:31]
	s_delay_alu instid0(VALU_DEP_4) | instskip(NEXT) | instid1(VALU_DEP_4)
	v_fma_f64 v[4:5], v[4:5], v[26:27], v[14:15]
	v_fma_f64 v[2:3], v[2:3], v[26:27], -v[20:21]
	s_delay_alu instid0(VALU_DEP_4) | instskip(NEXT) | instid1(VALU_DEP_4)
	v_add_f64_e32 v[6:7], v[10:11], v[6:7]
	v_add_f64_e32 v[8:9], v[12:13], v[8:9]
	s_delay_alu instid0(VALU_DEP_2) | instskip(NEXT) | instid1(VALU_DEP_2)
	v_add_f64_e32 v[2:3], v[6:7], v[2:3]
	v_add_f64_e32 v[4:5], v[8:9], v[4:5]
	s_delay_alu instid0(VALU_DEP_2) | instskip(NEXT) | instid1(VALU_DEP_2)
	v_add_f64_e64 v[2:3], v[42:43], -v[2:3]
	v_add_f64_e64 v[4:5], v[44:45], -v[4:5]
	scratch_store_b128 off, v[2:5], off offset:432
	v_cmpx_lt_u32_e32 25, v0
	s_cbranch_execz .LBB63_359
; %bb.358:
	scratch_load_b128 v[5:8], off, s22
	v_dual_mov_b32 v2, v1 :: v_dual_mov_b32 v3, v1
	v_mov_b32_e32 v4, v1
	scratch_store_b128 off, v[1:4], off offset:416
	s_wait_loadcnt 0x0
	ds_store_b128 v174, v[5:8]
.LBB63_359:
	s_wait_alu 0xfffe
	s_or_b32 exec_lo, exec_lo, s0
	s_wait_storecnt_dscnt 0x0
	s_barrier_signal -1
	s_barrier_wait -1
	global_inv scope:SCOPE_SE
	s_clause 0x8
	scratch_load_b128 v[2:5], off, off offset:432
	scratch_load_b128 v[6:9], off, off offset:448
	;; [unrolled: 1-line block ×9, first 2 shown]
	ds_load_b128 v[42:45], v1 offset:1440
	ds_load_b128 v[38:41], v1 offset:1456
	s_clause 0x1
	scratch_load_b128 v[175:178], off, off offset:416
	scratch_load_b128 v[179:182], off, off offset:576
	s_mov_b32 s0, exec_lo
	s_wait_loadcnt_dscnt 0xa01
	v_mul_f64_e32 v[183:184], v[44:45], v[4:5]
	v_mul_f64_e32 v[4:5], v[42:43], v[4:5]
	s_wait_loadcnt_dscnt 0x900
	v_mul_f64_e32 v[187:188], v[38:39], v[8:9]
	v_mul_f64_e32 v[8:9], v[40:41], v[8:9]
	s_delay_alu instid0(VALU_DEP_4) | instskip(NEXT) | instid1(VALU_DEP_4)
	v_fma_f64 v[189:190], v[42:43], v[2:3], -v[183:184]
	v_fma_f64 v[191:192], v[44:45], v[2:3], v[4:5]
	ds_load_b128 v[2:5], v1 offset:1472
	ds_load_b128 v[183:186], v1 offset:1488
	scratch_load_b128 v[42:45], off, off offset:592
	v_fma_f64 v[40:41], v[40:41], v[6:7], v[187:188]
	v_fma_f64 v[38:39], v[38:39], v[6:7], -v[8:9]
	scratch_load_b128 v[6:9], off, off offset:608
	s_wait_loadcnt_dscnt 0xa01
	v_mul_f64_e32 v[193:194], v[2:3], v[12:13]
	v_mul_f64_e32 v[12:13], v[4:5], v[12:13]
	v_add_f64_e32 v[187:188], 0, v[189:190]
	v_add_f64_e32 v[189:190], 0, v[191:192]
	s_wait_loadcnt_dscnt 0x900
	v_mul_f64_e32 v[191:192], v[183:184], v[16:17]
	v_mul_f64_e32 v[16:17], v[185:186], v[16:17]
	v_fma_f64 v[193:194], v[4:5], v[10:11], v[193:194]
	v_fma_f64 v[195:196], v[2:3], v[10:11], -v[12:13]
	ds_load_b128 v[2:5], v1 offset:1504
	scratch_load_b128 v[10:13], off, off offset:624
	v_add_f64_e32 v[187:188], v[187:188], v[38:39]
	v_add_f64_e32 v[189:190], v[189:190], v[40:41]
	ds_load_b128 v[38:41], v1 offset:1520
	v_fma_f64 v[185:186], v[185:186], v[14:15], v[191:192]
	v_fma_f64 v[183:184], v[183:184], v[14:15], -v[16:17]
	scratch_load_b128 v[14:17], off, off offset:640
	s_wait_loadcnt_dscnt 0xa01
	v_mul_f64_e32 v[197:198], v[2:3], v[20:21]
	v_mul_f64_e32 v[20:21], v[4:5], v[20:21]
	s_wait_loadcnt_dscnt 0x900
	v_mul_f64_e32 v[191:192], v[38:39], v[24:25]
	v_mul_f64_e32 v[24:25], v[40:41], v[24:25]
	v_add_f64_e32 v[187:188], v[187:188], v[195:196]
	v_add_f64_e32 v[189:190], v[189:190], v[193:194]
	v_fma_f64 v[193:194], v[4:5], v[18:19], v[197:198]
	v_fma_f64 v[195:196], v[2:3], v[18:19], -v[20:21]
	ds_load_b128 v[2:5], v1 offset:1536
	scratch_load_b128 v[18:21], off, off offset:656
	v_fma_f64 v[40:41], v[40:41], v[22:23], v[191:192]
	v_fma_f64 v[38:39], v[38:39], v[22:23], -v[24:25]
	scratch_load_b128 v[22:25], off, off offset:672
	v_add_f64_e32 v[187:188], v[187:188], v[183:184]
	v_add_f64_e32 v[189:190], v[189:190], v[185:186]
	ds_load_b128 v[183:186], v1 offset:1552
	s_wait_loadcnt_dscnt 0xa01
	v_mul_f64_e32 v[197:198], v[2:3], v[28:29]
	v_mul_f64_e32 v[28:29], v[4:5], v[28:29]
	s_wait_loadcnt_dscnt 0x900
	v_mul_f64_e32 v[191:192], v[183:184], v[32:33]
	v_mul_f64_e32 v[32:33], v[185:186], v[32:33]
	v_add_f64_e32 v[187:188], v[187:188], v[195:196]
	v_add_f64_e32 v[189:190], v[189:190], v[193:194]
	v_fma_f64 v[193:194], v[4:5], v[26:27], v[197:198]
	v_fma_f64 v[195:196], v[2:3], v[26:27], -v[28:29]
	ds_load_b128 v[2:5], v1 offset:1568
	scratch_load_b128 v[26:29], off, off offset:688
	v_fma_f64 v[185:186], v[185:186], v[30:31], v[191:192]
	v_fma_f64 v[183:184], v[183:184], v[30:31], -v[32:33]
	scratch_load_b128 v[30:33], off, off offset:704
	v_add_f64_e32 v[187:188], v[187:188], v[38:39]
	v_add_f64_e32 v[189:190], v[189:190], v[40:41]
	ds_load_b128 v[38:41], v1 offset:1584
	s_wait_loadcnt_dscnt 0xa01
	v_mul_f64_e32 v[197:198], v[2:3], v[36:37]
	v_mul_f64_e32 v[36:37], v[4:5], v[36:37]
	s_wait_loadcnt_dscnt 0x800
	v_mul_f64_e32 v[191:192], v[38:39], v[181:182]
	v_add_f64_e32 v[187:188], v[187:188], v[195:196]
	v_add_f64_e32 v[189:190], v[189:190], v[193:194]
	v_mul_f64_e32 v[193:194], v[40:41], v[181:182]
	v_fma_f64 v[195:196], v[4:5], v[34:35], v[197:198]
	v_fma_f64 v[197:198], v[2:3], v[34:35], -v[36:37]
	ds_load_b128 v[2:5], v1 offset:1600
	scratch_load_b128 v[34:37], off, off offset:720
	v_fma_f64 v[191:192], v[40:41], v[179:180], v[191:192]
	v_add_f64_e32 v[187:188], v[187:188], v[183:184]
	v_add_f64_e32 v[185:186], v[189:190], v[185:186]
	ds_load_b128 v[181:184], v1 offset:1616
	v_fma_f64 v[179:180], v[38:39], v[179:180], -v[193:194]
	scratch_load_b128 v[38:41], off, off offset:736
	s_wait_loadcnt_dscnt 0x901
	v_mul_f64_e32 v[189:190], v[2:3], v[44:45]
	v_mul_f64_e32 v[44:45], v[4:5], v[44:45]
	s_wait_loadcnt_dscnt 0x800
	v_mul_f64_e32 v[193:194], v[181:182], v[8:9]
	v_mul_f64_e32 v[8:9], v[183:184], v[8:9]
	v_add_f64_e32 v[187:188], v[187:188], v[197:198]
	v_add_f64_e32 v[185:186], v[185:186], v[195:196]
	v_fma_f64 v[189:190], v[4:5], v[42:43], v[189:190]
	v_fma_f64 v[195:196], v[2:3], v[42:43], -v[44:45]
	ds_load_b128 v[2:5], v1 offset:1632
	scratch_load_b128 v[42:45], off, off offset:752
	v_fma_f64 v[183:184], v[183:184], v[6:7], v[193:194]
	v_fma_f64 v[181:182], v[181:182], v[6:7], -v[8:9]
	scratch_load_b128 v[6:9], off, off offset:768
	v_add_f64_e32 v[179:180], v[187:188], v[179:180]
	v_add_f64_e32 v[191:192], v[185:186], v[191:192]
	ds_load_b128 v[185:188], v1 offset:1648
	s_wait_loadcnt_dscnt 0x901
	v_mul_f64_e32 v[197:198], v[2:3], v[12:13]
	v_mul_f64_e32 v[12:13], v[4:5], v[12:13]
	v_add_f64_e32 v[179:180], v[179:180], v[195:196]
	v_add_f64_e32 v[189:190], v[191:192], v[189:190]
	s_wait_loadcnt_dscnt 0x800
	v_mul_f64_e32 v[191:192], v[185:186], v[16:17]
	v_mul_f64_e32 v[16:17], v[187:188], v[16:17]
	v_fma_f64 v[193:194], v[4:5], v[10:11], v[197:198]
	v_fma_f64 v[195:196], v[2:3], v[10:11], -v[12:13]
	ds_load_b128 v[2:5], v1 offset:1664
	scratch_load_b128 v[10:13], off, off offset:784
	v_add_f64_e32 v[197:198], v[179:180], v[181:182]
	v_add_f64_e32 v[183:184], v[189:190], v[183:184]
	ds_load_b128 v[179:182], v1 offset:1680
	s_wait_loadcnt_dscnt 0x801
	v_mul_f64_e32 v[189:190], v[2:3], v[20:21]
	v_mul_f64_e32 v[20:21], v[4:5], v[20:21]
	v_fma_f64 v[187:188], v[187:188], v[14:15], v[191:192]
	v_fma_f64 v[185:186], v[185:186], v[14:15], -v[16:17]
	scratch_load_b128 v[14:17], off, off offset:800
	v_add_f64_e32 v[191:192], v[197:198], v[195:196]
	v_add_f64_e32 v[183:184], v[183:184], v[193:194]
	s_wait_loadcnt_dscnt 0x800
	v_mul_f64_e32 v[193:194], v[179:180], v[24:25]
	v_mul_f64_e32 v[24:25], v[181:182], v[24:25]
	v_fma_f64 v[189:190], v[4:5], v[18:19], v[189:190]
	v_fma_f64 v[195:196], v[2:3], v[18:19], -v[20:21]
	ds_load_b128 v[2:5], v1 offset:1696
	scratch_load_b128 v[18:21], off, off offset:816
	v_add_f64_e32 v[191:192], v[191:192], v[185:186]
	v_add_f64_e32 v[187:188], v[183:184], v[187:188]
	ds_load_b128 v[183:186], v1 offset:1712
	s_wait_loadcnt_dscnt 0x801
	v_mul_f64_e32 v[197:198], v[2:3], v[28:29]
	v_mul_f64_e32 v[28:29], v[4:5], v[28:29]
	v_fma_f64 v[181:182], v[181:182], v[22:23], v[193:194]
	v_fma_f64 v[179:180], v[179:180], v[22:23], -v[24:25]
	scratch_load_b128 v[22:25], off, off offset:832
	;; [unrolled: 18-line block ×4, first 2 shown]
	s_wait_loadcnt_dscnt 0x800
	v_mul_f64_e32 v[191:192], v[183:184], v[8:9]
	v_mul_f64_e32 v[8:9], v[185:186], v[8:9]
	v_add_f64_e32 v[189:190], v[189:190], v[195:196]
	v_add_f64_e32 v[187:188], v[187:188], v[193:194]
	v_fma_f64 v[193:194], v[4:5], v[42:43], v[197:198]
	v_fma_f64 v[195:196], v[2:3], v[42:43], -v[44:45]
	ds_load_b128 v[2:5], v1 offset:1792
	scratch_load_b128 v[42:45], off, off offset:912
	v_fma_f64 v[185:186], v[185:186], v[6:7], v[191:192]
	v_fma_f64 v[183:184], v[183:184], v[6:7], -v[8:9]
	scratch_load_b128 v[6:9], off, off offset:928
	v_add_f64_e32 v[189:190], v[189:190], v[179:180]
	v_add_f64_e32 v[187:188], v[187:188], v[181:182]
	ds_load_b128 v[179:182], v1 offset:1808
	s_wait_loadcnt_dscnt 0x901
	v_mul_f64_e32 v[197:198], v[2:3], v[12:13]
	v_mul_f64_e32 v[12:13], v[4:5], v[12:13]
	s_wait_loadcnt_dscnt 0x800
	v_mul_f64_e32 v[191:192], v[179:180], v[16:17]
	v_mul_f64_e32 v[16:17], v[181:182], v[16:17]
	v_add_f64_e32 v[189:190], v[189:190], v[195:196]
	v_add_f64_e32 v[187:188], v[187:188], v[193:194]
	v_fma_f64 v[193:194], v[4:5], v[10:11], v[197:198]
	v_fma_f64 v[195:196], v[2:3], v[10:11], -v[12:13]
	ds_load_b128 v[2:5], v1 offset:1824
	scratch_load_b128 v[10:13], off, off offset:944
	v_fma_f64 v[181:182], v[181:182], v[14:15], v[191:192]
	v_fma_f64 v[179:180], v[179:180], v[14:15], -v[16:17]
	scratch_load_b128 v[14:17], off, off offset:960
	v_add_f64_e32 v[189:190], v[189:190], v[183:184]
	v_add_f64_e32 v[187:188], v[187:188], v[185:186]
	ds_load_b128 v[183:186], v1 offset:1840
	s_wait_loadcnt_dscnt 0x901
	v_mul_f64_e32 v[197:198], v[2:3], v[20:21]
	v_mul_f64_e32 v[20:21], v[4:5], v[20:21]
	;; [unrolled: 18-line block ×4, first 2 shown]
	s_wait_loadcnt_dscnt 0x800
	v_mul_f64_e32 v[191:192], v[183:184], v[40:41]
	v_mul_f64_e32 v[40:41], v[185:186], v[40:41]
	v_add_f64_e32 v[189:190], v[189:190], v[195:196]
	v_add_f64_e32 v[187:188], v[187:188], v[193:194]
	v_fma_f64 v[193:194], v[4:5], v[34:35], v[197:198]
	v_fma_f64 v[195:196], v[2:3], v[34:35], -v[36:37]
	ds_load_b128 v[2:5], v1 offset:1920
	ds_load_b128 v[34:37], v1 offset:1936
	v_fma_f64 v[185:186], v[185:186], v[38:39], v[191:192]
	v_fma_f64 v[38:39], v[183:184], v[38:39], -v[40:41]
	v_add_f64_e32 v[179:180], v[189:190], v[179:180]
	v_add_f64_e32 v[181:182], v[187:188], v[181:182]
	s_wait_loadcnt_dscnt 0x701
	v_mul_f64_e32 v[187:188], v[2:3], v[44:45]
	v_mul_f64_e32 v[44:45], v[4:5], v[44:45]
	s_delay_alu instid0(VALU_DEP_4) | instskip(NEXT) | instid1(VALU_DEP_4)
	v_add_f64_e32 v[40:41], v[179:180], v[195:196]
	v_add_f64_e32 v[179:180], v[181:182], v[193:194]
	s_wait_loadcnt_dscnt 0x600
	v_mul_f64_e32 v[181:182], v[34:35], v[8:9]
	v_mul_f64_e32 v[8:9], v[36:37], v[8:9]
	v_fma_f64 v[183:184], v[4:5], v[42:43], v[187:188]
	v_fma_f64 v[42:43], v[2:3], v[42:43], -v[44:45]
	v_add_f64_e32 v[44:45], v[40:41], v[38:39]
	v_add_f64_e32 v[179:180], v[179:180], v[185:186]
	ds_load_b128 v[2:5], v1 offset:1952
	ds_load_b128 v[38:41], v1 offset:1968
	v_fma_f64 v[36:37], v[36:37], v[6:7], v[181:182]
	v_fma_f64 v[6:7], v[34:35], v[6:7], -v[8:9]
	s_wait_loadcnt_dscnt 0x501
	v_mul_f64_e32 v[185:186], v[2:3], v[12:13]
	v_mul_f64_e32 v[12:13], v[4:5], v[12:13]
	v_add_f64_e32 v[8:9], v[44:45], v[42:43]
	v_add_f64_e32 v[34:35], v[179:180], v[183:184]
	s_wait_loadcnt_dscnt 0x400
	v_mul_f64_e32 v[42:43], v[38:39], v[16:17]
	v_mul_f64_e32 v[16:17], v[40:41], v[16:17]
	v_fma_f64 v[44:45], v[4:5], v[10:11], v[185:186]
	v_fma_f64 v[10:11], v[2:3], v[10:11], -v[12:13]
	v_add_f64_e32 v[12:13], v[8:9], v[6:7]
	v_add_f64_e32 v[34:35], v[34:35], v[36:37]
	ds_load_b128 v[2:5], v1 offset:1984
	ds_load_b128 v[6:9], v1 offset:2000
	v_fma_f64 v[40:41], v[40:41], v[14:15], v[42:43]
	v_fma_f64 v[14:15], v[38:39], v[14:15], -v[16:17]
	s_wait_loadcnt_dscnt 0x301
	v_mul_f64_e32 v[36:37], v[2:3], v[20:21]
	v_mul_f64_e32 v[20:21], v[4:5], v[20:21]
	s_wait_loadcnt_dscnt 0x200
	v_mul_f64_e32 v[16:17], v[6:7], v[24:25]
	v_mul_f64_e32 v[24:25], v[8:9], v[24:25]
	v_add_f64_e32 v[10:11], v[12:13], v[10:11]
	v_add_f64_e32 v[12:13], v[34:35], v[44:45]
	v_fma_f64 v[34:35], v[4:5], v[18:19], v[36:37]
	v_fma_f64 v[18:19], v[2:3], v[18:19], -v[20:21]
	v_fma_f64 v[8:9], v[8:9], v[22:23], v[16:17]
	v_fma_f64 v[6:7], v[6:7], v[22:23], -v[24:25]
	v_add_f64_e32 v[14:15], v[10:11], v[14:15]
	v_add_f64_e32 v[20:21], v[12:13], v[40:41]
	ds_load_b128 v[2:5], v1 offset:2016
	ds_load_b128 v[10:13], v1 offset:2032
	s_wait_loadcnt_dscnt 0x101
	v_mul_f64_e32 v[36:37], v[2:3], v[28:29]
	v_mul_f64_e32 v[28:29], v[4:5], v[28:29]
	v_add_f64_e32 v[14:15], v[14:15], v[18:19]
	v_add_f64_e32 v[16:17], v[20:21], v[34:35]
	s_wait_loadcnt_dscnt 0x0
	v_mul_f64_e32 v[18:19], v[10:11], v[32:33]
	v_mul_f64_e32 v[20:21], v[12:13], v[32:33]
	v_fma_f64 v[4:5], v[4:5], v[26:27], v[36:37]
	v_fma_f64 v[1:2], v[2:3], v[26:27], -v[28:29]
	v_add_f64_e32 v[6:7], v[14:15], v[6:7]
	v_add_f64_e32 v[8:9], v[16:17], v[8:9]
	v_fma_f64 v[12:13], v[12:13], v[30:31], v[18:19]
	v_fma_f64 v[10:11], v[10:11], v[30:31], -v[20:21]
	s_delay_alu instid0(VALU_DEP_4) | instskip(NEXT) | instid1(VALU_DEP_4)
	v_add_f64_e32 v[1:2], v[6:7], v[1:2]
	v_add_f64_e32 v[3:4], v[8:9], v[4:5]
	s_delay_alu instid0(VALU_DEP_2) | instskip(NEXT) | instid1(VALU_DEP_2)
	v_add_f64_e32 v[1:2], v[1:2], v[10:11]
	v_add_f64_e32 v[3:4], v[3:4], v[12:13]
	s_delay_alu instid0(VALU_DEP_2) | instskip(NEXT) | instid1(VALU_DEP_2)
	v_add_f64_e64 v[1:2], v[175:176], -v[1:2]
	v_add_f64_e64 v[3:4], v[177:178], -v[3:4]
	scratch_store_b128 off, v[1:4], off offset:416
	v_cmpx_lt_u32_e32 24, v0
	s_cbranch_execz .LBB63_361
; %bb.360:
	scratch_load_b128 v[1:4], off, s21
	v_mov_b32_e32 v5, 0
	s_delay_alu instid0(VALU_DEP_1)
	v_dual_mov_b32 v6, v5 :: v_dual_mov_b32 v7, v5
	v_mov_b32_e32 v8, v5
	scratch_store_b128 off, v[5:8], off offset:400
	s_wait_loadcnt 0x0
	ds_store_b128 v174, v[1:4]
.LBB63_361:
	s_wait_alu 0xfffe
	s_or_b32 exec_lo, exec_lo, s0
	s_wait_storecnt_dscnt 0x0
	s_barrier_signal -1
	s_barrier_wait -1
	global_inv scope:SCOPE_SE
	s_clause 0x7
	scratch_load_b128 v[2:5], off, off offset:416
	scratch_load_b128 v[6:9], off, off offset:432
	;; [unrolled: 1-line block ×8, first 2 shown]
	v_mov_b32_e32 v1, 0
	s_mov_b32 s0, exec_lo
	ds_load_b128 v[38:41], v1 offset:1424
	s_clause 0x1
	scratch_load_b128 v[34:37], off, off offset:544
	scratch_load_b128 v[42:45], off, off offset:400
	ds_load_b128 v[175:178], v1 offset:1440
	scratch_load_b128 v[179:182], off, off offset:560
	s_wait_loadcnt_dscnt 0xa01
	v_mul_f64_e32 v[183:184], v[40:41], v[4:5]
	v_mul_f64_e32 v[4:5], v[38:39], v[4:5]
	s_delay_alu instid0(VALU_DEP_2) | instskip(NEXT) | instid1(VALU_DEP_2)
	v_fma_f64 v[189:190], v[38:39], v[2:3], -v[183:184]
	v_fma_f64 v[191:192], v[40:41], v[2:3], v[4:5]
	ds_load_b128 v[2:5], v1 offset:1456
	s_wait_loadcnt_dscnt 0x901
	v_mul_f64_e32 v[187:188], v[175:176], v[8:9]
	v_mul_f64_e32 v[8:9], v[177:178], v[8:9]
	scratch_load_b128 v[38:41], off, off offset:576
	ds_load_b128 v[183:186], v1 offset:1472
	s_wait_loadcnt_dscnt 0x901
	v_mul_f64_e32 v[193:194], v[2:3], v[12:13]
	v_mul_f64_e32 v[12:13], v[4:5], v[12:13]
	v_fma_f64 v[177:178], v[177:178], v[6:7], v[187:188]
	v_fma_f64 v[175:176], v[175:176], v[6:7], -v[8:9]
	v_add_f64_e32 v[187:188], 0, v[189:190]
	v_add_f64_e32 v[189:190], 0, v[191:192]
	scratch_load_b128 v[6:9], off, off offset:592
	v_fma_f64 v[193:194], v[4:5], v[10:11], v[193:194]
	v_fma_f64 v[195:196], v[2:3], v[10:11], -v[12:13]
	ds_load_b128 v[2:5], v1 offset:1488
	s_wait_loadcnt_dscnt 0x901
	v_mul_f64_e32 v[191:192], v[183:184], v[16:17]
	v_mul_f64_e32 v[16:17], v[185:186], v[16:17]
	scratch_load_b128 v[10:13], off, off offset:608
	v_add_f64_e32 v[187:188], v[187:188], v[175:176]
	v_add_f64_e32 v[189:190], v[189:190], v[177:178]
	s_wait_loadcnt_dscnt 0x900
	v_mul_f64_e32 v[197:198], v[2:3], v[20:21]
	v_mul_f64_e32 v[20:21], v[4:5], v[20:21]
	ds_load_b128 v[175:178], v1 offset:1504
	v_fma_f64 v[185:186], v[185:186], v[14:15], v[191:192]
	v_fma_f64 v[183:184], v[183:184], v[14:15], -v[16:17]
	scratch_load_b128 v[14:17], off, off offset:624
	v_add_f64_e32 v[187:188], v[187:188], v[195:196]
	v_add_f64_e32 v[189:190], v[189:190], v[193:194]
	v_fma_f64 v[193:194], v[4:5], v[18:19], v[197:198]
	v_fma_f64 v[195:196], v[2:3], v[18:19], -v[20:21]
	ds_load_b128 v[2:5], v1 offset:1520
	s_wait_loadcnt_dscnt 0x901
	v_mul_f64_e32 v[191:192], v[175:176], v[24:25]
	v_mul_f64_e32 v[24:25], v[177:178], v[24:25]
	scratch_load_b128 v[18:21], off, off offset:640
	s_wait_loadcnt_dscnt 0x900
	v_mul_f64_e32 v[197:198], v[2:3], v[28:29]
	v_mul_f64_e32 v[28:29], v[4:5], v[28:29]
	v_add_f64_e32 v[187:188], v[187:188], v[183:184]
	v_add_f64_e32 v[189:190], v[189:190], v[185:186]
	ds_load_b128 v[183:186], v1 offset:1536
	v_fma_f64 v[177:178], v[177:178], v[22:23], v[191:192]
	v_fma_f64 v[175:176], v[175:176], v[22:23], -v[24:25]
	scratch_load_b128 v[22:25], off, off offset:656
	v_add_f64_e32 v[187:188], v[187:188], v[195:196]
	v_add_f64_e32 v[189:190], v[189:190], v[193:194]
	v_fma_f64 v[193:194], v[4:5], v[26:27], v[197:198]
	v_fma_f64 v[195:196], v[2:3], v[26:27], -v[28:29]
	ds_load_b128 v[2:5], v1 offset:1552
	s_wait_loadcnt_dscnt 0x901
	v_mul_f64_e32 v[191:192], v[183:184], v[32:33]
	v_mul_f64_e32 v[32:33], v[185:186], v[32:33]
	scratch_load_b128 v[26:29], off, off offset:672
	s_wait_loadcnt_dscnt 0x900
	v_mul_f64_e32 v[197:198], v[2:3], v[36:37]
	v_mul_f64_e32 v[36:37], v[4:5], v[36:37]
	v_add_f64_e32 v[187:188], v[187:188], v[175:176]
	v_add_f64_e32 v[189:190], v[189:190], v[177:178]
	ds_load_b128 v[175:178], v1 offset:1568
	v_fma_f64 v[185:186], v[185:186], v[30:31], v[191:192]
	v_fma_f64 v[183:184], v[183:184], v[30:31], -v[32:33]
	scratch_load_b128 v[30:33], off, off offset:688
	v_add_f64_e32 v[187:188], v[187:188], v[195:196]
	v_add_f64_e32 v[189:190], v[189:190], v[193:194]
	v_fma_f64 v[195:196], v[4:5], v[34:35], v[197:198]
	v_fma_f64 v[197:198], v[2:3], v[34:35], -v[36:37]
	ds_load_b128 v[2:5], v1 offset:1584
	s_wait_loadcnt_dscnt 0x801
	v_mul_f64_e32 v[191:192], v[175:176], v[181:182]
	v_mul_f64_e32 v[193:194], v[177:178], v[181:182]
	scratch_load_b128 v[34:37], off, off offset:704
	v_add_f64_e32 v[187:188], v[187:188], v[183:184]
	v_add_f64_e32 v[185:186], v[189:190], v[185:186]
	ds_load_b128 v[181:184], v1 offset:1600
	v_fma_f64 v[191:192], v[177:178], v[179:180], v[191:192]
	v_fma_f64 v[179:180], v[175:176], v[179:180], -v[193:194]
	scratch_load_b128 v[175:178], off, off offset:720
	s_wait_loadcnt_dscnt 0x901
	v_mul_f64_e32 v[189:190], v[2:3], v[40:41]
	v_mul_f64_e32 v[40:41], v[4:5], v[40:41]
	v_add_f64_e32 v[187:188], v[187:188], v[197:198]
	v_add_f64_e32 v[185:186], v[185:186], v[195:196]
	s_delay_alu instid0(VALU_DEP_4) | instskip(NEXT) | instid1(VALU_DEP_4)
	v_fma_f64 v[189:190], v[4:5], v[38:39], v[189:190]
	v_fma_f64 v[195:196], v[2:3], v[38:39], -v[40:41]
	ds_load_b128 v[2:5], v1 offset:1616
	s_wait_loadcnt_dscnt 0x801
	v_mul_f64_e32 v[193:194], v[181:182], v[8:9]
	v_mul_f64_e32 v[8:9], v[183:184], v[8:9]
	scratch_load_b128 v[38:41], off, off offset:736
	s_wait_loadcnt_dscnt 0x800
	v_mul_f64_e32 v[197:198], v[2:3], v[12:13]
	v_add_f64_e32 v[179:180], v[187:188], v[179:180]
	v_add_f64_e32 v[191:192], v[185:186], v[191:192]
	v_mul_f64_e32 v[12:13], v[4:5], v[12:13]
	ds_load_b128 v[185:188], v1 offset:1632
	v_fma_f64 v[183:184], v[183:184], v[6:7], v[193:194]
	v_fma_f64 v[181:182], v[181:182], v[6:7], -v[8:9]
	scratch_load_b128 v[6:9], off, off offset:752
	v_fma_f64 v[193:194], v[4:5], v[10:11], v[197:198]
	v_add_f64_e32 v[179:180], v[179:180], v[195:196]
	v_add_f64_e32 v[189:190], v[191:192], v[189:190]
	v_fma_f64 v[195:196], v[2:3], v[10:11], -v[12:13]
	ds_load_b128 v[2:5], v1 offset:1648
	s_wait_loadcnt_dscnt 0x801
	v_mul_f64_e32 v[191:192], v[185:186], v[16:17]
	v_mul_f64_e32 v[16:17], v[187:188], v[16:17]
	scratch_load_b128 v[10:13], off, off offset:768
	v_add_f64_e32 v[197:198], v[179:180], v[181:182]
	v_add_f64_e32 v[183:184], v[189:190], v[183:184]
	s_wait_loadcnt_dscnt 0x800
	v_mul_f64_e32 v[189:190], v[2:3], v[20:21]
	v_mul_f64_e32 v[20:21], v[4:5], v[20:21]
	v_fma_f64 v[187:188], v[187:188], v[14:15], v[191:192]
	v_fma_f64 v[185:186], v[185:186], v[14:15], -v[16:17]
	ds_load_b128 v[179:182], v1 offset:1664
	scratch_load_b128 v[14:17], off, off offset:784
	v_add_f64_e32 v[191:192], v[197:198], v[195:196]
	v_add_f64_e32 v[183:184], v[183:184], v[193:194]
	v_fma_f64 v[189:190], v[4:5], v[18:19], v[189:190]
	v_fma_f64 v[195:196], v[2:3], v[18:19], -v[20:21]
	ds_load_b128 v[2:5], v1 offset:1680
	s_wait_loadcnt_dscnt 0x801
	v_mul_f64_e32 v[193:194], v[179:180], v[24:25]
	v_mul_f64_e32 v[24:25], v[181:182], v[24:25]
	scratch_load_b128 v[18:21], off, off offset:800
	s_wait_loadcnt_dscnt 0x800
	v_mul_f64_e32 v[197:198], v[2:3], v[28:29]
	v_mul_f64_e32 v[28:29], v[4:5], v[28:29]
	v_add_f64_e32 v[191:192], v[191:192], v[185:186]
	v_add_f64_e32 v[187:188], v[183:184], v[187:188]
	ds_load_b128 v[183:186], v1 offset:1696
	v_fma_f64 v[181:182], v[181:182], v[22:23], v[193:194]
	v_fma_f64 v[179:180], v[179:180], v[22:23], -v[24:25]
	scratch_load_b128 v[22:25], off, off offset:816
	v_fma_f64 v[193:194], v[4:5], v[26:27], v[197:198]
	v_add_f64_e32 v[191:192], v[191:192], v[195:196]
	v_add_f64_e32 v[187:188], v[187:188], v[189:190]
	v_fma_f64 v[195:196], v[2:3], v[26:27], -v[28:29]
	ds_load_b128 v[2:5], v1 offset:1712
	s_wait_loadcnt_dscnt 0x801
	v_mul_f64_e32 v[189:190], v[183:184], v[32:33]
	v_mul_f64_e32 v[32:33], v[185:186], v[32:33]
	scratch_load_b128 v[26:29], off, off offset:832
	s_wait_loadcnt_dscnt 0x800
	v_mul_f64_e32 v[197:198], v[2:3], v[36:37]
	v_mul_f64_e32 v[36:37], v[4:5], v[36:37]
	v_add_f64_e32 v[191:192], v[191:192], v[179:180]
	v_add_f64_e32 v[187:188], v[187:188], v[181:182]
	ds_load_b128 v[179:182], v1 offset:1728
	v_fma_f64 v[185:186], v[185:186], v[30:31], v[189:190]
	v_fma_f64 v[183:184], v[183:184], v[30:31], -v[32:33]
	scratch_load_b128 v[30:33], off, off offset:848
	v_add_f64_e32 v[189:190], v[191:192], v[195:196]
	v_add_f64_e32 v[187:188], v[187:188], v[193:194]
	v_fma_f64 v[193:194], v[4:5], v[34:35], v[197:198]
	v_fma_f64 v[195:196], v[2:3], v[34:35], -v[36:37]
	ds_load_b128 v[2:5], v1 offset:1744
	s_wait_loadcnt_dscnt 0x801
	v_mul_f64_e32 v[191:192], v[179:180], v[177:178]
	v_mul_f64_e32 v[177:178], v[181:182], v[177:178]
	scratch_load_b128 v[34:37], off, off offset:864
	s_wait_loadcnt_dscnt 0x800
	v_mul_f64_e32 v[197:198], v[2:3], v[40:41]
	v_mul_f64_e32 v[40:41], v[4:5], v[40:41]
	v_add_f64_e32 v[189:190], v[189:190], v[183:184]
	v_add_f64_e32 v[187:188], v[187:188], v[185:186]
	ds_load_b128 v[183:186], v1 offset:1760
	v_fma_f64 v[181:182], v[181:182], v[175:176], v[191:192]
	v_fma_f64 v[179:180], v[179:180], v[175:176], -v[177:178]
	scratch_load_b128 v[175:178], off, off offset:880
	v_add_f64_e32 v[189:190], v[189:190], v[195:196]
	v_add_f64_e32 v[187:188], v[187:188], v[193:194]
	v_fma_f64 v[193:194], v[4:5], v[38:39], v[197:198]
	;; [unrolled: 18-line block ×6, first 2 shown]
	v_fma_f64 v[197:198], v[2:3], v[34:35], -v[36:37]
	ds_load_b128 v[2:5], v1 offset:1904
	s_wait_loadcnt_dscnt 0x801
	v_mul_f64_e32 v[191:192], v[183:184], v[177:178]
	v_mul_f64_e32 v[193:194], v[185:186], v[177:178]
	scratch_load_b128 v[34:37], off, off offset:1024
	v_add_f64_e32 v[189:190], v[189:190], v[179:180]
	v_add_f64_e32 v[181:182], v[187:188], v[181:182]
	s_wait_loadcnt_dscnt 0x800
	v_mul_f64_e32 v[187:188], v[2:3], v[40:41]
	v_mul_f64_e32 v[40:41], v[4:5], v[40:41]
	ds_load_b128 v[177:180], v1 offset:1920
	v_fma_f64 v[185:186], v[185:186], v[175:176], v[191:192]
	v_fma_f64 v[175:176], v[183:184], v[175:176], -v[193:194]
	v_add_f64_e32 v[183:184], v[189:190], v[197:198]
	v_add_f64_e32 v[181:182], v[181:182], v[195:196]
	s_wait_loadcnt_dscnt 0x700
	v_mul_f64_e32 v[189:190], v[177:178], v[8:9]
	v_mul_f64_e32 v[8:9], v[179:180], v[8:9]
	v_fma_f64 v[187:188], v[4:5], v[38:39], v[187:188]
	v_fma_f64 v[191:192], v[2:3], v[38:39], -v[40:41]
	ds_load_b128 v[2:5], v1 offset:1936
	ds_load_b128 v[38:41], v1 offset:1952
	v_add_f64_e32 v[175:176], v[183:184], v[175:176]
	v_add_f64_e32 v[181:182], v[181:182], v[185:186]
	s_wait_loadcnt_dscnt 0x601
	v_mul_f64_e32 v[183:184], v[2:3], v[12:13]
	v_mul_f64_e32 v[12:13], v[4:5], v[12:13]
	v_fma_f64 v[179:180], v[179:180], v[6:7], v[189:190]
	v_fma_f64 v[6:7], v[177:178], v[6:7], -v[8:9]
	s_wait_loadcnt_dscnt 0x500
	v_mul_f64_e32 v[177:178], v[38:39], v[16:17]
	v_mul_f64_e32 v[16:17], v[40:41], v[16:17]
	v_add_f64_e32 v[8:9], v[175:176], v[191:192]
	v_add_f64_e32 v[175:176], v[181:182], v[187:188]
	v_fma_f64 v[181:182], v[4:5], v[10:11], v[183:184]
	v_fma_f64 v[10:11], v[2:3], v[10:11], -v[12:13]
	v_fma_f64 v[40:41], v[40:41], v[14:15], v[177:178]
	v_fma_f64 v[14:15], v[38:39], v[14:15], -v[16:17]
	v_add_f64_e32 v[12:13], v[8:9], v[6:7]
	v_add_f64_e32 v[175:176], v[175:176], v[179:180]
	ds_load_b128 v[2:5], v1 offset:1968
	ds_load_b128 v[6:9], v1 offset:1984
	s_wait_loadcnt_dscnt 0x401
	v_mul_f64_e32 v[179:180], v[2:3], v[20:21]
	v_mul_f64_e32 v[20:21], v[4:5], v[20:21]
	s_wait_loadcnt_dscnt 0x300
	v_mul_f64_e32 v[16:17], v[6:7], v[24:25]
	v_mul_f64_e32 v[24:25], v[8:9], v[24:25]
	v_add_f64_e32 v[10:11], v[12:13], v[10:11]
	v_add_f64_e32 v[12:13], v[175:176], v[181:182]
	v_fma_f64 v[38:39], v[4:5], v[18:19], v[179:180]
	v_fma_f64 v[18:19], v[2:3], v[18:19], -v[20:21]
	v_fma_f64 v[8:9], v[8:9], v[22:23], v[16:17]
	v_fma_f64 v[6:7], v[6:7], v[22:23], -v[24:25]
	v_add_f64_e32 v[14:15], v[10:11], v[14:15]
	v_add_f64_e32 v[20:21], v[12:13], v[40:41]
	ds_load_b128 v[2:5], v1 offset:2000
	ds_load_b128 v[10:13], v1 offset:2016
	s_wait_loadcnt_dscnt 0x201
	v_mul_f64_e32 v[40:41], v[2:3], v[28:29]
	v_mul_f64_e32 v[28:29], v[4:5], v[28:29]
	v_add_f64_e32 v[14:15], v[14:15], v[18:19]
	v_add_f64_e32 v[16:17], v[20:21], v[38:39]
	s_wait_loadcnt_dscnt 0x100
	v_mul_f64_e32 v[18:19], v[10:11], v[32:33]
	v_mul_f64_e32 v[20:21], v[12:13], v[32:33]
	v_fma_f64 v[22:23], v[4:5], v[26:27], v[40:41]
	v_fma_f64 v[24:25], v[2:3], v[26:27], -v[28:29]
	ds_load_b128 v[2:5], v1 offset:2032
	v_add_f64_e32 v[6:7], v[14:15], v[6:7]
	v_add_f64_e32 v[8:9], v[16:17], v[8:9]
	v_fma_f64 v[12:13], v[12:13], v[30:31], v[18:19]
	v_fma_f64 v[10:11], v[10:11], v[30:31], -v[20:21]
	s_wait_loadcnt_dscnt 0x0
	v_mul_f64_e32 v[14:15], v[2:3], v[36:37]
	v_mul_f64_e32 v[16:17], v[4:5], v[36:37]
	v_add_f64_e32 v[6:7], v[6:7], v[24:25]
	v_add_f64_e32 v[8:9], v[8:9], v[22:23]
	s_delay_alu instid0(VALU_DEP_4) | instskip(NEXT) | instid1(VALU_DEP_4)
	v_fma_f64 v[4:5], v[4:5], v[34:35], v[14:15]
	v_fma_f64 v[2:3], v[2:3], v[34:35], -v[16:17]
	s_delay_alu instid0(VALU_DEP_4) | instskip(NEXT) | instid1(VALU_DEP_4)
	v_add_f64_e32 v[6:7], v[6:7], v[10:11]
	v_add_f64_e32 v[8:9], v[8:9], v[12:13]
	s_delay_alu instid0(VALU_DEP_2) | instskip(NEXT) | instid1(VALU_DEP_2)
	v_add_f64_e32 v[2:3], v[6:7], v[2:3]
	v_add_f64_e32 v[4:5], v[8:9], v[4:5]
	s_delay_alu instid0(VALU_DEP_2) | instskip(NEXT) | instid1(VALU_DEP_2)
	v_add_f64_e64 v[2:3], v[42:43], -v[2:3]
	v_add_f64_e64 v[4:5], v[44:45], -v[4:5]
	scratch_store_b128 off, v[2:5], off offset:400
	v_cmpx_lt_u32_e32 23, v0
	s_cbranch_execz .LBB63_363
; %bb.362:
	scratch_load_b128 v[5:8], off, s23
	v_dual_mov_b32 v2, v1 :: v_dual_mov_b32 v3, v1
	v_mov_b32_e32 v4, v1
	scratch_store_b128 off, v[1:4], off offset:384
	s_wait_loadcnt 0x0
	ds_store_b128 v174, v[5:8]
.LBB63_363:
	s_wait_alu 0xfffe
	s_or_b32 exec_lo, exec_lo, s0
	s_wait_storecnt_dscnt 0x0
	s_barrier_signal -1
	s_barrier_wait -1
	global_inv scope:SCOPE_SE
	s_clause 0x8
	scratch_load_b128 v[2:5], off, off offset:400
	scratch_load_b128 v[6:9], off, off offset:416
	;; [unrolled: 1-line block ×9, first 2 shown]
	ds_load_b128 v[42:45], v1 offset:1408
	ds_load_b128 v[38:41], v1 offset:1424
	s_clause 0x1
	scratch_load_b128 v[175:178], off, off offset:384
	scratch_load_b128 v[179:182], off, off offset:544
	s_mov_b32 s0, exec_lo
	s_wait_loadcnt_dscnt 0xa01
	v_mul_f64_e32 v[183:184], v[44:45], v[4:5]
	v_mul_f64_e32 v[4:5], v[42:43], v[4:5]
	s_wait_loadcnt_dscnt 0x900
	v_mul_f64_e32 v[187:188], v[38:39], v[8:9]
	v_mul_f64_e32 v[8:9], v[40:41], v[8:9]
	s_delay_alu instid0(VALU_DEP_4) | instskip(NEXT) | instid1(VALU_DEP_4)
	v_fma_f64 v[189:190], v[42:43], v[2:3], -v[183:184]
	v_fma_f64 v[191:192], v[44:45], v[2:3], v[4:5]
	ds_load_b128 v[2:5], v1 offset:1440
	ds_load_b128 v[183:186], v1 offset:1456
	scratch_load_b128 v[42:45], off, off offset:560
	v_fma_f64 v[40:41], v[40:41], v[6:7], v[187:188]
	v_fma_f64 v[38:39], v[38:39], v[6:7], -v[8:9]
	scratch_load_b128 v[6:9], off, off offset:576
	s_wait_loadcnt_dscnt 0xa01
	v_mul_f64_e32 v[193:194], v[2:3], v[12:13]
	v_mul_f64_e32 v[12:13], v[4:5], v[12:13]
	v_add_f64_e32 v[187:188], 0, v[189:190]
	v_add_f64_e32 v[189:190], 0, v[191:192]
	s_wait_loadcnt_dscnt 0x900
	v_mul_f64_e32 v[191:192], v[183:184], v[16:17]
	v_mul_f64_e32 v[16:17], v[185:186], v[16:17]
	v_fma_f64 v[193:194], v[4:5], v[10:11], v[193:194]
	v_fma_f64 v[195:196], v[2:3], v[10:11], -v[12:13]
	ds_load_b128 v[2:5], v1 offset:1472
	scratch_load_b128 v[10:13], off, off offset:592
	v_add_f64_e32 v[187:188], v[187:188], v[38:39]
	v_add_f64_e32 v[189:190], v[189:190], v[40:41]
	ds_load_b128 v[38:41], v1 offset:1488
	v_fma_f64 v[185:186], v[185:186], v[14:15], v[191:192]
	v_fma_f64 v[183:184], v[183:184], v[14:15], -v[16:17]
	scratch_load_b128 v[14:17], off, off offset:608
	s_wait_loadcnt_dscnt 0xa01
	v_mul_f64_e32 v[197:198], v[2:3], v[20:21]
	v_mul_f64_e32 v[20:21], v[4:5], v[20:21]
	s_wait_loadcnt_dscnt 0x900
	v_mul_f64_e32 v[191:192], v[38:39], v[24:25]
	v_mul_f64_e32 v[24:25], v[40:41], v[24:25]
	v_add_f64_e32 v[187:188], v[187:188], v[195:196]
	v_add_f64_e32 v[189:190], v[189:190], v[193:194]
	v_fma_f64 v[193:194], v[4:5], v[18:19], v[197:198]
	v_fma_f64 v[195:196], v[2:3], v[18:19], -v[20:21]
	ds_load_b128 v[2:5], v1 offset:1504
	scratch_load_b128 v[18:21], off, off offset:624
	v_fma_f64 v[40:41], v[40:41], v[22:23], v[191:192]
	v_fma_f64 v[38:39], v[38:39], v[22:23], -v[24:25]
	scratch_load_b128 v[22:25], off, off offset:640
	v_add_f64_e32 v[187:188], v[187:188], v[183:184]
	v_add_f64_e32 v[189:190], v[189:190], v[185:186]
	ds_load_b128 v[183:186], v1 offset:1520
	s_wait_loadcnt_dscnt 0xa01
	v_mul_f64_e32 v[197:198], v[2:3], v[28:29]
	v_mul_f64_e32 v[28:29], v[4:5], v[28:29]
	s_wait_loadcnt_dscnt 0x900
	v_mul_f64_e32 v[191:192], v[183:184], v[32:33]
	v_mul_f64_e32 v[32:33], v[185:186], v[32:33]
	v_add_f64_e32 v[187:188], v[187:188], v[195:196]
	v_add_f64_e32 v[189:190], v[189:190], v[193:194]
	v_fma_f64 v[193:194], v[4:5], v[26:27], v[197:198]
	v_fma_f64 v[195:196], v[2:3], v[26:27], -v[28:29]
	ds_load_b128 v[2:5], v1 offset:1536
	scratch_load_b128 v[26:29], off, off offset:656
	v_fma_f64 v[185:186], v[185:186], v[30:31], v[191:192]
	v_fma_f64 v[183:184], v[183:184], v[30:31], -v[32:33]
	scratch_load_b128 v[30:33], off, off offset:672
	v_add_f64_e32 v[187:188], v[187:188], v[38:39]
	v_add_f64_e32 v[189:190], v[189:190], v[40:41]
	ds_load_b128 v[38:41], v1 offset:1552
	s_wait_loadcnt_dscnt 0xa01
	v_mul_f64_e32 v[197:198], v[2:3], v[36:37]
	v_mul_f64_e32 v[36:37], v[4:5], v[36:37]
	s_wait_loadcnt_dscnt 0x800
	v_mul_f64_e32 v[191:192], v[38:39], v[181:182]
	v_add_f64_e32 v[187:188], v[187:188], v[195:196]
	v_add_f64_e32 v[189:190], v[189:190], v[193:194]
	v_mul_f64_e32 v[193:194], v[40:41], v[181:182]
	v_fma_f64 v[195:196], v[4:5], v[34:35], v[197:198]
	v_fma_f64 v[197:198], v[2:3], v[34:35], -v[36:37]
	ds_load_b128 v[2:5], v1 offset:1568
	scratch_load_b128 v[34:37], off, off offset:688
	v_fma_f64 v[191:192], v[40:41], v[179:180], v[191:192]
	v_add_f64_e32 v[187:188], v[187:188], v[183:184]
	v_add_f64_e32 v[185:186], v[189:190], v[185:186]
	ds_load_b128 v[181:184], v1 offset:1584
	v_fma_f64 v[179:180], v[38:39], v[179:180], -v[193:194]
	scratch_load_b128 v[38:41], off, off offset:704
	s_wait_loadcnt_dscnt 0x901
	v_mul_f64_e32 v[189:190], v[2:3], v[44:45]
	v_mul_f64_e32 v[44:45], v[4:5], v[44:45]
	s_wait_loadcnt_dscnt 0x800
	v_mul_f64_e32 v[193:194], v[181:182], v[8:9]
	v_mul_f64_e32 v[8:9], v[183:184], v[8:9]
	v_add_f64_e32 v[187:188], v[187:188], v[197:198]
	v_add_f64_e32 v[185:186], v[185:186], v[195:196]
	v_fma_f64 v[189:190], v[4:5], v[42:43], v[189:190]
	v_fma_f64 v[195:196], v[2:3], v[42:43], -v[44:45]
	ds_load_b128 v[2:5], v1 offset:1600
	scratch_load_b128 v[42:45], off, off offset:720
	v_fma_f64 v[183:184], v[183:184], v[6:7], v[193:194]
	v_fma_f64 v[181:182], v[181:182], v[6:7], -v[8:9]
	scratch_load_b128 v[6:9], off, off offset:736
	v_add_f64_e32 v[179:180], v[187:188], v[179:180]
	v_add_f64_e32 v[191:192], v[185:186], v[191:192]
	ds_load_b128 v[185:188], v1 offset:1616
	s_wait_loadcnt_dscnt 0x901
	v_mul_f64_e32 v[197:198], v[2:3], v[12:13]
	v_mul_f64_e32 v[12:13], v[4:5], v[12:13]
	v_add_f64_e32 v[179:180], v[179:180], v[195:196]
	v_add_f64_e32 v[189:190], v[191:192], v[189:190]
	s_wait_loadcnt_dscnt 0x800
	v_mul_f64_e32 v[191:192], v[185:186], v[16:17]
	v_mul_f64_e32 v[16:17], v[187:188], v[16:17]
	v_fma_f64 v[193:194], v[4:5], v[10:11], v[197:198]
	v_fma_f64 v[195:196], v[2:3], v[10:11], -v[12:13]
	ds_load_b128 v[2:5], v1 offset:1632
	scratch_load_b128 v[10:13], off, off offset:752
	v_add_f64_e32 v[197:198], v[179:180], v[181:182]
	v_add_f64_e32 v[183:184], v[189:190], v[183:184]
	ds_load_b128 v[179:182], v1 offset:1648
	s_wait_loadcnt_dscnt 0x801
	v_mul_f64_e32 v[189:190], v[2:3], v[20:21]
	v_mul_f64_e32 v[20:21], v[4:5], v[20:21]
	v_fma_f64 v[187:188], v[187:188], v[14:15], v[191:192]
	v_fma_f64 v[185:186], v[185:186], v[14:15], -v[16:17]
	scratch_load_b128 v[14:17], off, off offset:768
	v_add_f64_e32 v[191:192], v[197:198], v[195:196]
	v_add_f64_e32 v[183:184], v[183:184], v[193:194]
	s_wait_loadcnt_dscnt 0x800
	v_mul_f64_e32 v[193:194], v[179:180], v[24:25]
	v_mul_f64_e32 v[24:25], v[181:182], v[24:25]
	v_fma_f64 v[189:190], v[4:5], v[18:19], v[189:190]
	v_fma_f64 v[195:196], v[2:3], v[18:19], -v[20:21]
	ds_load_b128 v[2:5], v1 offset:1664
	scratch_load_b128 v[18:21], off, off offset:784
	v_add_f64_e32 v[191:192], v[191:192], v[185:186]
	v_add_f64_e32 v[187:188], v[183:184], v[187:188]
	ds_load_b128 v[183:186], v1 offset:1680
	s_wait_loadcnt_dscnt 0x801
	v_mul_f64_e32 v[197:198], v[2:3], v[28:29]
	v_mul_f64_e32 v[28:29], v[4:5], v[28:29]
	v_fma_f64 v[181:182], v[181:182], v[22:23], v[193:194]
	v_fma_f64 v[179:180], v[179:180], v[22:23], -v[24:25]
	scratch_load_b128 v[22:25], off, off offset:800
	;; [unrolled: 18-line block ×4, first 2 shown]
	s_wait_loadcnt_dscnt 0x800
	v_mul_f64_e32 v[191:192], v[183:184], v[8:9]
	v_mul_f64_e32 v[8:9], v[185:186], v[8:9]
	v_add_f64_e32 v[189:190], v[189:190], v[195:196]
	v_add_f64_e32 v[187:188], v[187:188], v[193:194]
	v_fma_f64 v[193:194], v[4:5], v[42:43], v[197:198]
	v_fma_f64 v[195:196], v[2:3], v[42:43], -v[44:45]
	ds_load_b128 v[2:5], v1 offset:1760
	scratch_load_b128 v[42:45], off, off offset:880
	v_fma_f64 v[185:186], v[185:186], v[6:7], v[191:192]
	v_fma_f64 v[183:184], v[183:184], v[6:7], -v[8:9]
	scratch_load_b128 v[6:9], off, off offset:896
	v_add_f64_e32 v[189:190], v[189:190], v[179:180]
	v_add_f64_e32 v[187:188], v[187:188], v[181:182]
	ds_load_b128 v[179:182], v1 offset:1776
	s_wait_loadcnt_dscnt 0x901
	v_mul_f64_e32 v[197:198], v[2:3], v[12:13]
	v_mul_f64_e32 v[12:13], v[4:5], v[12:13]
	s_wait_loadcnt_dscnt 0x800
	v_mul_f64_e32 v[191:192], v[179:180], v[16:17]
	v_mul_f64_e32 v[16:17], v[181:182], v[16:17]
	v_add_f64_e32 v[189:190], v[189:190], v[195:196]
	v_add_f64_e32 v[187:188], v[187:188], v[193:194]
	v_fma_f64 v[193:194], v[4:5], v[10:11], v[197:198]
	v_fma_f64 v[195:196], v[2:3], v[10:11], -v[12:13]
	ds_load_b128 v[2:5], v1 offset:1792
	scratch_load_b128 v[10:13], off, off offset:912
	v_fma_f64 v[181:182], v[181:182], v[14:15], v[191:192]
	v_fma_f64 v[179:180], v[179:180], v[14:15], -v[16:17]
	scratch_load_b128 v[14:17], off, off offset:928
	v_add_f64_e32 v[189:190], v[189:190], v[183:184]
	v_add_f64_e32 v[187:188], v[187:188], v[185:186]
	ds_load_b128 v[183:186], v1 offset:1808
	s_wait_loadcnt_dscnt 0x901
	v_mul_f64_e32 v[197:198], v[2:3], v[20:21]
	v_mul_f64_e32 v[20:21], v[4:5], v[20:21]
	;; [unrolled: 18-line block ×5, first 2 shown]
	s_wait_loadcnt_dscnt 0x800
	v_mul_f64_e32 v[191:192], v[179:180], v[8:9]
	v_mul_f64_e32 v[8:9], v[181:182], v[8:9]
	v_add_f64_e32 v[189:190], v[189:190], v[195:196]
	v_add_f64_e32 v[187:188], v[187:188], v[193:194]
	v_fma_f64 v[193:194], v[4:5], v[42:43], v[197:198]
	v_fma_f64 v[195:196], v[2:3], v[42:43], -v[44:45]
	ds_load_b128 v[2:5], v1 offset:1920
	ds_load_b128 v[42:45], v1 offset:1936
	v_fma_f64 v[181:182], v[181:182], v[6:7], v[191:192]
	v_fma_f64 v[6:7], v[179:180], v[6:7], -v[8:9]
	v_add_f64_e32 v[183:184], v[189:190], v[183:184]
	v_add_f64_e32 v[185:186], v[187:188], v[185:186]
	s_wait_loadcnt_dscnt 0x701
	v_mul_f64_e32 v[187:188], v[2:3], v[12:13]
	v_mul_f64_e32 v[12:13], v[4:5], v[12:13]
	s_delay_alu instid0(VALU_DEP_4) | instskip(NEXT) | instid1(VALU_DEP_4)
	v_add_f64_e32 v[8:9], v[183:184], v[195:196]
	v_add_f64_e32 v[179:180], v[185:186], v[193:194]
	s_wait_loadcnt_dscnt 0x600
	v_mul_f64_e32 v[183:184], v[42:43], v[16:17]
	v_mul_f64_e32 v[16:17], v[44:45], v[16:17]
	v_fma_f64 v[185:186], v[4:5], v[10:11], v[187:188]
	v_fma_f64 v[10:11], v[2:3], v[10:11], -v[12:13]
	v_add_f64_e32 v[12:13], v[8:9], v[6:7]
	v_add_f64_e32 v[179:180], v[179:180], v[181:182]
	ds_load_b128 v[2:5], v1 offset:1952
	ds_load_b128 v[6:9], v1 offset:1968
	v_fma_f64 v[44:45], v[44:45], v[14:15], v[183:184]
	v_fma_f64 v[14:15], v[42:43], v[14:15], -v[16:17]
	s_wait_loadcnt_dscnt 0x501
	v_mul_f64_e32 v[181:182], v[2:3], v[20:21]
	v_mul_f64_e32 v[20:21], v[4:5], v[20:21]
	s_wait_loadcnt_dscnt 0x400
	v_mul_f64_e32 v[16:17], v[6:7], v[24:25]
	v_mul_f64_e32 v[24:25], v[8:9], v[24:25]
	v_add_f64_e32 v[10:11], v[12:13], v[10:11]
	v_add_f64_e32 v[12:13], v[179:180], v[185:186]
	v_fma_f64 v[42:43], v[4:5], v[18:19], v[181:182]
	v_fma_f64 v[18:19], v[2:3], v[18:19], -v[20:21]
	v_fma_f64 v[8:9], v[8:9], v[22:23], v[16:17]
	v_fma_f64 v[6:7], v[6:7], v[22:23], -v[24:25]
	v_add_f64_e32 v[14:15], v[10:11], v[14:15]
	v_add_f64_e32 v[20:21], v[12:13], v[44:45]
	ds_load_b128 v[2:5], v1 offset:1984
	ds_load_b128 v[10:13], v1 offset:2000
	s_wait_loadcnt_dscnt 0x301
	v_mul_f64_e32 v[44:45], v[2:3], v[28:29]
	v_mul_f64_e32 v[28:29], v[4:5], v[28:29]
	v_add_f64_e32 v[14:15], v[14:15], v[18:19]
	v_add_f64_e32 v[16:17], v[20:21], v[42:43]
	s_wait_loadcnt_dscnt 0x200
	v_mul_f64_e32 v[18:19], v[10:11], v[32:33]
	v_mul_f64_e32 v[20:21], v[12:13], v[32:33]
	v_fma_f64 v[22:23], v[4:5], v[26:27], v[44:45]
	v_fma_f64 v[24:25], v[2:3], v[26:27], -v[28:29]
	v_add_f64_e32 v[14:15], v[14:15], v[6:7]
	v_add_f64_e32 v[16:17], v[16:17], v[8:9]
	ds_load_b128 v[2:5], v1 offset:2016
	ds_load_b128 v[6:9], v1 offset:2032
	v_fma_f64 v[12:13], v[12:13], v[30:31], v[18:19]
	v_fma_f64 v[10:11], v[10:11], v[30:31], -v[20:21]
	s_wait_loadcnt_dscnt 0x101
	v_mul_f64_e32 v[26:27], v[2:3], v[36:37]
	v_mul_f64_e32 v[28:29], v[4:5], v[36:37]
	s_wait_loadcnt_dscnt 0x0
	v_mul_f64_e32 v[18:19], v[6:7], v[40:41]
	v_mul_f64_e32 v[20:21], v[8:9], v[40:41]
	v_add_f64_e32 v[14:15], v[14:15], v[24:25]
	v_add_f64_e32 v[16:17], v[16:17], v[22:23]
	v_fma_f64 v[4:5], v[4:5], v[34:35], v[26:27]
	v_fma_f64 v[1:2], v[2:3], v[34:35], -v[28:29]
	v_fma_f64 v[8:9], v[8:9], v[38:39], v[18:19]
	v_fma_f64 v[6:7], v[6:7], v[38:39], -v[20:21]
	v_add_f64_e32 v[10:11], v[14:15], v[10:11]
	v_add_f64_e32 v[12:13], v[16:17], v[12:13]
	s_delay_alu instid0(VALU_DEP_2) | instskip(NEXT) | instid1(VALU_DEP_2)
	v_add_f64_e32 v[1:2], v[10:11], v[1:2]
	v_add_f64_e32 v[3:4], v[12:13], v[4:5]
	s_delay_alu instid0(VALU_DEP_2) | instskip(NEXT) | instid1(VALU_DEP_2)
	;; [unrolled: 3-line block ×3, first 2 shown]
	v_add_f64_e64 v[1:2], v[175:176], -v[1:2]
	v_add_f64_e64 v[3:4], v[177:178], -v[3:4]
	scratch_store_b128 off, v[1:4], off offset:384
	v_cmpx_lt_u32_e32 22, v0
	s_cbranch_execz .LBB63_365
; %bb.364:
	scratch_load_b128 v[1:4], off, s25
	v_mov_b32_e32 v5, 0
	s_delay_alu instid0(VALU_DEP_1)
	v_dual_mov_b32 v6, v5 :: v_dual_mov_b32 v7, v5
	v_mov_b32_e32 v8, v5
	scratch_store_b128 off, v[5:8], off offset:368
	s_wait_loadcnt 0x0
	ds_store_b128 v174, v[1:4]
.LBB63_365:
	s_wait_alu 0xfffe
	s_or_b32 exec_lo, exec_lo, s0
	s_wait_storecnt_dscnt 0x0
	s_barrier_signal -1
	s_barrier_wait -1
	global_inv scope:SCOPE_SE
	s_clause 0x7
	scratch_load_b128 v[2:5], off, off offset:384
	scratch_load_b128 v[6:9], off, off offset:400
	;; [unrolled: 1-line block ×8, first 2 shown]
	v_mov_b32_e32 v1, 0
	s_mov_b32 s0, exec_lo
	ds_load_b128 v[38:41], v1 offset:1392
	s_clause 0x1
	scratch_load_b128 v[34:37], off, off offset:512
	scratch_load_b128 v[42:45], off, off offset:368
	ds_load_b128 v[175:178], v1 offset:1408
	scratch_load_b128 v[179:182], off, off offset:528
	s_wait_loadcnt_dscnt 0xa01
	v_mul_f64_e32 v[183:184], v[40:41], v[4:5]
	v_mul_f64_e32 v[4:5], v[38:39], v[4:5]
	s_delay_alu instid0(VALU_DEP_2) | instskip(NEXT) | instid1(VALU_DEP_2)
	v_fma_f64 v[189:190], v[38:39], v[2:3], -v[183:184]
	v_fma_f64 v[191:192], v[40:41], v[2:3], v[4:5]
	ds_load_b128 v[2:5], v1 offset:1424
	s_wait_loadcnt_dscnt 0x901
	v_mul_f64_e32 v[187:188], v[175:176], v[8:9]
	v_mul_f64_e32 v[8:9], v[177:178], v[8:9]
	scratch_load_b128 v[38:41], off, off offset:544
	ds_load_b128 v[183:186], v1 offset:1440
	s_wait_loadcnt_dscnt 0x901
	v_mul_f64_e32 v[193:194], v[2:3], v[12:13]
	v_mul_f64_e32 v[12:13], v[4:5], v[12:13]
	v_fma_f64 v[177:178], v[177:178], v[6:7], v[187:188]
	v_fma_f64 v[175:176], v[175:176], v[6:7], -v[8:9]
	v_add_f64_e32 v[187:188], 0, v[189:190]
	v_add_f64_e32 v[189:190], 0, v[191:192]
	scratch_load_b128 v[6:9], off, off offset:560
	v_fma_f64 v[193:194], v[4:5], v[10:11], v[193:194]
	v_fma_f64 v[195:196], v[2:3], v[10:11], -v[12:13]
	ds_load_b128 v[2:5], v1 offset:1456
	s_wait_loadcnt_dscnt 0x901
	v_mul_f64_e32 v[191:192], v[183:184], v[16:17]
	v_mul_f64_e32 v[16:17], v[185:186], v[16:17]
	scratch_load_b128 v[10:13], off, off offset:576
	v_add_f64_e32 v[187:188], v[187:188], v[175:176]
	v_add_f64_e32 v[189:190], v[189:190], v[177:178]
	s_wait_loadcnt_dscnt 0x900
	v_mul_f64_e32 v[197:198], v[2:3], v[20:21]
	v_mul_f64_e32 v[20:21], v[4:5], v[20:21]
	ds_load_b128 v[175:178], v1 offset:1472
	v_fma_f64 v[185:186], v[185:186], v[14:15], v[191:192]
	v_fma_f64 v[183:184], v[183:184], v[14:15], -v[16:17]
	scratch_load_b128 v[14:17], off, off offset:592
	v_add_f64_e32 v[187:188], v[187:188], v[195:196]
	v_add_f64_e32 v[189:190], v[189:190], v[193:194]
	v_fma_f64 v[193:194], v[4:5], v[18:19], v[197:198]
	v_fma_f64 v[195:196], v[2:3], v[18:19], -v[20:21]
	ds_load_b128 v[2:5], v1 offset:1488
	s_wait_loadcnt_dscnt 0x901
	v_mul_f64_e32 v[191:192], v[175:176], v[24:25]
	v_mul_f64_e32 v[24:25], v[177:178], v[24:25]
	scratch_load_b128 v[18:21], off, off offset:608
	s_wait_loadcnt_dscnt 0x900
	v_mul_f64_e32 v[197:198], v[2:3], v[28:29]
	v_mul_f64_e32 v[28:29], v[4:5], v[28:29]
	v_add_f64_e32 v[187:188], v[187:188], v[183:184]
	v_add_f64_e32 v[189:190], v[189:190], v[185:186]
	ds_load_b128 v[183:186], v1 offset:1504
	v_fma_f64 v[177:178], v[177:178], v[22:23], v[191:192]
	v_fma_f64 v[175:176], v[175:176], v[22:23], -v[24:25]
	scratch_load_b128 v[22:25], off, off offset:624
	v_add_f64_e32 v[187:188], v[187:188], v[195:196]
	v_add_f64_e32 v[189:190], v[189:190], v[193:194]
	v_fma_f64 v[193:194], v[4:5], v[26:27], v[197:198]
	v_fma_f64 v[195:196], v[2:3], v[26:27], -v[28:29]
	ds_load_b128 v[2:5], v1 offset:1520
	s_wait_loadcnt_dscnt 0x901
	v_mul_f64_e32 v[191:192], v[183:184], v[32:33]
	v_mul_f64_e32 v[32:33], v[185:186], v[32:33]
	scratch_load_b128 v[26:29], off, off offset:640
	s_wait_loadcnt_dscnt 0x900
	v_mul_f64_e32 v[197:198], v[2:3], v[36:37]
	v_mul_f64_e32 v[36:37], v[4:5], v[36:37]
	v_add_f64_e32 v[187:188], v[187:188], v[175:176]
	v_add_f64_e32 v[189:190], v[189:190], v[177:178]
	ds_load_b128 v[175:178], v1 offset:1536
	v_fma_f64 v[185:186], v[185:186], v[30:31], v[191:192]
	v_fma_f64 v[183:184], v[183:184], v[30:31], -v[32:33]
	scratch_load_b128 v[30:33], off, off offset:656
	v_add_f64_e32 v[187:188], v[187:188], v[195:196]
	v_add_f64_e32 v[189:190], v[189:190], v[193:194]
	v_fma_f64 v[195:196], v[4:5], v[34:35], v[197:198]
	v_fma_f64 v[197:198], v[2:3], v[34:35], -v[36:37]
	ds_load_b128 v[2:5], v1 offset:1552
	s_wait_loadcnt_dscnt 0x801
	v_mul_f64_e32 v[191:192], v[175:176], v[181:182]
	v_mul_f64_e32 v[193:194], v[177:178], v[181:182]
	scratch_load_b128 v[34:37], off, off offset:672
	v_add_f64_e32 v[187:188], v[187:188], v[183:184]
	v_add_f64_e32 v[185:186], v[189:190], v[185:186]
	ds_load_b128 v[181:184], v1 offset:1568
	v_fma_f64 v[191:192], v[177:178], v[179:180], v[191:192]
	v_fma_f64 v[179:180], v[175:176], v[179:180], -v[193:194]
	scratch_load_b128 v[175:178], off, off offset:688
	s_wait_loadcnt_dscnt 0x901
	v_mul_f64_e32 v[189:190], v[2:3], v[40:41]
	v_mul_f64_e32 v[40:41], v[4:5], v[40:41]
	v_add_f64_e32 v[187:188], v[187:188], v[197:198]
	v_add_f64_e32 v[185:186], v[185:186], v[195:196]
	s_delay_alu instid0(VALU_DEP_4) | instskip(NEXT) | instid1(VALU_DEP_4)
	v_fma_f64 v[189:190], v[4:5], v[38:39], v[189:190]
	v_fma_f64 v[195:196], v[2:3], v[38:39], -v[40:41]
	ds_load_b128 v[2:5], v1 offset:1584
	s_wait_loadcnt_dscnt 0x801
	v_mul_f64_e32 v[193:194], v[181:182], v[8:9]
	v_mul_f64_e32 v[8:9], v[183:184], v[8:9]
	scratch_load_b128 v[38:41], off, off offset:704
	s_wait_loadcnt_dscnt 0x800
	v_mul_f64_e32 v[197:198], v[2:3], v[12:13]
	v_add_f64_e32 v[179:180], v[187:188], v[179:180]
	v_add_f64_e32 v[191:192], v[185:186], v[191:192]
	v_mul_f64_e32 v[12:13], v[4:5], v[12:13]
	ds_load_b128 v[185:188], v1 offset:1600
	v_fma_f64 v[183:184], v[183:184], v[6:7], v[193:194]
	v_fma_f64 v[181:182], v[181:182], v[6:7], -v[8:9]
	scratch_load_b128 v[6:9], off, off offset:720
	v_fma_f64 v[193:194], v[4:5], v[10:11], v[197:198]
	v_add_f64_e32 v[179:180], v[179:180], v[195:196]
	v_add_f64_e32 v[189:190], v[191:192], v[189:190]
	v_fma_f64 v[195:196], v[2:3], v[10:11], -v[12:13]
	ds_load_b128 v[2:5], v1 offset:1616
	s_wait_loadcnt_dscnt 0x801
	v_mul_f64_e32 v[191:192], v[185:186], v[16:17]
	v_mul_f64_e32 v[16:17], v[187:188], v[16:17]
	scratch_load_b128 v[10:13], off, off offset:736
	v_add_f64_e32 v[197:198], v[179:180], v[181:182]
	v_add_f64_e32 v[183:184], v[189:190], v[183:184]
	s_wait_loadcnt_dscnt 0x800
	v_mul_f64_e32 v[189:190], v[2:3], v[20:21]
	v_mul_f64_e32 v[20:21], v[4:5], v[20:21]
	v_fma_f64 v[187:188], v[187:188], v[14:15], v[191:192]
	v_fma_f64 v[185:186], v[185:186], v[14:15], -v[16:17]
	ds_load_b128 v[179:182], v1 offset:1632
	scratch_load_b128 v[14:17], off, off offset:752
	v_add_f64_e32 v[191:192], v[197:198], v[195:196]
	v_add_f64_e32 v[183:184], v[183:184], v[193:194]
	v_fma_f64 v[189:190], v[4:5], v[18:19], v[189:190]
	v_fma_f64 v[195:196], v[2:3], v[18:19], -v[20:21]
	ds_load_b128 v[2:5], v1 offset:1648
	s_wait_loadcnt_dscnt 0x801
	v_mul_f64_e32 v[193:194], v[179:180], v[24:25]
	v_mul_f64_e32 v[24:25], v[181:182], v[24:25]
	scratch_load_b128 v[18:21], off, off offset:768
	s_wait_loadcnt_dscnt 0x800
	v_mul_f64_e32 v[197:198], v[2:3], v[28:29]
	v_mul_f64_e32 v[28:29], v[4:5], v[28:29]
	v_add_f64_e32 v[191:192], v[191:192], v[185:186]
	v_add_f64_e32 v[187:188], v[183:184], v[187:188]
	ds_load_b128 v[183:186], v1 offset:1664
	v_fma_f64 v[181:182], v[181:182], v[22:23], v[193:194]
	v_fma_f64 v[179:180], v[179:180], v[22:23], -v[24:25]
	scratch_load_b128 v[22:25], off, off offset:784
	v_fma_f64 v[193:194], v[4:5], v[26:27], v[197:198]
	v_add_f64_e32 v[191:192], v[191:192], v[195:196]
	v_add_f64_e32 v[187:188], v[187:188], v[189:190]
	v_fma_f64 v[195:196], v[2:3], v[26:27], -v[28:29]
	ds_load_b128 v[2:5], v1 offset:1680
	s_wait_loadcnt_dscnt 0x801
	v_mul_f64_e32 v[189:190], v[183:184], v[32:33]
	v_mul_f64_e32 v[32:33], v[185:186], v[32:33]
	scratch_load_b128 v[26:29], off, off offset:800
	s_wait_loadcnt_dscnt 0x800
	v_mul_f64_e32 v[197:198], v[2:3], v[36:37]
	v_mul_f64_e32 v[36:37], v[4:5], v[36:37]
	v_add_f64_e32 v[191:192], v[191:192], v[179:180]
	v_add_f64_e32 v[187:188], v[187:188], v[181:182]
	ds_load_b128 v[179:182], v1 offset:1696
	v_fma_f64 v[185:186], v[185:186], v[30:31], v[189:190]
	v_fma_f64 v[183:184], v[183:184], v[30:31], -v[32:33]
	scratch_load_b128 v[30:33], off, off offset:816
	v_add_f64_e32 v[189:190], v[191:192], v[195:196]
	v_add_f64_e32 v[187:188], v[187:188], v[193:194]
	v_fma_f64 v[193:194], v[4:5], v[34:35], v[197:198]
	v_fma_f64 v[195:196], v[2:3], v[34:35], -v[36:37]
	ds_load_b128 v[2:5], v1 offset:1712
	s_wait_loadcnt_dscnt 0x801
	v_mul_f64_e32 v[191:192], v[179:180], v[177:178]
	v_mul_f64_e32 v[177:178], v[181:182], v[177:178]
	scratch_load_b128 v[34:37], off, off offset:832
	s_wait_loadcnt_dscnt 0x800
	v_mul_f64_e32 v[197:198], v[2:3], v[40:41]
	v_mul_f64_e32 v[40:41], v[4:5], v[40:41]
	v_add_f64_e32 v[189:190], v[189:190], v[183:184]
	v_add_f64_e32 v[187:188], v[187:188], v[185:186]
	ds_load_b128 v[183:186], v1 offset:1728
	v_fma_f64 v[181:182], v[181:182], v[175:176], v[191:192]
	v_fma_f64 v[179:180], v[179:180], v[175:176], -v[177:178]
	scratch_load_b128 v[175:178], off, off offset:848
	v_add_f64_e32 v[189:190], v[189:190], v[195:196]
	v_add_f64_e32 v[187:188], v[187:188], v[193:194]
	v_fma_f64 v[193:194], v[4:5], v[38:39], v[197:198]
	;; [unrolled: 18-line block ×6, first 2 shown]
	v_fma_f64 v[197:198], v[2:3], v[34:35], -v[36:37]
	ds_load_b128 v[2:5], v1 offset:1872
	s_wait_loadcnt_dscnt 0x801
	v_mul_f64_e32 v[191:192], v[183:184], v[177:178]
	v_mul_f64_e32 v[193:194], v[185:186], v[177:178]
	scratch_load_b128 v[34:37], off, off offset:992
	v_add_f64_e32 v[189:190], v[189:190], v[179:180]
	v_add_f64_e32 v[181:182], v[187:188], v[181:182]
	s_wait_loadcnt_dscnt 0x800
	v_mul_f64_e32 v[187:188], v[2:3], v[40:41]
	v_mul_f64_e32 v[40:41], v[4:5], v[40:41]
	ds_load_b128 v[177:180], v1 offset:1888
	v_fma_f64 v[185:186], v[185:186], v[175:176], v[191:192]
	v_fma_f64 v[175:176], v[183:184], v[175:176], -v[193:194]
	v_add_f64_e32 v[189:190], v[189:190], v[197:198]
	v_add_f64_e32 v[191:192], v[181:182], v[195:196]
	scratch_load_b128 v[181:184], off, off offset:1008
	v_fma_f64 v[195:196], v[4:5], v[38:39], v[187:188]
	v_fma_f64 v[197:198], v[2:3], v[38:39], -v[40:41]
	ds_load_b128 v[2:5], v1 offset:1904
	s_wait_loadcnt_dscnt 0x801
	v_mul_f64_e32 v[193:194], v[177:178], v[8:9]
	v_mul_f64_e32 v[8:9], v[179:180], v[8:9]
	scratch_load_b128 v[38:41], off, off offset:1024
	v_add_f64_e32 v[175:176], v[189:190], v[175:176]
	v_add_f64_e32 v[189:190], v[191:192], v[185:186]
	s_wait_loadcnt_dscnt 0x800
	v_mul_f64_e32 v[191:192], v[2:3], v[12:13]
	v_mul_f64_e32 v[12:13], v[4:5], v[12:13]
	ds_load_b128 v[185:188], v1 offset:1920
	v_fma_f64 v[179:180], v[179:180], v[6:7], v[193:194]
	v_fma_f64 v[6:7], v[177:178], v[6:7], -v[8:9]
	s_wait_loadcnt_dscnt 0x700
	v_mul_f64_e32 v[177:178], v[185:186], v[16:17]
	v_mul_f64_e32 v[16:17], v[187:188], v[16:17]
	v_add_f64_e32 v[8:9], v[175:176], v[197:198]
	v_add_f64_e32 v[175:176], v[189:190], v[195:196]
	v_fma_f64 v[189:190], v[4:5], v[10:11], v[191:192]
	v_fma_f64 v[10:11], v[2:3], v[10:11], -v[12:13]
	v_fma_f64 v[177:178], v[187:188], v[14:15], v[177:178]
	v_fma_f64 v[14:15], v[185:186], v[14:15], -v[16:17]
	v_add_f64_e32 v[12:13], v[8:9], v[6:7]
	v_add_f64_e32 v[175:176], v[175:176], v[179:180]
	ds_load_b128 v[2:5], v1 offset:1936
	ds_load_b128 v[6:9], v1 offset:1952
	s_wait_loadcnt_dscnt 0x601
	v_mul_f64_e32 v[179:180], v[2:3], v[20:21]
	v_mul_f64_e32 v[20:21], v[4:5], v[20:21]
	s_wait_loadcnt_dscnt 0x500
	v_mul_f64_e32 v[16:17], v[6:7], v[24:25]
	v_mul_f64_e32 v[24:25], v[8:9], v[24:25]
	v_add_f64_e32 v[10:11], v[12:13], v[10:11]
	v_add_f64_e32 v[12:13], v[175:176], v[189:190]
	v_fma_f64 v[175:176], v[4:5], v[18:19], v[179:180]
	v_fma_f64 v[18:19], v[2:3], v[18:19], -v[20:21]
	v_fma_f64 v[8:9], v[8:9], v[22:23], v[16:17]
	v_fma_f64 v[6:7], v[6:7], v[22:23], -v[24:25]
	v_add_f64_e32 v[14:15], v[10:11], v[14:15]
	v_add_f64_e32 v[20:21], v[12:13], v[177:178]
	ds_load_b128 v[2:5], v1 offset:1968
	ds_load_b128 v[10:13], v1 offset:1984
	s_wait_loadcnt_dscnt 0x401
	v_mul_f64_e32 v[177:178], v[2:3], v[28:29]
	v_mul_f64_e32 v[28:29], v[4:5], v[28:29]
	v_add_f64_e32 v[14:15], v[14:15], v[18:19]
	v_add_f64_e32 v[16:17], v[20:21], v[175:176]
	s_wait_loadcnt_dscnt 0x300
	v_mul_f64_e32 v[18:19], v[10:11], v[32:33]
	v_mul_f64_e32 v[20:21], v[12:13], v[32:33]
	v_fma_f64 v[22:23], v[4:5], v[26:27], v[177:178]
	v_fma_f64 v[24:25], v[2:3], v[26:27], -v[28:29]
	v_add_f64_e32 v[14:15], v[14:15], v[6:7]
	v_add_f64_e32 v[16:17], v[16:17], v[8:9]
	ds_load_b128 v[2:5], v1 offset:2000
	ds_load_b128 v[6:9], v1 offset:2016
	v_fma_f64 v[12:13], v[12:13], v[30:31], v[18:19]
	v_fma_f64 v[10:11], v[10:11], v[30:31], -v[20:21]
	s_wait_loadcnt_dscnt 0x201
	v_mul_f64_e32 v[26:27], v[2:3], v[36:37]
	v_mul_f64_e32 v[28:29], v[4:5], v[36:37]
	v_add_f64_e32 v[14:15], v[14:15], v[24:25]
	v_add_f64_e32 v[16:17], v[16:17], v[22:23]
	s_wait_loadcnt_dscnt 0x100
	v_mul_f64_e32 v[18:19], v[6:7], v[183:184]
	v_mul_f64_e32 v[20:21], v[8:9], v[183:184]
	v_fma_f64 v[22:23], v[4:5], v[34:35], v[26:27]
	v_fma_f64 v[24:25], v[2:3], v[34:35], -v[28:29]
	ds_load_b128 v[2:5], v1 offset:2032
	v_add_f64_e32 v[10:11], v[14:15], v[10:11]
	v_add_f64_e32 v[12:13], v[16:17], v[12:13]
	s_wait_loadcnt_dscnt 0x0
	v_mul_f64_e32 v[14:15], v[2:3], v[40:41]
	v_mul_f64_e32 v[16:17], v[4:5], v[40:41]
	v_fma_f64 v[8:9], v[8:9], v[181:182], v[18:19]
	v_fma_f64 v[6:7], v[6:7], v[181:182], -v[20:21]
	v_add_f64_e32 v[10:11], v[10:11], v[24:25]
	v_add_f64_e32 v[12:13], v[12:13], v[22:23]
	v_fma_f64 v[4:5], v[4:5], v[38:39], v[14:15]
	v_fma_f64 v[2:3], v[2:3], v[38:39], -v[16:17]
	s_delay_alu instid0(VALU_DEP_4) | instskip(NEXT) | instid1(VALU_DEP_4)
	v_add_f64_e32 v[6:7], v[10:11], v[6:7]
	v_add_f64_e32 v[8:9], v[12:13], v[8:9]
	s_delay_alu instid0(VALU_DEP_2) | instskip(NEXT) | instid1(VALU_DEP_2)
	v_add_f64_e32 v[2:3], v[6:7], v[2:3]
	v_add_f64_e32 v[4:5], v[8:9], v[4:5]
	s_delay_alu instid0(VALU_DEP_2) | instskip(NEXT) | instid1(VALU_DEP_2)
	v_add_f64_e64 v[2:3], v[42:43], -v[2:3]
	v_add_f64_e64 v[4:5], v[44:45], -v[4:5]
	scratch_store_b128 off, v[2:5], off offset:368
	v_cmpx_lt_u32_e32 21, v0
	s_cbranch_execz .LBB63_367
; %bb.366:
	scratch_load_b128 v[5:8], off, s24
	v_dual_mov_b32 v2, v1 :: v_dual_mov_b32 v3, v1
	v_mov_b32_e32 v4, v1
	scratch_store_b128 off, v[1:4], off offset:352
	s_wait_loadcnt 0x0
	ds_store_b128 v174, v[5:8]
.LBB63_367:
	s_wait_alu 0xfffe
	s_or_b32 exec_lo, exec_lo, s0
	s_wait_storecnt_dscnt 0x0
	s_barrier_signal -1
	s_barrier_wait -1
	global_inv scope:SCOPE_SE
	s_clause 0x8
	scratch_load_b128 v[2:5], off, off offset:368
	scratch_load_b128 v[6:9], off, off offset:384
	;; [unrolled: 1-line block ×9, first 2 shown]
	ds_load_b128 v[42:45], v1 offset:1376
	ds_load_b128 v[38:41], v1 offset:1392
	s_clause 0x1
	scratch_load_b128 v[175:178], off, off offset:352
	scratch_load_b128 v[179:182], off, off offset:512
	s_mov_b32 s0, exec_lo
	s_wait_loadcnt_dscnt 0xa01
	v_mul_f64_e32 v[183:184], v[44:45], v[4:5]
	v_mul_f64_e32 v[4:5], v[42:43], v[4:5]
	s_wait_loadcnt_dscnt 0x900
	v_mul_f64_e32 v[187:188], v[38:39], v[8:9]
	v_mul_f64_e32 v[8:9], v[40:41], v[8:9]
	s_delay_alu instid0(VALU_DEP_4) | instskip(NEXT) | instid1(VALU_DEP_4)
	v_fma_f64 v[189:190], v[42:43], v[2:3], -v[183:184]
	v_fma_f64 v[191:192], v[44:45], v[2:3], v[4:5]
	ds_load_b128 v[2:5], v1 offset:1408
	ds_load_b128 v[183:186], v1 offset:1424
	scratch_load_b128 v[42:45], off, off offset:528
	v_fma_f64 v[40:41], v[40:41], v[6:7], v[187:188]
	v_fma_f64 v[38:39], v[38:39], v[6:7], -v[8:9]
	scratch_load_b128 v[6:9], off, off offset:544
	s_wait_loadcnt_dscnt 0xa01
	v_mul_f64_e32 v[193:194], v[2:3], v[12:13]
	v_mul_f64_e32 v[12:13], v[4:5], v[12:13]
	v_add_f64_e32 v[187:188], 0, v[189:190]
	v_add_f64_e32 v[189:190], 0, v[191:192]
	s_wait_loadcnt_dscnt 0x900
	v_mul_f64_e32 v[191:192], v[183:184], v[16:17]
	v_mul_f64_e32 v[16:17], v[185:186], v[16:17]
	v_fma_f64 v[193:194], v[4:5], v[10:11], v[193:194]
	v_fma_f64 v[195:196], v[2:3], v[10:11], -v[12:13]
	ds_load_b128 v[2:5], v1 offset:1440
	scratch_load_b128 v[10:13], off, off offset:560
	v_add_f64_e32 v[187:188], v[187:188], v[38:39]
	v_add_f64_e32 v[189:190], v[189:190], v[40:41]
	ds_load_b128 v[38:41], v1 offset:1456
	v_fma_f64 v[185:186], v[185:186], v[14:15], v[191:192]
	v_fma_f64 v[183:184], v[183:184], v[14:15], -v[16:17]
	scratch_load_b128 v[14:17], off, off offset:576
	s_wait_loadcnt_dscnt 0xa01
	v_mul_f64_e32 v[197:198], v[2:3], v[20:21]
	v_mul_f64_e32 v[20:21], v[4:5], v[20:21]
	s_wait_loadcnt_dscnt 0x900
	v_mul_f64_e32 v[191:192], v[38:39], v[24:25]
	v_mul_f64_e32 v[24:25], v[40:41], v[24:25]
	v_add_f64_e32 v[187:188], v[187:188], v[195:196]
	v_add_f64_e32 v[189:190], v[189:190], v[193:194]
	v_fma_f64 v[193:194], v[4:5], v[18:19], v[197:198]
	v_fma_f64 v[195:196], v[2:3], v[18:19], -v[20:21]
	ds_load_b128 v[2:5], v1 offset:1472
	scratch_load_b128 v[18:21], off, off offset:592
	v_fma_f64 v[40:41], v[40:41], v[22:23], v[191:192]
	v_fma_f64 v[38:39], v[38:39], v[22:23], -v[24:25]
	scratch_load_b128 v[22:25], off, off offset:608
	v_add_f64_e32 v[187:188], v[187:188], v[183:184]
	v_add_f64_e32 v[189:190], v[189:190], v[185:186]
	ds_load_b128 v[183:186], v1 offset:1488
	s_wait_loadcnt_dscnt 0xa01
	v_mul_f64_e32 v[197:198], v[2:3], v[28:29]
	v_mul_f64_e32 v[28:29], v[4:5], v[28:29]
	s_wait_loadcnt_dscnt 0x900
	v_mul_f64_e32 v[191:192], v[183:184], v[32:33]
	v_mul_f64_e32 v[32:33], v[185:186], v[32:33]
	v_add_f64_e32 v[187:188], v[187:188], v[195:196]
	v_add_f64_e32 v[189:190], v[189:190], v[193:194]
	v_fma_f64 v[193:194], v[4:5], v[26:27], v[197:198]
	v_fma_f64 v[195:196], v[2:3], v[26:27], -v[28:29]
	ds_load_b128 v[2:5], v1 offset:1504
	scratch_load_b128 v[26:29], off, off offset:624
	v_fma_f64 v[185:186], v[185:186], v[30:31], v[191:192]
	v_fma_f64 v[183:184], v[183:184], v[30:31], -v[32:33]
	scratch_load_b128 v[30:33], off, off offset:640
	v_add_f64_e32 v[187:188], v[187:188], v[38:39]
	v_add_f64_e32 v[189:190], v[189:190], v[40:41]
	ds_load_b128 v[38:41], v1 offset:1520
	s_wait_loadcnt_dscnt 0xa01
	v_mul_f64_e32 v[197:198], v[2:3], v[36:37]
	v_mul_f64_e32 v[36:37], v[4:5], v[36:37]
	s_wait_loadcnt_dscnt 0x800
	v_mul_f64_e32 v[191:192], v[38:39], v[181:182]
	v_add_f64_e32 v[187:188], v[187:188], v[195:196]
	v_add_f64_e32 v[189:190], v[189:190], v[193:194]
	v_mul_f64_e32 v[193:194], v[40:41], v[181:182]
	v_fma_f64 v[195:196], v[4:5], v[34:35], v[197:198]
	v_fma_f64 v[197:198], v[2:3], v[34:35], -v[36:37]
	ds_load_b128 v[2:5], v1 offset:1536
	scratch_load_b128 v[34:37], off, off offset:656
	v_fma_f64 v[191:192], v[40:41], v[179:180], v[191:192]
	v_add_f64_e32 v[187:188], v[187:188], v[183:184]
	v_add_f64_e32 v[185:186], v[189:190], v[185:186]
	ds_load_b128 v[181:184], v1 offset:1552
	v_fma_f64 v[179:180], v[38:39], v[179:180], -v[193:194]
	scratch_load_b128 v[38:41], off, off offset:672
	s_wait_loadcnt_dscnt 0x901
	v_mul_f64_e32 v[189:190], v[2:3], v[44:45]
	v_mul_f64_e32 v[44:45], v[4:5], v[44:45]
	s_wait_loadcnt_dscnt 0x800
	v_mul_f64_e32 v[193:194], v[181:182], v[8:9]
	v_mul_f64_e32 v[8:9], v[183:184], v[8:9]
	v_add_f64_e32 v[187:188], v[187:188], v[197:198]
	v_add_f64_e32 v[185:186], v[185:186], v[195:196]
	v_fma_f64 v[189:190], v[4:5], v[42:43], v[189:190]
	v_fma_f64 v[195:196], v[2:3], v[42:43], -v[44:45]
	ds_load_b128 v[2:5], v1 offset:1568
	scratch_load_b128 v[42:45], off, off offset:688
	v_fma_f64 v[183:184], v[183:184], v[6:7], v[193:194]
	v_fma_f64 v[181:182], v[181:182], v[6:7], -v[8:9]
	scratch_load_b128 v[6:9], off, off offset:704
	v_add_f64_e32 v[179:180], v[187:188], v[179:180]
	v_add_f64_e32 v[191:192], v[185:186], v[191:192]
	ds_load_b128 v[185:188], v1 offset:1584
	s_wait_loadcnt_dscnt 0x901
	v_mul_f64_e32 v[197:198], v[2:3], v[12:13]
	v_mul_f64_e32 v[12:13], v[4:5], v[12:13]
	v_add_f64_e32 v[179:180], v[179:180], v[195:196]
	v_add_f64_e32 v[189:190], v[191:192], v[189:190]
	s_wait_loadcnt_dscnt 0x800
	v_mul_f64_e32 v[191:192], v[185:186], v[16:17]
	v_mul_f64_e32 v[16:17], v[187:188], v[16:17]
	v_fma_f64 v[193:194], v[4:5], v[10:11], v[197:198]
	v_fma_f64 v[195:196], v[2:3], v[10:11], -v[12:13]
	ds_load_b128 v[2:5], v1 offset:1600
	scratch_load_b128 v[10:13], off, off offset:720
	v_add_f64_e32 v[197:198], v[179:180], v[181:182]
	v_add_f64_e32 v[183:184], v[189:190], v[183:184]
	ds_load_b128 v[179:182], v1 offset:1616
	s_wait_loadcnt_dscnt 0x801
	v_mul_f64_e32 v[189:190], v[2:3], v[20:21]
	v_mul_f64_e32 v[20:21], v[4:5], v[20:21]
	v_fma_f64 v[187:188], v[187:188], v[14:15], v[191:192]
	v_fma_f64 v[185:186], v[185:186], v[14:15], -v[16:17]
	scratch_load_b128 v[14:17], off, off offset:736
	v_add_f64_e32 v[191:192], v[197:198], v[195:196]
	v_add_f64_e32 v[183:184], v[183:184], v[193:194]
	s_wait_loadcnt_dscnt 0x800
	v_mul_f64_e32 v[193:194], v[179:180], v[24:25]
	v_mul_f64_e32 v[24:25], v[181:182], v[24:25]
	v_fma_f64 v[189:190], v[4:5], v[18:19], v[189:190]
	v_fma_f64 v[195:196], v[2:3], v[18:19], -v[20:21]
	ds_load_b128 v[2:5], v1 offset:1632
	scratch_load_b128 v[18:21], off, off offset:752
	v_add_f64_e32 v[191:192], v[191:192], v[185:186]
	v_add_f64_e32 v[187:188], v[183:184], v[187:188]
	ds_load_b128 v[183:186], v1 offset:1648
	s_wait_loadcnt_dscnt 0x801
	v_mul_f64_e32 v[197:198], v[2:3], v[28:29]
	v_mul_f64_e32 v[28:29], v[4:5], v[28:29]
	v_fma_f64 v[181:182], v[181:182], v[22:23], v[193:194]
	v_fma_f64 v[179:180], v[179:180], v[22:23], -v[24:25]
	scratch_load_b128 v[22:25], off, off offset:768
	;; [unrolled: 18-line block ×4, first 2 shown]
	s_wait_loadcnt_dscnt 0x800
	v_mul_f64_e32 v[191:192], v[183:184], v[8:9]
	v_mul_f64_e32 v[8:9], v[185:186], v[8:9]
	v_add_f64_e32 v[189:190], v[189:190], v[195:196]
	v_add_f64_e32 v[187:188], v[187:188], v[193:194]
	v_fma_f64 v[193:194], v[4:5], v[42:43], v[197:198]
	v_fma_f64 v[195:196], v[2:3], v[42:43], -v[44:45]
	ds_load_b128 v[2:5], v1 offset:1728
	scratch_load_b128 v[42:45], off, off offset:848
	v_fma_f64 v[185:186], v[185:186], v[6:7], v[191:192]
	v_fma_f64 v[183:184], v[183:184], v[6:7], -v[8:9]
	scratch_load_b128 v[6:9], off, off offset:864
	v_add_f64_e32 v[189:190], v[189:190], v[179:180]
	v_add_f64_e32 v[187:188], v[187:188], v[181:182]
	ds_load_b128 v[179:182], v1 offset:1744
	s_wait_loadcnt_dscnt 0x901
	v_mul_f64_e32 v[197:198], v[2:3], v[12:13]
	v_mul_f64_e32 v[12:13], v[4:5], v[12:13]
	s_wait_loadcnt_dscnt 0x800
	v_mul_f64_e32 v[191:192], v[179:180], v[16:17]
	v_mul_f64_e32 v[16:17], v[181:182], v[16:17]
	v_add_f64_e32 v[189:190], v[189:190], v[195:196]
	v_add_f64_e32 v[187:188], v[187:188], v[193:194]
	v_fma_f64 v[193:194], v[4:5], v[10:11], v[197:198]
	v_fma_f64 v[195:196], v[2:3], v[10:11], -v[12:13]
	ds_load_b128 v[2:5], v1 offset:1760
	scratch_load_b128 v[10:13], off, off offset:880
	v_fma_f64 v[181:182], v[181:182], v[14:15], v[191:192]
	v_fma_f64 v[179:180], v[179:180], v[14:15], -v[16:17]
	scratch_load_b128 v[14:17], off, off offset:896
	v_add_f64_e32 v[189:190], v[189:190], v[183:184]
	v_add_f64_e32 v[187:188], v[187:188], v[185:186]
	ds_load_b128 v[183:186], v1 offset:1776
	s_wait_loadcnt_dscnt 0x901
	v_mul_f64_e32 v[197:198], v[2:3], v[20:21]
	v_mul_f64_e32 v[20:21], v[4:5], v[20:21]
	;; [unrolled: 18-line block ×6, first 2 shown]
	s_wait_loadcnt_dscnt 0x800
	v_mul_f64_e32 v[191:192], v[183:184], v[16:17]
	v_mul_f64_e32 v[16:17], v[185:186], v[16:17]
	v_add_f64_e32 v[189:190], v[189:190], v[195:196]
	v_add_f64_e32 v[187:188], v[187:188], v[193:194]
	v_fma_f64 v[193:194], v[4:5], v[10:11], v[197:198]
	v_fma_f64 v[195:196], v[2:3], v[10:11], -v[12:13]
	ds_load_b128 v[2:5], v1 offset:1920
	ds_load_b128 v[10:13], v1 offset:1936
	v_fma_f64 v[185:186], v[185:186], v[14:15], v[191:192]
	v_fma_f64 v[14:15], v[183:184], v[14:15], -v[16:17]
	v_add_f64_e32 v[179:180], v[189:190], v[179:180]
	v_add_f64_e32 v[181:182], v[187:188], v[181:182]
	s_wait_loadcnt_dscnt 0x701
	v_mul_f64_e32 v[187:188], v[2:3], v[20:21]
	v_mul_f64_e32 v[20:21], v[4:5], v[20:21]
	s_delay_alu instid0(VALU_DEP_4) | instskip(NEXT) | instid1(VALU_DEP_4)
	v_add_f64_e32 v[16:17], v[179:180], v[195:196]
	v_add_f64_e32 v[179:180], v[181:182], v[193:194]
	s_wait_loadcnt_dscnt 0x600
	v_mul_f64_e32 v[181:182], v[10:11], v[24:25]
	v_mul_f64_e32 v[24:25], v[12:13], v[24:25]
	v_fma_f64 v[183:184], v[4:5], v[18:19], v[187:188]
	v_fma_f64 v[18:19], v[2:3], v[18:19], -v[20:21]
	v_add_f64_e32 v[20:21], v[16:17], v[14:15]
	v_add_f64_e32 v[179:180], v[179:180], v[185:186]
	ds_load_b128 v[2:5], v1 offset:1952
	ds_load_b128 v[14:17], v1 offset:1968
	v_fma_f64 v[12:13], v[12:13], v[22:23], v[181:182]
	v_fma_f64 v[10:11], v[10:11], v[22:23], -v[24:25]
	s_wait_loadcnt_dscnt 0x501
	v_mul_f64_e32 v[185:186], v[2:3], v[28:29]
	v_mul_f64_e32 v[28:29], v[4:5], v[28:29]
	s_wait_loadcnt_dscnt 0x400
	v_mul_f64_e32 v[22:23], v[14:15], v[32:33]
	v_mul_f64_e32 v[24:25], v[16:17], v[32:33]
	v_add_f64_e32 v[18:19], v[20:21], v[18:19]
	v_add_f64_e32 v[20:21], v[179:180], v[183:184]
	v_fma_f64 v[32:33], v[4:5], v[26:27], v[185:186]
	v_fma_f64 v[26:27], v[2:3], v[26:27], -v[28:29]
	v_fma_f64 v[16:17], v[16:17], v[30:31], v[22:23]
	v_fma_f64 v[14:15], v[14:15], v[30:31], -v[24:25]
	v_add_f64_e32 v[18:19], v[18:19], v[10:11]
	v_add_f64_e32 v[20:21], v[20:21], v[12:13]
	ds_load_b128 v[2:5], v1 offset:1984
	ds_load_b128 v[10:13], v1 offset:2000
	s_wait_loadcnt_dscnt 0x301
	v_mul_f64_e32 v[28:29], v[2:3], v[36:37]
	v_mul_f64_e32 v[36:37], v[4:5], v[36:37]
	s_wait_loadcnt_dscnt 0x200
	v_mul_f64_e32 v[22:23], v[10:11], v[40:41]
	v_mul_f64_e32 v[24:25], v[12:13], v[40:41]
	v_add_f64_e32 v[18:19], v[18:19], v[26:27]
	v_add_f64_e32 v[20:21], v[20:21], v[32:33]
	v_fma_f64 v[26:27], v[4:5], v[34:35], v[28:29]
	v_fma_f64 v[28:29], v[2:3], v[34:35], -v[36:37]
	v_fma_f64 v[12:13], v[12:13], v[38:39], v[22:23]
	v_fma_f64 v[10:11], v[10:11], v[38:39], -v[24:25]
	v_add_f64_e32 v[18:19], v[18:19], v[14:15]
	v_add_f64_e32 v[20:21], v[20:21], v[16:17]
	ds_load_b128 v[2:5], v1 offset:2016
	ds_load_b128 v[14:17], v1 offset:2032
	s_wait_loadcnt_dscnt 0x101
	v_mul_f64_e32 v[30:31], v[2:3], v[44:45]
	v_mul_f64_e32 v[32:33], v[4:5], v[44:45]
	s_wait_loadcnt_dscnt 0x0
	v_mul_f64_e32 v[22:23], v[14:15], v[8:9]
	v_mul_f64_e32 v[8:9], v[16:17], v[8:9]
	v_add_f64_e32 v[18:19], v[18:19], v[28:29]
	v_add_f64_e32 v[20:21], v[20:21], v[26:27]
	v_fma_f64 v[4:5], v[4:5], v[42:43], v[30:31]
	v_fma_f64 v[1:2], v[2:3], v[42:43], -v[32:33]
	v_fma_f64 v[16:17], v[16:17], v[6:7], v[22:23]
	v_fma_f64 v[6:7], v[14:15], v[6:7], -v[8:9]
	v_add_f64_e32 v[10:11], v[18:19], v[10:11]
	v_add_f64_e32 v[12:13], v[20:21], v[12:13]
	s_delay_alu instid0(VALU_DEP_2) | instskip(NEXT) | instid1(VALU_DEP_2)
	v_add_f64_e32 v[1:2], v[10:11], v[1:2]
	v_add_f64_e32 v[3:4], v[12:13], v[4:5]
	s_delay_alu instid0(VALU_DEP_2) | instskip(NEXT) | instid1(VALU_DEP_2)
	;; [unrolled: 3-line block ×3, first 2 shown]
	v_add_f64_e64 v[1:2], v[175:176], -v[1:2]
	v_add_f64_e64 v[3:4], v[177:178], -v[3:4]
	scratch_store_b128 off, v[1:4], off offset:352
	v_cmpx_lt_u32_e32 20, v0
	s_cbranch_execz .LBB63_369
; %bb.368:
	scratch_load_b128 v[1:4], off, s26
	v_mov_b32_e32 v5, 0
	s_delay_alu instid0(VALU_DEP_1)
	v_dual_mov_b32 v6, v5 :: v_dual_mov_b32 v7, v5
	v_mov_b32_e32 v8, v5
	scratch_store_b128 off, v[5:8], off offset:336
	s_wait_loadcnt 0x0
	ds_store_b128 v174, v[1:4]
.LBB63_369:
	s_wait_alu 0xfffe
	s_or_b32 exec_lo, exec_lo, s0
	s_wait_storecnt_dscnt 0x0
	s_barrier_signal -1
	s_barrier_wait -1
	global_inv scope:SCOPE_SE
	s_clause 0x7
	scratch_load_b128 v[2:5], off, off offset:352
	scratch_load_b128 v[6:9], off, off offset:368
	;; [unrolled: 1-line block ×8, first 2 shown]
	v_mov_b32_e32 v1, 0
	s_mov_b32 s0, exec_lo
	ds_load_b128 v[38:41], v1 offset:1360
	s_clause 0x1
	scratch_load_b128 v[34:37], off, off offset:480
	scratch_load_b128 v[42:45], off, off offset:336
	ds_load_b128 v[175:178], v1 offset:1376
	scratch_load_b128 v[179:182], off, off offset:496
	s_wait_loadcnt_dscnt 0xa01
	v_mul_f64_e32 v[183:184], v[40:41], v[4:5]
	v_mul_f64_e32 v[4:5], v[38:39], v[4:5]
	s_delay_alu instid0(VALU_DEP_2) | instskip(NEXT) | instid1(VALU_DEP_2)
	v_fma_f64 v[189:190], v[38:39], v[2:3], -v[183:184]
	v_fma_f64 v[191:192], v[40:41], v[2:3], v[4:5]
	ds_load_b128 v[2:5], v1 offset:1392
	s_wait_loadcnt_dscnt 0x901
	v_mul_f64_e32 v[187:188], v[175:176], v[8:9]
	v_mul_f64_e32 v[8:9], v[177:178], v[8:9]
	scratch_load_b128 v[38:41], off, off offset:512
	ds_load_b128 v[183:186], v1 offset:1408
	s_wait_loadcnt_dscnt 0x901
	v_mul_f64_e32 v[193:194], v[2:3], v[12:13]
	v_mul_f64_e32 v[12:13], v[4:5], v[12:13]
	v_fma_f64 v[177:178], v[177:178], v[6:7], v[187:188]
	v_fma_f64 v[175:176], v[175:176], v[6:7], -v[8:9]
	v_add_f64_e32 v[187:188], 0, v[189:190]
	v_add_f64_e32 v[189:190], 0, v[191:192]
	scratch_load_b128 v[6:9], off, off offset:528
	v_fma_f64 v[193:194], v[4:5], v[10:11], v[193:194]
	v_fma_f64 v[195:196], v[2:3], v[10:11], -v[12:13]
	ds_load_b128 v[2:5], v1 offset:1424
	s_wait_loadcnt_dscnt 0x901
	v_mul_f64_e32 v[191:192], v[183:184], v[16:17]
	v_mul_f64_e32 v[16:17], v[185:186], v[16:17]
	scratch_load_b128 v[10:13], off, off offset:544
	v_add_f64_e32 v[187:188], v[187:188], v[175:176]
	v_add_f64_e32 v[189:190], v[189:190], v[177:178]
	s_wait_loadcnt_dscnt 0x900
	v_mul_f64_e32 v[197:198], v[2:3], v[20:21]
	v_mul_f64_e32 v[20:21], v[4:5], v[20:21]
	ds_load_b128 v[175:178], v1 offset:1440
	v_fma_f64 v[185:186], v[185:186], v[14:15], v[191:192]
	v_fma_f64 v[183:184], v[183:184], v[14:15], -v[16:17]
	scratch_load_b128 v[14:17], off, off offset:560
	v_add_f64_e32 v[187:188], v[187:188], v[195:196]
	v_add_f64_e32 v[189:190], v[189:190], v[193:194]
	v_fma_f64 v[193:194], v[4:5], v[18:19], v[197:198]
	v_fma_f64 v[195:196], v[2:3], v[18:19], -v[20:21]
	ds_load_b128 v[2:5], v1 offset:1456
	s_wait_loadcnt_dscnt 0x901
	v_mul_f64_e32 v[191:192], v[175:176], v[24:25]
	v_mul_f64_e32 v[24:25], v[177:178], v[24:25]
	scratch_load_b128 v[18:21], off, off offset:576
	s_wait_loadcnt_dscnt 0x900
	v_mul_f64_e32 v[197:198], v[2:3], v[28:29]
	v_mul_f64_e32 v[28:29], v[4:5], v[28:29]
	v_add_f64_e32 v[187:188], v[187:188], v[183:184]
	v_add_f64_e32 v[189:190], v[189:190], v[185:186]
	ds_load_b128 v[183:186], v1 offset:1472
	v_fma_f64 v[177:178], v[177:178], v[22:23], v[191:192]
	v_fma_f64 v[175:176], v[175:176], v[22:23], -v[24:25]
	scratch_load_b128 v[22:25], off, off offset:592
	v_add_f64_e32 v[187:188], v[187:188], v[195:196]
	v_add_f64_e32 v[189:190], v[189:190], v[193:194]
	v_fma_f64 v[193:194], v[4:5], v[26:27], v[197:198]
	v_fma_f64 v[195:196], v[2:3], v[26:27], -v[28:29]
	ds_load_b128 v[2:5], v1 offset:1488
	s_wait_loadcnt_dscnt 0x901
	v_mul_f64_e32 v[191:192], v[183:184], v[32:33]
	v_mul_f64_e32 v[32:33], v[185:186], v[32:33]
	scratch_load_b128 v[26:29], off, off offset:608
	s_wait_loadcnt_dscnt 0x900
	v_mul_f64_e32 v[197:198], v[2:3], v[36:37]
	v_mul_f64_e32 v[36:37], v[4:5], v[36:37]
	v_add_f64_e32 v[187:188], v[187:188], v[175:176]
	v_add_f64_e32 v[189:190], v[189:190], v[177:178]
	ds_load_b128 v[175:178], v1 offset:1504
	v_fma_f64 v[185:186], v[185:186], v[30:31], v[191:192]
	v_fma_f64 v[183:184], v[183:184], v[30:31], -v[32:33]
	scratch_load_b128 v[30:33], off, off offset:624
	v_add_f64_e32 v[187:188], v[187:188], v[195:196]
	v_add_f64_e32 v[189:190], v[189:190], v[193:194]
	v_fma_f64 v[195:196], v[4:5], v[34:35], v[197:198]
	v_fma_f64 v[197:198], v[2:3], v[34:35], -v[36:37]
	ds_load_b128 v[2:5], v1 offset:1520
	s_wait_loadcnt_dscnt 0x801
	v_mul_f64_e32 v[191:192], v[175:176], v[181:182]
	v_mul_f64_e32 v[193:194], v[177:178], v[181:182]
	scratch_load_b128 v[34:37], off, off offset:640
	v_add_f64_e32 v[187:188], v[187:188], v[183:184]
	v_add_f64_e32 v[185:186], v[189:190], v[185:186]
	ds_load_b128 v[181:184], v1 offset:1536
	v_fma_f64 v[191:192], v[177:178], v[179:180], v[191:192]
	v_fma_f64 v[179:180], v[175:176], v[179:180], -v[193:194]
	scratch_load_b128 v[175:178], off, off offset:656
	s_wait_loadcnt_dscnt 0x901
	v_mul_f64_e32 v[189:190], v[2:3], v[40:41]
	v_mul_f64_e32 v[40:41], v[4:5], v[40:41]
	v_add_f64_e32 v[187:188], v[187:188], v[197:198]
	v_add_f64_e32 v[185:186], v[185:186], v[195:196]
	s_delay_alu instid0(VALU_DEP_4) | instskip(NEXT) | instid1(VALU_DEP_4)
	v_fma_f64 v[189:190], v[4:5], v[38:39], v[189:190]
	v_fma_f64 v[195:196], v[2:3], v[38:39], -v[40:41]
	ds_load_b128 v[2:5], v1 offset:1552
	s_wait_loadcnt_dscnt 0x801
	v_mul_f64_e32 v[193:194], v[181:182], v[8:9]
	v_mul_f64_e32 v[8:9], v[183:184], v[8:9]
	scratch_load_b128 v[38:41], off, off offset:672
	s_wait_loadcnt_dscnt 0x800
	v_mul_f64_e32 v[197:198], v[2:3], v[12:13]
	v_add_f64_e32 v[179:180], v[187:188], v[179:180]
	v_add_f64_e32 v[191:192], v[185:186], v[191:192]
	v_mul_f64_e32 v[12:13], v[4:5], v[12:13]
	ds_load_b128 v[185:188], v1 offset:1568
	v_fma_f64 v[183:184], v[183:184], v[6:7], v[193:194]
	v_fma_f64 v[181:182], v[181:182], v[6:7], -v[8:9]
	scratch_load_b128 v[6:9], off, off offset:688
	v_fma_f64 v[193:194], v[4:5], v[10:11], v[197:198]
	v_add_f64_e32 v[179:180], v[179:180], v[195:196]
	v_add_f64_e32 v[189:190], v[191:192], v[189:190]
	v_fma_f64 v[195:196], v[2:3], v[10:11], -v[12:13]
	ds_load_b128 v[2:5], v1 offset:1584
	s_wait_loadcnt_dscnt 0x801
	v_mul_f64_e32 v[191:192], v[185:186], v[16:17]
	v_mul_f64_e32 v[16:17], v[187:188], v[16:17]
	scratch_load_b128 v[10:13], off, off offset:704
	v_add_f64_e32 v[197:198], v[179:180], v[181:182]
	v_add_f64_e32 v[183:184], v[189:190], v[183:184]
	s_wait_loadcnt_dscnt 0x800
	v_mul_f64_e32 v[189:190], v[2:3], v[20:21]
	v_mul_f64_e32 v[20:21], v[4:5], v[20:21]
	v_fma_f64 v[187:188], v[187:188], v[14:15], v[191:192]
	v_fma_f64 v[185:186], v[185:186], v[14:15], -v[16:17]
	ds_load_b128 v[179:182], v1 offset:1600
	scratch_load_b128 v[14:17], off, off offset:720
	v_add_f64_e32 v[191:192], v[197:198], v[195:196]
	v_add_f64_e32 v[183:184], v[183:184], v[193:194]
	v_fma_f64 v[189:190], v[4:5], v[18:19], v[189:190]
	v_fma_f64 v[195:196], v[2:3], v[18:19], -v[20:21]
	ds_load_b128 v[2:5], v1 offset:1616
	s_wait_loadcnt_dscnt 0x801
	v_mul_f64_e32 v[193:194], v[179:180], v[24:25]
	v_mul_f64_e32 v[24:25], v[181:182], v[24:25]
	scratch_load_b128 v[18:21], off, off offset:736
	s_wait_loadcnt_dscnt 0x800
	v_mul_f64_e32 v[197:198], v[2:3], v[28:29]
	v_mul_f64_e32 v[28:29], v[4:5], v[28:29]
	v_add_f64_e32 v[191:192], v[191:192], v[185:186]
	v_add_f64_e32 v[187:188], v[183:184], v[187:188]
	ds_load_b128 v[183:186], v1 offset:1632
	v_fma_f64 v[181:182], v[181:182], v[22:23], v[193:194]
	v_fma_f64 v[179:180], v[179:180], v[22:23], -v[24:25]
	scratch_load_b128 v[22:25], off, off offset:752
	v_fma_f64 v[193:194], v[4:5], v[26:27], v[197:198]
	v_add_f64_e32 v[191:192], v[191:192], v[195:196]
	v_add_f64_e32 v[187:188], v[187:188], v[189:190]
	v_fma_f64 v[195:196], v[2:3], v[26:27], -v[28:29]
	ds_load_b128 v[2:5], v1 offset:1648
	s_wait_loadcnt_dscnt 0x801
	v_mul_f64_e32 v[189:190], v[183:184], v[32:33]
	v_mul_f64_e32 v[32:33], v[185:186], v[32:33]
	scratch_load_b128 v[26:29], off, off offset:768
	s_wait_loadcnt_dscnt 0x800
	v_mul_f64_e32 v[197:198], v[2:3], v[36:37]
	v_mul_f64_e32 v[36:37], v[4:5], v[36:37]
	v_add_f64_e32 v[191:192], v[191:192], v[179:180]
	v_add_f64_e32 v[187:188], v[187:188], v[181:182]
	ds_load_b128 v[179:182], v1 offset:1664
	v_fma_f64 v[185:186], v[185:186], v[30:31], v[189:190]
	v_fma_f64 v[183:184], v[183:184], v[30:31], -v[32:33]
	scratch_load_b128 v[30:33], off, off offset:784
	v_add_f64_e32 v[189:190], v[191:192], v[195:196]
	v_add_f64_e32 v[187:188], v[187:188], v[193:194]
	v_fma_f64 v[193:194], v[4:5], v[34:35], v[197:198]
	v_fma_f64 v[195:196], v[2:3], v[34:35], -v[36:37]
	ds_load_b128 v[2:5], v1 offset:1680
	s_wait_loadcnt_dscnt 0x801
	v_mul_f64_e32 v[191:192], v[179:180], v[177:178]
	v_mul_f64_e32 v[177:178], v[181:182], v[177:178]
	scratch_load_b128 v[34:37], off, off offset:800
	s_wait_loadcnt_dscnt 0x800
	v_mul_f64_e32 v[197:198], v[2:3], v[40:41]
	v_mul_f64_e32 v[40:41], v[4:5], v[40:41]
	v_add_f64_e32 v[189:190], v[189:190], v[183:184]
	v_add_f64_e32 v[187:188], v[187:188], v[185:186]
	ds_load_b128 v[183:186], v1 offset:1696
	v_fma_f64 v[181:182], v[181:182], v[175:176], v[191:192]
	v_fma_f64 v[179:180], v[179:180], v[175:176], -v[177:178]
	scratch_load_b128 v[175:178], off, off offset:816
	v_add_f64_e32 v[189:190], v[189:190], v[195:196]
	v_add_f64_e32 v[187:188], v[187:188], v[193:194]
	v_fma_f64 v[193:194], v[4:5], v[38:39], v[197:198]
	;; [unrolled: 18-line block ×6, first 2 shown]
	v_fma_f64 v[197:198], v[2:3], v[34:35], -v[36:37]
	ds_load_b128 v[2:5], v1 offset:1840
	s_wait_loadcnt_dscnt 0x801
	v_mul_f64_e32 v[191:192], v[183:184], v[177:178]
	v_mul_f64_e32 v[193:194], v[185:186], v[177:178]
	scratch_load_b128 v[34:37], off, off offset:960
	v_add_f64_e32 v[189:190], v[189:190], v[179:180]
	v_add_f64_e32 v[181:182], v[187:188], v[181:182]
	s_wait_loadcnt_dscnt 0x800
	v_mul_f64_e32 v[187:188], v[2:3], v[40:41]
	v_mul_f64_e32 v[40:41], v[4:5], v[40:41]
	ds_load_b128 v[177:180], v1 offset:1856
	v_fma_f64 v[185:186], v[185:186], v[175:176], v[191:192]
	v_fma_f64 v[175:176], v[183:184], v[175:176], -v[193:194]
	v_add_f64_e32 v[189:190], v[189:190], v[197:198]
	v_add_f64_e32 v[191:192], v[181:182], v[195:196]
	scratch_load_b128 v[181:184], off, off offset:976
	v_fma_f64 v[195:196], v[4:5], v[38:39], v[187:188]
	v_fma_f64 v[197:198], v[2:3], v[38:39], -v[40:41]
	ds_load_b128 v[2:5], v1 offset:1872
	s_wait_loadcnt_dscnt 0x801
	v_mul_f64_e32 v[193:194], v[177:178], v[8:9]
	v_mul_f64_e32 v[8:9], v[179:180], v[8:9]
	scratch_load_b128 v[38:41], off, off offset:992
	v_add_f64_e32 v[175:176], v[189:190], v[175:176]
	v_add_f64_e32 v[189:190], v[191:192], v[185:186]
	s_wait_loadcnt_dscnt 0x800
	v_mul_f64_e32 v[191:192], v[2:3], v[12:13]
	v_mul_f64_e32 v[12:13], v[4:5], v[12:13]
	ds_load_b128 v[185:188], v1 offset:1888
	v_fma_f64 v[179:180], v[179:180], v[6:7], v[193:194]
	v_fma_f64 v[177:178], v[177:178], v[6:7], -v[8:9]
	scratch_load_b128 v[6:9], off, off offset:1008
	v_add_f64_e32 v[175:176], v[175:176], v[197:198]
	v_add_f64_e32 v[189:190], v[189:190], v[195:196]
	v_fma_f64 v[191:192], v[4:5], v[10:11], v[191:192]
	v_fma_f64 v[195:196], v[2:3], v[10:11], -v[12:13]
	ds_load_b128 v[2:5], v1 offset:1904
	s_wait_loadcnt_dscnt 0x801
	v_mul_f64_e32 v[193:194], v[185:186], v[16:17]
	v_mul_f64_e32 v[16:17], v[187:188], v[16:17]
	scratch_load_b128 v[10:13], off, off offset:1024
	v_add_f64_e32 v[197:198], v[175:176], v[177:178]
	v_add_f64_e32 v[179:180], v[189:190], v[179:180]
	s_wait_loadcnt_dscnt 0x800
	v_mul_f64_e32 v[189:190], v[2:3], v[20:21]
	v_mul_f64_e32 v[20:21], v[4:5], v[20:21]
	ds_load_b128 v[175:178], v1 offset:1920
	v_fma_f64 v[187:188], v[187:188], v[14:15], v[193:194]
	v_fma_f64 v[14:15], v[185:186], v[14:15], -v[16:17]
	s_wait_loadcnt_dscnt 0x700
	v_mul_f64_e32 v[185:186], v[175:176], v[24:25]
	v_mul_f64_e32 v[24:25], v[177:178], v[24:25]
	v_add_f64_e32 v[16:17], v[197:198], v[195:196]
	v_add_f64_e32 v[179:180], v[179:180], v[191:192]
	v_fma_f64 v[189:190], v[4:5], v[18:19], v[189:190]
	v_fma_f64 v[18:19], v[2:3], v[18:19], -v[20:21]
	v_fma_f64 v[177:178], v[177:178], v[22:23], v[185:186]
	v_fma_f64 v[22:23], v[175:176], v[22:23], -v[24:25]
	v_add_f64_e32 v[20:21], v[16:17], v[14:15]
	v_add_f64_e32 v[179:180], v[179:180], v[187:188]
	ds_load_b128 v[2:5], v1 offset:1936
	ds_load_b128 v[14:17], v1 offset:1952
	s_wait_loadcnt_dscnt 0x601
	v_mul_f64_e32 v[187:188], v[2:3], v[28:29]
	v_mul_f64_e32 v[28:29], v[4:5], v[28:29]
	s_wait_loadcnt_dscnt 0x500
	v_mul_f64_e32 v[24:25], v[14:15], v[32:33]
	v_mul_f64_e32 v[32:33], v[16:17], v[32:33]
	v_add_f64_e32 v[18:19], v[20:21], v[18:19]
	v_add_f64_e32 v[20:21], v[179:180], v[189:190]
	v_fma_f64 v[175:176], v[4:5], v[26:27], v[187:188]
	v_fma_f64 v[26:27], v[2:3], v[26:27], -v[28:29]
	v_fma_f64 v[16:17], v[16:17], v[30:31], v[24:25]
	v_fma_f64 v[14:15], v[14:15], v[30:31], -v[32:33]
	v_add_f64_e32 v[22:23], v[18:19], v[22:23]
	v_add_f64_e32 v[28:29], v[20:21], v[177:178]
	ds_load_b128 v[2:5], v1 offset:1968
	ds_load_b128 v[18:21], v1 offset:1984
	s_wait_loadcnt_dscnt 0x401
	v_mul_f64_e32 v[177:178], v[2:3], v[36:37]
	v_mul_f64_e32 v[36:37], v[4:5], v[36:37]
	v_add_f64_e32 v[22:23], v[22:23], v[26:27]
	v_add_f64_e32 v[24:25], v[28:29], v[175:176]
	s_wait_loadcnt_dscnt 0x300
	v_mul_f64_e32 v[26:27], v[18:19], v[183:184]
	v_mul_f64_e32 v[28:29], v[20:21], v[183:184]
	v_fma_f64 v[30:31], v[4:5], v[34:35], v[177:178]
	v_fma_f64 v[32:33], v[2:3], v[34:35], -v[36:37]
	v_add_f64_e32 v[22:23], v[22:23], v[14:15]
	v_add_f64_e32 v[24:25], v[24:25], v[16:17]
	ds_load_b128 v[2:5], v1 offset:2000
	ds_load_b128 v[14:17], v1 offset:2016
	v_fma_f64 v[20:21], v[20:21], v[181:182], v[26:27]
	v_fma_f64 v[18:19], v[18:19], v[181:182], -v[28:29]
	s_wait_loadcnt_dscnt 0x201
	v_mul_f64_e32 v[34:35], v[2:3], v[40:41]
	v_mul_f64_e32 v[36:37], v[4:5], v[40:41]
	s_wait_loadcnt_dscnt 0x100
	v_mul_f64_e32 v[26:27], v[14:15], v[8:9]
	v_mul_f64_e32 v[8:9], v[16:17], v[8:9]
	v_add_f64_e32 v[22:23], v[22:23], v[32:33]
	v_add_f64_e32 v[24:25], v[24:25], v[30:31]
	v_fma_f64 v[28:29], v[4:5], v[38:39], v[34:35]
	v_fma_f64 v[30:31], v[2:3], v[38:39], -v[36:37]
	ds_load_b128 v[2:5], v1 offset:2032
	v_fma_f64 v[16:17], v[16:17], v[6:7], v[26:27]
	v_fma_f64 v[6:7], v[14:15], v[6:7], -v[8:9]
	v_add_f64_e32 v[18:19], v[22:23], v[18:19]
	v_add_f64_e32 v[20:21], v[24:25], v[20:21]
	s_wait_loadcnt_dscnt 0x0
	v_mul_f64_e32 v[22:23], v[2:3], v[12:13]
	v_mul_f64_e32 v[12:13], v[4:5], v[12:13]
	s_delay_alu instid0(VALU_DEP_4) | instskip(NEXT) | instid1(VALU_DEP_4)
	v_add_f64_e32 v[8:9], v[18:19], v[30:31]
	v_add_f64_e32 v[14:15], v[20:21], v[28:29]
	s_delay_alu instid0(VALU_DEP_4) | instskip(NEXT) | instid1(VALU_DEP_4)
	v_fma_f64 v[4:5], v[4:5], v[10:11], v[22:23]
	v_fma_f64 v[2:3], v[2:3], v[10:11], -v[12:13]
	s_delay_alu instid0(VALU_DEP_4) | instskip(NEXT) | instid1(VALU_DEP_4)
	v_add_f64_e32 v[6:7], v[8:9], v[6:7]
	v_add_f64_e32 v[8:9], v[14:15], v[16:17]
	s_delay_alu instid0(VALU_DEP_2) | instskip(NEXT) | instid1(VALU_DEP_2)
	v_add_f64_e32 v[2:3], v[6:7], v[2:3]
	v_add_f64_e32 v[4:5], v[8:9], v[4:5]
	s_delay_alu instid0(VALU_DEP_2) | instskip(NEXT) | instid1(VALU_DEP_2)
	v_add_f64_e64 v[2:3], v[42:43], -v[2:3]
	v_add_f64_e64 v[4:5], v[44:45], -v[4:5]
	scratch_store_b128 off, v[2:5], off offset:336
	v_cmpx_lt_u32_e32 19, v0
	s_cbranch_execz .LBB63_371
; %bb.370:
	scratch_load_b128 v[5:8], off, s60
	v_dual_mov_b32 v2, v1 :: v_dual_mov_b32 v3, v1
	v_mov_b32_e32 v4, v1
	scratch_store_b128 off, v[1:4], off offset:320
	s_wait_loadcnt 0x0
	ds_store_b128 v174, v[5:8]
.LBB63_371:
	s_wait_alu 0xfffe
	s_or_b32 exec_lo, exec_lo, s0
	s_wait_storecnt_dscnt 0x0
	s_barrier_signal -1
	s_barrier_wait -1
	global_inv scope:SCOPE_SE
	s_clause 0x8
	scratch_load_b128 v[2:5], off, off offset:336
	scratch_load_b128 v[6:9], off, off offset:352
	;; [unrolled: 1-line block ×9, first 2 shown]
	ds_load_b128 v[42:45], v1 offset:1344
	ds_load_b128 v[38:41], v1 offset:1360
	s_clause 0x1
	scratch_load_b128 v[175:178], off, off offset:320
	scratch_load_b128 v[179:182], off, off offset:480
	s_mov_b32 s0, exec_lo
	s_wait_loadcnt_dscnt 0xa01
	v_mul_f64_e32 v[183:184], v[44:45], v[4:5]
	v_mul_f64_e32 v[4:5], v[42:43], v[4:5]
	s_wait_loadcnt_dscnt 0x900
	v_mul_f64_e32 v[187:188], v[38:39], v[8:9]
	v_mul_f64_e32 v[8:9], v[40:41], v[8:9]
	s_delay_alu instid0(VALU_DEP_4) | instskip(NEXT) | instid1(VALU_DEP_4)
	v_fma_f64 v[189:190], v[42:43], v[2:3], -v[183:184]
	v_fma_f64 v[191:192], v[44:45], v[2:3], v[4:5]
	ds_load_b128 v[2:5], v1 offset:1376
	ds_load_b128 v[183:186], v1 offset:1392
	scratch_load_b128 v[42:45], off, off offset:496
	v_fma_f64 v[40:41], v[40:41], v[6:7], v[187:188]
	v_fma_f64 v[38:39], v[38:39], v[6:7], -v[8:9]
	scratch_load_b128 v[6:9], off, off offset:512
	s_wait_loadcnt_dscnt 0xa01
	v_mul_f64_e32 v[193:194], v[2:3], v[12:13]
	v_mul_f64_e32 v[12:13], v[4:5], v[12:13]
	v_add_f64_e32 v[187:188], 0, v[189:190]
	v_add_f64_e32 v[189:190], 0, v[191:192]
	s_wait_loadcnt_dscnt 0x900
	v_mul_f64_e32 v[191:192], v[183:184], v[16:17]
	v_mul_f64_e32 v[16:17], v[185:186], v[16:17]
	v_fma_f64 v[193:194], v[4:5], v[10:11], v[193:194]
	v_fma_f64 v[195:196], v[2:3], v[10:11], -v[12:13]
	ds_load_b128 v[2:5], v1 offset:1408
	scratch_load_b128 v[10:13], off, off offset:528
	v_add_f64_e32 v[187:188], v[187:188], v[38:39]
	v_add_f64_e32 v[189:190], v[189:190], v[40:41]
	ds_load_b128 v[38:41], v1 offset:1424
	v_fma_f64 v[185:186], v[185:186], v[14:15], v[191:192]
	v_fma_f64 v[183:184], v[183:184], v[14:15], -v[16:17]
	scratch_load_b128 v[14:17], off, off offset:544
	s_wait_loadcnt_dscnt 0xa01
	v_mul_f64_e32 v[197:198], v[2:3], v[20:21]
	v_mul_f64_e32 v[20:21], v[4:5], v[20:21]
	s_wait_loadcnt_dscnt 0x900
	v_mul_f64_e32 v[191:192], v[38:39], v[24:25]
	v_mul_f64_e32 v[24:25], v[40:41], v[24:25]
	v_add_f64_e32 v[187:188], v[187:188], v[195:196]
	v_add_f64_e32 v[189:190], v[189:190], v[193:194]
	v_fma_f64 v[193:194], v[4:5], v[18:19], v[197:198]
	v_fma_f64 v[195:196], v[2:3], v[18:19], -v[20:21]
	ds_load_b128 v[2:5], v1 offset:1440
	scratch_load_b128 v[18:21], off, off offset:560
	v_fma_f64 v[40:41], v[40:41], v[22:23], v[191:192]
	v_fma_f64 v[38:39], v[38:39], v[22:23], -v[24:25]
	scratch_load_b128 v[22:25], off, off offset:576
	v_add_f64_e32 v[187:188], v[187:188], v[183:184]
	v_add_f64_e32 v[189:190], v[189:190], v[185:186]
	ds_load_b128 v[183:186], v1 offset:1456
	s_wait_loadcnt_dscnt 0xa01
	v_mul_f64_e32 v[197:198], v[2:3], v[28:29]
	v_mul_f64_e32 v[28:29], v[4:5], v[28:29]
	s_wait_loadcnt_dscnt 0x900
	v_mul_f64_e32 v[191:192], v[183:184], v[32:33]
	v_mul_f64_e32 v[32:33], v[185:186], v[32:33]
	v_add_f64_e32 v[187:188], v[187:188], v[195:196]
	v_add_f64_e32 v[189:190], v[189:190], v[193:194]
	v_fma_f64 v[193:194], v[4:5], v[26:27], v[197:198]
	v_fma_f64 v[195:196], v[2:3], v[26:27], -v[28:29]
	ds_load_b128 v[2:5], v1 offset:1472
	scratch_load_b128 v[26:29], off, off offset:592
	v_fma_f64 v[185:186], v[185:186], v[30:31], v[191:192]
	v_fma_f64 v[183:184], v[183:184], v[30:31], -v[32:33]
	scratch_load_b128 v[30:33], off, off offset:608
	v_add_f64_e32 v[187:188], v[187:188], v[38:39]
	v_add_f64_e32 v[189:190], v[189:190], v[40:41]
	ds_load_b128 v[38:41], v1 offset:1488
	s_wait_loadcnt_dscnt 0xa01
	v_mul_f64_e32 v[197:198], v[2:3], v[36:37]
	v_mul_f64_e32 v[36:37], v[4:5], v[36:37]
	s_wait_loadcnt_dscnt 0x800
	v_mul_f64_e32 v[191:192], v[38:39], v[181:182]
	v_add_f64_e32 v[187:188], v[187:188], v[195:196]
	v_add_f64_e32 v[189:190], v[189:190], v[193:194]
	v_mul_f64_e32 v[193:194], v[40:41], v[181:182]
	v_fma_f64 v[195:196], v[4:5], v[34:35], v[197:198]
	v_fma_f64 v[197:198], v[2:3], v[34:35], -v[36:37]
	ds_load_b128 v[2:5], v1 offset:1504
	scratch_load_b128 v[34:37], off, off offset:624
	v_fma_f64 v[191:192], v[40:41], v[179:180], v[191:192]
	v_add_f64_e32 v[187:188], v[187:188], v[183:184]
	v_add_f64_e32 v[185:186], v[189:190], v[185:186]
	ds_load_b128 v[181:184], v1 offset:1520
	v_fma_f64 v[179:180], v[38:39], v[179:180], -v[193:194]
	scratch_load_b128 v[38:41], off, off offset:640
	s_wait_loadcnt_dscnt 0x901
	v_mul_f64_e32 v[189:190], v[2:3], v[44:45]
	v_mul_f64_e32 v[44:45], v[4:5], v[44:45]
	s_wait_loadcnt_dscnt 0x800
	v_mul_f64_e32 v[193:194], v[181:182], v[8:9]
	v_mul_f64_e32 v[8:9], v[183:184], v[8:9]
	v_add_f64_e32 v[187:188], v[187:188], v[197:198]
	v_add_f64_e32 v[185:186], v[185:186], v[195:196]
	v_fma_f64 v[189:190], v[4:5], v[42:43], v[189:190]
	v_fma_f64 v[195:196], v[2:3], v[42:43], -v[44:45]
	ds_load_b128 v[2:5], v1 offset:1536
	scratch_load_b128 v[42:45], off, off offset:656
	v_fma_f64 v[183:184], v[183:184], v[6:7], v[193:194]
	v_fma_f64 v[181:182], v[181:182], v[6:7], -v[8:9]
	scratch_load_b128 v[6:9], off, off offset:672
	v_add_f64_e32 v[179:180], v[187:188], v[179:180]
	v_add_f64_e32 v[191:192], v[185:186], v[191:192]
	ds_load_b128 v[185:188], v1 offset:1552
	s_wait_loadcnt_dscnt 0x901
	v_mul_f64_e32 v[197:198], v[2:3], v[12:13]
	v_mul_f64_e32 v[12:13], v[4:5], v[12:13]
	v_add_f64_e32 v[179:180], v[179:180], v[195:196]
	v_add_f64_e32 v[189:190], v[191:192], v[189:190]
	s_wait_loadcnt_dscnt 0x800
	v_mul_f64_e32 v[191:192], v[185:186], v[16:17]
	v_mul_f64_e32 v[16:17], v[187:188], v[16:17]
	v_fma_f64 v[193:194], v[4:5], v[10:11], v[197:198]
	v_fma_f64 v[195:196], v[2:3], v[10:11], -v[12:13]
	ds_load_b128 v[2:5], v1 offset:1568
	scratch_load_b128 v[10:13], off, off offset:688
	v_add_f64_e32 v[197:198], v[179:180], v[181:182]
	v_add_f64_e32 v[183:184], v[189:190], v[183:184]
	ds_load_b128 v[179:182], v1 offset:1584
	s_wait_loadcnt_dscnt 0x801
	v_mul_f64_e32 v[189:190], v[2:3], v[20:21]
	v_mul_f64_e32 v[20:21], v[4:5], v[20:21]
	v_fma_f64 v[187:188], v[187:188], v[14:15], v[191:192]
	v_fma_f64 v[185:186], v[185:186], v[14:15], -v[16:17]
	scratch_load_b128 v[14:17], off, off offset:704
	v_add_f64_e32 v[191:192], v[197:198], v[195:196]
	v_add_f64_e32 v[183:184], v[183:184], v[193:194]
	s_wait_loadcnt_dscnt 0x800
	v_mul_f64_e32 v[193:194], v[179:180], v[24:25]
	v_mul_f64_e32 v[24:25], v[181:182], v[24:25]
	v_fma_f64 v[189:190], v[4:5], v[18:19], v[189:190]
	v_fma_f64 v[195:196], v[2:3], v[18:19], -v[20:21]
	ds_load_b128 v[2:5], v1 offset:1600
	scratch_load_b128 v[18:21], off, off offset:720
	v_add_f64_e32 v[191:192], v[191:192], v[185:186]
	v_add_f64_e32 v[187:188], v[183:184], v[187:188]
	ds_load_b128 v[183:186], v1 offset:1616
	s_wait_loadcnt_dscnt 0x801
	v_mul_f64_e32 v[197:198], v[2:3], v[28:29]
	v_mul_f64_e32 v[28:29], v[4:5], v[28:29]
	v_fma_f64 v[181:182], v[181:182], v[22:23], v[193:194]
	v_fma_f64 v[179:180], v[179:180], v[22:23], -v[24:25]
	scratch_load_b128 v[22:25], off, off offset:736
	;; [unrolled: 18-line block ×4, first 2 shown]
	s_wait_loadcnt_dscnt 0x800
	v_mul_f64_e32 v[191:192], v[183:184], v[8:9]
	v_mul_f64_e32 v[8:9], v[185:186], v[8:9]
	v_add_f64_e32 v[189:190], v[189:190], v[195:196]
	v_add_f64_e32 v[187:188], v[187:188], v[193:194]
	v_fma_f64 v[193:194], v[4:5], v[42:43], v[197:198]
	v_fma_f64 v[195:196], v[2:3], v[42:43], -v[44:45]
	ds_load_b128 v[2:5], v1 offset:1696
	scratch_load_b128 v[42:45], off, off offset:816
	v_fma_f64 v[185:186], v[185:186], v[6:7], v[191:192]
	v_fma_f64 v[183:184], v[183:184], v[6:7], -v[8:9]
	scratch_load_b128 v[6:9], off, off offset:832
	v_add_f64_e32 v[189:190], v[189:190], v[179:180]
	v_add_f64_e32 v[187:188], v[187:188], v[181:182]
	ds_load_b128 v[179:182], v1 offset:1712
	s_wait_loadcnt_dscnt 0x901
	v_mul_f64_e32 v[197:198], v[2:3], v[12:13]
	v_mul_f64_e32 v[12:13], v[4:5], v[12:13]
	s_wait_loadcnt_dscnt 0x800
	v_mul_f64_e32 v[191:192], v[179:180], v[16:17]
	v_mul_f64_e32 v[16:17], v[181:182], v[16:17]
	v_add_f64_e32 v[189:190], v[189:190], v[195:196]
	v_add_f64_e32 v[187:188], v[187:188], v[193:194]
	v_fma_f64 v[193:194], v[4:5], v[10:11], v[197:198]
	v_fma_f64 v[195:196], v[2:3], v[10:11], -v[12:13]
	ds_load_b128 v[2:5], v1 offset:1728
	scratch_load_b128 v[10:13], off, off offset:848
	v_fma_f64 v[181:182], v[181:182], v[14:15], v[191:192]
	v_fma_f64 v[179:180], v[179:180], v[14:15], -v[16:17]
	scratch_load_b128 v[14:17], off, off offset:864
	v_add_f64_e32 v[189:190], v[189:190], v[183:184]
	v_add_f64_e32 v[187:188], v[187:188], v[185:186]
	ds_load_b128 v[183:186], v1 offset:1744
	s_wait_loadcnt_dscnt 0x901
	v_mul_f64_e32 v[197:198], v[2:3], v[20:21]
	v_mul_f64_e32 v[20:21], v[4:5], v[20:21]
	;; [unrolled: 18-line block ×7, first 2 shown]
	s_wait_loadcnt_dscnt 0x800
	v_mul_f64_e32 v[191:192], v[179:180], v[24:25]
	v_mul_f64_e32 v[24:25], v[181:182], v[24:25]
	v_add_f64_e32 v[189:190], v[189:190], v[195:196]
	v_add_f64_e32 v[187:188], v[187:188], v[193:194]
	v_fma_f64 v[193:194], v[4:5], v[18:19], v[197:198]
	v_fma_f64 v[195:196], v[2:3], v[18:19], -v[20:21]
	ds_load_b128 v[2:5], v1 offset:1920
	ds_load_b128 v[18:21], v1 offset:1936
	v_fma_f64 v[181:182], v[181:182], v[22:23], v[191:192]
	v_fma_f64 v[22:23], v[179:180], v[22:23], -v[24:25]
	v_add_f64_e32 v[183:184], v[189:190], v[183:184]
	v_add_f64_e32 v[185:186], v[187:188], v[185:186]
	s_wait_loadcnt_dscnt 0x701
	v_mul_f64_e32 v[187:188], v[2:3], v[28:29]
	v_mul_f64_e32 v[28:29], v[4:5], v[28:29]
	s_delay_alu instid0(VALU_DEP_4) | instskip(NEXT) | instid1(VALU_DEP_4)
	v_add_f64_e32 v[24:25], v[183:184], v[195:196]
	v_add_f64_e32 v[179:180], v[185:186], v[193:194]
	s_wait_loadcnt_dscnt 0x600
	v_mul_f64_e32 v[183:184], v[18:19], v[32:33]
	v_mul_f64_e32 v[32:33], v[20:21], v[32:33]
	v_fma_f64 v[185:186], v[4:5], v[26:27], v[187:188]
	v_fma_f64 v[26:27], v[2:3], v[26:27], -v[28:29]
	v_add_f64_e32 v[28:29], v[24:25], v[22:23]
	v_add_f64_e32 v[179:180], v[179:180], v[181:182]
	ds_load_b128 v[2:5], v1 offset:1952
	ds_load_b128 v[22:25], v1 offset:1968
	v_fma_f64 v[20:21], v[20:21], v[30:31], v[183:184]
	v_fma_f64 v[18:19], v[18:19], v[30:31], -v[32:33]
	s_wait_loadcnt_dscnt 0x501
	v_mul_f64_e32 v[181:182], v[2:3], v[36:37]
	v_mul_f64_e32 v[36:37], v[4:5], v[36:37]
	s_wait_loadcnt_dscnt 0x400
	v_mul_f64_e32 v[30:31], v[22:23], v[40:41]
	v_mul_f64_e32 v[32:33], v[24:25], v[40:41]
	v_add_f64_e32 v[26:27], v[28:29], v[26:27]
	v_add_f64_e32 v[28:29], v[179:180], v[185:186]
	v_fma_f64 v[40:41], v[4:5], v[34:35], v[181:182]
	v_fma_f64 v[34:35], v[2:3], v[34:35], -v[36:37]
	v_fma_f64 v[24:25], v[24:25], v[38:39], v[30:31]
	v_fma_f64 v[22:23], v[22:23], v[38:39], -v[32:33]
	v_add_f64_e32 v[26:27], v[26:27], v[18:19]
	v_add_f64_e32 v[28:29], v[28:29], v[20:21]
	ds_load_b128 v[2:5], v1 offset:1984
	ds_load_b128 v[18:21], v1 offset:2000
	s_wait_loadcnt_dscnt 0x301
	v_mul_f64_e32 v[36:37], v[2:3], v[44:45]
	v_mul_f64_e32 v[44:45], v[4:5], v[44:45]
	s_wait_loadcnt_dscnt 0x200
	v_mul_f64_e32 v[30:31], v[18:19], v[8:9]
	v_mul_f64_e32 v[8:9], v[20:21], v[8:9]
	v_add_f64_e32 v[26:27], v[26:27], v[34:35]
	v_add_f64_e32 v[28:29], v[28:29], v[40:41]
	v_fma_f64 v[32:33], v[4:5], v[42:43], v[36:37]
	v_fma_f64 v[34:35], v[2:3], v[42:43], -v[44:45]
	v_fma_f64 v[20:21], v[20:21], v[6:7], v[30:31]
	v_fma_f64 v[6:7], v[18:19], v[6:7], -v[8:9]
	v_add_f64_e32 v[26:27], v[26:27], v[22:23]
	v_add_f64_e32 v[28:29], v[28:29], v[24:25]
	ds_load_b128 v[2:5], v1 offset:2016
	ds_load_b128 v[22:25], v1 offset:2032
	s_wait_loadcnt_dscnt 0x101
	v_mul_f64_e32 v[36:37], v[2:3], v[12:13]
	v_mul_f64_e32 v[12:13], v[4:5], v[12:13]
	v_add_f64_e32 v[8:9], v[26:27], v[34:35]
	v_add_f64_e32 v[18:19], v[28:29], v[32:33]
	s_wait_loadcnt_dscnt 0x0
	v_mul_f64_e32 v[26:27], v[22:23], v[16:17]
	v_mul_f64_e32 v[16:17], v[24:25], v[16:17]
	v_fma_f64 v[4:5], v[4:5], v[10:11], v[36:37]
	v_fma_f64 v[1:2], v[2:3], v[10:11], -v[12:13]
	v_add_f64_e32 v[6:7], v[8:9], v[6:7]
	v_add_f64_e32 v[8:9], v[18:19], v[20:21]
	v_fma_f64 v[10:11], v[24:25], v[14:15], v[26:27]
	v_fma_f64 v[12:13], v[22:23], v[14:15], -v[16:17]
	s_delay_alu instid0(VALU_DEP_4) | instskip(NEXT) | instid1(VALU_DEP_4)
	v_add_f64_e32 v[1:2], v[6:7], v[1:2]
	v_add_f64_e32 v[3:4], v[8:9], v[4:5]
	s_delay_alu instid0(VALU_DEP_2) | instskip(NEXT) | instid1(VALU_DEP_2)
	v_add_f64_e32 v[1:2], v[1:2], v[12:13]
	v_add_f64_e32 v[3:4], v[3:4], v[10:11]
	s_delay_alu instid0(VALU_DEP_2) | instskip(NEXT) | instid1(VALU_DEP_2)
	v_add_f64_e64 v[1:2], v[175:176], -v[1:2]
	v_add_f64_e64 v[3:4], v[177:178], -v[3:4]
	scratch_store_b128 off, v[1:4], off offset:320
	v_cmpx_lt_u32_e32 18, v0
	s_cbranch_execz .LBB63_373
; %bb.372:
	scratch_load_b128 v[1:4], off, s61
	v_mov_b32_e32 v5, 0
	s_delay_alu instid0(VALU_DEP_1)
	v_dual_mov_b32 v6, v5 :: v_dual_mov_b32 v7, v5
	v_mov_b32_e32 v8, v5
	scratch_store_b128 off, v[5:8], off offset:304
	s_wait_loadcnt 0x0
	ds_store_b128 v174, v[1:4]
.LBB63_373:
	s_wait_alu 0xfffe
	s_or_b32 exec_lo, exec_lo, s0
	s_wait_storecnt_dscnt 0x0
	s_barrier_signal -1
	s_barrier_wait -1
	global_inv scope:SCOPE_SE
	s_clause 0x7
	scratch_load_b128 v[2:5], off, off offset:320
	scratch_load_b128 v[6:9], off, off offset:336
	;; [unrolled: 1-line block ×8, first 2 shown]
	v_mov_b32_e32 v1, 0
	s_mov_b32 s0, exec_lo
	ds_load_b128 v[38:41], v1 offset:1328
	s_clause 0x1
	scratch_load_b128 v[34:37], off, off offset:448
	scratch_load_b128 v[42:45], off, off offset:304
	ds_load_b128 v[175:178], v1 offset:1344
	scratch_load_b128 v[179:182], off, off offset:464
	s_wait_loadcnt_dscnt 0xa01
	v_mul_f64_e32 v[183:184], v[40:41], v[4:5]
	v_mul_f64_e32 v[4:5], v[38:39], v[4:5]
	s_delay_alu instid0(VALU_DEP_2) | instskip(NEXT) | instid1(VALU_DEP_2)
	v_fma_f64 v[189:190], v[38:39], v[2:3], -v[183:184]
	v_fma_f64 v[191:192], v[40:41], v[2:3], v[4:5]
	ds_load_b128 v[2:5], v1 offset:1360
	s_wait_loadcnt_dscnt 0x901
	v_mul_f64_e32 v[187:188], v[175:176], v[8:9]
	v_mul_f64_e32 v[8:9], v[177:178], v[8:9]
	scratch_load_b128 v[38:41], off, off offset:480
	ds_load_b128 v[183:186], v1 offset:1376
	s_wait_loadcnt_dscnt 0x901
	v_mul_f64_e32 v[193:194], v[2:3], v[12:13]
	v_mul_f64_e32 v[12:13], v[4:5], v[12:13]
	v_fma_f64 v[177:178], v[177:178], v[6:7], v[187:188]
	v_fma_f64 v[175:176], v[175:176], v[6:7], -v[8:9]
	v_add_f64_e32 v[187:188], 0, v[189:190]
	v_add_f64_e32 v[189:190], 0, v[191:192]
	scratch_load_b128 v[6:9], off, off offset:496
	v_fma_f64 v[193:194], v[4:5], v[10:11], v[193:194]
	v_fma_f64 v[195:196], v[2:3], v[10:11], -v[12:13]
	ds_load_b128 v[2:5], v1 offset:1392
	s_wait_loadcnt_dscnt 0x901
	v_mul_f64_e32 v[191:192], v[183:184], v[16:17]
	v_mul_f64_e32 v[16:17], v[185:186], v[16:17]
	scratch_load_b128 v[10:13], off, off offset:512
	v_add_f64_e32 v[187:188], v[187:188], v[175:176]
	v_add_f64_e32 v[189:190], v[189:190], v[177:178]
	s_wait_loadcnt_dscnt 0x900
	v_mul_f64_e32 v[197:198], v[2:3], v[20:21]
	v_mul_f64_e32 v[20:21], v[4:5], v[20:21]
	ds_load_b128 v[175:178], v1 offset:1408
	v_fma_f64 v[185:186], v[185:186], v[14:15], v[191:192]
	v_fma_f64 v[183:184], v[183:184], v[14:15], -v[16:17]
	scratch_load_b128 v[14:17], off, off offset:528
	v_add_f64_e32 v[187:188], v[187:188], v[195:196]
	v_add_f64_e32 v[189:190], v[189:190], v[193:194]
	v_fma_f64 v[193:194], v[4:5], v[18:19], v[197:198]
	v_fma_f64 v[195:196], v[2:3], v[18:19], -v[20:21]
	ds_load_b128 v[2:5], v1 offset:1424
	s_wait_loadcnt_dscnt 0x901
	v_mul_f64_e32 v[191:192], v[175:176], v[24:25]
	v_mul_f64_e32 v[24:25], v[177:178], v[24:25]
	scratch_load_b128 v[18:21], off, off offset:544
	s_wait_loadcnt_dscnt 0x900
	v_mul_f64_e32 v[197:198], v[2:3], v[28:29]
	v_mul_f64_e32 v[28:29], v[4:5], v[28:29]
	v_add_f64_e32 v[187:188], v[187:188], v[183:184]
	v_add_f64_e32 v[189:190], v[189:190], v[185:186]
	ds_load_b128 v[183:186], v1 offset:1440
	v_fma_f64 v[177:178], v[177:178], v[22:23], v[191:192]
	v_fma_f64 v[175:176], v[175:176], v[22:23], -v[24:25]
	scratch_load_b128 v[22:25], off, off offset:560
	v_add_f64_e32 v[187:188], v[187:188], v[195:196]
	v_add_f64_e32 v[189:190], v[189:190], v[193:194]
	v_fma_f64 v[193:194], v[4:5], v[26:27], v[197:198]
	v_fma_f64 v[195:196], v[2:3], v[26:27], -v[28:29]
	ds_load_b128 v[2:5], v1 offset:1456
	s_wait_loadcnt_dscnt 0x901
	v_mul_f64_e32 v[191:192], v[183:184], v[32:33]
	v_mul_f64_e32 v[32:33], v[185:186], v[32:33]
	scratch_load_b128 v[26:29], off, off offset:576
	s_wait_loadcnt_dscnt 0x900
	v_mul_f64_e32 v[197:198], v[2:3], v[36:37]
	v_mul_f64_e32 v[36:37], v[4:5], v[36:37]
	v_add_f64_e32 v[187:188], v[187:188], v[175:176]
	v_add_f64_e32 v[189:190], v[189:190], v[177:178]
	ds_load_b128 v[175:178], v1 offset:1472
	v_fma_f64 v[185:186], v[185:186], v[30:31], v[191:192]
	v_fma_f64 v[183:184], v[183:184], v[30:31], -v[32:33]
	scratch_load_b128 v[30:33], off, off offset:592
	v_add_f64_e32 v[187:188], v[187:188], v[195:196]
	v_add_f64_e32 v[189:190], v[189:190], v[193:194]
	v_fma_f64 v[195:196], v[4:5], v[34:35], v[197:198]
	v_fma_f64 v[197:198], v[2:3], v[34:35], -v[36:37]
	ds_load_b128 v[2:5], v1 offset:1488
	s_wait_loadcnt_dscnt 0x801
	v_mul_f64_e32 v[191:192], v[175:176], v[181:182]
	v_mul_f64_e32 v[193:194], v[177:178], v[181:182]
	scratch_load_b128 v[34:37], off, off offset:608
	v_add_f64_e32 v[187:188], v[187:188], v[183:184]
	v_add_f64_e32 v[185:186], v[189:190], v[185:186]
	ds_load_b128 v[181:184], v1 offset:1504
	v_fma_f64 v[191:192], v[177:178], v[179:180], v[191:192]
	v_fma_f64 v[179:180], v[175:176], v[179:180], -v[193:194]
	scratch_load_b128 v[175:178], off, off offset:624
	s_wait_loadcnt_dscnt 0x901
	v_mul_f64_e32 v[189:190], v[2:3], v[40:41]
	v_mul_f64_e32 v[40:41], v[4:5], v[40:41]
	v_add_f64_e32 v[187:188], v[187:188], v[197:198]
	v_add_f64_e32 v[185:186], v[185:186], v[195:196]
	s_delay_alu instid0(VALU_DEP_4) | instskip(NEXT) | instid1(VALU_DEP_4)
	v_fma_f64 v[189:190], v[4:5], v[38:39], v[189:190]
	v_fma_f64 v[195:196], v[2:3], v[38:39], -v[40:41]
	ds_load_b128 v[2:5], v1 offset:1520
	s_wait_loadcnt_dscnt 0x801
	v_mul_f64_e32 v[193:194], v[181:182], v[8:9]
	v_mul_f64_e32 v[8:9], v[183:184], v[8:9]
	scratch_load_b128 v[38:41], off, off offset:640
	s_wait_loadcnt_dscnt 0x800
	v_mul_f64_e32 v[197:198], v[2:3], v[12:13]
	v_add_f64_e32 v[179:180], v[187:188], v[179:180]
	v_add_f64_e32 v[191:192], v[185:186], v[191:192]
	v_mul_f64_e32 v[12:13], v[4:5], v[12:13]
	ds_load_b128 v[185:188], v1 offset:1536
	v_fma_f64 v[183:184], v[183:184], v[6:7], v[193:194]
	v_fma_f64 v[181:182], v[181:182], v[6:7], -v[8:9]
	scratch_load_b128 v[6:9], off, off offset:656
	v_fma_f64 v[193:194], v[4:5], v[10:11], v[197:198]
	v_add_f64_e32 v[179:180], v[179:180], v[195:196]
	v_add_f64_e32 v[189:190], v[191:192], v[189:190]
	v_fma_f64 v[195:196], v[2:3], v[10:11], -v[12:13]
	ds_load_b128 v[2:5], v1 offset:1552
	s_wait_loadcnt_dscnt 0x801
	v_mul_f64_e32 v[191:192], v[185:186], v[16:17]
	v_mul_f64_e32 v[16:17], v[187:188], v[16:17]
	scratch_load_b128 v[10:13], off, off offset:672
	v_add_f64_e32 v[197:198], v[179:180], v[181:182]
	v_add_f64_e32 v[183:184], v[189:190], v[183:184]
	s_wait_loadcnt_dscnt 0x800
	v_mul_f64_e32 v[189:190], v[2:3], v[20:21]
	v_mul_f64_e32 v[20:21], v[4:5], v[20:21]
	v_fma_f64 v[187:188], v[187:188], v[14:15], v[191:192]
	v_fma_f64 v[185:186], v[185:186], v[14:15], -v[16:17]
	ds_load_b128 v[179:182], v1 offset:1568
	scratch_load_b128 v[14:17], off, off offset:688
	v_add_f64_e32 v[191:192], v[197:198], v[195:196]
	v_add_f64_e32 v[183:184], v[183:184], v[193:194]
	v_fma_f64 v[189:190], v[4:5], v[18:19], v[189:190]
	v_fma_f64 v[195:196], v[2:3], v[18:19], -v[20:21]
	ds_load_b128 v[2:5], v1 offset:1584
	s_wait_loadcnt_dscnt 0x801
	v_mul_f64_e32 v[193:194], v[179:180], v[24:25]
	v_mul_f64_e32 v[24:25], v[181:182], v[24:25]
	scratch_load_b128 v[18:21], off, off offset:704
	s_wait_loadcnt_dscnt 0x800
	v_mul_f64_e32 v[197:198], v[2:3], v[28:29]
	v_mul_f64_e32 v[28:29], v[4:5], v[28:29]
	v_add_f64_e32 v[191:192], v[191:192], v[185:186]
	v_add_f64_e32 v[187:188], v[183:184], v[187:188]
	ds_load_b128 v[183:186], v1 offset:1600
	v_fma_f64 v[181:182], v[181:182], v[22:23], v[193:194]
	v_fma_f64 v[179:180], v[179:180], v[22:23], -v[24:25]
	scratch_load_b128 v[22:25], off, off offset:720
	v_fma_f64 v[193:194], v[4:5], v[26:27], v[197:198]
	v_add_f64_e32 v[191:192], v[191:192], v[195:196]
	v_add_f64_e32 v[187:188], v[187:188], v[189:190]
	v_fma_f64 v[195:196], v[2:3], v[26:27], -v[28:29]
	ds_load_b128 v[2:5], v1 offset:1616
	s_wait_loadcnt_dscnt 0x801
	v_mul_f64_e32 v[189:190], v[183:184], v[32:33]
	v_mul_f64_e32 v[32:33], v[185:186], v[32:33]
	scratch_load_b128 v[26:29], off, off offset:736
	s_wait_loadcnt_dscnt 0x800
	v_mul_f64_e32 v[197:198], v[2:3], v[36:37]
	v_mul_f64_e32 v[36:37], v[4:5], v[36:37]
	v_add_f64_e32 v[191:192], v[191:192], v[179:180]
	v_add_f64_e32 v[187:188], v[187:188], v[181:182]
	ds_load_b128 v[179:182], v1 offset:1632
	v_fma_f64 v[185:186], v[185:186], v[30:31], v[189:190]
	v_fma_f64 v[183:184], v[183:184], v[30:31], -v[32:33]
	scratch_load_b128 v[30:33], off, off offset:752
	v_add_f64_e32 v[189:190], v[191:192], v[195:196]
	v_add_f64_e32 v[187:188], v[187:188], v[193:194]
	v_fma_f64 v[193:194], v[4:5], v[34:35], v[197:198]
	v_fma_f64 v[195:196], v[2:3], v[34:35], -v[36:37]
	ds_load_b128 v[2:5], v1 offset:1648
	s_wait_loadcnt_dscnt 0x801
	v_mul_f64_e32 v[191:192], v[179:180], v[177:178]
	v_mul_f64_e32 v[177:178], v[181:182], v[177:178]
	scratch_load_b128 v[34:37], off, off offset:768
	s_wait_loadcnt_dscnt 0x800
	v_mul_f64_e32 v[197:198], v[2:3], v[40:41]
	v_mul_f64_e32 v[40:41], v[4:5], v[40:41]
	v_add_f64_e32 v[189:190], v[189:190], v[183:184]
	v_add_f64_e32 v[187:188], v[187:188], v[185:186]
	ds_load_b128 v[183:186], v1 offset:1664
	v_fma_f64 v[181:182], v[181:182], v[175:176], v[191:192]
	v_fma_f64 v[179:180], v[179:180], v[175:176], -v[177:178]
	scratch_load_b128 v[175:178], off, off offset:784
	v_add_f64_e32 v[189:190], v[189:190], v[195:196]
	v_add_f64_e32 v[187:188], v[187:188], v[193:194]
	v_fma_f64 v[193:194], v[4:5], v[38:39], v[197:198]
	;; [unrolled: 18-line block ×6, first 2 shown]
	v_fma_f64 v[197:198], v[2:3], v[34:35], -v[36:37]
	ds_load_b128 v[2:5], v1 offset:1808
	s_wait_loadcnt_dscnt 0x801
	v_mul_f64_e32 v[191:192], v[183:184], v[177:178]
	v_mul_f64_e32 v[193:194], v[185:186], v[177:178]
	scratch_load_b128 v[34:37], off, off offset:928
	v_add_f64_e32 v[189:190], v[189:190], v[179:180]
	v_add_f64_e32 v[181:182], v[187:188], v[181:182]
	s_wait_loadcnt_dscnt 0x800
	v_mul_f64_e32 v[187:188], v[2:3], v[40:41]
	v_mul_f64_e32 v[40:41], v[4:5], v[40:41]
	ds_load_b128 v[177:180], v1 offset:1824
	v_fma_f64 v[185:186], v[185:186], v[175:176], v[191:192]
	v_fma_f64 v[175:176], v[183:184], v[175:176], -v[193:194]
	v_add_f64_e32 v[189:190], v[189:190], v[197:198]
	v_add_f64_e32 v[191:192], v[181:182], v[195:196]
	scratch_load_b128 v[181:184], off, off offset:944
	v_fma_f64 v[195:196], v[4:5], v[38:39], v[187:188]
	v_fma_f64 v[197:198], v[2:3], v[38:39], -v[40:41]
	ds_load_b128 v[2:5], v1 offset:1840
	s_wait_loadcnt_dscnt 0x801
	v_mul_f64_e32 v[193:194], v[177:178], v[8:9]
	v_mul_f64_e32 v[8:9], v[179:180], v[8:9]
	scratch_load_b128 v[38:41], off, off offset:960
	v_add_f64_e32 v[175:176], v[189:190], v[175:176]
	v_add_f64_e32 v[189:190], v[191:192], v[185:186]
	s_wait_loadcnt_dscnt 0x800
	v_mul_f64_e32 v[191:192], v[2:3], v[12:13]
	v_mul_f64_e32 v[12:13], v[4:5], v[12:13]
	ds_load_b128 v[185:188], v1 offset:1856
	v_fma_f64 v[179:180], v[179:180], v[6:7], v[193:194]
	v_fma_f64 v[177:178], v[177:178], v[6:7], -v[8:9]
	scratch_load_b128 v[6:9], off, off offset:976
	v_add_f64_e32 v[175:176], v[175:176], v[197:198]
	v_add_f64_e32 v[189:190], v[189:190], v[195:196]
	v_fma_f64 v[191:192], v[4:5], v[10:11], v[191:192]
	v_fma_f64 v[195:196], v[2:3], v[10:11], -v[12:13]
	ds_load_b128 v[2:5], v1 offset:1872
	s_wait_loadcnt_dscnt 0x801
	v_mul_f64_e32 v[193:194], v[185:186], v[16:17]
	v_mul_f64_e32 v[16:17], v[187:188], v[16:17]
	scratch_load_b128 v[10:13], off, off offset:992
	v_add_f64_e32 v[197:198], v[175:176], v[177:178]
	v_add_f64_e32 v[179:180], v[189:190], v[179:180]
	s_wait_loadcnt_dscnt 0x800
	v_mul_f64_e32 v[189:190], v[2:3], v[20:21]
	v_mul_f64_e32 v[20:21], v[4:5], v[20:21]
	ds_load_b128 v[175:178], v1 offset:1888
	v_fma_f64 v[187:188], v[187:188], v[14:15], v[193:194]
	v_fma_f64 v[185:186], v[185:186], v[14:15], -v[16:17]
	scratch_load_b128 v[14:17], off, off offset:1008
	v_add_f64_e32 v[193:194], v[197:198], v[195:196]
	v_add_f64_e32 v[179:180], v[179:180], v[191:192]
	v_fma_f64 v[189:190], v[4:5], v[18:19], v[189:190]
	v_fma_f64 v[195:196], v[2:3], v[18:19], -v[20:21]
	ds_load_b128 v[2:5], v1 offset:1904
	s_wait_loadcnt_dscnt 0x801
	v_mul_f64_e32 v[191:192], v[175:176], v[24:25]
	v_mul_f64_e32 v[24:25], v[177:178], v[24:25]
	scratch_load_b128 v[18:21], off, off offset:1024
	s_wait_loadcnt_dscnt 0x800
	v_mul_f64_e32 v[197:198], v[2:3], v[28:29]
	v_mul_f64_e32 v[28:29], v[4:5], v[28:29]
	v_add_f64_e32 v[193:194], v[193:194], v[185:186]
	v_add_f64_e32 v[179:180], v[179:180], v[187:188]
	ds_load_b128 v[185:188], v1 offset:1920
	v_fma_f64 v[177:178], v[177:178], v[22:23], v[191:192]
	v_fma_f64 v[22:23], v[175:176], v[22:23], -v[24:25]
	v_add_f64_e32 v[24:25], v[193:194], v[195:196]
	v_add_f64_e32 v[175:176], v[179:180], v[189:190]
	s_wait_loadcnt_dscnt 0x700
	v_mul_f64_e32 v[179:180], v[185:186], v[32:33]
	v_mul_f64_e32 v[32:33], v[187:188], v[32:33]
	v_fma_f64 v[189:190], v[4:5], v[26:27], v[197:198]
	v_fma_f64 v[26:27], v[2:3], v[26:27], -v[28:29]
	v_add_f64_e32 v[28:29], v[24:25], v[22:23]
	v_add_f64_e32 v[175:176], v[175:176], v[177:178]
	ds_load_b128 v[2:5], v1 offset:1936
	ds_load_b128 v[22:25], v1 offset:1952
	v_fma_f64 v[179:180], v[187:188], v[30:31], v[179:180]
	v_fma_f64 v[30:31], v[185:186], v[30:31], -v[32:33]
	s_wait_loadcnt_dscnt 0x601
	v_mul_f64_e32 v[177:178], v[2:3], v[36:37]
	v_mul_f64_e32 v[36:37], v[4:5], v[36:37]
	v_add_f64_e32 v[26:27], v[28:29], v[26:27]
	v_add_f64_e32 v[28:29], v[175:176], v[189:190]
	s_wait_loadcnt_dscnt 0x500
	v_mul_f64_e32 v[32:33], v[22:23], v[183:184]
	v_mul_f64_e32 v[175:176], v[24:25], v[183:184]
	v_fma_f64 v[177:178], v[4:5], v[34:35], v[177:178]
	v_fma_f64 v[34:35], v[2:3], v[34:35], -v[36:37]
	v_add_f64_e32 v[30:31], v[26:27], v[30:31]
	v_add_f64_e32 v[36:37], v[28:29], v[179:180]
	ds_load_b128 v[2:5], v1 offset:1968
	ds_load_b128 v[26:29], v1 offset:1984
	v_fma_f64 v[24:25], v[24:25], v[181:182], v[32:33]
	v_fma_f64 v[22:23], v[22:23], v[181:182], -v[175:176]
	s_wait_loadcnt_dscnt 0x401
	v_mul_f64_e32 v[179:180], v[2:3], v[40:41]
	v_mul_f64_e32 v[40:41], v[4:5], v[40:41]
	;; [unrolled: 16-line block ×3, first 2 shown]
	v_add_f64_e32 v[8:9], v[30:31], v[38:39]
	v_add_f64_e32 v[26:27], v[32:33], v[36:37]
	s_wait_loadcnt_dscnt 0x100
	v_mul_f64_e32 v[30:31], v[22:23], v[16:17]
	v_mul_f64_e32 v[16:17], v[24:25], v[16:17]
	v_fma_f64 v[32:33], v[4:5], v[10:11], v[40:41]
	v_fma_f64 v[10:11], v[2:3], v[10:11], -v[12:13]
	ds_load_b128 v[2:5], v1 offset:2032
	v_add_f64_e32 v[6:7], v[8:9], v[6:7]
	v_add_f64_e32 v[8:9], v[26:27], v[28:29]
	v_fma_f64 v[24:25], v[24:25], v[14:15], v[30:31]
	v_fma_f64 v[14:15], v[22:23], v[14:15], -v[16:17]
	s_wait_loadcnt_dscnt 0x0
	v_mul_f64_e32 v[12:13], v[2:3], v[20:21]
	v_mul_f64_e32 v[20:21], v[4:5], v[20:21]
	v_add_f64_e32 v[6:7], v[6:7], v[10:11]
	v_add_f64_e32 v[8:9], v[8:9], v[32:33]
	s_delay_alu instid0(VALU_DEP_4) | instskip(NEXT) | instid1(VALU_DEP_4)
	v_fma_f64 v[4:5], v[4:5], v[18:19], v[12:13]
	v_fma_f64 v[2:3], v[2:3], v[18:19], -v[20:21]
	s_delay_alu instid0(VALU_DEP_4) | instskip(NEXT) | instid1(VALU_DEP_4)
	v_add_f64_e32 v[6:7], v[6:7], v[14:15]
	v_add_f64_e32 v[8:9], v[8:9], v[24:25]
	s_delay_alu instid0(VALU_DEP_2) | instskip(NEXT) | instid1(VALU_DEP_2)
	v_add_f64_e32 v[2:3], v[6:7], v[2:3]
	v_add_f64_e32 v[4:5], v[8:9], v[4:5]
	s_delay_alu instid0(VALU_DEP_2) | instskip(NEXT) | instid1(VALU_DEP_2)
	v_add_f64_e64 v[2:3], v[42:43], -v[2:3]
	v_add_f64_e64 v[4:5], v[44:45], -v[4:5]
	scratch_store_b128 off, v[2:5], off offset:304
	v_cmpx_lt_u32_e32 17, v0
	s_cbranch_execz .LBB63_375
; %bb.374:
	scratch_load_b128 v[5:8], off, s62
	v_dual_mov_b32 v2, v1 :: v_dual_mov_b32 v3, v1
	v_mov_b32_e32 v4, v1
	scratch_store_b128 off, v[1:4], off offset:288
	s_wait_loadcnt 0x0
	ds_store_b128 v174, v[5:8]
.LBB63_375:
	s_wait_alu 0xfffe
	s_or_b32 exec_lo, exec_lo, s0
	s_wait_storecnt_dscnt 0x0
	s_barrier_signal -1
	s_barrier_wait -1
	global_inv scope:SCOPE_SE
	s_clause 0x8
	scratch_load_b128 v[2:5], off, off offset:304
	scratch_load_b128 v[6:9], off, off offset:320
	;; [unrolled: 1-line block ×9, first 2 shown]
	ds_load_b128 v[42:45], v1 offset:1312
	ds_load_b128 v[38:41], v1 offset:1328
	s_clause 0x1
	scratch_load_b128 v[175:178], off, off offset:288
	scratch_load_b128 v[179:182], off, off offset:448
	s_mov_b32 s0, exec_lo
	s_wait_loadcnt_dscnt 0xa01
	v_mul_f64_e32 v[183:184], v[44:45], v[4:5]
	v_mul_f64_e32 v[4:5], v[42:43], v[4:5]
	s_wait_loadcnt_dscnt 0x900
	v_mul_f64_e32 v[187:188], v[38:39], v[8:9]
	v_mul_f64_e32 v[8:9], v[40:41], v[8:9]
	s_delay_alu instid0(VALU_DEP_4) | instskip(NEXT) | instid1(VALU_DEP_4)
	v_fma_f64 v[189:190], v[42:43], v[2:3], -v[183:184]
	v_fma_f64 v[191:192], v[44:45], v[2:3], v[4:5]
	ds_load_b128 v[2:5], v1 offset:1344
	ds_load_b128 v[183:186], v1 offset:1360
	scratch_load_b128 v[42:45], off, off offset:464
	v_fma_f64 v[40:41], v[40:41], v[6:7], v[187:188]
	v_fma_f64 v[38:39], v[38:39], v[6:7], -v[8:9]
	scratch_load_b128 v[6:9], off, off offset:480
	s_wait_loadcnt_dscnt 0xa01
	v_mul_f64_e32 v[193:194], v[2:3], v[12:13]
	v_mul_f64_e32 v[12:13], v[4:5], v[12:13]
	v_add_f64_e32 v[187:188], 0, v[189:190]
	v_add_f64_e32 v[189:190], 0, v[191:192]
	s_wait_loadcnt_dscnt 0x900
	v_mul_f64_e32 v[191:192], v[183:184], v[16:17]
	v_mul_f64_e32 v[16:17], v[185:186], v[16:17]
	v_fma_f64 v[193:194], v[4:5], v[10:11], v[193:194]
	v_fma_f64 v[195:196], v[2:3], v[10:11], -v[12:13]
	ds_load_b128 v[2:5], v1 offset:1376
	scratch_load_b128 v[10:13], off, off offset:496
	v_add_f64_e32 v[187:188], v[187:188], v[38:39]
	v_add_f64_e32 v[189:190], v[189:190], v[40:41]
	ds_load_b128 v[38:41], v1 offset:1392
	v_fma_f64 v[185:186], v[185:186], v[14:15], v[191:192]
	v_fma_f64 v[183:184], v[183:184], v[14:15], -v[16:17]
	scratch_load_b128 v[14:17], off, off offset:512
	s_wait_loadcnt_dscnt 0xa01
	v_mul_f64_e32 v[197:198], v[2:3], v[20:21]
	v_mul_f64_e32 v[20:21], v[4:5], v[20:21]
	s_wait_loadcnt_dscnt 0x900
	v_mul_f64_e32 v[191:192], v[38:39], v[24:25]
	v_mul_f64_e32 v[24:25], v[40:41], v[24:25]
	v_add_f64_e32 v[187:188], v[187:188], v[195:196]
	v_add_f64_e32 v[189:190], v[189:190], v[193:194]
	v_fma_f64 v[193:194], v[4:5], v[18:19], v[197:198]
	v_fma_f64 v[195:196], v[2:3], v[18:19], -v[20:21]
	ds_load_b128 v[2:5], v1 offset:1408
	scratch_load_b128 v[18:21], off, off offset:528
	v_fma_f64 v[40:41], v[40:41], v[22:23], v[191:192]
	v_fma_f64 v[38:39], v[38:39], v[22:23], -v[24:25]
	scratch_load_b128 v[22:25], off, off offset:544
	v_add_f64_e32 v[187:188], v[187:188], v[183:184]
	v_add_f64_e32 v[189:190], v[189:190], v[185:186]
	ds_load_b128 v[183:186], v1 offset:1424
	s_wait_loadcnt_dscnt 0xa01
	v_mul_f64_e32 v[197:198], v[2:3], v[28:29]
	v_mul_f64_e32 v[28:29], v[4:5], v[28:29]
	s_wait_loadcnt_dscnt 0x900
	v_mul_f64_e32 v[191:192], v[183:184], v[32:33]
	v_mul_f64_e32 v[32:33], v[185:186], v[32:33]
	v_add_f64_e32 v[187:188], v[187:188], v[195:196]
	v_add_f64_e32 v[189:190], v[189:190], v[193:194]
	v_fma_f64 v[193:194], v[4:5], v[26:27], v[197:198]
	v_fma_f64 v[195:196], v[2:3], v[26:27], -v[28:29]
	ds_load_b128 v[2:5], v1 offset:1440
	scratch_load_b128 v[26:29], off, off offset:560
	v_fma_f64 v[185:186], v[185:186], v[30:31], v[191:192]
	v_fma_f64 v[183:184], v[183:184], v[30:31], -v[32:33]
	scratch_load_b128 v[30:33], off, off offset:576
	v_add_f64_e32 v[187:188], v[187:188], v[38:39]
	v_add_f64_e32 v[189:190], v[189:190], v[40:41]
	ds_load_b128 v[38:41], v1 offset:1456
	s_wait_loadcnt_dscnt 0xa01
	v_mul_f64_e32 v[197:198], v[2:3], v[36:37]
	v_mul_f64_e32 v[36:37], v[4:5], v[36:37]
	s_wait_loadcnt_dscnt 0x800
	v_mul_f64_e32 v[191:192], v[38:39], v[181:182]
	v_add_f64_e32 v[187:188], v[187:188], v[195:196]
	v_add_f64_e32 v[189:190], v[189:190], v[193:194]
	v_mul_f64_e32 v[193:194], v[40:41], v[181:182]
	v_fma_f64 v[195:196], v[4:5], v[34:35], v[197:198]
	v_fma_f64 v[197:198], v[2:3], v[34:35], -v[36:37]
	ds_load_b128 v[2:5], v1 offset:1472
	scratch_load_b128 v[34:37], off, off offset:592
	v_fma_f64 v[191:192], v[40:41], v[179:180], v[191:192]
	v_add_f64_e32 v[187:188], v[187:188], v[183:184]
	v_add_f64_e32 v[185:186], v[189:190], v[185:186]
	ds_load_b128 v[181:184], v1 offset:1488
	v_fma_f64 v[179:180], v[38:39], v[179:180], -v[193:194]
	scratch_load_b128 v[38:41], off, off offset:608
	s_wait_loadcnt_dscnt 0x901
	v_mul_f64_e32 v[189:190], v[2:3], v[44:45]
	v_mul_f64_e32 v[44:45], v[4:5], v[44:45]
	s_wait_loadcnt_dscnt 0x800
	v_mul_f64_e32 v[193:194], v[181:182], v[8:9]
	v_mul_f64_e32 v[8:9], v[183:184], v[8:9]
	v_add_f64_e32 v[187:188], v[187:188], v[197:198]
	v_add_f64_e32 v[185:186], v[185:186], v[195:196]
	v_fma_f64 v[189:190], v[4:5], v[42:43], v[189:190]
	v_fma_f64 v[195:196], v[2:3], v[42:43], -v[44:45]
	ds_load_b128 v[2:5], v1 offset:1504
	scratch_load_b128 v[42:45], off, off offset:624
	v_fma_f64 v[183:184], v[183:184], v[6:7], v[193:194]
	v_fma_f64 v[181:182], v[181:182], v[6:7], -v[8:9]
	scratch_load_b128 v[6:9], off, off offset:640
	v_add_f64_e32 v[179:180], v[187:188], v[179:180]
	v_add_f64_e32 v[191:192], v[185:186], v[191:192]
	ds_load_b128 v[185:188], v1 offset:1520
	s_wait_loadcnt_dscnt 0x901
	v_mul_f64_e32 v[197:198], v[2:3], v[12:13]
	v_mul_f64_e32 v[12:13], v[4:5], v[12:13]
	v_add_f64_e32 v[179:180], v[179:180], v[195:196]
	v_add_f64_e32 v[189:190], v[191:192], v[189:190]
	s_wait_loadcnt_dscnt 0x800
	v_mul_f64_e32 v[191:192], v[185:186], v[16:17]
	v_mul_f64_e32 v[16:17], v[187:188], v[16:17]
	v_fma_f64 v[193:194], v[4:5], v[10:11], v[197:198]
	v_fma_f64 v[195:196], v[2:3], v[10:11], -v[12:13]
	ds_load_b128 v[2:5], v1 offset:1536
	scratch_load_b128 v[10:13], off, off offset:656
	v_add_f64_e32 v[197:198], v[179:180], v[181:182]
	v_add_f64_e32 v[183:184], v[189:190], v[183:184]
	ds_load_b128 v[179:182], v1 offset:1552
	s_wait_loadcnt_dscnt 0x801
	v_mul_f64_e32 v[189:190], v[2:3], v[20:21]
	v_mul_f64_e32 v[20:21], v[4:5], v[20:21]
	v_fma_f64 v[187:188], v[187:188], v[14:15], v[191:192]
	v_fma_f64 v[185:186], v[185:186], v[14:15], -v[16:17]
	scratch_load_b128 v[14:17], off, off offset:672
	v_add_f64_e32 v[191:192], v[197:198], v[195:196]
	v_add_f64_e32 v[183:184], v[183:184], v[193:194]
	s_wait_loadcnt_dscnt 0x800
	v_mul_f64_e32 v[193:194], v[179:180], v[24:25]
	v_mul_f64_e32 v[24:25], v[181:182], v[24:25]
	v_fma_f64 v[189:190], v[4:5], v[18:19], v[189:190]
	v_fma_f64 v[195:196], v[2:3], v[18:19], -v[20:21]
	ds_load_b128 v[2:5], v1 offset:1568
	scratch_load_b128 v[18:21], off, off offset:688
	v_add_f64_e32 v[191:192], v[191:192], v[185:186]
	v_add_f64_e32 v[187:188], v[183:184], v[187:188]
	ds_load_b128 v[183:186], v1 offset:1584
	s_wait_loadcnt_dscnt 0x801
	v_mul_f64_e32 v[197:198], v[2:3], v[28:29]
	v_mul_f64_e32 v[28:29], v[4:5], v[28:29]
	v_fma_f64 v[181:182], v[181:182], v[22:23], v[193:194]
	v_fma_f64 v[179:180], v[179:180], v[22:23], -v[24:25]
	scratch_load_b128 v[22:25], off, off offset:704
	;; [unrolled: 18-line block ×4, first 2 shown]
	s_wait_loadcnt_dscnt 0x800
	v_mul_f64_e32 v[191:192], v[183:184], v[8:9]
	v_mul_f64_e32 v[8:9], v[185:186], v[8:9]
	v_add_f64_e32 v[189:190], v[189:190], v[195:196]
	v_add_f64_e32 v[187:188], v[187:188], v[193:194]
	v_fma_f64 v[193:194], v[4:5], v[42:43], v[197:198]
	v_fma_f64 v[195:196], v[2:3], v[42:43], -v[44:45]
	ds_load_b128 v[2:5], v1 offset:1664
	scratch_load_b128 v[42:45], off, off offset:784
	v_fma_f64 v[185:186], v[185:186], v[6:7], v[191:192]
	v_fma_f64 v[183:184], v[183:184], v[6:7], -v[8:9]
	scratch_load_b128 v[6:9], off, off offset:800
	v_add_f64_e32 v[189:190], v[189:190], v[179:180]
	v_add_f64_e32 v[187:188], v[187:188], v[181:182]
	ds_load_b128 v[179:182], v1 offset:1680
	s_wait_loadcnt_dscnt 0x901
	v_mul_f64_e32 v[197:198], v[2:3], v[12:13]
	v_mul_f64_e32 v[12:13], v[4:5], v[12:13]
	s_wait_loadcnt_dscnt 0x800
	v_mul_f64_e32 v[191:192], v[179:180], v[16:17]
	v_mul_f64_e32 v[16:17], v[181:182], v[16:17]
	v_add_f64_e32 v[189:190], v[189:190], v[195:196]
	v_add_f64_e32 v[187:188], v[187:188], v[193:194]
	v_fma_f64 v[193:194], v[4:5], v[10:11], v[197:198]
	v_fma_f64 v[195:196], v[2:3], v[10:11], -v[12:13]
	ds_load_b128 v[2:5], v1 offset:1696
	scratch_load_b128 v[10:13], off, off offset:816
	v_fma_f64 v[181:182], v[181:182], v[14:15], v[191:192]
	v_fma_f64 v[179:180], v[179:180], v[14:15], -v[16:17]
	scratch_load_b128 v[14:17], off, off offset:832
	v_add_f64_e32 v[189:190], v[189:190], v[183:184]
	v_add_f64_e32 v[187:188], v[187:188], v[185:186]
	ds_load_b128 v[183:186], v1 offset:1712
	s_wait_loadcnt_dscnt 0x901
	v_mul_f64_e32 v[197:198], v[2:3], v[20:21]
	v_mul_f64_e32 v[20:21], v[4:5], v[20:21]
	;; [unrolled: 18-line block ×8, first 2 shown]
	s_wait_loadcnt_dscnt 0x800
	v_mul_f64_e32 v[191:192], v[183:184], v[32:33]
	v_mul_f64_e32 v[32:33], v[185:186], v[32:33]
	v_add_f64_e32 v[189:190], v[189:190], v[195:196]
	v_add_f64_e32 v[187:188], v[187:188], v[193:194]
	v_fma_f64 v[193:194], v[4:5], v[26:27], v[197:198]
	v_fma_f64 v[195:196], v[2:3], v[26:27], -v[28:29]
	ds_load_b128 v[2:5], v1 offset:1920
	ds_load_b128 v[26:29], v1 offset:1936
	v_fma_f64 v[185:186], v[185:186], v[30:31], v[191:192]
	v_fma_f64 v[30:31], v[183:184], v[30:31], -v[32:33]
	v_add_f64_e32 v[179:180], v[189:190], v[179:180]
	v_add_f64_e32 v[181:182], v[187:188], v[181:182]
	s_wait_loadcnt_dscnt 0x701
	v_mul_f64_e32 v[187:188], v[2:3], v[36:37]
	v_mul_f64_e32 v[36:37], v[4:5], v[36:37]
	s_delay_alu instid0(VALU_DEP_4) | instskip(NEXT) | instid1(VALU_DEP_4)
	v_add_f64_e32 v[32:33], v[179:180], v[195:196]
	v_add_f64_e32 v[179:180], v[181:182], v[193:194]
	s_wait_loadcnt_dscnt 0x600
	v_mul_f64_e32 v[181:182], v[26:27], v[40:41]
	v_mul_f64_e32 v[40:41], v[28:29], v[40:41]
	v_fma_f64 v[183:184], v[4:5], v[34:35], v[187:188]
	v_fma_f64 v[34:35], v[2:3], v[34:35], -v[36:37]
	v_add_f64_e32 v[36:37], v[32:33], v[30:31]
	v_add_f64_e32 v[179:180], v[179:180], v[185:186]
	ds_load_b128 v[2:5], v1 offset:1952
	ds_load_b128 v[30:33], v1 offset:1968
	v_fma_f64 v[28:29], v[28:29], v[38:39], v[181:182]
	v_fma_f64 v[26:27], v[26:27], v[38:39], -v[40:41]
	s_wait_loadcnt_dscnt 0x501
	v_mul_f64_e32 v[185:186], v[2:3], v[44:45]
	v_mul_f64_e32 v[44:45], v[4:5], v[44:45]
	s_wait_loadcnt_dscnt 0x400
	v_mul_f64_e32 v[38:39], v[30:31], v[8:9]
	v_mul_f64_e32 v[8:9], v[32:33], v[8:9]
	v_add_f64_e32 v[34:35], v[36:37], v[34:35]
	v_add_f64_e32 v[36:37], v[179:180], v[183:184]
	v_fma_f64 v[40:41], v[4:5], v[42:43], v[185:186]
	v_fma_f64 v[42:43], v[2:3], v[42:43], -v[44:45]
	v_fma_f64 v[32:33], v[32:33], v[6:7], v[38:39]
	v_fma_f64 v[6:7], v[30:31], v[6:7], -v[8:9]
	v_add_f64_e32 v[34:35], v[34:35], v[26:27]
	v_add_f64_e32 v[36:37], v[36:37], v[28:29]
	ds_load_b128 v[2:5], v1 offset:1984
	ds_load_b128 v[26:29], v1 offset:2000
	s_wait_loadcnt_dscnt 0x301
	v_mul_f64_e32 v[44:45], v[2:3], v[12:13]
	v_mul_f64_e32 v[12:13], v[4:5], v[12:13]
	v_add_f64_e32 v[8:9], v[34:35], v[42:43]
	v_add_f64_e32 v[30:31], v[36:37], v[40:41]
	s_wait_loadcnt_dscnt 0x200
	v_mul_f64_e32 v[34:35], v[26:27], v[16:17]
	v_mul_f64_e32 v[16:17], v[28:29], v[16:17]
	v_fma_f64 v[36:37], v[4:5], v[10:11], v[44:45]
	v_fma_f64 v[10:11], v[2:3], v[10:11], -v[12:13]
	v_add_f64_e32 v[12:13], v[8:9], v[6:7]
	v_add_f64_e32 v[30:31], v[30:31], v[32:33]
	ds_load_b128 v[2:5], v1 offset:2016
	ds_load_b128 v[6:9], v1 offset:2032
	v_fma_f64 v[28:29], v[28:29], v[14:15], v[34:35]
	v_fma_f64 v[14:15], v[26:27], v[14:15], -v[16:17]
	s_wait_loadcnt_dscnt 0x101
	v_mul_f64_e32 v[32:33], v[2:3], v[20:21]
	v_mul_f64_e32 v[20:21], v[4:5], v[20:21]
	s_wait_loadcnt_dscnt 0x0
	v_mul_f64_e32 v[16:17], v[6:7], v[24:25]
	v_mul_f64_e32 v[24:25], v[8:9], v[24:25]
	v_add_f64_e32 v[10:11], v[12:13], v[10:11]
	v_add_f64_e32 v[12:13], v[30:31], v[36:37]
	v_fma_f64 v[4:5], v[4:5], v[18:19], v[32:33]
	v_fma_f64 v[1:2], v[2:3], v[18:19], -v[20:21]
	v_fma_f64 v[8:9], v[8:9], v[22:23], v[16:17]
	v_fma_f64 v[6:7], v[6:7], v[22:23], -v[24:25]
	v_add_f64_e32 v[10:11], v[10:11], v[14:15]
	v_add_f64_e32 v[12:13], v[12:13], v[28:29]
	s_delay_alu instid0(VALU_DEP_2) | instskip(NEXT) | instid1(VALU_DEP_2)
	v_add_f64_e32 v[1:2], v[10:11], v[1:2]
	v_add_f64_e32 v[3:4], v[12:13], v[4:5]
	s_delay_alu instid0(VALU_DEP_2) | instskip(NEXT) | instid1(VALU_DEP_2)
	;; [unrolled: 3-line block ×3, first 2 shown]
	v_add_f64_e64 v[1:2], v[175:176], -v[1:2]
	v_add_f64_e64 v[3:4], v[177:178], -v[3:4]
	scratch_store_b128 off, v[1:4], off offset:288
	v_cmpx_lt_u32_e32 16, v0
	s_cbranch_execz .LBB63_377
; %bb.376:
	scratch_load_b128 v[1:4], off, s63
	v_mov_b32_e32 v5, 0
	s_delay_alu instid0(VALU_DEP_1)
	v_dual_mov_b32 v6, v5 :: v_dual_mov_b32 v7, v5
	v_mov_b32_e32 v8, v5
	scratch_store_b128 off, v[5:8], off offset:272
	s_wait_loadcnt 0x0
	ds_store_b128 v174, v[1:4]
.LBB63_377:
	s_wait_alu 0xfffe
	s_or_b32 exec_lo, exec_lo, s0
	s_wait_storecnt_dscnt 0x0
	s_barrier_signal -1
	s_barrier_wait -1
	global_inv scope:SCOPE_SE
	s_clause 0x7
	scratch_load_b128 v[2:5], off, off offset:288
	scratch_load_b128 v[6:9], off, off offset:304
	;; [unrolled: 1-line block ×8, first 2 shown]
	v_mov_b32_e32 v1, 0
	s_mov_b32 s0, exec_lo
	ds_load_b128 v[38:41], v1 offset:1296
	s_clause 0x1
	scratch_load_b128 v[34:37], off, off offset:416
	scratch_load_b128 v[42:45], off, off offset:272
	ds_load_b128 v[175:178], v1 offset:1312
	scratch_load_b128 v[179:182], off, off offset:432
	s_wait_loadcnt_dscnt 0xa01
	v_mul_f64_e32 v[183:184], v[40:41], v[4:5]
	v_mul_f64_e32 v[4:5], v[38:39], v[4:5]
	s_delay_alu instid0(VALU_DEP_2) | instskip(NEXT) | instid1(VALU_DEP_2)
	v_fma_f64 v[189:190], v[38:39], v[2:3], -v[183:184]
	v_fma_f64 v[191:192], v[40:41], v[2:3], v[4:5]
	ds_load_b128 v[2:5], v1 offset:1328
	s_wait_loadcnt_dscnt 0x901
	v_mul_f64_e32 v[187:188], v[175:176], v[8:9]
	v_mul_f64_e32 v[8:9], v[177:178], v[8:9]
	scratch_load_b128 v[38:41], off, off offset:448
	ds_load_b128 v[183:186], v1 offset:1344
	s_wait_loadcnt_dscnt 0x901
	v_mul_f64_e32 v[193:194], v[2:3], v[12:13]
	v_mul_f64_e32 v[12:13], v[4:5], v[12:13]
	v_fma_f64 v[177:178], v[177:178], v[6:7], v[187:188]
	v_fma_f64 v[175:176], v[175:176], v[6:7], -v[8:9]
	v_add_f64_e32 v[187:188], 0, v[189:190]
	v_add_f64_e32 v[189:190], 0, v[191:192]
	scratch_load_b128 v[6:9], off, off offset:464
	v_fma_f64 v[193:194], v[4:5], v[10:11], v[193:194]
	v_fma_f64 v[195:196], v[2:3], v[10:11], -v[12:13]
	ds_load_b128 v[2:5], v1 offset:1360
	s_wait_loadcnt_dscnt 0x901
	v_mul_f64_e32 v[191:192], v[183:184], v[16:17]
	v_mul_f64_e32 v[16:17], v[185:186], v[16:17]
	scratch_load_b128 v[10:13], off, off offset:480
	v_add_f64_e32 v[187:188], v[187:188], v[175:176]
	v_add_f64_e32 v[189:190], v[189:190], v[177:178]
	s_wait_loadcnt_dscnt 0x900
	v_mul_f64_e32 v[197:198], v[2:3], v[20:21]
	v_mul_f64_e32 v[20:21], v[4:5], v[20:21]
	ds_load_b128 v[175:178], v1 offset:1376
	v_fma_f64 v[185:186], v[185:186], v[14:15], v[191:192]
	v_fma_f64 v[183:184], v[183:184], v[14:15], -v[16:17]
	scratch_load_b128 v[14:17], off, off offset:496
	v_add_f64_e32 v[187:188], v[187:188], v[195:196]
	v_add_f64_e32 v[189:190], v[189:190], v[193:194]
	v_fma_f64 v[193:194], v[4:5], v[18:19], v[197:198]
	v_fma_f64 v[195:196], v[2:3], v[18:19], -v[20:21]
	ds_load_b128 v[2:5], v1 offset:1392
	s_wait_loadcnt_dscnt 0x901
	v_mul_f64_e32 v[191:192], v[175:176], v[24:25]
	v_mul_f64_e32 v[24:25], v[177:178], v[24:25]
	scratch_load_b128 v[18:21], off, off offset:512
	s_wait_loadcnt_dscnt 0x900
	v_mul_f64_e32 v[197:198], v[2:3], v[28:29]
	v_mul_f64_e32 v[28:29], v[4:5], v[28:29]
	v_add_f64_e32 v[187:188], v[187:188], v[183:184]
	v_add_f64_e32 v[189:190], v[189:190], v[185:186]
	ds_load_b128 v[183:186], v1 offset:1408
	v_fma_f64 v[177:178], v[177:178], v[22:23], v[191:192]
	v_fma_f64 v[175:176], v[175:176], v[22:23], -v[24:25]
	scratch_load_b128 v[22:25], off, off offset:528
	v_add_f64_e32 v[187:188], v[187:188], v[195:196]
	v_add_f64_e32 v[189:190], v[189:190], v[193:194]
	v_fma_f64 v[193:194], v[4:5], v[26:27], v[197:198]
	v_fma_f64 v[195:196], v[2:3], v[26:27], -v[28:29]
	ds_load_b128 v[2:5], v1 offset:1424
	s_wait_loadcnt_dscnt 0x901
	v_mul_f64_e32 v[191:192], v[183:184], v[32:33]
	v_mul_f64_e32 v[32:33], v[185:186], v[32:33]
	scratch_load_b128 v[26:29], off, off offset:544
	s_wait_loadcnt_dscnt 0x900
	v_mul_f64_e32 v[197:198], v[2:3], v[36:37]
	v_mul_f64_e32 v[36:37], v[4:5], v[36:37]
	v_add_f64_e32 v[187:188], v[187:188], v[175:176]
	v_add_f64_e32 v[189:190], v[189:190], v[177:178]
	ds_load_b128 v[175:178], v1 offset:1440
	v_fma_f64 v[185:186], v[185:186], v[30:31], v[191:192]
	v_fma_f64 v[183:184], v[183:184], v[30:31], -v[32:33]
	scratch_load_b128 v[30:33], off, off offset:560
	v_add_f64_e32 v[187:188], v[187:188], v[195:196]
	v_add_f64_e32 v[189:190], v[189:190], v[193:194]
	v_fma_f64 v[195:196], v[4:5], v[34:35], v[197:198]
	v_fma_f64 v[197:198], v[2:3], v[34:35], -v[36:37]
	ds_load_b128 v[2:5], v1 offset:1456
	s_wait_loadcnt_dscnt 0x801
	v_mul_f64_e32 v[191:192], v[175:176], v[181:182]
	v_mul_f64_e32 v[193:194], v[177:178], v[181:182]
	scratch_load_b128 v[34:37], off, off offset:576
	v_add_f64_e32 v[187:188], v[187:188], v[183:184]
	v_add_f64_e32 v[185:186], v[189:190], v[185:186]
	ds_load_b128 v[181:184], v1 offset:1472
	v_fma_f64 v[191:192], v[177:178], v[179:180], v[191:192]
	v_fma_f64 v[179:180], v[175:176], v[179:180], -v[193:194]
	scratch_load_b128 v[175:178], off, off offset:592
	s_wait_loadcnt_dscnt 0x901
	v_mul_f64_e32 v[189:190], v[2:3], v[40:41]
	v_mul_f64_e32 v[40:41], v[4:5], v[40:41]
	v_add_f64_e32 v[187:188], v[187:188], v[197:198]
	v_add_f64_e32 v[185:186], v[185:186], v[195:196]
	s_delay_alu instid0(VALU_DEP_4) | instskip(NEXT) | instid1(VALU_DEP_4)
	v_fma_f64 v[189:190], v[4:5], v[38:39], v[189:190]
	v_fma_f64 v[195:196], v[2:3], v[38:39], -v[40:41]
	ds_load_b128 v[2:5], v1 offset:1488
	s_wait_loadcnt_dscnt 0x801
	v_mul_f64_e32 v[193:194], v[181:182], v[8:9]
	v_mul_f64_e32 v[8:9], v[183:184], v[8:9]
	scratch_load_b128 v[38:41], off, off offset:608
	s_wait_loadcnt_dscnt 0x800
	v_mul_f64_e32 v[197:198], v[2:3], v[12:13]
	v_add_f64_e32 v[179:180], v[187:188], v[179:180]
	v_add_f64_e32 v[191:192], v[185:186], v[191:192]
	v_mul_f64_e32 v[12:13], v[4:5], v[12:13]
	ds_load_b128 v[185:188], v1 offset:1504
	v_fma_f64 v[183:184], v[183:184], v[6:7], v[193:194]
	v_fma_f64 v[181:182], v[181:182], v[6:7], -v[8:9]
	scratch_load_b128 v[6:9], off, off offset:624
	v_fma_f64 v[193:194], v[4:5], v[10:11], v[197:198]
	v_add_f64_e32 v[179:180], v[179:180], v[195:196]
	v_add_f64_e32 v[189:190], v[191:192], v[189:190]
	v_fma_f64 v[195:196], v[2:3], v[10:11], -v[12:13]
	ds_load_b128 v[2:5], v1 offset:1520
	s_wait_loadcnt_dscnt 0x801
	v_mul_f64_e32 v[191:192], v[185:186], v[16:17]
	v_mul_f64_e32 v[16:17], v[187:188], v[16:17]
	scratch_load_b128 v[10:13], off, off offset:640
	v_add_f64_e32 v[197:198], v[179:180], v[181:182]
	v_add_f64_e32 v[183:184], v[189:190], v[183:184]
	s_wait_loadcnt_dscnt 0x800
	v_mul_f64_e32 v[189:190], v[2:3], v[20:21]
	v_mul_f64_e32 v[20:21], v[4:5], v[20:21]
	v_fma_f64 v[187:188], v[187:188], v[14:15], v[191:192]
	v_fma_f64 v[185:186], v[185:186], v[14:15], -v[16:17]
	ds_load_b128 v[179:182], v1 offset:1536
	scratch_load_b128 v[14:17], off, off offset:656
	v_add_f64_e32 v[191:192], v[197:198], v[195:196]
	v_add_f64_e32 v[183:184], v[183:184], v[193:194]
	v_fma_f64 v[189:190], v[4:5], v[18:19], v[189:190]
	v_fma_f64 v[195:196], v[2:3], v[18:19], -v[20:21]
	ds_load_b128 v[2:5], v1 offset:1552
	s_wait_loadcnt_dscnt 0x801
	v_mul_f64_e32 v[193:194], v[179:180], v[24:25]
	v_mul_f64_e32 v[24:25], v[181:182], v[24:25]
	scratch_load_b128 v[18:21], off, off offset:672
	s_wait_loadcnt_dscnt 0x800
	v_mul_f64_e32 v[197:198], v[2:3], v[28:29]
	v_mul_f64_e32 v[28:29], v[4:5], v[28:29]
	v_add_f64_e32 v[191:192], v[191:192], v[185:186]
	v_add_f64_e32 v[187:188], v[183:184], v[187:188]
	ds_load_b128 v[183:186], v1 offset:1568
	v_fma_f64 v[181:182], v[181:182], v[22:23], v[193:194]
	v_fma_f64 v[179:180], v[179:180], v[22:23], -v[24:25]
	scratch_load_b128 v[22:25], off, off offset:688
	v_fma_f64 v[193:194], v[4:5], v[26:27], v[197:198]
	v_add_f64_e32 v[191:192], v[191:192], v[195:196]
	v_add_f64_e32 v[187:188], v[187:188], v[189:190]
	v_fma_f64 v[195:196], v[2:3], v[26:27], -v[28:29]
	ds_load_b128 v[2:5], v1 offset:1584
	s_wait_loadcnt_dscnt 0x801
	v_mul_f64_e32 v[189:190], v[183:184], v[32:33]
	v_mul_f64_e32 v[32:33], v[185:186], v[32:33]
	scratch_load_b128 v[26:29], off, off offset:704
	s_wait_loadcnt_dscnt 0x800
	v_mul_f64_e32 v[197:198], v[2:3], v[36:37]
	v_mul_f64_e32 v[36:37], v[4:5], v[36:37]
	v_add_f64_e32 v[191:192], v[191:192], v[179:180]
	v_add_f64_e32 v[187:188], v[187:188], v[181:182]
	ds_load_b128 v[179:182], v1 offset:1600
	v_fma_f64 v[185:186], v[185:186], v[30:31], v[189:190]
	v_fma_f64 v[183:184], v[183:184], v[30:31], -v[32:33]
	scratch_load_b128 v[30:33], off, off offset:720
	v_add_f64_e32 v[189:190], v[191:192], v[195:196]
	v_add_f64_e32 v[187:188], v[187:188], v[193:194]
	v_fma_f64 v[193:194], v[4:5], v[34:35], v[197:198]
	v_fma_f64 v[195:196], v[2:3], v[34:35], -v[36:37]
	ds_load_b128 v[2:5], v1 offset:1616
	s_wait_loadcnt_dscnt 0x801
	v_mul_f64_e32 v[191:192], v[179:180], v[177:178]
	v_mul_f64_e32 v[177:178], v[181:182], v[177:178]
	scratch_load_b128 v[34:37], off, off offset:736
	s_wait_loadcnt_dscnt 0x800
	v_mul_f64_e32 v[197:198], v[2:3], v[40:41]
	v_mul_f64_e32 v[40:41], v[4:5], v[40:41]
	v_add_f64_e32 v[189:190], v[189:190], v[183:184]
	v_add_f64_e32 v[187:188], v[187:188], v[185:186]
	ds_load_b128 v[183:186], v1 offset:1632
	v_fma_f64 v[181:182], v[181:182], v[175:176], v[191:192]
	v_fma_f64 v[179:180], v[179:180], v[175:176], -v[177:178]
	scratch_load_b128 v[175:178], off, off offset:752
	v_add_f64_e32 v[189:190], v[189:190], v[195:196]
	v_add_f64_e32 v[187:188], v[187:188], v[193:194]
	v_fma_f64 v[193:194], v[4:5], v[38:39], v[197:198]
	;; [unrolled: 18-line block ×6, first 2 shown]
	v_fma_f64 v[197:198], v[2:3], v[34:35], -v[36:37]
	ds_load_b128 v[2:5], v1 offset:1776
	s_wait_loadcnt_dscnt 0x801
	v_mul_f64_e32 v[191:192], v[183:184], v[177:178]
	v_mul_f64_e32 v[193:194], v[185:186], v[177:178]
	scratch_load_b128 v[34:37], off, off offset:896
	v_add_f64_e32 v[189:190], v[189:190], v[179:180]
	v_add_f64_e32 v[181:182], v[187:188], v[181:182]
	s_wait_loadcnt_dscnt 0x800
	v_mul_f64_e32 v[187:188], v[2:3], v[40:41]
	v_mul_f64_e32 v[40:41], v[4:5], v[40:41]
	ds_load_b128 v[177:180], v1 offset:1792
	v_fma_f64 v[185:186], v[185:186], v[175:176], v[191:192]
	v_fma_f64 v[175:176], v[183:184], v[175:176], -v[193:194]
	v_add_f64_e32 v[189:190], v[189:190], v[197:198]
	v_add_f64_e32 v[191:192], v[181:182], v[195:196]
	scratch_load_b128 v[181:184], off, off offset:912
	v_fma_f64 v[195:196], v[4:5], v[38:39], v[187:188]
	v_fma_f64 v[197:198], v[2:3], v[38:39], -v[40:41]
	ds_load_b128 v[2:5], v1 offset:1808
	s_wait_loadcnt_dscnt 0x801
	v_mul_f64_e32 v[193:194], v[177:178], v[8:9]
	v_mul_f64_e32 v[8:9], v[179:180], v[8:9]
	scratch_load_b128 v[38:41], off, off offset:928
	v_add_f64_e32 v[175:176], v[189:190], v[175:176]
	v_add_f64_e32 v[189:190], v[191:192], v[185:186]
	s_wait_loadcnt_dscnt 0x800
	v_mul_f64_e32 v[191:192], v[2:3], v[12:13]
	v_mul_f64_e32 v[12:13], v[4:5], v[12:13]
	ds_load_b128 v[185:188], v1 offset:1824
	v_fma_f64 v[179:180], v[179:180], v[6:7], v[193:194]
	v_fma_f64 v[177:178], v[177:178], v[6:7], -v[8:9]
	scratch_load_b128 v[6:9], off, off offset:944
	v_add_f64_e32 v[175:176], v[175:176], v[197:198]
	v_add_f64_e32 v[189:190], v[189:190], v[195:196]
	v_fma_f64 v[191:192], v[4:5], v[10:11], v[191:192]
	v_fma_f64 v[195:196], v[2:3], v[10:11], -v[12:13]
	ds_load_b128 v[2:5], v1 offset:1840
	s_wait_loadcnt_dscnt 0x801
	v_mul_f64_e32 v[193:194], v[185:186], v[16:17]
	v_mul_f64_e32 v[16:17], v[187:188], v[16:17]
	scratch_load_b128 v[10:13], off, off offset:960
	v_add_f64_e32 v[197:198], v[175:176], v[177:178]
	v_add_f64_e32 v[179:180], v[189:190], v[179:180]
	s_wait_loadcnt_dscnt 0x800
	v_mul_f64_e32 v[189:190], v[2:3], v[20:21]
	v_mul_f64_e32 v[20:21], v[4:5], v[20:21]
	ds_load_b128 v[175:178], v1 offset:1856
	v_fma_f64 v[187:188], v[187:188], v[14:15], v[193:194]
	v_fma_f64 v[185:186], v[185:186], v[14:15], -v[16:17]
	scratch_load_b128 v[14:17], off, off offset:976
	v_add_f64_e32 v[193:194], v[197:198], v[195:196]
	v_add_f64_e32 v[179:180], v[179:180], v[191:192]
	v_fma_f64 v[189:190], v[4:5], v[18:19], v[189:190]
	v_fma_f64 v[195:196], v[2:3], v[18:19], -v[20:21]
	ds_load_b128 v[2:5], v1 offset:1872
	s_wait_loadcnt_dscnt 0x801
	v_mul_f64_e32 v[191:192], v[175:176], v[24:25]
	v_mul_f64_e32 v[24:25], v[177:178], v[24:25]
	scratch_load_b128 v[18:21], off, off offset:992
	s_wait_loadcnt_dscnt 0x800
	v_mul_f64_e32 v[197:198], v[2:3], v[28:29]
	v_mul_f64_e32 v[28:29], v[4:5], v[28:29]
	v_add_f64_e32 v[193:194], v[193:194], v[185:186]
	v_add_f64_e32 v[179:180], v[179:180], v[187:188]
	ds_load_b128 v[185:188], v1 offset:1888
	v_fma_f64 v[177:178], v[177:178], v[22:23], v[191:192]
	v_fma_f64 v[175:176], v[175:176], v[22:23], -v[24:25]
	scratch_load_b128 v[22:25], off, off offset:1008
	v_add_f64_e32 v[191:192], v[193:194], v[195:196]
	v_add_f64_e32 v[179:180], v[179:180], v[189:190]
	v_fma_f64 v[193:194], v[4:5], v[26:27], v[197:198]
	v_fma_f64 v[195:196], v[2:3], v[26:27], -v[28:29]
	ds_load_b128 v[2:5], v1 offset:1904
	s_wait_loadcnt_dscnt 0x801
	v_mul_f64_e32 v[189:190], v[185:186], v[32:33]
	v_mul_f64_e32 v[32:33], v[187:188], v[32:33]
	scratch_load_b128 v[26:29], off, off offset:1024
	s_wait_loadcnt_dscnt 0x800
	v_mul_f64_e32 v[197:198], v[2:3], v[36:37]
	v_mul_f64_e32 v[36:37], v[4:5], v[36:37]
	v_add_f64_e32 v[191:192], v[191:192], v[175:176]
	v_add_f64_e32 v[179:180], v[179:180], v[177:178]
	ds_load_b128 v[175:178], v1 offset:1920
	v_fma_f64 v[187:188], v[187:188], v[30:31], v[189:190]
	v_fma_f64 v[30:31], v[185:186], v[30:31], -v[32:33]
	v_fma_f64 v[189:190], v[4:5], v[34:35], v[197:198]
	v_fma_f64 v[34:35], v[2:3], v[34:35], -v[36:37]
	v_add_f64_e32 v[32:33], v[191:192], v[195:196]
	v_add_f64_e32 v[179:180], v[179:180], v[193:194]
	s_wait_loadcnt_dscnt 0x700
	v_mul_f64_e32 v[185:186], v[175:176], v[183:184]
	v_mul_f64_e32 v[183:184], v[177:178], v[183:184]
	s_delay_alu instid0(VALU_DEP_4) | instskip(NEXT) | instid1(VALU_DEP_4)
	v_add_f64_e32 v[36:37], v[32:33], v[30:31]
	v_add_f64_e32 v[179:180], v[179:180], v[187:188]
	ds_load_b128 v[2:5], v1 offset:1936
	ds_load_b128 v[30:33], v1 offset:1952
	v_fma_f64 v[177:178], v[177:178], v[181:182], v[185:186]
	v_fma_f64 v[175:176], v[175:176], v[181:182], -v[183:184]
	s_wait_loadcnt_dscnt 0x601
	v_mul_f64_e32 v[187:188], v[2:3], v[40:41]
	v_mul_f64_e32 v[40:41], v[4:5], v[40:41]
	v_add_f64_e32 v[34:35], v[36:37], v[34:35]
	v_add_f64_e32 v[36:37], v[179:180], v[189:190]
	s_wait_loadcnt_dscnt 0x500
	v_mul_f64_e32 v[179:180], v[30:31], v[8:9]
	v_mul_f64_e32 v[8:9], v[32:33], v[8:9]
	v_fma_f64 v[181:182], v[4:5], v[38:39], v[187:188]
	v_fma_f64 v[38:39], v[2:3], v[38:39], -v[40:41]
	v_add_f64_e32 v[40:41], v[34:35], v[175:176]
	v_add_f64_e32 v[175:176], v[36:37], v[177:178]
	ds_load_b128 v[2:5], v1 offset:1968
	ds_load_b128 v[34:37], v1 offset:1984
	v_fma_f64 v[32:33], v[32:33], v[6:7], v[179:180]
	v_fma_f64 v[6:7], v[30:31], v[6:7], -v[8:9]
	s_wait_loadcnt_dscnt 0x401
	v_mul_f64_e32 v[177:178], v[2:3], v[12:13]
	v_mul_f64_e32 v[12:13], v[4:5], v[12:13]
	v_add_f64_e32 v[8:9], v[40:41], v[38:39]
	v_add_f64_e32 v[30:31], v[175:176], v[181:182]
	s_wait_loadcnt_dscnt 0x300
	v_mul_f64_e32 v[38:39], v[34:35], v[16:17]
	v_mul_f64_e32 v[16:17], v[36:37], v[16:17]
	v_fma_f64 v[40:41], v[4:5], v[10:11], v[177:178]
	v_fma_f64 v[10:11], v[2:3], v[10:11], -v[12:13]
	v_add_f64_e32 v[12:13], v[8:9], v[6:7]
	v_add_f64_e32 v[30:31], v[30:31], v[32:33]
	ds_load_b128 v[2:5], v1 offset:2000
	ds_load_b128 v[6:9], v1 offset:2016
	v_fma_f64 v[36:37], v[36:37], v[14:15], v[38:39]
	v_fma_f64 v[14:15], v[34:35], v[14:15], -v[16:17]
	s_wait_loadcnt_dscnt 0x201
	v_mul_f64_e32 v[32:33], v[2:3], v[20:21]
	v_mul_f64_e32 v[20:21], v[4:5], v[20:21]
	s_wait_loadcnt_dscnt 0x100
	v_mul_f64_e32 v[16:17], v[6:7], v[24:25]
	v_mul_f64_e32 v[24:25], v[8:9], v[24:25]
	v_add_f64_e32 v[10:11], v[12:13], v[10:11]
	v_add_f64_e32 v[12:13], v[30:31], v[40:41]
	v_fma_f64 v[30:31], v[4:5], v[18:19], v[32:33]
	v_fma_f64 v[18:19], v[2:3], v[18:19], -v[20:21]
	ds_load_b128 v[2:5], v1 offset:2032
	v_fma_f64 v[8:9], v[8:9], v[22:23], v[16:17]
	v_fma_f64 v[6:7], v[6:7], v[22:23], -v[24:25]
	v_add_f64_e32 v[10:11], v[10:11], v[14:15]
	v_add_f64_e32 v[12:13], v[12:13], v[36:37]
	s_wait_loadcnt_dscnt 0x0
	v_mul_f64_e32 v[14:15], v[2:3], v[28:29]
	v_mul_f64_e32 v[20:21], v[4:5], v[28:29]
	s_delay_alu instid0(VALU_DEP_4) | instskip(NEXT) | instid1(VALU_DEP_4)
	v_add_f64_e32 v[10:11], v[10:11], v[18:19]
	v_add_f64_e32 v[12:13], v[12:13], v[30:31]
	s_delay_alu instid0(VALU_DEP_4) | instskip(NEXT) | instid1(VALU_DEP_4)
	v_fma_f64 v[4:5], v[4:5], v[26:27], v[14:15]
	v_fma_f64 v[2:3], v[2:3], v[26:27], -v[20:21]
	s_delay_alu instid0(VALU_DEP_4) | instskip(NEXT) | instid1(VALU_DEP_4)
	v_add_f64_e32 v[6:7], v[10:11], v[6:7]
	v_add_f64_e32 v[8:9], v[12:13], v[8:9]
	s_delay_alu instid0(VALU_DEP_2) | instskip(NEXT) | instid1(VALU_DEP_2)
	v_add_f64_e32 v[2:3], v[6:7], v[2:3]
	v_add_f64_e32 v[4:5], v[8:9], v[4:5]
	s_delay_alu instid0(VALU_DEP_2) | instskip(NEXT) | instid1(VALU_DEP_2)
	v_add_f64_e64 v[2:3], v[42:43], -v[2:3]
	v_add_f64_e64 v[4:5], v[44:45], -v[4:5]
	scratch_store_b128 off, v[2:5], off offset:272
	v_cmpx_lt_u32_e32 15, v0
	s_cbranch_execz .LBB63_379
; %bb.378:
	scratch_load_b128 v[5:8], off, s64
	v_dual_mov_b32 v2, v1 :: v_dual_mov_b32 v3, v1
	v_mov_b32_e32 v4, v1
	scratch_store_b128 off, v[1:4], off offset:256
	s_wait_loadcnt 0x0
	ds_store_b128 v174, v[5:8]
.LBB63_379:
	s_wait_alu 0xfffe
	s_or_b32 exec_lo, exec_lo, s0
	s_wait_storecnt_dscnt 0x0
	s_barrier_signal -1
	s_barrier_wait -1
	global_inv scope:SCOPE_SE
	s_clause 0x8
	scratch_load_b128 v[2:5], off, off offset:272
	scratch_load_b128 v[6:9], off, off offset:288
	;; [unrolled: 1-line block ×9, first 2 shown]
	ds_load_b128 v[42:45], v1 offset:1280
	ds_load_b128 v[38:41], v1 offset:1296
	s_clause 0x1
	scratch_load_b128 v[175:178], off, off offset:256
	scratch_load_b128 v[179:182], off, off offset:416
	s_mov_b32 s0, exec_lo
	s_wait_loadcnt_dscnt 0xa01
	v_mul_f64_e32 v[183:184], v[44:45], v[4:5]
	v_mul_f64_e32 v[4:5], v[42:43], v[4:5]
	s_wait_loadcnt_dscnt 0x900
	v_mul_f64_e32 v[187:188], v[38:39], v[8:9]
	v_mul_f64_e32 v[8:9], v[40:41], v[8:9]
	s_delay_alu instid0(VALU_DEP_4) | instskip(NEXT) | instid1(VALU_DEP_4)
	v_fma_f64 v[189:190], v[42:43], v[2:3], -v[183:184]
	v_fma_f64 v[191:192], v[44:45], v[2:3], v[4:5]
	ds_load_b128 v[2:5], v1 offset:1312
	ds_load_b128 v[183:186], v1 offset:1328
	scratch_load_b128 v[42:45], off, off offset:432
	v_fma_f64 v[40:41], v[40:41], v[6:7], v[187:188]
	v_fma_f64 v[38:39], v[38:39], v[6:7], -v[8:9]
	scratch_load_b128 v[6:9], off, off offset:448
	s_wait_loadcnt_dscnt 0xa01
	v_mul_f64_e32 v[193:194], v[2:3], v[12:13]
	v_mul_f64_e32 v[12:13], v[4:5], v[12:13]
	v_add_f64_e32 v[187:188], 0, v[189:190]
	v_add_f64_e32 v[189:190], 0, v[191:192]
	s_wait_loadcnt_dscnt 0x900
	v_mul_f64_e32 v[191:192], v[183:184], v[16:17]
	v_mul_f64_e32 v[16:17], v[185:186], v[16:17]
	v_fma_f64 v[193:194], v[4:5], v[10:11], v[193:194]
	v_fma_f64 v[195:196], v[2:3], v[10:11], -v[12:13]
	ds_load_b128 v[2:5], v1 offset:1344
	scratch_load_b128 v[10:13], off, off offset:464
	v_add_f64_e32 v[187:188], v[187:188], v[38:39]
	v_add_f64_e32 v[189:190], v[189:190], v[40:41]
	ds_load_b128 v[38:41], v1 offset:1360
	v_fma_f64 v[185:186], v[185:186], v[14:15], v[191:192]
	v_fma_f64 v[183:184], v[183:184], v[14:15], -v[16:17]
	scratch_load_b128 v[14:17], off, off offset:480
	s_wait_loadcnt_dscnt 0xa01
	v_mul_f64_e32 v[197:198], v[2:3], v[20:21]
	v_mul_f64_e32 v[20:21], v[4:5], v[20:21]
	s_wait_loadcnt_dscnt 0x900
	v_mul_f64_e32 v[191:192], v[38:39], v[24:25]
	v_mul_f64_e32 v[24:25], v[40:41], v[24:25]
	v_add_f64_e32 v[187:188], v[187:188], v[195:196]
	v_add_f64_e32 v[189:190], v[189:190], v[193:194]
	v_fma_f64 v[193:194], v[4:5], v[18:19], v[197:198]
	v_fma_f64 v[195:196], v[2:3], v[18:19], -v[20:21]
	ds_load_b128 v[2:5], v1 offset:1376
	scratch_load_b128 v[18:21], off, off offset:496
	v_fma_f64 v[40:41], v[40:41], v[22:23], v[191:192]
	v_fma_f64 v[38:39], v[38:39], v[22:23], -v[24:25]
	scratch_load_b128 v[22:25], off, off offset:512
	v_add_f64_e32 v[187:188], v[187:188], v[183:184]
	v_add_f64_e32 v[189:190], v[189:190], v[185:186]
	ds_load_b128 v[183:186], v1 offset:1392
	s_wait_loadcnt_dscnt 0xa01
	v_mul_f64_e32 v[197:198], v[2:3], v[28:29]
	v_mul_f64_e32 v[28:29], v[4:5], v[28:29]
	s_wait_loadcnt_dscnt 0x900
	v_mul_f64_e32 v[191:192], v[183:184], v[32:33]
	v_mul_f64_e32 v[32:33], v[185:186], v[32:33]
	v_add_f64_e32 v[187:188], v[187:188], v[195:196]
	v_add_f64_e32 v[189:190], v[189:190], v[193:194]
	v_fma_f64 v[193:194], v[4:5], v[26:27], v[197:198]
	v_fma_f64 v[195:196], v[2:3], v[26:27], -v[28:29]
	ds_load_b128 v[2:5], v1 offset:1408
	scratch_load_b128 v[26:29], off, off offset:528
	v_fma_f64 v[185:186], v[185:186], v[30:31], v[191:192]
	v_fma_f64 v[183:184], v[183:184], v[30:31], -v[32:33]
	scratch_load_b128 v[30:33], off, off offset:544
	v_add_f64_e32 v[187:188], v[187:188], v[38:39]
	v_add_f64_e32 v[189:190], v[189:190], v[40:41]
	ds_load_b128 v[38:41], v1 offset:1424
	s_wait_loadcnt_dscnt 0xa01
	v_mul_f64_e32 v[197:198], v[2:3], v[36:37]
	v_mul_f64_e32 v[36:37], v[4:5], v[36:37]
	s_wait_loadcnt_dscnt 0x800
	v_mul_f64_e32 v[191:192], v[38:39], v[181:182]
	v_add_f64_e32 v[187:188], v[187:188], v[195:196]
	v_add_f64_e32 v[189:190], v[189:190], v[193:194]
	v_mul_f64_e32 v[193:194], v[40:41], v[181:182]
	v_fma_f64 v[195:196], v[4:5], v[34:35], v[197:198]
	v_fma_f64 v[197:198], v[2:3], v[34:35], -v[36:37]
	ds_load_b128 v[2:5], v1 offset:1440
	scratch_load_b128 v[34:37], off, off offset:560
	v_fma_f64 v[191:192], v[40:41], v[179:180], v[191:192]
	v_add_f64_e32 v[187:188], v[187:188], v[183:184]
	v_add_f64_e32 v[185:186], v[189:190], v[185:186]
	ds_load_b128 v[181:184], v1 offset:1456
	v_fma_f64 v[179:180], v[38:39], v[179:180], -v[193:194]
	scratch_load_b128 v[38:41], off, off offset:576
	s_wait_loadcnt_dscnt 0x901
	v_mul_f64_e32 v[189:190], v[2:3], v[44:45]
	v_mul_f64_e32 v[44:45], v[4:5], v[44:45]
	s_wait_loadcnt_dscnt 0x800
	v_mul_f64_e32 v[193:194], v[181:182], v[8:9]
	v_mul_f64_e32 v[8:9], v[183:184], v[8:9]
	v_add_f64_e32 v[187:188], v[187:188], v[197:198]
	v_add_f64_e32 v[185:186], v[185:186], v[195:196]
	v_fma_f64 v[189:190], v[4:5], v[42:43], v[189:190]
	v_fma_f64 v[195:196], v[2:3], v[42:43], -v[44:45]
	ds_load_b128 v[2:5], v1 offset:1472
	scratch_load_b128 v[42:45], off, off offset:592
	v_fma_f64 v[183:184], v[183:184], v[6:7], v[193:194]
	v_fma_f64 v[181:182], v[181:182], v[6:7], -v[8:9]
	scratch_load_b128 v[6:9], off, off offset:608
	v_add_f64_e32 v[179:180], v[187:188], v[179:180]
	v_add_f64_e32 v[191:192], v[185:186], v[191:192]
	ds_load_b128 v[185:188], v1 offset:1488
	s_wait_loadcnt_dscnt 0x901
	v_mul_f64_e32 v[197:198], v[2:3], v[12:13]
	v_mul_f64_e32 v[12:13], v[4:5], v[12:13]
	v_add_f64_e32 v[179:180], v[179:180], v[195:196]
	v_add_f64_e32 v[189:190], v[191:192], v[189:190]
	s_wait_loadcnt_dscnt 0x800
	v_mul_f64_e32 v[191:192], v[185:186], v[16:17]
	v_mul_f64_e32 v[16:17], v[187:188], v[16:17]
	v_fma_f64 v[193:194], v[4:5], v[10:11], v[197:198]
	v_fma_f64 v[195:196], v[2:3], v[10:11], -v[12:13]
	ds_load_b128 v[2:5], v1 offset:1504
	scratch_load_b128 v[10:13], off, off offset:624
	v_add_f64_e32 v[197:198], v[179:180], v[181:182]
	v_add_f64_e32 v[183:184], v[189:190], v[183:184]
	ds_load_b128 v[179:182], v1 offset:1520
	s_wait_loadcnt_dscnt 0x801
	v_mul_f64_e32 v[189:190], v[2:3], v[20:21]
	v_mul_f64_e32 v[20:21], v[4:5], v[20:21]
	v_fma_f64 v[187:188], v[187:188], v[14:15], v[191:192]
	v_fma_f64 v[185:186], v[185:186], v[14:15], -v[16:17]
	scratch_load_b128 v[14:17], off, off offset:640
	v_add_f64_e32 v[191:192], v[197:198], v[195:196]
	v_add_f64_e32 v[183:184], v[183:184], v[193:194]
	s_wait_loadcnt_dscnt 0x800
	v_mul_f64_e32 v[193:194], v[179:180], v[24:25]
	v_mul_f64_e32 v[24:25], v[181:182], v[24:25]
	v_fma_f64 v[189:190], v[4:5], v[18:19], v[189:190]
	v_fma_f64 v[195:196], v[2:3], v[18:19], -v[20:21]
	ds_load_b128 v[2:5], v1 offset:1536
	scratch_load_b128 v[18:21], off, off offset:656
	v_add_f64_e32 v[191:192], v[191:192], v[185:186]
	v_add_f64_e32 v[187:188], v[183:184], v[187:188]
	ds_load_b128 v[183:186], v1 offset:1552
	s_wait_loadcnt_dscnt 0x801
	v_mul_f64_e32 v[197:198], v[2:3], v[28:29]
	v_mul_f64_e32 v[28:29], v[4:5], v[28:29]
	v_fma_f64 v[181:182], v[181:182], v[22:23], v[193:194]
	v_fma_f64 v[179:180], v[179:180], v[22:23], -v[24:25]
	scratch_load_b128 v[22:25], off, off offset:672
	;; [unrolled: 18-line block ×4, first 2 shown]
	s_wait_loadcnt_dscnt 0x800
	v_mul_f64_e32 v[191:192], v[183:184], v[8:9]
	v_mul_f64_e32 v[8:9], v[185:186], v[8:9]
	v_add_f64_e32 v[189:190], v[189:190], v[195:196]
	v_add_f64_e32 v[187:188], v[187:188], v[193:194]
	v_fma_f64 v[193:194], v[4:5], v[42:43], v[197:198]
	v_fma_f64 v[195:196], v[2:3], v[42:43], -v[44:45]
	ds_load_b128 v[2:5], v1 offset:1632
	scratch_load_b128 v[42:45], off, off offset:752
	v_fma_f64 v[185:186], v[185:186], v[6:7], v[191:192]
	v_fma_f64 v[183:184], v[183:184], v[6:7], -v[8:9]
	scratch_load_b128 v[6:9], off, off offset:768
	v_add_f64_e32 v[189:190], v[189:190], v[179:180]
	v_add_f64_e32 v[187:188], v[187:188], v[181:182]
	ds_load_b128 v[179:182], v1 offset:1648
	s_wait_loadcnt_dscnt 0x901
	v_mul_f64_e32 v[197:198], v[2:3], v[12:13]
	v_mul_f64_e32 v[12:13], v[4:5], v[12:13]
	s_wait_loadcnt_dscnt 0x800
	v_mul_f64_e32 v[191:192], v[179:180], v[16:17]
	v_mul_f64_e32 v[16:17], v[181:182], v[16:17]
	v_add_f64_e32 v[189:190], v[189:190], v[195:196]
	v_add_f64_e32 v[187:188], v[187:188], v[193:194]
	v_fma_f64 v[193:194], v[4:5], v[10:11], v[197:198]
	v_fma_f64 v[195:196], v[2:3], v[10:11], -v[12:13]
	ds_load_b128 v[2:5], v1 offset:1664
	scratch_load_b128 v[10:13], off, off offset:784
	v_fma_f64 v[181:182], v[181:182], v[14:15], v[191:192]
	v_fma_f64 v[179:180], v[179:180], v[14:15], -v[16:17]
	scratch_load_b128 v[14:17], off, off offset:800
	v_add_f64_e32 v[189:190], v[189:190], v[183:184]
	v_add_f64_e32 v[187:188], v[187:188], v[185:186]
	ds_load_b128 v[183:186], v1 offset:1680
	s_wait_loadcnt_dscnt 0x901
	v_mul_f64_e32 v[197:198], v[2:3], v[20:21]
	v_mul_f64_e32 v[20:21], v[4:5], v[20:21]
	;; [unrolled: 18-line block ×9, first 2 shown]
	s_wait_loadcnt_dscnt 0x800
	v_mul_f64_e32 v[191:192], v[179:180], v[40:41]
	v_mul_f64_e32 v[40:41], v[181:182], v[40:41]
	v_add_f64_e32 v[189:190], v[189:190], v[195:196]
	v_add_f64_e32 v[187:188], v[187:188], v[193:194]
	v_fma_f64 v[193:194], v[4:5], v[34:35], v[197:198]
	v_fma_f64 v[195:196], v[2:3], v[34:35], -v[36:37]
	ds_load_b128 v[2:5], v1 offset:1920
	ds_load_b128 v[34:37], v1 offset:1936
	v_fma_f64 v[181:182], v[181:182], v[38:39], v[191:192]
	v_fma_f64 v[38:39], v[179:180], v[38:39], -v[40:41]
	v_add_f64_e32 v[183:184], v[189:190], v[183:184]
	v_add_f64_e32 v[185:186], v[187:188], v[185:186]
	s_wait_loadcnt_dscnt 0x701
	v_mul_f64_e32 v[187:188], v[2:3], v[44:45]
	v_mul_f64_e32 v[44:45], v[4:5], v[44:45]
	s_delay_alu instid0(VALU_DEP_4) | instskip(NEXT) | instid1(VALU_DEP_4)
	v_add_f64_e32 v[40:41], v[183:184], v[195:196]
	v_add_f64_e32 v[179:180], v[185:186], v[193:194]
	s_wait_loadcnt_dscnt 0x600
	v_mul_f64_e32 v[183:184], v[34:35], v[8:9]
	v_mul_f64_e32 v[8:9], v[36:37], v[8:9]
	v_fma_f64 v[185:186], v[4:5], v[42:43], v[187:188]
	v_fma_f64 v[42:43], v[2:3], v[42:43], -v[44:45]
	v_add_f64_e32 v[44:45], v[40:41], v[38:39]
	v_add_f64_e32 v[179:180], v[179:180], v[181:182]
	ds_load_b128 v[2:5], v1 offset:1952
	ds_load_b128 v[38:41], v1 offset:1968
	v_fma_f64 v[36:37], v[36:37], v[6:7], v[183:184]
	v_fma_f64 v[6:7], v[34:35], v[6:7], -v[8:9]
	s_wait_loadcnt_dscnt 0x501
	v_mul_f64_e32 v[181:182], v[2:3], v[12:13]
	v_mul_f64_e32 v[12:13], v[4:5], v[12:13]
	v_add_f64_e32 v[8:9], v[44:45], v[42:43]
	v_add_f64_e32 v[34:35], v[179:180], v[185:186]
	s_wait_loadcnt_dscnt 0x400
	v_mul_f64_e32 v[42:43], v[38:39], v[16:17]
	v_mul_f64_e32 v[16:17], v[40:41], v[16:17]
	v_fma_f64 v[44:45], v[4:5], v[10:11], v[181:182]
	v_fma_f64 v[10:11], v[2:3], v[10:11], -v[12:13]
	v_add_f64_e32 v[12:13], v[8:9], v[6:7]
	v_add_f64_e32 v[34:35], v[34:35], v[36:37]
	ds_load_b128 v[2:5], v1 offset:1984
	ds_load_b128 v[6:9], v1 offset:2000
	v_fma_f64 v[40:41], v[40:41], v[14:15], v[42:43]
	v_fma_f64 v[14:15], v[38:39], v[14:15], -v[16:17]
	s_wait_loadcnt_dscnt 0x301
	v_mul_f64_e32 v[36:37], v[2:3], v[20:21]
	v_mul_f64_e32 v[20:21], v[4:5], v[20:21]
	s_wait_loadcnt_dscnt 0x200
	v_mul_f64_e32 v[16:17], v[6:7], v[24:25]
	v_mul_f64_e32 v[24:25], v[8:9], v[24:25]
	v_add_f64_e32 v[10:11], v[12:13], v[10:11]
	v_add_f64_e32 v[12:13], v[34:35], v[44:45]
	v_fma_f64 v[34:35], v[4:5], v[18:19], v[36:37]
	v_fma_f64 v[18:19], v[2:3], v[18:19], -v[20:21]
	v_fma_f64 v[8:9], v[8:9], v[22:23], v[16:17]
	v_fma_f64 v[6:7], v[6:7], v[22:23], -v[24:25]
	v_add_f64_e32 v[14:15], v[10:11], v[14:15]
	v_add_f64_e32 v[20:21], v[12:13], v[40:41]
	ds_load_b128 v[2:5], v1 offset:2016
	ds_load_b128 v[10:13], v1 offset:2032
	s_wait_loadcnt_dscnt 0x101
	v_mul_f64_e32 v[36:37], v[2:3], v[28:29]
	v_mul_f64_e32 v[28:29], v[4:5], v[28:29]
	v_add_f64_e32 v[14:15], v[14:15], v[18:19]
	v_add_f64_e32 v[16:17], v[20:21], v[34:35]
	s_wait_loadcnt_dscnt 0x0
	v_mul_f64_e32 v[18:19], v[10:11], v[32:33]
	v_mul_f64_e32 v[20:21], v[12:13], v[32:33]
	v_fma_f64 v[4:5], v[4:5], v[26:27], v[36:37]
	v_fma_f64 v[1:2], v[2:3], v[26:27], -v[28:29]
	v_add_f64_e32 v[6:7], v[14:15], v[6:7]
	v_add_f64_e32 v[8:9], v[16:17], v[8:9]
	v_fma_f64 v[12:13], v[12:13], v[30:31], v[18:19]
	v_fma_f64 v[10:11], v[10:11], v[30:31], -v[20:21]
	s_delay_alu instid0(VALU_DEP_4) | instskip(NEXT) | instid1(VALU_DEP_4)
	v_add_f64_e32 v[1:2], v[6:7], v[1:2]
	v_add_f64_e32 v[3:4], v[8:9], v[4:5]
	s_delay_alu instid0(VALU_DEP_2) | instskip(NEXT) | instid1(VALU_DEP_2)
	v_add_f64_e32 v[1:2], v[1:2], v[10:11]
	v_add_f64_e32 v[3:4], v[3:4], v[12:13]
	s_delay_alu instid0(VALU_DEP_2) | instskip(NEXT) | instid1(VALU_DEP_2)
	v_add_f64_e64 v[1:2], v[175:176], -v[1:2]
	v_add_f64_e64 v[3:4], v[177:178], -v[3:4]
	scratch_store_b128 off, v[1:4], off offset:256
	v_cmpx_lt_u32_e32 14, v0
	s_cbranch_execz .LBB63_381
; %bb.380:
	scratch_load_b128 v[1:4], off, s65
	v_mov_b32_e32 v5, 0
	s_delay_alu instid0(VALU_DEP_1)
	v_dual_mov_b32 v6, v5 :: v_dual_mov_b32 v7, v5
	v_mov_b32_e32 v8, v5
	scratch_store_b128 off, v[5:8], off offset:240
	s_wait_loadcnt 0x0
	ds_store_b128 v174, v[1:4]
.LBB63_381:
	s_wait_alu 0xfffe
	s_or_b32 exec_lo, exec_lo, s0
	s_wait_storecnt_dscnt 0x0
	s_barrier_signal -1
	s_barrier_wait -1
	global_inv scope:SCOPE_SE
	s_clause 0x7
	scratch_load_b128 v[2:5], off, off offset:256
	scratch_load_b128 v[6:9], off, off offset:272
	scratch_load_b128 v[10:13], off, off offset:288
	scratch_load_b128 v[14:17], off, off offset:304
	scratch_load_b128 v[18:21], off, off offset:320
	scratch_load_b128 v[22:25], off, off offset:336
	scratch_load_b128 v[26:29], off, off offset:352
	scratch_load_b128 v[30:33], off, off offset:368
	v_mov_b32_e32 v1, 0
	s_mov_b32 s0, exec_lo
	ds_load_b128 v[38:41], v1 offset:1264
	s_clause 0x1
	scratch_load_b128 v[34:37], off, off offset:384
	scratch_load_b128 v[42:45], off, off offset:240
	ds_load_b128 v[175:178], v1 offset:1280
	scratch_load_b128 v[179:182], off, off offset:400
	s_wait_loadcnt_dscnt 0xa01
	v_mul_f64_e32 v[183:184], v[40:41], v[4:5]
	v_mul_f64_e32 v[4:5], v[38:39], v[4:5]
	s_delay_alu instid0(VALU_DEP_2) | instskip(NEXT) | instid1(VALU_DEP_2)
	v_fma_f64 v[189:190], v[38:39], v[2:3], -v[183:184]
	v_fma_f64 v[191:192], v[40:41], v[2:3], v[4:5]
	ds_load_b128 v[2:5], v1 offset:1296
	s_wait_loadcnt_dscnt 0x901
	v_mul_f64_e32 v[187:188], v[175:176], v[8:9]
	v_mul_f64_e32 v[8:9], v[177:178], v[8:9]
	scratch_load_b128 v[38:41], off, off offset:416
	ds_load_b128 v[183:186], v1 offset:1312
	s_wait_loadcnt_dscnt 0x901
	v_mul_f64_e32 v[193:194], v[2:3], v[12:13]
	v_mul_f64_e32 v[12:13], v[4:5], v[12:13]
	v_fma_f64 v[177:178], v[177:178], v[6:7], v[187:188]
	v_fma_f64 v[175:176], v[175:176], v[6:7], -v[8:9]
	v_add_f64_e32 v[187:188], 0, v[189:190]
	v_add_f64_e32 v[189:190], 0, v[191:192]
	scratch_load_b128 v[6:9], off, off offset:432
	v_fma_f64 v[193:194], v[4:5], v[10:11], v[193:194]
	v_fma_f64 v[195:196], v[2:3], v[10:11], -v[12:13]
	ds_load_b128 v[2:5], v1 offset:1328
	s_wait_loadcnt_dscnt 0x901
	v_mul_f64_e32 v[191:192], v[183:184], v[16:17]
	v_mul_f64_e32 v[16:17], v[185:186], v[16:17]
	scratch_load_b128 v[10:13], off, off offset:448
	v_add_f64_e32 v[187:188], v[187:188], v[175:176]
	v_add_f64_e32 v[189:190], v[189:190], v[177:178]
	s_wait_loadcnt_dscnt 0x900
	v_mul_f64_e32 v[197:198], v[2:3], v[20:21]
	v_mul_f64_e32 v[20:21], v[4:5], v[20:21]
	ds_load_b128 v[175:178], v1 offset:1344
	v_fma_f64 v[185:186], v[185:186], v[14:15], v[191:192]
	v_fma_f64 v[183:184], v[183:184], v[14:15], -v[16:17]
	scratch_load_b128 v[14:17], off, off offset:464
	v_add_f64_e32 v[187:188], v[187:188], v[195:196]
	v_add_f64_e32 v[189:190], v[189:190], v[193:194]
	v_fma_f64 v[193:194], v[4:5], v[18:19], v[197:198]
	v_fma_f64 v[195:196], v[2:3], v[18:19], -v[20:21]
	ds_load_b128 v[2:5], v1 offset:1360
	s_wait_loadcnt_dscnt 0x901
	v_mul_f64_e32 v[191:192], v[175:176], v[24:25]
	v_mul_f64_e32 v[24:25], v[177:178], v[24:25]
	scratch_load_b128 v[18:21], off, off offset:480
	s_wait_loadcnt_dscnt 0x900
	v_mul_f64_e32 v[197:198], v[2:3], v[28:29]
	v_mul_f64_e32 v[28:29], v[4:5], v[28:29]
	v_add_f64_e32 v[187:188], v[187:188], v[183:184]
	v_add_f64_e32 v[189:190], v[189:190], v[185:186]
	ds_load_b128 v[183:186], v1 offset:1376
	v_fma_f64 v[177:178], v[177:178], v[22:23], v[191:192]
	v_fma_f64 v[175:176], v[175:176], v[22:23], -v[24:25]
	scratch_load_b128 v[22:25], off, off offset:496
	v_add_f64_e32 v[187:188], v[187:188], v[195:196]
	v_add_f64_e32 v[189:190], v[189:190], v[193:194]
	v_fma_f64 v[193:194], v[4:5], v[26:27], v[197:198]
	v_fma_f64 v[195:196], v[2:3], v[26:27], -v[28:29]
	ds_load_b128 v[2:5], v1 offset:1392
	s_wait_loadcnt_dscnt 0x901
	v_mul_f64_e32 v[191:192], v[183:184], v[32:33]
	v_mul_f64_e32 v[32:33], v[185:186], v[32:33]
	scratch_load_b128 v[26:29], off, off offset:512
	s_wait_loadcnt_dscnt 0x900
	v_mul_f64_e32 v[197:198], v[2:3], v[36:37]
	v_mul_f64_e32 v[36:37], v[4:5], v[36:37]
	v_add_f64_e32 v[187:188], v[187:188], v[175:176]
	v_add_f64_e32 v[189:190], v[189:190], v[177:178]
	ds_load_b128 v[175:178], v1 offset:1408
	v_fma_f64 v[185:186], v[185:186], v[30:31], v[191:192]
	v_fma_f64 v[183:184], v[183:184], v[30:31], -v[32:33]
	scratch_load_b128 v[30:33], off, off offset:528
	v_add_f64_e32 v[187:188], v[187:188], v[195:196]
	v_add_f64_e32 v[189:190], v[189:190], v[193:194]
	v_fma_f64 v[195:196], v[4:5], v[34:35], v[197:198]
	v_fma_f64 v[197:198], v[2:3], v[34:35], -v[36:37]
	ds_load_b128 v[2:5], v1 offset:1424
	s_wait_loadcnt_dscnt 0x801
	v_mul_f64_e32 v[191:192], v[175:176], v[181:182]
	v_mul_f64_e32 v[193:194], v[177:178], v[181:182]
	scratch_load_b128 v[34:37], off, off offset:544
	v_add_f64_e32 v[187:188], v[187:188], v[183:184]
	v_add_f64_e32 v[185:186], v[189:190], v[185:186]
	ds_load_b128 v[181:184], v1 offset:1440
	v_fma_f64 v[191:192], v[177:178], v[179:180], v[191:192]
	v_fma_f64 v[179:180], v[175:176], v[179:180], -v[193:194]
	scratch_load_b128 v[175:178], off, off offset:560
	s_wait_loadcnt_dscnt 0x901
	v_mul_f64_e32 v[189:190], v[2:3], v[40:41]
	v_mul_f64_e32 v[40:41], v[4:5], v[40:41]
	v_add_f64_e32 v[187:188], v[187:188], v[197:198]
	v_add_f64_e32 v[185:186], v[185:186], v[195:196]
	s_delay_alu instid0(VALU_DEP_4) | instskip(NEXT) | instid1(VALU_DEP_4)
	v_fma_f64 v[189:190], v[4:5], v[38:39], v[189:190]
	v_fma_f64 v[195:196], v[2:3], v[38:39], -v[40:41]
	ds_load_b128 v[2:5], v1 offset:1456
	s_wait_loadcnt_dscnt 0x801
	v_mul_f64_e32 v[193:194], v[181:182], v[8:9]
	v_mul_f64_e32 v[8:9], v[183:184], v[8:9]
	scratch_load_b128 v[38:41], off, off offset:576
	s_wait_loadcnt_dscnt 0x800
	v_mul_f64_e32 v[197:198], v[2:3], v[12:13]
	v_add_f64_e32 v[179:180], v[187:188], v[179:180]
	v_add_f64_e32 v[191:192], v[185:186], v[191:192]
	v_mul_f64_e32 v[12:13], v[4:5], v[12:13]
	ds_load_b128 v[185:188], v1 offset:1472
	v_fma_f64 v[183:184], v[183:184], v[6:7], v[193:194]
	v_fma_f64 v[181:182], v[181:182], v[6:7], -v[8:9]
	scratch_load_b128 v[6:9], off, off offset:592
	v_fma_f64 v[193:194], v[4:5], v[10:11], v[197:198]
	v_add_f64_e32 v[179:180], v[179:180], v[195:196]
	v_add_f64_e32 v[189:190], v[191:192], v[189:190]
	v_fma_f64 v[195:196], v[2:3], v[10:11], -v[12:13]
	ds_load_b128 v[2:5], v1 offset:1488
	s_wait_loadcnt_dscnt 0x801
	v_mul_f64_e32 v[191:192], v[185:186], v[16:17]
	v_mul_f64_e32 v[16:17], v[187:188], v[16:17]
	scratch_load_b128 v[10:13], off, off offset:608
	v_add_f64_e32 v[197:198], v[179:180], v[181:182]
	v_add_f64_e32 v[183:184], v[189:190], v[183:184]
	s_wait_loadcnt_dscnt 0x800
	v_mul_f64_e32 v[189:190], v[2:3], v[20:21]
	v_mul_f64_e32 v[20:21], v[4:5], v[20:21]
	v_fma_f64 v[187:188], v[187:188], v[14:15], v[191:192]
	v_fma_f64 v[185:186], v[185:186], v[14:15], -v[16:17]
	ds_load_b128 v[179:182], v1 offset:1504
	scratch_load_b128 v[14:17], off, off offset:624
	v_add_f64_e32 v[191:192], v[197:198], v[195:196]
	v_add_f64_e32 v[183:184], v[183:184], v[193:194]
	v_fma_f64 v[189:190], v[4:5], v[18:19], v[189:190]
	v_fma_f64 v[195:196], v[2:3], v[18:19], -v[20:21]
	ds_load_b128 v[2:5], v1 offset:1520
	s_wait_loadcnt_dscnt 0x801
	v_mul_f64_e32 v[193:194], v[179:180], v[24:25]
	v_mul_f64_e32 v[24:25], v[181:182], v[24:25]
	scratch_load_b128 v[18:21], off, off offset:640
	s_wait_loadcnt_dscnt 0x800
	v_mul_f64_e32 v[197:198], v[2:3], v[28:29]
	v_mul_f64_e32 v[28:29], v[4:5], v[28:29]
	v_add_f64_e32 v[191:192], v[191:192], v[185:186]
	v_add_f64_e32 v[187:188], v[183:184], v[187:188]
	ds_load_b128 v[183:186], v1 offset:1536
	v_fma_f64 v[181:182], v[181:182], v[22:23], v[193:194]
	v_fma_f64 v[179:180], v[179:180], v[22:23], -v[24:25]
	scratch_load_b128 v[22:25], off, off offset:656
	v_fma_f64 v[193:194], v[4:5], v[26:27], v[197:198]
	v_add_f64_e32 v[191:192], v[191:192], v[195:196]
	v_add_f64_e32 v[187:188], v[187:188], v[189:190]
	v_fma_f64 v[195:196], v[2:3], v[26:27], -v[28:29]
	ds_load_b128 v[2:5], v1 offset:1552
	s_wait_loadcnt_dscnt 0x801
	v_mul_f64_e32 v[189:190], v[183:184], v[32:33]
	v_mul_f64_e32 v[32:33], v[185:186], v[32:33]
	scratch_load_b128 v[26:29], off, off offset:672
	s_wait_loadcnt_dscnt 0x800
	v_mul_f64_e32 v[197:198], v[2:3], v[36:37]
	v_mul_f64_e32 v[36:37], v[4:5], v[36:37]
	v_add_f64_e32 v[191:192], v[191:192], v[179:180]
	v_add_f64_e32 v[187:188], v[187:188], v[181:182]
	ds_load_b128 v[179:182], v1 offset:1568
	v_fma_f64 v[185:186], v[185:186], v[30:31], v[189:190]
	v_fma_f64 v[183:184], v[183:184], v[30:31], -v[32:33]
	scratch_load_b128 v[30:33], off, off offset:688
	v_add_f64_e32 v[189:190], v[191:192], v[195:196]
	v_add_f64_e32 v[187:188], v[187:188], v[193:194]
	v_fma_f64 v[193:194], v[4:5], v[34:35], v[197:198]
	v_fma_f64 v[195:196], v[2:3], v[34:35], -v[36:37]
	ds_load_b128 v[2:5], v1 offset:1584
	s_wait_loadcnt_dscnt 0x801
	v_mul_f64_e32 v[191:192], v[179:180], v[177:178]
	v_mul_f64_e32 v[177:178], v[181:182], v[177:178]
	scratch_load_b128 v[34:37], off, off offset:704
	s_wait_loadcnt_dscnt 0x800
	v_mul_f64_e32 v[197:198], v[2:3], v[40:41]
	v_mul_f64_e32 v[40:41], v[4:5], v[40:41]
	v_add_f64_e32 v[189:190], v[189:190], v[183:184]
	v_add_f64_e32 v[187:188], v[187:188], v[185:186]
	ds_load_b128 v[183:186], v1 offset:1600
	v_fma_f64 v[181:182], v[181:182], v[175:176], v[191:192]
	v_fma_f64 v[179:180], v[179:180], v[175:176], -v[177:178]
	scratch_load_b128 v[175:178], off, off offset:720
	v_add_f64_e32 v[189:190], v[189:190], v[195:196]
	v_add_f64_e32 v[187:188], v[187:188], v[193:194]
	v_fma_f64 v[193:194], v[4:5], v[38:39], v[197:198]
	;; [unrolled: 18-line block ×6, first 2 shown]
	v_fma_f64 v[197:198], v[2:3], v[34:35], -v[36:37]
	ds_load_b128 v[2:5], v1 offset:1744
	s_wait_loadcnt_dscnt 0x801
	v_mul_f64_e32 v[191:192], v[183:184], v[177:178]
	v_mul_f64_e32 v[193:194], v[185:186], v[177:178]
	scratch_load_b128 v[34:37], off, off offset:864
	v_add_f64_e32 v[189:190], v[189:190], v[179:180]
	v_add_f64_e32 v[181:182], v[187:188], v[181:182]
	s_wait_loadcnt_dscnt 0x800
	v_mul_f64_e32 v[187:188], v[2:3], v[40:41]
	v_mul_f64_e32 v[40:41], v[4:5], v[40:41]
	ds_load_b128 v[177:180], v1 offset:1760
	v_fma_f64 v[185:186], v[185:186], v[175:176], v[191:192]
	v_fma_f64 v[175:176], v[183:184], v[175:176], -v[193:194]
	v_add_f64_e32 v[189:190], v[189:190], v[197:198]
	v_add_f64_e32 v[191:192], v[181:182], v[195:196]
	scratch_load_b128 v[181:184], off, off offset:880
	v_fma_f64 v[195:196], v[4:5], v[38:39], v[187:188]
	v_fma_f64 v[197:198], v[2:3], v[38:39], -v[40:41]
	ds_load_b128 v[2:5], v1 offset:1776
	s_wait_loadcnt_dscnt 0x801
	v_mul_f64_e32 v[193:194], v[177:178], v[8:9]
	v_mul_f64_e32 v[8:9], v[179:180], v[8:9]
	scratch_load_b128 v[38:41], off, off offset:896
	v_add_f64_e32 v[175:176], v[189:190], v[175:176]
	v_add_f64_e32 v[189:190], v[191:192], v[185:186]
	s_wait_loadcnt_dscnt 0x800
	v_mul_f64_e32 v[191:192], v[2:3], v[12:13]
	v_mul_f64_e32 v[12:13], v[4:5], v[12:13]
	ds_load_b128 v[185:188], v1 offset:1792
	v_fma_f64 v[179:180], v[179:180], v[6:7], v[193:194]
	v_fma_f64 v[177:178], v[177:178], v[6:7], -v[8:9]
	scratch_load_b128 v[6:9], off, off offset:912
	v_add_f64_e32 v[175:176], v[175:176], v[197:198]
	v_add_f64_e32 v[189:190], v[189:190], v[195:196]
	v_fma_f64 v[191:192], v[4:5], v[10:11], v[191:192]
	v_fma_f64 v[195:196], v[2:3], v[10:11], -v[12:13]
	ds_load_b128 v[2:5], v1 offset:1808
	s_wait_loadcnt_dscnt 0x801
	v_mul_f64_e32 v[193:194], v[185:186], v[16:17]
	v_mul_f64_e32 v[16:17], v[187:188], v[16:17]
	scratch_load_b128 v[10:13], off, off offset:928
	v_add_f64_e32 v[197:198], v[175:176], v[177:178]
	v_add_f64_e32 v[179:180], v[189:190], v[179:180]
	s_wait_loadcnt_dscnt 0x800
	v_mul_f64_e32 v[189:190], v[2:3], v[20:21]
	v_mul_f64_e32 v[20:21], v[4:5], v[20:21]
	ds_load_b128 v[175:178], v1 offset:1824
	v_fma_f64 v[187:188], v[187:188], v[14:15], v[193:194]
	v_fma_f64 v[185:186], v[185:186], v[14:15], -v[16:17]
	scratch_load_b128 v[14:17], off, off offset:944
	v_add_f64_e32 v[193:194], v[197:198], v[195:196]
	v_add_f64_e32 v[179:180], v[179:180], v[191:192]
	v_fma_f64 v[189:190], v[4:5], v[18:19], v[189:190]
	v_fma_f64 v[195:196], v[2:3], v[18:19], -v[20:21]
	ds_load_b128 v[2:5], v1 offset:1840
	s_wait_loadcnt_dscnt 0x801
	v_mul_f64_e32 v[191:192], v[175:176], v[24:25]
	v_mul_f64_e32 v[24:25], v[177:178], v[24:25]
	scratch_load_b128 v[18:21], off, off offset:960
	s_wait_loadcnt_dscnt 0x800
	v_mul_f64_e32 v[197:198], v[2:3], v[28:29]
	v_mul_f64_e32 v[28:29], v[4:5], v[28:29]
	v_add_f64_e32 v[193:194], v[193:194], v[185:186]
	v_add_f64_e32 v[179:180], v[179:180], v[187:188]
	ds_load_b128 v[185:188], v1 offset:1856
	v_fma_f64 v[177:178], v[177:178], v[22:23], v[191:192]
	v_fma_f64 v[175:176], v[175:176], v[22:23], -v[24:25]
	scratch_load_b128 v[22:25], off, off offset:976
	v_add_f64_e32 v[191:192], v[193:194], v[195:196]
	v_add_f64_e32 v[179:180], v[179:180], v[189:190]
	v_fma_f64 v[193:194], v[4:5], v[26:27], v[197:198]
	v_fma_f64 v[195:196], v[2:3], v[26:27], -v[28:29]
	ds_load_b128 v[2:5], v1 offset:1872
	s_wait_loadcnt_dscnt 0x801
	v_mul_f64_e32 v[189:190], v[185:186], v[32:33]
	v_mul_f64_e32 v[32:33], v[187:188], v[32:33]
	scratch_load_b128 v[26:29], off, off offset:992
	s_wait_loadcnt_dscnt 0x800
	v_mul_f64_e32 v[197:198], v[2:3], v[36:37]
	v_mul_f64_e32 v[36:37], v[4:5], v[36:37]
	v_add_f64_e32 v[191:192], v[191:192], v[175:176]
	v_add_f64_e32 v[179:180], v[179:180], v[177:178]
	ds_load_b128 v[175:178], v1 offset:1888
	v_fma_f64 v[187:188], v[187:188], v[30:31], v[189:190]
	v_fma_f64 v[185:186], v[185:186], v[30:31], -v[32:33]
	scratch_load_b128 v[30:33], off, off offset:1008
	v_add_f64_e32 v[189:190], v[191:192], v[195:196]
	v_add_f64_e32 v[179:180], v[179:180], v[193:194]
	v_fma_f64 v[195:196], v[4:5], v[34:35], v[197:198]
	v_fma_f64 v[197:198], v[2:3], v[34:35], -v[36:37]
	ds_load_b128 v[2:5], v1 offset:1904
	scratch_load_b128 v[34:37], off, off offset:1024
	s_wait_loadcnt_dscnt 0x901
	v_mul_f64_e32 v[191:192], v[175:176], v[183:184]
	v_mul_f64_e32 v[193:194], v[177:178], v[183:184]
	v_add_f64_e32 v[189:190], v[189:190], v[185:186]
	v_add_f64_e32 v[179:180], v[179:180], v[187:188]
	s_wait_loadcnt_dscnt 0x800
	v_mul_f64_e32 v[187:188], v[2:3], v[40:41]
	v_mul_f64_e32 v[40:41], v[4:5], v[40:41]
	ds_load_b128 v[183:186], v1 offset:1920
	v_fma_f64 v[177:178], v[177:178], v[181:182], v[191:192]
	v_fma_f64 v[175:176], v[175:176], v[181:182], -v[193:194]
	v_add_f64_e32 v[181:182], v[189:190], v[197:198]
	v_add_f64_e32 v[179:180], v[179:180], v[195:196]
	s_wait_loadcnt_dscnt 0x700
	v_mul_f64_e32 v[189:190], v[183:184], v[8:9]
	v_mul_f64_e32 v[8:9], v[185:186], v[8:9]
	v_fma_f64 v[187:188], v[4:5], v[38:39], v[187:188]
	v_fma_f64 v[191:192], v[2:3], v[38:39], -v[40:41]
	ds_load_b128 v[2:5], v1 offset:1936
	ds_load_b128 v[38:41], v1 offset:1952
	v_add_f64_e32 v[175:176], v[181:182], v[175:176]
	v_add_f64_e32 v[177:178], v[179:180], v[177:178]
	s_wait_loadcnt_dscnt 0x601
	v_mul_f64_e32 v[179:180], v[2:3], v[12:13]
	v_mul_f64_e32 v[12:13], v[4:5], v[12:13]
	v_fma_f64 v[181:182], v[185:186], v[6:7], v[189:190]
	v_fma_f64 v[6:7], v[183:184], v[6:7], -v[8:9]
	v_add_f64_e32 v[8:9], v[175:176], v[191:192]
	v_add_f64_e32 v[175:176], v[177:178], v[187:188]
	s_wait_loadcnt_dscnt 0x500
	v_mul_f64_e32 v[177:178], v[38:39], v[16:17]
	v_mul_f64_e32 v[16:17], v[40:41], v[16:17]
	v_fma_f64 v[179:180], v[4:5], v[10:11], v[179:180]
	v_fma_f64 v[10:11], v[2:3], v[10:11], -v[12:13]
	v_add_f64_e32 v[12:13], v[8:9], v[6:7]
	v_add_f64_e32 v[175:176], v[175:176], v[181:182]
	ds_load_b128 v[2:5], v1 offset:1968
	ds_load_b128 v[6:9], v1 offset:1984
	v_fma_f64 v[40:41], v[40:41], v[14:15], v[177:178]
	v_fma_f64 v[14:15], v[38:39], v[14:15], -v[16:17]
	s_wait_loadcnt_dscnt 0x401
	v_mul_f64_e32 v[181:182], v[2:3], v[20:21]
	v_mul_f64_e32 v[20:21], v[4:5], v[20:21]
	s_wait_loadcnt_dscnt 0x300
	v_mul_f64_e32 v[16:17], v[6:7], v[24:25]
	v_mul_f64_e32 v[24:25], v[8:9], v[24:25]
	v_add_f64_e32 v[10:11], v[12:13], v[10:11]
	v_add_f64_e32 v[12:13], v[175:176], v[179:180]
	v_fma_f64 v[38:39], v[4:5], v[18:19], v[181:182]
	v_fma_f64 v[18:19], v[2:3], v[18:19], -v[20:21]
	v_fma_f64 v[8:9], v[8:9], v[22:23], v[16:17]
	v_fma_f64 v[6:7], v[6:7], v[22:23], -v[24:25]
	v_add_f64_e32 v[14:15], v[10:11], v[14:15]
	v_add_f64_e32 v[20:21], v[12:13], v[40:41]
	ds_load_b128 v[2:5], v1 offset:2000
	ds_load_b128 v[10:13], v1 offset:2016
	s_wait_loadcnt_dscnt 0x201
	v_mul_f64_e32 v[40:41], v[2:3], v[28:29]
	v_mul_f64_e32 v[28:29], v[4:5], v[28:29]
	v_add_f64_e32 v[14:15], v[14:15], v[18:19]
	v_add_f64_e32 v[16:17], v[20:21], v[38:39]
	s_wait_loadcnt_dscnt 0x100
	v_mul_f64_e32 v[18:19], v[10:11], v[32:33]
	v_mul_f64_e32 v[20:21], v[12:13], v[32:33]
	v_fma_f64 v[22:23], v[4:5], v[26:27], v[40:41]
	v_fma_f64 v[24:25], v[2:3], v[26:27], -v[28:29]
	ds_load_b128 v[2:5], v1 offset:2032
	v_add_f64_e32 v[6:7], v[14:15], v[6:7]
	v_add_f64_e32 v[8:9], v[16:17], v[8:9]
	v_fma_f64 v[12:13], v[12:13], v[30:31], v[18:19]
	v_fma_f64 v[10:11], v[10:11], v[30:31], -v[20:21]
	s_wait_loadcnt_dscnt 0x0
	v_mul_f64_e32 v[14:15], v[2:3], v[36:37]
	v_mul_f64_e32 v[16:17], v[4:5], v[36:37]
	v_add_f64_e32 v[6:7], v[6:7], v[24:25]
	v_add_f64_e32 v[8:9], v[8:9], v[22:23]
	s_delay_alu instid0(VALU_DEP_4) | instskip(NEXT) | instid1(VALU_DEP_4)
	v_fma_f64 v[4:5], v[4:5], v[34:35], v[14:15]
	v_fma_f64 v[2:3], v[2:3], v[34:35], -v[16:17]
	s_delay_alu instid0(VALU_DEP_4) | instskip(NEXT) | instid1(VALU_DEP_4)
	v_add_f64_e32 v[6:7], v[6:7], v[10:11]
	v_add_f64_e32 v[8:9], v[8:9], v[12:13]
	s_delay_alu instid0(VALU_DEP_2) | instskip(NEXT) | instid1(VALU_DEP_2)
	v_add_f64_e32 v[2:3], v[6:7], v[2:3]
	v_add_f64_e32 v[4:5], v[8:9], v[4:5]
	s_delay_alu instid0(VALU_DEP_2) | instskip(NEXT) | instid1(VALU_DEP_2)
	v_add_f64_e64 v[2:3], v[42:43], -v[2:3]
	v_add_f64_e64 v[4:5], v[44:45], -v[4:5]
	scratch_store_b128 off, v[2:5], off offset:240
	v_cmpx_lt_u32_e32 13, v0
	s_cbranch_execz .LBB63_383
; %bb.382:
	scratch_load_b128 v[5:8], off, s66
	v_dual_mov_b32 v2, v1 :: v_dual_mov_b32 v3, v1
	v_mov_b32_e32 v4, v1
	scratch_store_b128 off, v[1:4], off offset:224
	s_wait_loadcnt 0x0
	ds_store_b128 v174, v[5:8]
.LBB63_383:
	s_wait_alu 0xfffe
	s_or_b32 exec_lo, exec_lo, s0
	s_wait_storecnt_dscnt 0x0
	s_barrier_signal -1
	s_barrier_wait -1
	global_inv scope:SCOPE_SE
	s_clause 0x8
	scratch_load_b128 v[2:5], off, off offset:240
	scratch_load_b128 v[6:9], off, off offset:256
	;; [unrolled: 1-line block ×9, first 2 shown]
	ds_load_b128 v[42:45], v1 offset:1248
	ds_load_b128 v[38:41], v1 offset:1264
	s_clause 0x1
	scratch_load_b128 v[175:178], off, off offset:224
	scratch_load_b128 v[179:182], off, off offset:384
	s_mov_b32 s0, exec_lo
	s_wait_loadcnt_dscnt 0xa01
	v_mul_f64_e32 v[183:184], v[44:45], v[4:5]
	v_mul_f64_e32 v[4:5], v[42:43], v[4:5]
	s_wait_loadcnt_dscnt 0x900
	v_mul_f64_e32 v[187:188], v[38:39], v[8:9]
	v_mul_f64_e32 v[8:9], v[40:41], v[8:9]
	s_delay_alu instid0(VALU_DEP_4) | instskip(NEXT) | instid1(VALU_DEP_4)
	v_fma_f64 v[189:190], v[42:43], v[2:3], -v[183:184]
	v_fma_f64 v[191:192], v[44:45], v[2:3], v[4:5]
	ds_load_b128 v[2:5], v1 offset:1280
	ds_load_b128 v[183:186], v1 offset:1296
	scratch_load_b128 v[42:45], off, off offset:400
	v_fma_f64 v[40:41], v[40:41], v[6:7], v[187:188]
	v_fma_f64 v[38:39], v[38:39], v[6:7], -v[8:9]
	scratch_load_b128 v[6:9], off, off offset:416
	s_wait_loadcnt_dscnt 0xa01
	v_mul_f64_e32 v[193:194], v[2:3], v[12:13]
	v_mul_f64_e32 v[12:13], v[4:5], v[12:13]
	v_add_f64_e32 v[187:188], 0, v[189:190]
	v_add_f64_e32 v[189:190], 0, v[191:192]
	s_wait_loadcnt_dscnt 0x900
	v_mul_f64_e32 v[191:192], v[183:184], v[16:17]
	v_mul_f64_e32 v[16:17], v[185:186], v[16:17]
	v_fma_f64 v[193:194], v[4:5], v[10:11], v[193:194]
	v_fma_f64 v[195:196], v[2:3], v[10:11], -v[12:13]
	ds_load_b128 v[2:5], v1 offset:1312
	scratch_load_b128 v[10:13], off, off offset:432
	v_add_f64_e32 v[187:188], v[187:188], v[38:39]
	v_add_f64_e32 v[189:190], v[189:190], v[40:41]
	ds_load_b128 v[38:41], v1 offset:1328
	v_fma_f64 v[185:186], v[185:186], v[14:15], v[191:192]
	v_fma_f64 v[183:184], v[183:184], v[14:15], -v[16:17]
	scratch_load_b128 v[14:17], off, off offset:448
	s_wait_loadcnt_dscnt 0xa01
	v_mul_f64_e32 v[197:198], v[2:3], v[20:21]
	v_mul_f64_e32 v[20:21], v[4:5], v[20:21]
	s_wait_loadcnt_dscnt 0x900
	v_mul_f64_e32 v[191:192], v[38:39], v[24:25]
	v_mul_f64_e32 v[24:25], v[40:41], v[24:25]
	v_add_f64_e32 v[187:188], v[187:188], v[195:196]
	v_add_f64_e32 v[189:190], v[189:190], v[193:194]
	v_fma_f64 v[193:194], v[4:5], v[18:19], v[197:198]
	v_fma_f64 v[195:196], v[2:3], v[18:19], -v[20:21]
	ds_load_b128 v[2:5], v1 offset:1344
	scratch_load_b128 v[18:21], off, off offset:464
	v_fma_f64 v[40:41], v[40:41], v[22:23], v[191:192]
	v_fma_f64 v[38:39], v[38:39], v[22:23], -v[24:25]
	scratch_load_b128 v[22:25], off, off offset:480
	v_add_f64_e32 v[187:188], v[187:188], v[183:184]
	v_add_f64_e32 v[189:190], v[189:190], v[185:186]
	ds_load_b128 v[183:186], v1 offset:1360
	s_wait_loadcnt_dscnt 0xa01
	v_mul_f64_e32 v[197:198], v[2:3], v[28:29]
	v_mul_f64_e32 v[28:29], v[4:5], v[28:29]
	s_wait_loadcnt_dscnt 0x900
	v_mul_f64_e32 v[191:192], v[183:184], v[32:33]
	v_mul_f64_e32 v[32:33], v[185:186], v[32:33]
	v_add_f64_e32 v[187:188], v[187:188], v[195:196]
	v_add_f64_e32 v[189:190], v[189:190], v[193:194]
	v_fma_f64 v[193:194], v[4:5], v[26:27], v[197:198]
	v_fma_f64 v[195:196], v[2:3], v[26:27], -v[28:29]
	ds_load_b128 v[2:5], v1 offset:1376
	scratch_load_b128 v[26:29], off, off offset:496
	v_fma_f64 v[185:186], v[185:186], v[30:31], v[191:192]
	v_fma_f64 v[183:184], v[183:184], v[30:31], -v[32:33]
	scratch_load_b128 v[30:33], off, off offset:512
	v_add_f64_e32 v[187:188], v[187:188], v[38:39]
	v_add_f64_e32 v[189:190], v[189:190], v[40:41]
	ds_load_b128 v[38:41], v1 offset:1392
	s_wait_loadcnt_dscnt 0xa01
	v_mul_f64_e32 v[197:198], v[2:3], v[36:37]
	v_mul_f64_e32 v[36:37], v[4:5], v[36:37]
	s_wait_loadcnt_dscnt 0x800
	v_mul_f64_e32 v[191:192], v[38:39], v[181:182]
	v_add_f64_e32 v[187:188], v[187:188], v[195:196]
	v_add_f64_e32 v[189:190], v[189:190], v[193:194]
	v_mul_f64_e32 v[193:194], v[40:41], v[181:182]
	v_fma_f64 v[195:196], v[4:5], v[34:35], v[197:198]
	v_fma_f64 v[197:198], v[2:3], v[34:35], -v[36:37]
	ds_load_b128 v[2:5], v1 offset:1408
	scratch_load_b128 v[34:37], off, off offset:528
	v_fma_f64 v[191:192], v[40:41], v[179:180], v[191:192]
	v_add_f64_e32 v[187:188], v[187:188], v[183:184]
	v_add_f64_e32 v[185:186], v[189:190], v[185:186]
	ds_load_b128 v[181:184], v1 offset:1424
	v_fma_f64 v[179:180], v[38:39], v[179:180], -v[193:194]
	scratch_load_b128 v[38:41], off, off offset:544
	s_wait_loadcnt_dscnt 0x901
	v_mul_f64_e32 v[189:190], v[2:3], v[44:45]
	v_mul_f64_e32 v[44:45], v[4:5], v[44:45]
	s_wait_loadcnt_dscnt 0x800
	v_mul_f64_e32 v[193:194], v[181:182], v[8:9]
	v_mul_f64_e32 v[8:9], v[183:184], v[8:9]
	v_add_f64_e32 v[187:188], v[187:188], v[197:198]
	v_add_f64_e32 v[185:186], v[185:186], v[195:196]
	v_fma_f64 v[189:190], v[4:5], v[42:43], v[189:190]
	v_fma_f64 v[195:196], v[2:3], v[42:43], -v[44:45]
	ds_load_b128 v[2:5], v1 offset:1440
	scratch_load_b128 v[42:45], off, off offset:560
	v_fma_f64 v[183:184], v[183:184], v[6:7], v[193:194]
	v_fma_f64 v[181:182], v[181:182], v[6:7], -v[8:9]
	scratch_load_b128 v[6:9], off, off offset:576
	v_add_f64_e32 v[179:180], v[187:188], v[179:180]
	v_add_f64_e32 v[191:192], v[185:186], v[191:192]
	ds_load_b128 v[185:188], v1 offset:1456
	s_wait_loadcnt_dscnt 0x901
	v_mul_f64_e32 v[197:198], v[2:3], v[12:13]
	v_mul_f64_e32 v[12:13], v[4:5], v[12:13]
	v_add_f64_e32 v[179:180], v[179:180], v[195:196]
	v_add_f64_e32 v[189:190], v[191:192], v[189:190]
	s_wait_loadcnt_dscnt 0x800
	v_mul_f64_e32 v[191:192], v[185:186], v[16:17]
	v_mul_f64_e32 v[16:17], v[187:188], v[16:17]
	v_fma_f64 v[193:194], v[4:5], v[10:11], v[197:198]
	v_fma_f64 v[195:196], v[2:3], v[10:11], -v[12:13]
	ds_load_b128 v[2:5], v1 offset:1472
	scratch_load_b128 v[10:13], off, off offset:592
	v_add_f64_e32 v[197:198], v[179:180], v[181:182]
	v_add_f64_e32 v[183:184], v[189:190], v[183:184]
	ds_load_b128 v[179:182], v1 offset:1488
	s_wait_loadcnt_dscnt 0x801
	v_mul_f64_e32 v[189:190], v[2:3], v[20:21]
	v_mul_f64_e32 v[20:21], v[4:5], v[20:21]
	v_fma_f64 v[187:188], v[187:188], v[14:15], v[191:192]
	v_fma_f64 v[185:186], v[185:186], v[14:15], -v[16:17]
	scratch_load_b128 v[14:17], off, off offset:608
	v_add_f64_e32 v[191:192], v[197:198], v[195:196]
	v_add_f64_e32 v[183:184], v[183:184], v[193:194]
	s_wait_loadcnt_dscnt 0x800
	v_mul_f64_e32 v[193:194], v[179:180], v[24:25]
	v_mul_f64_e32 v[24:25], v[181:182], v[24:25]
	v_fma_f64 v[189:190], v[4:5], v[18:19], v[189:190]
	v_fma_f64 v[195:196], v[2:3], v[18:19], -v[20:21]
	ds_load_b128 v[2:5], v1 offset:1504
	scratch_load_b128 v[18:21], off, off offset:624
	v_add_f64_e32 v[191:192], v[191:192], v[185:186]
	v_add_f64_e32 v[187:188], v[183:184], v[187:188]
	ds_load_b128 v[183:186], v1 offset:1520
	s_wait_loadcnt_dscnt 0x801
	v_mul_f64_e32 v[197:198], v[2:3], v[28:29]
	v_mul_f64_e32 v[28:29], v[4:5], v[28:29]
	v_fma_f64 v[181:182], v[181:182], v[22:23], v[193:194]
	v_fma_f64 v[179:180], v[179:180], v[22:23], -v[24:25]
	scratch_load_b128 v[22:25], off, off offset:640
	v_add_f64_e32 v[191:192], v[191:192], v[195:196]
	v_add_f64_e32 v[187:188], v[187:188], v[189:190]
	s_wait_loadcnt_dscnt 0x800
	v_mul_f64_e32 v[189:190], v[183:184], v[32:33]
	v_mul_f64_e32 v[32:33], v[185:186], v[32:33]
	v_fma_f64 v[193:194], v[4:5], v[26:27], v[197:198]
	v_fma_f64 v[195:196], v[2:3], v[26:27], -v[28:29]
	ds_load_b128 v[2:5], v1 offset:1536
	scratch_load_b128 v[26:29], off, off offset:656
	v_add_f64_e32 v[191:192], v[191:192], v[179:180]
	v_add_f64_e32 v[187:188], v[187:188], v[181:182]
	ds_load_b128 v[179:182], v1 offset:1552
	s_wait_loadcnt_dscnt 0x801
	v_mul_f64_e32 v[197:198], v[2:3], v[36:37]
	v_mul_f64_e32 v[36:37], v[4:5], v[36:37]
	v_fma_f64 v[185:186], v[185:186], v[30:31], v[189:190]
	v_fma_f64 v[183:184], v[183:184], v[30:31], -v[32:33]
	scratch_load_b128 v[30:33], off, off offset:672
	v_add_f64_e32 v[189:190], v[191:192], v[195:196]
	v_add_f64_e32 v[187:188], v[187:188], v[193:194]
	s_wait_loadcnt_dscnt 0x800
	v_mul_f64_e32 v[191:192], v[179:180], v[40:41]
	v_mul_f64_e32 v[40:41], v[181:182], v[40:41]
	v_fma_f64 v[193:194], v[4:5], v[34:35], v[197:198]
	v_fma_f64 v[195:196], v[2:3], v[34:35], -v[36:37]
	ds_load_b128 v[2:5], v1 offset:1568
	scratch_load_b128 v[34:37], off, off offset:688
	v_add_f64_e32 v[189:190], v[189:190], v[183:184]
	v_add_f64_e32 v[187:188], v[187:188], v[185:186]
	ds_load_b128 v[183:186], v1 offset:1584
	s_wait_loadcnt_dscnt 0x801
	v_mul_f64_e32 v[197:198], v[2:3], v[44:45]
	v_mul_f64_e32 v[44:45], v[4:5], v[44:45]
	v_fma_f64 v[181:182], v[181:182], v[38:39], v[191:192]
	v_fma_f64 v[179:180], v[179:180], v[38:39], -v[40:41]
	scratch_load_b128 v[38:41], off, off offset:704
	s_wait_loadcnt_dscnt 0x800
	v_mul_f64_e32 v[191:192], v[183:184], v[8:9]
	v_mul_f64_e32 v[8:9], v[185:186], v[8:9]
	v_add_f64_e32 v[189:190], v[189:190], v[195:196]
	v_add_f64_e32 v[187:188], v[187:188], v[193:194]
	v_fma_f64 v[193:194], v[4:5], v[42:43], v[197:198]
	v_fma_f64 v[195:196], v[2:3], v[42:43], -v[44:45]
	ds_load_b128 v[2:5], v1 offset:1600
	scratch_load_b128 v[42:45], off, off offset:720
	v_fma_f64 v[185:186], v[185:186], v[6:7], v[191:192]
	v_fma_f64 v[183:184], v[183:184], v[6:7], -v[8:9]
	scratch_load_b128 v[6:9], off, off offset:736
	v_add_f64_e32 v[189:190], v[189:190], v[179:180]
	v_add_f64_e32 v[187:188], v[187:188], v[181:182]
	ds_load_b128 v[179:182], v1 offset:1616
	s_wait_loadcnt_dscnt 0x901
	v_mul_f64_e32 v[197:198], v[2:3], v[12:13]
	v_mul_f64_e32 v[12:13], v[4:5], v[12:13]
	s_wait_loadcnt_dscnt 0x800
	v_mul_f64_e32 v[191:192], v[179:180], v[16:17]
	v_mul_f64_e32 v[16:17], v[181:182], v[16:17]
	v_add_f64_e32 v[189:190], v[189:190], v[195:196]
	v_add_f64_e32 v[187:188], v[187:188], v[193:194]
	v_fma_f64 v[193:194], v[4:5], v[10:11], v[197:198]
	v_fma_f64 v[195:196], v[2:3], v[10:11], -v[12:13]
	ds_load_b128 v[2:5], v1 offset:1632
	scratch_load_b128 v[10:13], off, off offset:752
	v_fma_f64 v[181:182], v[181:182], v[14:15], v[191:192]
	v_fma_f64 v[179:180], v[179:180], v[14:15], -v[16:17]
	scratch_load_b128 v[14:17], off, off offset:768
	v_add_f64_e32 v[189:190], v[189:190], v[183:184]
	v_add_f64_e32 v[187:188], v[187:188], v[185:186]
	ds_load_b128 v[183:186], v1 offset:1648
	s_wait_loadcnt_dscnt 0x901
	v_mul_f64_e32 v[197:198], v[2:3], v[20:21]
	v_mul_f64_e32 v[20:21], v[4:5], v[20:21]
	;; [unrolled: 18-line block ×10, first 2 shown]
	s_wait_loadcnt_dscnt 0x800
	v_mul_f64_e32 v[191:192], v[183:184], v[8:9]
	v_mul_f64_e32 v[8:9], v[185:186], v[8:9]
	v_add_f64_e32 v[189:190], v[189:190], v[195:196]
	v_add_f64_e32 v[187:188], v[187:188], v[193:194]
	v_fma_f64 v[193:194], v[4:5], v[42:43], v[197:198]
	v_fma_f64 v[195:196], v[2:3], v[42:43], -v[44:45]
	ds_load_b128 v[2:5], v1 offset:1920
	ds_load_b128 v[42:45], v1 offset:1936
	v_fma_f64 v[185:186], v[185:186], v[6:7], v[191:192]
	v_fma_f64 v[6:7], v[183:184], v[6:7], -v[8:9]
	v_add_f64_e32 v[179:180], v[189:190], v[179:180]
	v_add_f64_e32 v[181:182], v[187:188], v[181:182]
	s_wait_loadcnt_dscnt 0x701
	v_mul_f64_e32 v[187:188], v[2:3], v[12:13]
	v_mul_f64_e32 v[12:13], v[4:5], v[12:13]
	s_delay_alu instid0(VALU_DEP_4) | instskip(NEXT) | instid1(VALU_DEP_4)
	v_add_f64_e32 v[8:9], v[179:180], v[195:196]
	v_add_f64_e32 v[179:180], v[181:182], v[193:194]
	s_wait_loadcnt_dscnt 0x600
	v_mul_f64_e32 v[181:182], v[42:43], v[16:17]
	v_mul_f64_e32 v[16:17], v[44:45], v[16:17]
	v_fma_f64 v[183:184], v[4:5], v[10:11], v[187:188]
	v_fma_f64 v[10:11], v[2:3], v[10:11], -v[12:13]
	v_add_f64_e32 v[12:13], v[8:9], v[6:7]
	v_add_f64_e32 v[179:180], v[179:180], v[185:186]
	ds_load_b128 v[2:5], v1 offset:1952
	ds_load_b128 v[6:9], v1 offset:1968
	v_fma_f64 v[44:45], v[44:45], v[14:15], v[181:182]
	v_fma_f64 v[14:15], v[42:43], v[14:15], -v[16:17]
	s_wait_loadcnt_dscnt 0x501
	v_mul_f64_e32 v[185:186], v[2:3], v[20:21]
	v_mul_f64_e32 v[20:21], v[4:5], v[20:21]
	s_wait_loadcnt_dscnt 0x400
	v_mul_f64_e32 v[16:17], v[6:7], v[24:25]
	v_mul_f64_e32 v[24:25], v[8:9], v[24:25]
	v_add_f64_e32 v[10:11], v[12:13], v[10:11]
	v_add_f64_e32 v[12:13], v[179:180], v[183:184]
	v_fma_f64 v[42:43], v[4:5], v[18:19], v[185:186]
	v_fma_f64 v[18:19], v[2:3], v[18:19], -v[20:21]
	v_fma_f64 v[8:9], v[8:9], v[22:23], v[16:17]
	v_fma_f64 v[6:7], v[6:7], v[22:23], -v[24:25]
	v_add_f64_e32 v[14:15], v[10:11], v[14:15]
	v_add_f64_e32 v[20:21], v[12:13], v[44:45]
	ds_load_b128 v[2:5], v1 offset:1984
	ds_load_b128 v[10:13], v1 offset:2000
	s_wait_loadcnt_dscnt 0x301
	v_mul_f64_e32 v[44:45], v[2:3], v[28:29]
	v_mul_f64_e32 v[28:29], v[4:5], v[28:29]
	v_add_f64_e32 v[14:15], v[14:15], v[18:19]
	v_add_f64_e32 v[16:17], v[20:21], v[42:43]
	s_wait_loadcnt_dscnt 0x200
	v_mul_f64_e32 v[18:19], v[10:11], v[32:33]
	v_mul_f64_e32 v[20:21], v[12:13], v[32:33]
	v_fma_f64 v[22:23], v[4:5], v[26:27], v[44:45]
	v_fma_f64 v[24:25], v[2:3], v[26:27], -v[28:29]
	v_add_f64_e32 v[14:15], v[14:15], v[6:7]
	v_add_f64_e32 v[16:17], v[16:17], v[8:9]
	ds_load_b128 v[2:5], v1 offset:2016
	ds_load_b128 v[6:9], v1 offset:2032
	v_fma_f64 v[12:13], v[12:13], v[30:31], v[18:19]
	v_fma_f64 v[10:11], v[10:11], v[30:31], -v[20:21]
	s_wait_loadcnt_dscnt 0x101
	v_mul_f64_e32 v[26:27], v[2:3], v[36:37]
	v_mul_f64_e32 v[28:29], v[4:5], v[36:37]
	s_wait_loadcnt_dscnt 0x0
	v_mul_f64_e32 v[18:19], v[6:7], v[40:41]
	v_mul_f64_e32 v[20:21], v[8:9], v[40:41]
	v_add_f64_e32 v[14:15], v[14:15], v[24:25]
	v_add_f64_e32 v[16:17], v[16:17], v[22:23]
	v_fma_f64 v[4:5], v[4:5], v[34:35], v[26:27]
	v_fma_f64 v[1:2], v[2:3], v[34:35], -v[28:29]
	v_fma_f64 v[8:9], v[8:9], v[38:39], v[18:19]
	v_fma_f64 v[6:7], v[6:7], v[38:39], -v[20:21]
	v_add_f64_e32 v[10:11], v[14:15], v[10:11]
	v_add_f64_e32 v[12:13], v[16:17], v[12:13]
	s_delay_alu instid0(VALU_DEP_2) | instskip(NEXT) | instid1(VALU_DEP_2)
	v_add_f64_e32 v[1:2], v[10:11], v[1:2]
	v_add_f64_e32 v[3:4], v[12:13], v[4:5]
	s_delay_alu instid0(VALU_DEP_2) | instskip(NEXT) | instid1(VALU_DEP_2)
	;; [unrolled: 3-line block ×3, first 2 shown]
	v_add_f64_e64 v[1:2], v[175:176], -v[1:2]
	v_add_f64_e64 v[3:4], v[177:178], -v[3:4]
	scratch_store_b128 off, v[1:4], off offset:224
	v_cmpx_lt_u32_e32 12, v0
	s_cbranch_execz .LBB63_385
; %bb.384:
	scratch_load_b128 v[1:4], off, s67
	v_mov_b32_e32 v5, 0
	s_delay_alu instid0(VALU_DEP_1)
	v_dual_mov_b32 v6, v5 :: v_dual_mov_b32 v7, v5
	v_mov_b32_e32 v8, v5
	scratch_store_b128 off, v[5:8], off offset:208
	s_wait_loadcnt 0x0
	ds_store_b128 v174, v[1:4]
.LBB63_385:
	s_wait_alu 0xfffe
	s_or_b32 exec_lo, exec_lo, s0
	s_wait_storecnt_dscnt 0x0
	s_barrier_signal -1
	s_barrier_wait -1
	global_inv scope:SCOPE_SE
	s_clause 0x7
	scratch_load_b128 v[2:5], off, off offset:224
	scratch_load_b128 v[6:9], off, off offset:240
	;; [unrolled: 1-line block ×8, first 2 shown]
	v_mov_b32_e32 v1, 0
	s_mov_b32 s0, exec_lo
	ds_load_b128 v[38:41], v1 offset:1232
	s_clause 0x1
	scratch_load_b128 v[34:37], off, off offset:352
	scratch_load_b128 v[42:45], off, off offset:208
	ds_load_b128 v[175:178], v1 offset:1248
	scratch_load_b128 v[179:182], off, off offset:368
	s_wait_loadcnt_dscnt 0xa01
	v_mul_f64_e32 v[183:184], v[40:41], v[4:5]
	v_mul_f64_e32 v[4:5], v[38:39], v[4:5]
	s_delay_alu instid0(VALU_DEP_2) | instskip(NEXT) | instid1(VALU_DEP_2)
	v_fma_f64 v[189:190], v[38:39], v[2:3], -v[183:184]
	v_fma_f64 v[191:192], v[40:41], v[2:3], v[4:5]
	ds_load_b128 v[2:5], v1 offset:1264
	s_wait_loadcnt_dscnt 0x901
	v_mul_f64_e32 v[187:188], v[175:176], v[8:9]
	v_mul_f64_e32 v[8:9], v[177:178], v[8:9]
	scratch_load_b128 v[38:41], off, off offset:384
	ds_load_b128 v[183:186], v1 offset:1280
	s_wait_loadcnt_dscnt 0x901
	v_mul_f64_e32 v[193:194], v[2:3], v[12:13]
	v_mul_f64_e32 v[12:13], v[4:5], v[12:13]
	v_fma_f64 v[177:178], v[177:178], v[6:7], v[187:188]
	v_fma_f64 v[175:176], v[175:176], v[6:7], -v[8:9]
	v_add_f64_e32 v[187:188], 0, v[189:190]
	v_add_f64_e32 v[189:190], 0, v[191:192]
	scratch_load_b128 v[6:9], off, off offset:400
	v_fma_f64 v[193:194], v[4:5], v[10:11], v[193:194]
	v_fma_f64 v[195:196], v[2:3], v[10:11], -v[12:13]
	ds_load_b128 v[2:5], v1 offset:1296
	s_wait_loadcnt_dscnt 0x901
	v_mul_f64_e32 v[191:192], v[183:184], v[16:17]
	v_mul_f64_e32 v[16:17], v[185:186], v[16:17]
	scratch_load_b128 v[10:13], off, off offset:416
	v_add_f64_e32 v[187:188], v[187:188], v[175:176]
	v_add_f64_e32 v[189:190], v[189:190], v[177:178]
	s_wait_loadcnt_dscnt 0x900
	v_mul_f64_e32 v[197:198], v[2:3], v[20:21]
	v_mul_f64_e32 v[20:21], v[4:5], v[20:21]
	ds_load_b128 v[175:178], v1 offset:1312
	v_fma_f64 v[185:186], v[185:186], v[14:15], v[191:192]
	v_fma_f64 v[183:184], v[183:184], v[14:15], -v[16:17]
	scratch_load_b128 v[14:17], off, off offset:432
	v_add_f64_e32 v[187:188], v[187:188], v[195:196]
	v_add_f64_e32 v[189:190], v[189:190], v[193:194]
	v_fma_f64 v[193:194], v[4:5], v[18:19], v[197:198]
	v_fma_f64 v[195:196], v[2:3], v[18:19], -v[20:21]
	ds_load_b128 v[2:5], v1 offset:1328
	s_wait_loadcnt_dscnt 0x901
	v_mul_f64_e32 v[191:192], v[175:176], v[24:25]
	v_mul_f64_e32 v[24:25], v[177:178], v[24:25]
	scratch_load_b128 v[18:21], off, off offset:448
	s_wait_loadcnt_dscnt 0x900
	v_mul_f64_e32 v[197:198], v[2:3], v[28:29]
	v_mul_f64_e32 v[28:29], v[4:5], v[28:29]
	v_add_f64_e32 v[187:188], v[187:188], v[183:184]
	v_add_f64_e32 v[189:190], v[189:190], v[185:186]
	ds_load_b128 v[183:186], v1 offset:1344
	v_fma_f64 v[177:178], v[177:178], v[22:23], v[191:192]
	v_fma_f64 v[175:176], v[175:176], v[22:23], -v[24:25]
	scratch_load_b128 v[22:25], off, off offset:464
	v_add_f64_e32 v[187:188], v[187:188], v[195:196]
	v_add_f64_e32 v[189:190], v[189:190], v[193:194]
	v_fma_f64 v[193:194], v[4:5], v[26:27], v[197:198]
	v_fma_f64 v[195:196], v[2:3], v[26:27], -v[28:29]
	ds_load_b128 v[2:5], v1 offset:1360
	s_wait_loadcnt_dscnt 0x901
	v_mul_f64_e32 v[191:192], v[183:184], v[32:33]
	v_mul_f64_e32 v[32:33], v[185:186], v[32:33]
	scratch_load_b128 v[26:29], off, off offset:480
	s_wait_loadcnt_dscnt 0x900
	v_mul_f64_e32 v[197:198], v[2:3], v[36:37]
	v_mul_f64_e32 v[36:37], v[4:5], v[36:37]
	v_add_f64_e32 v[187:188], v[187:188], v[175:176]
	v_add_f64_e32 v[189:190], v[189:190], v[177:178]
	ds_load_b128 v[175:178], v1 offset:1376
	v_fma_f64 v[185:186], v[185:186], v[30:31], v[191:192]
	v_fma_f64 v[183:184], v[183:184], v[30:31], -v[32:33]
	scratch_load_b128 v[30:33], off, off offset:496
	v_add_f64_e32 v[187:188], v[187:188], v[195:196]
	v_add_f64_e32 v[189:190], v[189:190], v[193:194]
	v_fma_f64 v[195:196], v[4:5], v[34:35], v[197:198]
	v_fma_f64 v[197:198], v[2:3], v[34:35], -v[36:37]
	ds_load_b128 v[2:5], v1 offset:1392
	s_wait_loadcnt_dscnt 0x801
	v_mul_f64_e32 v[191:192], v[175:176], v[181:182]
	v_mul_f64_e32 v[193:194], v[177:178], v[181:182]
	scratch_load_b128 v[34:37], off, off offset:512
	v_add_f64_e32 v[187:188], v[187:188], v[183:184]
	v_add_f64_e32 v[185:186], v[189:190], v[185:186]
	ds_load_b128 v[181:184], v1 offset:1408
	v_fma_f64 v[191:192], v[177:178], v[179:180], v[191:192]
	v_fma_f64 v[179:180], v[175:176], v[179:180], -v[193:194]
	scratch_load_b128 v[175:178], off, off offset:528
	s_wait_loadcnt_dscnt 0x901
	v_mul_f64_e32 v[189:190], v[2:3], v[40:41]
	v_mul_f64_e32 v[40:41], v[4:5], v[40:41]
	v_add_f64_e32 v[187:188], v[187:188], v[197:198]
	v_add_f64_e32 v[185:186], v[185:186], v[195:196]
	s_delay_alu instid0(VALU_DEP_4) | instskip(NEXT) | instid1(VALU_DEP_4)
	v_fma_f64 v[189:190], v[4:5], v[38:39], v[189:190]
	v_fma_f64 v[195:196], v[2:3], v[38:39], -v[40:41]
	ds_load_b128 v[2:5], v1 offset:1424
	s_wait_loadcnt_dscnt 0x801
	v_mul_f64_e32 v[193:194], v[181:182], v[8:9]
	v_mul_f64_e32 v[8:9], v[183:184], v[8:9]
	scratch_load_b128 v[38:41], off, off offset:544
	s_wait_loadcnt_dscnt 0x800
	v_mul_f64_e32 v[197:198], v[2:3], v[12:13]
	v_add_f64_e32 v[179:180], v[187:188], v[179:180]
	v_add_f64_e32 v[191:192], v[185:186], v[191:192]
	v_mul_f64_e32 v[12:13], v[4:5], v[12:13]
	ds_load_b128 v[185:188], v1 offset:1440
	v_fma_f64 v[183:184], v[183:184], v[6:7], v[193:194]
	v_fma_f64 v[181:182], v[181:182], v[6:7], -v[8:9]
	scratch_load_b128 v[6:9], off, off offset:560
	v_fma_f64 v[193:194], v[4:5], v[10:11], v[197:198]
	v_add_f64_e32 v[179:180], v[179:180], v[195:196]
	v_add_f64_e32 v[189:190], v[191:192], v[189:190]
	v_fma_f64 v[195:196], v[2:3], v[10:11], -v[12:13]
	ds_load_b128 v[2:5], v1 offset:1456
	s_wait_loadcnt_dscnt 0x801
	v_mul_f64_e32 v[191:192], v[185:186], v[16:17]
	v_mul_f64_e32 v[16:17], v[187:188], v[16:17]
	scratch_load_b128 v[10:13], off, off offset:576
	v_add_f64_e32 v[197:198], v[179:180], v[181:182]
	v_add_f64_e32 v[183:184], v[189:190], v[183:184]
	s_wait_loadcnt_dscnt 0x800
	v_mul_f64_e32 v[189:190], v[2:3], v[20:21]
	v_mul_f64_e32 v[20:21], v[4:5], v[20:21]
	v_fma_f64 v[187:188], v[187:188], v[14:15], v[191:192]
	v_fma_f64 v[185:186], v[185:186], v[14:15], -v[16:17]
	ds_load_b128 v[179:182], v1 offset:1472
	scratch_load_b128 v[14:17], off, off offset:592
	v_add_f64_e32 v[191:192], v[197:198], v[195:196]
	v_add_f64_e32 v[183:184], v[183:184], v[193:194]
	v_fma_f64 v[189:190], v[4:5], v[18:19], v[189:190]
	v_fma_f64 v[195:196], v[2:3], v[18:19], -v[20:21]
	ds_load_b128 v[2:5], v1 offset:1488
	s_wait_loadcnt_dscnt 0x801
	v_mul_f64_e32 v[193:194], v[179:180], v[24:25]
	v_mul_f64_e32 v[24:25], v[181:182], v[24:25]
	scratch_load_b128 v[18:21], off, off offset:608
	s_wait_loadcnt_dscnt 0x800
	v_mul_f64_e32 v[197:198], v[2:3], v[28:29]
	v_mul_f64_e32 v[28:29], v[4:5], v[28:29]
	v_add_f64_e32 v[191:192], v[191:192], v[185:186]
	v_add_f64_e32 v[187:188], v[183:184], v[187:188]
	ds_load_b128 v[183:186], v1 offset:1504
	v_fma_f64 v[181:182], v[181:182], v[22:23], v[193:194]
	v_fma_f64 v[179:180], v[179:180], v[22:23], -v[24:25]
	scratch_load_b128 v[22:25], off, off offset:624
	v_fma_f64 v[193:194], v[4:5], v[26:27], v[197:198]
	v_add_f64_e32 v[191:192], v[191:192], v[195:196]
	v_add_f64_e32 v[187:188], v[187:188], v[189:190]
	v_fma_f64 v[195:196], v[2:3], v[26:27], -v[28:29]
	ds_load_b128 v[2:5], v1 offset:1520
	s_wait_loadcnt_dscnt 0x801
	v_mul_f64_e32 v[189:190], v[183:184], v[32:33]
	v_mul_f64_e32 v[32:33], v[185:186], v[32:33]
	scratch_load_b128 v[26:29], off, off offset:640
	s_wait_loadcnt_dscnt 0x800
	v_mul_f64_e32 v[197:198], v[2:3], v[36:37]
	v_mul_f64_e32 v[36:37], v[4:5], v[36:37]
	v_add_f64_e32 v[191:192], v[191:192], v[179:180]
	v_add_f64_e32 v[187:188], v[187:188], v[181:182]
	ds_load_b128 v[179:182], v1 offset:1536
	v_fma_f64 v[185:186], v[185:186], v[30:31], v[189:190]
	v_fma_f64 v[183:184], v[183:184], v[30:31], -v[32:33]
	scratch_load_b128 v[30:33], off, off offset:656
	v_add_f64_e32 v[189:190], v[191:192], v[195:196]
	v_add_f64_e32 v[187:188], v[187:188], v[193:194]
	v_fma_f64 v[193:194], v[4:5], v[34:35], v[197:198]
	v_fma_f64 v[195:196], v[2:3], v[34:35], -v[36:37]
	ds_load_b128 v[2:5], v1 offset:1552
	s_wait_loadcnt_dscnt 0x801
	v_mul_f64_e32 v[191:192], v[179:180], v[177:178]
	v_mul_f64_e32 v[177:178], v[181:182], v[177:178]
	scratch_load_b128 v[34:37], off, off offset:672
	s_wait_loadcnt_dscnt 0x800
	v_mul_f64_e32 v[197:198], v[2:3], v[40:41]
	v_mul_f64_e32 v[40:41], v[4:5], v[40:41]
	v_add_f64_e32 v[189:190], v[189:190], v[183:184]
	v_add_f64_e32 v[187:188], v[187:188], v[185:186]
	ds_load_b128 v[183:186], v1 offset:1568
	v_fma_f64 v[181:182], v[181:182], v[175:176], v[191:192]
	v_fma_f64 v[179:180], v[179:180], v[175:176], -v[177:178]
	scratch_load_b128 v[175:178], off, off offset:688
	v_add_f64_e32 v[189:190], v[189:190], v[195:196]
	v_add_f64_e32 v[187:188], v[187:188], v[193:194]
	v_fma_f64 v[193:194], v[4:5], v[38:39], v[197:198]
	v_fma_f64 v[195:196], v[2:3], v[38:39], -v[40:41]
	ds_load_b128 v[2:5], v1 offset:1584
	s_wait_loadcnt_dscnt 0x801
	v_mul_f64_e32 v[191:192], v[183:184], v[8:9]
	v_mul_f64_e32 v[8:9], v[185:186], v[8:9]
	scratch_load_b128 v[38:41], off, off offset:704
	s_wait_loadcnt_dscnt 0x800
	v_mul_f64_e32 v[197:198], v[2:3], v[12:13]
	v_mul_f64_e32 v[12:13], v[4:5], v[12:13]
	v_add_f64_e32 v[189:190], v[189:190], v[179:180]
	v_add_f64_e32 v[187:188], v[187:188], v[181:182]
	ds_load_b128 v[179:182], v1 offset:1600
	v_fma_f64 v[185:186], v[185:186], v[6:7], v[191:192]
	v_fma_f64 v[183:184], v[183:184], v[6:7], -v[8:9]
	scratch_load_b128 v[6:9], off, off offset:720
	v_add_f64_e32 v[189:190], v[189:190], v[195:196]
	v_add_f64_e32 v[187:188], v[187:188], v[193:194]
	v_fma_f64 v[193:194], v[4:5], v[10:11], v[197:198]
	v_fma_f64 v[195:196], v[2:3], v[10:11], -v[12:13]
	ds_load_b128 v[2:5], v1 offset:1616
	s_wait_loadcnt_dscnt 0x801
	v_mul_f64_e32 v[191:192], v[179:180], v[16:17]
	v_mul_f64_e32 v[16:17], v[181:182], v[16:17]
	scratch_load_b128 v[10:13], off, off offset:736
	s_wait_loadcnt_dscnt 0x800
	v_mul_f64_e32 v[197:198], v[2:3], v[20:21]
	v_mul_f64_e32 v[20:21], v[4:5], v[20:21]
	v_add_f64_e32 v[189:190], v[189:190], v[183:184]
	v_add_f64_e32 v[187:188], v[187:188], v[185:186]
	ds_load_b128 v[183:186], v1 offset:1632
	v_fma_f64 v[181:182], v[181:182], v[14:15], v[191:192]
	v_fma_f64 v[179:180], v[179:180], v[14:15], -v[16:17]
	scratch_load_b128 v[14:17], off, off offset:752
	v_add_f64_e32 v[189:190], v[189:190], v[195:196]
	v_add_f64_e32 v[187:188], v[187:188], v[193:194]
	v_fma_f64 v[193:194], v[4:5], v[18:19], v[197:198]
	v_fma_f64 v[195:196], v[2:3], v[18:19], -v[20:21]
	ds_load_b128 v[2:5], v1 offset:1648
	s_wait_loadcnt_dscnt 0x801
	v_mul_f64_e32 v[191:192], v[183:184], v[24:25]
	v_mul_f64_e32 v[24:25], v[185:186], v[24:25]
	scratch_load_b128 v[18:21], off, off offset:768
	s_wait_loadcnt_dscnt 0x800
	v_mul_f64_e32 v[197:198], v[2:3], v[28:29]
	v_mul_f64_e32 v[28:29], v[4:5], v[28:29]
	v_add_f64_e32 v[189:190], v[189:190], v[179:180]
	v_add_f64_e32 v[187:188], v[187:188], v[181:182]
	ds_load_b128 v[179:182], v1 offset:1664
	v_fma_f64 v[185:186], v[185:186], v[22:23], v[191:192]
	v_fma_f64 v[183:184], v[183:184], v[22:23], -v[24:25]
	scratch_load_b128 v[22:25], off, off offset:784
	v_add_f64_e32 v[189:190], v[189:190], v[195:196]
	v_add_f64_e32 v[187:188], v[187:188], v[193:194]
	v_fma_f64 v[193:194], v[4:5], v[26:27], v[197:198]
	v_fma_f64 v[195:196], v[2:3], v[26:27], -v[28:29]
	ds_load_b128 v[2:5], v1 offset:1680
	s_wait_loadcnt_dscnt 0x801
	v_mul_f64_e32 v[191:192], v[179:180], v[32:33]
	v_mul_f64_e32 v[32:33], v[181:182], v[32:33]
	scratch_load_b128 v[26:29], off, off offset:800
	s_wait_loadcnt_dscnt 0x800
	v_mul_f64_e32 v[197:198], v[2:3], v[36:37]
	v_mul_f64_e32 v[36:37], v[4:5], v[36:37]
	v_add_f64_e32 v[189:190], v[189:190], v[183:184]
	v_add_f64_e32 v[187:188], v[187:188], v[185:186]
	ds_load_b128 v[183:186], v1 offset:1696
	v_fma_f64 v[181:182], v[181:182], v[30:31], v[191:192]
	v_fma_f64 v[179:180], v[179:180], v[30:31], -v[32:33]
	scratch_load_b128 v[30:33], off, off offset:816
	v_add_f64_e32 v[189:190], v[189:190], v[195:196]
	v_add_f64_e32 v[187:188], v[187:188], v[193:194]
	v_fma_f64 v[195:196], v[4:5], v[34:35], v[197:198]
	v_fma_f64 v[197:198], v[2:3], v[34:35], -v[36:37]
	ds_load_b128 v[2:5], v1 offset:1712
	s_wait_loadcnt_dscnt 0x801
	v_mul_f64_e32 v[191:192], v[183:184], v[177:178]
	v_mul_f64_e32 v[193:194], v[185:186], v[177:178]
	scratch_load_b128 v[34:37], off, off offset:832
	v_add_f64_e32 v[189:190], v[189:190], v[179:180]
	v_add_f64_e32 v[181:182], v[187:188], v[181:182]
	s_wait_loadcnt_dscnt 0x800
	v_mul_f64_e32 v[187:188], v[2:3], v[40:41]
	v_mul_f64_e32 v[40:41], v[4:5], v[40:41]
	ds_load_b128 v[177:180], v1 offset:1728
	v_fma_f64 v[185:186], v[185:186], v[175:176], v[191:192]
	v_fma_f64 v[175:176], v[183:184], v[175:176], -v[193:194]
	v_add_f64_e32 v[189:190], v[189:190], v[197:198]
	v_add_f64_e32 v[191:192], v[181:182], v[195:196]
	scratch_load_b128 v[181:184], off, off offset:848
	v_fma_f64 v[195:196], v[4:5], v[38:39], v[187:188]
	v_fma_f64 v[197:198], v[2:3], v[38:39], -v[40:41]
	ds_load_b128 v[2:5], v1 offset:1744
	s_wait_loadcnt_dscnt 0x801
	v_mul_f64_e32 v[193:194], v[177:178], v[8:9]
	v_mul_f64_e32 v[8:9], v[179:180], v[8:9]
	scratch_load_b128 v[38:41], off, off offset:864
	v_add_f64_e32 v[175:176], v[189:190], v[175:176]
	v_add_f64_e32 v[189:190], v[191:192], v[185:186]
	s_wait_loadcnt_dscnt 0x800
	v_mul_f64_e32 v[191:192], v[2:3], v[12:13]
	v_mul_f64_e32 v[12:13], v[4:5], v[12:13]
	ds_load_b128 v[185:188], v1 offset:1760
	v_fma_f64 v[179:180], v[179:180], v[6:7], v[193:194]
	v_fma_f64 v[177:178], v[177:178], v[6:7], -v[8:9]
	scratch_load_b128 v[6:9], off, off offset:880
	v_add_f64_e32 v[175:176], v[175:176], v[197:198]
	v_add_f64_e32 v[189:190], v[189:190], v[195:196]
	v_fma_f64 v[191:192], v[4:5], v[10:11], v[191:192]
	v_fma_f64 v[195:196], v[2:3], v[10:11], -v[12:13]
	ds_load_b128 v[2:5], v1 offset:1776
	s_wait_loadcnt_dscnt 0x801
	v_mul_f64_e32 v[193:194], v[185:186], v[16:17]
	v_mul_f64_e32 v[16:17], v[187:188], v[16:17]
	scratch_load_b128 v[10:13], off, off offset:896
	v_add_f64_e32 v[197:198], v[175:176], v[177:178]
	v_add_f64_e32 v[179:180], v[189:190], v[179:180]
	s_wait_loadcnt_dscnt 0x800
	v_mul_f64_e32 v[189:190], v[2:3], v[20:21]
	v_mul_f64_e32 v[20:21], v[4:5], v[20:21]
	ds_load_b128 v[175:178], v1 offset:1792
	v_fma_f64 v[187:188], v[187:188], v[14:15], v[193:194]
	v_fma_f64 v[185:186], v[185:186], v[14:15], -v[16:17]
	scratch_load_b128 v[14:17], off, off offset:912
	v_add_f64_e32 v[193:194], v[197:198], v[195:196]
	v_add_f64_e32 v[179:180], v[179:180], v[191:192]
	v_fma_f64 v[189:190], v[4:5], v[18:19], v[189:190]
	v_fma_f64 v[195:196], v[2:3], v[18:19], -v[20:21]
	ds_load_b128 v[2:5], v1 offset:1808
	s_wait_loadcnt_dscnt 0x801
	v_mul_f64_e32 v[191:192], v[175:176], v[24:25]
	v_mul_f64_e32 v[24:25], v[177:178], v[24:25]
	scratch_load_b128 v[18:21], off, off offset:928
	s_wait_loadcnt_dscnt 0x800
	v_mul_f64_e32 v[197:198], v[2:3], v[28:29]
	v_mul_f64_e32 v[28:29], v[4:5], v[28:29]
	v_add_f64_e32 v[193:194], v[193:194], v[185:186]
	v_add_f64_e32 v[179:180], v[179:180], v[187:188]
	ds_load_b128 v[185:188], v1 offset:1824
	v_fma_f64 v[177:178], v[177:178], v[22:23], v[191:192]
	v_fma_f64 v[175:176], v[175:176], v[22:23], -v[24:25]
	scratch_load_b128 v[22:25], off, off offset:944
	v_add_f64_e32 v[191:192], v[193:194], v[195:196]
	v_add_f64_e32 v[179:180], v[179:180], v[189:190]
	v_fma_f64 v[193:194], v[4:5], v[26:27], v[197:198]
	v_fma_f64 v[195:196], v[2:3], v[26:27], -v[28:29]
	ds_load_b128 v[2:5], v1 offset:1840
	s_wait_loadcnt_dscnt 0x801
	v_mul_f64_e32 v[189:190], v[185:186], v[32:33]
	v_mul_f64_e32 v[32:33], v[187:188], v[32:33]
	scratch_load_b128 v[26:29], off, off offset:960
	s_wait_loadcnt_dscnt 0x800
	v_mul_f64_e32 v[197:198], v[2:3], v[36:37]
	v_mul_f64_e32 v[36:37], v[4:5], v[36:37]
	v_add_f64_e32 v[191:192], v[191:192], v[175:176]
	v_add_f64_e32 v[179:180], v[179:180], v[177:178]
	ds_load_b128 v[175:178], v1 offset:1856
	v_fma_f64 v[187:188], v[187:188], v[30:31], v[189:190]
	v_fma_f64 v[185:186], v[185:186], v[30:31], -v[32:33]
	scratch_load_b128 v[30:33], off, off offset:976
	v_add_f64_e32 v[189:190], v[191:192], v[195:196]
	v_add_f64_e32 v[179:180], v[179:180], v[193:194]
	v_fma_f64 v[195:196], v[4:5], v[34:35], v[197:198]
	v_fma_f64 v[197:198], v[2:3], v[34:35], -v[36:37]
	ds_load_b128 v[2:5], v1 offset:1872
	scratch_load_b128 v[34:37], off, off offset:992
	s_wait_loadcnt_dscnt 0x901
	v_mul_f64_e32 v[191:192], v[175:176], v[183:184]
	v_mul_f64_e32 v[193:194], v[177:178], v[183:184]
	v_add_f64_e32 v[189:190], v[189:190], v[185:186]
	v_add_f64_e32 v[179:180], v[179:180], v[187:188]
	s_wait_loadcnt_dscnt 0x800
	v_mul_f64_e32 v[187:188], v[2:3], v[40:41]
	v_mul_f64_e32 v[40:41], v[4:5], v[40:41]
	ds_load_b128 v[183:186], v1 offset:1888
	v_fma_f64 v[191:192], v[177:178], v[181:182], v[191:192]
	v_fma_f64 v[181:182], v[175:176], v[181:182], -v[193:194]
	scratch_load_b128 v[175:178], off, off offset:1008
	v_add_f64_e32 v[189:190], v[189:190], v[197:198]
	v_add_f64_e32 v[179:180], v[179:180], v[195:196]
	v_fma_f64 v[187:188], v[4:5], v[38:39], v[187:188]
	v_fma_f64 v[195:196], v[2:3], v[38:39], -v[40:41]
	ds_load_b128 v[2:5], v1 offset:1904
	s_wait_loadcnt_dscnt 0x801
	v_mul_f64_e32 v[193:194], v[183:184], v[8:9]
	v_mul_f64_e32 v[8:9], v[185:186], v[8:9]
	scratch_load_b128 v[38:41], off, off offset:1024
	s_wait_loadcnt_dscnt 0x800
	v_mul_f64_e32 v[197:198], v[2:3], v[12:13]
	v_mul_f64_e32 v[12:13], v[4:5], v[12:13]
	v_add_f64_e32 v[189:190], v[189:190], v[181:182]
	v_add_f64_e32 v[191:192], v[179:180], v[191:192]
	ds_load_b128 v[179:182], v1 offset:1920
	v_fma_f64 v[185:186], v[185:186], v[6:7], v[193:194]
	v_fma_f64 v[6:7], v[183:184], v[6:7], -v[8:9]
	v_add_f64_e32 v[8:9], v[189:190], v[195:196]
	v_add_f64_e32 v[183:184], v[191:192], v[187:188]
	s_wait_loadcnt_dscnt 0x700
	v_mul_f64_e32 v[187:188], v[179:180], v[16:17]
	v_mul_f64_e32 v[16:17], v[181:182], v[16:17]
	v_fma_f64 v[189:190], v[4:5], v[10:11], v[197:198]
	v_fma_f64 v[10:11], v[2:3], v[10:11], -v[12:13]
	v_add_f64_e32 v[12:13], v[8:9], v[6:7]
	v_add_f64_e32 v[183:184], v[183:184], v[185:186]
	ds_load_b128 v[2:5], v1 offset:1936
	ds_load_b128 v[6:9], v1 offset:1952
	v_fma_f64 v[181:182], v[181:182], v[14:15], v[187:188]
	v_fma_f64 v[14:15], v[179:180], v[14:15], -v[16:17]
	s_wait_loadcnt_dscnt 0x601
	v_mul_f64_e32 v[185:186], v[2:3], v[20:21]
	v_mul_f64_e32 v[20:21], v[4:5], v[20:21]
	s_wait_loadcnt_dscnt 0x500
	v_mul_f64_e32 v[16:17], v[6:7], v[24:25]
	v_mul_f64_e32 v[24:25], v[8:9], v[24:25]
	v_add_f64_e32 v[10:11], v[12:13], v[10:11]
	v_add_f64_e32 v[12:13], v[183:184], v[189:190]
	v_fma_f64 v[179:180], v[4:5], v[18:19], v[185:186]
	v_fma_f64 v[18:19], v[2:3], v[18:19], -v[20:21]
	v_fma_f64 v[8:9], v[8:9], v[22:23], v[16:17]
	v_fma_f64 v[6:7], v[6:7], v[22:23], -v[24:25]
	v_add_f64_e32 v[14:15], v[10:11], v[14:15]
	v_add_f64_e32 v[20:21], v[12:13], v[181:182]
	ds_load_b128 v[2:5], v1 offset:1968
	ds_load_b128 v[10:13], v1 offset:1984
	s_wait_loadcnt_dscnt 0x401
	v_mul_f64_e32 v[181:182], v[2:3], v[28:29]
	v_mul_f64_e32 v[28:29], v[4:5], v[28:29]
	v_add_f64_e32 v[14:15], v[14:15], v[18:19]
	v_add_f64_e32 v[16:17], v[20:21], v[179:180]
	s_wait_loadcnt_dscnt 0x300
	v_mul_f64_e32 v[18:19], v[10:11], v[32:33]
	v_mul_f64_e32 v[20:21], v[12:13], v[32:33]
	v_fma_f64 v[22:23], v[4:5], v[26:27], v[181:182]
	v_fma_f64 v[24:25], v[2:3], v[26:27], -v[28:29]
	v_add_f64_e32 v[14:15], v[14:15], v[6:7]
	v_add_f64_e32 v[16:17], v[16:17], v[8:9]
	ds_load_b128 v[2:5], v1 offset:2000
	ds_load_b128 v[6:9], v1 offset:2016
	v_fma_f64 v[12:13], v[12:13], v[30:31], v[18:19]
	v_fma_f64 v[10:11], v[10:11], v[30:31], -v[20:21]
	s_wait_loadcnt_dscnt 0x201
	v_mul_f64_e32 v[26:27], v[2:3], v[36:37]
	v_mul_f64_e32 v[28:29], v[4:5], v[36:37]
	s_wait_loadcnt_dscnt 0x100
	v_mul_f64_e32 v[18:19], v[6:7], v[177:178]
	v_mul_f64_e32 v[20:21], v[8:9], v[177:178]
	v_add_f64_e32 v[14:15], v[14:15], v[24:25]
	v_add_f64_e32 v[16:17], v[16:17], v[22:23]
	v_fma_f64 v[22:23], v[4:5], v[34:35], v[26:27]
	v_fma_f64 v[24:25], v[2:3], v[34:35], -v[28:29]
	ds_load_b128 v[2:5], v1 offset:2032
	v_fma_f64 v[8:9], v[8:9], v[175:176], v[18:19]
	v_fma_f64 v[6:7], v[6:7], v[175:176], -v[20:21]
	v_add_f64_e32 v[10:11], v[14:15], v[10:11]
	v_add_f64_e32 v[12:13], v[16:17], v[12:13]
	s_wait_loadcnt_dscnt 0x0
	v_mul_f64_e32 v[14:15], v[2:3], v[40:41]
	v_mul_f64_e32 v[16:17], v[4:5], v[40:41]
	s_delay_alu instid0(VALU_DEP_4) | instskip(NEXT) | instid1(VALU_DEP_4)
	v_add_f64_e32 v[10:11], v[10:11], v[24:25]
	v_add_f64_e32 v[12:13], v[12:13], v[22:23]
	s_delay_alu instid0(VALU_DEP_4) | instskip(NEXT) | instid1(VALU_DEP_4)
	v_fma_f64 v[4:5], v[4:5], v[38:39], v[14:15]
	v_fma_f64 v[2:3], v[2:3], v[38:39], -v[16:17]
	s_delay_alu instid0(VALU_DEP_4) | instskip(NEXT) | instid1(VALU_DEP_4)
	v_add_f64_e32 v[6:7], v[10:11], v[6:7]
	v_add_f64_e32 v[8:9], v[12:13], v[8:9]
	s_delay_alu instid0(VALU_DEP_2) | instskip(NEXT) | instid1(VALU_DEP_2)
	v_add_f64_e32 v[2:3], v[6:7], v[2:3]
	v_add_f64_e32 v[4:5], v[8:9], v[4:5]
	s_delay_alu instid0(VALU_DEP_2) | instskip(NEXT) | instid1(VALU_DEP_2)
	v_add_f64_e64 v[2:3], v[42:43], -v[2:3]
	v_add_f64_e64 v[4:5], v[44:45], -v[4:5]
	scratch_store_b128 off, v[2:5], off offset:208
	v_cmpx_lt_u32_e32 11, v0
	s_cbranch_execz .LBB63_387
; %bb.386:
	scratch_load_b128 v[5:8], off, s68
	v_dual_mov_b32 v2, v1 :: v_dual_mov_b32 v3, v1
	v_mov_b32_e32 v4, v1
	scratch_store_b128 off, v[1:4], off offset:192
	s_wait_loadcnt 0x0
	ds_store_b128 v174, v[5:8]
.LBB63_387:
	s_wait_alu 0xfffe
	s_or_b32 exec_lo, exec_lo, s0
	s_wait_storecnt_dscnt 0x0
	s_barrier_signal -1
	s_barrier_wait -1
	global_inv scope:SCOPE_SE
	s_clause 0x8
	scratch_load_b128 v[2:5], off, off offset:208
	scratch_load_b128 v[6:9], off, off offset:224
	;; [unrolled: 1-line block ×9, first 2 shown]
	ds_load_b128 v[42:45], v1 offset:1216
	ds_load_b128 v[38:41], v1 offset:1232
	s_clause 0x1
	scratch_load_b128 v[175:178], off, off offset:192
	scratch_load_b128 v[179:182], off, off offset:352
	s_mov_b32 s0, exec_lo
	s_wait_loadcnt_dscnt 0xa01
	v_mul_f64_e32 v[183:184], v[44:45], v[4:5]
	v_mul_f64_e32 v[4:5], v[42:43], v[4:5]
	s_wait_loadcnt_dscnt 0x900
	v_mul_f64_e32 v[187:188], v[38:39], v[8:9]
	v_mul_f64_e32 v[8:9], v[40:41], v[8:9]
	s_delay_alu instid0(VALU_DEP_4) | instskip(NEXT) | instid1(VALU_DEP_4)
	v_fma_f64 v[189:190], v[42:43], v[2:3], -v[183:184]
	v_fma_f64 v[191:192], v[44:45], v[2:3], v[4:5]
	ds_load_b128 v[2:5], v1 offset:1248
	ds_load_b128 v[183:186], v1 offset:1264
	scratch_load_b128 v[42:45], off, off offset:368
	v_fma_f64 v[40:41], v[40:41], v[6:7], v[187:188]
	v_fma_f64 v[38:39], v[38:39], v[6:7], -v[8:9]
	scratch_load_b128 v[6:9], off, off offset:384
	s_wait_loadcnt_dscnt 0xa01
	v_mul_f64_e32 v[193:194], v[2:3], v[12:13]
	v_mul_f64_e32 v[12:13], v[4:5], v[12:13]
	v_add_f64_e32 v[187:188], 0, v[189:190]
	v_add_f64_e32 v[189:190], 0, v[191:192]
	s_wait_loadcnt_dscnt 0x900
	v_mul_f64_e32 v[191:192], v[183:184], v[16:17]
	v_mul_f64_e32 v[16:17], v[185:186], v[16:17]
	v_fma_f64 v[193:194], v[4:5], v[10:11], v[193:194]
	v_fma_f64 v[195:196], v[2:3], v[10:11], -v[12:13]
	ds_load_b128 v[2:5], v1 offset:1280
	scratch_load_b128 v[10:13], off, off offset:400
	v_add_f64_e32 v[187:188], v[187:188], v[38:39]
	v_add_f64_e32 v[189:190], v[189:190], v[40:41]
	ds_load_b128 v[38:41], v1 offset:1296
	v_fma_f64 v[185:186], v[185:186], v[14:15], v[191:192]
	v_fma_f64 v[183:184], v[183:184], v[14:15], -v[16:17]
	scratch_load_b128 v[14:17], off, off offset:416
	s_wait_loadcnt_dscnt 0xa01
	v_mul_f64_e32 v[197:198], v[2:3], v[20:21]
	v_mul_f64_e32 v[20:21], v[4:5], v[20:21]
	s_wait_loadcnt_dscnt 0x900
	v_mul_f64_e32 v[191:192], v[38:39], v[24:25]
	v_mul_f64_e32 v[24:25], v[40:41], v[24:25]
	v_add_f64_e32 v[187:188], v[187:188], v[195:196]
	v_add_f64_e32 v[189:190], v[189:190], v[193:194]
	v_fma_f64 v[193:194], v[4:5], v[18:19], v[197:198]
	v_fma_f64 v[195:196], v[2:3], v[18:19], -v[20:21]
	ds_load_b128 v[2:5], v1 offset:1312
	scratch_load_b128 v[18:21], off, off offset:432
	v_fma_f64 v[40:41], v[40:41], v[22:23], v[191:192]
	v_fma_f64 v[38:39], v[38:39], v[22:23], -v[24:25]
	scratch_load_b128 v[22:25], off, off offset:448
	v_add_f64_e32 v[187:188], v[187:188], v[183:184]
	v_add_f64_e32 v[189:190], v[189:190], v[185:186]
	ds_load_b128 v[183:186], v1 offset:1328
	s_wait_loadcnt_dscnt 0xa01
	v_mul_f64_e32 v[197:198], v[2:3], v[28:29]
	v_mul_f64_e32 v[28:29], v[4:5], v[28:29]
	s_wait_loadcnt_dscnt 0x900
	v_mul_f64_e32 v[191:192], v[183:184], v[32:33]
	v_mul_f64_e32 v[32:33], v[185:186], v[32:33]
	v_add_f64_e32 v[187:188], v[187:188], v[195:196]
	v_add_f64_e32 v[189:190], v[189:190], v[193:194]
	v_fma_f64 v[193:194], v[4:5], v[26:27], v[197:198]
	v_fma_f64 v[195:196], v[2:3], v[26:27], -v[28:29]
	ds_load_b128 v[2:5], v1 offset:1344
	scratch_load_b128 v[26:29], off, off offset:464
	v_fma_f64 v[185:186], v[185:186], v[30:31], v[191:192]
	v_fma_f64 v[183:184], v[183:184], v[30:31], -v[32:33]
	scratch_load_b128 v[30:33], off, off offset:480
	v_add_f64_e32 v[187:188], v[187:188], v[38:39]
	v_add_f64_e32 v[189:190], v[189:190], v[40:41]
	ds_load_b128 v[38:41], v1 offset:1360
	s_wait_loadcnt_dscnt 0xa01
	v_mul_f64_e32 v[197:198], v[2:3], v[36:37]
	v_mul_f64_e32 v[36:37], v[4:5], v[36:37]
	s_wait_loadcnt_dscnt 0x800
	v_mul_f64_e32 v[191:192], v[38:39], v[181:182]
	v_add_f64_e32 v[187:188], v[187:188], v[195:196]
	v_add_f64_e32 v[189:190], v[189:190], v[193:194]
	v_mul_f64_e32 v[193:194], v[40:41], v[181:182]
	v_fma_f64 v[195:196], v[4:5], v[34:35], v[197:198]
	v_fma_f64 v[197:198], v[2:3], v[34:35], -v[36:37]
	ds_load_b128 v[2:5], v1 offset:1376
	scratch_load_b128 v[34:37], off, off offset:496
	v_fma_f64 v[191:192], v[40:41], v[179:180], v[191:192]
	v_add_f64_e32 v[187:188], v[187:188], v[183:184]
	v_add_f64_e32 v[185:186], v[189:190], v[185:186]
	ds_load_b128 v[181:184], v1 offset:1392
	v_fma_f64 v[179:180], v[38:39], v[179:180], -v[193:194]
	scratch_load_b128 v[38:41], off, off offset:512
	s_wait_loadcnt_dscnt 0x901
	v_mul_f64_e32 v[189:190], v[2:3], v[44:45]
	v_mul_f64_e32 v[44:45], v[4:5], v[44:45]
	s_wait_loadcnt_dscnt 0x800
	v_mul_f64_e32 v[193:194], v[181:182], v[8:9]
	v_mul_f64_e32 v[8:9], v[183:184], v[8:9]
	v_add_f64_e32 v[187:188], v[187:188], v[197:198]
	v_add_f64_e32 v[185:186], v[185:186], v[195:196]
	v_fma_f64 v[189:190], v[4:5], v[42:43], v[189:190]
	v_fma_f64 v[195:196], v[2:3], v[42:43], -v[44:45]
	ds_load_b128 v[2:5], v1 offset:1408
	scratch_load_b128 v[42:45], off, off offset:528
	v_fma_f64 v[183:184], v[183:184], v[6:7], v[193:194]
	v_fma_f64 v[181:182], v[181:182], v[6:7], -v[8:9]
	scratch_load_b128 v[6:9], off, off offset:544
	v_add_f64_e32 v[179:180], v[187:188], v[179:180]
	v_add_f64_e32 v[191:192], v[185:186], v[191:192]
	ds_load_b128 v[185:188], v1 offset:1424
	s_wait_loadcnt_dscnt 0x901
	v_mul_f64_e32 v[197:198], v[2:3], v[12:13]
	v_mul_f64_e32 v[12:13], v[4:5], v[12:13]
	v_add_f64_e32 v[179:180], v[179:180], v[195:196]
	v_add_f64_e32 v[189:190], v[191:192], v[189:190]
	s_wait_loadcnt_dscnt 0x800
	v_mul_f64_e32 v[191:192], v[185:186], v[16:17]
	v_mul_f64_e32 v[16:17], v[187:188], v[16:17]
	v_fma_f64 v[193:194], v[4:5], v[10:11], v[197:198]
	v_fma_f64 v[195:196], v[2:3], v[10:11], -v[12:13]
	ds_load_b128 v[2:5], v1 offset:1440
	scratch_load_b128 v[10:13], off, off offset:560
	v_add_f64_e32 v[197:198], v[179:180], v[181:182]
	v_add_f64_e32 v[183:184], v[189:190], v[183:184]
	ds_load_b128 v[179:182], v1 offset:1456
	s_wait_loadcnt_dscnt 0x801
	v_mul_f64_e32 v[189:190], v[2:3], v[20:21]
	v_mul_f64_e32 v[20:21], v[4:5], v[20:21]
	v_fma_f64 v[187:188], v[187:188], v[14:15], v[191:192]
	v_fma_f64 v[185:186], v[185:186], v[14:15], -v[16:17]
	scratch_load_b128 v[14:17], off, off offset:576
	v_add_f64_e32 v[191:192], v[197:198], v[195:196]
	v_add_f64_e32 v[183:184], v[183:184], v[193:194]
	s_wait_loadcnt_dscnt 0x800
	v_mul_f64_e32 v[193:194], v[179:180], v[24:25]
	v_mul_f64_e32 v[24:25], v[181:182], v[24:25]
	v_fma_f64 v[189:190], v[4:5], v[18:19], v[189:190]
	v_fma_f64 v[195:196], v[2:3], v[18:19], -v[20:21]
	ds_load_b128 v[2:5], v1 offset:1472
	scratch_load_b128 v[18:21], off, off offset:592
	v_add_f64_e32 v[191:192], v[191:192], v[185:186]
	v_add_f64_e32 v[187:188], v[183:184], v[187:188]
	ds_load_b128 v[183:186], v1 offset:1488
	s_wait_loadcnt_dscnt 0x801
	v_mul_f64_e32 v[197:198], v[2:3], v[28:29]
	v_mul_f64_e32 v[28:29], v[4:5], v[28:29]
	v_fma_f64 v[181:182], v[181:182], v[22:23], v[193:194]
	v_fma_f64 v[179:180], v[179:180], v[22:23], -v[24:25]
	scratch_load_b128 v[22:25], off, off offset:608
	;; [unrolled: 18-line block ×4, first 2 shown]
	s_wait_loadcnt_dscnt 0x800
	v_mul_f64_e32 v[191:192], v[183:184], v[8:9]
	v_mul_f64_e32 v[8:9], v[185:186], v[8:9]
	v_add_f64_e32 v[189:190], v[189:190], v[195:196]
	v_add_f64_e32 v[187:188], v[187:188], v[193:194]
	v_fma_f64 v[193:194], v[4:5], v[42:43], v[197:198]
	v_fma_f64 v[195:196], v[2:3], v[42:43], -v[44:45]
	ds_load_b128 v[2:5], v1 offset:1568
	scratch_load_b128 v[42:45], off, off offset:688
	v_fma_f64 v[185:186], v[185:186], v[6:7], v[191:192]
	v_fma_f64 v[183:184], v[183:184], v[6:7], -v[8:9]
	scratch_load_b128 v[6:9], off, off offset:704
	v_add_f64_e32 v[189:190], v[189:190], v[179:180]
	v_add_f64_e32 v[187:188], v[187:188], v[181:182]
	ds_load_b128 v[179:182], v1 offset:1584
	s_wait_loadcnt_dscnt 0x901
	v_mul_f64_e32 v[197:198], v[2:3], v[12:13]
	v_mul_f64_e32 v[12:13], v[4:5], v[12:13]
	s_wait_loadcnt_dscnt 0x800
	v_mul_f64_e32 v[191:192], v[179:180], v[16:17]
	v_mul_f64_e32 v[16:17], v[181:182], v[16:17]
	v_add_f64_e32 v[189:190], v[189:190], v[195:196]
	v_add_f64_e32 v[187:188], v[187:188], v[193:194]
	v_fma_f64 v[193:194], v[4:5], v[10:11], v[197:198]
	v_fma_f64 v[195:196], v[2:3], v[10:11], -v[12:13]
	ds_load_b128 v[2:5], v1 offset:1600
	scratch_load_b128 v[10:13], off, off offset:720
	v_fma_f64 v[181:182], v[181:182], v[14:15], v[191:192]
	v_fma_f64 v[179:180], v[179:180], v[14:15], -v[16:17]
	scratch_load_b128 v[14:17], off, off offset:736
	v_add_f64_e32 v[189:190], v[189:190], v[183:184]
	v_add_f64_e32 v[187:188], v[187:188], v[185:186]
	ds_load_b128 v[183:186], v1 offset:1616
	s_wait_loadcnt_dscnt 0x901
	v_mul_f64_e32 v[197:198], v[2:3], v[20:21]
	v_mul_f64_e32 v[20:21], v[4:5], v[20:21]
	;; [unrolled: 18-line block ×11, first 2 shown]
	s_wait_loadcnt_dscnt 0x800
	v_mul_f64_e32 v[191:192], v[179:180], v[16:17]
	v_mul_f64_e32 v[16:17], v[181:182], v[16:17]
	v_add_f64_e32 v[189:190], v[189:190], v[195:196]
	v_add_f64_e32 v[187:188], v[187:188], v[193:194]
	v_fma_f64 v[193:194], v[4:5], v[10:11], v[197:198]
	v_fma_f64 v[195:196], v[2:3], v[10:11], -v[12:13]
	ds_load_b128 v[2:5], v1 offset:1920
	ds_load_b128 v[10:13], v1 offset:1936
	v_fma_f64 v[181:182], v[181:182], v[14:15], v[191:192]
	v_fma_f64 v[14:15], v[179:180], v[14:15], -v[16:17]
	v_add_f64_e32 v[183:184], v[189:190], v[183:184]
	v_add_f64_e32 v[185:186], v[187:188], v[185:186]
	s_wait_loadcnt_dscnt 0x701
	v_mul_f64_e32 v[187:188], v[2:3], v[20:21]
	v_mul_f64_e32 v[20:21], v[4:5], v[20:21]
	s_delay_alu instid0(VALU_DEP_4) | instskip(NEXT) | instid1(VALU_DEP_4)
	v_add_f64_e32 v[16:17], v[183:184], v[195:196]
	v_add_f64_e32 v[179:180], v[185:186], v[193:194]
	s_wait_loadcnt_dscnt 0x600
	v_mul_f64_e32 v[183:184], v[10:11], v[24:25]
	v_mul_f64_e32 v[24:25], v[12:13], v[24:25]
	v_fma_f64 v[185:186], v[4:5], v[18:19], v[187:188]
	v_fma_f64 v[18:19], v[2:3], v[18:19], -v[20:21]
	v_add_f64_e32 v[20:21], v[16:17], v[14:15]
	v_add_f64_e32 v[179:180], v[179:180], v[181:182]
	ds_load_b128 v[2:5], v1 offset:1952
	ds_load_b128 v[14:17], v1 offset:1968
	v_fma_f64 v[12:13], v[12:13], v[22:23], v[183:184]
	v_fma_f64 v[10:11], v[10:11], v[22:23], -v[24:25]
	s_wait_loadcnt_dscnt 0x501
	v_mul_f64_e32 v[181:182], v[2:3], v[28:29]
	v_mul_f64_e32 v[28:29], v[4:5], v[28:29]
	s_wait_loadcnt_dscnt 0x400
	v_mul_f64_e32 v[22:23], v[14:15], v[32:33]
	v_mul_f64_e32 v[24:25], v[16:17], v[32:33]
	v_add_f64_e32 v[18:19], v[20:21], v[18:19]
	v_add_f64_e32 v[20:21], v[179:180], v[185:186]
	v_fma_f64 v[32:33], v[4:5], v[26:27], v[181:182]
	v_fma_f64 v[26:27], v[2:3], v[26:27], -v[28:29]
	v_fma_f64 v[16:17], v[16:17], v[30:31], v[22:23]
	v_fma_f64 v[14:15], v[14:15], v[30:31], -v[24:25]
	v_add_f64_e32 v[18:19], v[18:19], v[10:11]
	v_add_f64_e32 v[20:21], v[20:21], v[12:13]
	ds_load_b128 v[2:5], v1 offset:1984
	ds_load_b128 v[10:13], v1 offset:2000
	s_wait_loadcnt_dscnt 0x301
	v_mul_f64_e32 v[28:29], v[2:3], v[36:37]
	v_mul_f64_e32 v[36:37], v[4:5], v[36:37]
	s_wait_loadcnt_dscnt 0x200
	v_mul_f64_e32 v[22:23], v[10:11], v[40:41]
	v_mul_f64_e32 v[24:25], v[12:13], v[40:41]
	v_add_f64_e32 v[18:19], v[18:19], v[26:27]
	v_add_f64_e32 v[20:21], v[20:21], v[32:33]
	v_fma_f64 v[26:27], v[4:5], v[34:35], v[28:29]
	v_fma_f64 v[28:29], v[2:3], v[34:35], -v[36:37]
	v_fma_f64 v[12:13], v[12:13], v[38:39], v[22:23]
	v_fma_f64 v[10:11], v[10:11], v[38:39], -v[24:25]
	v_add_f64_e32 v[18:19], v[18:19], v[14:15]
	v_add_f64_e32 v[20:21], v[20:21], v[16:17]
	ds_load_b128 v[2:5], v1 offset:2016
	ds_load_b128 v[14:17], v1 offset:2032
	s_wait_loadcnt_dscnt 0x101
	v_mul_f64_e32 v[30:31], v[2:3], v[44:45]
	v_mul_f64_e32 v[32:33], v[4:5], v[44:45]
	s_wait_loadcnt_dscnt 0x0
	v_mul_f64_e32 v[22:23], v[14:15], v[8:9]
	v_mul_f64_e32 v[8:9], v[16:17], v[8:9]
	v_add_f64_e32 v[18:19], v[18:19], v[28:29]
	v_add_f64_e32 v[20:21], v[20:21], v[26:27]
	v_fma_f64 v[4:5], v[4:5], v[42:43], v[30:31]
	v_fma_f64 v[1:2], v[2:3], v[42:43], -v[32:33]
	v_fma_f64 v[16:17], v[16:17], v[6:7], v[22:23]
	v_fma_f64 v[6:7], v[14:15], v[6:7], -v[8:9]
	v_add_f64_e32 v[10:11], v[18:19], v[10:11]
	v_add_f64_e32 v[12:13], v[20:21], v[12:13]
	s_delay_alu instid0(VALU_DEP_2) | instskip(NEXT) | instid1(VALU_DEP_2)
	v_add_f64_e32 v[1:2], v[10:11], v[1:2]
	v_add_f64_e32 v[3:4], v[12:13], v[4:5]
	s_delay_alu instid0(VALU_DEP_2) | instskip(NEXT) | instid1(VALU_DEP_2)
	;; [unrolled: 3-line block ×3, first 2 shown]
	v_add_f64_e64 v[1:2], v[175:176], -v[1:2]
	v_add_f64_e64 v[3:4], v[177:178], -v[3:4]
	scratch_store_b128 off, v[1:4], off offset:192
	v_cmpx_lt_u32_e32 10, v0
	s_cbranch_execz .LBB63_389
; %bb.388:
	scratch_load_b128 v[1:4], off, s69
	v_mov_b32_e32 v5, 0
	s_delay_alu instid0(VALU_DEP_1)
	v_dual_mov_b32 v6, v5 :: v_dual_mov_b32 v7, v5
	v_mov_b32_e32 v8, v5
	scratch_store_b128 off, v[5:8], off offset:176
	s_wait_loadcnt 0x0
	ds_store_b128 v174, v[1:4]
.LBB63_389:
	s_wait_alu 0xfffe
	s_or_b32 exec_lo, exec_lo, s0
	s_wait_storecnt_dscnt 0x0
	s_barrier_signal -1
	s_barrier_wait -1
	global_inv scope:SCOPE_SE
	s_clause 0x7
	scratch_load_b128 v[2:5], off, off offset:192
	scratch_load_b128 v[6:9], off, off offset:208
	;; [unrolled: 1-line block ×8, first 2 shown]
	v_mov_b32_e32 v1, 0
	s_mov_b32 s0, exec_lo
	ds_load_b128 v[38:41], v1 offset:1200
	s_clause 0x1
	scratch_load_b128 v[34:37], off, off offset:320
	scratch_load_b128 v[42:45], off, off offset:176
	ds_load_b128 v[175:178], v1 offset:1216
	scratch_load_b128 v[179:182], off, off offset:336
	s_wait_loadcnt_dscnt 0xa01
	v_mul_f64_e32 v[183:184], v[40:41], v[4:5]
	v_mul_f64_e32 v[4:5], v[38:39], v[4:5]
	s_delay_alu instid0(VALU_DEP_2) | instskip(NEXT) | instid1(VALU_DEP_2)
	v_fma_f64 v[189:190], v[38:39], v[2:3], -v[183:184]
	v_fma_f64 v[191:192], v[40:41], v[2:3], v[4:5]
	ds_load_b128 v[2:5], v1 offset:1232
	s_wait_loadcnt_dscnt 0x901
	v_mul_f64_e32 v[187:188], v[175:176], v[8:9]
	v_mul_f64_e32 v[8:9], v[177:178], v[8:9]
	scratch_load_b128 v[38:41], off, off offset:352
	ds_load_b128 v[183:186], v1 offset:1248
	s_wait_loadcnt_dscnt 0x901
	v_mul_f64_e32 v[193:194], v[2:3], v[12:13]
	v_mul_f64_e32 v[12:13], v[4:5], v[12:13]
	v_fma_f64 v[177:178], v[177:178], v[6:7], v[187:188]
	v_fma_f64 v[175:176], v[175:176], v[6:7], -v[8:9]
	v_add_f64_e32 v[187:188], 0, v[189:190]
	v_add_f64_e32 v[189:190], 0, v[191:192]
	scratch_load_b128 v[6:9], off, off offset:368
	v_fma_f64 v[193:194], v[4:5], v[10:11], v[193:194]
	v_fma_f64 v[195:196], v[2:3], v[10:11], -v[12:13]
	ds_load_b128 v[2:5], v1 offset:1264
	s_wait_loadcnt_dscnt 0x901
	v_mul_f64_e32 v[191:192], v[183:184], v[16:17]
	v_mul_f64_e32 v[16:17], v[185:186], v[16:17]
	scratch_load_b128 v[10:13], off, off offset:384
	v_add_f64_e32 v[187:188], v[187:188], v[175:176]
	v_add_f64_e32 v[189:190], v[189:190], v[177:178]
	s_wait_loadcnt_dscnt 0x900
	v_mul_f64_e32 v[197:198], v[2:3], v[20:21]
	v_mul_f64_e32 v[20:21], v[4:5], v[20:21]
	ds_load_b128 v[175:178], v1 offset:1280
	v_fma_f64 v[185:186], v[185:186], v[14:15], v[191:192]
	v_fma_f64 v[183:184], v[183:184], v[14:15], -v[16:17]
	scratch_load_b128 v[14:17], off, off offset:400
	v_add_f64_e32 v[187:188], v[187:188], v[195:196]
	v_add_f64_e32 v[189:190], v[189:190], v[193:194]
	v_fma_f64 v[193:194], v[4:5], v[18:19], v[197:198]
	v_fma_f64 v[195:196], v[2:3], v[18:19], -v[20:21]
	ds_load_b128 v[2:5], v1 offset:1296
	s_wait_loadcnt_dscnt 0x901
	v_mul_f64_e32 v[191:192], v[175:176], v[24:25]
	v_mul_f64_e32 v[24:25], v[177:178], v[24:25]
	scratch_load_b128 v[18:21], off, off offset:416
	s_wait_loadcnt_dscnt 0x900
	v_mul_f64_e32 v[197:198], v[2:3], v[28:29]
	v_mul_f64_e32 v[28:29], v[4:5], v[28:29]
	v_add_f64_e32 v[187:188], v[187:188], v[183:184]
	v_add_f64_e32 v[189:190], v[189:190], v[185:186]
	ds_load_b128 v[183:186], v1 offset:1312
	v_fma_f64 v[177:178], v[177:178], v[22:23], v[191:192]
	v_fma_f64 v[175:176], v[175:176], v[22:23], -v[24:25]
	scratch_load_b128 v[22:25], off, off offset:432
	v_add_f64_e32 v[187:188], v[187:188], v[195:196]
	v_add_f64_e32 v[189:190], v[189:190], v[193:194]
	v_fma_f64 v[193:194], v[4:5], v[26:27], v[197:198]
	v_fma_f64 v[195:196], v[2:3], v[26:27], -v[28:29]
	ds_load_b128 v[2:5], v1 offset:1328
	s_wait_loadcnt_dscnt 0x901
	v_mul_f64_e32 v[191:192], v[183:184], v[32:33]
	v_mul_f64_e32 v[32:33], v[185:186], v[32:33]
	scratch_load_b128 v[26:29], off, off offset:448
	s_wait_loadcnt_dscnt 0x900
	v_mul_f64_e32 v[197:198], v[2:3], v[36:37]
	v_mul_f64_e32 v[36:37], v[4:5], v[36:37]
	v_add_f64_e32 v[187:188], v[187:188], v[175:176]
	v_add_f64_e32 v[189:190], v[189:190], v[177:178]
	ds_load_b128 v[175:178], v1 offset:1344
	v_fma_f64 v[185:186], v[185:186], v[30:31], v[191:192]
	v_fma_f64 v[183:184], v[183:184], v[30:31], -v[32:33]
	scratch_load_b128 v[30:33], off, off offset:464
	v_add_f64_e32 v[187:188], v[187:188], v[195:196]
	v_add_f64_e32 v[189:190], v[189:190], v[193:194]
	v_fma_f64 v[195:196], v[4:5], v[34:35], v[197:198]
	v_fma_f64 v[197:198], v[2:3], v[34:35], -v[36:37]
	ds_load_b128 v[2:5], v1 offset:1360
	s_wait_loadcnt_dscnt 0x801
	v_mul_f64_e32 v[191:192], v[175:176], v[181:182]
	v_mul_f64_e32 v[193:194], v[177:178], v[181:182]
	scratch_load_b128 v[34:37], off, off offset:480
	v_add_f64_e32 v[187:188], v[187:188], v[183:184]
	v_add_f64_e32 v[185:186], v[189:190], v[185:186]
	ds_load_b128 v[181:184], v1 offset:1376
	v_fma_f64 v[191:192], v[177:178], v[179:180], v[191:192]
	v_fma_f64 v[179:180], v[175:176], v[179:180], -v[193:194]
	scratch_load_b128 v[175:178], off, off offset:496
	s_wait_loadcnt_dscnt 0x901
	v_mul_f64_e32 v[189:190], v[2:3], v[40:41]
	v_mul_f64_e32 v[40:41], v[4:5], v[40:41]
	v_add_f64_e32 v[187:188], v[187:188], v[197:198]
	v_add_f64_e32 v[185:186], v[185:186], v[195:196]
	s_delay_alu instid0(VALU_DEP_4) | instskip(NEXT) | instid1(VALU_DEP_4)
	v_fma_f64 v[189:190], v[4:5], v[38:39], v[189:190]
	v_fma_f64 v[195:196], v[2:3], v[38:39], -v[40:41]
	ds_load_b128 v[2:5], v1 offset:1392
	s_wait_loadcnt_dscnt 0x801
	v_mul_f64_e32 v[193:194], v[181:182], v[8:9]
	v_mul_f64_e32 v[8:9], v[183:184], v[8:9]
	scratch_load_b128 v[38:41], off, off offset:512
	s_wait_loadcnt_dscnt 0x800
	v_mul_f64_e32 v[197:198], v[2:3], v[12:13]
	v_add_f64_e32 v[179:180], v[187:188], v[179:180]
	v_add_f64_e32 v[191:192], v[185:186], v[191:192]
	v_mul_f64_e32 v[12:13], v[4:5], v[12:13]
	ds_load_b128 v[185:188], v1 offset:1408
	v_fma_f64 v[183:184], v[183:184], v[6:7], v[193:194]
	v_fma_f64 v[181:182], v[181:182], v[6:7], -v[8:9]
	scratch_load_b128 v[6:9], off, off offset:528
	v_fma_f64 v[193:194], v[4:5], v[10:11], v[197:198]
	v_add_f64_e32 v[179:180], v[179:180], v[195:196]
	v_add_f64_e32 v[189:190], v[191:192], v[189:190]
	v_fma_f64 v[195:196], v[2:3], v[10:11], -v[12:13]
	ds_load_b128 v[2:5], v1 offset:1424
	s_wait_loadcnt_dscnt 0x801
	v_mul_f64_e32 v[191:192], v[185:186], v[16:17]
	v_mul_f64_e32 v[16:17], v[187:188], v[16:17]
	scratch_load_b128 v[10:13], off, off offset:544
	v_add_f64_e32 v[197:198], v[179:180], v[181:182]
	v_add_f64_e32 v[183:184], v[189:190], v[183:184]
	s_wait_loadcnt_dscnt 0x800
	v_mul_f64_e32 v[189:190], v[2:3], v[20:21]
	v_mul_f64_e32 v[20:21], v[4:5], v[20:21]
	v_fma_f64 v[187:188], v[187:188], v[14:15], v[191:192]
	v_fma_f64 v[185:186], v[185:186], v[14:15], -v[16:17]
	ds_load_b128 v[179:182], v1 offset:1440
	scratch_load_b128 v[14:17], off, off offset:560
	v_add_f64_e32 v[191:192], v[197:198], v[195:196]
	v_add_f64_e32 v[183:184], v[183:184], v[193:194]
	v_fma_f64 v[189:190], v[4:5], v[18:19], v[189:190]
	v_fma_f64 v[195:196], v[2:3], v[18:19], -v[20:21]
	ds_load_b128 v[2:5], v1 offset:1456
	s_wait_loadcnt_dscnt 0x801
	v_mul_f64_e32 v[193:194], v[179:180], v[24:25]
	v_mul_f64_e32 v[24:25], v[181:182], v[24:25]
	scratch_load_b128 v[18:21], off, off offset:576
	s_wait_loadcnt_dscnt 0x800
	v_mul_f64_e32 v[197:198], v[2:3], v[28:29]
	v_mul_f64_e32 v[28:29], v[4:5], v[28:29]
	v_add_f64_e32 v[191:192], v[191:192], v[185:186]
	v_add_f64_e32 v[187:188], v[183:184], v[187:188]
	ds_load_b128 v[183:186], v1 offset:1472
	v_fma_f64 v[181:182], v[181:182], v[22:23], v[193:194]
	v_fma_f64 v[179:180], v[179:180], v[22:23], -v[24:25]
	scratch_load_b128 v[22:25], off, off offset:592
	v_fma_f64 v[193:194], v[4:5], v[26:27], v[197:198]
	v_add_f64_e32 v[191:192], v[191:192], v[195:196]
	v_add_f64_e32 v[187:188], v[187:188], v[189:190]
	v_fma_f64 v[195:196], v[2:3], v[26:27], -v[28:29]
	ds_load_b128 v[2:5], v1 offset:1488
	s_wait_loadcnt_dscnt 0x801
	v_mul_f64_e32 v[189:190], v[183:184], v[32:33]
	v_mul_f64_e32 v[32:33], v[185:186], v[32:33]
	scratch_load_b128 v[26:29], off, off offset:608
	s_wait_loadcnt_dscnt 0x800
	v_mul_f64_e32 v[197:198], v[2:3], v[36:37]
	v_mul_f64_e32 v[36:37], v[4:5], v[36:37]
	v_add_f64_e32 v[191:192], v[191:192], v[179:180]
	v_add_f64_e32 v[187:188], v[187:188], v[181:182]
	ds_load_b128 v[179:182], v1 offset:1504
	v_fma_f64 v[185:186], v[185:186], v[30:31], v[189:190]
	v_fma_f64 v[183:184], v[183:184], v[30:31], -v[32:33]
	scratch_load_b128 v[30:33], off, off offset:624
	v_add_f64_e32 v[189:190], v[191:192], v[195:196]
	v_add_f64_e32 v[187:188], v[187:188], v[193:194]
	v_fma_f64 v[193:194], v[4:5], v[34:35], v[197:198]
	v_fma_f64 v[195:196], v[2:3], v[34:35], -v[36:37]
	ds_load_b128 v[2:5], v1 offset:1520
	s_wait_loadcnt_dscnt 0x801
	v_mul_f64_e32 v[191:192], v[179:180], v[177:178]
	v_mul_f64_e32 v[177:178], v[181:182], v[177:178]
	scratch_load_b128 v[34:37], off, off offset:640
	s_wait_loadcnt_dscnt 0x800
	v_mul_f64_e32 v[197:198], v[2:3], v[40:41]
	v_mul_f64_e32 v[40:41], v[4:5], v[40:41]
	v_add_f64_e32 v[189:190], v[189:190], v[183:184]
	v_add_f64_e32 v[187:188], v[187:188], v[185:186]
	ds_load_b128 v[183:186], v1 offset:1536
	v_fma_f64 v[181:182], v[181:182], v[175:176], v[191:192]
	v_fma_f64 v[179:180], v[179:180], v[175:176], -v[177:178]
	scratch_load_b128 v[175:178], off, off offset:656
	v_add_f64_e32 v[189:190], v[189:190], v[195:196]
	v_add_f64_e32 v[187:188], v[187:188], v[193:194]
	v_fma_f64 v[193:194], v[4:5], v[38:39], v[197:198]
	;; [unrolled: 18-line block ×6, first 2 shown]
	v_fma_f64 v[197:198], v[2:3], v[34:35], -v[36:37]
	ds_load_b128 v[2:5], v1 offset:1680
	s_wait_loadcnt_dscnt 0x801
	v_mul_f64_e32 v[191:192], v[183:184], v[177:178]
	v_mul_f64_e32 v[193:194], v[185:186], v[177:178]
	scratch_load_b128 v[34:37], off, off offset:800
	v_add_f64_e32 v[189:190], v[189:190], v[179:180]
	v_add_f64_e32 v[181:182], v[187:188], v[181:182]
	s_wait_loadcnt_dscnt 0x800
	v_mul_f64_e32 v[187:188], v[2:3], v[40:41]
	v_mul_f64_e32 v[40:41], v[4:5], v[40:41]
	ds_load_b128 v[177:180], v1 offset:1696
	v_fma_f64 v[185:186], v[185:186], v[175:176], v[191:192]
	v_fma_f64 v[175:176], v[183:184], v[175:176], -v[193:194]
	v_add_f64_e32 v[189:190], v[189:190], v[197:198]
	v_add_f64_e32 v[191:192], v[181:182], v[195:196]
	scratch_load_b128 v[181:184], off, off offset:816
	v_fma_f64 v[195:196], v[4:5], v[38:39], v[187:188]
	v_fma_f64 v[197:198], v[2:3], v[38:39], -v[40:41]
	ds_load_b128 v[2:5], v1 offset:1712
	s_wait_loadcnt_dscnt 0x801
	v_mul_f64_e32 v[193:194], v[177:178], v[8:9]
	v_mul_f64_e32 v[8:9], v[179:180], v[8:9]
	scratch_load_b128 v[38:41], off, off offset:832
	v_add_f64_e32 v[175:176], v[189:190], v[175:176]
	v_add_f64_e32 v[189:190], v[191:192], v[185:186]
	s_wait_loadcnt_dscnt 0x800
	v_mul_f64_e32 v[191:192], v[2:3], v[12:13]
	v_mul_f64_e32 v[12:13], v[4:5], v[12:13]
	ds_load_b128 v[185:188], v1 offset:1728
	v_fma_f64 v[179:180], v[179:180], v[6:7], v[193:194]
	v_fma_f64 v[177:178], v[177:178], v[6:7], -v[8:9]
	scratch_load_b128 v[6:9], off, off offset:848
	v_add_f64_e32 v[175:176], v[175:176], v[197:198]
	v_add_f64_e32 v[189:190], v[189:190], v[195:196]
	v_fma_f64 v[191:192], v[4:5], v[10:11], v[191:192]
	v_fma_f64 v[195:196], v[2:3], v[10:11], -v[12:13]
	ds_load_b128 v[2:5], v1 offset:1744
	s_wait_loadcnt_dscnt 0x801
	v_mul_f64_e32 v[193:194], v[185:186], v[16:17]
	v_mul_f64_e32 v[16:17], v[187:188], v[16:17]
	scratch_load_b128 v[10:13], off, off offset:864
	v_add_f64_e32 v[197:198], v[175:176], v[177:178]
	v_add_f64_e32 v[179:180], v[189:190], v[179:180]
	s_wait_loadcnt_dscnt 0x800
	v_mul_f64_e32 v[189:190], v[2:3], v[20:21]
	v_mul_f64_e32 v[20:21], v[4:5], v[20:21]
	ds_load_b128 v[175:178], v1 offset:1760
	v_fma_f64 v[187:188], v[187:188], v[14:15], v[193:194]
	v_fma_f64 v[185:186], v[185:186], v[14:15], -v[16:17]
	scratch_load_b128 v[14:17], off, off offset:880
	v_add_f64_e32 v[193:194], v[197:198], v[195:196]
	v_add_f64_e32 v[179:180], v[179:180], v[191:192]
	v_fma_f64 v[189:190], v[4:5], v[18:19], v[189:190]
	v_fma_f64 v[195:196], v[2:3], v[18:19], -v[20:21]
	ds_load_b128 v[2:5], v1 offset:1776
	s_wait_loadcnt_dscnt 0x801
	v_mul_f64_e32 v[191:192], v[175:176], v[24:25]
	v_mul_f64_e32 v[24:25], v[177:178], v[24:25]
	scratch_load_b128 v[18:21], off, off offset:896
	s_wait_loadcnt_dscnt 0x800
	v_mul_f64_e32 v[197:198], v[2:3], v[28:29]
	v_mul_f64_e32 v[28:29], v[4:5], v[28:29]
	v_add_f64_e32 v[193:194], v[193:194], v[185:186]
	v_add_f64_e32 v[179:180], v[179:180], v[187:188]
	ds_load_b128 v[185:188], v1 offset:1792
	v_fma_f64 v[177:178], v[177:178], v[22:23], v[191:192]
	v_fma_f64 v[175:176], v[175:176], v[22:23], -v[24:25]
	scratch_load_b128 v[22:25], off, off offset:912
	v_add_f64_e32 v[191:192], v[193:194], v[195:196]
	v_add_f64_e32 v[179:180], v[179:180], v[189:190]
	v_fma_f64 v[193:194], v[4:5], v[26:27], v[197:198]
	v_fma_f64 v[195:196], v[2:3], v[26:27], -v[28:29]
	ds_load_b128 v[2:5], v1 offset:1808
	s_wait_loadcnt_dscnt 0x801
	v_mul_f64_e32 v[189:190], v[185:186], v[32:33]
	v_mul_f64_e32 v[32:33], v[187:188], v[32:33]
	scratch_load_b128 v[26:29], off, off offset:928
	s_wait_loadcnt_dscnt 0x800
	v_mul_f64_e32 v[197:198], v[2:3], v[36:37]
	v_mul_f64_e32 v[36:37], v[4:5], v[36:37]
	v_add_f64_e32 v[191:192], v[191:192], v[175:176]
	v_add_f64_e32 v[179:180], v[179:180], v[177:178]
	ds_load_b128 v[175:178], v1 offset:1824
	v_fma_f64 v[187:188], v[187:188], v[30:31], v[189:190]
	v_fma_f64 v[185:186], v[185:186], v[30:31], -v[32:33]
	scratch_load_b128 v[30:33], off, off offset:944
	v_add_f64_e32 v[189:190], v[191:192], v[195:196]
	v_add_f64_e32 v[179:180], v[179:180], v[193:194]
	v_fma_f64 v[195:196], v[4:5], v[34:35], v[197:198]
	v_fma_f64 v[197:198], v[2:3], v[34:35], -v[36:37]
	ds_load_b128 v[2:5], v1 offset:1840
	scratch_load_b128 v[34:37], off, off offset:960
	s_wait_loadcnt_dscnt 0x901
	v_mul_f64_e32 v[191:192], v[175:176], v[183:184]
	v_mul_f64_e32 v[193:194], v[177:178], v[183:184]
	v_add_f64_e32 v[189:190], v[189:190], v[185:186]
	v_add_f64_e32 v[179:180], v[179:180], v[187:188]
	s_wait_loadcnt_dscnt 0x800
	v_mul_f64_e32 v[187:188], v[2:3], v[40:41]
	v_mul_f64_e32 v[40:41], v[4:5], v[40:41]
	ds_load_b128 v[183:186], v1 offset:1856
	v_fma_f64 v[191:192], v[177:178], v[181:182], v[191:192]
	v_fma_f64 v[181:182], v[175:176], v[181:182], -v[193:194]
	scratch_load_b128 v[175:178], off, off offset:976
	v_add_f64_e32 v[189:190], v[189:190], v[197:198]
	v_add_f64_e32 v[179:180], v[179:180], v[195:196]
	v_fma_f64 v[187:188], v[4:5], v[38:39], v[187:188]
	v_fma_f64 v[195:196], v[2:3], v[38:39], -v[40:41]
	ds_load_b128 v[2:5], v1 offset:1872
	s_wait_loadcnt_dscnt 0x801
	v_mul_f64_e32 v[193:194], v[183:184], v[8:9]
	v_mul_f64_e32 v[8:9], v[185:186], v[8:9]
	scratch_load_b128 v[38:41], off, off offset:992
	s_wait_loadcnt_dscnt 0x800
	v_mul_f64_e32 v[197:198], v[2:3], v[12:13]
	v_mul_f64_e32 v[12:13], v[4:5], v[12:13]
	v_add_f64_e32 v[189:190], v[189:190], v[181:182]
	v_add_f64_e32 v[191:192], v[179:180], v[191:192]
	ds_load_b128 v[179:182], v1 offset:1888
	v_fma_f64 v[185:186], v[185:186], v[6:7], v[193:194]
	v_fma_f64 v[183:184], v[183:184], v[6:7], -v[8:9]
	scratch_load_b128 v[6:9], off, off offset:1008
	v_fma_f64 v[193:194], v[4:5], v[10:11], v[197:198]
	v_add_f64_e32 v[189:190], v[189:190], v[195:196]
	v_add_f64_e32 v[187:188], v[191:192], v[187:188]
	v_fma_f64 v[195:196], v[2:3], v[10:11], -v[12:13]
	ds_load_b128 v[2:5], v1 offset:1904
	s_wait_loadcnt_dscnt 0x801
	v_mul_f64_e32 v[191:192], v[179:180], v[16:17]
	v_mul_f64_e32 v[16:17], v[181:182], v[16:17]
	scratch_load_b128 v[10:13], off, off offset:1024
	s_wait_loadcnt_dscnt 0x800
	v_mul_f64_e32 v[197:198], v[2:3], v[20:21]
	v_mul_f64_e32 v[20:21], v[4:5], v[20:21]
	v_add_f64_e32 v[189:190], v[189:190], v[183:184]
	v_add_f64_e32 v[187:188], v[187:188], v[185:186]
	ds_load_b128 v[183:186], v1 offset:1920
	v_fma_f64 v[181:182], v[181:182], v[14:15], v[191:192]
	v_fma_f64 v[14:15], v[179:180], v[14:15], -v[16:17]
	v_add_f64_e32 v[16:17], v[189:190], v[195:196]
	v_add_f64_e32 v[179:180], v[187:188], v[193:194]
	s_wait_loadcnt_dscnt 0x700
	v_mul_f64_e32 v[187:188], v[183:184], v[24:25]
	v_mul_f64_e32 v[24:25], v[185:186], v[24:25]
	v_fma_f64 v[189:190], v[4:5], v[18:19], v[197:198]
	v_fma_f64 v[18:19], v[2:3], v[18:19], -v[20:21]
	v_add_f64_e32 v[20:21], v[16:17], v[14:15]
	v_add_f64_e32 v[179:180], v[179:180], v[181:182]
	ds_load_b128 v[2:5], v1 offset:1936
	ds_load_b128 v[14:17], v1 offset:1952
	v_fma_f64 v[185:186], v[185:186], v[22:23], v[187:188]
	v_fma_f64 v[22:23], v[183:184], v[22:23], -v[24:25]
	s_wait_loadcnt_dscnt 0x601
	v_mul_f64_e32 v[181:182], v[2:3], v[28:29]
	v_mul_f64_e32 v[28:29], v[4:5], v[28:29]
	s_wait_loadcnt_dscnt 0x500
	v_mul_f64_e32 v[24:25], v[14:15], v[32:33]
	v_mul_f64_e32 v[32:33], v[16:17], v[32:33]
	v_add_f64_e32 v[18:19], v[20:21], v[18:19]
	v_add_f64_e32 v[20:21], v[179:180], v[189:190]
	v_fma_f64 v[179:180], v[4:5], v[26:27], v[181:182]
	v_fma_f64 v[26:27], v[2:3], v[26:27], -v[28:29]
	v_fma_f64 v[16:17], v[16:17], v[30:31], v[24:25]
	v_fma_f64 v[14:15], v[14:15], v[30:31], -v[32:33]
	v_add_f64_e32 v[22:23], v[18:19], v[22:23]
	v_add_f64_e32 v[28:29], v[20:21], v[185:186]
	ds_load_b128 v[2:5], v1 offset:1968
	ds_load_b128 v[18:21], v1 offset:1984
	s_wait_loadcnt_dscnt 0x401
	v_mul_f64_e32 v[181:182], v[2:3], v[36:37]
	v_mul_f64_e32 v[36:37], v[4:5], v[36:37]
	v_add_f64_e32 v[22:23], v[22:23], v[26:27]
	v_add_f64_e32 v[24:25], v[28:29], v[179:180]
	s_wait_loadcnt_dscnt 0x300
	v_mul_f64_e32 v[26:27], v[18:19], v[177:178]
	v_mul_f64_e32 v[28:29], v[20:21], v[177:178]
	v_fma_f64 v[30:31], v[4:5], v[34:35], v[181:182]
	v_fma_f64 v[32:33], v[2:3], v[34:35], -v[36:37]
	v_add_f64_e32 v[22:23], v[22:23], v[14:15]
	v_add_f64_e32 v[24:25], v[24:25], v[16:17]
	ds_load_b128 v[2:5], v1 offset:2000
	ds_load_b128 v[14:17], v1 offset:2016
	v_fma_f64 v[20:21], v[20:21], v[175:176], v[26:27]
	v_fma_f64 v[18:19], v[18:19], v[175:176], -v[28:29]
	s_wait_loadcnt_dscnt 0x201
	v_mul_f64_e32 v[34:35], v[2:3], v[40:41]
	v_mul_f64_e32 v[36:37], v[4:5], v[40:41]
	s_wait_loadcnt_dscnt 0x100
	v_mul_f64_e32 v[26:27], v[14:15], v[8:9]
	v_mul_f64_e32 v[8:9], v[16:17], v[8:9]
	v_add_f64_e32 v[22:23], v[22:23], v[32:33]
	v_add_f64_e32 v[24:25], v[24:25], v[30:31]
	v_fma_f64 v[28:29], v[4:5], v[38:39], v[34:35]
	v_fma_f64 v[30:31], v[2:3], v[38:39], -v[36:37]
	ds_load_b128 v[2:5], v1 offset:2032
	v_fma_f64 v[16:17], v[16:17], v[6:7], v[26:27]
	v_fma_f64 v[6:7], v[14:15], v[6:7], -v[8:9]
	v_add_f64_e32 v[18:19], v[22:23], v[18:19]
	v_add_f64_e32 v[20:21], v[24:25], v[20:21]
	s_wait_loadcnt_dscnt 0x0
	v_mul_f64_e32 v[22:23], v[2:3], v[12:13]
	v_mul_f64_e32 v[12:13], v[4:5], v[12:13]
	s_delay_alu instid0(VALU_DEP_4) | instskip(NEXT) | instid1(VALU_DEP_4)
	v_add_f64_e32 v[8:9], v[18:19], v[30:31]
	v_add_f64_e32 v[14:15], v[20:21], v[28:29]
	s_delay_alu instid0(VALU_DEP_4) | instskip(NEXT) | instid1(VALU_DEP_4)
	v_fma_f64 v[4:5], v[4:5], v[10:11], v[22:23]
	v_fma_f64 v[2:3], v[2:3], v[10:11], -v[12:13]
	s_delay_alu instid0(VALU_DEP_4) | instskip(NEXT) | instid1(VALU_DEP_4)
	v_add_f64_e32 v[6:7], v[8:9], v[6:7]
	v_add_f64_e32 v[8:9], v[14:15], v[16:17]
	s_delay_alu instid0(VALU_DEP_2) | instskip(NEXT) | instid1(VALU_DEP_2)
	v_add_f64_e32 v[2:3], v[6:7], v[2:3]
	v_add_f64_e32 v[4:5], v[8:9], v[4:5]
	s_delay_alu instid0(VALU_DEP_2) | instskip(NEXT) | instid1(VALU_DEP_2)
	v_add_f64_e64 v[2:3], v[42:43], -v[2:3]
	v_add_f64_e64 v[4:5], v[44:45], -v[4:5]
	scratch_store_b128 off, v[2:5], off offset:176
	v_cmpx_lt_u32_e32 9, v0
	s_cbranch_execz .LBB63_391
; %bb.390:
	scratch_load_b128 v[5:8], off, s70
	v_dual_mov_b32 v2, v1 :: v_dual_mov_b32 v3, v1
	v_mov_b32_e32 v4, v1
	scratch_store_b128 off, v[1:4], off offset:160
	s_wait_loadcnt 0x0
	ds_store_b128 v174, v[5:8]
.LBB63_391:
	s_wait_alu 0xfffe
	s_or_b32 exec_lo, exec_lo, s0
	s_wait_storecnt_dscnt 0x0
	s_barrier_signal -1
	s_barrier_wait -1
	global_inv scope:SCOPE_SE
	s_clause 0x8
	scratch_load_b128 v[2:5], off, off offset:176
	scratch_load_b128 v[6:9], off, off offset:192
	;; [unrolled: 1-line block ×9, first 2 shown]
	ds_load_b128 v[42:45], v1 offset:1184
	ds_load_b128 v[38:41], v1 offset:1200
	s_clause 0x1
	scratch_load_b128 v[175:178], off, off offset:160
	scratch_load_b128 v[179:182], off, off offset:320
	s_mov_b32 s0, exec_lo
	s_wait_loadcnt_dscnt 0xa01
	v_mul_f64_e32 v[183:184], v[44:45], v[4:5]
	v_mul_f64_e32 v[4:5], v[42:43], v[4:5]
	s_wait_loadcnt_dscnt 0x900
	v_mul_f64_e32 v[187:188], v[38:39], v[8:9]
	v_mul_f64_e32 v[8:9], v[40:41], v[8:9]
	s_delay_alu instid0(VALU_DEP_4) | instskip(NEXT) | instid1(VALU_DEP_4)
	v_fma_f64 v[189:190], v[42:43], v[2:3], -v[183:184]
	v_fma_f64 v[191:192], v[44:45], v[2:3], v[4:5]
	ds_load_b128 v[2:5], v1 offset:1216
	ds_load_b128 v[183:186], v1 offset:1232
	scratch_load_b128 v[42:45], off, off offset:336
	v_fma_f64 v[40:41], v[40:41], v[6:7], v[187:188]
	v_fma_f64 v[38:39], v[38:39], v[6:7], -v[8:9]
	scratch_load_b128 v[6:9], off, off offset:352
	s_wait_loadcnt_dscnt 0xa01
	v_mul_f64_e32 v[193:194], v[2:3], v[12:13]
	v_mul_f64_e32 v[12:13], v[4:5], v[12:13]
	v_add_f64_e32 v[187:188], 0, v[189:190]
	v_add_f64_e32 v[189:190], 0, v[191:192]
	s_wait_loadcnt_dscnt 0x900
	v_mul_f64_e32 v[191:192], v[183:184], v[16:17]
	v_mul_f64_e32 v[16:17], v[185:186], v[16:17]
	v_fma_f64 v[193:194], v[4:5], v[10:11], v[193:194]
	v_fma_f64 v[195:196], v[2:3], v[10:11], -v[12:13]
	ds_load_b128 v[2:5], v1 offset:1248
	scratch_load_b128 v[10:13], off, off offset:368
	v_add_f64_e32 v[187:188], v[187:188], v[38:39]
	v_add_f64_e32 v[189:190], v[189:190], v[40:41]
	ds_load_b128 v[38:41], v1 offset:1264
	v_fma_f64 v[185:186], v[185:186], v[14:15], v[191:192]
	v_fma_f64 v[183:184], v[183:184], v[14:15], -v[16:17]
	scratch_load_b128 v[14:17], off, off offset:384
	s_wait_loadcnt_dscnt 0xa01
	v_mul_f64_e32 v[197:198], v[2:3], v[20:21]
	v_mul_f64_e32 v[20:21], v[4:5], v[20:21]
	s_wait_loadcnt_dscnt 0x900
	v_mul_f64_e32 v[191:192], v[38:39], v[24:25]
	v_mul_f64_e32 v[24:25], v[40:41], v[24:25]
	v_add_f64_e32 v[187:188], v[187:188], v[195:196]
	v_add_f64_e32 v[189:190], v[189:190], v[193:194]
	v_fma_f64 v[193:194], v[4:5], v[18:19], v[197:198]
	v_fma_f64 v[195:196], v[2:3], v[18:19], -v[20:21]
	ds_load_b128 v[2:5], v1 offset:1280
	scratch_load_b128 v[18:21], off, off offset:400
	v_fma_f64 v[40:41], v[40:41], v[22:23], v[191:192]
	v_fma_f64 v[38:39], v[38:39], v[22:23], -v[24:25]
	scratch_load_b128 v[22:25], off, off offset:416
	v_add_f64_e32 v[187:188], v[187:188], v[183:184]
	v_add_f64_e32 v[189:190], v[189:190], v[185:186]
	ds_load_b128 v[183:186], v1 offset:1296
	s_wait_loadcnt_dscnt 0xa01
	v_mul_f64_e32 v[197:198], v[2:3], v[28:29]
	v_mul_f64_e32 v[28:29], v[4:5], v[28:29]
	s_wait_loadcnt_dscnt 0x900
	v_mul_f64_e32 v[191:192], v[183:184], v[32:33]
	v_mul_f64_e32 v[32:33], v[185:186], v[32:33]
	v_add_f64_e32 v[187:188], v[187:188], v[195:196]
	v_add_f64_e32 v[189:190], v[189:190], v[193:194]
	v_fma_f64 v[193:194], v[4:5], v[26:27], v[197:198]
	v_fma_f64 v[195:196], v[2:3], v[26:27], -v[28:29]
	ds_load_b128 v[2:5], v1 offset:1312
	scratch_load_b128 v[26:29], off, off offset:432
	v_fma_f64 v[185:186], v[185:186], v[30:31], v[191:192]
	v_fma_f64 v[183:184], v[183:184], v[30:31], -v[32:33]
	scratch_load_b128 v[30:33], off, off offset:448
	v_add_f64_e32 v[187:188], v[187:188], v[38:39]
	v_add_f64_e32 v[189:190], v[189:190], v[40:41]
	ds_load_b128 v[38:41], v1 offset:1328
	s_wait_loadcnt_dscnt 0xa01
	v_mul_f64_e32 v[197:198], v[2:3], v[36:37]
	v_mul_f64_e32 v[36:37], v[4:5], v[36:37]
	s_wait_loadcnt_dscnt 0x800
	v_mul_f64_e32 v[191:192], v[38:39], v[181:182]
	v_add_f64_e32 v[187:188], v[187:188], v[195:196]
	v_add_f64_e32 v[189:190], v[189:190], v[193:194]
	v_mul_f64_e32 v[193:194], v[40:41], v[181:182]
	v_fma_f64 v[195:196], v[4:5], v[34:35], v[197:198]
	v_fma_f64 v[197:198], v[2:3], v[34:35], -v[36:37]
	ds_load_b128 v[2:5], v1 offset:1344
	scratch_load_b128 v[34:37], off, off offset:464
	v_fma_f64 v[191:192], v[40:41], v[179:180], v[191:192]
	v_add_f64_e32 v[187:188], v[187:188], v[183:184]
	v_add_f64_e32 v[185:186], v[189:190], v[185:186]
	ds_load_b128 v[181:184], v1 offset:1360
	v_fma_f64 v[179:180], v[38:39], v[179:180], -v[193:194]
	scratch_load_b128 v[38:41], off, off offset:480
	s_wait_loadcnt_dscnt 0x901
	v_mul_f64_e32 v[189:190], v[2:3], v[44:45]
	v_mul_f64_e32 v[44:45], v[4:5], v[44:45]
	s_wait_loadcnt_dscnt 0x800
	v_mul_f64_e32 v[193:194], v[181:182], v[8:9]
	v_mul_f64_e32 v[8:9], v[183:184], v[8:9]
	v_add_f64_e32 v[187:188], v[187:188], v[197:198]
	v_add_f64_e32 v[185:186], v[185:186], v[195:196]
	v_fma_f64 v[189:190], v[4:5], v[42:43], v[189:190]
	v_fma_f64 v[195:196], v[2:3], v[42:43], -v[44:45]
	ds_load_b128 v[2:5], v1 offset:1376
	scratch_load_b128 v[42:45], off, off offset:496
	v_fma_f64 v[183:184], v[183:184], v[6:7], v[193:194]
	v_fma_f64 v[181:182], v[181:182], v[6:7], -v[8:9]
	scratch_load_b128 v[6:9], off, off offset:512
	v_add_f64_e32 v[179:180], v[187:188], v[179:180]
	v_add_f64_e32 v[191:192], v[185:186], v[191:192]
	ds_load_b128 v[185:188], v1 offset:1392
	s_wait_loadcnt_dscnt 0x901
	v_mul_f64_e32 v[197:198], v[2:3], v[12:13]
	v_mul_f64_e32 v[12:13], v[4:5], v[12:13]
	v_add_f64_e32 v[179:180], v[179:180], v[195:196]
	v_add_f64_e32 v[189:190], v[191:192], v[189:190]
	s_wait_loadcnt_dscnt 0x800
	v_mul_f64_e32 v[191:192], v[185:186], v[16:17]
	v_mul_f64_e32 v[16:17], v[187:188], v[16:17]
	v_fma_f64 v[193:194], v[4:5], v[10:11], v[197:198]
	v_fma_f64 v[195:196], v[2:3], v[10:11], -v[12:13]
	ds_load_b128 v[2:5], v1 offset:1408
	scratch_load_b128 v[10:13], off, off offset:528
	v_add_f64_e32 v[197:198], v[179:180], v[181:182]
	v_add_f64_e32 v[183:184], v[189:190], v[183:184]
	ds_load_b128 v[179:182], v1 offset:1424
	s_wait_loadcnt_dscnt 0x801
	v_mul_f64_e32 v[189:190], v[2:3], v[20:21]
	v_mul_f64_e32 v[20:21], v[4:5], v[20:21]
	v_fma_f64 v[187:188], v[187:188], v[14:15], v[191:192]
	v_fma_f64 v[185:186], v[185:186], v[14:15], -v[16:17]
	scratch_load_b128 v[14:17], off, off offset:544
	v_add_f64_e32 v[191:192], v[197:198], v[195:196]
	v_add_f64_e32 v[183:184], v[183:184], v[193:194]
	s_wait_loadcnt_dscnt 0x800
	v_mul_f64_e32 v[193:194], v[179:180], v[24:25]
	v_mul_f64_e32 v[24:25], v[181:182], v[24:25]
	v_fma_f64 v[189:190], v[4:5], v[18:19], v[189:190]
	v_fma_f64 v[195:196], v[2:3], v[18:19], -v[20:21]
	ds_load_b128 v[2:5], v1 offset:1440
	scratch_load_b128 v[18:21], off, off offset:560
	v_add_f64_e32 v[191:192], v[191:192], v[185:186]
	v_add_f64_e32 v[187:188], v[183:184], v[187:188]
	ds_load_b128 v[183:186], v1 offset:1456
	s_wait_loadcnt_dscnt 0x801
	v_mul_f64_e32 v[197:198], v[2:3], v[28:29]
	v_mul_f64_e32 v[28:29], v[4:5], v[28:29]
	v_fma_f64 v[181:182], v[181:182], v[22:23], v[193:194]
	v_fma_f64 v[179:180], v[179:180], v[22:23], -v[24:25]
	scratch_load_b128 v[22:25], off, off offset:576
	;; [unrolled: 18-line block ×4, first 2 shown]
	s_wait_loadcnt_dscnt 0x800
	v_mul_f64_e32 v[191:192], v[183:184], v[8:9]
	v_mul_f64_e32 v[8:9], v[185:186], v[8:9]
	v_add_f64_e32 v[189:190], v[189:190], v[195:196]
	v_add_f64_e32 v[187:188], v[187:188], v[193:194]
	v_fma_f64 v[193:194], v[4:5], v[42:43], v[197:198]
	v_fma_f64 v[195:196], v[2:3], v[42:43], -v[44:45]
	ds_load_b128 v[2:5], v1 offset:1536
	scratch_load_b128 v[42:45], off, off offset:656
	v_fma_f64 v[185:186], v[185:186], v[6:7], v[191:192]
	v_fma_f64 v[183:184], v[183:184], v[6:7], -v[8:9]
	scratch_load_b128 v[6:9], off, off offset:672
	v_add_f64_e32 v[189:190], v[189:190], v[179:180]
	v_add_f64_e32 v[187:188], v[187:188], v[181:182]
	ds_load_b128 v[179:182], v1 offset:1552
	s_wait_loadcnt_dscnt 0x901
	v_mul_f64_e32 v[197:198], v[2:3], v[12:13]
	v_mul_f64_e32 v[12:13], v[4:5], v[12:13]
	s_wait_loadcnt_dscnt 0x800
	v_mul_f64_e32 v[191:192], v[179:180], v[16:17]
	v_mul_f64_e32 v[16:17], v[181:182], v[16:17]
	v_add_f64_e32 v[189:190], v[189:190], v[195:196]
	v_add_f64_e32 v[187:188], v[187:188], v[193:194]
	v_fma_f64 v[193:194], v[4:5], v[10:11], v[197:198]
	v_fma_f64 v[195:196], v[2:3], v[10:11], -v[12:13]
	ds_load_b128 v[2:5], v1 offset:1568
	scratch_load_b128 v[10:13], off, off offset:688
	v_fma_f64 v[181:182], v[181:182], v[14:15], v[191:192]
	v_fma_f64 v[179:180], v[179:180], v[14:15], -v[16:17]
	scratch_load_b128 v[14:17], off, off offset:704
	v_add_f64_e32 v[189:190], v[189:190], v[183:184]
	v_add_f64_e32 v[187:188], v[187:188], v[185:186]
	ds_load_b128 v[183:186], v1 offset:1584
	s_wait_loadcnt_dscnt 0x901
	v_mul_f64_e32 v[197:198], v[2:3], v[20:21]
	v_mul_f64_e32 v[20:21], v[4:5], v[20:21]
	;; [unrolled: 18-line block ×12, first 2 shown]
	s_wait_loadcnt_dscnt 0x800
	v_mul_f64_e32 v[191:192], v[183:184], v[24:25]
	v_mul_f64_e32 v[24:25], v[185:186], v[24:25]
	v_add_f64_e32 v[189:190], v[189:190], v[195:196]
	v_add_f64_e32 v[187:188], v[187:188], v[193:194]
	v_fma_f64 v[193:194], v[4:5], v[18:19], v[197:198]
	v_fma_f64 v[195:196], v[2:3], v[18:19], -v[20:21]
	ds_load_b128 v[2:5], v1 offset:1920
	ds_load_b128 v[18:21], v1 offset:1936
	v_fma_f64 v[185:186], v[185:186], v[22:23], v[191:192]
	v_fma_f64 v[22:23], v[183:184], v[22:23], -v[24:25]
	v_add_f64_e32 v[179:180], v[189:190], v[179:180]
	v_add_f64_e32 v[181:182], v[187:188], v[181:182]
	s_wait_loadcnt_dscnt 0x701
	v_mul_f64_e32 v[187:188], v[2:3], v[28:29]
	v_mul_f64_e32 v[28:29], v[4:5], v[28:29]
	s_delay_alu instid0(VALU_DEP_4) | instskip(NEXT) | instid1(VALU_DEP_4)
	v_add_f64_e32 v[24:25], v[179:180], v[195:196]
	v_add_f64_e32 v[179:180], v[181:182], v[193:194]
	s_wait_loadcnt_dscnt 0x600
	v_mul_f64_e32 v[181:182], v[18:19], v[32:33]
	v_mul_f64_e32 v[32:33], v[20:21], v[32:33]
	v_fma_f64 v[183:184], v[4:5], v[26:27], v[187:188]
	v_fma_f64 v[26:27], v[2:3], v[26:27], -v[28:29]
	v_add_f64_e32 v[28:29], v[24:25], v[22:23]
	v_add_f64_e32 v[179:180], v[179:180], v[185:186]
	ds_load_b128 v[2:5], v1 offset:1952
	ds_load_b128 v[22:25], v1 offset:1968
	v_fma_f64 v[20:21], v[20:21], v[30:31], v[181:182]
	v_fma_f64 v[18:19], v[18:19], v[30:31], -v[32:33]
	s_wait_loadcnt_dscnt 0x501
	v_mul_f64_e32 v[185:186], v[2:3], v[36:37]
	v_mul_f64_e32 v[36:37], v[4:5], v[36:37]
	s_wait_loadcnt_dscnt 0x400
	v_mul_f64_e32 v[30:31], v[22:23], v[40:41]
	v_mul_f64_e32 v[32:33], v[24:25], v[40:41]
	v_add_f64_e32 v[26:27], v[28:29], v[26:27]
	v_add_f64_e32 v[28:29], v[179:180], v[183:184]
	v_fma_f64 v[40:41], v[4:5], v[34:35], v[185:186]
	v_fma_f64 v[34:35], v[2:3], v[34:35], -v[36:37]
	v_fma_f64 v[24:25], v[24:25], v[38:39], v[30:31]
	v_fma_f64 v[22:23], v[22:23], v[38:39], -v[32:33]
	v_add_f64_e32 v[26:27], v[26:27], v[18:19]
	v_add_f64_e32 v[28:29], v[28:29], v[20:21]
	ds_load_b128 v[2:5], v1 offset:1984
	ds_load_b128 v[18:21], v1 offset:2000
	s_wait_loadcnt_dscnt 0x301
	v_mul_f64_e32 v[36:37], v[2:3], v[44:45]
	v_mul_f64_e32 v[44:45], v[4:5], v[44:45]
	s_wait_loadcnt_dscnt 0x200
	v_mul_f64_e32 v[30:31], v[18:19], v[8:9]
	v_mul_f64_e32 v[8:9], v[20:21], v[8:9]
	v_add_f64_e32 v[26:27], v[26:27], v[34:35]
	v_add_f64_e32 v[28:29], v[28:29], v[40:41]
	v_fma_f64 v[32:33], v[4:5], v[42:43], v[36:37]
	v_fma_f64 v[34:35], v[2:3], v[42:43], -v[44:45]
	v_fma_f64 v[20:21], v[20:21], v[6:7], v[30:31]
	v_fma_f64 v[6:7], v[18:19], v[6:7], -v[8:9]
	v_add_f64_e32 v[26:27], v[26:27], v[22:23]
	v_add_f64_e32 v[28:29], v[28:29], v[24:25]
	ds_load_b128 v[2:5], v1 offset:2016
	ds_load_b128 v[22:25], v1 offset:2032
	s_wait_loadcnt_dscnt 0x101
	v_mul_f64_e32 v[36:37], v[2:3], v[12:13]
	v_mul_f64_e32 v[12:13], v[4:5], v[12:13]
	v_add_f64_e32 v[8:9], v[26:27], v[34:35]
	v_add_f64_e32 v[18:19], v[28:29], v[32:33]
	s_wait_loadcnt_dscnt 0x0
	v_mul_f64_e32 v[26:27], v[22:23], v[16:17]
	v_mul_f64_e32 v[16:17], v[24:25], v[16:17]
	v_fma_f64 v[4:5], v[4:5], v[10:11], v[36:37]
	v_fma_f64 v[1:2], v[2:3], v[10:11], -v[12:13]
	v_add_f64_e32 v[6:7], v[8:9], v[6:7]
	v_add_f64_e32 v[8:9], v[18:19], v[20:21]
	v_fma_f64 v[10:11], v[24:25], v[14:15], v[26:27]
	v_fma_f64 v[12:13], v[22:23], v[14:15], -v[16:17]
	s_delay_alu instid0(VALU_DEP_4) | instskip(NEXT) | instid1(VALU_DEP_4)
	v_add_f64_e32 v[1:2], v[6:7], v[1:2]
	v_add_f64_e32 v[3:4], v[8:9], v[4:5]
	s_delay_alu instid0(VALU_DEP_2) | instskip(NEXT) | instid1(VALU_DEP_2)
	v_add_f64_e32 v[1:2], v[1:2], v[12:13]
	v_add_f64_e32 v[3:4], v[3:4], v[10:11]
	s_delay_alu instid0(VALU_DEP_2) | instskip(NEXT) | instid1(VALU_DEP_2)
	v_add_f64_e64 v[1:2], v[175:176], -v[1:2]
	v_add_f64_e64 v[3:4], v[177:178], -v[3:4]
	scratch_store_b128 off, v[1:4], off offset:160
	v_cmpx_lt_u32_e32 8, v0
	s_cbranch_execz .LBB63_393
; %bb.392:
	scratch_load_b128 v[1:4], off, s71
	v_mov_b32_e32 v5, 0
	s_delay_alu instid0(VALU_DEP_1)
	v_dual_mov_b32 v6, v5 :: v_dual_mov_b32 v7, v5
	v_mov_b32_e32 v8, v5
	scratch_store_b128 off, v[5:8], off offset:144
	s_wait_loadcnt 0x0
	ds_store_b128 v174, v[1:4]
.LBB63_393:
	s_wait_alu 0xfffe
	s_or_b32 exec_lo, exec_lo, s0
	s_wait_storecnt_dscnt 0x0
	s_barrier_signal -1
	s_barrier_wait -1
	global_inv scope:SCOPE_SE
	s_clause 0x7
	scratch_load_b128 v[2:5], off, off offset:160
	scratch_load_b128 v[6:9], off, off offset:176
	;; [unrolled: 1-line block ×8, first 2 shown]
	v_mov_b32_e32 v1, 0
	s_mov_b32 s0, exec_lo
	ds_load_b128 v[38:41], v1 offset:1168
	s_clause 0x1
	scratch_load_b128 v[34:37], off, off offset:288
	scratch_load_b128 v[42:45], off, off offset:144
	ds_load_b128 v[175:178], v1 offset:1184
	scratch_load_b128 v[179:182], off, off offset:304
	s_wait_loadcnt_dscnt 0xa01
	v_mul_f64_e32 v[183:184], v[40:41], v[4:5]
	v_mul_f64_e32 v[4:5], v[38:39], v[4:5]
	s_delay_alu instid0(VALU_DEP_2) | instskip(NEXT) | instid1(VALU_DEP_2)
	v_fma_f64 v[189:190], v[38:39], v[2:3], -v[183:184]
	v_fma_f64 v[191:192], v[40:41], v[2:3], v[4:5]
	ds_load_b128 v[2:5], v1 offset:1200
	s_wait_loadcnt_dscnt 0x901
	v_mul_f64_e32 v[187:188], v[175:176], v[8:9]
	v_mul_f64_e32 v[8:9], v[177:178], v[8:9]
	scratch_load_b128 v[38:41], off, off offset:320
	ds_load_b128 v[183:186], v1 offset:1216
	s_wait_loadcnt_dscnt 0x901
	v_mul_f64_e32 v[193:194], v[2:3], v[12:13]
	v_mul_f64_e32 v[12:13], v[4:5], v[12:13]
	v_fma_f64 v[177:178], v[177:178], v[6:7], v[187:188]
	v_fma_f64 v[175:176], v[175:176], v[6:7], -v[8:9]
	v_add_f64_e32 v[187:188], 0, v[189:190]
	v_add_f64_e32 v[189:190], 0, v[191:192]
	scratch_load_b128 v[6:9], off, off offset:336
	v_fma_f64 v[193:194], v[4:5], v[10:11], v[193:194]
	v_fma_f64 v[195:196], v[2:3], v[10:11], -v[12:13]
	ds_load_b128 v[2:5], v1 offset:1232
	s_wait_loadcnt_dscnt 0x901
	v_mul_f64_e32 v[191:192], v[183:184], v[16:17]
	v_mul_f64_e32 v[16:17], v[185:186], v[16:17]
	scratch_load_b128 v[10:13], off, off offset:352
	v_add_f64_e32 v[187:188], v[187:188], v[175:176]
	v_add_f64_e32 v[189:190], v[189:190], v[177:178]
	s_wait_loadcnt_dscnt 0x900
	v_mul_f64_e32 v[197:198], v[2:3], v[20:21]
	v_mul_f64_e32 v[20:21], v[4:5], v[20:21]
	ds_load_b128 v[175:178], v1 offset:1248
	v_fma_f64 v[185:186], v[185:186], v[14:15], v[191:192]
	v_fma_f64 v[183:184], v[183:184], v[14:15], -v[16:17]
	scratch_load_b128 v[14:17], off, off offset:368
	v_add_f64_e32 v[187:188], v[187:188], v[195:196]
	v_add_f64_e32 v[189:190], v[189:190], v[193:194]
	v_fma_f64 v[193:194], v[4:5], v[18:19], v[197:198]
	v_fma_f64 v[195:196], v[2:3], v[18:19], -v[20:21]
	ds_load_b128 v[2:5], v1 offset:1264
	s_wait_loadcnt_dscnt 0x901
	v_mul_f64_e32 v[191:192], v[175:176], v[24:25]
	v_mul_f64_e32 v[24:25], v[177:178], v[24:25]
	scratch_load_b128 v[18:21], off, off offset:384
	s_wait_loadcnt_dscnt 0x900
	v_mul_f64_e32 v[197:198], v[2:3], v[28:29]
	v_mul_f64_e32 v[28:29], v[4:5], v[28:29]
	v_add_f64_e32 v[187:188], v[187:188], v[183:184]
	v_add_f64_e32 v[189:190], v[189:190], v[185:186]
	ds_load_b128 v[183:186], v1 offset:1280
	v_fma_f64 v[177:178], v[177:178], v[22:23], v[191:192]
	v_fma_f64 v[175:176], v[175:176], v[22:23], -v[24:25]
	scratch_load_b128 v[22:25], off, off offset:400
	v_add_f64_e32 v[187:188], v[187:188], v[195:196]
	v_add_f64_e32 v[189:190], v[189:190], v[193:194]
	v_fma_f64 v[193:194], v[4:5], v[26:27], v[197:198]
	v_fma_f64 v[195:196], v[2:3], v[26:27], -v[28:29]
	ds_load_b128 v[2:5], v1 offset:1296
	s_wait_loadcnt_dscnt 0x901
	v_mul_f64_e32 v[191:192], v[183:184], v[32:33]
	v_mul_f64_e32 v[32:33], v[185:186], v[32:33]
	scratch_load_b128 v[26:29], off, off offset:416
	s_wait_loadcnt_dscnt 0x900
	v_mul_f64_e32 v[197:198], v[2:3], v[36:37]
	v_mul_f64_e32 v[36:37], v[4:5], v[36:37]
	v_add_f64_e32 v[187:188], v[187:188], v[175:176]
	v_add_f64_e32 v[189:190], v[189:190], v[177:178]
	ds_load_b128 v[175:178], v1 offset:1312
	v_fma_f64 v[185:186], v[185:186], v[30:31], v[191:192]
	v_fma_f64 v[183:184], v[183:184], v[30:31], -v[32:33]
	scratch_load_b128 v[30:33], off, off offset:432
	v_add_f64_e32 v[187:188], v[187:188], v[195:196]
	v_add_f64_e32 v[189:190], v[189:190], v[193:194]
	v_fma_f64 v[195:196], v[4:5], v[34:35], v[197:198]
	v_fma_f64 v[197:198], v[2:3], v[34:35], -v[36:37]
	ds_load_b128 v[2:5], v1 offset:1328
	s_wait_loadcnt_dscnt 0x801
	v_mul_f64_e32 v[191:192], v[175:176], v[181:182]
	v_mul_f64_e32 v[193:194], v[177:178], v[181:182]
	scratch_load_b128 v[34:37], off, off offset:448
	v_add_f64_e32 v[187:188], v[187:188], v[183:184]
	v_add_f64_e32 v[185:186], v[189:190], v[185:186]
	ds_load_b128 v[181:184], v1 offset:1344
	v_fma_f64 v[191:192], v[177:178], v[179:180], v[191:192]
	v_fma_f64 v[179:180], v[175:176], v[179:180], -v[193:194]
	scratch_load_b128 v[175:178], off, off offset:464
	s_wait_loadcnt_dscnt 0x901
	v_mul_f64_e32 v[189:190], v[2:3], v[40:41]
	v_mul_f64_e32 v[40:41], v[4:5], v[40:41]
	v_add_f64_e32 v[187:188], v[187:188], v[197:198]
	v_add_f64_e32 v[185:186], v[185:186], v[195:196]
	s_delay_alu instid0(VALU_DEP_4) | instskip(NEXT) | instid1(VALU_DEP_4)
	v_fma_f64 v[189:190], v[4:5], v[38:39], v[189:190]
	v_fma_f64 v[195:196], v[2:3], v[38:39], -v[40:41]
	ds_load_b128 v[2:5], v1 offset:1360
	s_wait_loadcnt_dscnt 0x801
	v_mul_f64_e32 v[193:194], v[181:182], v[8:9]
	v_mul_f64_e32 v[8:9], v[183:184], v[8:9]
	scratch_load_b128 v[38:41], off, off offset:480
	s_wait_loadcnt_dscnt 0x800
	v_mul_f64_e32 v[197:198], v[2:3], v[12:13]
	v_add_f64_e32 v[179:180], v[187:188], v[179:180]
	v_add_f64_e32 v[191:192], v[185:186], v[191:192]
	v_mul_f64_e32 v[12:13], v[4:5], v[12:13]
	ds_load_b128 v[185:188], v1 offset:1376
	v_fma_f64 v[183:184], v[183:184], v[6:7], v[193:194]
	v_fma_f64 v[181:182], v[181:182], v[6:7], -v[8:9]
	scratch_load_b128 v[6:9], off, off offset:496
	v_fma_f64 v[193:194], v[4:5], v[10:11], v[197:198]
	v_add_f64_e32 v[179:180], v[179:180], v[195:196]
	v_add_f64_e32 v[189:190], v[191:192], v[189:190]
	v_fma_f64 v[195:196], v[2:3], v[10:11], -v[12:13]
	ds_load_b128 v[2:5], v1 offset:1392
	s_wait_loadcnt_dscnt 0x801
	v_mul_f64_e32 v[191:192], v[185:186], v[16:17]
	v_mul_f64_e32 v[16:17], v[187:188], v[16:17]
	scratch_load_b128 v[10:13], off, off offset:512
	v_add_f64_e32 v[197:198], v[179:180], v[181:182]
	v_add_f64_e32 v[183:184], v[189:190], v[183:184]
	s_wait_loadcnt_dscnt 0x800
	v_mul_f64_e32 v[189:190], v[2:3], v[20:21]
	v_mul_f64_e32 v[20:21], v[4:5], v[20:21]
	v_fma_f64 v[187:188], v[187:188], v[14:15], v[191:192]
	v_fma_f64 v[185:186], v[185:186], v[14:15], -v[16:17]
	ds_load_b128 v[179:182], v1 offset:1408
	scratch_load_b128 v[14:17], off, off offset:528
	v_add_f64_e32 v[191:192], v[197:198], v[195:196]
	v_add_f64_e32 v[183:184], v[183:184], v[193:194]
	v_fma_f64 v[189:190], v[4:5], v[18:19], v[189:190]
	v_fma_f64 v[195:196], v[2:3], v[18:19], -v[20:21]
	ds_load_b128 v[2:5], v1 offset:1424
	s_wait_loadcnt_dscnt 0x801
	v_mul_f64_e32 v[193:194], v[179:180], v[24:25]
	v_mul_f64_e32 v[24:25], v[181:182], v[24:25]
	scratch_load_b128 v[18:21], off, off offset:544
	s_wait_loadcnt_dscnt 0x800
	v_mul_f64_e32 v[197:198], v[2:3], v[28:29]
	v_mul_f64_e32 v[28:29], v[4:5], v[28:29]
	v_add_f64_e32 v[191:192], v[191:192], v[185:186]
	v_add_f64_e32 v[187:188], v[183:184], v[187:188]
	ds_load_b128 v[183:186], v1 offset:1440
	v_fma_f64 v[181:182], v[181:182], v[22:23], v[193:194]
	v_fma_f64 v[179:180], v[179:180], v[22:23], -v[24:25]
	scratch_load_b128 v[22:25], off, off offset:560
	v_fma_f64 v[193:194], v[4:5], v[26:27], v[197:198]
	v_add_f64_e32 v[191:192], v[191:192], v[195:196]
	v_add_f64_e32 v[187:188], v[187:188], v[189:190]
	v_fma_f64 v[195:196], v[2:3], v[26:27], -v[28:29]
	ds_load_b128 v[2:5], v1 offset:1456
	s_wait_loadcnt_dscnt 0x801
	v_mul_f64_e32 v[189:190], v[183:184], v[32:33]
	v_mul_f64_e32 v[32:33], v[185:186], v[32:33]
	scratch_load_b128 v[26:29], off, off offset:576
	s_wait_loadcnt_dscnt 0x800
	v_mul_f64_e32 v[197:198], v[2:3], v[36:37]
	v_mul_f64_e32 v[36:37], v[4:5], v[36:37]
	v_add_f64_e32 v[191:192], v[191:192], v[179:180]
	v_add_f64_e32 v[187:188], v[187:188], v[181:182]
	ds_load_b128 v[179:182], v1 offset:1472
	v_fma_f64 v[185:186], v[185:186], v[30:31], v[189:190]
	v_fma_f64 v[183:184], v[183:184], v[30:31], -v[32:33]
	scratch_load_b128 v[30:33], off, off offset:592
	v_add_f64_e32 v[189:190], v[191:192], v[195:196]
	v_add_f64_e32 v[187:188], v[187:188], v[193:194]
	v_fma_f64 v[193:194], v[4:5], v[34:35], v[197:198]
	v_fma_f64 v[195:196], v[2:3], v[34:35], -v[36:37]
	ds_load_b128 v[2:5], v1 offset:1488
	s_wait_loadcnt_dscnt 0x801
	v_mul_f64_e32 v[191:192], v[179:180], v[177:178]
	v_mul_f64_e32 v[177:178], v[181:182], v[177:178]
	scratch_load_b128 v[34:37], off, off offset:608
	s_wait_loadcnt_dscnt 0x800
	v_mul_f64_e32 v[197:198], v[2:3], v[40:41]
	v_mul_f64_e32 v[40:41], v[4:5], v[40:41]
	v_add_f64_e32 v[189:190], v[189:190], v[183:184]
	v_add_f64_e32 v[187:188], v[187:188], v[185:186]
	ds_load_b128 v[183:186], v1 offset:1504
	v_fma_f64 v[181:182], v[181:182], v[175:176], v[191:192]
	v_fma_f64 v[179:180], v[179:180], v[175:176], -v[177:178]
	scratch_load_b128 v[175:178], off, off offset:624
	v_add_f64_e32 v[189:190], v[189:190], v[195:196]
	v_add_f64_e32 v[187:188], v[187:188], v[193:194]
	v_fma_f64 v[193:194], v[4:5], v[38:39], v[197:198]
	;; [unrolled: 18-line block ×6, first 2 shown]
	v_fma_f64 v[197:198], v[2:3], v[34:35], -v[36:37]
	ds_load_b128 v[2:5], v1 offset:1648
	s_wait_loadcnt_dscnt 0x801
	v_mul_f64_e32 v[191:192], v[183:184], v[177:178]
	v_mul_f64_e32 v[193:194], v[185:186], v[177:178]
	scratch_load_b128 v[34:37], off, off offset:768
	v_add_f64_e32 v[189:190], v[189:190], v[179:180]
	v_add_f64_e32 v[181:182], v[187:188], v[181:182]
	s_wait_loadcnt_dscnt 0x800
	v_mul_f64_e32 v[187:188], v[2:3], v[40:41]
	v_mul_f64_e32 v[40:41], v[4:5], v[40:41]
	ds_load_b128 v[177:180], v1 offset:1664
	v_fma_f64 v[185:186], v[185:186], v[175:176], v[191:192]
	v_fma_f64 v[175:176], v[183:184], v[175:176], -v[193:194]
	v_add_f64_e32 v[189:190], v[189:190], v[197:198]
	v_add_f64_e32 v[191:192], v[181:182], v[195:196]
	scratch_load_b128 v[181:184], off, off offset:784
	v_fma_f64 v[195:196], v[4:5], v[38:39], v[187:188]
	v_fma_f64 v[197:198], v[2:3], v[38:39], -v[40:41]
	ds_load_b128 v[2:5], v1 offset:1680
	s_wait_loadcnt_dscnt 0x801
	v_mul_f64_e32 v[193:194], v[177:178], v[8:9]
	v_mul_f64_e32 v[8:9], v[179:180], v[8:9]
	scratch_load_b128 v[38:41], off, off offset:800
	v_add_f64_e32 v[175:176], v[189:190], v[175:176]
	v_add_f64_e32 v[189:190], v[191:192], v[185:186]
	s_wait_loadcnt_dscnt 0x800
	v_mul_f64_e32 v[191:192], v[2:3], v[12:13]
	v_mul_f64_e32 v[12:13], v[4:5], v[12:13]
	ds_load_b128 v[185:188], v1 offset:1696
	v_fma_f64 v[179:180], v[179:180], v[6:7], v[193:194]
	v_fma_f64 v[177:178], v[177:178], v[6:7], -v[8:9]
	scratch_load_b128 v[6:9], off, off offset:816
	v_add_f64_e32 v[175:176], v[175:176], v[197:198]
	v_add_f64_e32 v[189:190], v[189:190], v[195:196]
	v_fma_f64 v[191:192], v[4:5], v[10:11], v[191:192]
	v_fma_f64 v[195:196], v[2:3], v[10:11], -v[12:13]
	ds_load_b128 v[2:5], v1 offset:1712
	s_wait_loadcnt_dscnt 0x801
	v_mul_f64_e32 v[193:194], v[185:186], v[16:17]
	v_mul_f64_e32 v[16:17], v[187:188], v[16:17]
	scratch_load_b128 v[10:13], off, off offset:832
	v_add_f64_e32 v[197:198], v[175:176], v[177:178]
	v_add_f64_e32 v[179:180], v[189:190], v[179:180]
	s_wait_loadcnt_dscnt 0x800
	v_mul_f64_e32 v[189:190], v[2:3], v[20:21]
	v_mul_f64_e32 v[20:21], v[4:5], v[20:21]
	ds_load_b128 v[175:178], v1 offset:1728
	v_fma_f64 v[187:188], v[187:188], v[14:15], v[193:194]
	v_fma_f64 v[185:186], v[185:186], v[14:15], -v[16:17]
	scratch_load_b128 v[14:17], off, off offset:848
	v_add_f64_e32 v[193:194], v[197:198], v[195:196]
	v_add_f64_e32 v[179:180], v[179:180], v[191:192]
	v_fma_f64 v[189:190], v[4:5], v[18:19], v[189:190]
	v_fma_f64 v[195:196], v[2:3], v[18:19], -v[20:21]
	ds_load_b128 v[2:5], v1 offset:1744
	s_wait_loadcnt_dscnt 0x801
	v_mul_f64_e32 v[191:192], v[175:176], v[24:25]
	v_mul_f64_e32 v[24:25], v[177:178], v[24:25]
	scratch_load_b128 v[18:21], off, off offset:864
	s_wait_loadcnt_dscnt 0x800
	v_mul_f64_e32 v[197:198], v[2:3], v[28:29]
	v_mul_f64_e32 v[28:29], v[4:5], v[28:29]
	v_add_f64_e32 v[193:194], v[193:194], v[185:186]
	v_add_f64_e32 v[179:180], v[179:180], v[187:188]
	ds_load_b128 v[185:188], v1 offset:1760
	v_fma_f64 v[177:178], v[177:178], v[22:23], v[191:192]
	v_fma_f64 v[175:176], v[175:176], v[22:23], -v[24:25]
	scratch_load_b128 v[22:25], off, off offset:880
	v_add_f64_e32 v[191:192], v[193:194], v[195:196]
	v_add_f64_e32 v[179:180], v[179:180], v[189:190]
	v_fma_f64 v[193:194], v[4:5], v[26:27], v[197:198]
	v_fma_f64 v[195:196], v[2:3], v[26:27], -v[28:29]
	ds_load_b128 v[2:5], v1 offset:1776
	s_wait_loadcnt_dscnt 0x801
	v_mul_f64_e32 v[189:190], v[185:186], v[32:33]
	v_mul_f64_e32 v[32:33], v[187:188], v[32:33]
	scratch_load_b128 v[26:29], off, off offset:896
	s_wait_loadcnt_dscnt 0x800
	v_mul_f64_e32 v[197:198], v[2:3], v[36:37]
	v_mul_f64_e32 v[36:37], v[4:5], v[36:37]
	v_add_f64_e32 v[191:192], v[191:192], v[175:176]
	v_add_f64_e32 v[179:180], v[179:180], v[177:178]
	ds_load_b128 v[175:178], v1 offset:1792
	v_fma_f64 v[187:188], v[187:188], v[30:31], v[189:190]
	v_fma_f64 v[185:186], v[185:186], v[30:31], -v[32:33]
	scratch_load_b128 v[30:33], off, off offset:912
	v_add_f64_e32 v[189:190], v[191:192], v[195:196]
	v_add_f64_e32 v[179:180], v[179:180], v[193:194]
	v_fma_f64 v[195:196], v[4:5], v[34:35], v[197:198]
	v_fma_f64 v[197:198], v[2:3], v[34:35], -v[36:37]
	ds_load_b128 v[2:5], v1 offset:1808
	scratch_load_b128 v[34:37], off, off offset:928
	s_wait_loadcnt_dscnt 0x901
	v_mul_f64_e32 v[191:192], v[175:176], v[183:184]
	v_mul_f64_e32 v[193:194], v[177:178], v[183:184]
	v_add_f64_e32 v[189:190], v[189:190], v[185:186]
	v_add_f64_e32 v[179:180], v[179:180], v[187:188]
	s_wait_loadcnt_dscnt 0x800
	v_mul_f64_e32 v[187:188], v[2:3], v[40:41]
	v_mul_f64_e32 v[40:41], v[4:5], v[40:41]
	ds_load_b128 v[183:186], v1 offset:1824
	v_fma_f64 v[191:192], v[177:178], v[181:182], v[191:192]
	v_fma_f64 v[181:182], v[175:176], v[181:182], -v[193:194]
	scratch_load_b128 v[175:178], off, off offset:944
	v_add_f64_e32 v[189:190], v[189:190], v[197:198]
	v_add_f64_e32 v[179:180], v[179:180], v[195:196]
	v_fma_f64 v[187:188], v[4:5], v[38:39], v[187:188]
	v_fma_f64 v[195:196], v[2:3], v[38:39], -v[40:41]
	ds_load_b128 v[2:5], v1 offset:1840
	s_wait_loadcnt_dscnt 0x801
	v_mul_f64_e32 v[193:194], v[183:184], v[8:9]
	v_mul_f64_e32 v[8:9], v[185:186], v[8:9]
	scratch_load_b128 v[38:41], off, off offset:960
	s_wait_loadcnt_dscnt 0x800
	v_mul_f64_e32 v[197:198], v[2:3], v[12:13]
	v_mul_f64_e32 v[12:13], v[4:5], v[12:13]
	v_add_f64_e32 v[189:190], v[189:190], v[181:182]
	v_add_f64_e32 v[191:192], v[179:180], v[191:192]
	ds_load_b128 v[179:182], v1 offset:1856
	v_fma_f64 v[185:186], v[185:186], v[6:7], v[193:194]
	v_fma_f64 v[183:184], v[183:184], v[6:7], -v[8:9]
	scratch_load_b128 v[6:9], off, off offset:976
	v_fma_f64 v[193:194], v[4:5], v[10:11], v[197:198]
	v_add_f64_e32 v[189:190], v[189:190], v[195:196]
	v_add_f64_e32 v[187:188], v[191:192], v[187:188]
	v_fma_f64 v[195:196], v[2:3], v[10:11], -v[12:13]
	ds_load_b128 v[2:5], v1 offset:1872
	s_wait_loadcnt_dscnt 0x801
	v_mul_f64_e32 v[191:192], v[179:180], v[16:17]
	v_mul_f64_e32 v[16:17], v[181:182], v[16:17]
	scratch_load_b128 v[10:13], off, off offset:992
	s_wait_loadcnt_dscnt 0x800
	v_mul_f64_e32 v[197:198], v[2:3], v[20:21]
	v_mul_f64_e32 v[20:21], v[4:5], v[20:21]
	v_add_f64_e32 v[189:190], v[189:190], v[183:184]
	v_add_f64_e32 v[187:188], v[187:188], v[185:186]
	ds_load_b128 v[183:186], v1 offset:1888
	v_fma_f64 v[181:182], v[181:182], v[14:15], v[191:192]
	v_fma_f64 v[179:180], v[179:180], v[14:15], -v[16:17]
	scratch_load_b128 v[14:17], off, off offset:1008
	v_add_f64_e32 v[189:190], v[189:190], v[195:196]
	v_add_f64_e32 v[187:188], v[187:188], v[193:194]
	v_fma_f64 v[193:194], v[4:5], v[18:19], v[197:198]
	v_fma_f64 v[195:196], v[2:3], v[18:19], -v[20:21]
	ds_load_b128 v[2:5], v1 offset:1904
	s_wait_loadcnt_dscnt 0x801
	v_mul_f64_e32 v[191:192], v[183:184], v[24:25]
	v_mul_f64_e32 v[24:25], v[185:186], v[24:25]
	scratch_load_b128 v[18:21], off, off offset:1024
	s_wait_loadcnt_dscnt 0x800
	v_mul_f64_e32 v[197:198], v[2:3], v[28:29]
	v_mul_f64_e32 v[28:29], v[4:5], v[28:29]
	v_add_f64_e32 v[189:190], v[189:190], v[179:180]
	v_add_f64_e32 v[187:188], v[187:188], v[181:182]
	ds_load_b128 v[179:182], v1 offset:1920
	v_fma_f64 v[185:186], v[185:186], v[22:23], v[191:192]
	v_fma_f64 v[22:23], v[183:184], v[22:23], -v[24:25]
	v_add_f64_e32 v[24:25], v[189:190], v[195:196]
	v_add_f64_e32 v[183:184], v[187:188], v[193:194]
	s_wait_loadcnt_dscnt 0x700
	v_mul_f64_e32 v[187:188], v[179:180], v[32:33]
	v_mul_f64_e32 v[32:33], v[181:182], v[32:33]
	v_fma_f64 v[189:190], v[4:5], v[26:27], v[197:198]
	v_fma_f64 v[26:27], v[2:3], v[26:27], -v[28:29]
	v_add_f64_e32 v[28:29], v[24:25], v[22:23]
	v_add_f64_e32 v[183:184], v[183:184], v[185:186]
	ds_load_b128 v[2:5], v1 offset:1936
	ds_load_b128 v[22:25], v1 offset:1952
	v_fma_f64 v[181:182], v[181:182], v[30:31], v[187:188]
	v_fma_f64 v[30:31], v[179:180], v[30:31], -v[32:33]
	s_wait_loadcnt_dscnt 0x601
	v_mul_f64_e32 v[185:186], v[2:3], v[36:37]
	v_mul_f64_e32 v[36:37], v[4:5], v[36:37]
	s_wait_loadcnt_dscnt 0x500
	v_mul_f64_e32 v[32:33], v[22:23], v[177:178]
	v_mul_f64_e32 v[177:178], v[24:25], v[177:178]
	v_add_f64_e32 v[26:27], v[28:29], v[26:27]
	v_add_f64_e32 v[28:29], v[183:184], v[189:190]
	v_fma_f64 v[179:180], v[4:5], v[34:35], v[185:186]
	v_fma_f64 v[34:35], v[2:3], v[34:35], -v[36:37]
	v_fma_f64 v[24:25], v[24:25], v[175:176], v[32:33]
	v_fma_f64 v[22:23], v[22:23], v[175:176], -v[177:178]
	v_add_f64_e32 v[30:31], v[26:27], v[30:31]
	v_add_f64_e32 v[36:37], v[28:29], v[181:182]
	ds_load_b128 v[2:5], v1 offset:1968
	ds_load_b128 v[26:29], v1 offset:1984
	s_wait_loadcnt_dscnt 0x401
	v_mul_f64_e32 v[181:182], v[2:3], v[40:41]
	v_mul_f64_e32 v[40:41], v[4:5], v[40:41]
	v_add_f64_e32 v[30:31], v[30:31], v[34:35]
	v_add_f64_e32 v[32:33], v[36:37], v[179:180]
	s_wait_loadcnt_dscnt 0x300
	v_mul_f64_e32 v[34:35], v[26:27], v[8:9]
	v_mul_f64_e32 v[8:9], v[28:29], v[8:9]
	v_fma_f64 v[36:37], v[4:5], v[38:39], v[181:182]
	v_fma_f64 v[38:39], v[2:3], v[38:39], -v[40:41]
	v_add_f64_e32 v[30:31], v[30:31], v[22:23]
	v_add_f64_e32 v[32:33], v[32:33], v[24:25]
	ds_load_b128 v[2:5], v1 offset:2000
	ds_load_b128 v[22:25], v1 offset:2016
	v_fma_f64 v[28:29], v[28:29], v[6:7], v[34:35]
	v_fma_f64 v[6:7], v[26:27], v[6:7], -v[8:9]
	s_wait_loadcnt_dscnt 0x201
	v_mul_f64_e32 v[40:41], v[2:3], v[12:13]
	v_mul_f64_e32 v[12:13], v[4:5], v[12:13]
	v_add_f64_e32 v[8:9], v[30:31], v[38:39]
	v_add_f64_e32 v[26:27], v[32:33], v[36:37]
	s_wait_loadcnt_dscnt 0x100
	v_mul_f64_e32 v[30:31], v[22:23], v[16:17]
	v_mul_f64_e32 v[16:17], v[24:25], v[16:17]
	v_fma_f64 v[32:33], v[4:5], v[10:11], v[40:41]
	v_fma_f64 v[10:11], v[2:3], v[10:11], -v[12:13]
	ds_load_b128 v[2:5], v1 offset:2032
	v_add_f64_e32 v[6:7], v[8:9], v[6:7]
	v_add_f64_e32 v[8:9], v[26:27], v[28:29]
	v_fma_f64 v[24:25], v[24:25], v[14:15], v[30:31]
	v_fma_f64 v[14:15], v[22:23], v[14:15], -v[16:17]
	s_wait_loadcnt_dscnt 0x0
	v_mul_f64_e32 v[12:13], v[2:3], v[20:21]
	v_mul_f64_e32 v[20:21], v[4:5], v[20:21]
	v_add_f64_e32 v[6:7], v[6:7], v[10:11]
	v_add_f64_e32 v[8:9], v[8:9], v[32:33]
	s_delay_alu instid0(VALU_DEP_4) | instskip(NEXT) | instid1(VALU_DEP_4)
	v_fma_f64 v[4:5], v[4:5], v[18:19], v[12:13]
	v_fma_f64 v[2:3], v[2:3], v[18:19], -v[20:21]
	s_delay_alu instid0(VALU_DEP_4) | instskip(NEXT) | instid1(VALU_DEP_4)
	v_add_f64_e32 v[6:7], v[6:7], v[14:15]
	v_add_f64_e32 v[8:9], v[8:9], v[24:25]
	s_delay_alu instid0(VALU_DEP_2) | instskip(NEXT) | instid1(VALU_DEP_2)
	v_add_f64_e32 v[2:3], v[6:7], v[2:3]
	v_add_f64_e32 v[4:5], v[8:9], v[4:5]
	s_delay_alu instid0(VALU_DEP_2) | instskip(NEXT) | instid1(VALU_DEP_2)
	v_add_f64_e64 v[2:3], v[42:43], -v[2:3]
	v_add_f64_e64 v[4:5], v[44:45], -v[4:5]
	scratch_store_b128 off, v[2:5], off offset:144
	v_cmpx_lt_u32_e32 7, v0
	s_cbranch_execz .LBB63_395
; %bb.394:
	scratch_load_b128 v[5:8], off, s72
	v_dual_mov_b32 v2, v1 :: v_dual_mov_b32 v3, v1
	v_mov_b32_e32 v4, v1
	scratch_store_b128 off, v[1:4], off offset:128
	s_wait_loadcnt 0x0
	ds_store_b128 v174, v[5:8]
.LBB63_395:
	s_wait_alu 0xfffe
	s_or_b32 exec_lo, exec_lo, s0
	s_wait_storecnt_dscnt 0x0
	s_barrier_signal -1
	s_barrier_wait -1
	global_inv scope:SCOPE_SE
	s_clause 0x8
	scratch_load_b128 v[2:5], off, off offset:144
	scratch_load_b128 v[6:9], off, off offset:160
	;; [unrolled: 1-line block ×9, first 2 shown]
	ds_load_b128 v[42:45], v1 offset:1152
	ds_load_b128 v[38:41], v1 offset:1168
	s_clause 0x1
	scratch_load_b128 v[175:178], off, off offset:128
	scratch_load_b128 v[179:182], off, off offset:288
	s_mov_b32 s0, exec_lo
	s_wait_loadcnt_dscnt 0xa01
	v_mul_f64_e32 v[183:184], v[44:45], v[4:5]
	v_mul_f64_e32 v[4:5], v[42:43], v[4:5]
	s_wait_loadcnt_dscnt 0x900
	v_mul_f64_e32 v[187:188], v[38:39], v[8:9]
	v_mul_f64_e32 v[8:9], v[40:41], v[8:9]
	s_delay_alu instid0(VALU_DEP_4) | instskip(NEXT) | instid1(VALU_DEP_4)
	v_fma_f64 v[189:190], v[42:43], v[2:3], -v[183:184]
	v_fma_f64 v[191:192], v[44:45], v[2:3], v[4:5]
	ds_load_b128 v[2:5], v1 offset:1184
	ds_load_b128 v[183:186], v1 offset:1200
	scratch_load_b128 v[42:45], off, off offset:304
	v_fma_f64 v[40:41], v[40:41], v[6:7], v[187:188]
	v_fma_f64 v[38:39], v[38:39], v[6:7], -v[8:9]
	scratch_load_b128 v[6:9], off, off offset:320
	s_wait_loadcnt_dscnt 0xa01
	v_mul_f64_e32 v[193:194], v[2:3], v[12:13]
	v_mul_f64_e32 v[12:13], v[4:5], v[12:13]
	v_add_f64_e32 v[187:188], 0, v[189:190]
	v_add_f64_e32 v[189:190], 0, v[191:192]
	s_wait_loadcnt_dscnt 0x900
	v_mul_f64_e32 v[191:192], v[183:184], v[16:17]
	v_mul_f64_e32 v[16:17], v[185:186], v[16:17]
	v_fma_f64 v[193:194], v[4:5], v[10:11], v[193:194]
	v_fma_f64 v[195:196], v[2:3], v[10:11], -v[12:13]
	ds_load_b128 v[2:5], v1 offset:1216
	scratch_load_b128 v[10:13], off, off offset:336
	v_add_f64_e32 v[187:188], v[187:188], v[38:39]
	v_add_f64_e32 v[189:190], v[189:190], v[40:41]
	ds_load_b128 v[38:41], v1 offset:1232
	v_fma_f64 v[185:186], v[185:186], v[14:15], v[191:192]
	v_fma_f64 v[183:184], v[183:184], v[14:15], -v[16:17]
	scratch_load_b128 v[14:17], off, off offset:352
	s_wait_loadcnt_dscnt 0xa01
	v_mul_f64_e32 v[197:198], v[2:3], v[20:21]
	v_mul_f64_e32 v[20:21], v[4:5], v[20:21]
	s_wait_loadcnt_dscnt 0x900
	v_mul_f64_e32 v[191:192], v[38:39], v[24:25]
	v_mul_f64_e32 v[24:25], v[40:41], v[24:25]
	v_add_f64_e32 v[187:188], v[187:188], v[195:196]
	v_add_f64_e32 v[189:190], v[189:190], v[193:194]
	v_fma_f64 v[193:194], v[4:5], v[18:19], v[197:198]
	v_fma_f64 v[195:196], v[2:3], v[18:19], -v[20:21]
	ds_load_b128 v[2:5], v1 offset:1248
	scratch_load_b128 v[18:21], off, off offset:368
	v_fma_f64 v[40:41], v[40:41], v[22:23], v[191:192]
	v_fma_f64 v[38:39], v[38:39], v[22:23], -v[24:25]
	scratch_load_b128 v[22:25], off, off offset:384
	v_add_f64_e32 v[187:188], v[187:188], v[183:184]
	v_add_f64_e32 v[189:190], v[189:190], v[185:186]
	ds_load_b128 v[183:186], v1 offset:1264
	s_wait_loadcnt_dscnt 0xa01
	v_mul_f64_e32 v[197:198], v[2:3], v[28:29]
	v_mul_f64_e32 v[28:29], v[4:5], v[28:29]
	s_wait_loadcnt_dscnt 0x900
	v_mul_f64_e32 v[191:192], v[183:184], v[32:33]
	v_mul_f64_e32 v[32:33], v[185:186], v[32:33]
	v_add_f64_e32 v[187:188], v[187:188], v[195:196]
	v_add_f64_e32 v[189:190], v[189:190], v[193:194]
	v_fma_f64 v[193:194], v[4:5], v[26:27], v[197:198]
	v_fma_f64 v[195:196], v[2:3], v[26:27], -v[28:29]
	ds_load_b128 v[2:5], v1 offset:1280
	scratch_load_b128 v[26:29], off, off offset:400
	v_fma_f64 v[185:186], v[185:186], v[30:31], v[191:192]
	v_fma_f64 v[183:184], v[183:184], v[30:31], -v[32:33]
	scratch_load_b128 v[30:33], off, off offset:416
	v_add_f64_e32 v[187:188], v[187:188], v[38:39]
	v_add_f64_e32 v[189:190], v[189:190], v[40:41]
	ds_load_b128 v[38:41], v1 offset:1296
	s_wait_loadcnt_dscnt 0xa01
	v_mul_f64_e32 v[197:198], v[2:3], v[36:37]
	v_mul_f64_e32 v[36:37], v[4:5], v[36:37]
	s_wait_loadcnt_dscnt 0x800
	v_mul_f64_e32 v[191:192], v[38:39], v[181:182]
	v_add_f64_e32 v[187:188], v[187:188], v[195:196]
	v_add_f64_e32 v[189:190], v[189:190], v[193:194]
	v_mul_f64_e32 v[193:194], v[40:41], v[181:182]
	v_fma_f64 v[195:196], v[4:5], v[34:35], v[197:198]
	v_fma_f64 v[197:198], v[2:3], v[34:35], -v[36:37]
	ds_load_b128 v[2:5], v1 offset:1312
	scratch_load_b128 v[34:37], off, off offset:432
	v_fma_f64 v[191:192], v[40:41], v[179:180], v[191:192]
	v_add_f64_e32 v[187:188], v[187:188], v[183:184]
	v_add_f64_e32 v[185:186], v[189:190], v[185:186]
	ds_load_b128 v[181:184], v1 offset:1328
	v_fma_f64 v[179:180], v[38:39], v[179:180], -v[193:194]
	scratch_load_b128 v[38:41], off, off offset:448
	s_wait_loadcnt_dscnt 0x901
	v_mul_f64_e32 v[189:190], v[2:3], v[44:45]
	v_mul_f64_e32 v[44:45], v[4:5], v[44:45]
	s_wait_loadcnt_dscnt 0x800
	v_mul_f64_e32 v[193:194], v[181:182], v[8:9]
	v_mul_f64_e32 v[8:9], v[183:184], v[8:9]
	v_add_f64_e32 v[187:188], v[187:188], v[197:198]
	v_add_f64_e32 v[185:186], v[185:186], v[195:196]
	v_fma_f64 v[189:190], v[4:5], v[42:43], v[189:190]
	v_fma_f64 v[195:196], v[2:3], v[42:43], -v[44:45]
	ds_load_b128 v[2:5], v1 offset:1344
	scratch_load_b128 v[42:45], off, off offset:464
	v_fma_f64 v[183:184], v[183:184], v[6:7], v[193:194]
	v_fma_f64 v[181:182], v[181:182], v[6:7], -v[8:9]
	scratch_load_b128 v[6:9], off, off offset:480
	v_add_f64_e32 v[179:180], v[187:188], v[179:180]
	v_add_f64_e32 v[191:192], v[185:186], v[191:192]
	ds_load_b128 v[185:188], v1 offset:1360
	s_wait_loadcnt_dscnt 0x901
	v_mul_f64_e32 v[197:198], v[2:3], v[12:13]
	v_mul_f64_e32 v[12:13], v[4:5], v[12:13]
	v_add_f64_e32 v[179:180], v[179:180], v[195:196]
	v_add_f64_e32 v[189:190], v[191:192], v[189:190]
	s_wait_loadcnt_dscnt 0x800
	v_mul_f64_e32 v[191:192], v[185:186], v[16:17]
	v_mul_f64_e32 v[16:17], v[187:188], v[16:17]
	v_fma_f64 v[193:194], v[4:5], v[10:11], v[197:198]
	v_fma_f64 v[195:196], v[2:3], v[10:11], -v[12:13]
	ds_load_b128 v[2:5], v1 offset:1376
	scratch_load_b128 v[10:13], off, off offset:496
	v_add_f64_e32 v[197:198], v[179:180], v[181:182]
	v_add_f64_e32 v[183:184], v[189:190], v[183:184]
	ds_load_b128 v[179:182], v1 offset:1392
	s_wait_loadcnt_dscnt 0x801
	v_mul_f64_e32 v[189:190], v[2:3], v[20:21]
	v_mul_f64_e32 v[20:21], v[4:5], v[20:21]
	v_fma_f64 v[187:188], v[187:188], v[14:15], v[191:192]
	v_fma_f64 v[185:186], v[185:186], v[14:15], -v[16:17]
	scratch_load_b128 v[14:17], off, off offset:512
	v_add_f64_e32 v[191:192], v[197:198], v[195:196]
	v_add_f64_e32 v[183:184], v[183:184], v[193:194]
	s_wait_loadcnt_dscnt 0x800
	v_mul_f64_e32 v[193:194], v[179:180], v[24:25]
	v_mul_f64_e32 v[24:25], v[181:182], v[24:25]
	v_fma_f64 v[189:190], v[4:5], v[18:19], v[189:190]
	v_fma_f64 v[195:196], v[2:3], v[18:19], -v[20:21]
	ds_load_b128 v[2:5], v1 offset:1408
	scratch_load_b128 v[18:21], off, off offset:528
	v_add_f64_e32 v[191:192], v[191:192], v[185:186]
	v_add_f64_e32 v[187:188], v[183:184], v[187:188]
	ds_load_b128 v[183:186], v1 offset:1424
	s_wait_loadcnt_dscnt 0x801
	v_mul_f64_e32 v[197:198], v[2:3], v[28:29]
	v_mul_f64_e32 v[28:29], v[4:5], v[28:29]
	v_fma_f64 v[181:182], v[181:182], v[22:23], v[193:194]
	v_fma_f64 v[179:180], v[179:180], v[22:23], -v[24:25]
	scratch_load_b128 v[22:25], off, off offset:544
	;; [unrolled: 18-line block ×4, first 2 shown]
	s_wait_loadcnt_dscnt 0x800
	v_mul_f64_e32 v[191:192], v[183:184], v[8:9]
	v_mul_f64_e32 v[8:9], v[185:186], v[8:9]
	v_add_f64_e32 v[189:190], v[189:190], v[195:196]
	v_add_f64_e32 v[187:188], v[187:188], v[193:194]
	v_fma_f64 v[193:194], v[4:5], v[42:43], v[197:198]
	v_fma_f64 v[195:196], v[2:3], v[42:43], -v[44:45]
	ds_load_b128 v[2:5], v1 offset:1504
	scratch_load_b128 v[42:45], off, off offset:624
	v_fma_f64 v[185:186], v[185:186], v[6:7], v[191:192]
	v_fma_f64 v[183:184], v[183:184], v[6:7], -v[8:9]
	scratch_load_b128 v[6:9], off, off offset:640
	v_add_f64_e32 v[189:190], v[189:190], v[179:180]
	v_add_f64_e32 v[187:188], v[187:188], v[181:182]
	ds_load_b128 v[179:182], v1 offset:1520
	s_wait_loadcnt_dscnt 0x901
	v_mul_f64_e32 v[197:198], v[2:3], v[12:13]
	v_mul_f64_e32 v[12:13], v[4:5], v[12:13]
	s_wait_loadcnt_dscnt 0x800
	v_mul_f64_e32 v[191:192], v[179:180], v[16:17]
	v_mul_f64_e32 v[16:17], v[181:182], v[16:17]
	v_add_f64_e32 v[189:190], v[189:190], v[195:196]
	v_add_f64_e32 v[187:188], v[187:188], v[193:194]
	v_fma_f64 v[193:194], v[4:5], v[10:11], v[197:198]
	v_fma_f64 v[195:196], v[2:3], v[10:11], -v[12:13]
	ds_load_b128 v[2:5], v1 offset:1536
	scratch_load_b128 v[10:13], off, off offset:656
	v_fma_f64 v[181:182], v[181:182], v[14:15], v[191:192]
	v_fma_f64 v[179:180], v[179:180], v[14:15], -v[16:17]
	scratch_load_b128 v[14:17], off, off offset:672
	v_add_f64_e32 v[189:190], v[189:190], v[183:184]
	v_add_f64_e32 v[187:188], v[187:188], v[185:186]
	ds_load_b128 v[183:186], v1 offset:1552
	s_wait_loadcnt_dscnt 0x901
	v_mul_f64_e32 v[197:198], v[2:3], v[20:21]
	v_mul_f64_e32 v[20:21], v[4:5], v[20:21]
	;; [unrolled: 18-line block ×13, first 2 shown]
	s_wait_loadcnt_dscnt 0x800
	v_mul_f64_e32 v[191:192], v[179:180], v[32:33]
	v_mul_f64_e32 v[32:33], v[181:182], v[32:33]
	v_add_f64_e32 v[189:190], v[189:190], v[195:196]
	v_add_f64_e32 v[187:188], v[187:188], v[193:194]
	v_fma_f64 v[193:194], v[4:5], v[26:27], v[197:198]
	v_fma_f64 v[195:196], v[2:3], v[26:27], -v[28:29]
	ds_load_b128 v[2:5], v1 offset:1920
	ds_load_b128 v[26:29], v1 offset:1936
	v_fma_f64 v[181:182], v[181:182], v[30:31], v[191:192]
	v_fma_f64 v[30:31], v[179:180], v[30:31], -v[32:33]
	v_add_f64_e32 v[183:184], v[189:190], v[183:184]
	v_add_f64_e32 v[185:186], v[187:188], v[185:186]
	s_wait_loadcnt_dscnt 0x701
	v_mul_f64_e32 v[187:188], v[2:3], v[36:37]
	v_mul_f64_e32 v[36:37], v[4:5], v[36:37]
	s_delay_alu instid0(VALU_DEP_4) | instskip(NEXT) | instid1(VALU_DEP_4)
	v_add_f64_e32 v[32:33], v[183:184], v[195:196]
	v_add_f64_e32 v[179:180], v[185:186], v[193:194]
	s_wait_loadcnt_dscnt 0x600
	v_mul_f64_e32 v[183:184], v[26:27], v[40:41]
	v_mul_f64_e32 v[40:41], v[28:29], v[40:41]
	v_fma_f64 v[185:186], v[4:5], v[34:35], v[187:188]
	v_fma_f64 v[34:35], v[2:3], v[34:35], -v[36:37]
	v_add_f64_e32 v[36:37], v[32:33], v[30:31]
	v_add_f64_e32 v[179:180], v[179:180], v[181:182]
	ds_load_b128 v[2:5], v1 offset:1952
	ds_load_b128 v[30:33], v1 offset:1968
	v_fma_f64 v[28:29], v[28:29], v[38:39], v[183:184]
	v_fma_f64 v[26:27], v[26:27], v[38:39], -v[40:41]
	s_wait_loadcnt_dscnt 0x501
	v_mul_f64_e32 v[181:182], v[2:3], v[44:45]
	v_mul_f64_e32 v[44:45], v[4:5], v[44:45]
	s_wait_loadcnt_dscnt 0x400
	v_mul_f64_e32 v[38:39], v[30:31], v[8:9]
	v_mul_f64_e32 v[8:9], v[32:33], v[8:9]
	v_add_f64_e32 v[34:35], v[36:37], v[34:35]
	v_add_f64_e32 v[36:37], v[179:180], v[185:186]
	v_fma_f64 v[40:41], v[4:5], v[42:43], v[181:182]
	v_fma_f64 v[42:43], v[2:3], v[42:43], -v[44:45]
	v_fma_f64 v[32:33], v[32:33], v[6:7], v[38:39]
	v_fma_f64 v[6:7], v[30:31], v[6:7], -v[8:9]
	v_add_f64_e32 v[34:35], v[34:35], v[26:27]
	v_add_f64_e32 v[36:37], v[36:37], v[28:29]
	ds_load_b128 v[2:5], v1 offset:1984
	ds_load_b128 v[26:29], v1 offset:2000
	s_wait_loadcnt_dscnt 0x301
	v_mul_f64_e32 v[44:45], v[2:3], v[12:13]
	v_mul_f64_e32 v[12:13], v[4:5], v[12:13]
	v_add_f64_e32 v[8:9], v[34:35], v[42:43]
	v_add_f64_e32 v[30:31], v[36:37], v[40:41]
	s_wait_loadcnt_dscnt 0x200
	v_mul_f64_e32 v[34:35], v[26:27], v[16:17]
	v_mul_f64_e32 v[16:17], v[28:29], v[16:17]
	v_fma_f64 v[36:37], v[4:5], v[10:11], v[44:45]
	v_fma_f64 v[10:11], v[2:3], v[10:11], -v[12:13]
	v_add_f64_e32 v[12:13], v[8:9], v[6:7]
	v_add_f64_e32 v[30:31], v[30:31], v[32:33]
	ds_load_b128 v[2:5], v1 offset:2016
	ds_load_b128 v[6:9], v1 offset:2032
	v_fma_f64 v[28:29], v[28:29], v[14:15], v[34:35]
	v_fma_f64 v[14:15], v[26:27], v[14:15], -v[16:17]
	s_wait_loadcnt_dscnt 0x101
	v_mul_f64_e32 v[32:33], v[2:3], v[20:21]
	v_mul_f64_e32 v[20:21], v[4:5], v[20:21]
	s_wait_loadcnt_dscnt 0x0
	v_mul_f64_e32 v[16:17], v[6:7], v[24:25]
	v_mul_f64_e32 v[24:25], v[8:9], v[24:25]
	v_add_f64_e32 v[10:11], v[12:13], v[10:11]
	v_add_f64_e32 v[12:13], v[30:31], v[36:37]
	v_fma_f64 v[4:5], v[4:5], v[18:19], v[32:33]
	v_fma_f64 v[1:2], v[2:3], v[18:19], -v[20:21]
	v_fma_f64 v[8:9], v[8:9], v[22:23], v[16:17]
	v_fma_f64 v[6:7], v[6:7], v[22:23], -v[24:25]
	v_add_f64_e32 v[10:11], v[10:11], v[14:15]
	v_add_f64_e32 v[12:13], v[12:13], v[28:29]
	s_delay_alu instid0(VALU_DEP_2) | instskip(NEXT) | instid1(VALU_DEP_2)
	v_add_f64_e32 v[1:2], v[10:11], v[1:2]
	v_add_f64_e32 v[3:4], v[12:13], v[4:5]
	s_delay_alu instid0(VALU_DEP_2) | instskip(NEXT) | instid1(VALU_DEP_2)
	;; [unrolled: 3-line block ×3, first 2 shown]
	v_add_f64_e64 v[1:2], v[175:176], -v[1:2]
	v_add_f64_e64 v[3:4], v[177:178], -v[3:4]
	scratch_store_b128 off, v[1:4], off offset:128
	v_cmpx_lt_u32_e32 6, v0
	s_cbranch_execz .LBB63_397
; %bb.396:
	scratch_load_b128 v[1:4], off, s73
	v_mov_b32_e32 v5, 0
	s_delay_alu instid0(VALU_DEP_1)
	v_dual_mov_b32 v6, v5 :: v_dual_mov_b32 v7, v5
	v_mov_b32_e32 v8, v5
	scratch_store_b128 off, v[5:8], off offset:112
	s_wait_loadcnt 0x0
	ds_store_b128 v174, v[1:4]
.LBB63_397:
	s_wait_alu 0xfffe
	s_or_b32 exec_lo, exec_lo, s0
	s_wait_storecnt_dscnt 0x0
	s_barrier_signal -1
	s_barrier_wait -1
	global_inv scope:SCOPE_SE
	s_clause 0x7
	scratch_load_b128 v[2:5], off, off offset:128
	scratch_load_b128 v[6:9], off, off offset:144
	;; [unrolled: 1-line block ×8, first 2 shown]
	v_mov_b32_e32 v1, 0
	s_mov_b32 s0, exec_lo
	ds_load_b128 v[38:41], v1 offset:1136
	s_clause 0x1
	scratch_load_b128 v[34:37], off, off offset:256
	scratch_load_b128 v[42:45], off, off offset:112
	ds_load_b128 v[175:178], v1 offset:1152
	scratch_load_b128 v[179:182], off, off offset:272
	s_wait_loadcnt_dscnt 0xa01
	v_mul_f64_e32 v[183:184], v[40:41], v[4:5]
	v_mul_f64_e32 v[4:5], v[38:39], v[4:5]
	s_delay_alu instid0(VALU_DEP_2) | instskip(NEXT) | instid1(VALU_DEP_2)
	v_fma_f64 v[189:190], v[38:39], v[2:3], -v[183:184]
	v_fma_f64 v[191:192], v[40:41], v[2:3], v[4:5]
	ds_load_b128 v[2:5], v1 offset:1168
	s_wait_loadcnt_dscnt 0x901
	v_mul_f64_e32 v[187:188], v[175:176], v[8:9]
	v_mul_f64_e32 v[8:9], v[177:178], v[8:9]
	scratch_load_b128 v[38:41], off, off offset:288
	ds_load_b128 v[183:186], v1 offset:1184
	s_wait_loadcnt_dscnt 0x901
	v_mul_f64_e32 v[193:194], v[2:3], v[12:13]
	v_mul_f64_e32 v[12:13], v[4:5], v[12:13]
	v_fma_f64 v[177:178], v[177:178], v[6:7], v[187:188]
	v_fma_f64 v[175:176], v[175:176], v[6:7], -v[8:9]
	v_add_f64_e32 v[187:188], 0, v[189:190]
	v_add_f64_e32 v[189:190], 0, v[191:192]
	scratch_load_b128 v[6:9], off, off offset:304
	v_fma_f64 v[193:194], v[4:5], v[10:11], v[193:194]
	v_fma_f64 v[195:196], v[2:3], v[10:11], -v[12:13]
	ds_load_b128 v[2:5], v1 offset:1200
	s_wait_loadcnt_dscnt 0x901
	v_mul_f64_e32 v[191:192], v[183:184], v[16:17]
	v_mul_f64_e32 v[16:17], v[185:186], v[16:17]
	scratch_load_b128 v[10:13], off, off offset:320
	v_add_f64_e32 v[187:188], v[187:188], v[175:176]
	v_add_f64_e32 v[189:190], v[189:190], v[177:178]
	s_wait_loadcnt_dscnt 0x900
	v_mul_f64_e32 v[197:198], v[2:3], v[20:21]
	v_mul_f64_e32 v[20:21], v[4:5], v[20:21]
	ds_load_b128 v[175:178], v1 offset:1216
	v_fma_f64 v[185:186], v[185:186], v[14:15], v[191:192]
	v_fma_f64 v[183:184], v[183:184], v[14:15], -v[16:17]
	scratch_load_b128 v[14:17], off, off offset:336
	v_add_f64_e32 v[187:188], v[187:188], v[195:196]
	v_add_f64_e32 v[189:190], v[189:190], v[193:194]
	v_fma_f64 v[193:194], v[4:5], v[18:19], v[197:198]
	v_fma_f64 v[195:196], v[2:3], v[18:19], -v[20:21]
	ds_load_b128 v[2:5], v1 offset:1232
	s_wait_loadcnt_dscnt 0x901
	v_mul_f64_e32 v[191:192], v[175:176], v[24:25]
	v_mul_f64_e32 v[24:25], v[177:178], v[24:25]
	scratch_load_b128 v[18:21], off, off offset:352
	s_wait_loadcnt_dscnt 0x900
	v_mul_f64_e32 v[197:198], v[2:3], v[28:29]
	v_mul_f64_e32 v[28:29], v[4:5], v[28:29]
	v_add_f64_e32 v[187:188], v[187:188], v[183:184]
	v_add_f64_e32 v[189:190], v[189:190], v[185:186]
	ds_load_b128 v[183:186], v1 offset:1248
	v_fma_f64 v[177:178], v[177:178], v[22:23], v[191:192]
	v_fma_f64 v[175:176], v[175:176], v[22:23], -v[24:25]
	scratch_load_b128 v[22:25], off, off offset:368
	v_add_f64_e32 v[187:188], v[187:188], v[195:196]
	v_add_f64_e32 v[189:190], v[189:190], v[193:194]
	v_fma_f64 v[193:194], v[4:5], v[26:27], v[197:198]
	v_fma_f64 v[195:196], v[2:3], v[26:27], -v[28:29]
	ds_load_b128 v[2:5], v1 offset:1264
	s_wait_loadcnt_dscnt 0x901
	v_mul_f64_e32 v[191:192], v[183:184], v[32:33]
	v_mul_f64_e32 v[32:33], v[185:186], v[32:33]
	scratch_load_b128 v[26:29], off, off offset:384
	s_wait_loadcnt_dscnt 0x900
	v_mul_f64_e32 v[197:198], v[2:3], v[36:37]
	v_mul_f64_e32 v[36:37], v[4:5], v[36:37]
	v_add_f64_e32 v[187:188], v[187:188], v[175:176]
	v_add_f64_e32 v[189:190], v[189:190], v[177:178]
	ds_load_b128 v[175:178], v1 offset:1280
	v_fma_f64 v[185:186], v[185:186], v[30:31], v[191:192]
	v_fma_f64 v[183:184], v[183:184], v[30:31], -v[32:33]
	scratch_load_b128 v[30:33], off, off offset:400
	v_add_f64_e32 v[187:188], v[187:188], v[195:196]
	v_add_f64_e32 v[189:190], v[189:190], v[193:194]
	v_fma_f64 v[195:196], v[4:5], v[34:35], v[197:198]
	v_fma_f64 v[197:198], v[2:3], v[34:35], -v[36:37]
	ds_load_b128 v[2:5], v1 offset:1296
	s_wait_loadcnt_dscnt 0x801
	v_mul_f64_e32 v[191:192], v[175:176], v[181:182]
	v_mul_f64_e32 v[193:194], v[177:178], v[181:182]
	scratch_load_b128 v[34:37], off, off offset:416
	v_add_f64_e32 v[187:188], v[187:188], v[183:184]
	v_add_f64_e32 v[185:186], v[189:190], v[185:186]
	ds_load_b128 v[181:184], v1 offset:1312
	v_fma_f64 v[191:192], v[177:178], v[179:180], v[191:192]
	v_fma_f64 v[179:180], v[175:176], v[179:180], -v[193:194]
	scratch_load_b128 v[175:178], off, off offset:432
	s_wait_loadcnt_dscnt 0x901
	v_mul_f64_e32 v[189:190], v[2:3], v[40:41]
	v_mul_f64_e32 v[40:41], v[4:5], v[40:41]
	v_add_f64_e32 v[187:188], v[187:188], v[197:198]
	v_add_f64_e32 v[185:186], v[185:186], v[195:196]
	s_delay_alu instid0(VALU_DEP_4) | instskip(NEXT) | instid1(VALU_DEP_4)
	v_fma_f64 v[189:190], v[4:5], v[38:39], v[189:190]
	v_fma_f64 v[195:196], v[2:3], v[38:39], -v[40:41]
	ds_load_b128 v[2:5], v1 offset:1328
	s_wait_loadcnt_dscnt 0x801
	v_mul_f64_e32 v[193:194], v[181:182], v[8:9]
	v_mul_f64_e32 v[8:9], v[183:184], v[8:9]
	scratch_load_b128 v[38:41], off, off offset:448
	s_wait_loadcnt_dscnt 0x800
	v_mul_f64_e32 v[197:198], v[2:3], v[12:13]
	v_add_f64_e32 v[179:180], v[187:188], v[179:180]
	v_add_f64_e32 v[191:192], v[185:186], v[191:192]
	v_mul_f64_e32 v[12:13], v[4:5], v[12:13]
	ds_load_b128 v[185:188], v1 offset:1344
	v_fma_f64 v[183:184], v[183:184], v[6:7], v[193:194]
	v_fma_f64 v[181:182], v[181:182], v[6:7], -v[8:9]
	scratch_load_b128 v[6:9], off, off offset:464
	v_fma_f64 v[193:194], v[4:5], v[10:11], v[197:198]
	v_add_f64_e32 v[179:180], v[179:180], v[195:196]
	v_add_f64_e32 v[189:190], v[191:192], v[189:190]
	v_fma_f64 v[195:196], v[2:3], v[10:11], -v[12:13]
	ds_load_b128 v[2:5], v1 offset:1360
	s_wait_loadcnt_dscnt 0x801
	v_mul_f64_e32 v[191:192], v[185:186], v[16:17]
	v_mul_f64_e32 v[16:17], v[187:188], v[16:17]
	scratch_load_b128 v[10:13], off, off offset:480
	v_add_f64_e32 v[197:198], v[179:180], v[181:182]
	v_add_f64_e32 v[183:184], v[189:190], v[183:184]
	s_wait_loadcnt_dscnt 0x800
	v_mul_f64_e32 v[189:190], v[2:3], v[20:21]
	v_mul_f64_e32 v[20:21], v[4:5], v[20:21]
	v_fma_f64 v[187:188], v[187:188], v[14:15], v[191:192]
	v_fma_f64 v[185:186], v[185:186], v[14:15], -v[16:17]
	ds_load_b128 v[179:182], v1 offset:1376
	scratch_load_b128 v[14:17], off, off offset:496
	v_add_f64_e32 v[191:192], v[197:198], v[195:196]
	v_add_f64_e32 v[183:184], v[183:184], v[193:194]
	v_fma_f64 v[189:190], v[4:5], v[18:19], v[189:190]
	v_fma_f64 v[195:196], v[2:3], v[18:19], -v[20:21]
	ds_load_b128 v[2:5], v1 offset:1392
	s_wait_loadcnt_dscnt 0x801
	v_mul_f64_e32 v[193:194], v[179:180], v[24:25]
	v_mul_f64_e32 v[24:25], v[181:182], v[24:25]
	scratch_load_b128 v[18:21], off, off offset:512
	s_wait_loadcnt_dscnt 0x800
	v_mul_f64_e32 v[197:198], v[2:3], v[28:29]
	v_mul_f64_e32 v[28:29], v[4:5], v[28:29]
	v_add_f64_e32 v[191:192], v[191:192], v[185:186]
	v_add_f64_e32 v[187:188], v[183:184], v[187:188]
	ds_load_b128 v[183:186], v1 offset:1408
	v_fma_f64 v[181:182], v[181:182], v[22:23], v[193:194]
	v_fma_f64 v[179:180], v[179:180], v[22:23], -v[24:25]
	scratch_load_b128 v[22:25], off, off offset:528
	v_fma_f64 v[193:194], v[4:5], v[26:27], v[197:198]
	v_add_f64_e32 v[191:192], v[191:192], v[195:196]
	v_add_f64_e32 v[187:188], v[187:188], v[189:190]
	v_fma_f64 v[195:196], v[2:3], v[26:27], -v[28:29]
	ds_load_b128 v[2:5], v1 offset:1424
	s_wait_loadcnt_dscnt 0x801
	v_mul_f64_e32 v[189:190], v[183:184], v[32:33]
	v_mul_f64_e32 v[32:33], v[185:186], v[32:33]
	scratch_load_b128 v[26:29], off, off offset:544
	s_wait_loadcnt_dscnt 0x800
	v_mul_f64_e32 v[197:198], v[2:3], v[36:37]
	v_mul_f64_e32 v[36:37], v[4:5], v[36:37]
	v_add_f64_e32 v[191:192], v[191:192], v[179:180]
	v_add_f64_e32 v[187:188], v[187:188], v[181:182]
	ds_load_b128 v[179:182], v1 offset:1440
	v_fma_f64 v[185:186], v[185:186], v[30:31], v[189:190]
	v_fma_f64 v[183:184], v[183:184], v[30:31], -v[32:33]
	scratch_load_b128 v[30:33], off, off offset:560
	v_add_f64_e32 v[189:190], v[191:192], v[195:196]
	v_add_f64_e32 v[187:188], v[187:188], v[193:194]
	v_fma_f64 v[193:194], v[4:5], v[34:35], v[197:198]
	v_fma_f64 v[195:196], v[2:3], v[34:35], -v[36:37]
	ds_load_b128 v[2:5], v1 offset:1456
	s_wait_loadcnt_dscnt 0x801
	v_mul_f64_e32 v[191:192], v[179:180], v[177:178]
	v_mul_f64_e32 v[177:178], v[181:182], v[177:178]
	scratch_load_b128 v[34:37], off, off offset:576
	s_wait_loadcnt_dscnt 0x800
	v_mul_f64_e32 v[197:198], v[2:3], v[40:41]
	v_mul_f64_e32 v[40:41], v[4:5], v[40:41]
	v_add_f64_e32 v[189:190], v[189:190], v[183:184]
	v_add_f64_e32 v[187:188], v[187:188], v[185:186]
	ds_load_b128 v[183:186], v1 offset:1472
	v_fma_f64 v[181:182], v[181:182], v[175:176], v[191:192]
	v_fma_f64 v[179:180], v[179:180], v[175:176], -v[177:178]
	scratch_load_b128 v[175:178], off, off offset:592
	v_add_f64_e32 v[189:190], v[189:190], v[195:196]
	v_add_f64_e32 v[187:188], v[187:188], v[193:194]
	v_fma_f64 v[193:194], v[4:5], v[38:39], v[197:198]
	v_fma_f64 v[195:196], v[2:3], v[38:39], -v[40:41]
	ds_load_b128 v[2:5], v1 offset:1488
	s_wait_loadcnt_dscnt 0x801
	v_mul_f64_e32 v[191:192], v[183:184], v[8:9]
	v_mul_f64_e32 v[8:9], v[185:186], v[8:9]
	scratch_load_b128 v[38:41], off, off offset:608
	s_wait_loadcnt_dscnt 0x800
	v_mul_f64_e32 v[197:198], v[2:3], v[12:13]
	v_mul_f64_e32 v[12:13], v[4:5], v[12:13]
	v_add_f64_e32 v[189:190], v[189:190], v[179:180]
	v_add_f64_e32 v[187:188], v[187:188], v[181:182]
	ds_load_b128 v[179:182], v1 offset:1504
	v_fma_f64 v[185:186], v[185:186], v[6:7], v[191:192]
	v_fma_f64 v[183:184], v[183:184], v[6:7], -v[8:9]
	scratch_load_b128 v[6:9], off, off offset:624
	v_add_f64_e32 v[189:190], v[189:190], v[195:196]
	v_add_f64_e32 v[187:188], v[187:188], v[193:194]
	v_fma_f64 v[193:194], v[4:5], v[10:11], v[197:198]
	v_fma_f64 v[195:196], v[2:3], v[10:11], -v[12:13]
	ds_load_b128 v[2:5], v1 offset:1520
	s_wait_loadcnt_dscnt 0x801
	v_mul_f64_e32 v[191:192], v[179:180], v[16:17]
	v_mul_f64_e32 v[16:17], v[181:182], v[16:17]
	scratch_load_b128 v[10:13], off, off offset:640
	s_wait_loadcnt_dscnt 0x800
	v_mul_f64_e32 v[197:198], v[2:3], v[20:21]
	v_mul_f64_e32 v[20:21], v[4:5], v[20:21]
	v_add_f64_e32 v[189:190], v[189:190], v[183:184]
	v_add_f64_e32 v[187:188], v[187:188], v[185:186]
	ds_load_b128 v[183:186], v1 offset:1536
	v_fma_f64 v[181:182], v[181:182], v[14:15], v[191:192]
	v_fma_f64 v[179:180], v[179:180], v[14:15], -v[16:17]
	scratch_load_b128 v[14:17], off, off offset:656
	v_add_f64_e32 v[189:190], v[189:190], v[195:196]
	v_add_f64_e32 v[187:188], v[187:188], v[193:194]
	v_fma_f64 v[193:194], v[4:5], v[18:19], v[197:198]
	v_fma_f64 v[195:196], v[2:3], v[18:19], -v[20:21]
	ds_load_b128 v[2:5], v1 offset:1552
	s_wait_loadcnt_dscnt 0x801
	v_mul_f64_e32 v[191:192], v[183:184], v[24:25]
	v_mul_f64_e32 v[24:25], v[185:186], v[24:25]
	scratch_load_b128 v[18:21], off, off offset:672
	s_wait_loadcnt_dscnt 0x800
	v_mul_f64_e32 v[197:198], v[2:3], v[28:29]
	v_mul_f64_e32 v[28:29], v[4:5], v[28:29]
	v_add_f64_e32 v[189:190], v[189:190], v[179:180]
	v_add_f64_e32 v[187:188], v[187:188], v[181:182]
	ds_load_b128 v[179:182], v1 offset:1568
	v_fma_f64 v[185:186], v[185:186], v[22:23], v[191:192]
	v_fma_f64 v[183:184], v[183:184], v[22:23], -v[24:25]
	scratch_load_b128 v[22:25], off, off offset:688
	v_add_f64_e32 v[189:190], v[189:190], v[195:196]
	v_add_f64_e32 v[187:188], v[187:188], v[193:194]
	v_fma_f64 v[193:194], v[4:5], v[26:27], v[197:198]
	v_fma_f64 v[195:196], v[2:3], v[26:27], -v[28:29]
	ds_load_b128 v[2:5], v1 offset:1584
	s_wait_loadcnt_dscnt 0x801
	v_mul_f64_e32 v[191:192], v[179:180], v[32:33]
	v_mul_f64_e32 v[32:33], v[181:182], v[32:33]
	scratch_load_b128 v[26:29], off, off offset:704
	s_wait_loadcnt_dscnt 0x800
	v_mul_f64_e32 v[197:198], v[2:3], v[36:37]
	v_mul_f64_e32 v[36:37], v[4:5], v[36:37]
	v_add_f64_e32 v[189:190], v[189:190], v[183:184]
	v_add_f64_e32 v[187:188], v[187:188], v[185:186]
	ds_load_b128 v[183:186], v1 offset:1600
	v_fma_f64 v[181:182], v[181:182], v[30:31], v[191:192]
	v_fma_f64 v[179:180], v[179:180], v[30:31], -v[32:33]
	scratch_load_b128 v[30:33], off, off offset:720
	v_add_f64_e32 v[189:190], v[189:190], v[195:196]
	v_add_f64_e32 v[187:188], v[187:188], v[193:194]
	v_fma_f64 v[195:196], v[4:5], v[34:35], v[197:198]
	v_fma_f64 v[197:198], v[2:3], v[34:35], -v[36:37]
	ds_load_b128 v[2:5], v1 offset:1616
	s_wait_loadcnt_dscnt 0x801
	v_mul_f64_e32 v[191:192], v[183:184], v[177:178]
	v_mul_f64_e32 v[193:194], v[185:186], v[177:178]
	scratch_load_b128 v[34:37], off, off offset:736
	v_add_f64_e32 v[189:190], v[189:190], v[179:180]
	v_add_f64_e32 v[181:182], v[187:188], v[181:182]
	s_wait_loadcnt_dscnt 0x800
	v_mul_f64_e32 v[187:188], v[2:3], v[40:41]
	v_mul_f64_e32 v[40:41], v[4:5], v[40:41]
	ds_load_b128 v[177:180], v1 offset:1632
	v_fma_f64 v[185:186], v[185:186], v[175:176], v[191:192]
	v_fma_f64 v[175:176], v[183:184], v[175:176], -v[193:194]
	v_add_f64_e32 v[189:190], v[189:190], v[197:198]
	v_add_f64_e32 v[191:192], v[181:182], v[195:196]
	scratch_load_b128 v[181:184], off, off offset:752
	v_fma_f64 v[195:196], v[4:5], v[38:39], v[187:188]
	v_fma_f64 v[197:198], v[2:3], v[38:39], -v[40:41]
	ds_load_b128 v[2:5], v1 offset:1648
	s_wait_loadcnt_dscnt 0x801
	v_mul_f64_e32 v[193:194], v[177:178], v[8:9]
	v_mul_f64_e32 v[8:9], v[179:180], v[8:9]
	scratch_load_b128 v[38:41], off, off offset:768
	v_add_f64_e32 v[175:176], v[189:190], v[175:176]
	v_add_f64_e32 v[189:190], v[191:192], v[185:186]
	s_wait_loadcnt_dscnt 0x800
	v_mul_f64_e32 v[191:192], v[2:3], v[12:13]
	v_mul_f64_e32 v[12:13], v[4:5], v[12:13]
	ds_load_b128 v[185:188], v1 offset:1664
	v_fma_f64 v[179:180], v[179:180], v[6:7], v[193:194]
	v_fma_f64 v[177:178], v[177:178], v[6:7], -v[8:9]
	scratch_load_b128 v[6:9], off, off offset:784
	v_add_f64_e32 v[175:176], v[175:176], v[197:198]
	v_add_f64_e32 v[189:190], v[189:190], v[195:196]
	v_fma_f64 v[191:192], v[4:5], v[10:11], v[191:192]
	v_fma_f64 v[195:196], v[2:3], v[10:11], -v[12:13]
	ds_load_b128 v[2:5], v1 offset:1680
	s_wait_loadcnt_dscnt 0x801
	v_mul_f64_e32 v[193:194], v[185:186], v[16:17]
	v_mul_f64_e32 v[16:17], v[187:188], v[16:17]
	scratch_load_b128 v[10:13], off, off offset:800
	v_add_f64_e32 v[197:198], v[175:176], v[177:178]
	v_add_f64_e32 v[179:180], v[189:190], v[179:180]
	s_wait_loadcnt_dscnt 0x800
	v_mul_f64_e32 v[189:190], v[2:3], v[20:21]
	v_mul_f64_e32 v[20:21], v[4:5], v[20:21]
	ds_load_b128 v[175:178], v1 offset:1696
	v_fma_f64 v[187:188], v[187:188], v[14:15], v[193:194]
	v_fma_f64 v[185:186], v[185:186], v[14:15], -v[16:17]
	scratch_load_b128 v[14:17], off, off offset:816
	v_add_f64_e32 v[193:194], v[197:198], v[195:196]
	v_add_f64_e32 v[179:180], v[179:180], v[191:192]
	v_fma_f64 v[189:190], v[4:5], v[18:19], v[189:190]
	v_fma_f64 v[195:196], v[2:3], v[18:19], -v[20:21]
	ds_load_b128 v[2:5], v1 offset:1712
	s_wait_loadcnt_dscnt 0x801
	v_mul_f64_e32 v[191:192], v[175:176], v[24:25]
	v_mul_f64_e32 v[24:25], v[177:178], v[24:25]
	scratch_load_b128 v[18:21], off, off offset:832
	s_wait_loadcnt_dscnt 0x800
	v_mul_f64_e32 v[197:198], v[2:3], v[28:29]
	v_mul_f64_e32 v[28:29], v[4:5], v[28:29]
	v_add_f64_e32 v[193:194], v[193:194], v[185:186]
	v_add_f64_e32 v[179:180], v[179:180], v[187:188]
	ds_load_b128 v[185:188], v1 offset:1728
	v_fma_f64 v[177:178], v[177:178], v[22:23], v[191:192]
	v_fma_f64 v[175:176], v[175:176], v[22:23], -v[24:25]
	scratch_load_b128 v[22:25], off, off offset:848
	v_add_f64_e32 v[191:192], v[193:194], v[195:196]
	v_add_f64_e32 v[179:180], v[179:180], v[189:190]
	v_fma_f64 v[193:194], v[4:5], v[26:27], v[197:198]
	v_fma_f64 v[195:196], v[2:3], v[26:27], -v[28:29]
	ds_load_b128 v[2:5], v1 offset:1744
	s_wait_loadcnt_dscnt 0x801
	v_mul_f64_e32 v[189:190], v[185:186], v[32:33]
	v_mul_f64_e32 v[32:33], v[187:188], v[32:33]
	scratch_load_b128 v[26:29], off, off offset:864
	s_wait_loadcnt_dscnt 0x800
	v_mul_f64_e32 v[197:198], v[2:3], v[36:37]
	v_mul_f64_e32 v[36:37], v[4:5], v[36:37]
	v_add_f64_e32 v[191:192], v[191:192], v[175:176]
	v_add_f64_e32 v[179:180], v[179:180], v[177:178]
	ds_load_b128 v[175:178], v1 offset:1760
	v_fma_f64 v[187:188], v[187:188], v[30:31], v[189:190]
	v_fma_f64 v[185:186], v[185:186], v[30:31], -v[32:33]
	scratch_load_b128 v[30:33], off, off offset:880
	v_add_f64_e32 v[189:190], v[191:192], v[195:196]
	v_add_f64_e32 v[179:180], v[179:180], v[193:194]
	v_fma_f64 v[195:196], v[4:5], v[34:35], v[197:198]
	v_fma_f64 v[197:198], v[2:3], v[34:35], -v[36:37]
	ds_load_b128 v[2:5], v1 offset:1776
	scratch_load_b128 v[34:37], off, off offset:896
	s_wait_loadcnt_dscnt 0x901
	v_mul_f64_e32 v[191:192], v[175:176], v[183:184]
	v_mul_f64_e32 v[193:194], v[177:178], v[183:184]
	v_add_f64_e32 v[189:190], v[189:190], v[185:186]
	v_add_f64_e32 v[179:180], v[179:180], v[187:188]
	s_wait_loadcnt_dscnt 0x800
	v_mul_f64_e32 v[187:188], v[2:3], v[40:41]
	v_mul_f64_e32 v[40:41], v[4:5], v[40:41]
	ds_load_b128 v[183:186], v1 offset:1792
	v_fma_f64 v[191:192], v[177:178], v[181:182], v[191:192]
	v_fma_f64 v[181:182], v[175:176], v[181:182], -v[193:194]
	scratch_load_b128 v[175:178], off, off offset:912
	v_add_f64_e32 v[189:190], v[189:190], v[197:198]
	v_add_f64_e32 v[179:180], v[179:180], v[195:196]
	v_fma_f64 v[187:188], v[4:5], v[38:39], v[187:188]
	v_fma_f64 v[195:196], v[2:3], v[38:39], -v[40:41]
	ds_load_b128 v[2:5], v1 offset:1808
	s_wait_loadcnt_dscnt 0x801
	v_mul_f64_e32 v[193:194], v[183:184], v[8:9]
	v_mul_f64_e32 v[8:9], v[185:186], v[8:9]
	scratch_load_b128 v[38:41], off, off offset:928
	s_wait_loadcnt_dscnt 0x800
	v_mul_f64_e32 v[197:198], v[2:3], v[12:13]
	v_mul_f64_e32 v[12:13], v[4:5], v[12:13]
	v_add_f64_e32 v[189:190], v[189:190], v[181:182]
	v_add_f64_e32 v[191:192], v[179:180], v[191:192]
	ds_load_b128 v[179:182], v1 offset:1824
	v_fma_f64 v[185:186], v[185:186], v[6:7], v[193:194]
	v_fma_f64 v[183:184], v[183:184], v[6:7], -v[8:9]
	scratch_load_b128 v[6:9], off, off offset:944
	v_fma_f64 v[193:194], v[4:5], v[10:11], v[197:198]
	v_add_f64_e32 v[189:190], v[189:190], v[195:196]
	v_add_f64_e32 v[187:188], v[191:192], v[187:188]
	v_fma_f64 v[195:196], v[2:3], v[10:11], -v[12:13]
	ds_load_b128 v[2:5], v1 offset:1840
	s_wait_loadcnt_dscnt 0x801
	v_mul_f64_e32 v[191:192], v[179:180], v[16:17]
	v_mul_f64_e32 v[16:17], v[181:182], v[16:17]
	scratch_load_b128 v[10:13], off, off offset:960
	s_wait_loadcnt_dscnt 0x800
	v_mul_f64_e32 v[197:198], v[2:3], v[20:21]
	v_mul_f64_e32 v[20:21], v[4:5], v[20:21]
	v_add_f64_e32 v[189:190], v[189:190], v[183:184]
	v_add_f64_e32 v[187:188], v[187:188], v[185:186]
	ds_load_b128 v[183:186], v1 offset:1856
	v_fma_f64 v[181:182], v[181:182], v[14:15], v[191:192]
	v_fma_f64 v[179:180], v[179:180], v[14:15], -v[16:17]
	scratch_load_b128 v[14:17], off, off offset:976
	v_add_f64_e32 v[189:190], v[189:190], v[195:196]
	v_add_f64_e32 v[187:188], v[187:188], v[193:194]
	v_fma_f64 v[193:194], v[4:5], v[18:19], v[197:198]
	v_fma_f64 v[195:196], v[2:3], v[18:19], -v[20:21]
	ds_load_b128 v[2:5], v1 offset:1872
	s_wait_loadcnt_dscnt 0x801
	v_mul_f64_e32 v[191:192], v[183:184], v[24:25]
	v_mul_f64_e32 v[24:25], v[185:186], v[24:25]
	scratch_load_b128 v[18:21], off, off offset:992
	s_wait_loadcnt_dscnt 0x800
	v_mul_f64_e32 v[197:198], v[2:3], v[28:29]
	v_mul_f64_e32 v[28:29], v[4:5], v[28:29]
	v_add_f64_e32 v[189:190], v[189:190], v[179:180]
	v_add_f64_e32 v[187:188], v[187:188], v[181:182]
	ds_load_b128 v[179:182], v1 offset:1888
	v_fma_f64 v[185:186], v[185:186], v[22:23], v[191:192]
	v_fma_f64 v[183:184], v[183:184], v[22:23], -v[24:25]
	scratch_load_b128 v[22:25], off, off offset:1008
	v_add_f64_e32 v[189:190], v[189:190], v[195:196]
	v_add_f64_e32 v[187:188], v[187:188], v[193:194]
	v_fma_f64 v[193:194], v[4:5], v[26:27], v[197:198]
	v_fma_f64 v[195:196], v[2:3], v[26:27], -v[28:29]
	ds_load_b128 v[2:5], v1 offset:1904
	s_wait_loadcnt_dscnt 0x801
	v_mul_f64_e32 v[191:192], v[179:180], v[32:33]
	v_mul_f64_e32 v[32:33], v[181:182], v[32:33]
	scratch_load_b128 v[26:29], off, off offset:1024
	s_wait_loadcnt_dscnt 0x800
	v_mul_f64_e32 v[197:198], v[2:3], v[36:37]
	v_mul_f64_e32 v[36:37], v[4:5], v[36:37]
	v_add_f64_e32 v[189:190], v[189:190], v[183:184]
	v_add_f64_e32 v[187:188], v[187:188], v[185:186]
	ds_load_b128 v[183:186], v1 offset:1920
	v_fma_f64 v[181:182], v[181:182], v[30:31], v[191:192]
	v_fma_f64 v[30:31], v[179:180], v[30:31], -v[32:33]
	v_add_f64_e32 v[32:33], v[189:190], v[195:196]
	v_add_f64_e32 v[179:180], v[187:188], v[193:194]
	s_wait_loadcnt_dscnt 0x700
	v_mul_f64_e32 v[187:188], v[183:184], v[177:178]
	v_mul_f64_e32 v[177:178], v[185:186], v[177:178]
	v_fma_f64 v[189:190], v[4:5], v[34:35], v[197:198]
	v_fma_f64 v[34:35], v[2:3], v[34:35], -v[36:37]
	v_add_f64_e32 v[36:37], v[32:33], v[30:31]
	v_add_f64_e32 v[179:180], v[179:180], v[181:182]
	ds_load_b128 v[2:5], v1 offset:1936
	ds_load_b128 v[30:33], v1 offset:1952
	v_fma_f64 v[185:186], v[185:186], v[175:176], v[187:188]
	v_fma_f64 v[175:176], v[183:184], v[175:176], -v[177:178]
	s_wait_loadcnt_dscnt 0x601
	v_mul_f64_e32 v[181:182], v[2:3], v[40:41]
	v_mul_f64_e32 v[40:41], v[4:5], v[40:41]
	s_wait_loadcnt_dscnt 0x500
	v_mul_f64_e32 v[177:178], v[30:31], v[8:9]
	v_mul_f64_e32 v[8:9], v[32:33], v[8:9]
	v_add_f64_e32 v[34:35], v[36:37], v[34:35]
	v_add_f64_e32 v[36:37], v[179:180], v[189:190]
	v_fma_f64 v[179:180], v[4:5], v[38:39], v[181:182]
	v_fma_f64 v[38:39], v[2:3], v[38:39], -v[40:41]
	v_fma_f64 v[32:33], v[32:33], v[6:7], v[177:178]
	v_fma_f64 v[6:7], v[30:31], v[6:7], -v[8:9]
	v_add_f64_e32 v[40:41], v[34:35], v[175:176]
	v_add_f64_e32 v[175:176], v[36:37], v[185:186]
	ds_load_b128 v[2:5], v1 offset:1968
	ds_load_b128 v[34:37], v1 offset:1984
	s_wait_loadcnt_dscnt 0x401
	v_mul_f64_e32 v[181:182], v[2:3], v[12:13]
	v_mul_f64_e32 v[12:13], v[4:5], v[12:13]
	v_add_f64_e32 v[8:9], v[40:41], v[38:39]
	v_add_f64_e32 v[30:31], v[175:176], v[179:180]
	s_wait_loadcnt_dscnt 0x300
	v_mul_f64_e32 v[38:39], v[34:35], v[16:17]
	v_mul_f64_e32 v[16:17], v[36:37], v[16:17]
	v_fma_f64 v[40:41], v[4:5], v[10:11], v[181:182]
	v_fma_f64 v[10:11], v[2:3], v[10:11], -v[12:13]
	v_add_f64_e32 v[12:13], v[8:9], v[6:7]
	v_add_f64_e32 v[30:31], v[30:31], v[32:33]
	ds_load_b128 v[2:5], v1 offset:2000
	ds_load_b128 v[6:9], v1 offset:2016
	v_fma_f64 v[36:37], v[36:37], v[14:15], v[38:39]
	v_fma_f64 v[14:15], v[34:35], v[14:15], -v[16:17]
	s_wait_loadcnt_dscnt 0x201
	v_mul_f64_e32 v[32:33], v[2:3], v[20:21]
	v_mul_f64_e32 v[20:21], v[4:5], v[20:21]
	s_wait_loadcnt_dscnt 0x100
	v_mul_f64_e32 v[16:17], v[6:7], v[24:25]
	v_mul_f64_e32 v[24:25], v[8:9], v[24:25]
	v_add_f64_e32 v[10:11], v[12:13], v[10:11]
	v_add_f64_e32 v[12:13], v[30:31], v[40:41]
	v_fma_f64 v[30:31], v[4:5], v[18:19], v[32:33]
	v_fma_f64 v[18:19], v[2:3], v[18:19], -v[20:21]
	ds_load_b128 v[2:5], v1 offset:2032
	v_fma_f64 v[8:9], v[8:9], v[22:23], v[16:17]
	v_fma_f64 v[6:7], v[6:7], v[22:23], -v[24:25]
	v_add_f64_e32 v[10:11], v[10:11], v[14:15]
	v_add_f64_e32 v[12:13], v[12:13], v[36:37]
	s_wait_loadcnt_dscnt 0x0
	v_mul_f64_e32 v[14:15], v[2:3], v[28:29]
	v_mul_f64_e32 v[20:21], v[4:5], v[28:29]
	s_delay_alu instid0(VALU_DEP_4) | instskip(NEXT) | instid1(VALU_DEP_4)
	v_add_f64_e32 v[10:11], v[10:11], v[18:19]
	v_add_f64_e32 v[12:13], v[12:13], v[30:31]
	s_delay_alu instid0(VALU_DEP_4) | instskip(NEXT) | instid1(VALU_DEP_4)
	v_fma_f64 v[4:5], v[4:5], v[26:27], v[14:15]
	v_fma_f64 v[2:3], v[2:3], v[26:27], -v[20:21]
	s_delay_alu instid0(VALU_DEP_4) | instskip(NEXT) | instid1(VALU_DEP_4)
	v_add_f64_e32 v[6:7], v[10:11], v[6:7]
	v_add_f64_e32 v[8:9], v[12:13], v[8:9]
	s_delay_alu instid0(VALU_DEP_2) | instskip(NEXT) | instid1(VALU_DEP_2)
	v_add_f64_e32 v[2:3], v[6:7], v[2:3]
	v_add_f64_e32 v[4:5], v[8:9], v[4:5]
	s_delay_alu instid0(VALU_DEP_2) | instskip(NEXT) | instid1(VALU_DEP_2)
	v_add_f64_e64 v[2:3], v[42:43], -v[2:3]
	v_add_f64_e64 v[4:5], v[44:45], -v[4:5]
	scratch_store_b128 off, v[2:5], off offset:112
	v_cmpx_lt_u32_e32 5, v0
	s_cbranch_execz .LBB63_399
; %bb.398:
	scratch_load_b128 v[5:8], off, s74
	v_dual_mov_b32 v2, v1 :: v_dual_mov_b32 v3, v1
	v_mov_b32_e32 v4, v1
	scratch_store_b128 off, v[1:4], off offset:96
	s_wait_loadcnt 0x0
	ds_store_b128 v174, v[5:8]
.LBB63_399:
	s_wait_alu 0xfffe
	s_or_b32 exec_lo, exec_lo, s0
	s_wait_storecnt_dscnt 0x0
	s_barrier_signal -1
	s_barrier_wait -1
	global_inv scope:SCOPE_SE
	s_clause 0x8
	scratch_load_b128 v[2:5], off, off offset:112
	scratch_load_b128 v[6:9], off, off offset:128
	;; [unrolled: 1-line block ×9, first 2 shown]
	ds_load_b128 v[42:45], v1 offset:1120
	ds_load_b128 v[38:41], v1 offset:1136
	s_clause 0x1
	scratch_load_b128 v[175:178], off, off offset:96
	scratch_load_b128 v[179:182], off, off offset:256
	s_mov_b32 s0, exec_lo
	s_wait_loadcnt_dscnt 0xa01
	v_mul_f64_e32 v[183:184], v[44:45], v[4:5]
	v_mul_f64_e32 v[4:5], v[42:43], v[4:5]
	s_wait_loadcnt_dscnt 0x900
	v_mul_f64_e32 v[187:188], v[38:39], v[8:9]
	v_mul_f64_e32 v[8:9], v[40:41], v[8:9]
	s_delay_alu instid0(VALU_DEP_4) | instskip(NEXT) | instid1(VALU_DEP_4)
	v_fma_f64 v[189:190], v[42:43], v[2:3], -v[183:184]
	v_fma_f64 v[191:192], v[44:45], v[2:3], v[4:5]
	ds_load_b128 v[2:5], v1 offset:1152
	ds_load_b128 v[183:186], v1 offset:1168
	scratch_load_b128 v[42:45], off, off offset:272
	v_fma_f64 v[40:41], v[40:41], v[6:7], v[187:188]
	v_fma_f64 v[38:39], v[38:39], v[6:7], -v[8:9]
	scratch_load_b128 v[6:9], off, off offset:288
	s_wait_loadcnt_dscnt 0xa01
	v_mul_f64_e32 v[193:194], v[2:3], v[12:13]
	v_mul_f64_e32 v[12:13], v[4:5], v[12:13]
	v_add_f64_e32 v[187:188], 0, v[189:190]
	v_add_f64_e32 v[189:190], 0, v[191:192]
	s_wait_loadcnt_dscnt 0x900
	v_mul_f64_e32 v[191:192], v[183:184], v[16:17]
	v_mul_f64_e32 v[16:17], v[185:186], v[16:17]
	v_fma_f64 v[193:194], v[4:5], v[10:11], v[193:194]
	v_fma_f64 v[195:196], v[2:3], v[10:11], -v[12:13]
	ds_load_b128 v[2:5], v1 offset:1184
	scratch_load_b128 v[10:13], off, off offset:304
	v_add_f64_e32 v[187:188], v[187:188], v[38:39]
	v_add_f64_e32 v[189:190], v[189:190], v[40:41]
	ds_load_b128 v[38:41], v1 offset:1200
	v_fma_f64 v[185:186], v[185:186], v[14:15], v[191:192]
	v_fma_f64 v[183:184], v[183:184], v[14:15], -v[16:17]
	scratch_load_b128 v[14:17], off, off offset:320
	s_wait_loadcnt_dscnt 0xa01
	v_mul_f64_e32 v[197:198], v[2:3], v[20:21]
	v_mul_f64_e32 v[20:21], v[4:5], v[20:21]
	s_wait_loadcnt_dscnt 0x900
	v_mul_f64_e32 v[191:192], v[38:39], v[24:25]
	v_mul_f64_e32 v[24:25], v[40:41], v[24:25]
	v_add_f64_e32 v[187:188], v[187:188], v[195:196]
	v_add_f64_e32 v[189:190], v[189:190], v[193:194]
	v_fma_f64 v[193:194], v[4:5], v[18:19], v[197:198]
	v_fma_f64 v[195:196], v[2:3], v[18:19], -v[20:21]
	ds_load_b128 v[2:5], v1 offset:1216
	scratch_load_b128 v[18:21], off, off offset:336
	v_fma_f64 v[40:41], v[40:41], v[22:23], v[191:192]
	v_fma_f64 v[38:39], v[38:39], v[22:23], -v[24:25]
	scratch_load_b128 v[22:25], off, off offset:352
	v_add_f64_e32 v[187:188], v[187:188], v[183:184]
	v_add_f64_e32 v[189:190], v[189:190], v[185:186]
	ds_load_b128 v[183:186], v1 offset:1232
	s_wait_loadcnt_dscnt 0xa01
	v_mul_f64_e32 v[197:198], v[2:3], v[28:29]
	v_mul_f64_e32 v[28:29], v[4:5], v[28:29]
	s_wait_loadcnt_dscnt 0x900
	v_mul_f64_e32 v[191:192], v[183:184], v[32:33]
	v_mul_f64_e32 v[32:33], v[185:186], v[32:33]
	v_add_f64_e32 v[187:188], v[187:188], v[195:196]
	v_add_f64_e32 v[189:190], v[189:190], v[193:194]
	v_fma_f64 v[193:194], v[4:5], v[26:27], v[197:198]
	v_fma_f64 v[195:196], v[2:3], v[26:27], -v[28:29]
	ds_load_b128 v[2:5], v1 offset:1248
	scratch_load_b128 v[26:29], off, off offset:368
	v_fma_f64 v[185:186], v[185:186], v[30:31], v[191:192]
	v_fma_f64 v[183:184], v[183:184], v[30:31], -v[32:33]
	scratch_load_b128 v[30:33], off, off offset:384
	v_add_f64_e32 v[187:188], v[187:188], v[38:39]
	v_add_f64_e32 v[189:190], v[189:190], v[40:41]
	ds_load_b128 v[38:41], v1 offset:1264
	s_wait_loadcnt_dscnt 0xa01
	v_mul_f64_e32 v[197:198], v[2:3], v[36:37]
	v_mul_f64_e32 v[36:37], v[4:5], v[36:37]
	s_wait_loadcnt_dscnt 0x800
	v_mul_f64_e32 v[191:192], v[38:39], v[181:182]
	v_add_f64_e32 v[187:188], v[187:188], v[195:196]
	v_add_f64_e32 v[189:190], v[189:190], v[193:194]
	v_mul_f64_e32 v[193:194], v[40:41], v[181:182]
	v_fma_f64 v[195:196], v[4:5], v[34:35], v[197:198]
	v_fma_f64 v[197:198], v[2:3], v[34:35], -v[36:37]
	ds_load_b128 v[2:5], v1 offset:1280
	scratch_load_b128 v[34:37], off, off offset:400
	v_fma_f64 v[191:192], v[40:41], v[179:180], v[191:192]
	v_add_f64_e32 v[187:188], v[187:188], v[183:184]
	v_add_f64_e32 v[185:186], v[189:190], v[185:186]
	ds_load_b128 v[181:184], v1 offset:1296
	v_fma_f64 v[179:180], v[38:39], v[179:180], -v[193:194]
	scratch_load_b128 v[38:41], off, off offset:416
	s_wait_loadcnt_dscnt 0x901
	v_mul_f64_e32 v[189:190], v[2:3], v[44:45]
	v_mul_f64_e32 v[44:45], v[4:5], v[44:45]
	s_wait_loadcnt_dscnt 0x800
	v_mul_f64_e32 v[193:194], v[181:182], v[8:9]
	v_mul_f64_e32 v[8:9], v[183:184], v[8:9]
	v_add_f64_e32 v[187:188], v[187:188], v[197:198]
	v_add_f64_e32 v[185:186], v[185:186], v[195:196]
	v_fma_f64 v[189:190], v[4:5], v[42:43], v[189:190]
	v_fma_f64 v[195:196], v[2:3], v[42:43], -v[44:45]
	ds_load_b128 v[2:5], v1 offset:1312
	scratch_load_b128 v[42:45], off, off offset:432
	v_fma_f64 v[183:184], v[183:184], v[6:7], v[193:194]
	v_fma_f64 v[181:182], v[181:182], v[6:7], -v[8:9]
	scratch_load_b128 v[6:9], off, off offset:448
	v_add_f64_e32 v[179:180], v[187:188], v[179:180]
	v_add_f64_e32 v[191:192], v[185:186], v[191:192]
	ds_load_b128 v[185:188], v1 offset:1328
	s_wait_loadcnt_dscnt 0x901
	v_mul_f64_e32 v[197:198], v[2:3], v[12:13]
	v_mul_f64_e32 v[12:13], v[4:5], v[12:13]
	v_add_f64_e32 v[179:180], v[179:180], v[195:196]
	v_add_f64_e32 v[189:190], v[191:192], v[189:190]
	s_wait_loadcnt_dscnt 0x800
	v_mul_f64_e32 v[191:192], v[185:186], v[16:17]
	v_mul_f64_e32 v[16:17], v[187:188], v[16:17]
	v_fma_f64 v[193:194], v[4:5], v[10:11], v[197:198]
	v_fma_f64 v[195:196], v[2:3], v[10:11], -v[12:13]
	ds_load_b128 v[2:5], v1 offset:1344
	scratch_load_b128 v[10:13], off, off offset:464
	v_add_f64_e32 v[197:198], v[179:180], v[181:182]
	v_add_f64_e32 v[183:184], v[189:190], v[183:184]
	ds_load_b128 v[179:182], v1 offset:1360
	s_wait_loadcnt_dscnt 0x801
	v_mul_f64_e32 v[189:190], v[2:3], v[20:21]
	v_mul_f64_e32 v[20:21], v[4:5], v[20:21]
	v_fma_f64 v[187:188], v[187:188], v[14:15], v[191:192]
	v_fma_f64 v[185:186], v[185:186], v[14:15], -v[16:17]
	scratch_load_b128 v[14:17], off, off offset:480
	v_add_f64_e32 v[191:192], v[197:198], v[195:196]
	v_add_f64_e32 v[183:184], v[183:184], v[193:194]
	s_wait_loadcnt_dscnt 0x800
	v_mul_f64_e32 v[193:194], v[179:180], v[24:25]
	v_mul_f64_e32 v[24:25], v[181:182], v[24:25]
	v_fma_f64 v[189:190], v[4:5], v[18:19], v[189:190]
	v_fma_f64 v[195:196], v[2:3], v[18:19], -v[20:21]
	ds_load_b128 v[2:5], v1 offset:1376
	scratch_load_b128 v[18:21], off, off offset:496
	v_add_f64_e32 v[191:192], v[191:192], v[185:186]
	v_add_f64_e32 v[187:188], v[183:184], v[187:188]
	ds_load_b128 v[183:186], v1 offset:1392
	s_wait_loadcnt_dscnt 0x801
	v_mul_f64_e32 v[197:198], v[2:3], v[28:29]
	v_mul_f64_e32 v[28:29], v[4:5], v[28:29]
	v_fma_f64 v[181:182], v[181:182], v[22:23], v[193:194]
	v_fma_f64 v[179:180], v[179:180], v[22:23], -v[24:25]
	scratch_load_b128 v[22:25], off, off offset:512
	;; [unrolled: 18-line block ×4, first 2 shown]
	s_wait_loadcnt_dscnt 0x800
	v_mul_f64_e32 v[191:192], v[183:184], v[8:9]
	v_mul_f64_e32 v[8:9], v[185:186], v[8:9]
	v_add_f64_e32 v[189:190], v[189:190], v[195:196]
	v_add_f64_e32 v[187:188], v[187:188], v[193:194]
	v_fma_f64 v[193:194], v[4:5], v[42:43], v[197:198]
	v_fma_f64 v[195:196], v[2:3], v[42:43], -v[44:45]
	ds_load_b128 v[2:5], v1 offset:1472
	scratch_load_b128 v[42:45], off, off offset:592
	v_fma_f64 v[185:186], v[185:186], v[6:7], v[191:192]
	v_fma_f64 v[183:184], v[183:184], v[6:7], -v[8:9]
	scratch_load_b128 v[6:9], off, off offset:608
	v_add_f64_e32 v[189:190], v[189:190], v[179:180]
	v_add_f64_e32 v[187:188], v[187:188], v[181:182]
	ds_load_b128 v[179:182], v1 offset:1488
	s_wait_loadcnt_dscnt 0x901
	v_mul_f64_e32 v[197:198], v[2:3], v[12:13]
	v_mul_f64_e32 v[12:13], v[4:5], v[12:13]
	s_wait_loadcnt_dscnt 0x800
	v_mul_f64_e32 v[191:192], v[179:180], v[16:17]
	v_mul_f64_e32 v[16:17], v[181:182], v[16:17]
	v_add_f64_e32 v[189:190], v[189:190], v[195:196]
	v_add_f64_e32 v[187:188], v[187:188], v[193:194]
	v_fma_f64 v[193:194], v[4:5], v[10:11], v[197:198]
	v_fma_f64 v[195:196], v[2:3], v[10:11], -v[12:13]
	ds_load_b128 v[2:5], v1 offset:1504
	scratch_load_b128 v[10:13], off, off offset:624
	v_fma_f64 v[181:182], v[181:182], v[14:15], v[191:192]
	v_fma_f64 v[179:180], v[179:180], v[14:15], -v[16:17]
	scratch_load_b128 v[14:17], off, off offset:640
	v_add_f64_e32 v[189:190], v[189:190], v[183:184]
	v_add_f64_e32 v[187:188], v[187:188], v[185:186]
	ds_load_b128 v[183:186], v1 offset:1520
	s_wait_loadcnt_dscnt 0x901
	v_mul_f64_e32 v[197:198], v[2:3], v[20:21]
	v_mul_f64_e32 v[20:21], v[4:5], v[20:21]
	;; [unrolled: 18-line block ×14, first 2 shown]
	s_wait_loadcnt_dscnt 0x800
	v_mul_f64_e32 v[191:192], v[183:184], v[40:41]
	v_mul_f64_e32 v[40:41], v[185:186], v[40:41]
	v_add_f64_e32 v[189:190], v[189:190], v[195:196]
	v_add_f64_e32 v[187:188], v[187:188], v[193:194]
	v_fma_f64 v[193:194], v[4:5], v[34:35], v[197:198]
	v_fma_f64 v[195:196], v[2:3], v[34:35], -v[36:37]
	ds_load_b128 v[2:5], v1 offset:1920
	ds_load_b128 v[34:37], v1 offset:1936
	v_fma_f64 v[185:186], v[185:186], v[38:39], v[191:192]
	v_fma_f64 v[38:39], v[183:184], v[38:39], -v[40:41]
	v_add_f64_e32 v[179:180], v[189:190], v[179:180]
	v_add_f64_e32 v[181:182], v[187:188], v[181:182]
	s_wait_loadcnt_dscnt 0x701
	v_mul_f64_e32 v[187:188], v[2:3], v[44:45]
	v_mul_f64_e32 v[44:45], v[4:5], v[44:45]
	s_delay_alu instid0(VALU_DEP_4) | instskip(NEXT) | instid1(VALU_DEP_4)
	v_add_f64_e32 v[40:41], v[179:180], v[195:196]
	v_add_f64_e32 v[179:180], v[181:182], v[193:194]
	s_wait_loadcnt_dscnt 0x600
	v_mul_f64_e32 v[181:182], v[34:35], v[8:9]
	v_mul_f64_e32 v[8:9], v[36:37], v[8:9]
	v_fma_f64 v[183:184], v[4:5], v[42:43], v[187:188]
	v_fma_f64 v[42:43], v[2:3], v[42:43], -v[44:45]
	v_add_f64_e32 v[44:45], v[40:41], v[38:39]
	v_add_f64_e32 v[179:180], v[179:180], v[185:186]
	ds_load_b128 v[2:5], v1 offset:1952
	ds_load_b128 v[38:41], v1 offset:1968
	v_fma_f64 v[36:37], v[36:37], v[6:7], v[181:182]
	v_fma_f64 v[6:7], v[34:35], v[6:7], -v[8:9]
	s_wait_loadcnt_dscnt 0x501
	v_mul_f64_e32 v[185:186], v[2:3], v[12:13]
	v_mul_f64_e32 v[12:13], v[4:5], v[12:13]
	v_add_f64_e32 v[8:9], v[44:45], v[42:43]
	v_add_f64_e32 v[34:35], v[179:180], v[183:184]
	s_wait_loadcnt_dscnt 0x400
	v_mul_f64_e32 v[42:43], v[38:39], v[16:17]
	v_mul_f64_e32 v[16:17], v[40:41], v[16:17]
	v_fma_f64 v[44:45], v[4:5], v[10:11], v[185:186]
	v_fma_f64 v[10:11], v[2:3], v[10:11], -v[12:13]
	v_add_f64_e32 v[12:13], v[8:9], v[6:7]
	v_add_f64_e32 v[34:35], v[34:35], v[36:37]
	ds_load_b128 v[2:5], v1 offset:1984
	ds_load_b128 v[6:9], v1 offset:2000
	v_fma_f64 v[40:41], v[40:41], v[14:15], v[42:43]
	v_fma_f64 v[14:15], v[38:39], v[14:15], -v[16:17]
	s_wait_loadcnt_dscnt 0x301
	v_mul_f64_e32 v[36:37], v[2:3], v[20:21]
	v_mul_f64_e32 v[20:21], v[4:5], v[20:21]
	s_wait_loadcnt_dscnt 0x200
	v_mul_f64_e32 v[16:17], v[6:7], v[24:25]
	v_mul_f64_e32 v[24:25], v[8:9], v[24:25]
	v_add_f64_e32 v[10:11], v[12:13], v[10:11]
	v_add_f64_e32 v[12:13], v[34:35], v[44:45]
	v_fma_f64 v[34:35], v[4:5], v[18:19], v[36:37]
	v_fma_f64 v[18:19], v[2:3], v[18:19], -v[20:21]
	v_fma_f64 v[8:9], v[8:9], v[22:23], v[16:17]
	v_fma_f64 v[6:7], v[6:7], v[22:23], -v[24:25]
	v_add_f64_e32 v[14:15], v[10:11], v[14:15]
	v_add_f64_e32 v[20:21], v[12:13], v[40:41]
	ds_load_b128 v[2:5], v1 offset:2016
	ds_load_b128 v[10:13], v1 offset:2032
	s_wait_loadcnt_dscnt 0x101
	v_mul_f64_e32 v[36:37], v[2:3], v[28:29]
	v_mul_f64_e32 v[28:29], v[4:5], v[28:29]
	v_add_f64_e32 v[14:15], v[14:15], v[18:19]
	v_add_f64_e32 v[16:17], v[20:21], v[34:35]
	s_wait_loadcnt_dscnt 0x0
	v_mul_f64_e32 v[18:19], v[10:11], v[32:33]
	v_mul_f64_e32 v[20:21], v[12:13], v[32:33]
	v_fma_f64 v[4:5], v[4:5], v[26:27], v[36:37]
	v_fma_f64 v[1:2], v[2:3], v[26:27], -v[28:29]
	v_add_f64_e32 v[6:7], v[14:15], v[6:7]
	v_add_f64_e32 v[8:9], v[16:17], v[8:9]
	v_fma_f64 v[12:13], v[12:13], v[30:31], v[18:19]
	v_fma_f64 v[10:11], v[10:11], v[30:31], -v[20:21]
	s_delay_alu instid0(VALU_DEP_4) | instskip(NEXT) | instid1(VALU_DEP_4)
	v_add_f64_e32 v[1:2], v[6:7], v[1:2]
	v_add_f64_e32 v[3:4], v[8:9], v[4:5]
	s_delay_alu instid0(VALU_DEP_2) | instskip(NEXT) | instid1(VALU_DEP_2)
	v_add_f64_e32 v[1:2], v[1:2], v[10:11]
	v_add_f64_e32 v[3:4], v[3:4], v[12:13]
	s_delay_alu instid0(VALU_DEP_2) | instskip(NEXT) | instid1(VALU_DEP_2)
	v_add_f64_e64 v[1:2], v[175:176], -v[1:2]
	v_add_f64_e64 v[3:4], v[177:178], -v[3:4]
	scratch_store_b128 off, v[1:4], off offset:96
	v_cmpx_lt_u32_e32 4, v0
	s_cbranch_execz .LBB63_401
; %bb.400:
	scratch_load_b128 v[1:4], off, s55
	v_mov_b32_e32 v5, 0
	s_delay_alu instid0(VALU_DEP_1)
	v_dual_mov_b32 v6, v5 :: v_dual_mov_b32 v7, v5
	v_mov_b32_e32 v8, v5
	scratch_store_b128 off, v[5:8], off offset:80
	s_wait_loadcnt 0x0
	ds_store_b128 v174, v[1:4]
.LBB63_401:
	s_wait_alu 0xfffe
	s_or_b32 exec_lo, exec_lo, s0
	s_wait_storecnt_dscnt 0x0
	s_barrier_signal -1
	s_barrier_wait -1
	global_inv scope:SCOPE_SE
	s_clause 0x7
	scratch_load_b128 v[2:5], off, off offset:96
	scratch_load_b128 v[6:9], off, off offset:112
	;; [unrolled: 1-line block ×8, first 2 shown]
	v_mov_b32_e32 v1, 0
	s_mov_b32 s0, exec_lo
	ds_load_b128 v[38:41], v1 offset:1104
	s_clause 0x1
	scratch_load_b128 v[34:37], off, off offset:224
	scratch_load_b128 v[42:45], off, off offset:80
	ds_load_b128 v[175:178], v1 offset:1120
	scratch_load_b128 v[179:182], off, off offset:240
	s_wait_loadcnt_dscnt 0xa01
	v_mul_f64_e32 v[183:184], v[40:41], v[4:5]
	v_mul_f64_e32 v[4:5], v[38:39], v[4:5]
	s_delay_alu instid0(VALU_DEP_2) | instskip(NEXT) | instid1(VALU_DEP_2)
	v_fma_f64 v[189:190], v[38:39], v[2:3], -v[183:184]
	v_fma_f64 v[191:192], v[40:41], v[2:3], v[4:5]
	ds_load_b128 v[2:5], v1 offset:1136
	s_wait_loadcnt_dscnt 0x901
	v_mul_f64_e32 v[187:188], v[175:176], v[8:9]
	v_mul_f64_e32 v[8:9], v[177:178], v[8:9]
	scratch_load_b128 v[38:41], off, off offset:256
	ds_load_b128 v[183:186], v1 offset:1152
	s_wait_loadcnt_dscnt 0x901
	v_mul_f64_e32 v[193:194], v[2:3], v[12:13]
	v_mul_f64_e32 v[12:13], v[4:5], v[12:13]
	v_fma_f64 v[177:178], v[177:178], v[6:7], v[187:188]
	v_fma_f64 v[175:176], v[175:176], v[6:7], -v[8:9]
	v_add_f64_e32 v[187:188], 0, v[189:190]
	v_add_f64_e32 v[189:190], 0, v[191:192]
	scratch_load_b128 v[6:9], off, off offset:272
	v_fma_f64 v[193:194], v[4:5], v[10:11], v[193:194]
	v_fma_f64 v[195:196], v[2:3], v[10:11], -v[12:13]
	ds_load_b128 v[2:5], v1 offset:1168
	s_wait_loadcnt_dscnt 0x901
	v_mul_f64_e32 v[191:192], v[183:184], v[16:17]
	v_mul_f64_e32 v[16:17], v[185:186], v[16:17]
	scratch_load_b128 v[10:13], off, off offset:288
	v_add_f64_e32 v[187:188], v[187:188], v[175:176]
	v_add_f64_e32 v[189:190], v[189:190], v[177:178]
	s_wait_loadcnt_dscnt 0x900
	v_mul_f64_e32 v[197:198], v[2:3], v[20:21]
	v_mul_f64_e32 v[20:21], v[4:5], v[20:21]
	ds_load_b128 v[175:178], v1 offset:1184
	v_fma_f64 v[185:186], v[185:186], v[14:15], v[191:192]
	v_fma_f64 v[183:184], v[183:184], v[14:15], -v[16:17]
	scratch_load_b128 v[14:17], off, off offset:304
	v_add_f64_e32 v[187:188], v[187:188], v[195:196]
	v_add_f64_e32 v[189:190], v[189:190], v[193:194]
	v_fma_f64 v[193:194], v[4:5], v[18:19], v[197:198]
	v_fma_f64 v[195:196], v[2:3], v[18:19], -v[20:21]
	ds_load_b128 v[2:5], v1 offset:1200
	s_wait_loadcnt_dscnt 0x901
	v_mul_f64_e32 v[191:192], v[175:176], v[24:25]
	v_mul_f64_e32 v[24:25], v[177:178], v[24:25]
	scratch_load_b128 v[18:21], off, off offset:320
	s_wait_loadcnt_dscnt 0x900
	v_mul_f64_e32 v[197:198], v[2:3], v[28:29]
	v_mul_f64_e32 v[28:29], v[4:5], v[28:29]
	v_add_f64_e32 v[187:188], v[187:188], v[183:184]
	v_add_f64_e32 v[189:190], v[189:190], v[185:186]
	ds_load_b128 v[183:186], v1 offset:1216
	v_fma_f64 v[177:178], v[177:178], v[22:23], v[191:192]
	v_fma_f64 v[175:176], v[175:176], v[22:23], -v[24:25]
	scratch_load_b128 v[22:25], off, off offset:336
	v_add_f64_e32 v[187:188], v[187:188], v[195:196]
	v_add_f64_e32 v[189:190], v[189:190], v[193:194]
	v_fma_f64 v[193:194], v[4:5], v[26:27], v[197:198]
	v_fma_f64 v[195:196], v[2:3], v[26:27], -v[28:29]
	ds_load_b128 v[2:5], v1 offset:1232
	s_wait_loadcnt_dscnt 0x901
	v_mul_f64_e32 v[191:192], v[183:184], v[32:33]
	v_mul_f64_e32 v[32:33], v[185:186], v[32:33]
	scratch_load_b128 v[26:29], off, off offset:352
	s_wait_loadcnt_dscnt 0x900
	v_mul_f64_e32 v[197:198], v[2:3], v[36:37]
	v_mul_f64_e32 v[36:37], v[4:5], v[36:37]
	v_add_f64_e32 v[187:188], v[187:188], v[175:176]
	v_add_f64_e32 v[189:190], v[189:190], v[177:178]
	ds_load_b128 v[175:178], v1 offset:1248
	v_fma_f64 v[185:186], v[185:186], v[30:31], v[191:192]
	v_fma_f64 v[183:184], v[183:184], v[30:31], -v[32:33]
	scratch_load_b128 v[30:33], off, off offset:368
	v_add_f64_e32 v[187:188], v[187:188], v[195:196]
	v_add_f64_e32 v[189:190], v[189:190], v[193:194]
	v_fma_f64 v[195:196], v[4:5], v[34:35], v[197:198]
	v_fma_f64 v[197:198], v[2:3], v[34:35], -v[36:37]
	ds_load_b128 v[2:5], v1 offset:1264
	s_wait_loadcnt_dscnt 0x801
	v_mul_f64_e32 v[191:192], v[175:176], v[181:182]
	v_mul_f64_e32 v[193:194], v[177:178], v[181:182]
	scratch_load_b128 v[34:37], off, off offset:384
	v_add_f64_e32 v[187:188], v[187:188], v[183:184]
	v_add_f64_e32 v[185:186], v[189:190], v[185:186]
	ds_load_b128 v[181:184], v1 offset:1280
	v_fma_f64 v[191:192], v[177:178], v[179:180], v[191:192]
	v_fma_f64 v[179:180], v[175:176], v[179:180], -v[193:194]
	scratch_load_b128 v[175:178], off, off offset:400
	s_wait_loadcnt_dscnt 0x901
	v_mul_f64_e32 v[189:190], v[2:3], v[40:41]
	v_mul_f64_e32 v[40:41], v[4:5], v[40:41]
	v_add_f64_e32 v[187:188], v[187:188], v[197:198]
	v_add_f64_e32 v[185:186], v[185:186], v[195:196]
	s_delay_alu instid0(VALU_DEP_4) | instskip(NEXT) | instid1(VALU_DEP_4)
	v_fma_f64 v[189:190], v[4:5], v[38:39], v[189:190]
	v_fma_f64 v[195:196], v[2:3], v[38:39], -v[40:41]
	ds_load_b128 v[2:5], v1 offset:1296
	s_wait_loadcnt_dscnt 0x801
	v_mul_f64_e32 v[193:194], v[181:182], v[8:9]
	v_mul_f64_e32 v[8:9], v[183:184], v[8:9]
	scratch_load_b128 v[38:41], off, off offset:416
	s_wait_loadcnt_dscnt 0x800
	v_mul_f64_e32 v[197:198], v[2:3], v[12:13]
	v_add_f64_e32 v[179:180], v[187:188], v[179:180]
	v_add_f64_e32 v[191:192], v[185:186], v[191:192]
	v_mul_f64_e32 v[12:13], v[4:5], v[12:13]
	ds_load_b128 v[185:188], v1 offset:1312
	v_fma_f64 v[183:184], v[183:184], v[6:7], v[193:194]
	v_fma_f64 v[181:182], v[181:182], v[6:7], -v[8:9]
	scratch_load_b128 v[6:9], off, off offset:432
	v_fma_f64 v[193:194], v[4:5], v[10:11], v[197:198]
	v_add_f64_e32 v[179:180], v[179:180], v[195:196]
	v_add_f64_e32 v[189:190], v[191:192], v[189:190]
	v_fma_f64 v[195:196], v[2:3], v[10:11], -v[12:13]
	ds_load_b128 v[2:5], v1 offset:1328
	s_wait_loadcnt_dscnt 0x801
	v_mul_f64_e32 v[191:192], v[185:186], v[16:17]
	v_mul_f64_e32 v[16:17], v[187:188], v[16:17]
	scratch_load_b128 v[10:13], off, off offset:448
	v_add_f64_e32 v[197:198], v[179:180], v[181:182]
	v_add_f64_e32 v[183:184], v[189:190], v[183:184]
	s_wait_loadcnt_dscnt 0x800
	v_mul_f64_e32 v[189:190], v[2:3], v[20:21]
	v_mul_f64_e32 v[20:21], v[4:5], v[20:21]
	v_fma_f64 v[187:188], v[187:188], v[14:15], v[191:192]
	v_fma_f64 v[185:186], v[185:186], v[14:15], -v[16:17]
	ds_load_b128 v[179:182], v1 offset:1344
	scratch_load_b128 v[14:17], off, off offset:464
	v_add_f64_e32 v[191:192], v[197:198], v[195:196]
	v_add_f64_e32 v[183:184], v[183:184], v[193:194]
	v_fma_f64 v[189:190], v[4:5], v[18:19], v[189:190]
	v_fma_f64 v[195:196], v[2:3], v[18:19], -v[20:21]
	ds_load_b128 v[2:5], v1 offset:1360
	s_wait_loadcnt_dscnt 0x801
	v_mul_f64_e32 v[193:194], v[179:180], v[24:25]
	v_mul_f64_e32 v[24:25], v[181:182], v[24:25]
	scratch_load_b128 v[18:21], off, off offset:480
	s_wait_loadcnt_dscnt 0x800
	v_mul_f64_e32 v[197:198], v[2:3], v[28:29]
	v_mul_f64_e32 v[28:29], v[4:5], v[28:29]
	v_add_f64_e32 v[191:192], v[191:192], v[185:186]
	v_add_f64_e32 v[187:188], v[183:184], v[187:188]
	ds_load_b128 v[183:186], v1 offset:1376
	v_fma_f64 v[181:182], v[181:182], v[22:23], v[193:194]
	v_fma_f64 v[179:180], v[179:180], v[22:23], -v[24:25]
	scratch_load_b128 v[22:25], off, off offset:496
	v_fma_f64 v[193:194], v[4:5], v[26:27], v[197:198]
	v_add_f64_e32 v[191:192], v[191:192], v[195:196]
	v_add_f64_e32 v[187:188], v[187:188], v[189:190]
	v_fma_f64 v[195:196], v[2:3], v[26:27], -v[28:29]
	ds_load_b128 v[2:5], v1 offset:1392
	s_wait_loadcnt_dscnt 0x801
	v_mul_f64_e32 v[189:190], v[183:184], v[32:33]
	v_mul_f64_e32 v[32:33], v[185:186], v[32:33]
	scratch_load_b128 v[26:29], off, off offset:512
	s_wait_loadcnt_dscnt 0x800
	v_mul_f64_e32 v[197:198], v[2:3], v[36:37]
	v_mul_f64_e32 v[36:37], v[4:5], v[36:37]
	v_add_f64_e32 v[191:192], v[191:192], v[179:180]
	v_add_f64_e32 v[187:188], v[187:188], v[181:182]
	ds_load_b128 v[179:182], v1 offset:1408
	v_fma_f64 v[185:186], v[185:186], v[30:31], v[189:190]
	v_fma_f64 v[183:184], v[183:184], v[30:31], -v[32:33]
	scratch_load_b128 v[30:33], off, off offset:528
	v_add_f64_e32 v[189:190], v[191:192], v[195:196]
	v_add_f64_e32 v[187:188], v[187:188], v[193:194]
	v_fma_f64 v[193:194], v[4:5], v[34:35], v[197:198]
	v_fma_f64 v[195:196], v[2:3], v[34:35], -v[36:37]
	ds_load_b128 v[2:5], v1 offset:1424
	s_wait_loadcnt_dscnt 0x801
	v_mul_f64_e32 v[191:192], v[179:180], v[177:178]
	v_mul_f64_e32 v[177:178], v[181:182], v[177:178]
	scratch_load_b128 v[34:37], off, off offset:544
	s_wait_loadcnt_dscnt 0x800
	v_mul_f64_e32 v[197:198], v[2:3], v[40:41]
	v_mul_f64_e32 v[40:41], v[4:5], v[40:41]
	v_add_f64_e32 v[189:190], v[189:190], v[183:184]
	v_add_f64_e32 v[187:188], v[187:188], v[185:186]
	ds_load_b128 v[183:186], v1 offset:1440
	v_fma_f64 v[181:182], v[181:182], v[175:176], v[191:192]
	v_fma_f64 v[179:180], v[179:180], v[175:176], -v[177:178]
	scratch_load_b128 v[175:178], off, off offset:560
	v_add_f64_e32 v[189:190], v[189:190], v[195:196]
	v_add_f64_e32 v[187:188], v[187:188], v[193:194]
	v_fma_f64 v[193:194], v[4:5], v[38:39], v[197:198]
	;; [unrolled: 18-line block ×6, first 2 shown]
	v_fma_f64 v[197:198], v[2:3], v[34:35], -v[36:37]
	ds_load_b128 v[2:5], v1 offset:1584
	s_wait_loadcnt_dscnt 0x801
	v_mul_f64_e32 v[191:192], v[183:184], v[177:178]
	v_mul_f64_e32 v[193:194], v[185:186], v[177:178]
	scratch_load_b128 v[34:37], off, off offset:704
	v_add_f64_e32 v[189:190], v[189:190], v[179:180]
	v_add_f64_e32 v[181:182], v[187:188], v[181:182]
	s_wait_loadcnt_dscnt 0x800
	v_mul_f64_e32 v[187:188], v[2:3], v[40:41]
	v_mul_f64_e32 v[40:41], v[4:5], v[40:41]
	ds_load_b128 v[177:180], v1 offset:1600
	v_fma_f64 v[185:186], v[185:186], v[175:176], v[191:192]
	v_fma_f64 v[175:176], v[183:184], v[175:176], -v[193:194]
	v_add_f64_e32 v[189:190], v[189:190], v[197:198]
	v_add_f64_e32 v[191:192], v[181:182], v[195:196]
	scratch_load_b128 v[181:184], off, off offset:720
	v_fma_f64 v[195:196], v[4:5], v[38:39], v[187:188]
	v_fma_f64 v[197:198], v[2:3], v[38:39], -v[40:41]
	ds_load_b128 v[2:5], v1 offset:1616
	s_wait_loadcnt_dscnt 0x801
	v_mul_f64_e32 v[193:194], v[177:178], v[8:9]
	v_mul_f64_e32 v[8:9], v[179:180], v[8:9]
	scratch_load_b128 v[38:41], off, off offset:736
	v_add_f64_e32 v[175:176], v[189:190], v[175:176]
	v_add_f64_e32 v[189:190], v[191:192], v[185:186]
	s_wait_loadcnt_dscnt 0x800
	v_mul_f64_e32 v[191:192], v[2:3], v[12:13]
	v_mul_f64_e32 v[12:13], v[4:5], v[12:13]
	ds_load_b128 v[185:188], v1 offset:1632
	v_fma_f64 v[179:180], v[179:180], v[6:7], v[193:194]
	v_fma_f64 v[177:178], v[177:178], v[6:7], -v[8:9]
	scratch_load_b128 v[6:9], off, off offset:752
	v_add_f64_e32 v[175:176], v[175:176], v[197:198]
	v_add_f64_e32 v[189:190], v[189:190], v[195:196]
	v_fma_f64 v[191:192], v[4:5], v[10:11], v[191:192]
	v_fma_f64 v[195:196], v[2:3], v[10:11], -v[12:13]
	ds_load_b128 v[2:5], v1 offset:1648
	s_wait_loadcnt_dscnt 0x801
	v_mul_f64_e32 v[193:194], v[185:186], v[16:17]
	v_mul_f64_e32 v[16:17], v[187:188], v[16:17]
	scratch_load_b128 v[10:13], off, off offset:768
	v_add_f64_e32 v[197:198], v[175:176], v[177:178]
	v_add_f64_e32 v[179:180], v[189:190], v[179:180]
	s_wait_loadcnt_dscnt 0x800
	v_mul_f64_e32 v[189:190], v[2:3], v[20:21]
	v_mul_f64_e32 v[20:21], v[4:5], v[20:21]
	ds_load_b128 v[175:178], v1 offset:1664
	v_fma_f64 v[187:188], v[187:188], v[14:15], v[193:194]
	v_fma_f64 v[185:186], v[185:186], v[14:15], -v[16:17]
	scratch_load_b128 v[14:17], off, off offset:784
	v_add_f64_e32 v[193:194], v[197:198], v[195:196]
	v_add_f64_e32 v[179:180], v[179:180], v[191:192]
	v_fma_f64 v[189:190], v[4:5], v[18:19], v[189:190]
	v_fma_f64 v[195:196], v[2:3], v[18:19], -v[20:21]
	ds_load_b128 v[2:5], v1 offset:1680
	s_wait_loadcnt_dscnt 0x801
	v_mul_f64_e32 v[191:192], v[175:176], v[24:25]
	v_mul_f64_e32 v[24:25], v[177:178], v[24:25]
	scratch_load_b128 v[18:21], off, off offset:800
	s_wait_loadcnt_dscnt 0x800
	v_mul_f64_e32 v[197:198], v[2:3], v[28:29]
	v_mul_f64_e32 v[28:29], v[4:5], v[28:29]
	v_add_f64_e32 v[193:194], v[193:194], v[185:186]
	v_add_f64_e32 v[179:180], v[179:180], v[187:188]
	ds_load_b128 v[185:188], v1 offset:1696
	v_fma_f64 v[177:178], v[177:178], v[22:23], v[191:192]
	v_fma_f64 v[175:176], v[175:176], v[22:23], -v[24:25]
	scratch_load_b128 v[22:25], off, off offset:816
	v_add_f64_e32 v[191:192], v[193:194], v[195:196]
	v_add_f64_e32 v[179:180], v[179:180], v[189:190]
	v_fma_f64 v[193:194], v[4:5], v[26:27], v[197:198]
	v_fma_f64 v[195:196], v[2:3], v[26:27], -v[28:29]
	ds_load_b128 v[2:5], v1 offset:1712
	s_wait_loadcnt_dscnt 0x801
	v_mul_f64_e32 v[189:190], v[185:186], v[32:33]
	v_mul_f64_e32 v[32:33], v[187:188], v[32:33]
	scratch_load_b128 v[26:29], off, off offset:832
	s_wait_loadcnt_dscnt 0x800
	v_mul_f64_e32 v[197:198], v[2:3], v[36:37]
	v_mul_f64_e32 v[36:37], v[4:5], v[36:37]
	v_add_f64_e32 v[191:192], v[191:192], v[175:176]
	v_add_f64_e32 v[179:180], v[179:180], v[177:178]
	ds_load_b128 v[175:178], v1 offset:1728
	v_fma_f64 v[187:188], v[187:188], v[30:31], v[189:190]
	v_fma_f64 v[185:186], v[185:186], v[30:31], -v[32:33]
	scratch_load_b128 v[30:33], off, off offset:848
	v_add_f64_e32 v[189:190], v[191:192], v[195:196]
	v_add_f64_e32 v[179:180], v[179:180], v[193:194]
	v_fma_f64 v[195:196], v[4:5], v[34:35], v[197:198]
	v_fma_f64 v[197:198], v[2:3], v[34:35], -v[36:37]
	ds_load_b128 v[2:5], v1 offset:1744
	scratch_load_b128 v[34:37], off, off offset:864
	s_wait_loadcnt_dscnt 0x901
	v_mul_f64_e32 v[191:192], v[175:176], v[183:184]
	v_mul_f64_e32 v[193:194], v[177:178], v[183:184]
	v_add_f64_e32 v[189:190], v[189:190], v[185:186]
	v_add_f64_e32 v[179:180], v[179:180], v[187:188]
	s_wait_loadcnt_dscnt 0x800
	v_mul_f64_e32 v[187:188], v[2:3], v[40:41]
	v_mul_f64_e32 v[40:41], v[4:5], v[40:41]
	ds_load_b128 v[183:186], v1 offset:1760
	v_fma_f64 v[191:192], v[177:178], v[181:182], v[191:192]
	v_fma_f64 v[181:182], v[175:176], v[181:182], -v[193:194]
	scratch_load_b128 v[175:178], off, off offset:880
	v_add_f64_e32 v[189:190], v[189:190], v[197:198]
	v_add_f64_e32 v[179:180], v[179:180], v[195:196]
	v_fma_f64 v[187:188], v[4:5], v[38:39], v[187:188]
	v_fma_f64 v[195:196], v[2:3], v[38:39], -v[40:41]
	ds_load_b128 v[2:5], v1 offset:1776
	s_wait_loadcnt_dscnt 0x801
	v_mul_f64_e32 v[193:194], v[183:184], v[8:9]
	v_mul_f64_e32 v[8:9], v[185:186], v[8:9]
	scratch_load_b128 v[38:41], off, off offset:896
	s_wait_loadcnt_dscnt 0x800
	v_mul_f64_e32 v[197:198], v[2:3], v[12:13]
	v_mul_f64_e32 v[12:13], v[4:5], v[12:13]
	v_add_f64_e32 v[189:190], v[189:190], v[181:182]
	v_add_f64_e32 v[191:192], v[179:180], v[191:192]
	ds_load_b128 v[179:182], v1 offset:1792
	v_fma_f64 v[185:186], v[185:186], v[6:7], v[193:194]
	v_fma_f64 v[183:184], v[183:184], v[6:7], -v[8:9]
	scratch_load_b128 v[6:9], off, off offset:912
	v_fma_f64 v[193:194], v[4:5], v[10:11], v[197:198]
	v_add_f64_e32 v[189:190], v[189:190], v[195:196]
	v_add_f64_e32 v[187:188], v[191:192], v[187:188]
	v_fma_f64 v[195:196], v[2:3], v[10:11], -v[12:13]
	ds_load_b128 v[2:5], v1 offset:1808
	s_wait_loadcnt_dscnt 0x801
	v_mul_f64_e32 v[191:192], v[179:180], v[16:17]
	v_mul_f64_e32 v[16:17], v[181:182], v[16:17]
	scratch_load_b128 v[10:13], off, off offset:928
	s_wait_loadcnt_dscnt 0x800
	v_mul_f64_e32 v[197:198], v[2:3], v[20:21]
	v_mul_f64_e32 v[20:21], v[4:5], v[20:21]
	v_add_f64_e32 v[189:190], v[189:190], v[183:184]
	v_add_f64_e32 v[187:188], v[187:188], v[185:186]
	ds_load_b128 v[183:186], v1 offset:1824
	v_fma_f64 v[181:182], v[181:182], v[14:15], v[191:192]
	v_fma_f64 v[179:180], v[179:180], v[14:15], -v[16:17]
	scratch_load_b128 v[14:17], off, off offset:944
	v_add_f64_e32 v[189:190], v[189:190], v[195:196]
	v_add_f64_e32 v[187:188], v[187:188], v[193:194]
	v_fma_f64 v[193:194], v[4:5], v[18:19], v[197:198]
	v_fma_f64 v[195:196], v[2:3], v[18:19], -v[20:21]
	ds_load_b128 v[2:5], v1 offset:1840
	s_wait_loadcnt_dscnt 0x801
	v_mul_f64_e32 v[191:192], v[183:184], v[24:25]
	v_mul_f64_e32 v[24:25], v[185:186], v[24:25]
	scratch_load_b128 v[18:21], off, off offset:960
	s_wait_loadcnt_dscnt 0x800
	v_mul_f64_e32 v[197:198], v[2:3], v[28:29]
	v_mul_f64_e32 v[28:29], v[4:5], v[28:29]
	v_add_f64_e32 v[189:190], v[189:190], v[179:180]
	v_add_f64_e32 v[187:188], v[187:188], v[181:182]
	ds_load_b128 v[179:182], v1 offset:1856
	v_fma_f64 v[185:186], v[185:186], v[22:23], v[191:192]
	v_fma_f64 v[183:184], v[183:184], v[22:23], -v[24:25]
	scratch_load_b128 v[22:25], off, off offset:976
	v_add_f64_e32 v[189:190], v[189:190], v[195:196]
	v_add_f64_e32 v[187:188], v[187:188], v[193:194]
	v_fma_f64 v[193:194], v[4:5], v[26:27], v[197:198]
	;; [unrolled: 18-line block ×3, first 2 shown]
	v_fma_f64 v[197:198], v[2:3], v[34:35], -v[36:37]
	ds_load_b128 v[2:5], v1 offset:1904
	s_wait_loadcnt_dscnt 0x801
	v_mul_f64_e32 v[191:192], v[183:184], v[177:178]
	v_mul_f64_e32 v[193:194], v[185:186], v[177:178]
	scratch_load_b128 v[34:37], off, off offset:1024
	v_add_f64_e32 v[189:190], v[189:190], v[179:180]
	v_add_f64_e32 v[181:182], v[187:188], v[181:182]
	s_wait_loadcnt_dscnt 0x800
	v_mul_f64_e32 v[187:188], v[2:3], v[40:41]
	v_mul_f64_e32 v[40:41], v[4:5], v[40:41]
	ds_load_b128 v[177:180], v1 offset:1920
	v_fma_f64 v[185:186], v[185:186], v[175:176], v[191:192]
	v_fma_f64 v[175:176], v[183:184], v[175:176], -v[193:194]
	v_add_f64_e32 v[183:184], v[189:190], v[197:198]
	v_add_f64_e32 v[181:182], v[181:182], v[195:196]
	s_wait_loadcnt_dscnt 0x700
	v_mul_f64_e32 v[189:190], v[177:178], v[8:9]
	v_mul_f64_e32 v[8:9], v[179:180], v[8:9]
	v_fma_f64 v[187:188], v[4:5], v[38:39], v[187:188]
	v_fma_f64 v[191:192], v[2:3], v[38:39], -v[40:41]
	ds_load_b128 v[2:5], v1 offset:1936
	ds_load_b128 v[38:41], v1 offset:1952
	v_add_f64_e32 v[175:176], v[183:184], v[175:176]
	v_add_f64_e32 v[181:182], v[181:182], v[185:186]
	s_wait_loadcnt_dscnt 0x601
	v_mul_f64_e32 v[183:184], v[2:3], v[12:13]
	v_mul_f64_e32 v[12:13], v[4:5], v[12:13]
	v_fma_f64 v[179:180], v[179:180], v[6:7], v[189:190]
	v_fma_f64 v[6:7], v[177:178], v[6:7], -v[8:9]
	s_wait_loadcnt_dscnt 0x500
	v_mul_f64_e32 v[177:178], v[38:39], v[16:17]
	v_mul_f64_e32 v[16:17], v[40:41], v[16:17]
	v_add_f64_e32 v[8:9], v[175:176], v[191:192]
	v_add_f64_e32 v[175:176], v[181:182], v[187:188]
	v_fma_f64 v[181:182], v[4:5], v[10:11], v[183:184]
	v_fma_f64 v[10:11], v[2:3], v[10:11], -v[12:13]
	v_fma_f64 v[40:41], v[40:41], v[14:15], v[177:178]
	v_fma_f64 v[14:15], v[38:39], v[14:15], -v[16:17]
	v_add_f64_e32 v[12:13], v[8:9], v[6:7]
	v_add_f64_e32 v[175:176], v[175:176], v[179:180]
	ds_load_b128 v[2:5], v1 offset:1968
	ds_load_b128 v[6:9], v1 offset:1984
	s_wait_loadcnt_dscnt 0x401
	v_mul_f64_e32 v[179:180], v[2:3], v[20:21]
	v_mul_f64_e32 v[20:21], v[4:5], v[20:21]
	s_wait_loadcnt_dscnt 0x300
	v_mul_f64_e32 v[16:17], v[6:7], v[24:25]
	v_mul_f64_e32 v[24:25], v[8:9], v[24:25]
	v_add_f64_e32 v[10:11], v[12:13], v[10:11]
	v_add_f64_e32 v[12:13], v[175:176], v[181:182]
	v_fma_f64 v[38:39], v[4:5], v[18:19], v[179:180]
	v_fma_f64 v[18:19], v[2:3], v[18:19], -v[20:21]
	v_fma_f64 v[8:9], v[8:9], v[22:23], v[16:17]
	v_fma_f64 v[6:7], v[6:7], v[22:23], -v[24:25]
	v_add_f64_e32 v[14:15], v[10:11], v[14:15]
	v_add_f64_e32 v[20:21], v[12:13], v[40:41]
	ds_load_b128 v[2:5], v1 offset:2000
	ds_load_b128 v[10:13], v1 offset:2016
	s_wait_loadcnt_dscnt 0x201
	v_mul_f64_e32 v[40:41], v[2:3], v[28:29]
	v_mul_f64_e32 v[28:29], v[4:5], v[28:29]
	v_add_f64_e32 v[14:15], v[14:15], v[18:19]
	v_add_f64_e32 v[16:17], v[20:21], v[38:39]
	s_wait_loadcnt_dscnt 0x100
	v_mul_f64_e32 v[18:19], v[10:11], v[32:33]
	v_mul_f64_e32 v[20:21], v[12:13], v[32:33]
	v_fma_f64 v[22:23], v[4:5], v[26:27], v[40:41]
	v_fma_f64 v[24:25], v[2:3], v[26:27], -v[28:29]
	ds_load_b128 v[2:5], v1 offset:2032
	v_add_f64_e32 v[6:7], v[14:15], v[6:7]
	v_add_f64_e32 v[8:9], v[16:17], v[8:9]
	v_fma_f64 v[12:13], v[12:13], v[30:31], v[18:19]
	v_fma_f64 v[10:11], v[10:11], v[30:31], -v[20:21]
	s_wait_loadcnt_dscnt 0x0
	v_mul_f64_e32 v[14:15], v[2:3], v[36:37]
	v_mul_f64_e32 v[16:17], v[4:5], v[36:37]
	v_add_f64_e32 v[6:7], v[6:7], v[24:25]
	v_add_f64_e32 v[8:9], v[8:9], v[22:23]
	s_delay_alu instid0(VALU_DEP_4) | instskip(NEXT) | instid1(VALU_DEP_4)
	v_fma_f64 v[4:5], v[4:5], v[34:35], v[14:15]
	v_fma_f64 v[2:3], v[2:3], v[34:35], -v[16:17]
	s_delay_alu instid0(VALU_DEP_4) | instskip(NEXT) | instid1(VALU_DEP_4)
	v_add_f64_e32 v[6:7], v[6:7], v[10:11]
	v_add_f64_e32 v[8:9], v[8:9], v[12:13]
	s_delay_alu instid0(VALU_DEP_2) | instskip(NEXT) | instid1(VALU_DEP_2)
	v_add_f64_e32 v[2:3], v[6:7], v[2:3]
	v_add_f64_e32 v[4:5], v[8:9], v[4:5]
	s_delay_alu instid0(VALU_DEP_2) | instskip(NEXT) | instid1(VALU_DEP_2)
	v_add_f64_e64 v[2:3], v[42:43], -v[2:3]
	v_add_f64_e64 v[4:5], v[44:45], -v[4:5]
	scratch_store_b128 off, v[2:5], off offset:80
	v_cmpx_lt_u32_e32 3, v0
	s_cbranch_execz .LBB63_403
; %bb.402:
	scratch_load_b128 v[5:8], off, s56
	v_dual_mov_b32 v2, v1 :: v_dual_mov_b32 v3, v1
	v_mov_b32_e32 v4, v1
	scratch_store_b128 off, v[1:4], off offset:64
	s_wait_loadcnt 0x0
	ds_store_b128 v174, v[5:8]
.LBB63_403:
	s_wait_alu 0xfffe
	s_or_b32 exec_lo, exec_lo, s0
	s_wait_storecnt_dscnt 0x0
	s_barrier_signal -1
	s_barrier_wait -1
	global_inv scope:SCOPE_SE
	s_clause 0x8
	scratch_load_b128 v[2:5], off, off offset:80
	scratch_load_b128 v[6:9], off, off offset:96
	;; [unrolled: 1-line block ×9, first 2 shown]
	ds_load_b128 v[42:45], v1 offset:1088
	ds_load_b128 v[38:41], v1 offset:1104
	s_clause 0x1
	scratch_load_b128 v[175:178], off, off offset:64
	scratch_load_b128 v[179:182], off, off offset:224
	s_mov_b32 s0, exec_lo
	s_wait_loadcnt_dscnt 0xa01
	v_mul_f64_e32 v[183:184], v[44:45], v[4:5]
	v_mul_f64_e32 v[4:5], v[42:43], v[4:5]
	s_wait_loadcnt_dscnt 0x900
	v_mul_f64_e32 v[187:188], v[38:39], v[8:9]
	v_mul_f64_e32 v[8:9], v[40:41], v[8:9]
	s_delay_alu instid0(VALU_DEP_4) | instskip(NEXT) | instid1(VALU_DEP_4)
	v_fma_f64 v[189:190], v[42:43], v[2:3], -v[183:184]
	v_fma_f64 v[191:192], v[44:45], v[2:3], v[4:5]
	ds_load_b128 v[2:5], v1 offset:1120
	ds_load_b128 v[183:186], v1 offset:1136
	scratch_load_b128 v[42:45], off, off offset:240
	v_fma_f64 v[40:41], v[40:41], v[6:7], v[187:188]
	v_fma_f64 v[38:39], v[38:39], v[6:7], -v[8:9]
	scratch_load_b128 v[6:9], off, off offset:256
	s_wait_loadcnt_dscnt 0xa01
	v_mul_f64_e32 v[193:194], v[2:3], v[12:13]
	v_mul_f64_e32 v[12:13], v[4:5], v[12:13]
	v_add_f64_e32 v[187:188], 0, v[189:190]
	v_add_f64_e32 v[189:190], 0, v[191:192]
	s_wait_loadcnt_dscnt 0x900
	v_mul_f64_e32 v[191:192], v[183:184], v[16:17]
	v_mul_f64_e32 v[16:17], v[185:186], v[16:17]
	v_fma_f64 v[193:194], v[4:5], v[10:11], v[193:194]
	v_fma_f64 v[195:196], v[2:3], v[10:11], -v[12:13]
	ds_load_b128 v[2:5], v1 offset:1152
	scratch_load_b128 v[10:13], off, off offset:272
	v_add_f64_e32 v[187:188], v[187:188], v[38:39]
	v_add_f64_e32 v[189:190], v[189:190], v[40:41]
	ds_load_b128 v[38:41], v1 offset:1168
	v_fma_f64 v[185:186], v[185:186], v[14:15], v[191:192]
	v_fma_f64 v[183:184], v[183:184], v[14:15], -v[16:17]
	scratch_load_b128 v[14:17], off, off offset:288
	s_wait_loadcnt_dscnt 0xa01
	v_mul_f64_e32 v[197:198], v[2:3], v[20:21]
	v_mul_f64_e32 v[20:21], v[4:5], v[20:21]
	s_wait_loadcnt_dscnt 0x900
	v_mul_f64_e32 v[191:192], v[38:39], v[24:25]
	v_mul_f64_e32 v[24:25], v[40:41], v[24:25]
	v_add_f64_e32 v[187:188], v[187:188], v[195:196]
	v_add_f64_e32 v[189:190], v[189:190], v[193:194]
	v_fma_f64 v[193:194], v[4:5], v[18:19], v[197:198]
	v_fma_f64 v[195:196], v[2:3], v[18:19], -v[20:21]
	ds_load_b128 v[2:5], v1 offset:1184
	scratch_load_b128 v[18:21], off, off offset:304
	v_fma_f64 v[40:41], v[40:41], v[22:23], v[191:192]
	v_fma_f64 v[38:39], v[38:39], v[22:23], -v[24:25]
	scratch_load_b128 v[22:25], off, off offset:320
	v_add_f64_e32 v[187:188], v[187:188], v[183:184]
	v_add_f64_e32 v[189:190], v[189:190], v[185:186]
	ds_load_b128 v[183:186], v1 offset:1200
	s_wait_loadcnt_dscnt 0xa01
	v_mul_f64_e32 v[197:198], v[2:3], v[28:29]
	v_mul_f64_e32 v[28:29], v[4:5], v[28:29]
	s_wait_loadcnt_dscnt 0x900
	v_mul_f64_e32 v[191:192], v[183:184], v[32:33]
	v_mul_f64_e32 v[32:33], v[185:186], v[32:33]
	v_add_f64_e32 v[187:188], v[187:188], v[195:196]
	v_add_f64_e32 v[189:190], v[189:190], v[193:194]
	v_fma_f64 v[193:194], v[4:5], v[26:27], v[197:198]
	v_fma_f64 v[195:196], v[2:3], v[26:27], -v[28:29]
	ds_load_b128 v[2:5], v1 offset:1216
	scratch_load_b128 v[26:29], off, off offset:336
	v_fma_f64 v[185:186], v[185:186], v[30:31], v[191:192]
	v_fma_f64 v[183:184], v[183:184], v[30:31], -v[32:33]
	scratch_load_b128 v[30:33], off, off offset:352
	v_add_f64_e32 v[187:188], v[187:188], v[38:39]
	v_add_f64_e32 v[189:190], v[189:190], v[40:41]
	ds_load_b128 v[38:41], v1 offset:1232
	s_wait_loadcnt_dscnt 0xa01
	v_mul_f64_e32 v[197:198], v[2:3], v[36:37]
	v_mul_f64_e32 v[36:37], v[4:5], v[36:37]
	s_wait_loadcnt_dscnt 0x800
	v_mul_f64_e32 v[191:192], v[38:39], v[181:182]
	v_add_f64_e32 v[187:188], v[187:188], v[195:196]
	v_add_f64_e32 v[189:190], v[189:190], v[193:194]
	v_mul_f64_e32 v[193:194], v[40:41], v[181:182]
	v_fma_f64 v[195:196], v[4:5], v[34:35], v[197:198]
	v_fma_f64 v[197:198], v[2:3], v[34:35], -v[36:37]
	ds_load_b128 v[2:5], v1 offset:1248
	scratch_load_b128 v[34:37], off, off offset:368
	v_fma_f64 v[191:192], v[40:41], v[179:180], v[191:192]
	v_add_f64_e32 v[187:188], v[187:188], v[183:184]
	v_add_f64_e32 v[185:186], v[189:190], v[185:186]
	ds_load_b128 v[181:184], v1 offset:1264
	v_fma_f64 v[179:180], v[38:39], v[179:180], -v[193:194]
	scratch_load_b128 v[38:41], off, off offset:384
	s_wait_loadcnt_dscnt 0x901
	v_mul_f64_e32 v[189:190], v[2:3], v[44:45]
	v_mul_f64_e32 v[44:45], v[4:5], v[44:45]
	s_wait_loadcnt_dscnt 0x800
	v_mul_f64_e32 v[193:194], v[181:182], v[8:9]
	v_mul_f64_e32 v[8:9], v[183:184], v[8:9]
	v_add_f64_e32 v[187:188], v[187:188], v[197:198]
	v_add_f64_e32 v[185:186], v[185:186], v[195:196]
	v_fma_f64 v[189:190], v[4:5], v[42:43], v[189:190]
	v_fma_f64 v[195:196], v[2:3], v[42:43], -v[44:45]
	ds_load_b128 v[2:5], v1 offset:1280
	scratch_load_b128 v[42:45], off, off offset:400
	v_fma_f64 v[183:184], v[183:184], v[6:7], v[193:194]
	v_fma_f64 v[181:182], v[181:182], v[6:7], -v[8:9]
	scratch_load_b128 v[6:9], off, off offset:416
	v_add_f64_e32 v[179:180], v[187:188], v[179:180]
	v_add_f64_e32 v[191:192], v[185:186], v[191:192]
	ds_load_b128 v[185:188], v1 offset:1296
	s_wait_loadcnt_dscnt 0x901
	v_mul_f64_e32 v[197:198], v[2:3], v[12:13]
	v_mul_f64_e32 v[12:13], v[4:5], v[12:13]
	v_add_f64_e32 v[179:180], v[179:180], v[195:196]
	v_add_f64_e32 v[189:190], v[191:192], v[189:190]
	s_wait_loadcnt_dscnt 0x800
	v_mul_f64_e32 v[191:192], v[185:186], v[16:17]
	v_mul_f64_e32 v[16:17], v[187:188], v[16:17]
	v_fma_f64 v[193:194], v[4:5], v[10:11], v[197:198]
	v_fma_f64 v[195:196], v[2:3], v[10:11], -v[12:13]
	ds_load_b128 v[2:5], v1 offset:1312
	scratch_load_b128 v[10:13], off, off offset:432
	v_add_f64_e32 v[197:198], v[179:180], v[181:182]
	v_add_f64_e32 v[183:184], v[189:190], v[183:184]
	ds_load_b128 v[179:182], v1 offset:1328
	s_wait_loadcnt_dscnt 0x801
	v_mul_f64_e32 v[189:190], v[2:3], v[20:21]
	v_mul_f64_e32 v[20:21], v[4:5], v[20:21]
	v_fma_f64 v[187:188], v[187:188], v[14:15], v[191:192]
	v_fma_f64 v[185:186], v[185:186], v[14:15], -v[16:17]
	scratch_load_b128 v[14:17], off, off offset:448
	v_add_f64_e32 v[191:192], v[197:198], v[195:196]
	v_add_f64_e32 v[183:184], v[183:184], v[193:194]
	s_wait_loadcnt_dscnt 0x800
	v_mul_f64_e32 v[193:194], v[179:180], v[24:25]
	v_mul_f64_e32 v[24:25], v[181:182], v[24:25]
	v_fma_f64 v[189:190], v[4:5], v[18:19], v[189:190]
	v_fma_f64 v[195:196], v[2:3], v[18:19], -v[20:21]
	ds_load_b128 v[2:5], v1 offset:1344
	scratch_load_b128 v[18:21], off, off offset:464
	v_add_f64_e32 v[191:192], v[191:192], v[185:186]
	v_add_f64_e32 v[187:188], v[183:184], v[187:188]
	ds_load_b128 v[183:186], v1 offset:1360
	s_wait_loadcnt_dscnt 0x801
	v_mul_f64_e32 v[197:198], v[2:3], v[28:29]
	v_mul_f64_e32 v[28:29], v[4:5], v[28:29]
	v_fma_f64 v[181:182], v[181:182], v[22:23], v[193:194]
	v_fma_f64 v[179:180], v[179:180], v[22:23], -v[24:25]
	scratch_load_b128 v[22:25], off, off offset:480
	;; [unrolled: 18-line block ×4, first 2 shown]
	s_wait_loadcnt_dscnt 0x800
	v_mul_f64_e32 v[191:192], v[183:184], v[8:9]
	v_mul_f64_e32 v[8:9], v[185:186], v[8:9]
	v_add_f64_e32 v[189:190], v[189:190], v[195:196]
	v_add_f64_e32 v[187:188], v[187:188], v[193:194]
	v_fma_f64 v[193:194], v[4:5], v[42:43], v[197:198]
	v_fma_f64 v[195:196], v[2:3], v[42:43], -v[44:45]
	ds_load_b128 v[2:5], v1 offset:1440
	scratch_load_b128 v[42:45], off, off offset:560
	v_fma_f64 v[185:186], v[185:186], v[6:7], v[191:192]
	v_fma_f64 v[183:184], v[183:184], v[6:7], -v[8:9]
	scratch_load_b128 v[6:9], off, off offset:576
	v_add_f64_e32 v[189:190], v[189:190], v[179:180]
	v_add_f64_e32 v[187:188], v[187:188], v[181:182]
	ds_load_b128 v[179:182], v1 offset:1456
	s_wait_loadcnt_dscnt 0x901
	v_mul_f64_e32 v[197:198], v[2:3], v[12:13]
	v_mul_f64_e32 v[12:13], v[4:5], v[12:13]
	s_wait_loadcnt_dscnt 0x800
	v_mul_f64_e32 v[191:192], v[179:180], v[16:17]
	v_mul_f64_e32 v[16:17], v[181:182], v[16:17]
	v_add_f64_e32 v[189:190], v[189:190], v[195:196]
	v_add_f64_e32 v[187:188], v[187:188], v[193:194]
	v_fma_f64 v[193:194], v[4:5], v[10:11], v[197:198]
	v_fma_f64 v[195:196], v[2:3], v[10:11], -v[12:13]
	ds_load_b128 v[2:5], v1 offset:1472
	scratch_load_b128 v[10:13], off, off offset:592
	v_fma_f64 v[181:182], v[181:182], v[14:15], v[191:192]
	v_fma_f64 v[179:180], v[179:180], v[14:15], -v[16:17]
	scratch_load_b128 v[14:17], off, off offset:608
	v_add_f64_e32 v[189:190], v[189:190], v[183:184]
	v_add_f64_e32 v[187:188], v[187:188], v[185:186]
	ds_load_b128 v[183:186], v1 offset:1488
	s_wait_loadcnt_dscnt 0x901
	v_mul_f64_e32 v[197:198], v[2:3], v[20:21]
	v_mul_f64_e32 v[20:21], v[4:5], v[20:21]
	;; [unrolled: 18-line block ×15, first 2 shown]
	s_wait_loadcnt_dscnt 0x800
	v_mul_f64_e32 v[191:192], v[179:180], v[8:9]
	v_mul_f64_e32 v[8:9], v[181:182], v[8:9]
	v_add_f64_e32 v[189:190], v[189:190], v[195:196]
	v_add_f64_e32 v[187:188], v[187:188], v[193:194]
	v_fma_f64 v[193:194], v[4:5], v[42:43], v[197:198]
	v_fma_f64 v[195:196], v[2:3], v[42:43], -v[44:45]
	ds_load_b128 v[2:5], v1 offset:1920
	ds_load_b128 v[42:45], v1 offset:1936
	v_fma_f64 v[181:182], v[181:182], v[6:7], v[191:192]
	v_fma_f64 v[6:7], v[179:180], v[6:7], -v[8:9]
	v_add_f64_e32 v[183:184], v[189:190], v[183:184]
	v_add_f64_e32 v[185:186], v[187:188], v[185:186]
	s_wait_loadcnt_dscnt 0x701
	v_mul_f64_e32 v[187:188], v[2:3], v[12:13]
	v_mul_f64_e32 v[12:13], v[4:5], v[12:13]
	s_delay_alu instid0(VALU_DEP_4) | instskip(NEXT) | instid1(VALU_DEP_4)
	v_add_f64_e32 v[8:9], v[183:184], v[195:196]
	v_add_f64_e32 v[179:180], v[185:186], v[193:194]
	s_wait_loadcnt_dscnt 0x600
	v_mul_f64_e32 v[183:184], v[42:43], v[16:17]
	v_mul_f64_e32 v[16:17], v[44:45], v[16:17]
	v_fma_f64 v[185:186], v[4:5], v[10:11], v[187:188]
	v_fma_f64 v[10:11], v[2:3], v[10:11], -v[12:13]
	v_add_f64_e32 v[12:13], v[8:9], v[6:7]
	v_add_f64_e32 v[179:180], v[179:180], v[181:182]
	ds_load_b128 v[2:5], v1 offset:1952
	ds_load_b128 v[6:9], v1 offset:1968
	v_fma_f64 v[44:45], v[44:45], v[14:15], v[183:184]
	v_fma_f64 v[14:15], v[42:43], v[14:15], -v[16:17]
	s_wait_loadcnt_dscnt 0x501
	v_mul_f64_e32 v[181:182], v[2:3], v[20:21]
	v_mul_f64_e32 v[20:21], v[4:5], v[20:21]
	s_wait_loadcnt_dscnt 0x400
	v_mul_f64_e32 v[16:17], v[6:7], v[24:25]
	v_mul_f64_e32 v[24:25], v[8:9], v[24:25]
	v_add_f64_e32 v[10:11], v[12:13], v[10:11]
	v_add_f64_e32 v[12:13], v[179:180], v[185:186]
	v_fma_f64 v[42:43], v[4:5], v[18:19], v[181:182]
	v_fma_f64 v[18:19], v[2:3], v[18:19], -v[20:21]
	v_fma_f64 v[8:9], v[8:9], v[22:23], v[16:17]
	v_fma_f64 v[6:7], v[6:7], v[22:23], -v[24:25]
	v_add_f64_e32 v[14:15], v[10:11], v[14:15]
	v_add_f64_e32 v[20:21], v[12:13], v[44:45]
	ds_load_b128 v[2:5], v1 offset:1984
	ds_load_b128 v[10:13], v1 offset:2000
	s_wait_loadcnt_dscnt 0x301
	v_mul_f64_e32 v[44:45], v[2:3], v[28:29]
	v_mul_f64_e32 v[28:29], v[4:5], v[28:29]
	v_add_f64_e32 v[14:15], v[14:15], v[18:19]
	v_add_f64_e32 v[16:17], v[20:21], v[42:43]
	s_wait_loadcnt_dscnt 0x200
	v_mul_f64_e32 v[18:19], v[10:11], v[32:33]
	v_mul_f64_e32 v[20:21], v[12:13], v[32:33]
	v_fma_f64 v[22:23], v[4:5], v[26:27], v[44:45]
	v_fma_f64 v[24:25], v[2:3], v[26:27], -v[28:29]
	v_add_f64_e32 v[14:15], v[14:15], v[6:7]
	v_add_f64_e32 v[16:17], v[16:17], v[8:9]
	ds_load_b128 v[2:5], v1 offset:2016
	ds_load_b128 v[6:9], v1 offset:2032
	v_fma_f64 v[12:13], v[12:13], v[30:31], v[18:19]
	v_fma_f64 v[10:11], v[10:11], v[30:31], -v[20:21]
	s_wait_loadcnt_dscnt 0x101
	v_mul_f64_e32 v[26:27], v[2:3], v[36:37]
	v_mul_f64_e32 v[28:29], v[4:5], v[36:37]
	s_wait_loadcnt_dscnt 0x0
	v_mul_f64_e32 v[18:19], v[6:7], v[40:41]
	v_mul_f64_e32 v[20:21], v[8:9], v[40:41]
	v_add_f64_e32 v[14:15], v[14:15], v[24:25]
	v_add_f64_e32 v[16:17], v[16:17], v[22:23]
	v_fma_f64 v[4:5], v[4:5], v[34:35], v[26:27]
	v_fma_f64 v[1:2], v[2:3], v[34:35], -v[28:29]
	v_fma_f64 v[8:9], v[8:9], v[38:39], v[18:19]
	v_fma_f64 v[6:7], v[6:7], v[38:39], -v[20:21]
	v_add_f64_e32 v[10:11], v[14:15], v[10:11]
	v_add_f64_e32 v[12:13], v[16:17], v[12:13]
	s_delay_alu instid0(VALU_DEP_2) | instskip(NEXT) | instid1(VALU_DEP_2)
	v_add_f64_e32 v[1:2], v[10:11], v[1:2]
	v_add_f64_e32 v[3:4], v[12:13], v[4:5]
	s_delay_alu instid0(VALU_DEP_2) | instskip(NEXT) | instid1(VALU_DEP_2)
	;; [unrolled: 3-line block ×3, first 2 shown]
	v_add_f64_e64 v[1:2], v[175:176], -v[1:2]
	v_add_f64_e64 v[3:4], v[177:178], -v[3:4]
	scratch_store_b128 off, v[1:4], off offset:64
	v_cmpx_lt_u32_e32 2, v0
	s_cbranch_execz .LBB63_405
; %bb.404:
	scratch_load_b128 v[1:4], off, s57
	v_mov_b32_e32 v5, 0
	s_delay_alu instid0(VALU_DEP_1)
	v_dual_mov_b32 v6, v5 :: v_dual_mov_b32 v7, v5
	v_mov_b32_e32 v8, v5
	scratch_store_b128 off, v[5:8], off offset:48
	s_wait_loadcnt 0x0
	ds_store_b128 v174, v[1:4]
.LBB63_405:
	s_wait_alu 0xfffe
	s_or_b32 exec_lo, exec_lo, s0
	s_wait_storecnt_dscnt 0x0
	s_barrier_signal -1
	s_barrier_wait -1
	global_inv scope:SCOPE_SE
	s_clause 0x7
	scratch_load_b128 v[2:5], off, off offset:64
	scratch_load_b128 v[6:9], off, off offset:80
	;; [unrolled: 1-line block ×8, first 2 shown]
	v_mov_b32_e32 v1, 0
	s_mov_b32 s0, exec_lo
	ds_load_b128 v[38:41], v1 offset:1072
	s_clause 0x1
	scratch_load_b128 v[34:37], off, off offset:192
	scratch_load_b128 v[42:45], off, off offset:48
	ds_load_b128 v[175:178], v1 offset:1088
	scratch_load_b128 v[179:182], off, off offset:208
	s_wait_loadcnt_dscnt 0xa01
	v_mul_f64_e32 v[183:184], v[40:41], v[4:5]
	v_mul_f64_e32 v[4:5], v[38:39], v[4:5]
	s_delay_alu instid0(VALU_DEP_2) | instskip(NEXT) | instid1(VALU_DEP_2)
	v_fma_f64 v[189:190], v[38:39], v[2:3], -v[183:184]
	v_fma_f64 v[191:192], v[40:41], v[2:3], v[4:5]
	ds_load_b128 v[2:5], v1 offset:1104
	s_wait_loadcnt_dscnt 0x901
	v_mul_f64_e32 v[187:188], v[175:176], v[8:9]
	v_mul_f64_e32 v[8:9], v[177:178], v[8:9]
	scratch_load_b128 v[38:41], off, off offset:224
	ds_load_b128 v[183:186], v1 offset:1120
	s_wait_loadcnt_dscnt 0x901
	v_mul_f64_e32 v[193:194], v[2:3], v[12:13]
	v_mul_f64_e32 v[12:13], v[4:5], v[12:13]
	v_fma_f64 v[177:178], v[177:178], v[6:7], v[187:188]
	v_fma_f64 v[175:176], v[175:176], v[6:7], -v[8:9]
	v_add_f64_e32 v[187:188], 0, v[189:190]
	v_add_f64_e32 v[189:190], 0, v[191:192]
	scratch_load_b128 v[6:9], off, off offset:240
	v_fma_f64 v[193:194], v[4:5], v[10:11], v[193:194]
	v_fma_f64 v[195:196], v[2:3], v[10:11], -v[12:13]
	ds_load_b128 v[2:5], v1 offset:1136
	s_wait_loadcnt_dscnt 0x901
	v_mul_f64_e32 v[191:192], v[183:184], v[16:17]
	v_mul_f64_e32 v[16:17], v[185:186], v[16:17]
	scratch_load_b128 v[10:13], off, off offset:256
	v_add_f64_e32 v[187:188], v[187:188], v[175:176]
	v_add_f64_e32 v[189:190], v[189:190], v[177:178]
	s_wait_loadcnt_dscnt 0x900
	v_mul_f64_e32 v[197:198], v[2:3], v[20:21]
	v_mul_f64_e32 v[20:21], v[4:5], v[20:21]
	ds_load_b128 v[175:178], v1 offset:1152
	v_fma_f64 v[185:186], v[185:186], v[14:15], v[191:192]
	v_fma_f64 v[183:184], v[183:184], v[14:15], -v[16:17]
	scratch_load_b128 v[14:17], off, off offset:272
	v_add_f64_e32 v[187:188], v[187:188], v[195:196]
	v_add_f64_e32 v[189:190], v[189:190], v[193:194]
	v_fma_f64 v[193:194], v[4:5], v[18:19], v[197:198]
	v_fma_f64 v[195:196], v[2:3], v[18:19], -v[20:21]
	ds_load_b128 v[2:5], v1 offset:1168
	s_wait_loadcnt_dscnt 0x901
	v_mul_f64_e32 v[191:192], v[175:176], v[24:25]
	v_mul_f64_e32 v[24:25], v[177:178], v[24:25]
	scratch_load_b128 v[18:21], off, off offset:288
	s_wait_loadcnt_dscnt 0x900
	v_mul_f64_e32 v[197:198], v[2:3], v[28:29]
	v_mul_f64_e32 v[28:29], v[4:5], v[28:29]
	v_add_f64_e32 v[187:188], v[187:188], v[183:184]
	v_add_f64_e32 v[189:190], v[189:190], v[185:186]
	ds_load_b128 v[183:186], v1 offset:1184
	v_fma_f64 v[177:178], v[177:178], v[22:23], v[191:192]
	v_fma_f64 v[175:176], v[175:176], v[22:23], -v[24:25]
	scratch_load_b128 v[22:25], off, off offset:304
	v_add_f64_e32 v[187:188], v[187:188], v[195:196]
	v_add_f64_e32 v[189:190], v[189:190], v[193:194]
	v_fma_f64 v[193:194], v[4:5], v[26:27], v[197:198]
	v_fma_f64 v[195:196], v[2:3], v[26:27], -v[28:29]
	ds_load_b128 v[2:5], v1 offset:1200
	s_wait_loadcnt_dscnt 0x901
	v_mul_f64_e32 v[191:192], v[183:184], v[32:33]
	v_mul_f64_e32 v[32:33], v[185:186], v[32:33]
	scratch_load_b128 v[26:29], off, off offset:320
	s_wait_loadcnt_dscnt 0x900
	v_mul_f64_e32 v[197:198], v[2:3], v[36:37]
	v_mul_f64_e32 v[36:37], v[4:5], v[36:37]
	v_add_f64_e32 v[187:188], v[187:188], v[175:176]
	v_add_f64_e32 v[189:190], v[189:190], v[177:178]
	ds_load_b128 v[175:178], v1 offset:1216
	v_fma_f64 v[185:186], v[185:186], v[30:31], v[191:192]
	v_fma_f64 v[183:184], v[183:184], v[30:31], -v[32:33]
	scratch_load_b128 v[30:33], off, off offset:336
	v_add_f64_e32 v[187:188], v[187:188], v[195:196]
	v_add_f64_e32 v[189:190], v[189:190], v[193:194]
	v_fma_f64 v[195:196], v[4:5], v[34:35], v[197:198]
	v_fma_f64 v[197:198], v[2:3], v[34:35], -v[36:37]
	ds_load_b128 v[2:5], v1 offset:1232
	s_wait_loadcnt_dscnt 0x801
	v_mul_f64_e32 v[191:192], v[175:176], v[181:182]
	v_mul_f64_e32 v[193:194], v[177:178], v[181:182]
	scratch_load_b128 v[34:37], off, off offset:352
	v_add_f64_e32 v[187:188], v[187:188], v[183:184]
	v_add_f64_e32 v[185:186], v[189:190], v[185:186]
	ds_load_b128 v[181:184], v1 offset:1248
	v_fma_f64 v[191:192], v[177:178], v[179:180], v[191:192]
	v_fma_f64 v[179:180], v[175:176], v[179:180], -v[193:194]
	scratch_load_b128 v[175:178], off, off offset:368
	s_wait_loadcnt_dscnt 0x901
	v_mul_f64_e32 v[189:190], v[2:3], v[40:41]
	v_mul_f64_e32 v[40:41], v[4:5], v[40:41]
	v_add_f64_e32 v[187:188], v[187:188], v[197:198]
	v_add_f64_e32 v[185:186], v[185:186], v[195:196]
	s_delay_alu instid0(VALU_DEP_4) | instskip(NEXT) | instid1(VALU_DEP_4)
	v_fma_f64 v[189:190], v[4:5], v[38:39], v[189:190]
	v_fma_f64 v[195:196], v[2:3], v[38:39], -v[40:41]
	ds_load_b128 v[2:5], v1 offset:1264
	s_wait_loadcnt_dscnt 0x801
	v_mul_f64_e32 v[193:194], v[181:182], v[8:9]
	v_mul_f64_e32 v[8:9], v[183:184], v[8:9]
	scratch_load_b128 v[38:41], off, off offset:384
	s_wait_loadcnt_dscnt 0x800
	v_mul_f64_e32 v[197:198], v[2:3], v[12:13]
	v_add_f64_e32 v[179:180], v[187:188], v[179:180]
	v_add_f64_e32 v[191:192], v[185:186], v[191:192]
	v_mul_f64_e32 v[12:13], v[4:5], v[12:13]
	ds_load_b128 v[185:188], v1 offset:1280
	v_fma_f64 v[183:184], v[183:184], v[6:7], v[193:194]
	v_fma_f64 v[181:182], v[181:182], v[6:7], -v[8:9]
	scratch_load_b128 v[6:9], off, off offset:400
	v_fma_f64 v[193:194], v[4:5], v[10:11], v[197:198]
	v_add_f64_e32 v[179:180], v[179:180], v[195:196]
	v_add_f64_e32 v[189:190], v[191:192], v[189:190]
	v_fma_f64 v[195:196], v[2:3], v[10:11], -v[12:13]
	ds_load_b128 v[2:5], v1 offset:1296
	s_wait_loadcnt_dscnt 0x801
	v_mul_f64_e32 v[191:192], v[185:186], v[16:17]
	v_mul_f64_e32 v[16:17], v[187:188], v[16:17]
	scratch_load_b128 v[10:13], off, off offset:416
	v_add_f64_e32 v[197:198], v[179:180], v[181:182]
	v_add_f64_e32 v[183:184], v[189:190], v[183:184]
	s_wait_loadcnt_dscnt 0x800
	v_mul_f64_e32 v[189:190], v[2:3], v[20:21]
	v_mul_f64_e32 v[20:21], v[4:5], v[20:21]
	v_fma_f64 v[187:188], v[187:188], v[14:15], v[191:192]
	v_fma_f64 v[185:186], v[185:186], v[14:15], -v[16:17]
	ds_load_b128 v[179:182], v1 offset:1312
	scratch_load_b128 v[14:17], off, off offset:432
	v_add_f64_e32 v[191:192], v[197:198], v[195:196]
	v_add_f64_e32 v[183:184], v[183:184], v[193:194]
	v_fma_f64 v[189:190], v[4:5], v[18:19], v[189:190]
	v_fma_f64 v[195:196], v[2:3], v[18:19], -v[20:21]
	ds_load_b128 v[2:5], v1 offset:1328
	s_wait_loadcnt_dscnt 0x801
	v_mul_f64_e32 v[193:194], v[179:180], v[24:25]
	v_mul_f64_e32 v[24:25], v[181:182], v[24:25]
	scratch_load_b128 v[18:21], off, off offset:448
	s_wait_loadcnt_dscnt 0x800
	v_mul_f64_e32 v[197:198], v[2:3], v[28:29]
	v_mul_f64_e32 v[28:29], v[4:5], v[28:29]
	v_add_f64_e32 v[191:192], v[191:192], v[185:186]
	v_add_f64_e32 v[187:188], v[183:184], v[187:188]
	ds_load_b128 v[183:186], v1 offset:1344
	v_fma_f64 v[181:182], v[181:182], v[22:23], v[193:194]
	v_fma_f64 v[179:180], v[179:180], v[22:23], -v[24:25]
	scratch_load_b128 v[22:25], off, off offset:464
	v_fma_f64 v[193:194], v[4:5], v[26:27], v[197:198]
	v_add_f64_e32 v[191:192], v[191:192], v[195:196]
	v_add_f64_e32 v[187:188], v[187:188], v[189:190]
	v_fma_f64 v[195:196], v[2:3], v[26:27], -v[28:29]
	ds_load_b128 v[2:5], v1 offset:1360
	s_wait_loadcnt_dscnt 0x801
	v_mul_f64_e32 v[189:190], v[183:184], v[32:33]
	v_mul_f64_e32 v[32:33], v[185:186], v[32:33]
	scratch_load_b128 v[26:29], off, off offset:480
	s_wait_loadcnt_dscnt 0x800
	v_mul_f64_e32 v[197:198], v[2:3], v[36:37]
	v_mul_f64_e32 v[36:37], v[4:5], v[36:37]
	v_add_f64_e32 v[191:192], v[191:192], v[179:180]
	v_add_f64_e32 v[187:188], v[187:188], v[181:182]
	ds_load_b128 v[179:182], v1 offset:1376
	v_fma_f64 v[185:186], v[185:186], v[30:31], v[189:190]
	v_fma_f64 v[183:184], v[183:184], v[30:31], -v[32:33]
	scratch_load_b128 v[30:33], off, off offset:496
	v_add_f64_e32 v[189:190], v[191:192], v[195:196]
	v_add_f64_e32 v[187:188], v[187:188], v[193:194]
	v_fma_f64 v[193:194], v[4:5], v[34:35], v[197:198]
	v_fma_f64 v[195:196], v[2:3], v[34:35], -v[36:37]
	ds_load_b128 v[2:5], v1 offset:1392
	s_wait_loadcnt_dscnt 0x801
	v_mul_f64_e32 v[191:192], v[179:180], v[177:178]
	v_mul_f64_e32 v[177:178], v[181:182], v[177:178]
	scratch_load_b128 v[34:37], off, off offset:512
	s_wait_loadcnt_dscnt 0x800
	v_mul_f64_e32 v[197:198], v[2:3], v[40:41]
	v_mul_f64_e32 v[40:41], v[4:5], v[40:41]
	v_add_f64_e32 v[189:190], v[189:190], v[183:184]
	v_add_f64_e32 v[187:188], v[187:188], v[185:186]
	ds_load_b128 v[183:186], v1 offset:1408
	v_fma_f64 v[181:182], v[181:182], v[175:176], v[191:192]
	v_fma_f64 v[179:180], v[179:180], v[175:176], -v[177:178]
	scratch_load_b128 v[175:178], off, off offset:528
	v_add_f64_e32 v[189:190], v[189:190], v[195:196]
	v_add_f64_e32 v[187:188], v[187:188], v[193:194]
	v_fma_f64 v[193:194], v[4:5], v[38:39], v[197:198]
	;; [unrolled: 18-line block ×6, first 2 shown]
	v_fma_f64 v[197:198], v[2:3], v[34:35], -v[36:37]
	ds_load_b128 v[2:5], v1 offset:1552
	s_wait_loadcnt_dscnt 0x801
	v_mul_f64_e32 v[191:192], v[183:184], v[177:178]
	v_mul_f64_e32 v[193:194], v[185:186], v[177:178]
	scratch_load_b128 v[34:37], off, off offset:672
	v_add_f64_e32 v[189:190], v[189:190], v[179:180]
	v_add_f64_e32 v[181:182], v[187:188], v[181:182]
	s_wait_loadcnt_dscnt 0x800
	v_mul_f64_e32 v[187:188], v[2:3], v[40:41]
	v_mul_f64_e32 v[40:41], v[4:5], v[40:41]
	ds_load_b128 v[177:180], v1 offset:1568
	v_fma_f64 v[185:186], v[185:186], v[175:176], v[191:192]
	v_fma_f64 v[175:176], v[183:184], v[175:176], -v[193:194]
	v_add_f64_e32 v[189:190], v[189:190], v[197:198]
	v_add_f64_e32 v[191:192], v[181:182], v[195:196]
	scratch_load_b128 v[181:184], off, off offset:688
	v_fma_f64 v[195:196], v[4:5], v[38:39], v[187:188]
	v_fma_f64 v[197:198], v[2:3], v[38:39], -v[40:41]
	ds_load_b128 v[2:5], v1 offset:1584
	s_wait_loadcnt_dscnt 0x801
	v_mul_f64_e32 v[193:194], v[177:178], v[8:9]
	v_mul_f64_e32 v[8:9], v[179:180], v[8:9]
	scratch_load_b128 v[38:41], off, off offset:704
	v_add_f64_e32 v[175:176], v[189:190], v[175:176]
	v_add_f64_e32 v[189:190], v[191:192], v[185:186]
	s_wait_loadcnt_dscnt 0x800
	v_mul_f64_e32 v[191:192], v[2:3], v[12:13]
	v_mul_f64_e32 v[12:13], v[4:5], v[12:13]
	ds_load_b128 v[185:188], v1 offset:1600
	v_fma_f64 v[179:180], v[179:180], v[6:7], v[193:194]
	v_fma_f64 v[177:178], v[177:178], v[6:7], -v[8:9]
	scratch_load_b128 v[6:9], off, off offset:720
	v_add_f64_e32 v[175:176], v[175:176], v[197:198]
	v_add_f64_e32 v[189:190], v[189:190], v[195:196]
	v_fma_f64 v[191:192], v[4:5], v[10:11], v[191:192]
	v_fma_f64 v[195:196], v[2:3], v[10:11], -v[12:13]
	ds_load_b128 v[2:5], v1 offset:1616
	s_wait_loadcnt_dscnt 0x801
	v_mul_f64_e32 v[193:194], v[185:186], v[16:17]
	v_mul_f64_e32 v[16:17], v[187:188], v[16:17]
	scratch_load_b128 v[10:13], off, off offset:736
	v_add_f64_e32 v[197:198], v[175:176], v[177:178]
	v_add_f64_e32 v[179:180], v[189:190], v[179:180]
	s_wait_loadcnt_dscnt 0x800
	v_mul_f64_e32 v[189:190], v[2:3], v[20:21]
	v_mul_f64_e32 v[20:21], v[4:5], v[20:21]
	ds_load_b128 v[175:178], v1 offset:1632
	v_fma_f64 v[187:188], v[187:188], v[14:15], v[193:194]
	v_fma_f64 v[185:186], v[185:186], v[14:15], -v[16:17]
	scratch_load_b128 v[14:17], off, off offset:752
	v_add_f64_e32 v[193:194], v[197:198], v[195:196]
	v_add_f64_e32 v[179:180], v[179:180], v[191:192]
	v_fma_f64 v[189:190], v[4:5], v[18:19], v[189:190]
	v_fma_f64 v[195:196], v[2:3], v[18:19], -v[20:21]
	ds_load_b128 v[2:5], v1 offset:1648
	s_wait_loadcnt_dscnt 0x801
	v_mul_f64_e32 v[191:192], v[175:176], v[24:25]
	v_mul_f64_e32 v[24:25], v[177:178], v[24:25]
	scratch_load_b128 v[18:21], off, off offset:768
	s_wait_loadcnt_dscnt 0x800
	v_mul_f64_e32 v[197:198], v[2:3], v[28:29]
	v_mul_f64_e32 v[28:29], v[4:5], v[28:29]
	v_add_f64_e32 v[193:194], v[193:194], v[185:186]
	v_add_f64_e32 v[179:180], v[179:180], v[187:188]
	ds_load_b128 v[185:188], v1 offset:1664
	v_fma_f64 v[177:178], v[177:178], v[22:23], v[191:192]
	v_fma_f64 v[175:176], v[175:176], v[22:23], -v[24:25]
	scratch_load_b128 v[22:25], off, off offset:784
	v_add_f64_e32 v[191:192], v[193:194], v[195:196]
	v_add_f64_e32 v[179:180], v[179:180], v[189:190]
	v_fma_f64 v[193:194], v[4:5], v[26:27], v[197:198]
	v_fma_f64 v[195:196], v[2:3], v[26:27], -v[28:29]
	ds_load_b128 v[2:5], v1 offset:1680
	s_wait_loadcnt_dscnt 0x801
	v_mul_f64_e32 v[189:190], v[185:186], v[32:33]
	v_mul_f64_e32 v[32:33], v[187:188], v[32:33]
	scratch_load_b128 v[26:29], off, off offset:800
	s_wait_loadcnt_dscnt 0x800
	v_mul_f64_e32 v[197:198], v[2:3], v[36:37]
	v_mul_f64_e32 v[36:37], v[4:5], v[36:37]
	v_add_f64_e32 v[191:192], v[191:192], v[175:176]
	v_add_f64_e32 v[179:180], v[179:180], v[177:178]
	ds_load_b128 v[175:178], v1 offset:1696
	v_fma_f64 v[187:188], v[187:188], v[30:31], v[189:190]
	v_fma_f64 v[185:186], v[185:186], v[30:31], -v[32:33]
	scratch_load_b128 v[30:33], off, off offset:816
	v_add_f64_e32 v[189:190], v[191:192], v[195:196]
	v_add_f64_e32 v[179:180], v[179:180], v[193:194]
	v_fma_f64 v[195:196], v[4:5], v[34:35], v[197:198]
	v_fma_f64 v[197:198], v[2:3], v[34:35], -v[36:37]
	ds_load_b128 v[2:5], v1 offset:1712
	scratch_load_b128 v[34:37], off, off offset:832
	s_wait_loadcnt_dscnt 0x901
	v_mul_f64_e32 v[191:192], v[175:176], v[183:184]
	v_mul_f64_e32 v[193:194], v[177:178], v[183:184]
	v_add_f64_e32 v[189:190], v[189:190], v[185:186]
	v_add_f64_e32 v[179:180], v[179:180], v[187:188]
	s_wait_loadcnt_dscnt 0x800
	v_mul_f64_e32 v[187:188], v[2:3], v[40:41]
	v_mul_f64_e32 v[40:41], v[4:5], v[40:41]
	ds_load_b128 v[183:186], v1 offset:1728
	v_fma_f64 v[191:192], v[177:178], v[181:182], v[191:192]
	v_fma_f64 v[181:182], v[175:176], v[181:182], -v[193:194]
	scratch_load_b128 v[175:178], off, off offset:848
	v_add_f64_e32 v[189:190], v[189:190], v[197:198]
	v_add_f64_e32 v[179:180], v[179:180], v[195:196]
	v_fma_f64 v[187:188], v[4:5], v[38:39], v[187:188]
	v_fma_f64 v[195:196], v[2:3], v[38:39], -v[40:41]
	ds_load_b128 v[2:5], v1 offset:1744
	s_wait_loadcnt_dscnt 0x801
	v_mul_f64_e32 v[193:194], v[183:184], v[8:9]
	v_mul_f64_e32 v[8:9], v[185:186], v[8:9]
	scratch_load_b128 v[38:41], off, off offset:864
	s_wait_loadcnt_dscnt 0x800
	v_mul_f64_e32 v[197:198], v[2:3], v[12:13]
	v_mul_f64_e32 v[12:13], v[4:5], v[12:13]
	v_add_f64_e32 v[189:190], v[189:190], v[181:182]
	v_add_f64_e32 v[191:192], v[179:180], v[191:192]
	ds_load_b128 v[179:182], v1 offset:1760
	v_fma_f64 v[185:186], v[185:186], v[6:7], v[193:194]
	v_fma_f64 v[183:184], v[183:184], v[6:7], -v[8:9]
	scratch_load_b128 v[6:9], off, off offset:880
	v_fma_f64 v[193:194], v[4:5], v[10:11], v[197:198]
	v_add_f64_e32 v[189:190], v[189:190], v[195:196]
	v_add_f64_e32 v[187:188], v[191:192], v[187:188]
	v_fma_f64 v[195:196], v[2:3], v[10:11], -v[12:13]
	ds_load_b128 v[2:5], v1 offset:1776
	s_wait_loadcnt_dscnt 0x801
	v_mul_f64_e32 v[191:192], v[179:180], v[16:17]
	v_mul_f64_e32 v[16:17], v[181:182], v[16:17]
	scratch_load_b128 v[10:13], off, off offset:896
	s_wait_loadcnt_dscnt 0x800
	v_mul_f64_e32 v[197:198], v[2:3], v[20:21]
	v_mul_f64_e32 v[20:21], v[4:5], v[20:21]
	v_add_f64_e32 v[189:190], v[189:190], v[183:184]
	v_add_f64_e32 v[187:188], v[187:188], v[185:186]
	ds_load_b128 v[183:186], v1 offset:1792
	v_fma_f64 v[181:182], v[181:182], v[14:15], v[191:192]
	v_fma_f64 v[179:180], v[179:180], v[14:15], -v[16:17]
	scratch_load_b128 v[14:17], off, off offset:912
	v_add_f64_e32 v[189:190], v[189:190], v[195:196]
	v_add_f64_e32 v[187:188], v[187:188], v[193:194]
	v_fma_f64 v[193:194], v[4:5], v[18:19], v[197:198]
	v_fma_f64 v[195:196], v[2:3], v[18:19], -v[20:21]
	ds_load_b128 v[2:5], v1 offset:1808
	s_wait_loadcnt_dscnt 0x801
	v_mul_f64_e32 v[191:192], v[183:184], v[24:25]
	v_mul_f64_e32 v[24:25], v[185:186], v[24:25]
	scratch_load_b128 v[18:21], off, off offset:928
	s_wait_loadcnt_dscnt 0x800
	v_mul_f64_e32 v[197:198], v[2:3], v[28:29]
	v_mul_f64_e32 v[28:29], v[4:5], v[28:29]
	v_add_f64_e32 v[189:190], v[189:190], v[179:180]
	v_add_f64_e32 v[187:188], v[187:188], v[181:182]
	ds_load_b128 v[179:182], v1 offset:1824
	v_fma_f64 v[185:186], v[185:186], v[22:23], v[191:192]
	v_fma_f64 v[183:184], v[183:184], v[22:23], -v[24:25]
	scratch_load_b128 v[22:25], off, off offset:944
	v_add_f64_e32 v[189:190], v[189:190], v[195:196]
	v_add_f64_e32 v[187:188], v[187:188], v[193:194]
	v_fma_f64 v[193:194], v[4:5], v[26:27], v[197:198]
	;; [unrolled: 18-line block ×3, first 2 shown]
	v_fma_f64 v[197:198], v[2:3], v[34:35], -v[36:37]
	ds_load_b128 v[2:5], v1 offset:1872
	s_wait_loadcnt_dscnt 0x801
	v_mul_f64_e32 v[191:192], v[183:184], v[177:178]
	v_mul_f64_e32 v[193:194], v[185:186], v[177:178]
	scratch_load_b128 v[34:37], off, off offset:992
	v_add_f64_e32 v[189:190], v[189:190], v[179:180]
	v_add_f64_e32 v[181:182], v[187:188], v[181:182]
	s_wait_loadcnt_dscnt 0x800
	v_mul_f64_e32 v[187:188], v[2:3], v[40:41]
	v_mul_f64_e32 v[40:41], v[4:5], v[40:41]
	ds_load_b128 v[177:180], v1 offset:1888
	v_fma_f64 v[185:186], v[185:186], v[175:176], v[191:192]
	v_fma_f64 v[175:176], v[183:184], v[175:176], -v[193:194]
	v_add_f64_e32 v[189:190], v[189:190], v[197:198]
	v_add_f64_e32 v[191:192], v[181:182], v[195:196]
	scratch_load_b128 v[181:184], off, off offset:1008
	v_fma_f64 v[195:196], v[4:5], v[38:39], v[187:188]
	v_fma_f64 v[197:198], v[2:3], v[38:39], -v[40:41]
	ds_load_b128 v[2:5], v1 offset:1904
	s_wait_loadcnt_dscnt 0x801
	v_mul_f64_e32 v[193:194], v[177:178], v[8:9]
	v_mul_f64_e32 v[8:9], v[179:180], v[8:9]
	scratch_load_b128 v[38:41], off, off offset:1024
	v_add_f64_e32 v[175:176], v[189:190], v[175:176]
	v_add_f64_e32 v[189:190], v[191:192], v[185:186]
	s_wait_loadcnt_dscnt 0x800
	v_mul_f64_e32 v[191:192], v[2:3], v[12:13]
	v_mul_f64_e32 v[12:13], v[4:5], v[12:13]
	ds_load_b128 v[185:188], v1 offset:1920
	v_fma_f64 v[179:180], v[179:180], v[6:7], v[193:194]
	v_fma_f64 v[6:7], v[177:178], v[6:7], -v[8:9]
	s_wait_loadcnt_dscnt 0x700
	v_mul_f64_e32 v[177:178], v[185:186], v[16:17]
	v_mul_f64_e32 v[16:17], v[187:188], v[16:17]
	v_add_f64_e32 v[8:9], v[175:176], v[197:198]
	v_add_f64_e32 v[175:176], v[189:190], v[195:196]
	v_fma_f64 v[189:190], v[4:5], v[10:11], v[191:192]
	v_fma_f64 v[10:11], v[2:3], v[10:11], -v[12:13]
	v_fma_f64 v[177:178], v[187:188], v[14:15], v[177:178]
	v_fma_f64 v[14:15], v[185:186], v[14:15], -v[16:17]
	v_add_f64_e32 v[12:13], v[8:9], v[6:7]
	v_add_f64_e32 v[175:176], v[175:176], v[179:180]
	ds_load_b128 v[2:5], v1 offset:1936
	ds_load_b128 v[6:9], v1 offset:1952
	s_wait_loadcnt_dscnt 0x601
	v_mul_f64_e32 v[179:180], v[2:3], v[20:21]
	v_mul_f64_e32 v[20:21], v[4:5], v[20:21]
	s_wait_loadcnt_dscnt 0x500
	v_mul_f64_e32 v[16:17], v[6:7], v[24:25]
	v_mul_f64_e32 v[24:25], v[8:9], v[24:25]
	v_add_f64_e32 v[10:11], v[12:13], v[10:11]
	v_add_f64_e32 v[12:13], v[175:176], v[189:190]
	v_fma_f64 v[175:176], v[4:5], v[18:19], v[179:180]
	v_fma_f64 v[18:19], v[2:3], v[18:19], -v[20:21]
	v_fma_f64 v[8:9], v[8:9], v[22:23], v[16:17]
	v_fma_f64 v[6:7], v[6:7], v[22:23], -v[24:25]
	v_add_f64_e32 v[14:15], v[10:11], v[14:15]
	v_add_f64_e32 v[20:21], v[12:13], v[177:178]
	ds_load_b128 v[2:5], v1 offset:1968
	ds_load_b128 v[10:13], v1 offset:1984
	s_wait_loadcnt_dscnt 0x401
	v_mul_f64_e32 v[177:178], v[2:3], v[28:29]
	v_mul_f64_e32 v[28:29], v[4:5], v[28:29]
	v_add_f64_e32 v[14:15], v[14:15], v[18:19]
	v_add_f64_e32 v[16:17], v[20:21], v[175:176]
	s_wait_loadcnt_dscnt 0x300
	v_mul_f64_e32 v[18:19], v[10:11], v[32:33]
	v_mul_f64_e32 v[20:21], v[12:13], v[32:33]
	v_fma_f64 v[22:23], v[4:5], v[26:27], v[177:178]
	v_fma_f64 v[24:25], v[2:3], v[26:27], -v[28:29]
	v_add_f64_e32 v[14:15], v[14:15], v[6:7]
	v_add_f64_e32 v[16:17], v[16:17], v[8:9]
	ds_load_b128 v[2:5], v1 offset:2000
	ds_load_b128 v[6:9], v1 offset:2016
	v_fma_f64 v[12:13], v[12:13], v[30:31], v[18:19]
	v_fma_f64 v[10:11], v[10:11], v[30:31], -v[20:21]
	s_wait_loadcnt_dscnt 0x201
	v_mul_f64_e32 v[26:27], v[2:3], v[36:37]
	v_mul_f64_e32 v[28:29], v[4:5], v[36:37]
	v_add_f64_e32 v[14:15], v[14:15], v[24:25]
	v_add_f64_e32 v[16:17], v[16:17], v[22:23]
	s_wait_loadcnt_dscnt 0x100
	v_mul_f64_e32 v[18:19], v[6:7], v[183:184]
	v_mul_f64_e32 v[20:21], v[8:9], v[183:184]
	v_fma_f64 v[22:23], v[4:5], v[34:35], v[26:27]
	v_fma_f64 v[24:25], v[2:3], v[34:35], -v[28:29]
	ds_load_b128 v[2:5], v1 offset:2032
	v_add_f64_e32 v[10:11], v[14:15], v[10:11]
	v_add_f64_e32 v[12:13], v[16:17], v[12:13]
	s_wait_loadcnt_dscnt 0x0
	v_mul_f64_e32 v[14:15], v[2:3], v[40:41]
	v_mul_f64_e32 v[16:17], v[4:5], v[40:41]
	v_fma_f64 v[8:9], v[8:9], v[181:182], v[18:19]
	v_fma_f64 v[6:7], v[6:7], v[181:182], -v[20:21]
	v_add_f64_e32 v[10:11], v[10:11], v[24:25]
	v_add_f64_e32 v[12:13], v[12:13], v[22:23]
	v_fma_f64 v[4:5], v[4:5], v[38:39], v[14:15]
	v_fma_f64 v[2:3], v[2:3], v[38:39], -v[16:17]
	s_delay_alu instid0(VALU_DEP_4) | instskip(NEXT) | instid1(VALU_DEP_4)
	v_add_f64_e32 v[6:7], v[10:11], v[6:7]
	v_add_f64_e32 v[8:9], v[12:13], v[8:9]
	s_delay_alu instid0(VALU_DEP_2) | instskip(NEXT) | instid1(VALU_DEP_2)
	v_add_f64_e32 v[2:3], v[6:7], v[2:3]
	v_add_f64_e32 v[4:5], v[8:9], v[4:5]
	s_delay_alu instid0(VALU_DEP_2) | instskip(NEXT) | instid1(VALU_DEP_2)
	v_add_f64_e64 v[2:3], v[42:43], -v[2:3]
	v_add_f64_e64 v[4:5], v[44:45], -v[4:5]
	scratch_store_b128 off, v[2:5], off offset:48
	v_cmpx_lt_u32_e32 1, v0
	s_cbranch_execz .LBB63_407
; %bb.406:
	scratch_load_b128 v[5:8], off, s58
	v_dual_mov_b32 v2, v1 :: v_dual_mov_b32 v3, v1
	v_mov_b32_e32 v4, v1
	scratch_store_b128 off, v[1:4], off offset:32
	s_wait_loadcnt 0x0
	ds_store_b128 v174, v[5:8]
.LBB63_407:
	s_wait_alu 0xfffe
	s_or_b32 exec_lo, exec_lo, s0
	s_wait_storecnt_dscnt 0x0
	s_barrier_signal -1
	s_barrier_wait -1
	global_inv scope:SCOPE_SE
	s_clause 0x8
	scratch_load_b128 v[2:5], off, off offset:48
	scratch_load_b128 v[6:9], off, off offset:64
	;; [unrolled: 1-line block ×9, first 2 shown]
	ds_load_b128 v[42:45], v1 offset:1056
	ds_load_b128 v[38:41], v1 offset:1072
	s_clause 0x1
	scratch_load_b128 v[175:178], off, off offset:32
	scratch_load_b128 v[179:182], off, off offset:192
	s_mov_b32 s0, exec_lo
	s_wait_loadcnt_dscnt 0xa01
	v_mul_f64_e32 v[183:184], v[44:45], v[4:5]
	v_mul_f64_e32 v[4:5], v[42:43], v[4:5]
	s_wait_loadcnt_dscnt 0x900
	v_mul_f64_e32 v[187:188], v[38:39], v[8:9]
	v_mul_f64_e32 v[8:9], v[40:41], v[8:9]
	s_delay_alu instid0(VALU_DEP_4) | instskip(NEXT) | instid1(VALU_DEP_4)
	v_fma_f64 v[189:190], v[42:43], v[2:3], -v[183:184]
	v_fma_f64 v[191:192], v[44:45], v[2:3], v[4:5]
	ds_load_b128 v[2:5], v1 offset:1088
	ds_load_b128 v[183:186], v1 offset:1104
	scratch_load_b128 v[42:45], off, off offset:208
	v_fma_f64 v[40:41], v[40:41], v[6:7], v[187:188]
	v_fma_f64 v[38:39], v[38:39], v[6:7], -v[8:9]
	scratch_load_b128 v[6:9], off, off offset:224
	s_wait_loadcnt_dscnt 0xa01
	v_mul_f64_e32 v[193:194], v[2:3], v[12:13]
	v_mul_f64_e32 v[12:13], v[4:5], v[12:13]
	v_add_f64_e32 v[187:188], 0, v[189:190]
	v_add_f64_e32 v[189:190], 0, v[191:192]
	s_wait_loadcnt_dscnt 0x900
	v_mul_f64_e32 v[191:192], v[183:184], v[16:17]
	v_mul_f64_e32 v[16:17], v[185:186], v[16:17]
	v_fma_f64 v[193:194], v[4:5], v[10:11], v[193:194]
	v_fma_f64 v[195:196], v[2:3], v[10:11], -v[12:13]
	ds_load_b128 v[2:5], v1 offset:1120
	scratch_load_b128 v[10:13], off, off offset:240
	v_add_f64_e32 v[187:188], v[187:188], v[38:39]
	v_add_f64_e32 v[189:190], v[189:190], v[40:41]
	ds_load_b128 v[38:41], v1 offset:1136
	v_fma_f64 v[185:186], v[185:186], v[14:15], v[191:192]
	v_fma_f64 v[183:184], v[183:184], v[14:15], -v[16:17]
	scratch_load_b128 v[14:17], off, off offset:256
	s_wait_loadcnt_dscnt 0xa01
	v_mul_f64_e32 v[197:198], v[2:3], v[20:21]
	v_mul_f64_e32 v[20:21], v[4:5], v[20:21]
	s_wait_loadcnt_dscnt 0x900
	v_mul_f64_e32 v[191:192], v[38:39], v[24:25]
	v_mul_f64_e32 v[24:25], v[40:41], v[24:25]
	v_add_f64_e32 v[187:188], v[187:188], v[195:196]
	v_add_f64_e32 v[189:190], v[189:190], v[193:194]
	v_fma_f64 v[193:194], v[4:5], v[18:19], v[197:198]
	v_fma_f64 v[195:196], v[2:3], v[18:19], -v[20:21]
	ds_load_b128 v[2:5], v1 offset:1152
	scratch_load_b128 v[18:21], off, off offset:272
	v_fma_f64 v[40:41], v[40:41], v[22:23], v[191:192]
	v_fma_f64 v[38:39], v[38:39], v[22:23], -v[24:25]
	scratch_load_b128 v[22:25], off, off offset:288
	v_add_f64_e32 v[187:188], v[187:188], v[183:184]
	v_add_f64_e32 v[189:190], v[189:190], v[185:186]
	ds_load_b128 v[183:186], v1 offset:1168
	s_wait_loadcnt_dscnt 0xa01
	v_mul_f64_e32 v[197:198], v[2:3], v[28:29]
	v_mul_f64_e32 v[28:29], v[4:5], v[28:29]
	s_wait_loadcnt_dscnt 0x900
	v_mul_f64_e32 v[191:192], v[183:184], v[32:33]
	v_mul_f64_e32 v[32:33], v[185:186], v[32:33]
	v_add_f64_e32 v[187:188], v[187:188], v[195:196]
	v_add_f64_e32 v[189:190], v[189:190], v[193:194]
	v_fma_f64 v[193:194], v[4:5], v[26:27], v[197:198]
	v_fma_f64 v[195:196], v[2:3], v[26:27], -v[28:29]
	ds_load_b128 v[2:5], v1 offset:1184
	scratch_load_b128 v[26:29], off, off offset:304
	v_fma_f64 v[185:186], v[185:186], v[30:31], v[191:192]
	v_fma_f64 v[183:184], v[183:184], v[30:31], -v[32:33]
	scratch_load_b128 v[30:33], off, off offset:320
	v_add_f64_e32 v[187:188], v[187:188], v[38:39]
	v_add_f64_e32 v[189:190], v[189:190], v[40:41]
	ds_load_b128 v[38:41], v1 offset:1200
	s_wait_loadcnt_dscnt 0xa01
	v_mul_f64_e32 v[197:198], v[2:3], v[36:37]
	v_mul_f64_e32 v[36:37], v[4:5], v[36:37]
	s_wait_loadcnt_dscnt 0x800
	v_mul_f64_e32 v[191:192], v[38:39], v[181:182]
	v_add_f64_e32 v[187:188], v[187:188], v[195:196]
	v_add_f64_e32 v[189:190], v[189:190], v[193:194]
	v_mul_f64_e32 v[193:194], v[40:41], v[181:182]
	v_fma_f64 v[195:196], v[4:5], v[34:35], v[197:198]
	v_fma_f64 v[197:198], v[2:3], v[34:35], -v[36:37]
	ds_load_b128 v[2:5], v1 offset:1216
	scratch_load_b128 v[34:37], off, off offset:336
	v_fma_f64 v[191:192], v[40:41], v[179:180], v[191:192]
	v_add_f64_e32 v[187:188], v[187:188], v[183:184]
	v_add_f64_e32 v[185:186], v[189:190], v[185:186]
	ds_load_b128 v[181:184], v1 offset:1232
	v_fma_f64 v[179:180], v[38:39], v[179:180], -v[193:194]
	scratch_load_b128 v[38:41], off, off offset:352
	s_wait_loadcnt_dscnt 0x901
	v_mul_f64_e32 v[189:190], v[2:3], v[44:45]
	v_mul_f64_e32 v[44:45], v[4:5], v[44:45]
	s_wait_loadcnt_dscnt 0x800
	v_mul_f64_e32 v[193:194], v[181:182], v[8:9]
	v_mul_f64_e32 v[8:9], v[183:184], v[8:9]
	v_add_f64_e32 v[187:188], v[187:188], v[197:198]
	v_add_f64_e32 v[185:186], v[185:186], v[195:196]
	v_fma_f64 v[189:190], v[4:5], v[42:43], v[189:190]
	v_fma_f64 v[195:196], v[2:3], v[42:43], -v[44:45]
	ds_load_b128 v[2:5], v1 offset:1248
	scratch_load_b128 v[42:45], off, off offset:368
	v_fma_f64 v[183:184], v[183:184], v[6:7], v[193:194]
	v_fma_f64 v[181:182], v[181:182], v[6:7], -v[8:9]
	scratch_load_b128 v[6:9], off, off offset:384
	v_add_f64_e32 v[179:180], v[187:188], v[179:180]
	v_add_f64_e32 v[191:192], v[185:186], v[191:192]
	ds_load_b128 v[185:188], v1 offset:1264
	s_wait_loadcnt_dscnt 0x901
	v_mul_f64_e32 v[197:198], v[2:3], v[12:13]
	v_mul_f64_e32 v[12:13], v[4:5], v[12:13]
	v_add_f64_e32 v[179:180], v[179:180], v[195:196]
	v_add_f64_e32 v[189:190], v[191:192], v[189:190]
	s_wait_loadcnt_dscnt 0x800
	v_mul_f64_e32 v[191:192], v[185:186], v[16:17]
	v_mul_f64_e32 v[16:17], v[187:188], v[16:17]
	v_fma_f64 v[193:194], v[4:5], v[10:11], v[197:198]
	v_fma_f64 v[195:196], v[2:3], v[10:11], -v[12:13]
	ds_load_b128 v[2:5], v1 offset:1280
	scratch_load_b128 v[10:13], off, off offset:400
	v_add_f64_e32 v[197:198], v[179:180], v[181:182]
	v_add_f64_e32 v[183:184], v[189:190], v[183:184]
	ds_load_b128 v[179:182], v1 offset:1296
	s_wait_loadcnt_dscnt 0x801
	v_mul_f64_e32 v[189:190], v[2:3], v[20:21]
	v_mul_f64_e32 v[20:21], v[4:5], v[20:21]
	v_fma_f64 v[187:188], v[187:188], v[14:15], v[191:192]
	v_fma_f64 v[185:186], v[185:186], v[14:15], -v[16:17]
	scratch_load_b128 v[14:17], off, off offset:416
	v_add_f64_e32 v[191:192], v[197:198], v[195:196]
	v_add_f64_e32 v[183:184], v[183:184], v[193:194]
	s_wait_loadcnt_dscnt 0x800
	v_mul_f64_e32 v[193:194], v[179:180], v[24:25]
	v_mul_f64_e32 v[24:25], v[181:182], v[24:25]
	v_fma_f64 v[189:190], v[4:5], v[18:19], v[189:190]
	v_fma_f64 v[195:196], v[2:3], v[18:19], -v[20:21]
	ds_load_b128 v[2:5], v1 offset:1312
	scratch_load_b128 v[18:21], off, off offset:432
	v_add_f64_e32 v[191:192], v[191:192], v[185:186]
	v_add_f64_e32 v[187:188], v[183:184], v[187:188]
	ds_load_b128 v[183:186], v1 offset:1328
	s_wait_loadcnt_dscnt 0x801
	v_mul_f64_e32 v[197:198], v[2:3], v[28:29]
	v_mul_f64_e32 v[28:29], v[4:5], v[28:29]
	v_fma_f64 v[181:182], v[181:182], v[22:23], v[193:194]
	v_fma_f64 v[179:180], v[179:180], v[22:23], -v[24:25]
	scratch_load_b128 v[22:25], off, off offset:448
	;; [unrolled: 18-line block ×4, first 2 shown]
	s_wait_loadcnt_dscnt 0x800
	v_mul_f64_e32 v[191:192], v[183:184], v[8:9]
	v_mul_f64_e32 v[8:9], v[185:186], v[8:9]
	v_add_f64_e32 v[189:190], v[189:190], v[195:196]
	v_add_f64_e32 v[187:188], v[187:188], v[193:194]
	v_fma_f64 v[193:194], v[4:5], v[42:43], v[197:198]
	v_fma_f64 v[195:196], v[2:3], v[42:43], -v[44:45]
	ds_load_b128 v[2:5], v1 offset:1408
	scratch_load_b128 v[42:45], off, off offset:528
	v_fma_f64 v[185:186], v[185:186], v[6:7], v[191:192]
	v_fma_f64 v[183:184], v[183:184], v[6:7], -v[8:9]
	scratch_load_b128 v[6:9], off, off offset:544
	v_add_f64_e32 v[189:190], v[189:190], v[179:180]
	v_add_f64_e32 v[187:188], v[187:188], v[181:182]
	ds_load_b128 v[179:182], v1 offset:1424
	s_wait_loadcnt_dscnt 0x901
	v_mul_f64_e32 v[197:198], v[2:3], v[12:13]
	v_mul_f64_e32 v[12:13], v[4:5], v[12:13]
	s_wait_loadcnt_dscnt 0x800
	v_mul_f64_e32 v[191:192], v[179:180], v[16:17]
	v_mul_f64_e32 v[16:17], v[181:182], v[16:17]
	v_add_f64_e32 v[189:190], v[189:190], v[195:196]
	v_add_f64_e32 v[187:188], v[187:188], v[193:194]
	v_fma_f64 v[193:194], v[4:5], v[10:11], v[197:198]
	v_fma_f64 v[195:196], v[2:3], v[10:11], -v[12:13]
	ds_load_b128 v[2:5], v1 offset:1440
	scratch_load_b128 v[10:13], off, off offset:560
	v_fma_f64 v[181:182], v[181:182], v[14:15], v[191:192]
	v_fma_f64 v[179:180], v[179:180], v[14:15], -v[16:17]
	scratch_load_b128 v[14:17], off, off offset:576
	v_add_f64_e32 v[189:190], v[189:190], v[183:184]
	v_add_f64_e32 v[187:188], v[187:188], v[185:186]
	ds_load_b128 v[183:186], v1 offset:1456
	s_wait_loadcnt_dscnt 0x901
	v_mul_f64_e32 v[197:198], v[2:3], v[20:21]
	v_mul_f64_e32 v[20:21], v[4:5], v[20:21]
	;; [unrolled: 18-line block ×16, first 2 shown]
	s_wait_loadcnt_dscnt 0x800
	v_mul_f64_e32 v[191:192], v[183:184], v[16:17]
	v_mul_f64_e32 v[16:17], v[185:186], v[16:17]
	v_add_f64_e32 v[189:190], v[189:190], v[195:196]
	v_add_f64_e32 v[187:188], v[187:188], v[193:194]
	v_fma_f64 v[193:194], v[4:5], v[10:11], v[197:198]
	v_fma_f64 v[195:196], v[2:3], v[10:11], -v[12:13]
	ds_load_b128 v[2:5], v1 offset:1920
	ds_load_b128 v[10:13], v1 offset:1936
	v_fma_f64 v[185:186], v[185:186], v[14:15], v[191:192]
	v_fma_f64 v[14:15], v[183:184], v[14:15], -v[16:17]
	v_add_f64_e32 v[179:180], v[189:190], v[179:180]
	v_add_f64_e32 v[181:182], v[187:188], v[181:182]
	s_wait_loadcnt_dscnt 0x701
	v_mul_f64_e32 v[187:188], v[2:3], v[20:21]
	v_mul_f64_e32 v[20:21], v[4:5], v[20:21]
	s_delay_alu instid0(VALU_DEP_4) | instskip(NEXT) | instid1(VALU_DEP_4)
	v_add_f64_e32 v[16:17], v[179:180], v[195:196]
	v_add_f64_e32 v[179:180], v[181:182], v[193:194]
	s_wait_loadcnt_dscnt 0x600
	v_mul_f64_e32 v[181:182], v[10:11], v[24:25]
	v_mul_f64_e32 v[24:25], v[12:13], v[24:25]
	v_fma_f64 v[183:184], v[4:5], v[18:19], v[187:188]
	v_fma_f64 v[18:19], v[2:3], v[18:19], -v[20:21]
	v_add_f64_e32 v[20:21], v[16:17], v[14:15]
	v_add_f64_e32 v[179:180], v[179:180], v[185:186]
	ds_load_b128 v[2:5], v1 offset:1952
	ds_load_b128 v[14:17], v1 offset:1968
	v_fma_f64 v[12:13], v[12:13], v[22:23], v[181:182]
	v_fma_f64 v[10:11], v[10:11], v[22:23], -v[24:25]
	s_wait_loadcnt_dscnt 0x501
	v_mul_f64_e32 v[185:186], v[2:3], v[28:29]
	v_mul_f64_e32 v[28:29], v[4:5], v[28:29]
	s_wait_loadcnt_dscnt 0x400
	v_mul_f64_e32 v[22:23], v[14:15], v[32:33]
	v_mul_f64_e32 v[24:25], v[16:17], v[32:33]
	v_add_f64_e32 v[18:19], v[20:21], v[18:19]
	v_add_f64_e32 v[20:21], v[179:180], v[183:184]
	v_fma_f64 v[32:33], v[4:5], v[26:27], v[185:186]
	v_fma_f64 v[26:27], v[2:3], v[26:27], -v[28:29]
	v_fma_f64 v[16:17], v[16:17], v[30:31], v[22:23]
	v_fma_f64 v[14:15], v[14:15], v[30:31], -v[24:25]
	v_add_f64_e32 v[18:19], v[18:19], v[10:11]
	v_add_f64_e32 v[20:21], v[20:21], v[12:13]
	ds_load_b128 v[2:5], v1 offset:1984
	ds_load_b128 v[10:13], v1 offset:2000
	s_wait_loadcnt_dscnt 0x301
	v_mul_f64_e32 v[28:29], v[2:3], v[36:37]
	v_mul_f64_e32 v[36:37], v[4:5], v[36:37]
	s_wait_loadcnt_dscnt 0x200
	v_mul_f64_e32 v[22:23], v[10:11], v[40:41]
	v_mul_f64_e32 v[24:25], v[12:13], v[40:41]
	v_add_f64_e32 v[18:19], v[18:19], v[26:27]
	v_add_f64_e32 v[20:21], v[20:21], v[32:33]
	v_fma_f64 v[26:27], v[4:5], v[34:35], v[28:29]
	v_fma_f64 v[28:29], v[2:3], v[34:35], -v[36:37]
	v_fma_f64 v[12:13], v[12:13], v[38:39], v[22:23]
	v_fma_f64 v[10:11], v[10:11], v[38:39], -v[24:25]
	v_add_f64_e32 v[18:19], v[18:19], v[14:15]
	v_add_f64_e32 v[20:21], v[20:21], v[16:17]
	ds_load_b128 v[2:5], v1 offset:2016
	ds_load_b128 v[14:17], v1 offset:2032
	s_wait_loadcnt_dscnt 0x101
	v_mul_f64_e32 v[30:31], v[2:3], v[44:45]
	v_mul_f64_e32 v[32:33], v[4:5], v[44:45]
	s_wait_loadcnt_dscnt 0x0
	v_mul_f64_e32 v[22:23], v[14:15], v[8:9]
	v_mul_f64_e32 v[8:9], v[16:17], v[8:9]
	v_add_f64_e32 v[18:19], v[18:19], v[28:29]
	v_add_f64_e32 v[20:21], v[20:21], v[26:27]
	v_fma_f64 v[4:5], v[4:5], v[42:43], v[30:31]
	v_fma_f64 v[1:2], v[2:3], v[42:43], -v[32:33]
	v_fma_f64 v[16:17], v[16:17], v[6:7], v[22:23]
	v_fma_f64 v[6:7], v[14:15], v[6:7], -v[8:9]
	v_add_f64_e32 v[10:11], v[18:19], v[10:11]
	v_add_f64_e32 v[12:13], v[20:21], v[12:13]
	s_delay_alu instid0(VALU_DEP_2) | instskip(NEXT) | instid1(VALU_DEP_2)
	v_add_f64_e32 v[1:2], v[10:11], v[1:2]
	v_add_f64_e32 v[3:4], v[12:13], v[4:5]
	s_delay_alu instid0(VALU_DEP_2) | instskip(NEXT) | instid1(VALU_DEP_2)
	;; [unrolled: 3-line block ×3, first 2 shown]
	v_add_f64_e64 v[1:2], v[175:176], -v[1:2]
	v_add_f64_e64 v[3:4], v[177:178], -v[3:4]
	scratch_store_b128 off, v[1:4], off offset:32
	v_cmpx_ne_u32_e32 0, v0
	s_cbranch_execz .LBB63_409
; %bb.408:
	scratch_load_b128 v[0:3], off, off offset:16
	v_mov_b32_e32 v4, 0
	s_delay_alu instid0(VALU_DEP_1)
	v_dual_mov_b32 v5, v4 :: v_dual_mov_b32 v6, v4
	v_mov_b32_e32 v7, v4
	scratch_store_b128 off, v[4:7], off offset:16
	s_wait_loadcnt 0x0
	ds_store_b128 v174, v[0:3]
.LBB63_409:
	s_wait_alu 0xfffe
	s_or_b32 exec_lo, exec_lo, s0
	v_mov_b32_e32 v0, 0
	v_dual_mov_b32 v1, 0 :: v_dual_mov_b32 v2, 0
	v_mov_b32_e32 v3, 0
	s_movk_i32 s0, 0xfc10
	s_wait_storecnt_dscnt 0x0
	s_barrier_signal -1
	s_barrier_wait -1
	global_inv scope:SCOPE_SE
.LBB63_410:                             ; =>This Inner Loop Header: Depth=1
	s_wait_alu 0xfffe
	s_add_co_i32 s1, s0, 16
	v_mov_b32_e32 v184, s0
	s_clause 0x8
	scratch_load_b128 v[4:7], off, s1 offset:1024
	scratch_load_b128 v[8:11], off, s1 offset:1040
	;; [unrolled: 1-line block ×9, first 2 shown]
	s_addk_co_i32 s0, 0x90
	ds_load_b128 v[36:39], v184 offset:2048
	ds_load_b128 v[174:177], v184 offset:2064
	s_wait_alu 0xfffe
	s_cmp_lg_u32 s0, 0
	s_wait_loadcnt_dscnt 0x801
	v_mul_f64_e32 v[44:45], v[38:39], v[6:7]
	v_mul_f64_e32 v[6:7], v[36:37], v[6:7]
	s_wait_loadcnt_dscnt 0x700
	v_mul_f64_e32 v[178:179], v[176:177], v[10:11]
	v_mul_f64_e32 v[10:11], v[174:175], v[10:11]
	s_delay_alu instid0(VALU_DEP_4) | instskip(NEXT) | instid1(VALU_DEP_4)
	v_fma_f64 v[44:45], v[36:37], v[4:5], -v[44:45]
	v_fma_f64 v[180:181], v[38:39], v[4:5], v[6:7]
	ds_load_b128 v[4:7], v184 offset:2080
	ds_load_b128 v[36:39], v184 offset:2096
	v_fma_f64 v[174:175], v[174:175], v[8:9], -v[178:179]
	v_fma_f64 v[8:9], v[176:177], v[8:9], v[10:11]
	s_wait_loadcnt_dscnt 0x601
	v_mul_f64_e32 v[182:183], v[6:7], v[14:15]
	v_mul_f64_e32 v[14:15], v[4:5], v[14:15]
	s_wait_loadcnt_dscnt 0x500
	v_mul_f64_e32 v[10:11], v[38:39], v[18:19]
	v_mul_f64_e32 v[18:19], v[36:37], v[18:19]
	v_add_f64_e32 v[2:3], v[2:3], v[44:45]
	v_add_f64_e32 v[0:1], v[0:1], v[180:181]
	v_fma_f64 v[44:45], v[4:5], v[12:13], -v[182:183]
	v_fma_f64 v[12:13], v[6:7], v[12:13], v[14:15]
	v_fma_f64 v[10:11], v[36:37], v[16:17], -v[10:11]
	v_fma_f64 v[16:17], v[38:39], v[16:17], v[18:19]
	v_add_f64_e32 v[14:15], v[2:3], v[174:175]
	v_add_f64_e32 v[8:9], v[0:1], v[8:9]
	ds_load_b128 v[0:3], v184 offset:2112
	ds_load_b128 v[4:7], v184 offset:2128
	s_wait_loadcnt_dscnt 0x401
	v_mul_f64_e32 v[174:175], v[2:3], v[22:23]
	v_mul_f64_e32 v[22:23], v[0:1], v[22:23]
	s_wait_loadcnt_dscnt 0x300
	v_mul_f64_e32 v[18:19], v[4:5], v[26:27]
	v_add_f64_e32 v[14:15], v[14:15], v[44:45]
	v_add_f64_e32 v[8:9], v[8:9], v[12:13]
	v_mul_f64_e32 v[12:13], v[6:7], v[26:27]
	v_fma_f64 v[26:27], v[0:1], v[20:21], -v[174:175]
	v_fma_f64 v[20:21], v[2:3], v[20:21], v[22:23]
	v_fma_f64 v[6:7], v[6:7], v[24:25], v[18:19]
	v_add_f64_e32 v[14:15], v[14:15], v[10:11]
	v_add_f64_e32 v[16:17], v[8:9], v[16:17]
	ds_load_b128 v[0:3], v184 offset:2144
	ds_load_b128 v[8:11], v184 offset:2160
	v_fma_f64 v[4:5], v[4:5], v[24:25], -v[12:13]
	s_wait_loadcnt_dscnt 0x201
	v_mul_f64_e32 v[22:23], v[2:3], v[30:31]
	v_mul_f64_e32 v[30:31], v[0:1], v[30:31]
	s_wait_loadcnt_dscnt 0x100
	v_mul_f64_e32 v[18:19], v[8:9], v[34:35]
	v_add_f64_e32 v[12:13], v[14:15], v[26:27]
	v_add_f64_e32 v[14:15], v[16:17], v[20:21]
	v_mul_f64_e32 v[16:17], v[10:11], v[34:35]
	v_fma_f64 v[20:21], v[0:1], v[28:29], -v[22:23]
	v_fma_f64 v[22:23], v[2:3], v[28:29], v[30:31]
	ds_load_b128 v[0:3], v184 offset:2176
	v_fma_f64 v[10:11], v[10:11], v[32:33], v[18:19]
	v_add_f64_e32 v[4:5], v[12:13], v[4:5]
	v_add_f64_e32 v[6:7], v[14:15], v[6:7]
	v_fma_f64 v[8:9], v[8:9], v[32:33], -v[16:17]
	s_wait_loadcnt_dscnt 0x0
	v_mul_f64_e32 v[12:13], v[2:3], v[42:43]
	v_mul_f64_e32 v[14:15], v[0:1], v[42:43]
	v_add_f64_e32 v[4:5], v[4:5], v[20:21]
	v_add_f64_e32 v[6:7], v[6:7], v[22:23]
	s_delay_alu instid0(VALU_DEP_4) | instskip(NEXT) | instid1(VALU_DEP_4)
	v_fma_f64 v[0:1], v[0:1], v[40:41], -v[12:13]
	v_fma_f64 v[12:13], v[2:3], v[40:41], v[14:15]
	s_delay_alu instid0(VALU_DEP_4) | instskip(NEXT) | instid1(VALU_DEP_4)
	v_add_f64_e32 v[2:3], v[4:5], v[8:9]
	v_add_f64_e32 v[4:5], v[6:7], v[10:11]
	s_delay_alu instid0(VALU_DEP_2) | instskip(NEXT) | instid1(VALU_DEP_2)
	v_add_f64_e32 v[2:3], v[2:3], v[0:1]
	v_add_f64_e32 v[0:1], v[4:5], v[12:13]
	s_cbranch_scc1 .LBB63_410
; %bb.411:
	scratch_load_b128 v[4:7], off, off offset:16
	s_and_b32 vcc_lo, exec_lo, s20
	s_wait_loadcnt 0x0
	v_add_f64_e64 v[2:3], v[4:5], -v[2:3]
	v_add_f64_e64 v[4:5], v[6:7], -v[0:1]
	scratch_store_b128 off, v[2:5], off offset:16
	s_wait_alu 0xfffe
	s_cbranch_vccz .LBB63_538
; %bb.412:
	v_mov_b32_e32 v0, 0
	global_load_b32 v1, v0, s[16:17] offset:248
	s_wait_loadcnt 0x0
	v_cmp_ne_u32_e32 vcc_lo, 63, v1
	s_cbranch_vccz .LBB63_414
; %bb.413:
	v_lshlrev_b32_e32 v1, 4, v1
	s_delay_alu instid0(VALU_DEP_1)
	v_add_nc_u32_e32 v9, 16, v1
	s_clause 0x1
	scratch_load_b128 v[1:4], v9, off offset:-16
	scratch_load_b128 v[5:8], off, s54
	s_wait_loadcnt 0x1
	scratch_store_b128 off, v[1:4], s54
	s_wait_loadcnt 0x0
	scratch_store_b128 v9, v[5:8], off offset:-16
.LBB63_414:
	global_load_b32 v0, v0, s[16:17] offset:244
	s_wait_loadcnt 0x0
	v_cmp_eq_u32_e32 vcc_lo, 62, v0
	s_cbranch_vccnz .LBB63_416
; %bb.415:
	v_lshlrev_b32_e32 v0, 4, v0
	s_delay_alu instid0(VALU_DEP_1)
	v_add_nc_u32_e32 v8, 16, v0
	s_clause 0x1
	scratch_load_b128 v[0:3], v8, off offset:-16
	scratch_load_b128 v[4:7], off, s50
	s_wait_loadcnt 0x1
	scratch_store_b128 off, v[0:3], s50
	s_wait_loadcnt 0x0
	scratch_store_b128 v8, v[4:7], off offset:-16
.LBB63_416:
	v_mov_b32_e32 v0, 0
	global_load_b32 v1, v0, s[16:17] offset:240
	s_wait_loadcnt 0x0
	v_cmp_eq_u32_e32 vcc_lo, 61, v1
	s_cbranch_vccnz .LBB63_418
; %bb.417:
	v_lshlrev_b32_e32 v1, 4, v1
	s_delay_alu instid0(VALU_DEP_1)
	v_add_nc_u32_e32 v9, 16, v1
	s_clause 0x1
	scratch_load_b128 v[1:4], v9, off offset:-16
	scratch_load_b128 v[5:8], off, s53
	s_wait_loadcnt 0x1
	scratch_store_b128 off, v[1:4], s53
	s_wait_loadcnt 0x0
	scratch_store_b128 v9, v[5:8], off offset:-16
.LBB63_418:
	global_load_b32 v0, v0, s[16:17] offset:236
	s_wait_loadcnt 0x0
	v_cmp_eq_u32_e32 vcc_lo, 60, v0
	s_cbranch_vccnz .LBB63_420
; %bb.419:
	v_lshlrev_b32_e32 v0, 4, v0
	s_delay_alu instid0(VALU_DEP_1)
	v_add_nc_u32_e32 v8, 16, v0
	s_clause 0x1
	scratch_load_b128 v[0:3], v8, off offset:-16
	scratch_load_b128 v[4:7], off, s46
	s_wait_loadcnt 0x1
	scratch_store_b128 off, v[0:3], s46
	s_wait_loadcnt 0x0
	scratch_store_b128 v8, v[4:7], off offset:-16
.LBB63_420:
	v_mov_b32_e32 v0, 0
	global_load_b32 v1, v0, s[16:17] offset:232
	s_wait_loadcnt 0x0
	v_cmp_eq_u32_e32 vcc_lo, 59, v1
	s_cbranch_vccnz .LBB63_422
; %bb.421:
	v_lshlrev_b32_e32 v1, 4, v1
	s_delay_alu instid0(VALU_DEP_1)
	v_add_nc_u32_e32 v9, 16, v1
	s_clause 0x1
	scratch_load_b128 v[1:4], v9, off offset:-16
	scratch_load_b128 v[5:8], off, s52
	s_wait_loadcnt 0x1
	scratch_store_b128 off, v[1:4], s52
	s_wait_loadcnt 0x0
	scratch_store_b128 v9, v[5:8], off offset:-16
.LBB63_422:
	;; [unrolled: 33-line block ×30, first 2 shown]
	global_load_b32 v0, v0, s[16:17] offset:4
	s_wait_loadcnt 0x0
	v_cmp_eq_u32_e32 vcc_lo, 2, v0
	s_cbranch_vccnz .LBB63_536
; %bb.535:
	v_lshlrev_b32_e32 v0, 4, v0
	s_delay_alu instid0(VALU_DEP_1)
	v_add_nc_u32_e32 v8, 16, v0
	s_clause 0x1
	scratch_load_b128 v[0:3], v8, off offset:-16
	scratch_load_b128 v[4:7], off, s58
	s_wait_loadcnt 0x1
	scratch_store_b128 off, v[0:3], s58
	s_wait_loadcnt 0x0
	scratch_store_b128 v8, v[4:7], off offset:-16
.LBB63_536:
	v_mov_b32_e32 v0, 0
	global_load_b32 v0, v0, s[16:17]
	s_wait_loadcnt 0x0
	v_cmp_eq_u32_e32 vcc_lo, 1, v0
	s_cbranch_vccnz .LBB63_538
; %bb.537:
	v_lshlrev_b32_e32 v0, 4, v0
	s_delay_alu instid0(VALU_DEP_1)
	v_add_nc_u32_e32 v8, 16, v0
	scratch_load_b128 v[0:3], v8, off offset:-16
	scratch_load_b128 v[4:7], off, off offset:16
	s_wait_loadcnt 0x1
	scratch_store_b128 off, v[0:3], off offset:16
	s_wait_loadcnt 0x0
	scratch_store_b128 v8, v[4:7], off offset:-16
.LBB63_538:
	scratch_load_b128 v[0:3], off, off offset:16
	s_clause 0x13
	scratch_load_b128 v[4:7], off, s58
	scratch_load_b128 v[8:11], off, s57
	;; [unrolled: 1-line block ×20, first 2 shown]
	s_wait_loadcnt 0x14
	global_store_b128 v[46:47], v[0:3], off
	scratch_load_b128 v[0:3], off, s26
	s_wait_loadcnt 0x14
	global_store_b128 v[48:49], v[4:7], off
	s_clause 0x1
	scratch_load_b128 v[4:7], off, s24
	scratch_load_b128 v[44:47], off, s25
	s_wait_loadcnt 0x15
	global_store_b128 v[50:51], v[8:11], off
	scratch_load_b128 v[8:11], off, s23
	s_wait_loadcnt 0x15
	global_store_b128 v[52:53], v[12:15], off
	s_clause 0x1
	scratch_load_b128 v[12:15], off, s21
	scratch_load_b128 v[48:51], off, s22
	;; [unrolled: 8-line block ×3, first 2 shown]
	s_wait_loadcnt 0x17
	global_store_b128 v[58:59], v[24:27], off
	s_wait_loadcnt 0x16
	global_store_b128 v[60:61], v[28:31], off
	s_clause 0x1
	scratch_load_b128 v[24:27], off, s11
	scratch_load_b128 v[28:31], off, s12
	s_wait_loadcnt 0x17
	global_store_b128 v[62:63], v[32:35], off
	s_clause 0x1
	scratch_load_b128 v[32:35], off, s9
	scratch_load_b128 v[56:59], off, s10
	s_wait_loadcnt 0x18
	global_store_b128 v[64:65], v[36:39], off
	s_clause 0x1
	scratch_load_b128 v[36:39], off, s5
	scratch_load_b128 v[60:63], off, s8
	s_wait_loadcnt 0x19
	global_store_b128 v[66:67], v[40:43], off
	s_wait_loadcnt 0x18
	global_store_b128 v[68:69], v[174:177], off
	s_clause 0x1
	scratch_load_b128 v[40:43], off, s4
	scratch_load_b128 v[64:67], off, s51
	s_wait_loadcnt 0x19
	global_store_b128 v[70:71], v[178:181], off
	s_clause 0x1
	scratch_load_b128 v[68:71], off, s47
	scratch_load_b128 v[174:177], off, s48
	s_wait_loadcnt 0x1a
	global_store_b128 v[72:73], v[182:185], off
	s_clause 0x1
	scratch_load_b128 v[178:181], off, s41
	scratch_load_b128 v[182:185], off, s42
	;; [unrolled: 17-line block ×5, first 2 shown]
	s_wait_loadcnt 0x20
	global_store_b128 v[98:99], v[16:19], off
	s_wait_loadcnt 0x1f
	global_store_b128 v[100:101], v[20:23], off
	s_clause 0x1
	scratch_load_b128 v[16:19], off, s46
	scratch_load_b128 v[20:23], off, s53
	s_wait_loadcnt 0x20
	global_store_b128 v[102:103], v[52:55], off
	s_clause 0x1
	scratch_load_b128 v[52:55], off, s50
	scratch_load_b128 v[96:99], off, s54
	s_wait_loadcnt 0x21
	global_store_b128 v[104:105], v[24:27], off
	s_wait_loadcnt 0x20
	global_store_b128 v[106:107], v[28:31], off
	s_wait_loadcnt 0x1f
	global_store_b128 v[108:109], v[32:35], off
	s_wait_loadcnt 0x1e
	global_store_b128 v[110:111], v[56:59], off
	s_wait_loadcnt 0x1d
	global_store_b128 v[112:113], v[36:39], off
	s_wait_loadcnt 0x1c
	global_store_b128 v[114:115], v[60:63], off
	s_wait_loadcnt 0x1b
	global_store_b128 v[116:117], v[40:43], off
	s_wait_loadcnt 0x1a
	global_store_b128 v[118:119], v[64:67], off
	s_wait_loadcnt 0x19
	global_store_b128 v[120:121], v[68:71], off
	s_wait_loadcnt 0x18
	global_store_b128 v[122:123], v[174:177], off
	s_wait_loadcnt 0x17
	global_store_b128 v[124:125], v[178:181], off
	s_wait_loadcnt 0x16
	global_store_b128 v[126:127], v[182:185], off
	s_wait_loadcnt 0x15
	global_store_b128 v[128:129], v[72:75], off
	s_wait_loadcnt 0x14
	global_store_b128 v[130:131], v[186:189], off
	s_wait_loadcnt 0x13
	global_store_b128 v[132:133], v[76:79], off
	s_wait_loadcnt 0x12
	global_store_b128 v[134:135], v[190:193], off
	s_wait_loadcnt 0x11
	global_store_b128 v[136:137], v[194:197], off
	s_wait_loadcnt 0x10
	global_store_b128 v[138:139], v[198:201], off
	s_wait_loadcnt 0xf
	global_store_b128 v[140:141], v[80:83], off
	s_wait_loadcnt 0xe
	global_store_b128 v[142:143], v[202:205], off
	s_wait_loadcnt 0xd
	global_store_b128 v[144:145], v[0:3], off
	s_wait_loadcnt 0xc
	global_store_b128 v[146:147], v[84:87], off
	s_wait_loadcnt 0xb
	global_store_b128 v[148:149], v[4:7], off
	s_wait_loadcnt 0xa
	global_store_b128 v[150:151], v[206:209], off
	s_wait_loadcnt 0x9
	global_store_b128 v[152:153], v[8:11], off
	s_wait_loadcnt 0x8
	global_store_b128 v[154:155], v[44:47], off
	s_wait_loadcnt 0x7
	global_store_b128 v[156:157], v[12:15], off
	s_wait_loadcnt 0x6
	global_store_b128 v[158:159], v[88:91], off
	s_wait_loadcnt 0x5
	global_store_b128 v[160:161], v[48:51], off
	s_wait_loadcnt 0x4
	global_store_b128 v[162:163], v[92:95], off
	s_wait_loadcnt 0x3
	global_store_b128 v[164:165], v[16:19], off
	s_wait_loadcnt 0x2
	global_store_b128 v[166:167], v[20:23], off
	s_wait_loadcnt 0x1
	global_store_b128 v[168:169], v[52:55], off
	s_wait_loadcnt 0x0
	s_clause 0x1
	global_store_b128 v[170:171], v[96:99], off
	global_store_b128 v[172:173], v[210:213], off
	s_nop 0
	s_sendmsg sendmsg(MSG_DEALLOC_VGPRS)
	s_endpgm
	.section	.rodata,"a",@progbits
	.p2align	6, 0x0
	.amdhsa_kernel _ZN9rocsolver6v33100L18getri_kernel_smallILi64E19rocblas_complex_numIdEPS3_EEvT1_iilPiilS6_bb
		.amdhsa_group_segment_fixed_size 2056
		.amdhsa_private_segment_fixed_size 1056
		.amdhsa_kernarg_size 60
		.amdhsa_user_sgpr_count 2
		.amdhsa_user_sgpr_dispatch_ptr 0
		.amdhsa_user_sgpr_queue_ptr 0
		.amdhsa_user_sgpr_kernarg_segment_ptr 1
		.amdhsa_user_sgpr_dispatch_id 0
		.amdhsa_user_sgpr_private_segment_size 0
		.amdhsa_wavefront_size32 1
		.amdhsa_uses_dynamic_stack 0
		.amdhsa_enable_private_segment 1
		.amdhsa_system_sgpr_workgroup_id_x 1
		.amdhsa_system_sgpr_workgroup_id_y 0
		.amdhsa_system_sgpr_workgroup_id_z 0
		.amdhsa_system_sgpr_workgroup_info 0
		.amdhsa_system_vgpr_workitem_id 0
		.amdhsa_next_free_vgpr 232
		.amdhsa_next_free_sgpr 80
		.amdhsa_reserve_vcc 1
		.amdhsa_float_round_mode_32 0
		.amdhsa_float_round_mode_16_64 0
		.amdhsa_float_denorm_mode_32 3
		.amdhsa_float_denorm_mode_16_64 3
		.amdhsa_fp16_overflow 0
		.amdhsa_workgroup_processor_mode 1
		.amdhsa_memory_ordered 1
		.amdhsa_forward_progress 1
		.amdhsa_inst_pref_size 255
		.amdhsa_round_robin_scheduling 0
		.amdhsa_exception_fp_ieee_invalid_op 0
		.amdhsa_exception_fp_denorm_src 0
		.amdhsa_exception_fp_ieee_div_zero 0
		.amdhsa_exception_fp_ieee_overflow 0
		.amdhsa_exception_fp_ieee_underflow 0
		.amdhsa_exception_fp_ieee_inexact 0
		.amdhsa_exception_int_div_zero 0
	.end_amdhsa_kernel
	.section	.text._ZN9rocsolver6v33100L18getri_kernel_smallILi64E19rocblas_complex_numIdEPS3_EEvT1_iilPiilS6_bb,"axG",@progbits,_ZN9rocsolver6v33100L18getri_kernel_smallILi64E19rocblas_complex_numIdEPS3_EEvT1_iilPiilS6_bb,comdat
.Lfunc_end63:
	.size	_ZN9rocsolver6v33100L18getri_kernel_smallILi64E19rocblas_complex_numIdEPS3_EEvT1_iilPiilS6_bb, .Lfunc_end63-_ZN9rocsolver6v33100L18getri_kernel_smallILi64E19rocblas_complex_numIdEPS3_EEvT1_iilPiilS6_bb
                                        ; -- End function
	.set _ZN9rocsolver6v33100L18getri_kernel_smallILi64E19rocblas_complex_numIdEPS3_EEvT1_iilPiilS6_bb.num_vgpr, 232
	.set _ZN9rocsolver6v33100L18getri_kernel_smallILi64E19rocblas_complex_numIdEPS3_EEvT1_iilPiilS6_bb.num_agpr, 0
	.set _ZN9rocsolver6v33100L18getri_kernel_smallILi64E19rocblas_complex_numIdEPS3_EEvT1_iilPiilS6_bb.numbered_sgpr, 80
	.set _ZN9rocsolver6v33100L18getri_kernel_smallILi64E19rocblas_complex_numIdEPS3_EEvT1_iilPiilS6_bb.num_named_barrier, 0
	.set _ZN9rocsolver6v33100L18getri_kernel_smallILi64E19rocblas_complex_numIdEPS3_EEvT1_iilPiilS6_bb.private_seg_size, 1056
	.set _ZN9rocsolver6v33100L18getri_kernel_smallILi64E19rocblas_complex_numIdEPS3_EEvT1_iilPiilS6_bb.uses_vcc, 1
	.set _ZN9rocsolver6v33100L18getri_kernel_smallILi64E19rocblas_complex_numIdEPS3_EEvT1_iilPiilS6_bb.uses_flat_scratch, 1
	.set _ZN9rocsolver6v33100L18getri_kernel_smallILi64E19rocblas_complex_numIdEPS3_EEvT1_iilPiilS6_bb.has_dyn_sized_stack, 0
	.set _ZN9rocsolver6v33100L18getri_kernel_smallILi64E19rocblas_complex_numIdEPS3_EEvT1_iilPiilS6_bb.has_recursion, 0
	.set _ZN9rocsolver6v33100L18getri_kernel_smallILi64E19rocblas_complex_numIdEPS3_EEvT1_iilPiilS6_bb.has_indirect_call, 0
	.section	.AMDGPU.csdata,"",@progbits
; Kernel info:
; codeLenInByte = 153300
; TotalNumSgprs: 82
; NumVgprs: 232
; ScratchSize: 1056
; MemoryBound: 0
; FloatMode: 240
; IeeeMode: 1
; LDSByteSize: 2056 bytes/workgroup (compile time only)
; SGPRBlocks: 0
; VGPRBlocks: 28
; NumSGPRsForWavesPerEU: 82
; NumVGPRsForWavesPerEU: 232
; Occupancy: 6
; WaveLimiterHint : 1
; COMPUTE_PGM_RSRC2:SCRATCH_EN: 1
; COMPUTE_PGM_RSRC2:USER_SGPR: 2
; COMPUTE_PGM_RSRC2:TRAP_HANDLER: 0
; COMPUTE_PGM_RSRC2:TGID_X_EN: 1
; COMPUTE_PGM_RSRC2:TGID_Y_EN: 0
; COMPUTE_PGM_RSRC2:TGID_Z_EN: 0
; COMPUTE_PGM_RSRC2:TIDIG_COMP_CNT: 0
	.section	.text._ZN9rocsolver6v33100L18getri_kernel_smallILi1E19rocblas_complex_numIdEPKPS3_EEvT1_iilPiilS8_bb,"axG",@progbits,_ZN9rocsolver6v33100L18getri_kernel_smallILi1E19rocblas_complex_numIdEPKPS3_EEvT1_iilPiilS8_bb,comdat
	.globl	_ZN9rocsolver6v33100L18getri_kernel_smallILi1E19rocblas_complex_numIdEPKPS3_EEvT1_iilPiilS8_bb ; -- Begin function _ZN9rocsolver6v33100L18getri_kernel_smallILi1E19rocblas_complex_numIdEPKPS3_EEvT1_iilPiilS8_bb
	.p2align	8
	.type	_ZN9rocsolver6v33100L18getri_kernel_smallILi1E19rocblas_complex_numIdEPKPS3_EEvT1_iilPiilS8_bb,@function
_ZN9rocsolver6v33100L18getri_kernel_smallILi1E19rocblas_complex_numIdEPKPS3_EEvT1_iilPiilS8_bb: ; @_ZN9rocsolver6v33100L18getri_kernel_smallILi1E19rocblas_complex_numIdEPKPS3_EEvT1_iilPiilS8_bb
; %bb.0:
	s_mov_b32 s7, 0
	s_mov_b32 s2, exec_lo
	v_cmpx_eq_u32_e32 0, v0
	s_cbranch_execz .LBB64_16
; %bb.1:
	s_clause 0x1
	s_load_b96 s[12:14], s[0:1], 0x0
	s_load_b96 s[4:6], s[0:1], 0x30
	s_mov_b32 s8, ttmp9
	s_wait_kmcnt 0x0
	s_ashr_i32 s1, s14, 31
	s_bitcmp1_b32 s6, 0
	s_mov_b32 s0, s14
	s_cselect_b32 s6, -1, 0
	s_ashr_i32 s9, ttmp9, 31
	s_lshl_b64 s[0:1], s[0:1], 4
	s_lshl_b64 s[2:3], s[8:9], 3
	s_and_b32 vcc_lo, exec_lo, s6
	s_add_nc_u64 s[2:3], s[12:13], s[2:3]
	s_load_b64 s[2:3], s[2:3], 0x0
	s_wait_kmcnt 0x0
	s_add_nc_u64 s[2:3], s[2:3], s[0:1]
	s_mov_b32 s0, -1
	v_dual_mov_b32 v0, s2 :: v_dual_mov_b32 v1, s3
	flat_load_b128 v[0:3], v[0:1]
	s_cbranch_vccnz .LBB64_3
; %bb.2:
	s_lshl_b64 s[0:1], s[8:9], 2
	s_delay_alu instid0(SALU_CYCLE_1)
	s_add_nc_u64 s[0:1], s[4:5], s[0:1]
	s_load_b32 s0, s[0:1], 0x0
	s_wait_kmcnt 0x0
	s_cmp_eq_u32 s0, 0
	s_mov_b32 s0, 0
	s_cselect_b32 s7, -1, 0
.LBB64_3:
	s_and_not1_b32 vcc_lo, exec_lo, s0
	s_cbranch_vccnz .LBB64_14
; %bb.4:
	s_wait_loadcnt_dscnt 0x0
	v_cmp_eq_f64_e32 vcc_lo, 0, v[0:1]
	v_cmp_eq_f64_e64 s0, 0, v[2:3]
	v_mov_b32_e32 v4, 0
	ds_store_b32 v4, v4
	s_wait_dscnt 0x0
	s_barrier_signal -1
	s_barrier_wait -1
	global_inv scope:SCOPE_SE
	s_and_b32 s0, vcc_lo, s0
	s_delay_alu instid0(SALU_CYCLE_1)
	s_and_saveexec_b32 s1, s0
	s_cbranch_execz .LBB64_8
; %bb.5:
	ds_load_b32 v5, v4
	s_mov_b32 s6, 0
	s_wait_dscnt 0x0
	v_cmp_ne_u32_e32 vcc_lo, 0, v5
	v_cmp_gt_i32_e64 s0, 2, v5
	s_and_b32 s0, vcc_lo, s0
	s_delay_alu instid0(SALU_CYCLE_1)
	s_and_b32 vcc_lo, exec_lo, s0
	s_cbranch_vccnz .LBB64_8
; %bb.6:
	v_dual_mov_b32 v6, 1 :: v_dual_mov_b32 v7, 0
.LBB64_7:                               ; =>This Inner Loop Header: Depth=1
	ds_cmpstore_rtn_b32 v5, v7, v6, v5
	s_wait_dscnt 0x0
	v_cmp_ne_u32_e32 vcc_lo, 0, v5
	v_cmp_gt_i32_e64 s0, 2, v5
	s_and_b32 s0, vcc_lo, s0
	s_delay_alu instid0(SALU_CYCLE_1) | instskip(NEXT) | instid1(SALU_CYCLE_1)
	s_and_b32 s0, exec_lo, s0
	s_or_b32 s6, s0, s6
	s_delay_alu instid0(SALU_CYCLE_1)
	s_and_not1_b32 exec_lo, exec_lo, s6
	s_cbranch_execnz .LBB64_7
.LBB64_8:
	s_or_b32 exec_lo, exec_lo, s1
	s_wait_loadcnt 0x0
	s_barrier_signal -1
	s_barrier_wait -1
	global_inv scope:SCOPE_SE
	ds_load_b32 v5, v4
	s_lshl_b64 s[0:1], s[8:9], 2
	s_delay_alu instid0(SALU_CYCLE_1)
	s_add_nc_u64 s[0:1], s[4:5], s[0:1]
	s_wait_dscnt 0x0
	v_cmp_ne_u32_e32 vcc_lo, 0, v5
	global_store_b32 v4, v5, s[0:1]
	s_cbranch_vccnz .LBB64_14
; %bb.9:
	v_cmp_ngt_f64_e64 s0, |v[0:1]|, |v[2:3]|
	s_and_saveexec_b32 s1, s0
	s_delay_alu instid0(SALU_CYCLE_1)
	s_xor_b32 s0, exec_lo, s1
	s_cbranch_execz .LBB64_11
; %bb.10:
	v_div_scale_f64 v[4:5], null, v[2:3], v[2:3], v[0:1]
	v_div_scale_f64 v[10:11], vcc_lo, v[0:1], v[2:3], v[0:1]
	s_delay_alu instid0(VALU_DEP_2) | instskip(NEXT) | instid1(TRANS32_DEP_1)
	v_rcp_f64_e32 v[6:7], v[4:5]
	v_fma_f64 v[8:9], -v[4:5], v[6:7], 1.0
	s_delay_alu instid0(VALU_DEP_1) | instskip(NEXT) | instid1(VALU_DEP_1)
	v_fma_f64 v[6:7], v[6:7], v[8:9], v[6:7]
	v_fma_f64 v[8:9], -v[4:5], v[6:7], 1.0
	s_delay_alu instid0(VALU_DEP_1) | instskip(NEXT) | instid1(VALU_DEP_1)
	v_fma_f64 v[6:7], v[6:7], v[8:9], v[6:7]
	v_mul_f64_e32 v[8:9], v[10:11], v[6:7]
	s_delay_alu instid0(VALU_DEP_1) | instskip(NEXT) | instid1(VALU_DEP_1)
	v_fma_f64 v[4:5], -v[4:5], v[8:9], v[10:11]
	v_div_fmas_f64 v[4:5], v[4:5], v[6:7], v[8:9]
	s_delay_alu instid0(VALU_DEP_1) | instskip(NEXT) | instid1(VALU_DEP_1)
	v_div_fixup_f64 v[4:5], v[4:5], v[2:3], v[0:1]
	v_fma_f64 v[0:1], v[0:1], v[4:5], v[2:3]
	s_delay_alu instid0(VALU_DEP_1) | instskip(NEXT) | instid1(VALU_DEP_1)
	v_div_scale_f64 v[2:3], null, v[0:1], v[0:1], 1.0
	v_rcp_f64_e32 v[6:7], v[2:3]
	s_delay_alu instid0(TRANS32_DEP_1) | instskip(NEXT) | instid1(VALU_DEP_1)
	v_fma_f64 v[8:9], -v[2:3], v[6:7], 1.0
	v_fma_f64 v[6:7], v[6:7], v[8:9], v[6:7]
	s_delay_alu instid0(VALU_DEP_1) | instskip(NEXT) | instid1(VALU_DEP_1)
	v_fma_f64 v[8:9], -v[2:3], v[6:7], 1.0
	v_fma_f64 v[6:7], v[6:7], v[8:9], v[6:7]
	v_div_scale_f64 v[8:9], vcc_lo, 1.0, v[0:1], 1.0
	s_delay_alu instid0(VALU_DEP_1) | instskip(NEXT) | instid1(VALU_DEP_1)
	v_mul_f64_e32 v[10:11], v[8:9], v[6:7]
	v_fma_f64 v[2:3], -v[2:3], v[10:11], v[8:9]
	s_wait_alu 0xfffd
	s_delay_alu instid0(VALU_DEP_1) | instskip(NEXT) | instid1(VALU_DEP_1)
	v_div_fmas_f64 v[2:3], v[2:3], v[6:7], v[10:11]
	v_div_fixup_f64 v[2:3], v[2:3], v[0:1], 1.0
	s_delay_alu instid0(VALU_DEP_1)
	v_mul_f64_e32 v[0:1], v[4:5], v[2:3]
	v_xor_b32_e32 v3, 0x80000000, v3
.LBB64_11:
	s_and_not1_saveexec_b32 s0, s0
	s_cbranch_execz .LBB64_13
; %bb.12:
	s_delay_alu instid0(VALU_DEP_1) | instskip(SKIP_1) | instid1(VALU_DEP_2)
	v_div_scale_f64 v[4:5], null, v[0:1], v[0:1], v[2:3]
	v_div_scale_f64 v[10:11], vcc_lo, v[2:3], v[0:1], v[2:3]
	v_rcp_f64_e32 v[6:7], v[4:5]
	s_delay_alu instid0(TRANS32_DEP_1) | instskip(NEXT) | instid1(VALU_DEP_1)
	v_fma_f64 v[8:9], -v[4:5], v[6:7], 1.0
	v_fma_f64 v[6:7], v[6:7], v[8:9], v[6:7]
	s_delay_alu instid0(VALU_DEP_1) | instskip(NEXT) | instid1(VALU_DEP_1)
	v_fma_f64 v[8:9], -v[4:5], v[6:7], 1.0
	v_fma_f64 v[6:7], v[6:7], v[8:9], v[6:7]
	s_delay_alu instid0(VALU_DEP_1) | instskip(NEXT) | instid1(VALU_DEP_1)
	v_mul_f64_e32 v[8:9], v[10:11], v[6:7]
	v_fma_f64 v[4:5], -v[4:5], v[8:9], v[10:11]
	s_wait_alu 0xfffd
	s_delay_alu instid0(VALU_DEP_1) | instskip(NEXT) | instid1(VALU_DEP_1)
	v_div_fmas_f64 v[4:5], v[4:5], v[6:7], v[8:9]
	v_div_fixup_f64 v[4:5], v[4:5], v[0:1], v[2:3]
	s_delay_alu instid0(VALU_DEP_1) | instskip(NEXT) | instid1(VALU_DEP_1)
	v_fma_f64 v[0:1], v[2:3], v[4:5], v[0:1]
	v_div_scale_f64 v[2:3], null, v[0:1], v[0:1], 1.0
	s_delay_alu instid0(VALU_DEP_1) | instskip(NEXT) | instid1(TRANS32_DEP_1)
	v_rcp_f64_e32 v[6:7], v[2:3]
	v_fma_f64 v[8:9], -v[2:3], v[6:7], 1.0
	s_delay_alu instid0(VALU_DEP_1) | instskip(NEXT) | instid1(VALU_DEP_1)
	v_fma_f64 v[6:7], v[6:7], v[8:9], v[6:7]
	v_fma_f64 v[8:9], -v[2:3], v[6:7], 1.0
	s_delay_alu instid0(VALU_DEP_1) | instskip(SKIP_1) | instid1(VALU_DEP_1)
	v_fma_f64 v[6:7], v[6:7], v[8:9], v[6:7]
	v_div_scale_f64 v[8:9], vcc_lo, 1.0, v[0:1], 1.0
	v_mul_f64_e32 v[10:11], v[8:9], v[6:7]
	s_delay_alu instid0(VALU_DEP_1) | instskip(SKIP_1) | instid1(VALU_DEP_1)
	v_fma_f64 v[2:3], -v[2:3], v[10:11], v[8:9]
	s_wait_alu 0xfffd
	v_div_fmas_f64 v[2:3], v[2:3], v[6:7], v[10:11]
	s_delay_alu instid0(VALU_DEP_1) | instskip(NEXT) | instid1(VALU_DEP_1)
	v_div_fixup_f64 v[0:1], v[2:3], v[0:1], 1.0
	v_mul_f64_e64 v[2:3], v[4:5], -v[0:1]
.LBB64_13:
	s_or_b32 exec_lo, exec_lo, s0
	s_mov_b32 s7, -1
.LBB64_14:
	s_delay_alu instid0(SALU_CYCLE_1)
	s_and_b32 vcc_lo, exec_lo, s7
	s_wait_alu 0xfffe
	s_cbranch_vccz .LBB64_16
; %bb.15:
	v_dual_mov_b32 v5, s3 :: v_dual_mov_b32 v4, s2
	s_wait_loadcnt_dscnt 0x0
	flat_store_b128 v[4:5], v[0:3]
.LBB64_16:
	s_endpgm
	.section	.rodata,"a",@progbits
	.p2align	6, 0x0
	.amdhsa_kernel _ZN9rocsolver6v33100L18getri_kernel_smallILi1E19rocblas_complex_numIdEPKPS3_EEvT1_iilPiilS8_bb
		.amdhsa_group_segment_fixed_size 4
		.amdhsa_private_segment_fixed_size 0
		.amdhsa_kernarg_size 60
		.amdhsa_user_sgpr_count 2
		.amdhsa_user_sgpr_dispatch_ptr 0
		.amdhsa_user_sgpr_queue_ptr 0
		.amdhsa_user_sgpr_kernarg_segment_ptr 1
		.amdhsa_user_sgpr_dispatch_id 0
		.amdhsa_user_sgpr_private_segment_size 0
		.amdhsa_wavefront_size32 1
		.amdhsa_uses_dynamic_stack 0
		.amdhsa_enable_private_segment 0
		.amdhsa_system_sgpr_workgroup_id_x 1
		.amdhsa_system_sgpr_workgroup_id_y 0
		.amdhsa_system_sgpr_workgroup_id_z 0
		.amdhsa_system_sgpr_workgroup_info 0
		.amdhsa_system_vgpr_workitem_id 0
		.amdhsa_next_free_vgpr 12
		.amdhsa_next_free_sgpr 15
		.amdhsa_reserve_vcc 1
		.amdhsa_float_round_mode_32 0
		.amdhsa_float_round_mode_16_64 0
		.amdhsa_float_denorm_mode_32 3
		.amdhsa_float_denorm_mode_16_64 3
		.amdhsa_fp16_overflow 0
		.amdhsa_workgroup_processor_mode 1
		.amdhsa_memory_ordered 1
		.amdhsa_forward_progress 1
		.amdhsa_inst_pref_size 8
		.amdhsa_round_robin_scheduling 0
		.amdhsa_exception_fp_ieee_invalid_op 0
		.amdhsa_exception_fp_denorm_src 0
		.amdhsa_exception_fp_ieee_div_zero 0
		.amdhsa_exception_fp_ieee_overflow 0
		.amdhsa_exception_fp_ieee_underflow 0
		.amdhsa_exception_fp_ieee_inexact 0
		.amdhsa_exception_int_div_zero 0
	.end_amdhsa_kernel
	.section	.text._ZN9rocsolver6v33100L18getri_kernel_smallILi1E19rocblas_complex_numIdEPKPS3_EEvT1_iilPiilS8_bb,"axG",@progbits,_ZN9rocsolver6v33100L18getri_kernel_smallILi1E19rocblas_complex_numIdEPKPS3_EEvT1_iilPiilS8_bb,comdat
.Lfunc_end64:
	.size	_ZN9rocsolver6v33100L18getri_kernel_smallILi1E19rocblas_complex_numIdEPKPS3_EEvT1_iilPiilS8_bb, .Lfunc_end64-_ZN9rocsolver6v33100L18getri_kernel_smallILi1E19rocblas_complex_numIdEPKPS3_EEvT1_iilPiilS8_bb
                                        ; -- End function
	.set _ZN9rocsolver6v33100L18getri_kernel_smallILi1E19rocblas_complex_numIdEPKPS3_EEvT1_iilPiilS8_bb.num_vgpr, 12
	.set _ZN9rocsolver6v33100L18getri_kernel_smallILi1E19rocblas_complex_numIdEPKPS3_EEvT1_iilPiilS8_bb.num_agpr, 0
	.set _ZN9rocsolver6v33100L18getri_kernel_smallILi1E19rocblas_complex_numIdEPKPS3_EEvT1_iilPiilS8_bb.numbered_sgpr, 15
	.set _ZN9rocsolver6v33100L18getri_kernel_smallILi1E19rocblas_complex_numIdEPKPS3_EEvT1_iilPiilS8_bb.num_named_barrier, 0
	.set _ZN9rocsolver6v33100L18getri_kernel_smallILi1E19rocblas_complex_numIdEPKPS3_EEvT1_iilPiilS8_bb.private_seg_size, 0
	.set _ZN9rocsolver6v33100L18getri_kernel_smallILi1E19rocblas_complex_numIdEPKPS3_EEvT1_iilPiilS8_bb.uses_vcc, 1
	.set _ZN9rocsolver6v33100L18getri_kernel_smallILi1E19rocblas_complex_numIdEPKPS3_EEvT1_iilPiilS8_bb.uses_flat_scratch, 0
	.set _ZN9rocsolver6v33100L18getri_kernel_smallILi1E19rocblas_complex_numIdEPKPS3_EEvT1_iilPiilS8_bb.has_dyn_sized_stack, 0
	.set _ZN9rocsolver6v33100L18getri_kernel_smallILi1E19rocblas_complex_numIdEPKPS3_EEvT1_iilPiilS8_bb.has_recursion, 0
	.set _ZN9rocsolver6v33100L18getri_kernel_smallILi1E19rocblas_complex_numIdEPKPS3_EEvT1_iilPiilS8_bb.has_indirect_call, 0
	.section	.AMDGPU.csdata,"",@progbits
; Kernel info:
; codeLenInByte = 952
; TotalNumSgprs: 17
; NumVgprs: 12
; ScratchSize: 0
; MemoryBound: 0
; FloatMode: 240
; IeeeMode: 1
; LDSByteSize: 4 bytes/workgroup (compile time only)
; SGPRBlocks: 0
; VGPRBlocks: 1
; NumSGPRsForWavesPerEU: 17
; NumVGPRsForWavesPerEU: 12
; Occupancy: 16
; WaveLimiterHint : 1
; COMPUTE_PGM_RSRC2:SCRATCH_EN: 0
; COMPUTE_PGM_RSRC2:USER_SGPR: 2
; COMPUTE_PGM_RSRC2:TRAP_HANDLER: 0
; COMPUTE_PGM_RSRC2:TGID_X_EN: 1
; COMPUTE_PGM_RSRC2:TGID_Y_EN: 0
; COMPUTE_PGM_RSRC2:TGID_Z_EN: 0
; COMPUTE_PGM_RSRC2:TIDIG_COMP_CNT: 0
	.section	.text._ZN9rocsolver6v33100L18getri_kernel_smallILi2E19rocblas_complex_numIdEPKPS3_EEvT1_iilPiilS8_bb,"axG",@progbits,_ZN9rocsolver6v33100L18getri_kernel_smallILi2E19rocblas_complex_numIdEPKPS3_EEvT1_iilPiilS8_bb,comdat
	.globl	_ZN9rocsolver6v33100L18getri_kernel_smallILi2E19rocblas_complex_numIdEPKPS3_EEvT1_iilPiilS8_bb ; -- Begin function _ZN9rocsolver6v33100L18getri_kernel_smallILi2E19rocblas_complex_numIdEPKPS3_EEvT1_iilPiilS8_bb
	.p2align	8
	.type	_ZN9rocsolver6v33100L18getri_kernel_smallILi2E19rocblas_complex_numIdEPKPS3_EEvT1_iilPiilS8_bb,@function
_ZN9rocsolver6v33100L18getri_kernel_smallILi2E19rocblas_complex_numIdEPKPS3_EEvT1_iilPiilS8_bb: ; @_ZN9rocsolver6v33100L18getri_kernel_smallILi2E19rocblas_complex_numIdEPKPS3_EEvT1_iilPiilS8_bb
; %bb.0:
	v_and_b32_e32 v17, 0x3ff, v0
	s_mov_b32 s4, exec_lo
	s_delay_alu instid0(VALU_DEP_1)
	v_cmpx_gt_u32_e32 2, v17
	s_cbranch_execz .LBB65_22
; %bb.1:
	s_clause 0x1
	s_load_b32 s15, s[2:3], 0x38
	s_load_b64 s[8:9], s[2:3], 0x0
	s_mov_b32 s10, ttmp9
	s_load_b128 s[4:7], s[2:3], 0x28
	s_wait_kmcnt 0x0
	s_bitcmp1_b32 s15, 8
	s_cselect_b32 s14, -1, 0
	s_ashr_i32 s11, ttmp9, 31
	s_delay_alu instid0(SALU_CYCLE_1) | instskip(NEXT) | instid1(SALU_CYCLE_1)
	s_lshl_b64 s[12:13], s[10:11], 3
	s_add_nc_u64 s[8:9], s[8:9], s[12:13]
	s_load_b64 s[12:13], s[8:9], 0x0
	s_bfe_u32 s8, s15, 0x10008
	s_delay_alu instid0(SALU_CYCLE_1)
	s_cmp_eq_u32 s8, 0
                                        ; implicit-def: $sgpr8_sgpr9
	s_cbranch_scc1 .LBB65_3
; %bb.2:
	s_load_b96 s[16:18], s[2:3], 0x18
	s_mul_u64 s[4:5], s[4:5], s[10:11]
	s_delay_alu instid0(SALU_CYCLE_1)
	s_lshl_b64 s[4:5], s[4:5], 2
	s_wait_kmcnt 0x0
	s_ashr_i32 s9, s18, 31
	s_mov_b32 s8, s18
	s_add_nc_u64 s[4:5], s[16:17], s[4:5]
	s_lshl_b64 s[8:9], s[8:9], 2
	s_delay_alu instid0(SALU_CYCLE_1)
	s_add_nc_u64 s[8:9], s[4:5], s[8:9]
.LBB65_3:
	s_clause 0x1
	s_load_b64 s[4:5], s[2:3], 0x8
	s_load_b32 s15, s[2:3], 0x38
	v_lshlrev_b32_e32 v18, 4, v17
	s_wait_kmcnt 0x0
	s_ashr_i32 s3, s4, 31
	s_mov_b32 s2, s4
	s_ashr_i32 s17, s5, 31
	s_lshl_b64 s[2:3], s[2:3], 4
	s_mov_b32 s16, s5
	s_add_nc_u64 s[2:3], s[12:13], s[2:3]
	s_mov_b32 s4, 16
	v_add_co_u32 v13, s2, s2, v18
	s_wait_alu 0xf1ff
	v_add_co_ci_u32_e64 v14, null, s3, 0, s2
	s_lshl_b64 s[2:3], s[16:17], 4
	s_bitcmp0_b32 s15, 0
	s_wait_alu 0xfffe
	v_add_co_u32 v15, vcc_lo, v13, s2
	s_delay_alu instid0(VALU_DEP_1)
	v_add_co_ci_u32_e64 v16, null, s3, v14, vcc_lo
	s_clause 0x1
	flat_load_b128 v[1:4], v[13:14]
	flat_load_b128 v[5:8], v[15:16]
	s_mov_b32 s3, -1
	s_wait_loadcnt_dscnt 0x101
	scratch_store_b128 off, v[1:4], off
	s_wait_loadcnt_dscnt 0x0
	scratch_store_b128 off, v[5:8], off offset:16
	s_cbranch_scc1 .LBB65_20
; %bb.4:
	v_cmp_eq_u32_e64 s2, 0, v17
	s_and_saveexec_b32 s3, s2
; %bb.5:
	v_mov_b32_e32 v1, 0
	ds_store_b32 v1, v1 offset:64
; %bb.6:
	s_wait_alu 0xfffe
	s_or_b32 exec_lo, exec_lo, s3
	s_wait_storecnt_dscnt 0x0
	s_barrier_signal -1
	s_barrier_wait -1
	global_inv scope:SCOPE_SE
	scratch_load_b128 v[1:4], v18, off
	s_wait_loadcnt 0x0
	v_cmp_eq_f64_e32 vcc_lo, 0, v[1:2]
	v_cmp_eq_f64_e64 s3, 0, v[3:4]
	s_and_b32 s3, vcc_lo, s3
	s_wait_alu 0xfffe
	s_and_saveexec_b32 s5, s3
	s_cbranch_execz .LBB65_10
; %bb.7:
	v_mov_b32_e32 v1, 0
	s_mov_b32 s12, 0
	ds_load_b32 v2, v1 offset:64
	s_wait_dscnt 0x0
	v_readfirstlane_b32 s3, v2
	v_add_nc_u32_e32 v2, 1, v17
	s_cmp_eq_u32 s3, 0
	s_delay_alu instid0(VALU_DEP_1) | instskip(SKIP_1) | instid1(SALU_CYCLE_1)
	v_cmp_gt_i32_e32 vcc_lo, s3, v2
	s_cselect_b32 s13, -1, 0
	s_or_b32 s13, s13, vcc_lo
	s_delay_alu instid0(SALU_CYCLE_1)
	s_and_b32 exec_lo, exec_lo, s13
	s_cbranch_execz .LBB65_10
; %bb.8:
	v_mov_b32_e32 v3, s3
.LBB65_9:                               ; =>This Inner Loop Header: Depth=1
	ds_cmpstore_rtn_b32 v3, v1, v2, v3 offset:64
	s_wait_dscnt 0x0
	v_cmp_ne_u32_e32 vcc_lo, 0, v3
	v_cmp_le_i32_e64 s3, v3, v2
	s_and_b32 s3, vcc_lo, s3
	s_wait_alu 0xfffe
	s_and_b32 s3, exec_lo, s3
	s_wait_alu 0xfffe
	s_or_b32 s12, s3, s12
	s_delay_alu instid0(SALU_CYCLE_1)
	s_and_not1_b32 exec_lo, exec_lo, s12
	s_cbranch_execnz .LBB65_9
.LBB65_10:
	s_or_b32 exec_lo, exec_lo, s5
	v_mov_b32_e32 v1, 0
	s_barrier_signal -1
	s_barrier_wait -1
	global_inv scope:SCOPE_SE
	ds_load_b32 v2, v1 offset:64
	s_and_saveexec_b32 s3, s2
	s_cbranch_execz .LBB65_12
; %bb.11:
	s_lshl_b64 s[12:13], s[10:11], 2
	s_delay_alu instid0(SALU_CYCLE_1)
	s_add_nc_u64 s[12:13], s[6:7], s[12:13]
	s_wait_dscnt 0x0
	global_store_b32 v1, v2, s[12:13]
.LBB65_12:
	s_wait_alu 0xfffe
	s_or_b32 exec_lo, exec_lo, s3
	s_wait_dscnt 0x0
	v_cmp_ne_u32_e32 vcc_lo, 0, v2
	s_mov_b32 s3, 0
	s_cbranch_vccnz .LBB65_20
; %bb.13:
	v_mov_b32_e32 v11, v18
                                        ; implicit-def: $vgpr1_vgpr2
                                        ; implicit-def: $vgpr9_vgpr10
	scratch_load_b128 v[5:8], v11, off
	s_wait_loadcnt 0x0
	v_cmp_ngt_f64_e64 s3, |v[5:6]|, |v[7:8]|
	s_wait_alu 0xfffe
	s_and_saveexec_b32 s5, s3
	s_delay_alu instid0(SALU_CYCLE_1)
	s_xor_b32 s3, exec_lo, s5
	s_cbranch_execz .LBB65_15
; %bb.14:
	v_div_scale_f64 v[1:2], null, v[7:8], v[7:8], v[5:6]
	v_div_scale_f64 v[19:20], vcc_lo, v[5:6], v[7:8], v[5:6]
	s_delay_alu instid0(VALU_DEP_2) | instskip(NEXT) | instid1(TRANS32_DEP_1)
	v_rcp_f64_e32 v[3:4], v[1:2]
	v_fma_f64 v[9:10], -v[1:2], v[3:4], 1.0
	s_delay_alu instid0(VALU_DEP_1) | instskip(NEXT) | instid1(VALU_DEP_1)
	v_fma_f64 v[3:4], v[3:4], v[9:10], v[3:4]
	v_fma_f64 v[9:10], -v[1:2], v[3:4], 1.0
	s_delay_alu instid0(VALU_DEP_1) | instskip(NEXT) | instid1(VALU_DEP_1)
	v_fma_f64 v[3:4], v[3:4], v[9:10], v[3:4]
	v_mul_f64_e32 v[9:10], v[19:20], v[3:4]
	s_delay_alu instid0(VALU_DEP_1) | instskip(SKIP_1) | instid1(VALU_DEP_1)
	v_fma_f64 v[1:2], -v[1:2], v[9:10], v[19:20]
	s_wait_alu 0xfffd
	v_div_fmas_f64 v[1:2], v[1:2], v[3:4], v[9:10]
	s_delay_alu instid0(VALU_DEP_1) | instskip(NEXT) | instid1(VALU_DEP_1)
	v_div_fixup_f64 v[1:2], v[1:2], v[7:8], v[5:6]
	v_fma_f64 v[3:4], v[5:6], v[1:2], v[7:8]
	s_delay_alu instid0(VALU_DEP_1) | instskip(SKIP_1) | instid1(VALU_DEP_2)
	v_div_scale_f64 v[5:6], null, v[3:4], v[3:4], 1.0
	v_div_scale_f64 v[19:20], vcc_lo, 1.0, v[3:4], 1.0
	v_rcp_f64_e32 v[7:8], v[5:6]
	s_delay_alu instid0(TRANS32_DEP_1) | instskip(NEXT) | instid1(VALU_DEP_1)
	v_fma_f64 v[9:10], -v[5:6], v[7:8], 1.0
	v_fma_f64 v[7:8], v[7:8], v[9:10], v[7:8]
	s_delay_alu instid0(VALU_DEP_1) | instskip(NEXT) | instid1(VALU_DEP_1)
	v_fma_f64 v[9:10], -v[5:6], v[7:8], 1.0
	v_fma_f64 v[7:8], v[7:8], v[9:10], v[7:8]
	s_delay_alu instid0(VALU_DEP_1) | instskip(NEXT) | instid1(VALU_DEP_1)
	v_mul_f64_e32 v[9:10], v[19:20], v[7:8]
	v_fma_f64 v[5:6], -v[5:6], v[9:10], v[19:20]
	s_wait_alu 0xfffd
	s_delay_alu instid0(VALU_DEP_1) | instskip(NEXT) | instid1(VALU_DEP_1)
	v_div_fmas_f64 v[5:6], v[5:6], v[7:8], v[9:10]
	v_div_fixup_f64 v[3:4], v[5:6], v[3:4], 1.0
                                        ; implicit-def: $vgpr5_vgpr6
	s_delay_alu instid0(VALU_DEP_1) | instskip(SKIP_1) | instid1(VALU_DEP_2)
	v_mul_f64_e32 v[1:2], v[1:2], v[3:4]
	v_xor_b32_e32 v4, 0x80000000, v4
	v_xor_b32_e32 v10, 0x80000000, v2
	s_delay_alu instid0(VALU_DEP_3)
	v_mov_b32_e32 v9, v1
.LBB65_15:
	s_wait_alu 0xfffe
	s_and_not1_saveexec_b32 s3, s3
	s_cbranch_execz .LBB65_17
; %bb.16:
	v_div_scale_f64 v[1:2], null, v[5:6], v[5:6], v[7:8]
	v_div_scale_f64 v[19:20], vcc_lo, v[7:8], v[5:6], v[7:8]
	s_delay_alu instid0(VALU_DEP_2) | instskip(NEXT) | instid1(TRANS32_DEP_1)
	v_rcp_f64_e32 v[3:4], v[1:2]
	v_fma_f64 v[9:10], -v[1:2], v[3:4], 1.0
	s_delay_alu instid0(VALU_DEP_1) | instskip(NEXT) | instid1(VALU_DEP_1)
	v_fma_f64 v[3:4], v[3:4], v[9:10], v[3:4]
	v_fma_f64 v[9:10], -v[1:2], v[3:4], 1.0
	s_delay_alu instid0(VALU_DEP_1) | instskip(NEXT) | instid1(VALU_DEP_1)
	v_fma_f64 v[3:4], v[3:4], v[9:10], v[3:4]
	v_mul_f64_e32 v[9:10], v[19:20], v[3:4]
	s_delay_alu instid0(VALU_DEP_1) | instskip(SKIP_1) | instid1(VALU_DEP_1)
	v_fma_f64 v[1:2], -v[1:2], v[9:10], v[19:20]
	s_wait_alu 0xfffd
	v_div_fmas_f64 v[1:2], v[1:2], v[3:4], v[9:10]
	s_delay_alu instid0(VALU_DEP_1) | instskip(NEXT) | instid1(VALU_DEP_1)
	v_div_fixup_f64 v[3:4], v[1:2], v[5:6], v[7:8]
	v_fma_f64 v[1:2], v[7:8], v[3:4], v[5:6]
	s_delay_alu instid0(VALU_DEP_1) | instskip(NEXT) | instid1(VALU_DEP_1)
	v_div_scale_f64 v[5:6], null, v[1:2], v[1:2], 1.0
	v_rcp_f64_e32 v[7:8], v[5:6]
	s_delay_alu instid0(TRANS32_DEP_1) | instskip(NEXT) | instid1(VALU_DEP_1)
	v_fma_f64 v[9:10], -v[5:6], v[7:8], 1.0
	v_fma_f64 v[7:8], v[7:8], v[9:10], v[7:8]
	s_delay_alu instid0(VALU_DEP_1) | instskip(NEXT) | instid1(VALU_DEP_1)
	v_fma_f64 v[9:10], -v[5:6], v[7:8], 1.0
	v_fma_f64 v[7:8], v[7:8], v[9:10], v[7:8]
	v_div_scale_f64 v[9:10], vcc_lo, 1.0, v[1:2], 1.0
	s_delay_alu instid0(VALU_DEP_1) | instskip(NEXT) | instid1(VALU_DEP_1)
	v_mul_f64_e32 v[19:20], v[9:10], v[7:8]
	v_fma_f64 v[5:6], -v[5:6], v[19:20], v[9:10]
	s_wait_alu 0xfffd
	s_delay_alu instid0(VALU_DEP_1) | instskip(NEXT) | instid1(VALU_DEP_1)
	v_div_fmas_f64 v[5:6], v[5:6], v[7:8], v[19:20]
	v_div_fixup_f64 v[1:2], v[5:6], v[1:2], 1.0
	s_delay_alu instid0(VALU_DEP_1)
	v_mul_f64_e64 v[3:4], v[3:4], -v[1:2]
	v_xor_b32_e32 v10, 0x80000000, v2
	v_mov_b32_e32 v9, v1
.LBB65_17:
	s_wait_alu 0xfffe
	s_or_b32 exec_lo, exec_lo, s3
	scratch_store_b128 v11, v[1:4], off
	scratch_load_b128 v[5:8], off, s4
	v_xor_b32_e32 v12, 0x80000000, v4
	v_mov_b32_e32 v11, v3
	ds_store_b128 v18, v[9:12]
	s_wait_loadcnt 0x0
	ds_store_b128 v18, v[5:8] offset:32
	s_wait_storecnt_dscnt 0x0
	s_barrier_signal -1
	s_barrier_wait -1
	global_inv scope:SCOPE_SE
	s_and_saveexec_b32 s3, s2
	s_cbranch_execz .LBB65_19
; %bb.18:
	scratch_load_b128 v[1:4], off, off
	v_mov_b32_e32 v11, 0
	ds_load_b128 v[5:8], v11 offset:32
	s_wait_loadcnt_dscnt 0x0
	v_mul_f64_e32 v[9:10], v[5:6], v[3:4]
	v_mul_f64_e32 v[3:4], v[7:8], v[3:4]
	s_delay_alu instid0(VALU_DEP_2) | instskip(NEXT) | instid1(VALU_DEP_2)
	v_fma_f64 v[7:8], v[7:8], v[1:2], v[9:10]
	v_fma_f64 v[1:2], v[5:6], v[1:2], -v[3:4]
	s_delay_alu instid0(VALU_DEP_2) | instskip(NEXT) | instid1(VALU_DEP_2)
	v_add_f64_e32 v[5:6], 0, v[7:8]
	v_add_f64_e32 v[7:8], 0, v[1:2]
	ds_load_b128 v[1:4], v11 offset:16
	s_wait_dscnt 0x0
	v_mul_f64_e32 v[9:10], v[5:6], v[3:4]
	v_mul_f64_e32 v[11:12], v[7:8], v[3:4]
	s_delay_alu instid0(VALU_DEP_2) | instskip(NEXT) | instid1(VALU_DEP_2)
	v_fma_f64 v[3:4], v[7:8], v[1:2], -v[9:10]
	v_fma_f64 v[5:6], v[5:6], v[1:2], v[11:12]
	scratch_store_b128 off, v[3:6], off offset:16
.LBB65_19:
	s_wait_alu 0xfffe
	s_or_b32 exec_lo, exec_lo, s3
	s_mov_b32 s3, -1
	s_wait_loadcnt 0x0
	s_wait_storecnt 0x0
	s_barrier_signal -1
	s_barrier_wait -1
	global_inv scope:SCOPE_SE
.LBB65_20:
	s_wait_alu 0xfffe
	s_and_b32 vcc_lo, exec_lo, s3
	s_wait_alu 0xfffe
	s_cbranch_vccz .LBB65_22
; %bb.21:
	v_mov_b32_e32 v1, 0
	s_lshl_b64 s[2:3], s[10:11], 2
	s_wait_alu 0xfffe
	s_add_nc_u64 s[2:3], s[6:7], s[2:3]
	global_load_b32 v1, v1, s[2:3]
	s_wait_loadcnt 0x0
	v_cmp_ne_u32_e32 vcc_lo, 0, v1
	s_cbranch_vccz .LBB65_23
.LBB65_22:
	s_endpgm
.LBB65_23:
	s_mov_b32 s2, exec_lo
	v_cmpx_eq_u32_e32 1, v17
	s_cbranch_execz .LBB65_25
; %bb.24:
	scratch_load_b128 v[1:4], off, off
	v_mov_b32_e32 v5, 0
	s_delay_alu instid0(VALU_DEP_1)
	v_dual_mov_b32 v6, v5 :: v_dual_mov_b32 v7, v5
	v_mov_b32_e32 v8, v5
	scratch_store_b128 off, v[5:8], off
	s_wait_loadcnt 0x0
	ds_store_b128 v5, v[1:4] offset:48
.LBB65_25:
	s_wait_alu 0xfffe
	s_or_b32 exec_lo, exec_lo, s2
	s_wait_storecnt_dscnt 0x0
	s_barrier_signal -1
	s_barrier_wait -1
	global_inv scope:SCOPE_SE
	s_clause 0x1
	scratch_load_b128 v[2:5], off, off offset:16
	scratch_load_b128 v[6:9], off, off
	v_mov_b32_e32 v1, 0
	s_and_b32 vcc_lo, exec_lo, s14
	ds_load_b128 v[18:21], v1 offset:48
	s_wait_loadcnt_dscnt 0x100
	v_mul_f64_e32 v[10:11], v[20:21], v[4:5]
	v_mul_f64_e32 v[4:5], v[18:19], v[4:5]
	s_delay_alu instid0(VALU_DEP_2) | instskip(NEXT) | instid1(VALU_DEP_2)
	v_fma_f64 v[10:11], v[18:19], v[2:3], -v[10:11]
	v_fma_f64 v[2:3], v[20:21], v[2:3], v[4:5]
	s_delay_alu instid0(VALU_DEP_2) | instskip(NEXT) | instid1(VALU_DEP_2)
	v_add_f64_e32 v[4:5], 0, v[10:11]
	v_add_f64_e32 v[10:11], 0, v[2:3]
	s_wait_loadcnt 0x0
	s_delay_alu instid0(VALU_DEP_2) | instskip(NEXT) | instid1(VALU_DEP_2)
	v_add_f64_e64 v[2:3], v[6:7], -v[4:5]
	v_add_f64_e64 v[4:5], v[8:9], -v[10:11]
	scratch_store_b128 off, v[2:5], off
	s_wait_alu 0xfffe
	s_cbranch_vccz .LBB65_28
; %bb.26:
	global_load_b32 v1, v1, s[8:9]
	s_wait_loadcnt 0x0
	v_cmp_ne_u32_e32 vcc_lo, 1, v1
	s_cbranch_vccz .LBB65_28
; %bb.27:
	v_lshlrev_b32_e32 v1, 4, v1
	s_load_b64 s[0:1], s[0:1], 0x4
	v_bfe_u32 v10, v0, 10, 10
	v_bfe_u32 v0, v0, 20, 10
	s_delay_alu instid0(VALU_DEP_3)
	v_mov_b32_e32 v9, v1
	scratch_load_b128 v[1:4], off, off
	scratch_load_b128 v[5:8], v9, off offset:-16
	s_wait_kmcnt 0x0
	v_mul_u32_u24_e32 v10, s1, v10
	s_lshr_b32 s0, s0, 16
	s_wait_alu 0xfffe
	s_mul_i32 s0, s0, s1
	s_wait_alu 0xfffe
	v_mad_u32_u24 v10, s0, v17, v10
	s_delay_alu instid0(VALU_DEP_1)
	v_add_lshl_u32 v0, v10, v0, 4
	s_wait_loadcnt 0x1
	ds_store_2addr_b64 v0, v[1:2], v[3:4] offset0:9 offset1:10
	s_wait_loadcnt 0x0
	scratch_store_b128 off, v[5:8], off
	scratch_store_b128 v9, v[1:4], off offset:-16
.LBB65_28:
	scratch_load_b128 v[0:3], off, off
	scratch_load_b128 v[4:7], off, s4
	s_wait_loadcnt 0x1
	flat_store_b128 v[13:14], v[0:3]
	s_wait_loadcnt 0x0
	flat_store_b128 v[15:16], v[4:7]
	s_endpgm
	.section	.rodata,"a",@progbits
	.p2align	6, 0x0
	.amdhsa_kernel _ZN9rocsolver6v33100L18getri_kernel_smallILi2E19rocblas_complex_numIdEPKPS3_EEvT1_iilPiilS8_bb
		.amdhsa_group_segment_fixed_size 1096
		.amdhsa_private_segment_fixed_size 48
		.amdhsa_kernarg_size 60
		.amdhsa_user_sgpr_count 4
		.amdhsa_user_sgpr_dispatch_ptr 1
		.amdhsa_user_sgpr_queue_ptr 0
		.amdhsa_user_sgpr_kernarg_segment_ptr 1
		.amdhsa_user_sgpr_dispatch_id 0
		.amdhsa_user_sgpr_private_segment_size 0
		.amdhsa_wavefront_size32 1
		.amdhsa_uses_dynamic_stack 0
		.amdhsa_enable_private_segment 1
		.amdhsa_system_sgpr_workgroup_id_x 1
		.amdhsa_system_sgpr_workgroup_id_y 0
		.amdhsa_system_sgpr_workgroup_id_z 0
		.amdhsa_system_sgpr_workgroup_info 0
		.amdhsa_system_vgpr_workitem_id 2
		.amdhsa_next_free_vgpr 22
		.amdhsa_next_free_sgpr 19
		.amdhsa_reserve_vcc 1
		.amdhsa_float_round_mode_32 0
		.amdhsa_float_round_mode_16_64 0
		.amdhsa_float_denorm_mode_32 3
		.amdhsa_float_denorm_mode_16_64 3
		.amdhsa_fp16_overflow 0
		.amdhsa_workgroup_processor_mode 1
		.amdhsa_memory_ordered 1
		.amdhsa_forward_progress 1
		.amdhsa_inst_pref_size 16
		.amdhsa_round_robin_scheduling 0
		.amdhsa_exception_fp_ieee_invalid_op 0
		.amdhsa_exception_fp_denorm_src 0
		.amdhsa_exception_fp_ieee_div_zero 0
		.amdhsa_exception_fp_ieee_overflow 0
		.amdhsa_exception_fp_ieee_underflow 0
		.amdhsa_exception_fp_ieee_inexact 0
		.amdhsa_exception_int_div_zero 0
	.end_amdhsa_kernel
	.section	.text._ZN9rocsolver6v33100L18getri_kernel_smallILi2E19rocblas_complex_numIdEPKPS3_EEvT1_iilPiilS8_bb,"axG",@progbits,_ZN9rocsolver6v33100L18getri_kernel_smallILi2E19rocblas_complex_numIdEPKPS3_EEvT1_iilPiilS8_bb,comdat
.Lfunc_end65:
	.size	_ZN9rocsolver6v33100L18getri_kernel_smallILi2E19rocblas_complex_numIdEPKPS3_EEvT1_iilPiilS8_bb, .Lfunc_end65-_ZN9rocsolver6v33100L18getri_kernel_smallILi2E19rocblas_complex_numIdEPKPS3_EEvT1_iilPiilS8_bb
                                        ; -- End function
	.set _ZN9rocsolver6v33100L18getri_kernel_smallILi2E19rocblas_complex_numIdEPKPS3_EEvT1_iilPiilS8_bb.num_vgpr, 22
	.set _ZN9rocsolver6v33100L18getri_kernel_smallILi2E19rocblas_complex_numIdEPKPS3_EEvT1_iilPiilS8_bb.num_agpr, 0
	.set _ZN9rocsolver6v33100L18getri_kernel_smallILi2E19rocblas_complex_numIdEPKPS3_EEvT1_iilPiilS8_bb.numbered_sgpr, 19
	.set _ZN9rocsolver6v33100L18getri_kernel_smallILi2E19rocblas_complex_numIdEPKPS3_EEvT1_iilPiilS8_bb.num_named_barrier, 0
	.set _ZN9rocsolver6v33100L18getri_kernel_smallILi2E19rocblas_complex_numIdEPKPS3_EEvT1_iilPiilS8_bb.private_seg_size, 48
	.set _ZN9rocsolver6v33100L18getri_kernel_smallILi2E19rocblas_complex_numIdEPKPS3_EEvT1_iilPiilS8_bb.uses_vcc, 1
	.set _ZN9rocsolver6v33100L18getri_kernel_smallILi2E19rocblas_complex_numIdEPKPS3_EEvT1_iilPiilS8_bb.uses_flat_scratch, 1
	.set _ZN9rocsolver6v33100L18getri_kernel_smallILi2E19rocblas_complex_numIdEPKPS3_EEvT1_iilPiilS8_bb.has_dyn_sized_stack, 0
	.set _ZN9rocsolver6v33100L18getri_kernel_smallILi2E19rocblas_complex_numIdEPKPS3_EEvT1_iilPiilS8_bb.has_recursion, 0
	.set _ZN9rocsolver6v33100L18getri_kernel_smallILi2E19rocblas_complex_numIdEPKPS3_EEvT1_iilPiilS8_bb.has_indirect_call, 0
	.section	.AMDGPU.csdata,"",@progbits
; Kernel info:
; codeLenInByte = 1976
; TotalNumSgprs: 21
; NumVgprs: 22
; ScratchSize: 48
; MemoryBound: 0
; FloatMode: 240
; IeeeMode: 1
; LDSByteSize: 1096 bytes/workgroup (compile time only)
; SGPRBlocks: 0
; VGPRBlocks: 2
; NumSGPRsForWavesPerEU: 21
; NumVGPRsForWavesPerEU: 22
; Occupancy: 16
; WaveLimiterHint : 1
; COMPUTE_PGM_RSRC2:SCRATCH_EN: 1
; COMPUTE_PGM_RSRC2:USER_SGPR: 4
; COMPUTE_PGM_RSRC2:TRAP_HANDLER: 0
; COMPUTE_PGM_RSRC2:TGID_X_EN: 1
; COMPUTE_PGM_RSRC2:TGID_Y_EN: 0
; COMPUTE_PGM_RSRC2:TGID_Z_EN: 0
; COMPUTE_PGM_RSRC2:TIDIG_COMP_CNT: 2
	.section	.text._ZN9rocsolver6v33100L18getri_kernel_smallILi3E19rocblas_complex_numIdEPKPS3_EEvT1_iilPiilS8_bb,"axG",@progbits,_ZN9rocsolver6v33100L18getri_kernel_smallILi3E19rocblas_complex_numIdEPKPS3_EEvT1_iilPiilS8_bb,comdat
	.globl	_ZN9rocsolver6v33100L18getri_kernel_smallILi3E19rocblas_complex_numIdEPKPS3_EEvT1_iilPiilS8_bb ; -- Begin function _ZN9rocsolver6v33100L18getri_kernel_smallILi3E19rocblas_complex_numIdEPKPS3_EEvT1_iilPiilS8_bb
	.p2align	8
	.type	_ZN9rocsolver6v33100L18getri_kernel_smallILi3E19rocblas_complex_numIdEPKPS3_EEvT1_iilPiilS8_bb,@function
_ZN9rocsolver6v33100L18getri_kernel_smallILi3E19rocblas_complex_numIdEPKPS3_EEvT1_iilPiilS8_bb: ; @_ZN9rocsolver6v33100L18getri_kernel_smallILi3E19rocblas_complex_numIdEPKPS3_EEvT1_iilPiilS8_bb
; %bb.0:
	s_mov_b32 s2, exec_lo
	v_cmpx_gt_u32_e32 3, v0
	s_cbranch_execz .LBB66_26
; %bb.1:
	s_clause 0x1
	s_load_b32 s13, s[0:1], 0x38
	s_load_b64 s[2:3], s[0:1], 0x0
	s_mov_b32 s8, ttmp9
	s_load_b128 s[4:7], s[0:1], 0x28
	s_wait_kmcnt 0x0
	s_bitcmp1_b32 s13, 8
	s_cselect_b32 s12, -1, 0
	s_ashr_i32 s9, ttmp9, 31
	s_delay_alu instid0(SALU_CYCLE_1) | instskip(NEXT) | instid1(SALU_CYCLE_1)
	s_lshl_b64 s[10:11], s[8:9], 3
	s_add_nc_u64 s[2:3], s[2:3], s[10:11]
	s_load_b64 s[10:11], s[2:3], 0x0
	s_bfe_u32 s2, s13, 0x10008
	s_delay_alu instid0(SALU_CYCLE_1)
	s_cmp_eq_u32 s2, 0
                                        ; implicit-def: $sgpr2_sgpr3
	s_cbranch_scc1 .LBB66_3
; %bb.2:
	s_load_b96 s[16:18], s[0:1], 0x18
	s_mul_u64 s[2:3], s[4:5], s[8:9]
	s_delay_alu instid0(SALU_CYCLE_1)
	s_lshl_b64 s[2:3], s[2:3], 2
	s_wait_kmcnt 0x0
	s_ashr_i32 s5, s18, 31
	s_mov_b32 s4, s18
	s_add_nc_u64 s[2:3], s[16:17], s[2:3]
	s_lshl_b64 s[4:5], s[4:5], 2
	s_delay_alu instid0(SALU_CYCLE_1)
	s_add_nc_u64 s[2:3], s[2:3], s[4:5]
.LBB66_3:
	s_clause 0x1
	s_load_b64 s[4:5], s[0:1], 0x8
	s_load_b32 s13, s[0:1], 0x38
	v_lshlrev_b32_e32 v19, 4, v0
	s_wait_kmcnt 0x0
	v_add3_u32 v1, s5, s5, v0
	s_ashr_i32 s1, s4, 31
	s_mov_b32 s0, s4
	s_ashr_i32 s15, s5, 31
	s_lshl_b64 s[0:1], s[0:1], 4
	v_ashrrev_i32_e32 v2, 31, v1
	s_add_nc_u64 s[0:1], s[10:11], s[0:1]
	s_mov_b32 s14, s5
	v_add_co_u32 v13, s10, s0, v19
	s_delay_alu instid0(VALU_DEP_2)
	v_lshlrev_b64_e32 v[1:2], 4, v[1:2]
	v_add_co_ci_u32_e64 v14, null, s1, 0, s10
	s_lshl_b64 s[4:5], s[14:15], 4
	s_bitcmp0_b32 s13, 0
	s_wait_alu 0xfffe
	v_add_co_u32 v15, vcc_lo, v13, s4
	s_delay_alu instid0(VALU_DEP_1)
	v_add_co_ci_u32_e64 v16, null, s5, v14, vcc_lo
	v_add_co_u32 v17, vcc_lo, s0, v1
	s_wait_alu 0xfffd
	v_add_co_ci_u32_e64 v18, null, s1, v2, vcc_lo
	s_clause 0x2
	flat_load_b128 v[1:4], v[13:14]
	flat_load_b128 v[5:8], v[15:16]
	;; [unrolled: 1-line block ×3, first 2 shown]
	s_mov_b32 s4, 32
	s_mov_b32 s5, 48
	s_mov_b32 s1, -1
	s_wait_loadcnt_dscnt 0x202
	scratch_store_b128 off, v[1:4], off offset:16
	s_wait_loadcnt_dscnt 0x101
	scratch_store_b128 off, v[5:8], off offset:32
	;; [unrolled: 2-line block ×3, first 2 shown]
	s_cbranch_scc1 .LBB66_24
; %bb.4:
	v_cmp_eq_u32_e64 s0, 0, v0
	s_and_saveexec_b32 s1, s0
; %bb.5:
	v_mov_b32_e32 v1, 0
	ds_store_b32 v1, v1 offset:96
; %bb.6:
	s_wait_alu 0xfffe
	s_or_b32 exec_lo, exec_lo, s1
	s_wait_storecnt_dscnt 0x0
	s_barrier_signal -1
	s_barrier_wait -1
	global_inv scope:SCOPE_SE
	scratch_load_b128 v[1:4], v19, off offset:16
	s_wait_loadcnt 0x0
	v_cmp_eq_f64_e32 vcc_lo, 0, v[1:2]
	v_cmp_eq_f64_e64 s1, 0, v[3:4]
	s_and_b32 s1, vcc_lo, s1
	s_wait_alu 0xfffe
	s_and_saveexec_b32 s10, s1
	s_cbranch_execz .LBB66_10
; %bb.7:
	v_mov_b32_e32 v1, 0
	s_mov_b32 s11, 0
	ds_load_b32 v2, v1 offset:96
	s_wait_dscnt 0x0
	v_readfirstlane_b32 s1, v2
	v_add_nc_u32_e32 v2, 1, v0
	s_cmp_eq_u32 s1, 0
	s_delay_alu instid0(VALU_DEP_1) | instskip(SKIP_1) | instid1(SALU_CYCLE_1)
	v_cmp_gt_i32_e32 vcc_lo, s1, v2
	s_cselect_b32 s13, -1, 0
	s_or_b32 s13, s13, vcc_lo
	s_delay_alu instid0(SALU_CYCLE_1)
	s_and_b32 exec_lo, exec_lo, s13
	s_cbranch_execz .LBB66_10
; %bb.8:
	v_mov_b32_e32 v3, s1
.LBB66_9:                               ; =>This Inner Loop Header: Depth=1
	ds_cmpstore_rtn_b32 v3, v1, v2, v3 offset:96
	s_wait_dscnt 0x0
	v_cmp_ne_u32_e32 vcc_lo, 0, v3
	v_cmp_le_i32_e64 s1, v3, v2
	s_and_b32 s1, vcc_lo, s1
	s_wait_alu 0xfffe
	s_and_b32 s1, exec_lo, s1
	s_wait_alu 0xfffe
	s_or_b32 s11, s1, s11
	s_wait_alu 0xfffe
	s_and_not1_b32 exec_lo, exec_lo, s11
	s_cbranch_execnz .LBB66_9
.LBB66_10:
	s_wait_alu 0xfffe
	s_or_b32 exec_lo, exec_lo, s10
	v_mov_b32_e32 v1, 0
	s_barrier_signal -1
	s_barrier_wait -1
	global_inv scope:SCOPE_SE
	ds_load_b32 v2, v1 offset:96
	s_and_saveexec_b32 s1, s0
	s_cbranch_execz .LBB66_12
; %bb.11:
	s_lshl_b64 s[10:11], s[8:9], 2
	s_wait_alu 0xfffe
	s_add_nc_u64 s[10:11], s[6:7], s[10:11]
	s_wait_dscnt 0x0
	global_store_b32 v1, v2, s[10:11]
.LBB66_12:
	s_wait_alu 0xfffe
	s_or_b32 exec_lo, exec_lo, s1
	s_wait_dscnt 0x0
	v_cmp_ne_u32_e32 vcc_lo, 0, v2
	s_mov_b32 s1, 0
	s_cbranch_vccnz .LBB66_24
; %bb.13:
	v_add_nc_u32_e32 v20, 16, v19
                                        ; implicit-def: $vgpr1_vgpr2
                                        ; implicit-def: $vgpr9_vgpr10
	scratch_load_b128 v[5:8], v20, off
	s_wait_loadcnt 0x0
	v_cmp_ngt_f64_e64 s1, |v[5:6]|, |v[7:8]|
	s_wait_alu 0xfffe
	s_and_saveexec_b32 s10, s1
	s_wait_alu 0xfffe
	s_xor_b32 s1, exec_lo, s10
	s_cbranch_execz .LBB66_15
; %bb.14:
	v_div_scale_f64 v[1:2], null, v[7:8], v[7:8], v[5:6]
	v_div_scale_f64 v[11:12], vcc_lo, v[5:6], v[7:8], v[5:6]
	s_delay_alu instid0(VALU_DEP_2) | instskip(NEXT) | instid1(TRANS32_DEP_1)
	v_rcp_f64_e32 v[3:4], v[1:2]
	v_fma_f64 v[9:10], -v[1:2], v[3:4], 1.0
	s_delay_alu instid0(VALU_DEP_1) | instskip(NEXT) | instid1(VALU_DEP_1)
	v_fma_f64 v[3:4], v[3:4], v[9:10], v[3:4]
	v_fma_f64 v[9:10], -v[1:2], v[3:4], 1.0
	s_delay_alu instid0(VALU_DEP_1) | instskip(NEXT) | instid1(VALU_DEP_1)
	v_fma_f64 v[3:4], v[3:4], v[9:10], v[3:4]
	v_mul_f64_e32 v[9:10], v[11:12], v[3:4]
	s_delay_alu instid0(VALU_DEP_1) | instskip(SKIP_1) | instid1(VALU_DEP_1)
	v_fma_f64 v[1:2], -v[1:2], v[9:10], v[11:12]
	s_wait_alu 0xfffd
	v_div_fmas_f64 v[1:2], v[1:2], v[3:4], v[9:10]
	s_delay_alu instid0(VALU_DEP_1) | instskip(NEXT) | instid1(VALU_DEP_1)
	v_div_fixup_f64 v[1:2], v[1:2], v[7:8], v[5:6]
	v_fma_f64 v[3:4], v[5:6], v[1:2], v[7:8]
	s_delay_alu instid0(VALU_DEP_1) | instskip(SKIP_1) | instid1(VALU_DEP_2)
	v_div_scale_f64 v[5:6], null, v[3:4], v[3:4], 1.0
	v_div_scale_f64 v[11:12], vcc_lo, 1.0, v[3:4], 1.0
	v_rcp_f64_e32 v[7:8], v[5:6]
	s_delay_alu instid0(TRANS32_DEP_1) | instskip(NEXT) | instid1(VALU_DEP_1)
	v_fma_f64 v[9:10], -v[5:6], v[7:8], 1.0
	v_fma_f64 v[7:8], v[7:8], v[9:10], v[7:8]
	s_delay_alu instid0(VALU_DEP_1) | instskip(NEXT) | instid1(VALU_DEP_1)
	v_fma_f64 v[9:10], -v[5:6], v[7:8], 1.0
	v_fma_f64 v[7:8], v[7:8], v[9:10], v[7:8]
	s_delay_alu instid0(VALU_DEP_1) | instskip(NEXT) | instid1(VALU_DEP_1)
	v_mul_f64_e32 v[9:10], v[11:12], v[7:8]
	v_fma_f64 v[5:6], -v[5:6], v[9:10], v[11:12]
	s_wait_alu 0xfffd
	s_delay_alu instid0(VALU_DEP_1) | instskip(NEXT) | instid1(VALU_DEP_1)
	v_div_fmas_f64 v[5:6], v[5:6], v[7:8], v[9:10]
	v_div_fixup_f64 v[3:4], v[5:6], v[3:4], 1.0
                                        ; implicit-def: $vgpr5_vgpr6
	s_delay_alu instid0(VALU_DEP_1) | instskip(SKIP_1) | instid1(VALU_DEP_2)
	v_mul_f64_e32 v[1:2], v[1:2], v[3:4]
	v_xor_b32_e32 v4, 0x80000000, v4
	v_xor_b32_e32 v10, 0x80000000, v2
	s_delay_alu instid0(VALU_DEP_3)
	v_mov_b32_e32 v9, v1
.LBB66_15:
	s_wait_alu 0xfffe
	s_and_not1_saveexec_b32 s1, s1
	s_cbranch_execz .LBB66_17
; %bb.16:
	v_div_scale_f64 v[1:2], null, v[5:6], v[5:6], v[7:8]
	v_div_scale_f64 v[11:12], vcc_lo, v[7:8], v[5:6], v[7:8]
	s_delay_alu instid0(VALU_DEP_2) | instskip(NEXT) | instid1(TRANS32_DEP_1)
	v_rcp_f64_e32 v[3:4], v[1:2]
	v_fma_f64 v[9:10], -v[1:2], v[3:4], 1.0
	s_delay_alu instid0(VALU_DEP_1) | instskip(NEXT) | instid1(VALU_DEP_1)
	v_fma_f64 v[3:4], v[3:4], v[9:10], v[3:4]
	v_fma_f64 v[9:10], -v[1:2], v[3:4], 1.0
	s_delay_alu instid0(VALU_DEP_1) | instskip(NEXT) | instid1(VALU_DEP_1)
	v_fma_f64 v[3:4], v[3:4], v[9:10], v[3:4]
	v_mul_f64_e32 v[9:10], v[11:12], v[3:4]
	s_delay_alu instid0(VALU_DEP_1) | instskip(SKIP_1) | instid1(VALU_DEP_1)
	v_fma_f64 v[1:2], -v[1:2], v[9:10], v[11:12]
	s_wait_alu 0xfffd
	v_div_fmas_f64 v[1:2], v[1:2], v[3:4], v[9:10]
	s_delay_alu instid0(VALU_DEP_1) | instskip(NEXT) | instid1(VALU_DEP_1)
	v_div_fixup_f64 v[3:4], v[1:2], v[5:6], v[7:8]
	v_fma_f64 v[1:2], v[7:8], v[3:4], v[5:6]
	s_delay_alu instid0(VALU_DEP_1) | instskip(NEXT) | instid1(VALU_DEP_1)
	v_div_scale_f64 v[5:6], null, v[1:2], v[1:2], 1.0
	v_rcp_f64_e32 v[7:8], v[5:6]
	s_delay_alu instid0(TRANS32_DEP_1) | instskip(NEXT) | instid1(VALU_DEP_1)
	v_fma_f64 v[9:10], -v[5:6], v[7:8], 1.0
	v_fma_f64 v[7:8], v[7:8], v[9:10], v[7:8]
	s_delay_alu instid0(VALU_DEP_1) | instskip(NEXT) | instid1(VALU_DEP_1)
	v_fma_f64 v[9:10], -v[5:6], v[7:8], 1.0
	v_fma_f64 v[7:8], v[7:8], v[9:10], v[7:8]
	v_div_scale_f64 v[9:10], vcc_lo, 1.0, v[1:2], 1.0
	s_delay_alu instid0(VALU_DEP_1) | instskip(NEXT) | instid1(VALU_DEP_1)
	v_mul_f64_e32 v[11:12], v[9:10], v[7:8]
	v_fma_f64 v[5:6], -v[5:6], v[11:12], v[9:10]
	s_wait_alu 0xfffd
	s_delay_alu instid0(VALU_DEP_1) | instskip(NEXT) | instid1(VALU_DEP_1)
	v_div_fmas_f64 v[5:6], v[5:6], v[7:8], v[11:12]
	v_div_fixup_f64 v[1:2], v[5:6], v[1:2], 1.0
	s_delay_alu instid0(VALU_DEP_1)
	v_mul_f64_e64 v[3:4], v[3:4], -v[1:2]
	v_xor_b32_e32 v10, 0x80000000, v2
	v_mov_b32_e32 v9, v1
.LBB66_17:
	s_wait_alu 0xfffe
	s_or_b32 exec_lo, exec_lo, s1
	scratch_store_b128 v20, v[1:4], off
	scratch_load_b128 v[5:8], off, s4
	v_xor_b32_e32 v12, 0x80000000, v4
	v_mov_b32_e32 v11, v3
	v_add_nc_u32_e32 v1, 48, v19
	ds_store_b128 v19, v[9:12]
	s_wait_loadcnt 0x0
	ds_store_b128 v19, v[5:8] offset:48
	s_wait_storecnt_dscnt 0x0
	s_barrier_signal -1
	s_barrier_wait -1
	global_inv scope:SCOPE_SE
	s_and_saveexec_b32 s1, s0
	s_cbranch_execz .LBB66_19
; %bb.18:
	scratch_load_b128 v[2:5], v20, off
	ds_load_b128 v[6:9], v1
	v_mov_b32_e32 v10, 0
	ds_load_b128 v[21:24], v10 offset:16
	s_wait_loadcnt_dscnt 0x1
	v_mul_f64_e32 v[10:11], v[6:7], v[4:5]
	v_mul_f64_e32 v[4:5], v[8:9], v[4:5]
	s_delay_alu instid0(VALU_DEP_2) | instskip(NEXT) | instid1(VALU_DEP_2)
	v_fma_f64 v[8:9], v[8:9], v[2:3], v[10:11]
	v_fma_f64 v[2:3], v[6:7], v[2:3], -v[4:5]
	s_delay_alu instid0(VALU_DEP_2) | instskip(NEXT) | instid1(VALU_DEP_2)
	v_add_f64_e32 v[4:5], 0, v[8:9]
	v_add_f64_e32 v[2:3], 0, v[2:3]
	s_wait_dscnt 0x0
	s_delay_alu instid0(VALU_DEP_2) | instskip(NEXT) | instid1(VALU_DEP_2)
	v_mul_f64_e32 v[6:7], v[4:5], v[23:24]
	v_mul_f64_e32 v[8:9], v[2:3], v[23:24]
	s_delay_alu instid0(VALU_DEP_2) | instskip(NEXT) | instid1(VALU_DEP_2)
	v_fma_f64 v[2:3], v[2:3], v[21:22], -v[6:7]
	v_fma_f64 v[4:5], v[4:5], v[21:22], v[8:9]
	scratch_store_b128 off, v[2:5], off offset:32
.LBB66_19:
	s_wait_alu 0xfffe
	s_or_b32 exec_lo, exec_lo, s1
	s_wait_loadcnt 0x0
	s_wait_storecnt 0x0
	s_barrier_signal -1
	s_barrier_wait -1
	global_inv scope:SCOPE_SE
	scratch_load_b128 v[2:5], off, s5
	s_mov_b32 s1, exec_lo
	s_wait_loadcnt 0x0
	ds_store_b128 v1, v[2:5]
	s_wait_dscnt 0x0
	s_barrier_signal -1
	s_barrier_wait -1
	global_inv scope:SCOPE_SE
	v_cmpx_ne_u32_e32 2, v0
	s_cbranch_execz .LBB66_23
; %bb.20:
	scratch_load_b128 v[2:5], v20, off
	ds_load_b128 v[6:9], v1
	s_wait_loadcnt_dscnt 0x0
	v_mul_f64_e32 v[10:11], v[8:9], v[4:5]
	v_mul_f64_e32 v[4:5], v[6:7], v[4:5]
	s_delay_alu instid0(VALU_DEP_2) | instskip(NEXT) | instid1(VALU_DEP_2)
	v_fma_f64 v[6:7], v[6:7], v[2:3], -v[10:11]
	v_fma_f64 v[3:4], v[8:9], v[2:3], v[4:5]
	s_delay_alu instid0(VALU_DEP_2) | instskip(NEXT) | instid1(VALU_DEP_2)
	v_add_f64_e32 v[1:2], 0, v[6:7]
	v_add_f64_e32 v[3:4], 0, v[3:4]
	s_and_saveexec_b32 s10, s0
	s_cbranch_execz .LBB66_22
; %bb.21:
	scratch_load_b128 v[5:8], off, off offset:32
	v_mov_b32_e32 v9, 0
	ds_load_b128 v[9:12], v9 offset:64
	s_wait_loadcnt_dscnt 0x0
	v_mul_f64_e32 v[19:20], v[9:10], v[7:8]
	v_mul_f64_e32 v[7:8], v[11:12], v[7:8]
	s_delay_alu instid0(VALU_DEP_2) | instskip(NEXT) | instid1(VALU_DEP_2)
	v_fma_f64 v[11:12], v[11:12], v[5:6], v[19:20]
	v_fma_f64 v[5:6], v[9:10], v[5:6], -v[7:8]
	s_delay_alu instid0(VALU_DEP_2) | instskip(NEXT) | instid1(VALU_DEP_2)
	v_add_f64_e32 v[3:4], v[3:4], v[11:12]
	v_add_f64_e32 v[1:2], v[1:2], v[5:6]
.LBB66_22:
	s_wait_alu 0xfffe
	s_or_b32 exec_lo, exec_lo, s10
	v_mov_b32_e32 v5, 0
	ds_load_b128 v[5:8], v5 offset:32
	s_wait_dscnt 0x0
	v_mul_f64_e32 v[9:10], v[3:4], v[7:8]
	v_mul_f64_e32 v[7:8], v[1:2], v[7:8]
	s_delay_alu instid0(VALU_DEP_2) | instskip(NEXT) | instid1(VALU_DEP_2)
	v_fma_f64 v[1:2], v[1:2], v[5:6], -v[9:10]
	v_fma_f64 v[3:4], v[3:4], v[5:6], v[7:8]
	scratch_store_b128 off, v[1:4], off offset:48
.LBB66_23:
	s_wait_alu 0xfffe
	s_or_b32 exec_lo, exec_lo, s1
	s_mov_b32 s1, -1
	s_wait_loadcnt 0x0
	s_wait_storecnt 0x0
	s_barrier_signal -1
	s_barrier_wait -1
	global_inv scope:SCOPE_SE
.LBB66_24:
	s_wait_alu 0xfffe
	s_and_b32 vcc_lo, exec_lo, s1
	s_wait_alu 0xfffe
	s_cbranch_vccz .LBB66_26
; %bb.25:
	v_mov_b32_e32 v1, 0
	s_lshl_b64 s[0:1], s[8:9], 2
	s_wait_alu 0xfffe
	s_add_nc_u64 s[0:1], s[6:7], s[0:1]
	global_load_b32 v1, v1, s[0:1]
	s_wait_loadcnt 0x0
	v_cmp_ne_u32_e32 vcc_lo, 0, v1
	s_cbranch_vccz .LBB66_27
.LBB66_26:
	s_endpgm
.LBB66_27:
	v_lshl_add_u32 v5, v0, 4, 48
	s_mov_b32 s0, exec_lo
	v_cmpx_eq_u32_e32 2, v0
	s_cbranch_execz .LBB66_29
; %bb.28:
	scratch_load_b128 v[1:4], off, s4
	v_mov_b32_e32 v6, 0
	s_delay_alu instid0(VALU_DEP_1)
	v_dual_mov_b32 v7, v6 :: v_dual_mov_b32 v8, v6
	v_mov_b32_e32 v9, v6
	scratch_store_b128 off, v[6:9], off offset:32
	s_wait_loadcnt 0x0
	ds_store_b128 v5, v[1:4]
.LBB66_29:
	s_wait_alu 0xfffe
	s_or_b32 exec_lo, exec_lo, s0
	s_wait_storecnt_dscnt 0x0
	s_barrier_signal -1
	s_barrier_wait -1
	global_inv scope:SCOPE_SE
	s_clause 0x1
	scratch_load_b128 v[6:9], off, off offset:48
	scratch_load_b128 v[19:22], off, off offset:32
	v_mov_b32_e32 v1, 0
	s_mov_b32 s0, exec_lo
	ds_load_b128 v[23:26], v1 offset:80
	s_wait_loadcnt_dscnt 0x100
	v_mul_f64_e32 v[2:3], v[25:26], v[8:9]
	v_mul_f64_e32 v[8:9], v[23:24], v[8:9]
	s_delay_alu instid0(VALU_DEP_2) | instskip(NEXT) | instid1(VALU_DEP_2)
	v_fma_f64 v[2:3], v[23:24], v[6:7], -v[2:3]
	v_fma_f64 v[6:7], v[25:26], v[6:7], v[8:9]
	s_delay_alu instid0(VALU_DEP_2) | instskip(NEXT) | instid1(VALU_DEP_2)
	v_add_f64_e32 v[2:3], 0, v[2:3]
	v_add_f64_e32 v[8:9], 0, v[6:7]
	s_wait_loadcnt 0x0
	s_delay_alu instid0(VALU_DEP_2) | instskip(NEXT) | instid1(VALU_DEP_2)
	v_add_f64_e64 v[6:7], v[19:20], -v[2:3]
	v_add_f64_e64 v[8:9], v[21:22], -v[8:9]
	scratch_store_b128 off, v[6:9], off offset:32
	v_cmpx_ne_u32_e32 0, v0
	s_cbranch_execz .LBB66_31
; %bb.30:
	scratch_load_b128 v[6:9], off, off offset:16
	v_dual_mov_b32 v2, v1 :: v_dual_mov_b32 v3, v1
	v_mov_b32_e32 v4, v1
	scratch_store_b128 off, v[1:4], off offset:16
	s_wait_loadcnt 0x0
	ds_store_b128 v5, v[6:9]
.LBB66_31:
	s_wait_alu 0xfffe
	s_or_b32 exec_lo, exec_lo, s0
	s_wait_storecnt_dscnt 0x0
	s_barrier_signal -1
	s_barrier_wait -1
	global_inv scope:SCOPE_SE
	s_clause 0x2
	scratch_load_b128 v[2:5], off, off offset:32
	scratch_load_b128 v[6:9], off, off offset:48
	;; [unrolled: 1-line block ×3, first 2 shown]
	ds_load_b128 v[23:26], v1 offset:64
	ds_load_b128 v[27:30], v1 offset:80
	s_and_b32 vcc_lo, exec_lo, s12
	s_wait_loadcnt_dscnt 0x201
	v_mul_f64_e32 v[0:1], v[25:26], v[4:5]
	v_mul_f64_e32 v[4:5], v[23:24], v[4:5]
	s_wait_loadcnt_dscnt 0x100
	v_mul_f64_e32 v[10:11], v[27:28], v[8:9]
	v_mul_f64_e32 v[8:9], v[29:30], v[8:9]
	s_delay_alu instid0(VALU_DEP_4) | instskip(NEXT) | instid1(VALU_DEP_4)
	v_fma_f64 v[0:1], v[23:24], v[2:3], -v[0:1]
	v_fma_f64 v[2:3], v[25:26], v[2:3], v[4:5]
	s_delay_alu instid0(VALU_DEP_4) | instskip(NEXT) | instid1(VALU_DEP_4)
	v_fma_f64 v[4:5], v[29:30], v[6:7], v[10:11]
	v_fma_f64 v[6:7], v[27:28], v[6:7], -v[8:9]
	s_delay_alu instid0(VALU_DEP_4) | instskip(NEXT) | instid1(VALU_DEP_4)
	v_add_f64_e32 v[0:1], 0, v[0:1]
	v_add_f64_e32 v[2:3], 0, v[2:3]
	s_delay_alu instid0(VALU_DEP_2) | instskip(NEXT) | instid1(VALU_DEP_2)
	v_add_f64_e32 v[0:1], v[0:1], v[6:7]
	v_add_f64_e32 v[2:3], v[2:3], v[4:5]
	s_wait_loadcnt 0x0
	s_delay_alu instid0(VALU_DEP_2) | instskip(NEXT) | instid1(VALU_DEP_2)
	v_add_f64_e64 v[0:1], v[19:20], -v[0:1]
	v_add_f64_e64 v[2:3], v[21:22], -v[2:3]
	scratch_store_b128 off, v[0:3], off offset:16
	s_wait_alu 0xfffe
	s_cbranch_vccz .LBB66_36
; %bb.32:
	v_mov_b32_e32 v0, 0
	global_load_b32 v1, v0, s[2:3] offset:4
	s_wait_loadcnt 0x0
	v_cmp_ne_u32_e32 vcc_lo, 2, v1
	s_cbranch_vccz .LBB66_34
; %bb.33:
	v_lshlrev_b32_e32 v1, 4, v1
	s_delay_alu instid0(VALU_DEP_1)
	v_add_nc_u32_e32 v9, 16, v1
	s_clause 0x1
	scratch_load_b128 v[1:4], v9, off offset:-16
	scratch_load_b128 v[5:8], off, s4
	s_wait_loadcnt 0x1
	scratch_store_b128 off, v[1:4], s4
	s_wait_loadcnt 0x0
	scratch_store_b128 v9, v[5:8], off offset:-16
.LBB66_34:
	global_load_b32 v0, v0, s[2:3]
	s_wait_loadcnt 0x0
	v_cmp_eq_u32_e32 vcc_lo, 1, v0
	s_cbranch_vccnz .LBB66_36
; %bb.35:
	v_lshlrev_b32_e32 v0, 4, v0
	s_delay_alu instid0(VALU_DEP_1)
	v_add_nc_u32_e32 v8, 16, v0
	scratch_load_b128 v[0:3], v8, off offset:-16
	scratch_load_b128 v[4:7], off, off offset:16
	s_wait_loadcnt 0x1
	scratch_store_b128 off, v[0:3], off offset:16
	s_wait_loadcnt 0x0
	scratch_store_b128 v8, v[4:7], off offset:-16
.LBB66_36:
	scratch_load_b128 v[0:3], off, off offset:16
	s_clause 0x1
	scratch_load_b128 v[4:7], off, s4
	scratch_load_b128 v[8:11], off, s5
	s_wait_loadcnt 0x2
	flat_store_b128 v[13:14], v[0:3]
	s_wait_loadcnt 0x1
	flat_store_b128 v[15:16], v[4:7]
	;; [unrolled: 2-line block ×3, first 2 shown]
	s_endpgm
	.section	.rodata,"a",@progbits
	.p2align	6, 0x0
	.amdhsa_kernel _ZN9rocsolver6v33100L18getri_kernel_smallILi3E19rocblas_complex_numIdEPKPS3_EEvT1_iilPiilS8_bb
		.amdhsa_group_segment_fixed_size 104
		.amdhsa_private_segment_fixed_size 80
		.amdhsa_kernarg_size 60
		.amdhsa_user_sgpr_count 2
		.amdhsa_user_sgpr_dispatch_ptr 0
		.amdhsa_user_sgpr_queue_ptr 0
		.amdhsa_user_sgpr_kernarg_segment_ptr 1
		.amdhsa_user_sgpr_dispatch_id 0
		.amdhsa_user_sgpr_private_segment_size 0
		.amdhsa_wavefront_size32 1
		.amdhsa_uses_dynamic_stack 0
		.amdhsa_enable_private_segment 1
		.amdhsa_system_sgpr_workgroup_id_x 1
		.amdhsa_system_sgpr_workgroup_id_y 0
		.amdhsa_system_sgpr_workgroup_id_z 0
		.amdhsa_system_sgpr_workgroup_info 0
		.amdhsa_system_vgpr_workitem_id 0
		.amdhsa_next_free_vgpr 31
		.amdhsa_next_free_sgpr 19
		.amdhsa_reserve_vcc 1
		.amdhsa_float_round_mode_32 0
		.amdhsa_float_round_mode_16_64 0
		.amdhsa_float_denorm_mode_32 3
		.amdhsa_float_denorm_mode_16_64 3
		.amdhsa_fp16_overflow 0
		.amdhsa_workgroup_processor_mode 1
		.amdhsa_memory_ordered 1
		.amdhsa_forward_progress 1
		.amdhsa_inst_pref_size 21
		.amdhsa_round_robin_scheduling 0
		.amdhsa_exception_fp_ieee_invalid_op 0
		.amdhsa_exception_fp_denorm_src 0
		.amdhsa_exception_fp_ieee_div_zero 0
		.amdhsa_exception_fp_ieee_overflow 0
		.amdhsa_exception_fp_ieee_underflow 0
		.amdhsa_exception_fp_ieee_inexact 0
		.amdhsa_exception_int_div_zero 0
	.end_amdhsa_kernel
	.section	.text._ZN9rocsolver6v33100L18getri_kernel_smallILi3E19rocblas_complex_numIdEPKPS3_EEvT1_iilPiilS8_bb,"axG",@progbits,_ZN9rocsolver6v33100L18getri_kernel_smallILi3E19rocblas_complex_numIdEPKPS3_EEvT1_iilPiilS8_bb,comdat
.Lfunc_end66:
	.size	_ZN9rocsolver6v33100L18getri_kernel_smallILi3E19rocblas_complex_numIdEPKPS3_EEvT1_iilPiilS8_bb, .Lfunc_end66-_ZN9rocsolver6v33100L18getri_kernel_smallILi3E19rocblas_complex_numIdEPKPS3_EEvT1_iilPiilS8_bb
                                        ; -- End function
	.set _ZN9rocsolver6v33100L18getri_kernel_smallILi3E19rocblas_complex_numIdEPKPS3_EEvT1_iilPiilS8_bb.num_vgpr, 31
	.set _ZN9rocsolver6v33100L18getri_kernel_smallILi3E19rocblas_complex_numIdEPKPS3_EEvT1_iilPiilS8_bb.num_agpr, 0
	.set _ZN9rocsolver6v33100L18getri_kernel_smallILi3E19rocblas_complex_numIdEPKPS3_EEvT1_iilPiilS8_bb.numbered_sgpr, 19
	.set _ZN9rocsolver6v33100L18getri_kernel_smallILi3E19rocblas_complex_numIdEPKPS3_EEvT1_iilPiilS8_bb.num_named_barrier, 0
	.set _ZN9rocsolver6v33100L18getri_kernel_smallILi3E19rocblas_complex_numIdEPKPS3_EEvT1_iilPiilS8_bb.private_seg_size, 80
	.set _ZN9rocsolver6v33100L18getri_kernel_smallILi3E19rocblas_complex_numIdEPKPS3_EEvT1_iilPiilS8_bb.uses_vcc, 1
	.set _ZN9rocsolver6v33100L18getri_kernel_smallILi3E19rocblas_complex_numIdEPKPS3_EEvT1_iilPiilS8_bb.uses_flat_scratch, 1
	.set _ZN9rocsolver6v33100L18getri_kernel_smallILi3E19rocblas_complex_numIdEPKPS3_EEvT1_iilPiilS8_bb.has_dyn_sized_stack, 0
	.set _ZN9rocsolver6v33100L18getri_kernel_smallILi3E19rocblas_complex_numIdEPKPS3_EEvT1_iilPiilS8_bb.has_recursion, 0
	.set _ZN9rocsolver6v33100L18getri_kernel_smallILi3E19rocblas_complex_numIdEPKPS3_EEvT1_iilPiilS8_bb.has_indirect_call, 0
	.section	.AMDGPU.csdata,"",@progbits
; Kernel info:
; codeLenInByte = 2680
; TotalNumSgprs: 21
; NumVgprs: 31
; ScratchSize: 80
; MemoryBound: 0
; FloatMode: 240
; IeeeMode: 1
; LDSByteSize: 104 bytes/workgroup (compile time only)
; SGPRBlocks: 0
; VGPRBlocks: 3
; NumSGPRsForWavesPerEU: 21
; NumVGPRsForWavesPerEU: 31
; Occupancy: 16
; WaveLimiterHint : 1
; COMPUTE_PGM_RSRC2:SCRATCH_EN: 1
; COMPUTE_PGM_RSRC2:USER_SGPR: 2
; COMPUTE_PGM_RSRC2:TRAP_HANDLER: 0
; COMPUTE_PGM_RSRC2:TGID_X_EN: 1
; COMPUTE_PGM_RSRC2:TGID_Y_EN: 0
; COMPUTE_PGM_RSRC2:TGID_Z_EN: 0
; COMPUTE_PGM_RSRC2:TIDIG_COMP_CNT: 0
	.section	.text._ZN9rocsolver6v33100L18getri_kernel_smallILi4E19rocblas_complex_numIdEPKPS3_EEvT1_iilPiilS8_bb,"axG",@progbits,_ZN9rocsolver6v33100L18getri_kernel_smallILi4E19rocblas_complex_numIdEPKPS3_EEvT1_iilPiilS8_bb,comdat
	.globl	_ZN9rocsolver6v33100L18getri_kernel_smallILi4E19rocblas_complex_numIdEPKPS3_EEvT1_iilPiilS8_bb ; -- Begin function _ZN9rocsolver6v33100L18getri_kernel_smallILi4E19rocblas_complex_numIdEPKPS3_EEvT1_iilPiilS8_bb
	.p2align	8
	.type	_ZN9rocsolver6v33100L18getri_kernel_smallILi4E19rocblas_complex_numIdEPKPS3_EEvT1_iilPiilS8_bb,@function
_ZN9rocsolver6v33100L18getri_kernel_smallILi4E19rocblas_complex_numIdEPKPS3_EEvT1_iilPiilS8_bb: ; @_ZN9rocsolver6v33100L18getri_kernel_smallILi4E19rocblas_complex_numIdEPKPS3_EEvT1_iilPiilS8_bb
; %bb.0:
	v_and_b32_e32 v21, 0x3ff, v0
	s_mov_b32 s4, exec_lo
	s_delay_alu instid0(VALU_DEP_1)
	v_cmpx_gt_u32_e32 4, v21
	s_cbranch_execz .LBB67_30
; %bb.1:
	s_clause 0x1
	s_load_b32 s15, s[2:3], 0x38
	s_load_b64 s[8:9], s[2:3], 0x0
	s_mov_b32 s10, ttmp9
	s_load_b128 s[4:7], s[2:3], 0x28
	s_wait_kmcnt 0x0
	s_bitcmp1_b32 s15, 8
	s_cselect_b32 s14, -1, 0
	s_ashr_i32 s11, ttmp9, 31
	s_delay_alu instid0(SALU_CYCLE_1) | instskip(NEXT) | instid1(SALU_CYCLE_1)
	s_lshl_b64 s[12:13], s[10:11], 3
	s_add_nc_u64 s[8:9], s[8:9], s[12:13]
	s_load_b64 s[12:13], s[8:9], 0x0
	s_bfe_u32 s8, s15, 0x10008
	s_delay_alu instid0(SALU_CYCLE_1)
	s_cmp_eq_u32 s8, 0
                                        ; implicit-def: $sgpr8_sgpr9
	s_cbranch_scc1 .LBB67_3
; %bb.2:
	s_load_b96 s[16:18], s[2:3], 0x18
	s_mul_u64 s[4:5], s[4:5], s[10:11]
	s_delay_alu instid0(SALU_CYCLE_1)
	s_lshl_b64 s[4:5], s[4:5], 2
	s_wait_kmcnt 0x0
	s_ashr_i32 s9, s18, 31
	s_mov_b32 s8, s18
	s_add_nc_u64 s[4:5], s[16:17], s[4:5]
	s_lshl_b64 s[8:9], s[8:9], 2
	s_delay_alu instid0(SALU_CYCLE_1)
	s_add_nc_u64 s[8:9], s[4:5], s[8:9]
.LBB67_3:
	s_clause 0x1
	s_load_b64 s[4:5], s[2:3], 0x8
	s_load_b32 s15, s[2:3], 0x38
	v_lshlrev_b32_e32 v23, 4, v21
	s_wait_kmcnt 0x0
	v_add3_u32 v1, s5, s5, v21
	s_ashr_i32 s3, s4, 31
	s_mov_b32 s2, s4
	s_ashr_i32 s17, s5, 31
	s_lshl_b64 s[2:3], s[2:3], 4
	v_add_nc_u32_e32 v3, s5, v1
	v_ashrrev_i32_e32 v2, 31, v1
	s_add_nc_u64 s[2:3], s[12:13], s[2:3]
	s_mov_b32 s16, s5
	v_add_co_u32 v13, s4, s2, v23
	v_ashrrev_i32_e32 v4, 31, v3
	v_lshlrev_b64_e32 v[9:10], 4, v[1:2]
	s_wait_alu 0xf1ff
	v_add_co_ci_u32_e64 v14, null, s3, 0, s4
	s_lshl_b64 s[16:17], s[16:17], 4
	v_lshlrev_b64_e32 v[11:12], 4, v[3:4]
	v_add_co_u32 v15, vcc_lo, v13, s16
	s_delay_alu instid0(VALU_DEP_1)
	v_add_co_ci_u32_e64 v16, null, s17, v14, vcc_lo
	v_add_co_u32 v17, vcc_lo, s2, v9
	s_wait_alu 0xfffd
	v_add_co_ci_u32_e64 v18, null, s3, v10, vcc_lo
	v_add_co_u32 v19, vcc_lo, s2, v11
	s_wait_alu 0xfffd
	v_add_co_ci_u32_e64 v20, null, s3, v12, vcc_lo
	s_clause 0x3
	flat_load_b128 v[1:4], v[13:14]
	flat_load_b128 v[5:8], v[15:16]
	;; [unrolled: 1-line block ×4, first 2 shown]
	s_mov_b32 s4, 16
	s_mov_b32 s12, 32
	;; [unrolled: 1-line block ×3, first 2 shown]
	s_mov_b32 s3, -1
	s_bitcmp0_b32 s15, 0
	s_wait_loadcnt_dscnt 0x303
	scratch_store_b128 off, v[1:4], off
	s_wait_loadcnt_dscnt 0x202
	scratch_store_b128 off, v[5:8], off offset:16
	s_wait_loadcnt_dscnt 0x101
	scratch_store_b128 off, v[9:12], off offset:32
	;; [unrolled: 2-line block ×3, first 2 shown]
	s_cbranch_scc1 .LBB67_28
; %bb.4:
	v_cmp_eq_u32_e64 s2, 0, v21
	s_and_saveexec_b32 s3, s2
; %bb.5:
	v_mov_b32_e32 v1, 0
	ds_store_b32 v1, v1 offset:128
; %bb.6:
	s_wait_alu 0xfffe
	s_or_b32 exec_lo, exec_lo, s3
	s_wait_storecnt_dscnt 0x0
	s_barrier_signal -1
	s_barrier_wait -1
	global_inv scope:SCOPE_SE
	scratch_load_b128 v[1:4], v23, off
	s_wait_loadcnt 0x0
	v_cmp_eq_f64_e32 vcc_lo, 0, v[1:2]
	v_cmp_eq_f64_e64 s3, 0, v[3:4]
	s_and_b32 s3, vcc_lo, s3
	s_wait_alu 0xfffe
	s_and_saveexec_b32 s13, s3
	s_cbranch_execz .LBB67_10
; %bb.7:
	v_mov_b32_e32 v1, 0
	s_mov_b32 s15, 0
	ds_load_b32 v2, v1 offset:128
	s_wait_dscnt 0x0
	v_readfirstlane_b32 s3, v2
	v_add_nc_u32_e32 v2, 1, v21
	s_cmp_eq_u32 s3, 0
	s_delay_alu instid0(VALU_DEP_1)
	v_cmp_gt_i32_e32 vcc_lo, s3, v2
	s_cselect_b32 s16, -1, 0
	s_wait_alu 0xfffe
	s_or_b32 s16, s16, vcc_lo
	s_wait_alu 0xfffe
	s_and_b32 exec_lo, exec_lo, s16
	s_cbranch_execz .LBB67_10
; %bb.8:
	v_mov_b32_e32 v3, s3
.LBB67_9:                               ; =>This Inner Loop Header: Depth=1
	ds_cmpstore_rtn_b32 v3, v1, v2, v3 offset:128
	s_wait_dscnt 0x0
	v_cmp_ne_u32_e32 vcc_lo, 0, v3
	v_cmp_le_i32_e64 s3, v3, v2
	s_and_b32 s3, vcc_lo, s3
	s_wait_alu 0xfffe
	s_and_b32 s3, exec_lo, s3
	s_wait_alu 0xfffe
	s_or_b32 s15, s3, s15
	s_delay_alu instid0(SALU_CYCLE_1)
	s_and_not1_b32 exec_lo, exec_lo, s15
	s_cbranch_execnz .LBB67_9
.LBB67_10:
	s_or_b32 exec_lo, exec_lo, s13
	v_mov_b32_e32 v1, 0
	s_barrier_signal -1
	s_barrier_wait -1
	global_inv scope:SCOPE_SE
	ds_load_b32 v2, v1 offset:128
	s_and_saveexec_b32 s3, s2
	s_cbranch_execz .LBB67_12
; %bb.11:
	s_lshl_b64 s[16:17], s[10:11], 2
	s_wait_alu 0xfffe
	s_add_nc_u64 s[16:17], s[6:7], s[16:17]
	s_wait_dscnt 0x0
	global_store_b32 v1, v2, s[16:17]
.LBB67_12:
	s_wait_alu 0xfffe
	s_or_b32 exec_lo, exec_lo, s3
	s_wait_dscnt 0x0
	v_cmp_ne_u32_e32 vcc_lo, 0, v2
	s_mov_b32 s3, 0
	s_cbranch_vccnz .LBB67_28
; %bb.13:
	v_mov_b32_e32 v22, v23
                                        ; implicit-def: $vgpr1_vgpr2
                                        ; implicit-def: $vgpr9_vgpr10
	scratch_load_b128 v[5:8], v22, off
	s_wait_loadcnt 0x0
	v_cmp_ngt_f64_e64 s3, |v[5:6]|, |v[7:8]|
	s_wait_alu 0xfffe
	s_and_saveexec_b32 s13, s3
	s_delay_alu instid0(SALU_CYCLE_1)
	s_xor_b32 s3, exec_lo, s13
	s_cbranch_execz .LBB67_15
; %bb.14:
	v_div_scale_f64 v[1:2], null, v[7:8], v[7:8], v[5:6]
	v_div_scale_f64 v[11:12], vcc_lo, v[5:6], v[7:8], v[5:6]
	s_delay_alu instid0(VALU_DEP_2) | instskip(NEXT) | instid1(TRANS32_DEP_1)
	v_rcp_f64_e32 v[3:4], v[1:2]
	v_fma_f64 v[9:10], -v[1:2], v[3:4], 1.0
	s_delay_alu instid0(VALU_DEP_1) | instskip(NEXT) | instid1(VALU_DEP_1)
	v_fma_f64 v[3:4], v[3:4], v[9:10], v[3:4]
	v_fma_f64 v[9:10], -v[1:2], v[3:4], 1.0
	s_delay_alu instid0(VALU_DEP_1) | instskip(NEXT) | instid1(VALU_DEP_1)
	v_fma_f64 v[3:4], v[3:4], v[9:10], v[3:4]
	v_mul_f64_e32 v[9:10], v[11:12], v[3:4]
	s_delay_alu instid0(VALU_DEP_1) | instskip(SKIP_1) | instid1(VALU_DEP_1)
	v_fma_f64 v[1:2], -v[1:2], v[9:10], v[11:12]
	s_wait_alu 0xfffd
	v_div_fmas_f64 v[1:2], v[1:2], v[3:4], v[9:10]
	s_delay_alu instid0(VALU_DEP_1) | instskip(NEXT) | instid1(VALU_DEP_1)
	v_div_fixup_f64 v[1:2], v[1:2], v[7:8], v[5:6]
	v_fma_f64 v[3:4], v[5:6], v[1:2], v[7:8]
	s_delay_alu instid0(VALU_DEP_1) | instskip(SKIP_1) | instid1(VALU_DEP_2)
	v_div_scale_f64 v[5:6], null, v[3:4], v[3:4], 1.0
	v_div_scale_f64 v[11:12], vcc_lo, 1.0, v[3:4], 1.0
	v_rcp_f64_e32 v[7:8], v[5:6]
	s_delay_alu instid0(TRANS32_DEP_1) | instskip(NEXT) | instid1(VALU_DEP_1)
	v_fma_f64 v[9:10], -v[5:6], v[7:8], 1.0
	v_fma_f64 v[7:8], v[7:8], v[9:10], v[7:8]
	s_delay_alu instid0(VALU_DEP_1) | instskip(NEXT) | instid1(VALU_DEP_1)
	v_fma_f64 v[9:10], -v[5:6], v[7:8], 1.0
	v_fma_f64 v[7:8], v[7:8], v[9:10], v[7:8]
	s_delay_alu instid0(VALU_DEP_1) | instskip(NEXT) | instid1(VALU_DEP_1)
	v_mul_f64_e32 v[9:10], v[11:12], v[7:8]
	v_fma_f64 v[5:6], -v[5:6], v[9:10], v[11:12]
	s_wait_alu 0xfffd
	s_delay_alu instid0(VALU_DEP_1) | instskip(NEXT) | instid1(VALU_DEP_1)
	v_div_fmas_f64 v[5:6], v[5:6], v[7:8], v[9:10]
	v_div_fixup_f64 v[3:4], v[5:6], v[3:4], 1.0
                                        ; implicit-def: $vgpr5_vgpr6
	s_delay_alu instid0(VALU_DEP_1) | instskip(SKIP_1) | instid1(VALU_DEP_2)
	v_mul_f64_e32 v[1:2], v[1:2], v[3:4]
	v_xor_b32_e32 v4, 0x80000000, v4
	v_xor_b32_e32 v10, 0x80000000, v2
	s_delay_alu instid0(VALU_DEP_3)
	v_mov_b32_e32 v9, v1
.LBB67_15:
	s_wait_alu 0xfffe
	s_and_not1_saveexec_b32 s3, s3
	s_cbranch_execz .LBB67_17
; %bb.16:
	v_div_scale_f64 v[1:2], null, v[5:6], v[5:6], v[7:8]
	v_div_scale_f64 v[11:12], vcc_lo, v[7:8], v[5:6], v[7:8]
	s_delay_alu instid0(VALU_DEP_2) | instskip(NEXT) | instid1(TRANS32_DEP_1)
	v_rcp_f64_e32 v[3:4], v[1:2]
	v_fma_f64 v[9:10], -v[1:2], v[3:4], 1.0
	s_delay_alu instid0(VALU_DEP_1) | instskip(NEXT) | instid1(VALU_DEP_1)
	v_fma_f64 v[3:4], v[3:4], v[9:10], v[3:4]
	v_fma_f64 v[9:10], -v[1:2], v[3:4], 1.0
	s_delay_alu instid0(VALU_DEP_1) | instskip(NEXT) | instid1(VALU_DEP_1)
	v_fma_f64 v[3:4], v[3:4], v[9:10], v[3:4]
	v_mul_f64_e32 v[9:10], v[11:12], v[3:4]
	s_delay_alu instid0(VALU_DEP_1) | instskip(SKIP_1) | instid1(VALU_DEP_1)
	v_fma_f64 v[1:2], -v[1:2], v[9:10], v[11:12]
	s_wait_alu 0xfffd
	v_div_fmas_f64 v[1:2], v[1:2], v[3:4], v[9:10]
	s_delay_alu instid0(VALU_DEP_1) | instskip(NEXT) | instid1(VALU_DEP_1)
	v_div_fixup_f64 v[3:4], v[1:2], v[5:6], v[7:8]
	v_fma_f64 v[1:2], v[7:8], v[3:4], v[5:6]
	s_delay_alu instid0(VALU_DEP_1) | instskip(NEXT) | instid1(VALU_DEP_1)
	v_div_scale_f64 v[5:6], null, v[1:2], v[1:2], 1.0
	v_rcp_f64_e32 v[7:8], v[5:6]
	s_delay_alu instid0(TRANS32_DEP_1) | instskip(NEXT) | instid1(VALU_DEP_1)
	v_fma_f64 v[9:10], -v[5:6], v[7:8], 1.0
	v_fma_f64 v[7:8], v[7:8], v[9:10], v[7:8]
	s_delay_alu instid0(VALU_DEP_1) | instskip(NEXT) | instid1(VALU_DEP_1)
	v_fma_f64 v[9:10], -v[5:6], v[7:8], 1.0
	v_fma_f64 v[7:8], v[7:8], v[9:10], v[7:8]
	v_div_scale_f64 v[9:10], vcc_lo, 1.0, v[1:2], 1.0
	s_delay_alu instid0(VALU_DEP_1) | instskip(NEXT) | instid1(VALU_DEP_1)
	v_mul_f64_e32 v[11:12], v[9:10], v[7:8]
	v_fma_f64 v[5:6], -v[5:6], v[11:12], v[9:10]
	s_wait_alu 0xfffd
	s_delay_alu instid0(VALU_DEP_1) | instskip(NEXT) | instid1(VALU_DEP_1)
	v_div_fmas_f64 v[5:6], v[5:6], v[7:8], v[11:12]
	v_div_fixup_f64 v[1:2], v[5:6], v[1:2], 1.0
	s_delay_alu instid0(VALU_DEP_1)
	v_mul_f64_e64 v[3:4], v[3:4], -v[1:2]
	v_xor_b32_e32 v10, 0x80000000, v2
	v_mov_b32_e32 v9, v1
.LBB67_17:
	s_wait_alu 0xfffe
	s_or_b32 exec_lo, exec_lo, s3
	scratch_store_b128 v22, v[1:4], off
	scratch_load_b128 v[24:27], off, s4
	v_xor_b32_e32 v12, 0x80000000, v4
	v_mov_b32_e32 v11, v3
	v_add_nc_u32_e32 v5, 64, v23
	ds_store_b128 v23, v[9:12]
	s_wait_loadcnt 0x0
	ds_store_b128 v23, v[24:27] offset:64
	s_wait_storecnt_dscnt 0x0
	s_barrier_signal -1
	s_barrier_wait -1
	global_inv scope:SCOPE_SE
	s_and_saveexec_b32 s3, s2
	s_cbranch_execz .LBB67_19
; %bb.18:
	scratch_load_b128 v[1:4], v22, off
	ds_load_b128 v[6:9], v5
	v_mov_b32_e32 v10, 0
	ds_load_b128 v[23:26], v10 offset:16
	s_wait_loadcnt_dscnt 0x1
	v_mul_f64_e32 v[10:11], v[6:7], v[3:4]
	v_mul_f64_e32 v[3:4], v[8:9], v[3:4]
	s_delay_alu instid0(VALU_DEP_2) | instskip(NEXT) | instid1(VALU_DEP_2)
	v_fma_f64 v[8:9], v[8:9], v[1:2], v[10:11]
	v_fma_f64 v[1:2], v[6:7], v[1:2], -v[3:4]
	s_delay_alu instid0(VALU_DEP_2) | instskip(NEXT) | instid1(VALU_DEP_2)
	v_add_f64_e32 v[3:4], 0, v[8:9]
	v_add_f64_e32 v[1:2], 0, v[1:2]
	s_wait_dscnt 0x0
	s_delay_alu instid0(VALU_DEP_2) | instskip(NEXT) | instid1(VALU_DEP_2)
	v_mul_f64_e32 v[6:7], v[3:4], v[25:26]
	v_mul_f64_e32 v[8:9], v[1:2], v[25:26]
	s_delay_alu instid0(VALU_DEP_2) | instskip(NEXT) | instid1(VALU_DEP_2)
	v_fma_f64 v[1:2], v[1:2], v[23:24], -v[6:7]
	v_fma_f64 v[3:4], v[3:4], v[23:24], v[8:9]
	scratch_store_b128 off, v[1:4], off offset:16
.LBB67_19:
	s_wait_alu 0xfffe
	s_or_b32 exec_lo, exec_lo, s3
	s_wait_loadcnt 0x0
	s_wait_storecnt 0x0
	s_barrier_signal -1
	s_barrier_wait -1
	global_inv scope:SCOPE_SE
	scratch_load_b128 v[1:4], off, s12
	s_mov_b32 s3, exec_lo
	s_wait_loadcnt 0x0
	ds_store_b128 v5, v[1:4]
	s_wait_dscnt 0x0
	s_barrier_signal -1
	s_barrier_wait -1
	global_inv scope:SCOPE_SE
	v_cmpx_gt_u32_e32 2, v21
	s_cbranch_execz .LBB67_23
; %bb.20:
	scratch_load_b128 v[1:4], v22, off
	ds_load_b128 v[6:9], v5
	s_wait_loadcnt_dscnt 0x0
	v_mul_f64_e32 v[10:11], v[8:9], v[3:4]
	v_mul_f64_e32 v[3:4], v[6:7], v[3:4]
	s_delay_alu instid0(VALU_DEP_2) | instskip(NEXT) | instid1(VALU_DEP_2)
	v_fma_f64 v[6:7], v[6:7], v[1:2], -v[10:11]
	v_fma_f64 v[3:4], v[8:9], v[1:2], v[3:4]
	s_delay_alu instid0(VALU_DEP_2) | instskip(NEXT) | instid1(VALU_DEP_2)
	v_add_f64_e32 v[1:2], 0, v[6:7]
	v_add_f64_e32 v[3:4], 0, v[3:4]
	s_and_saveexec_b32 s13, s2
	s_cbranch_execz .LBB67_22
; %bb.21:
	scratch_load_b128 v[6:9], off, off offset:16
	v_mov_b32_e32 v10, 0
	ds_load_b128 v[23:26], v10 offset:80
	s_wait_loadcnt_dscnt 0x0
	v_mul_f64_e32 v[10:11], v[23:24], v[8:9]
	v_mul_f64_e32 v[8:9], v[25:26], v[8:9]
	s_delay_alu instid0(VALU_DEP_2) | instskip(NEXT) | instid1(VALU_DEP_2)
	v_fma_f64 v[10:11], v[25:26], v[6:7], v[10:11]
	v_fma_f64 v[6:7], v[23:24], v[6:7], -v[8:9]
	s_delay_alu instid0(VALU_DEP_2) | instskip(NEXT) | instid1(VALU_DEP_2)
	v_add_f64_e32 v[3:4], v[3:4], v[10:11]
	v_add_f64_e32 v[1:2], v[1:2], v[6:7]
.LBB67_22:
	s_or_b32 exec_lo, exec_lo, s13
	v_mov_b32_e32 v6, 0
	ds_load_b128 v[6:9], v6 offset:32
	s_wait_dscnt 0x0
	v_mul_f64_e32 v[10:11], v[3:4], v[8:9]
	v_mul_f64_e32 v[8:9], v[1:2], v[8:9]
	s_delay_alu instid0(VALU_DEP_2) | instskip(NEXT) | instid1(VALU_DEP_2)
	v_fma_f64 v[1:2], v[1:2], v[6:7], -v[10:11]
	v_fma_f64 v[3:4], v[3:4], v[6:7], v[8:9]
	scratch_store_b128 off, v[1:4], off offset:32
.LBB67_23:
	s_wait_alu 0xfffe
	s_or_b32 exec_lo, exec_lo, s3
	s_wait_loadcnt 0x0
	s_wait_storecnt 0x0
	s_barrier_signal -1
	s_barrier_wait -1
	global_inv scope:SCOPE_SE
	scratch_load_b128 v[1:4], off, s5
	s_mov_b32 s2, exec_lo
	s_wait_loadcnt 0x0
	ds_store_b128 v5, v[1:4]
	s_wait_dscnt 0x0
	s_barrier_signal -1
	s_barrier_wait -1
	global_inv scope:SCOPE_SE
	v_cmpx_ne_u32_e32 3, v21
	s_cbranch_execz .LBB67_27
; %bb.24:
	v_dual_mov_b32 v1, 0 :: v_dual_add_nc_u32 v6, -1, v21
	v_dual_mov_b32 v2, 0 :: v_dual_mov_b32 v3, 0
	v_mov_b32_e32 v4, 0
	v_or_b32_e32 v7, 8, v22
	s_mov_b32 s3, 0
.LBB67_25:                              ; =>This Inner Loop Header: Depth=1
	scratch_load_b128 v[8:11], v7, off offset:-8
	ds_load_b128 v[22:25], v5
	v_add_nc_u32_e32 v6, 1, v6
	v_add_nc_u32_e32 v5, 16, v5
	;; [unrolled: 1-line block ×3, first 2 shown]
	s_delay_alu instid0(VALU_DEP_3)
	v_cmp_lt_u32_e32 vcc_lo, 1, v6
	s_wait_alu 0xfffe
	s_or_b32 s3, vcc_lo, s3
	s_wait_loadcnt_dscnt 0x0
	v_mul_f64_e32 v[26:27], v[24:25], v[10:11]
	v_mul_f64_e32 v[10:11], v[22:23], v[10:11]
	s_delay_alu instid0(VALU_DEP_2) | instskip(NEXT) | instid1(VALU_DEP_2)
	v_fma_f64 v[22:23], v[22:23], v[8:9], -v[26:27]
	v_fma_f64 v[8:9], v[24:25], v[8:9], v[10:11]
	s_delay_alu instid0(VALU_DEP_2) | instskip(NEXT) | instid1(VALU_DEP_2)
	v_add_f64_e32 v[3:4], v[3:4], v[22:23]
	v_add_f64_e32 v[1:2], v[1:2], v[8:9]
	s_wait_alu 0xfffe
	s_and_not1_b32 exec_lo, exec_lo, s3
	s_cbranch_execnz .LBB67_25
; %bb.26:
	s_or_b32 exec_lo, exec_lo, s3
	v_mov_b32_e32 v5, 0
	ds_load_b128 v[5:8], v5 offset:48
	s_wait_dscnt 0x0
	v_mul_f64_e32 v[9:10], v[1:2], v[7:8]
	v_mul_f64_e32 v[7:8], v[3:4], v[7:8]
	s_delay_alu instid0(VALU_DEP_2) | instskip(NEXT) | instid1(VALU_DEP_2)
	v_fma_f64 v[3:4], v[3:4], v[5:6], -v[9:10]
	v_fma_f64 v[5:6], v[1:2], v[5:6], v[7:8]
	scratch_store_b128 off, v[3:6], off offset:48
.LBB67_27:
	s_wait_alu 0xfffe
	s_or_b32 exec_lo, exec_lo, s2
	s_mov_b32 s3, -1
	s_wait_loadcnt 0x0
	s_wait_storecnt 0x0
	s_barrier_signal -1
	s_barrier_wait -1
	global_inv scope:SCOPE_SE
.LBB67_28:
	s_wait_alu 0xfffe
	s_and_b32 vcc_lo, exec_lo, s3
	s_wait_alu 0xfffe
	s_cbranch_vccz .LBB67_30
; %bb.29:
	v_mov_b32_e32 v1, 0
	s_lshl_b64 s[2:3], s[10:11], 2
	s_wait_alu 0xfffe
	s_add_nc_u64 s[2:3], s[6:7], s[2:3]
	global_load_b32 v1, v1, s[2:3]
	s_wait_loadcnt 0x0
	v_cmp_ne_u32_e32 vcc_lo, 0, v1
	s_cbranch_vccz .LBB67_31
.LBB67_30:
	s_endpgm
.LBB67_31:
	v_lshl_add_u32 v5, v21, 4, 64
	s_mov_b32 s2, exec_lo
	v_cmpx_eq_u32_e32 3, v21
	s_cbranch_execz .LBB67_33
; %bb.32:
	scratch_load_b128 v[1:4], off, s12
	v_mov_b32_e32 v6, 0
	s_delay_alu instid0(VALU_DEP_1)
	v_dual_mov_b32 v7, v6 :: v_dual_mov_b32 v8, v6
	v_mov_b32_e32 v9, v6
	scratch_store_b128 off, v[6:9], off offset:32
	s_wait_loadcnt 0x0
	ds_store_b128 v5, v[1:4]
.LBB67_33:
	s_wait_alu 0xfffe
	s_or_b32 exec_lo, exec_lo, s2
	s_wait_storecnt_dscnt 0x0
	s_barrier_signal -1
	s_barrier_wait -1
	global_inv scope:SCOPE_SE
	s_clause 0x1
	scratch_load_b128 v[6:9], off, off offset:48
	scratch_load_b128 v[22:25], off, off offset:32
	v_mov_b32_e32 v1, 0
	s_mov_b32 s2, exec_lo
	ds_load_b128 v[26:29], v1 offset:112
	s_wait_loadcnt_dscnt 0x100
	v_mul_f64_e32 v[2:3], v[28:29], v[8:9]
	v_mul_f64_e32 v[8:9], v[26:27], v[8:9]
	s_delay_alu instid0(VALU_DEP_2) | instskip(NEXT) | instid1(VALU_DEP_2)
	v_fma_f64 v[2:3], v[26:27], v[6:7], -v[2:3]
	v_fma_f64 v[6:7], v[28:29], v[6:7], v[8:9]
	s_delay_alu instid0(VALU_DEP_2) | instskip(NEXT) | instid1(VALU_DEP_2)
	v_add_f64_e32 v[2:3], 0, v[2:3]
	v_add_f64_e32 v[8:9], 0, v[6:7]
	s_wait_loadcnt 0x0
	s_delay_alu instid0(VALU_DEP_2) | instskip(NEXT) | instid1(VALU_DEP_2)
	v_add_f64_e64 v[6:7], v[22:23], -v[2:3]
	v_add_f64_e64 v[8:9], v[24:25], -v[8:9]
	scratch_store_b128 off, v[6:9], off offset:32
	v_cmpx_lt_u32_e32 1, v21
	s_cbranch_execz .LBB67_35
; %bb.34:
	scratch_load_b128 v[6:9], off, s4
	v_dual_mov_b32 v2, v1 :: v_dual_mov_b32 v3, v1
	v_mov_b32_e32 v4, v1
	scratch_store_b128 off, v[1:4], off offset:16
	s_wait_loadcnt 0x0
	ds_store_b128 v5, v[6:9]
.LBB67_35:
	s_wait_alu 0xfffe
	s_or_b32 exec_lo, exec_lo, s2
	s_wait_storecnt_dscnt 0x0
	s_barrier_signal -1
	s_barrier_wait -1
	global_inv scope:SCOPE_SE
	s_clause 0x2
	scratch_load_b128 v[6:9], off, off offset:32
	scratch_load_b128 v[22:25], off, off offset:48
	;; [unrolled: 1-line block ×3, first 2 shown]
	ds_load_b128 v[30:33], v1 offset:96
	ds_load_b128 v[1:4], v1 offset:112
	s_mov_b32 s2, exec_lo
	s_wait_loadcnt_dscnt 0x201
	v_mul_f64_e32 v[10:11], v[32:33], v[8:9]
	v_mul_f64_e32 v[8:9], v[30:31], v[8:9]
	s_wait_loadcnt_dscnt 0x100
	v_mul_f64_e32 v[34:35], v[1:2], v[24:25]
	v_mul_f64_e32 v[24:25], v[3:4], v[24:25]
	s_delay_alu instid0(VALU_DEP_4) | instskip(NEXT) | instid1(VALU_DEP_4)
	v_fma_f64 v[10:11], v[30:31], v[6:7], -v[10:11]
	v_fma_f64 v[6:7], v[32:33], v[6:7], v[8:9]
	s_delay_alu instid0(VALU_DEP_4) | instskip(NEXT) | instid1(VALU_DEP_4)
	v_fma_f64 v[3:4], v[3:4], v[22:23], v[34:35]
	v_fma_f64 v[1:2], v[1:2], v[22:23], -v[24:25]
	s_delay_alu instid0(VALU_DEP_4) | instskip(NEXT) | instid1(VALU_DEP_4)
	v_add_f64_e32 v[8:9], 0, v[10:11]
	v_add_f64_e32 v[6:7], 0, v[6:7]
	s_delay_alu instid0(VALU_DEP_2) | instskip(NEXT) | instid1(VALU_DEP_2)
	v_add_f64_e32 v[1:2], v[8:9], v[1:2]
	v_add_f64_e32 v[3:4], v[6:7], v[3:4]
	s_wait_loadcnt 0x0
	s_delay_alu instid0(VALU_DEP_2) | instskip(NEXT) | instid1(VALU_DEP_2)
	v_add_f64_e64 v[1:2], v[26:27], -v[1:2]
	v_add_f64_e64 v[3:4], v[28:29], -v[3:4]
	scratch_store_b128 off, v[1:4], off offset:16
	v_cmpx_ne_u32_e32 0, v21
	s_cbranch_execz .LBB67_37
; %bb.36:
	scratch_load_b128 v[1:4], off, off
	v_mov_b32_e32 v6, 0
	s_delay_alu instid0(VALU_DEP_1)
	v_dual_mov_b32 v7, v6 :: v_dual_mov_b32 v8, v6
	v_mov_b32_e32 v9, v6
	scratch_store_b128 off, v[6:9], off
	s_wait_loadcnt 0x0
	ds_store_b128 v5, v[1:4]
.LBB67_37:
	s_wait_alu 0xfffe
	s_or_b32 exec_lo, exec_lo, s2
	s_wait_storecnt_dscnt 0x0
	s_barrier_signal -1
	s_barrier_wait -1
	global_inv scope:SCOPE_SE
	s_clause 0x3
	scratch_load_b128 v[2:5], off, off offset:16
	scratch_load_b128 v[6:9], off, off offset:32
	;; [unrolled: 1-line block ×3, first 2 shown]
	scratch_load_b128 v[26:29], off, off
	v_mov_b32_e32 v1, 0
	ds_load_b128 v[30:33], v1 offset:80
	ds_load_b128 v[34:37], v1 offset:96
	s_and_b32 vcc_lo, exec_lo, s14
	s_wait_loadcnt_dscnt 0x301
	v_mul_f64_e32 v[10:11], v[32:33], v[4:5]
	v_mul_f64_e32 v[4:5], v[30:31], v[4:5]
	s_wait_loadcnt_dscnt 0x200
	v_mul_f64_e32 v[38:39], v[34:35], v[8:9]
	v_mul_f64_e32 v[8:9], v[36:37], v[8:9]
	s_delay_alu instid0(VALU_DEP_4) | instskip(NEXT) | instid1(VALU_DEP_4)
	v_fma_f64 v[10:11], v[30:31], v[2:3], -v[10:11]
	v_fma_f64 v[30:31], v[32:33], v[2:3], v[4:5]
	ds_load_b128 v[2:5], v1 offset:112
	v_fma_f64 v[36:37], v[36:37], v[6:7], v[38:39]
	v_fma_f64 v[6:7], v[34:35], v[6:7], -v[8:9]
	s_wait_loadcnt_dscnt 0x100
	v_mul_f64_e32 v[32:33], v[2:3], v[24:25]
	v_mul_f64_e32 v[24:25], v[4:5], v[24:25]
	v_add_f64_e32 v[8:9], 0, v[10:11]
	v_add_f64_e32 v[10:11], 0, v[30:31]
	s_delay_alu instid0(VALU_DEP_4) | instskip(NEXT) | instid1(VALU_DEP_4)
	v_fma_f64 v[4:5], v[4:5], v[22:23], v[32:33]
	v_fma_f64 v[2:3], v[2:3], v[22:23], -v[24:25]
	s_delay_alu instid0(VALU_DEP_4) | instskip(NEXT) | instid1(VALU_DEP_4)
	v_add_f64_e32 v[6:7], v[8:9], v[6:7]
	v_add_f64_e32 v[8:9], v[10:11], v[36:37]
	s_delay_alu instid0(VALU_DEP_2) | instskip(NEXT) | instid1(VALU_DEP_2)
	v_add_f64_e32 v[2:3], v[6:7], v[2:3]
	v_add_f64_e32 v[4:5], v[8:9], v[4:5]
	s_wait_loadcnt 0x0
	s_delay_alu instid0(VALU_DEP_2) | instskip(NEXT) | instid1(VALU_DEP_2)
	v_add_f64_e64 v[2:3], v[26:27], -v[2:3]
	v_add_f64_e64 v[4:5], v[28:29], -v[4:5]
	scratch_store_b128 off, v[2:5], off
	s_wait_alu 0xfffe
	s_cbranch_vccz .LBB67_44
; %bb.38:
	global_load_b32 v1, v1, s[8:9] offset:8
	s_load_b64 s[0:1], s[0:1], 0x4
	v_bfe_u32 v2, v0, 10, 10
	v_bfe_u32 v0, v0, 20, 10
	s_wait_kmcnt 0x0
	s_lshr_b32 s0, s0, 16
	s_delay_alu instid0(VALU_DEP_2) | instskip(SKIP_3) | instid1(VALU_DEP_1)
	v_mul_u32_u24_e32 v2, s1, v2
	s_mul_i32 s0, s0, s1
	s_wait_alu 0xfffe
	v_mul_u32_u24_e32 v3, s0, v21
	v_add3_u32 v0, v3, v2, v0
	s_delay_alu instid0(VALU_DEP_1)
	v_lshl_add_u32 v0, v0, 4, 0x88
	s_wait_loadcnt 0x0
	v_cmp_ne_u32_e32 vcc_lo, 3, v1
	s_cbranch_vccz .LBB67_40
; %bb.39:
	v_lshlrev_b32_e32 v1, 4, v1
	s_delay_alu instid0(VALU_DEP_1)
	v_mov_b32_e32 v9, v1
	s_clause 0x1
	scratch_load_b128 v[1:4], off, s12
	scratch_load_b128 v[5:8], v9, off offset:-16
	s_wait_loadcnt 0x1
	ds_store_2addr_b64 v0, v[1:2], v[3:4] offset1:1
	s_wait_loadcnt 0x0
	s_clause 0x1
	scratch_store_b128 off, v[5:8], s12
	scratch_store_b128 v9, v[1:4], off offset:-16
.LBB67_40:
	v_mov_b32_e32 v1, 0
	global_load_b32 v2, v1, s[8:9] offset:4
	s_wait_loadcnt 0x0
	v_cmp_eq_u32_e32 vcc_lo, 2, v2
	s_cbranch_vccnz .LBB67_42
; %bb.41:
	v_lshlrev_b32_e32 v2, 4, v2
	s_delay_alu instid0(VALU_DEP_1)
	v_mov_b32_e32 v10, v2
	s_clause 0x1
	scratch_load_b128 v[2:5], off, s4
	scratch_load_b128 v[6:9], v10, off offset:-16
	s_wait_loadcnt 0x1
	ds_store_2addr_b64 v0, v[2:3], v[4:5] offset1:1
	s_wait_loadcnt 0x0
	s_clause 0x1
	scratch_store_b128 off, v[6:9], s4
	scratch_store_b128 v10, v[2:5], off offset:-16
.LBB67_42:
	global_load_b32 v1, v1, s[8:9]
	s_wait_loadcnt 0x0
	v_cmp_eq_u32_e32 vcc_lo, 1, v1
	s_cbranch_vccnz .LBB67_44
; %bb.43:
	v_lshlrev_b32_e32 v1, 4, v1
	s_delay_alu instid0(VALU_DEP_1)
	v_mov_b32_e32 v9, v1
	scratch_load_b128 v[1:4], off, off
	scratch_load_b128 v[5:8], v9, off offset:-16
	s_wait_loadcnt 0x1
	ds_store_2addr_b64 v0, v[1:2], v[3:4] offset1:1
	s_wait_loadcnt 0x0
	scratch_store_b128 off, v[5:8], off
	scratch_store_b128 v9, v[1:4], off offset:-16
.LBB67_44:
	scratch_load_b128 v[0:3], off, off
	s_clause 0x2
	scratch_load_b128 v[4:7], off, s4
	scratch_load_b128 v[8:11], off, s12
	;; [unrolled: 1-line block ×3, first 2 shown]
	s_wait_loadcnt 0x3
	flat_store_b128 v[13:14], v[0:3]
	s_wait_loadcnt 0x2
	flat_store_b128 v[15:16], v[4:7]
	;; [unrolled: 2-line block ×4, first 2 shown]
	s_endpgm
	.section	.rodata,"a",@progbits
	.p2align	6, 0x0
	.amdhsa_kernel _ZN9rocsolver6v33100L18getri_kernel_smallILi4E19rocblas_complex_numIdEPKPS3_EEvT1_iilPiilS8_bb
		.amdhsa_group_segment_fixed_size 1160
		.amdhsa_private_segment_fixed_size 80
		.amdhsa_kernarg_size 60
		.amdhsa_user_sgpr_count 4
		.amdhsa_user_sgpr_dispatch_ptr 1
		.amdhsa_user_sgpr_queue_ptr 0
		.amdhsa_user_sgpr_kernarg_segment_ptr 1
		.amdhsa_user_sgpr_dispatch_id 0
		.amdhsa_user_sgpr_private_segment_size 0
		.amdhsa_wavefront_size32 1
		.amdhsa_uses_dynamic_stack 0
		.amdhsa_enable_private_segment 1
		.amdhsa_system_sgpr_workgroup_id_x 1
		.amdhsa_system_sgpr_workgroup_id_y 0
		.amdhsa_system_sgpr_workgroup_id_z 0
		.amdhsa_system_sgpr_workgroup_info 0
		.amdhsa_system_vgpr_workitem_id 2
		.amdhsa_next_free_vgpr 40
		.amdhsa_next_free_sgpr 19
		.amdhsa_reserve_vcc 1
		.amdhsa_float_round_mode_32 0
		.amdhsa_float_round_mode_16_64 0
		.amdhsa_float_denorm_mode_32 3
		.amdhsa_float_denorm_mode_16_64 3
		.amdhsa_fp16_overflow 0
		.amdhsa_workgroup_processor_mode 1
		.amdhsa_memory_ordered 1
		.amdhsa_forward_progress 1
		.amdhsa_inst_pref_size 29
		.amdhsa_round_robin_scheduling 0
		.amdhsa_exception_fp_ieee_invalid_op 0
		.amdhsa_exception_fp_denorm_src 0
		.amdhsa_exception_fp_ieee_div_zero 0
		.amdhsa_exception_fp_ieee_overflow 0
		.amdhsa_exception_fp_ieee_underflow 0
		.amdhsa_exception_fp_ieee_inexact 0
		.amdhsa_exception_int_div_zero 0
	.end_amdhsa_kernel
	.section	.text._ZN9rocsolver6v33100L18getri_kernel_smallILi4E19rocblas_complex_numIdEPKPS3_EEvT1_iilPiilS8_bb,"axG",@progbits,_ZN9rocsolver6v33100L18getri_kernel_smallILi4E19rocblas_complex_numIdEPKPS3_EEvT1_iilPiilS8_bb,comdat
.Lfunc_end67:
	.size	_ZN9rocsolver6v33100L18getri_kernel_smallILi4E19rocblas_complex_numIdEPKPS3_EEvT1_iilPiilS8_bb, .Lfunc_end67-_ZN9rocsolver6v33100L18getri_kernel_smallILi4E19rocblas_complex_numIdEPKPS3_EEvT1_iilPiilS8_bb
                                        ; -- End function
	.set _ZN9rocsolver6v33100L18getri_kernel_smallILi4E19rocblas_complex_numIdEPKPS3_EEvT1_iilPiilS8_bb.num_vgpr, 40
	.set _ZN9rocsolver6v33100L18getri_kernel_smallILi4E19rocblas_complex_numIdEPKPS3_EEvT1_iilPiilS8_bb.num_agpr, 0
	.set _ZN9rocsolver6v33100L18getri_kernel_smallILi4E19rocblas_complex_numIdEPKPS3_EEvT1_iilPiilS8_bb.numbered_sgpr, 19
	.set _ZN9rocsolver6v33100L18getri_kernel_smallILi4E19rocblas_complex_numIdEPKPS3_EEvT1_iilPiilS8_bb.num_named_barrier, 0
	.set _ZN9rocsolver6v33100L18getri_kernel_smallILi4E19rocblas_complex_numIdEPKPS3_EEvT1_iilPiilS8_bb.private_seg_size, 80
	.set _ZN9rocsolver6v33100L18getri_kernel_smallILi4E19rocblas_complex_numIdEPKPS3_EEvT1_iilPiilS8_bb.uses_vcc, 1
	.set _ZN9rocsolver6v33100L18getri_kernel_smallILi4E19rocblas_complex_numIdEPKPS3_EEvT1_iilPiilS8_bb.uses_flat_scratch, 1
	.set _ZN9rocsolver6v33100L18getri_kernel_smallILi4E19rocblas_complex_numIdEPKPS3_EEvT1_iilPiilS8_bb.has_dyn_sized_stack, 0
	.set _ZN9rocsolver6v33100L18getri_kernel_smallILi4E19rocblas_complex_numIdEPKPS3_EEvT1_iilPiilS8_bb.has_recursion, 0
	.set _ZN9rocsolver6v33100L18getri_kernel_smallILi4E19rocblas_complex_numIdEPKPS3_EEvT1_iilPiilS8_bb.has_indirect_call, 0
	.section	.AMDGPU.csdata,"",@progbits
; Kernel info:
; codeLenInByte = 3608
; TotalNumSgprs: 21
; NumVgprs: 40
; ScratchSize: 80
; MemoryBound: 0
; FloatMode: 240
; IeeeMode: 1
; LDSByteSize: 1160 bytes/workgroup (compile time only)
; SGPRBlocks: 0
; VGPRBlocks: 4
; NumSGPRsForWavesPerEU: 21
; NumVGPRsForWavesPerEU: 40
; Occupancy: 16
; WaveLimiterHint : 1
; COMPUTE_PGM_RSRC2:SCRATCH_EN: 1
; COMPUTE_PGM_RSRC2:USER_SGPR: 4
; COMPUTE_PGM_RSRC2:TRAP_HANDLER: 0
; COMPUTE_PGM_RSRC2:TGID_X_EN: 1
; COMPUTE_PGM_RSRC2:TGID_Y_EN: 0
; COMPUTE_PGM_RSRC2:TGID_Z_EN: 0
; COMPUTE_PGM_RSRC2:TIDIG_COMP_CNT: 2
	.section	.text._ZN9rocsolver6v33100L18getri_kernel_smallILi5E19rocblas_complex_numIdEPKPS3_EEvT1_iilPiilS8_bb,"axG",@progbits,_ZN9rocsolver6v33100L18getri_kernel_smallILi5E19rocblas_complex_numIdEPKPS3_EEvT1_iilPiilS8_bb,comdat
	.globl	_ZN9rocsolver6v33100L18getri_kernel_smallILi5E19rocblas_complex_numIdEPKPS3_EEvT1_iilPiilS8_bb ; -- Begin function _ZN9rocsolver6v33100L18getri_kernel_smallILi5E19rocblas_complex_numIdEPKPS3_EEvT1_iilPiilS8_bb
	.p2align	8
	.type	_ZN9rocsolver6v33100L18getri_kernel_smallILi5E19rocblas_complex_numIdEPKPS3_EEvT1_iilPiilS8_bb,@function
_ZN9rocsolver6v33100L18getri_kernel_smallILi5E19rocblas_complex_numIdEPKPS3_EEvT1_iilPiilS8_bb: ; @_ZN9rocsolver6v33100L18getri_kernel_smallILi5E19rocblas_complex_numIdEPKPS3_EEvT1_iilPiilS8_bb
; %bb.0:
	v_and_b32_e32 v23, 0x3ff, v0
	s_mov_b32 s4, exec_lo
	s_delay_alu instid0(VALU_DEP_1)
	v_cmpx_gt_u32_e32 5, v23
	s_cbranch_execz .LBB68_34
; %bb.1:
	s_clause 0x1
	s_load_b32 s15, s[2:3], 0x38
	s_load_b64 s[8:9], s[2:3], 0x0
	s_mov_b32 s10, ttmp9
	s_load_b128 s[4:7], s[2:3], 0x28
	s_wait_kmcnt 0x0
	s_bitcmp1_b32 s15, 8
	s_cselect_b32 s14, -1, 0
	s_ashr_i32 s11, ttmp9, 31
	s_delay_alu instid0(SALU_CYCLE_1) | instskip(NEXT) | instid1(SALU_CYCLE_1)
	s_lshl_b64 s[12:13], s[10:11], 3
	s_add_nc_u64 s[8:9], s[8:9], s[12:13]
	s_load_b64 s[12:13], s[8:9], 0x0
	s_bfe_u32 s8, s15, 0x10008
	s_delay_alu instid0(SALU_CYCLE_1)
	s_cmp_eq_u32 s8, 0
                                        ; implicit-def: $sgpr8_sgpr9
	s_cbranch_scc1 .LBB68_3
; %bb.2:
	s_load_b96 s[16:18], s[2:3], 0x18
	s_mul_u64 s[4:5], s[4:5], s[10:11]
	s_delay_alu instid0(SALU_CYCLE_1)
	s_lshl_b64 s[4:5], s[4:5], 2
	s_wait_kmcnt 0x0
	s_ashr_i32 s9, s18, 31
	s_mov_b32 s8, s18
	s_add_nc_u64 s[4:5], s[16:17], s[4:5]
	s_lshl_b64 s[8:9], s[8:9], 2
	s_delay_alu instid0(SALU_CYCLE_1)
	s_add_nc_u64 s[8:9], s[4:5], s[8:9]
.LBB68_3:
	s_clause 0x1
	s_load_b64 s[4:5], s[2:3], 0x8
	s_load_b32 s15, s[2:3], 0x38
	v_lshlrev_b32_e32 v24, 4, v23
	s_wait_kmcnt 0x0
	s_ashr_i32 s3, s4, 31
	s_mov_b32 s2, s4
	v_add3_u32 v5, s5, s5, v23
	s_lshl_b64 s[2:3], s[2:3], 4
	s_delay_alu instid0(SALU_CYCLE_1)
	s_add_nc_u64 s[2:3], s[12:13], s[2:3]
	s_ashr_i32 s13, s5, 31
	v_add_co_u32 v13, s4, s2, v24
	s_wait_alu 0xf1ff
	v_add_co_ci_u32_e64 v14, null, s3, 0, s4
	s_mov_b32 s12, s5
	v_ashrrev_i32_e32 v6, 31, v5
	s_lshl_b64 s[12:13], s[12:13], 4
	flat_load_b128 v[1:4], v[13:14]
	v_add_co_u32 v15, vcc_lo, v13, s12
	s_delay_alu instid0(VALU_DEP_1)
	v_add_co_ci_u32_e64 v16, null, s13, v14, vcc_lo
	v_lshlrev_b64_e32 v[6:7], 4, v[5:6]
	v_add_nc_u32_e32 v5, s5, v5
	s_mov_b32 s13, 16
	s_mov_b32 s12, 32
	;; [unrolled: 1-line block ×3, first 2 shown]
	s_bitcmp0_b32 s15, 0
	v_add_co_u32 v17, vcc_lo, s2, v6
	s_wait_alu 0xfffd
	v_add_co_ci_u32_e64 v18, null, s3, v7, vcc_lo
	v_ashrrev_i32_e32 v6, 31, v5
	s_delay_alu instid0(VALU_DEP_1) | instskip(SKIP_2) | instid1(VALU_DEP_2)
	v_lshlrev_b64_e32 v[6:7], 4, v[5:6]
	v_add_nc_u32_e32 v5, s5, v5
	s_mov_b32 s5, 48
	v_add_co_u32 v19, vcc_lo, s2, v6
	s_wait_alu 0xfffd
	s_delay_alu instid0(VALU_DEP_3) | instskip(SKIP_1) | instid1(VALU_DEP_1)
	v_add_co_ci_u32_e64 v20, null, s3, v7, vcc_lo
	v_ashrrev_i32_e32 v6, 31, v5
	v_lshlrev_b64_e32 v[5:6], 4, v[5:6]
	s_delay_alu instid0(VALU_DEP_1) | instskip(SKIP_1) | instid1(VALU_DEP_2)
	v_add_co_u32 v21, vcc_lo, s2, v5
	s_wait_alu 0xfffd
	v_add_co_ci_u32_e64 v22, null, s3, v6, vcc_lo
	s_mov_b32 s3, -1
	s_wait_loadcnt_dscnt 0x0
	scratch_store_b128 off, v[1:4], off
	flat_load_b128 v[1:4], v[15:16]
	s_wait_loadcnt_dscnt 0x0
	scratch_store_b128 off, v[1:4], off offset:16
	flat_load_b128 v[1:4], v[17:18]
	s_wait_loadcnt_dscnt 0x0
	scratch_store_b128 off, v[1:4], off offset:32
	;; [unrolled: 3-line block ×4, first 2 shown]
	s_cbranch_scc1 .LBB68_32
; %bb.4:
	v_cmp_eq_u32_e64 s2, 0, v23
	s_and_saveexec_b32 s3, s2
; %bb.5:
	v_mov_b32_e32 v1, 0
	ds_store_b32 v1, v1 offset:160
; %bb.6:
	s_wait_alu 0xfffe
	s_or_b32 exec_lo, exec_lo, s3
	s_wait_storecnt_dscnt 0x0
	s_barrier_signal -1
	s_barrier_wait -1
	global_inv scope:SCOPE_SE
	scratch_load_b128 v[1:4], v24, off
	s_wait_loadcnt 0x0
	v_cmp_eq_f64_e32 vcc_lo, 0, v[1:2]
	v_cmp_eq_f64_e64 s3, 0, v[3:4]
	s_and_b32 s3, vcc_lo, s3
	s_wait_alu 0xfffe
	s_and_saveexec_b32 s15, s3
	s_cbranch_execz .LBB68_10
; %bb.7:
	v_mov_b32_e32 v1, 0
	s_mov_b32 s16, 0
	ds_load_b32 v2, v1 offset:160
	s_wait_dscnt 0x0
	v_readfirstlane_b32 s3, v2
	v_add_nc_u32_e32 v2, 1, v23
	s_cmp_eq_u32 s3, 0
	s_delay_alu instid0(VALU_DEP_1) | instskip(SKIP_1) | instid1(SALU_CYCLE_1)
	v_cmp_gt_i32_e32 vcc_lo, s3, v2
	s_cselect_b32 s17, -1, 0
	s_or_b32 s17, s17, vcc_lo
	s_delay_alu instid0(SALU_CYCLE_1)
	s_and_b32 exec_lo, exec_lo, s17
	s_cbranch_execz .LBB68_10
; %bb.8:
	v_mov_b32_e32 v3, s3
.LBB68_9:                               ; =>This Inner Loop Header: Depth=1
	ds_cmpstore_rtn_b32 v3, v1, v2, v3 offset:160
	s_wait_dscnt 0x0
	v_cmp_ne_u32_e32 vcc_lo, 0, v3
	v_cmp_le_i32_e64 s3, v3, v2
	s_and_b32 s3, vcc_lo, s3
	s_wait_alu 0xfffe
	s_and_b32 s3, exec_lo, s3
	s_wait_alu 0xfffe
	s_or_b32 s16, s3, s16
	s_delay_alu instid0(SALU_CYCLE_1)
	s_and_not1_b32 exec_lo, exec_lo, s16
	s_cbranch_execnz .LBB68_9
.LBB68_10:
	s_or_b32 exec_lo, exec_lo, s15
	v_mov_b32_e32 v1, 0
	s_barrier_signal -1
	s_barrier_wait -1
	global_inv scope:SCOPE_SE
	ds_load_b32 v2, v1 offset:160
	s_and_saveexec_b32 s3, s2
	s_cbranch_execz .LBB68_12
; %bb.11:
	s_lshl_b64 s[16:17], s[10:11], 2
	s_delay_alu instid0(SALU_CYCLE_1)
	s_add_nc_u64 s[16:17], s[6:7], s[16:17]
	s_wait_dscnt 0x0
	global_store_b32 v1, v2, s[16:17]
.LBB68_12:
	s_wait_alu 0xfffe
	s_or_b32 exec_lo, exec_lo, s3
	s_wait_dscnt 0x0
	v_cmp_ne_u32_e32 vcc_lo, 0, v2
	s_mov_b32 s3, 0
	s_cbranch_vccnz .LBB68_32
; %bb.13:
	v_mov_b32_e32 v25, v24
                                        ; implicit-def: $vgpr1_vgpr2
                                        ; implicit-def: $vgpr9_vgpr10
	scratch_load_b128 v[5:8], v25, off
	s_wait_loadcnt 0x0
	v_cmp_ngt_f64_e64 s3, |v[5:6]|, |v[7:8]|
	s_wait_alu 0xfffe
	s_and_saveexec_b32 s15, s3
	s_delay_alu instid0(SALU_CYCLE_1)
	s_xor_b32 s3, exec_lo, s15
	s_cbranch_execz .LBB68_15
; %bb.14:
	v_div_scale_f64 v[1:2], null, v[7:8], v[7:8], v[5:6]
	v_div_scale_f64 v[11:12], vcc_lo, v[5:6], v[7:8], v[5:6]
	s_delay_alu instid0(VALU_DEP_2) | instskip(NEXT) | instid1(TRANS32_DEP_1)
	v_rcp_f64_e32 v[3:4], v[1:2]
	v_fma_f64 v[9:10], -v[1:2], v[3:4], 1.0
	s_delay_alu instid0(VALU_DEP_1) | instskip(NEXT) | instid1(VALU_DEP_1)
	v_fma_f64 v[3:4], v[3:4], v[9:10], v[3:4]
	v_fma_f64 v[9:10], -v[1:2], v[3:4], 1.0
	s_delay_alu instid0(VALU_DEP_1) | instskip(NEXT) | instid1(VALU_DEP_1)
	v_fma_f64 v[3:4], v[3:4], v[9:10], v[3:4]
	v_mul_f64_e32 v[9:10], v[11:12], v[3:4]
	s_delay_alu instid0(VALU_DEP_1) | instskip(SKIP_1) | instid1(VALU_DEP_1)
	v_fma_f64 v[1:2], -v[1:2], v[9:10], v[11:12]
	s_wait_alu 0xfffd
	v_div_fmas_f64 v[1:2], v[1:2], v[3:4], v[9:10]
	s_delay_alu instid0(VALU_DEP_1) | instskip(NEXT) | instid1(VALU_DEP_1)
	v_div_fixup_f64 v[1:2], v[1:2], v[7:8], v[5:6]
	v_fma_f64 v[3:4], v[5:6], v[1:2], v[7:8]
	s_delay_alu instid0(VALU_DEP_1) | instskip(SKIP_1) | instid1(VALU_DEP_2)
	v_div_scale_f64 v[5:6], null, v[3:4], v[3:4], 1.0
	v_div_scale_f64 v[11:12], vcc_lo, 1.0, v[3:4], 1.0
	v_rcp_f64_e32 v[7:8], v[5:6]
	s_delay_alu instid0(TRANS32_DEP_1) | instskip(NEXT) | instid1(VALU_DEP_1)
	v_fma_f64 v[9:10], -v[5:6], v[7:8], 1.0
	v_fma_f64 v[7:8], v[7:8], v[9:10], v[7:8]
	s_delay_alu instid0(VALU_DEP_1) | instskip(NEXT) | instid1(VALU_DEP_1)
	v_fma_f64 v[9:10], -v[5:6], v[7:8], 1.0
	v_fma_f64 v[7:8], v[7:8], v[9:10], v[7:8]
	s_delay_alu instid0(VALU_DEP_1) | instskip(NEXT) | instid1(VALU_DEP_1)
	v_mul_f64_e32 v[9:10], v[11:12], v[7:8]
	v_fma_f64 v[5:6], -v[5:6], v[9:10], v[11:12]
	s_wait_alu 0xfffd
	s_delay_alu instid0(VALU_DEP_1) | instskip(NEXT) | instid1(VALU_DEP_1)
	v_div_fmas_f64 v[5:6], v[5:6], v[7:8], v[9:10]
	v_div_fixup_f64 v[3:4], v[5:6], v[3:4], 1.0
                                        ; implicit-def: $vgpr5_vgpr6
	s_delay_alu instid0(VALU_DEP_1) | instskip(SKIP_1) | instid1(VALU_DEP_2)
	v_mul_f64_e32 v[1:2], v[1:2], v[3:4]
	v_xor_b32_e32 v4, 0x80000000, v4
	v_xor_b32_e32 v10, 0x80000000, v2
	s_delay_alu instid0(VALU_DEP_3)
	v_mov_b32_e32 v9, v1
.LBB68_15:
	s_wait_alu 0xfffe
	s_and_not1_saveexec_b32 s3, s3
	s_cbranch_execz .LBB68_17
; %bb.16:
	v_div_scale_f64 v[1:2], null, v[5:6], v[5:6], v[7:8]
	v_div_scale_f64 v[11:12], vcc_lo, v[7:8], v[5:6], v[7:8]
	s_delay_alu instid0(VALU_DEP_2) | instskip(NEXT) | instid1(TRANS32_DEP_1)
	v_rcp_f64_e32 v[3:4], v[1:2]
	v_fma_f64 v[9:10], -v[1:2], v[3:4], 1.0
	s_delay_alu instid0(VALU_DEP_1) | instskip(NEXT) | instid1(VALU_DEP_1)
	v_fma_f64 v[3:4], v[3:4], v[9:10], v[3:4]
	v_fma_f64 v[9:10], -v[1:2], v[3:4], 1.0
	s_delay_alu instid0(VALU_DEP_1) | instskip(NEXT) | instid1(VALU_DEP_1)
	v_fma_f64 v[3:4], v[3:4], v[9:10], v[3:4]
	v_mul_f64_e32 v[9:10], v[11:12], v[3:4]
	s_delay_alu instid0(VALU_DEP_1) | instskip(SKIP_1) | instid1(VALU_DEP_1)
	v_fma_f64 v[1:2], -v[1:2], v[9:10], v[11:12]
	s_wait_alu 0xfffd
	v_div_fmas_f64 v[1:2], v[1:2], v[3:4], v[9:10]
	s_delay_alu instid0(VALU_DEP_1) | instskip(NEXT) | instid1(VALU_DEP_1)
	v_div_fixup_f64 v[3:4], v[1:2], v[5:6], v[7:8]
	v_fma_f64 v[1:2], v[7:8], v[3:4], v[5:6]
	s_delay_alu instid0(VALU_DEP_1) | instskip(NEXT) | instid1(VALU_DEP_1)
	v_div_scale_f64 v[5:6], null, v[1:2], v[1:2], 1.0
	v_rcp_f64_e32 v[7:8], v[5:6]
	s_delay_alu instid0(TRANS32_DEP_1) | instskip(NEXT) | instid1(VALU_DEP_1)
	v_fma_f64 v[9:10], -v[5:6], v[7:8], 1.0
	v_fma_f64 v[7:8], v[7:8], v[9:10], v[7:8]
	s_delay_alu instid0(VALU_DEP_1) | instskip(NEXT) | instid1(VALU_DEP_1)
	v_fma_f64 v[9:10], -v[5:6], v[7:8], 1.0
	v_fma_f64 v[7:8], v[7:8], v[9:10], v[7:8]
	v_div_scale_f64 v[9:10], vcc_lo, 1.0, v[1:2], 1.0
	s_delay_alu instid0(VALU_DEP_1) | instskip(NEXT) | instid1(VALU_DEP_1)
	v_mul_f64_e32 v[11:12], v[9:10], v[7:8]
	v_fma_f64 v[5:6], -v[5:6], v[11:12], v[9:10]
	s_wait_alu 0xfffd
	s_delay_alu instid0(VALU_DEP_1) | instskip(NEXT) | instid1(VALU_DEP_1)
	v_div_fmas_f64 v[5:6], v[5:6], v[7:8], v[11:12]
	v_div_fixup_f64 v[1:2], v[5:6], v[1:2], 1.0
	s_delay_alu instid0(VALU_DEP_1)
	v_mul_f64_e64 v[3:4], v[3:4], -v[1:2]
	v_xor_b32_e32 v10, 0x80000000, v2
	v_mov_b32_e32 v9, v1
.LBB68_17:
	s_wait_alu 0xfffe
	s_or_b32 exec_lo, exec_lo, s3
	scratch_store_b128 v25, v[1:4], off
	scratch_load_b128 v[26:29], off, s13
	v_xor_b32_e32 v12, 0x80000000, v4
	v_mov_b32_e32 v11, v3
	v_add_nc_u32_e32 v5, 0x50, v24
	ds_store_b128 v24, v[9:12]
	s_wait_loadcnt 0x0
	ds_store_b128 v24, v[26:29] offset:80
	s_wait_storecnt_dscnt 0x0
	s_barrier_signal -1
	s_barrier_wait -1
	global_inv scope:SCOPE_SE
	s_and_saveexec_b32 s3, s2
	s_cbranch_execz .LBB68_19
; %bb.18:
	scratch_load_b128 v[1:4], v25, off
	ds_load_b128 v[6:9], v5
	v_mov_b32_e32 v10, 0
	ds_load_b128 v[26:29], v10 offset:16
	s_wait_loadcnt_dscnt 0x1
	v_mul_f64_e32 v[10:11], v[6:7], v[3:4]
	v_mul_f64_e32 v[3:4], v[8:9], v[3:4]
	s_delay_alu instid0(VALU_DEP_2) | instskip(NEXT) | instid1(VALU_DEP_2)
	v_fma_f64 v[8:9], v[8:9], v[1:2], v[10:11]
	v_fma_f64 v[1:2], v[6:7], v[1:2], -v[3:4]
	s_delay_alu instid0(VALU_DEP_2) | instskip(NEXT) | instid1(VALU_DEP_2)
	v_add_f64_e32 v[3:4], 0, v[8:9]
	v_add_f64_e32 v[1:2], 0, v[1:2]
	s_wait_dscnt 0x0
	s_delay_alu instid0(VALU_DEP_2) | instskip(NEXT) | instid1(VALU_DEP_2)
	v_mul_f64_e32 v[6:7], v[3:4], v[28:29]
	v_mul_f64_e32 v[8:9], v[1:2], v[28:29]
	s_delay_alu instid0(VALU_DEP_2) | instskip(NEXT) | instid1(VALU_DEP_2)
	v_fma_f64 v[1:2], v[1:2], v[26:27], -v[6:7]
	v_fma_f64 v[3:4], v[3:4], v[26:27], v[8:9]
	scratch_store_b128 off, v[1:4], off offset:16
.LBB68_19:
	s_wait_alu 0xfffe
	s_or_b32 exec_lo, exec_lo, s3
	s_wait_loadcnt 0x0
	s_wait_storecnt 0x0
	s_barrier_signal -1
	s_barrier_wait -1
	global_inv scope:SCOPE_SE
	scratch_load_b128 v[1:4], off, s12
	s_mov_b32 s3, exec_lo
	s_wait_loadcnt 0x0
	ds_store_b128 v5, v[1:4]
	s_wait_dscnt 0x0
	s_barrier_signal -1
	s_barrier_wait -1
	global_inv scope:SCOPE_SE
	v_cmpx_gt_u32_e32 2, v23
	s_cbranch_execz .LBB68_23
; %bb.20:
	scratch_load_b128 v[1:4], v25, off
	ds_load_b128 v[6:9], v5
	s_wait_loadcnt_dscnt 0x0
	v_mul_f64_e32 v[10:11], v[8:9], v[3:4]
	v_mul_f64_e32 v[3:4], v[6:7], v[3:4]
	s_delay_alu instid0(VALU_DEP_2) | instskip(NEXT) | instid1(VALU_DEP_2)
	v_fma_f64 v[6:7], v[6:7], v[1:2], -v[10:11]
	v_fma_f64 v[3:4], v[8:9], v[1:2], v[3:4]
	s_delay_alu instid0(VALU_DEP_2) | instskip(NEXT) | instid1(VALU_DEP_2)
	v_add_f64_e32 v[1:2], 0, v[6:7]
	v_add_f64_e32 v[3:4], 0, v[3:4]
	s_and_saveexec_b32 s15, s2
	s_cbranch_execz .LBB68_22
; %bb.21:
	scratch_load_b128 v[6:9], off, off offset:16
	v_mov_b32_e32 v10, 0
	ds_load_b128 v[26:29], v10 offset:96
	s_wait_loadcnt_dscnt 0x0
	v_mul_f64_e32 v[10:11], v[26:27], v[8:9]
	v_mul_f64_e32 v[8:9], v[28:29], v[8:9]
	s_delay_alu instid0(VALU_DEP_2) | instskip(NEXT) | instid1(VALU_DEP_2)
	v_fma_f64 v[10:11], v[28:29], v[6:7], v[10:11]
	v_fma_f64 v[6:7], v[26:27], v[6:7], -v[8:9]
	s_delay_alu instid0(VALU_DEP_2) | instskip(NEXT) | instid1(VALU_DEP_2)
	v_add_f64_e32 v[3:4], v[3:4], v[10:11]
	v_add_f64_e32 v[1:2], v[1:2], v[6:7]
.LBB68_22:
	s_or_b32 exec_lo, exec_lo, s15
	v_mov_b32_e32 v6, 0
	ds_load_b128 v[6:9], v6 offset:32
	s_wait_dscnt 0x0
	v_mul_f64_e32 v[10:11], v[3:4], v[8:9]
	v_mul_f64_e32 v[8:9], v[1:2], v[8:9]
	s_delay_alu instid0(VALU_DEP_2) | instskip(NEXT) | instid1(VALU_DEP_2)
	v_fma_f64 v[1:2], v[1:2], v[6:7], -v[10:11]
	v_fma_f64 v[3:4], v[3:4], v[6:7], v[8:9]
	scratch_store_b128 off, v[1:4], off offset:32
.LBB68_23:
	s_wait_alu 0xfffe
	s_or_b32 exec_lo, exec_lo, s3
	s_wait_loadcnt 0x0
	s_wait_storecnt 0x0
	s_barrier_signal -1
	s_barrier_wait -1
	global_inv scope:SCOPE_SE
	scratch_load_b128 v[1:4], off, s5
	v_add_nc_u32_e32 v6, -1, v23
	s_mov_b32 s2, exec_lo
	s_wait_loadcnt 0x0
	ds_store_b128 v5, v[1:4]
	s_wait_dscnt 0x0
	s_barrier_signal -1
	s_barrier_wait -1
	global_inv scope:SCOPE_SE
	v_cmpx_gt_u32_e32 3, v23
	s_cbranch_execz .LBB68_27
; %bb.24:
	v_dual_mov_b32 v1, 0 :: v_dual_add_nc_u32 v8, 0x50, v24
	v_mov_b32_e32 v3, 0
	v_dual_mov_b32 v2, 0 :: v_dual_add_nc_u32 v7, -1, v23
	v_mov_b32_e32 v4, 0
	v_or_b32_e32 v9, 8, v25
	s_mov_b32 s3, 0
.LBB68_25:                              ; =>This Inner Loop Header: Depth=1
	scratch_load_b128 v[26:29], v9, off offset:-8
	ds_load_b128 v[30:33], v8
	v_add_nc_u32_e32 v7, 1, v7
	v_add_nc_u32_e32 v8, 16, v8
	;; [unrolled: 1-line block ×3, first 2 shown]
	s_delay_alu instid0(VALU_DEP_3)
	v_cmp_lt_u32_e32 vcc_lo, 1, v7
	s_wait_alu 0xfffe
	s_or_b32 s3, vcc_lo, s3
	s_wait_loadcnt_dscnt 0x0
	v_mul_f64_e32 v[10:11], v[32:33], v[28:29]
	v_mul_f64_e32 v[28:29], v[30:31], v[28:29]
	s_delay_alu instid0(VALU_DEP_2) | instskip(NEXT) | instid1(VALU_DEP_2)
	v_fma_f64 v[10:11], v[30:31], v[26:27], -v[10:11]
	v_fma_f64 v[26:27], v[32:33], v[26:27], v[28:29]
	s_delay_alu instid0(VALU_DEP_2) | instskip(NEXT) | instid1(VALU_DEP_2)
	v_add_f64_e32 v[3:4], v[3:4], v[10:11]
	v_add_f64_e32 v[1:2], v[1:2], v[26:27]
	s_wait_alu 0xfffe
	s_and_not1_b32 exec_lo, exec_lo, s3
	s_cbranch_execnz .LBB68_25
; %bb.26:
	s_or_b32 exec_lo, exec_lo, s3
	v_mov_b32_e32 v7, 0
	ds_load_b128 v[7:10], v7 offset:48
	s_wait_dscnt 0x0
	v_mul_f64_e32 v[11:12], v[1:2], v[9:10]
	v_mul_f64_e32 v[26:27], v[3:4], v[9:10]
	s_delay_alu instid0(VALU_DEP_2) | instskip(NEXT) | instid1(VALU_DEP_2)
	v_fma_f64 v[9:10], v[3:4], v[7:8], -v[11:12]
	v_fma_f64 v[11:12], v[1:2], v[7:8], v[26:27]
	scratch_store_b128 off, v[9:12], off offset:48
.LBB68_27:
	s_wait_alu 0xfffe
	s_or_b32 exec_lo, exec_lo, s2
	s_wait_loadcnt 0x0
	s_wait_storecnt 0x0
	s_barrier_signal -1
	s_barrier_wait -1
	global_inv scope:SCOPE_SE
	scratch_load_b128 v[1:4], off, s4
	s_mov_b32 s2, exec_lo
	s_wait_loadcnt 0x0
	ds_store_b128 v5, v[1:4]
	s_wait_dscnt 0x0
	s_barrier_signal -1
	s_barrier_wait -1
	global_inv scope:SCOPE_SE
	v_cmpx_ne_u32_e32 4, v23
	s_cbranch_execz .LBB68_31
; %bb.28:
	v_mov_b32_e32 v1, 0
	v_dual_mov_b32 v2, 0 :: v_dual_mov_b32 v3, 0
	v_mov_b32_e32 v4, 0
	v_or_b32_e32 v7, 8, v25
	s_mov_b32 s3, 0
.LBB68_29:                              ; =>This Inner Loop Header: Depth=1
	scratch_load_b128 v[8:11], v7, off offset:-8
	ds_load_b128 v[24:27], v5
	v_add_nc_u32_e32 v6, 1, v6
	v_add_nc_u32_e32 v5, 16, v5
	;; [unrolled: 1-line block ×3, first 2 shown]
	s_delay_alu instid0(VALU_DEP_3)
	v_cmp_lt_u32_e32 vcc_lo, 2, v6
	s_wait_alu 0xfffe
	s_or_b32 s3, vcc_lo, s3
	s_wait_loadcnt_dscnt 0x0
	v_mul_f64_e32 v[28:29], v[26:27], v[10:11]
	v_mul_f64_e32 v[10:11], v[24:25], v[10:11]
	s_delay_alu instid0(VALU_DEP_2) | instskip(NEXT) | instid1(VALU_DEP_2)
	v_fma_f64 v[24:25], v[24:25], v[8:9], -v[28:29]
	v_fma_f64 v[8:9], v[26:27], v[8:9], v[10:11]
	s_delay_alu instid0(VALU_DEP_2) | instskip(NEXT) | instid1(VALU_DEP_2)
	v_add_f64_e32 v[3:4], v[3:4], v[24:25]
	v_add_f64_e32 v[1:2], v[1:2], v[8:9]
	s_wait_alu 0xfffe
	s_and_not1_b32 exec_lo, exec_lo, s3
	s_cbranch_execnz .LBB68_29
; %bb.30:
	s_or_b32 exec_lo, exec_lo, s3
	v_mov_b32_e32 v5, 0
	ds_load_b128 v[5:8], v5 offset:64
	s_wait_dscnt 0x0
	v_mul_f64_e32 v[9:10], v[1:2], v[7:8]
	v_mul_f64_e32 v[7:8], v[3:4], v[7:8]
	s_delay_alu instid0(VALU_DEP_2) | instskip(NEXT) | instid1(VALU_DEP_2)
	v_fma_f64 v[3:4], v[3:4], v[5:6], -v[9:10]
	v_fma_f64 v[5:6], v[1:2], v[5:6], v[7:8]
	scratch_store_b128 off, v[3:6], off offset:64
.LBB68_31:
	s_wait_alu 0xfffe
	s_or_b32 exec_lo, exec_lo, s2
	s_mov_b32 s3, -1
	s_wait_loadcnt 0x0
	s_wait_storecnt 0x0
	s_barrier_signal -1
	s_barrier_wait -1
	global_inv scope:SCOPE_SE
.LBB68_32:
	s_wait_alu 0xfffe
	s_and_b32 vcc_lo, exec_lo, s3
	s_wait_alu 0xfffe
	s_cbranch_vccz .LBB68_34
; %bb.33:
	v_mov_b32_e32 v1, 0
	s_lshl_b64 s[2:3], s[10:11], 2
	s_wait_alu 0xfffe
	s_add_nc_u64 s[2:3], s[6:7], s[2:3]
	global_load_b32 v1, v1, s[2:3]
	s_wait_loadcnt 0x0
	v_cmp_ne_u32_e32 vcc_lo, 0, v1
	s_cbranch_vccz .LBB68_35
.LBB68_34:
	s_endpgm
.LBB68_35:
	v_lshl_add_u32 v5, v23, 4, 0x50
	s_mov_b32 s2, exec_lo
	v_cmpx_eq_u32_e32 4, v23
	s_cbranch_execz .LBB68_37
; %bb.36:
	scratch_load_b128 v[1:4], off, s5
	v_mov_b32_e32 v6, 0
	s_delay_alu instid0(VALU_DEP_1)
	v_dual_mov_b32 v7, v6 :: v_dual_mov_b32 v8, v6
	v_mov_b32_e32 v9, v6
	scratch_store_b128 off, v[6:9], off offset:48
	s_wait_loadcnt 0x0
	ds_store_b128 v5, v[1:4]
.LBB68_37:
	s_wait_alu 0xfffe
	s_or_b32 exec_lo, exec_lo, s2
	s_wait_storecnt_dscnt 0x0
	s_barrier_signal -1
	s_barrier_wait -1
	global_inv scope:SCOPE_SE
	s_clause 0x1
	scratch_load_b128 v[6:9], off, off offset:64
	scratch_load_b128 v[24:27], off, off offset:48
	v_mov_b32_e32 v1, 0
	s_mov_b32 s2, exec_lo
	ds_load_b128 v[28:31], v1 offset:144
	s_wait_loadcnt_dscnt 0x100
	v_mul_f64_e32 v[2:3], v[30:31], v[8:9]
	v_mul_f64_e32 v[8:9], v[28:29], v[8:9]
	s_delay_alu instid0(VALU_DEP_2) | instskip(NEXT) | instid1(VALU_DEP_2)
	v_fma_f64 v[2:3], v[28:29], v[6:7], -v[2:3]
	v_fma_f64 v[6:7], v[30:31], v[6:7], v[8:9]
	s_delay_alu instid0(VALU_DEP_2) | instskip(NEXT) | instid1(VALU_DEP_2)
	v_add_f64_e32 v[2:3], 0, v[2:3]
	v_add_f64_e32 v[8:9], 0, v[6:7]
	s_wait_loadcnt 0x0
	s_delay_alu instid0(VALU_DEP_2) | instskip(NEXT) | instid1(VALU_DEP_2)
	v_add_f64_e64 v[6:7], v[24:25], -v[2:3]
	v_add_f64_e64 v[8:9], v[26:27], -v[8:9]
	scratch_store_b128 off, v[6:9], off offset:48
	v_cmpx_lt_u32_e32 2, v23
	s_cbranch_execz .LBB68_39
; %bb.38:
	scratch_load_b128 v[6:9], off, s12
	v_dual_mov_b32 v2, v1 :: v_dual_mov_b32 v3, v1
	v_mov_b32_e32 v4, v1
	scratch_store_b128 off, v[1:4], off offset:32
	s_wait_loadcnt 0x0
	ds_store_b128 v5, v[6:9]
.LBB68_39:
	s_wait_alu 0xfffe
	s_or_b32 exec_lo, exec_lo, s2
	s_wait_storecnt_dscnt 0x0
	s_barrier_signal -1
	s_barrier_wait -1
	global_inv scope:SCOPE_SE
	s_clause 0x2
	scratch_load_b128 v[6:9], off, off offset:48
	scratch_load_b128 v[24:27], off, off offset:64
	;; [unrolled: 1-line block ×3, first 2 shown]
	ds_load_b128 v[32:35], v1 offset:128
	ds_load_b128 v[1:4], v1 offset:144
	s_mov_b32 s2, exec_lo
	s_wait_loadcnt_dscnt 0x201
	v_mul_f64_e32 v[10:11], v[34:35], v[8:9]
	v_mul_f64_e32 v[8:9], v[32:33], v[8:9]
	s_wait_loadcnt_dscnt 0x100
	v_mul_f64_e32 v[36:37], v[1:2], v[26:27]
	v_mul_f64_e32 v[26:27], v[3:4], v[26:27]
	s_delay_alu instid0(VALU_DEP_4) | instskip(NEXT) | instid1(VALU_DEP_4)
	v_fma_f64 v[10:11], v[32:33], v[6:7], -v[10:11]
	v_fma_f64 v[6:7], v[34:35], v[6:7], v[8:9]
	s_delay_alu instid0(VALU_DEP_4) | instskip(NEXT) | instid1(VALU_DEP_4)
	v_fma_f64 v[3:4], v[3:4], v[24:25], v[36:37]
	v_fma_f64 v[1:2], v[1:2], v[24:25], -v[26:27]
	s_delay_alu instid0(VALU_DEP_4) | instskip(NEXT) | instid1(VALU_DEP_4)
	v_add_f64_e32 v[8:9], 0, v[10:11]
	v_add_f64_e32 v[6:7], 0, v[6:7]
	s_delay_alu instid0(VALU_DEP_2) | instskip(NEXT) | instid1(VALU_DEP_2)
	v_add_f64_e32 v[1:2], v[8:9], v[1:2]
	v_add_f64_e32 v[3:4], v[6:7], v[3:4]
	s_wait_loadcnt 0x0
	s_delay_alu instid0(VALU_DEP_2) | instskip(NEXT) | instid1(VALU_DEP_2)
	v_add_f64_e64 v[1:2], v[28:29], -v[1:2]
	v_add_f64_e64 v[3:4], v[30:31], -v[3:4]
	scratch_store_b128 off, v[1:4], off offset:32
	v_cmpx_lt_u32_e32 1, v23
	s_cbranch_execz .LBB68_41
; %bb.40:
	scratch_load_b128 v[1:4], off, s13
	v_mov_b32_e32 v6, 0
	s_delay_alu instid0(VALU_DEP_1)
	v_dual_mov_b32 v7, v6 :: v_dual_mov_b32 v8, v6
	v_mov_b32_e32 v9, v6
	scratch_store_b128 off, v[6:9], off offset:16
	s_wait_loadcnt 0x0
	ds_store_b128 v5, v[1:4]
.LBB68_41:
	s_wait_alu 0xfffe
	s_or_b32 exec_lo, exec_lo, s2
	s_wait_storecnt_dscnt 0x0
	s_barrier_signal -1
	s_barrier_wait -1
	global_inv scope:SCOPE_SE
	s_clause 0x3
	scratch_load_b128 v[6:9], off, off offset:32
	scratch_load_b128 v[24:27], off, off offset:48
	;; [unrolled: 1-line block ×4, first 2 shown]
	v_mov_b32_e32 v1, 0
	ds_load_b128 v[36:39], v1 offset:112
	ds_load_b128 v[40:43], v1 offset:128
	s_mov_b32 s2, exec_lo
	s_wait_loadcnt_dscnt 0x301
	v_mul_f64_e32 v[2:3], v[38:39], v[8:9]
	v_mul_f64_e32 v[8:9], v[36:37], v[8:9]
	s_wait_loadcnt_dscnt 0x200
	v_mul_f64_e32 v[10:11], v[40:41], v[26:27]
	v_mul_f64_e32 v[26:27], v[42:43], v[26:27]
	s_delay_alu instid0(VALU_DEP_4) | instskip(NEXT) | instid1(VALU_DEP_4)
	v_fma_f64 v[2:3], v[36:37], v[6:7], -v[2:3]
	v_fma_f64 v[36:37], v[38:39], v[6:7], v[8:9]
	ds_load_b128 v[6:9], v1 offset:144
	v_fma_f64 v[10:11], v[42:43], v[24:25], v[10:11]
	v_fma_f64 v[24:25], v[40:41], v[24:25], -v[26:27]
	s_wait_loadcnt_dscnt 0x100
	v_mul_f64_e32 v[38:39], v[6:7], v[30:31]
	v_mul_f64_e32 v[30:31], v[8:9], v[30:31]
	v_add_f64_e32 v[2:3], 0, v[2:3]
	v_add_f64_e32 v[26:27], 0, v[36:37]
	s_delay_alu instid0(VALU_DEP_4) | instskip(NEXT) | instid1(VALU_DEP_4)
	v_fma_f64 v[8:9], v[8:9], v[28:29], v[38:39]
	v_fma_f64 v[6:7], v[6:7], v[28:29], -v[30:31]
	s_delay_alu instid0(VALU_DEP_4) | instskip(NEXT) | instid1(VALU_DEP_4)
	v_add_f64_e32 v[2:3], v[2:3], v[24:25]
	v_add_f64_e32 v[10:11], v[26:27], v[10:11]
	s_delay_alu instid0(VALU_DEP_2) | instskip(NEXT) | instid1(VALU_DEP_2)
	v_add_f64_e32 v[2:3], v[2:3], v[6:7]
	v_add_f64_e32 v[8:9], v[10:11], v[8:9]
	s_wait_loadcnt 0x0
	s_delay_alu instid0(VALU_DEP_2) | instskip(NEXT) | instid1(VALU_DEP_2)
	v_add_f64_e64 v[6:7], v[32:33], -v[2:3]
	v_add_f64_e64 v[8:9], v[34:35], -v[8:9]
	scratch_store_b128 off, v[6:9], off offset:16
	v_cmpx_ne_u32_e32 0, v23
	s_cbranch_execz .LBB68_43
; %bb.42:
	scratch_load_b128 v[6:9], off, off
	v_dual_mov_b32 v2, v1 :: v_dual_mov_b32 v3, v1
	v_mov_b32_e32 v4, v1
	scratch_store_b128 off, v[1:4], off
	s_wait_loadcnt 0x0
	ds_store_b128 v5, v[6:9]
.LBB68_43:
	s_wait_alu 0xfffe
	s_or_b32 exec_lo, exec_lo, s2
	s_wait_storecnt_dscnt 0x0
	s_barrier_signal -1
	s_barrier_wait -1
	global_inv scope:SCOPE_SE
	s_clause 0x4
	scratch_load_b128 v[2:5], off, off offset:16
	scratch_load_b128 v[6:9], off, off offset:32
	;; [unrolled: 1-line block ×4, first 2 shown]
	scratch_load_b128 v[32:35], off, off
	ds_load_b128 v[36:39], v1 offset:96
	ds_load_b128 v[40:43], v1 offset:112
	s_and_b32 vcc_lo, exec_lo, s14
	s_wait_loadcnt_dscnt 0x401
	v_mul_f64_e32 v[10:11], v[38:39], v[4:5]
	v_mul_f64_e32 v[4:5], v[36:37], v[4:5]
	s_wait_loadcnt_dscnt 0x300
	v_mul_f64_e32 v[44:45], v[40:41], v[8:9]
	v_mul_f64_e32 v[46:47], v[42:43], v[8:9]
	s_delay_alu instid0(VALU_DEP_4) | instskip(NEXT) | instid1(VALU_DEP_4)
	v_fma_f64 v[36:37], v[36:37], v[2:3], -v[10:11]
	v_fma_f64 v[38:39], v[38:39], v[2:3], v[4:5]
	ds_load_b128 v[2:5], v1 offset:128
	ds_load_b128 v[8:11], v1 offset:144
	v_fma_f64 v[42:43], v[42:43], v[6:7], v[44:45]
	v_fma_f64 v[6:7], v[40:41], v[6:7], -v[46:47]
	s_wait_loadcnt_dscnt 0x201
	v_mul_f64_e32 v[48:49], v[2:3], v[26:27]
	v_mul_f64_e32 v[26:27], v[4:5], v[26:27]
	s_wait_loadcnt_dscnt 0x100
	v_mul_f64_e32 v[40:41], v[8:9], v[30:31]
	v_mul_f64_e32 v[30:31], v[10:11], v[30:31]
	v_add_f64_e32 v[36:37], 0, v[36:37]
	v_add_f64_e32 v[38:39], 0, v[38:39]
	v_fma_f64 v[4:5], v[4:5], v[24:25], v[48:49]
	v_fma_f64 v[1:2], v[2:3], v[24:25], -v[26:27]
	v_fma_f64 v[10:11], v[10:11], v[28:29], v[40:41]
	v_fma_f64 v[8:9], v[8:9], v[28:29], -v[30:31]
	v_add_f64_e32 v[6:7], v[36:37], v[6:7]
	v_add_f64_e32 v[24:25], v[38:39], v[42:43]
	s_delay_alu instid0(VALU_DEP_2) | instskip(NEXT) | instid1(VALU_DEP_2)
	v_add_f64_e32 v[1:2], v[6:7], v[1:2]
	v_add_f64_e32 v[3:4], v[24:25], v[4:5]
	s_delay_alu instid0(VALU_DEP_2) | instskip(NEXT) | instid1(VALU_DEP_2)
	v_add_f64_e32 v[1:2], v[1:2], v[8:9]
	v_add_f64_e32 v[3:4], v[3:4], v[10:11]
	s_wait_loadcnt 0x0
	s_delay_alu instid0(VALU_DEP_2) | instskip(NEXT) | instid1(VALU_DEP_2)
	v_add_f64_e64 v[1:2], v[32:33], -v[1:2]
	v_add_f64_e64 v[3:4], v[34:35], -v[3:4]
	scratch_store_b128 off, v[1:4], off
	s_wait_alu 0xfffe
	s_cbranch_vccz .LBB68_52
; %bb.44:
	v_mov_b32_e32 v1, 0
	s_load_b64 s[0:1], s[0:1], 0x4
	v_bfe_u32 v3, v0, 10, 10
	v_bfe_u32 v0, v0, 20, 10
	global_load_b32 v2, v1, s[8:9] offset:12
	s_wait_kmcnt 0x0
	s_lshr_b32 s0, s0, 16
	v_mul_u32_u24_e32 v3, s1, v3
	s_mul_i32 s0, s0, s1
	s_wait_alu 0xfffe
	v_mul_u32_u24_e32 v4, s0, v23
	s_delay_alu instid0(VALU_DEP_1) | instskip(NEXT) | instid1(VALU_DEP_1)
	v_add3_u32 v0, v4, v3, v0
	v_lshl_add_u32 v0, v0, 4, 0xa8
	s_wait_loadcnt 0x0
	v_cmp_ne_u32_e32 vcc_lo, 4, v2
	s_cbranch_vccz .LBB68_46
; %bb.45:
	v_lshlrev_b32_e32 v2, 4, v2
	s_delay_alu instid0(VALU_DEP_1)
	v_mov_b32_e32 v10, v2
	s_clause 0x1
	scratch_load_b128 v[2:5], off, s5
	scratch_load_b128 v[6:9], v10, off offset:-16
	s_wait_loadcnt 0x1
	ds_store_2addr_b64 v0, v[2:3], v[4:5] offset1:1
	s_wait_loadcnt 0x0
	s_clause 0x1
	scratch_store_b128 off, v[6:9], s5
	scratch_store_b128 v10, v[2:5], off offset:-16
.LBB68_46:
	global_load_b32 v1, v1, s[8:9] offset:8
	s_wait_loadcnt 0x0
	v_cmp_eq_u32_e32 vcc_lo, 3, v1
	s_cbranch_vccnz .LBB68_48
; %bb.47:
	v_lshlrev_b32_e32 v1, 4, v1
	s_delay_alu instid0(VALU_DEP_1)
	v_mov_b32_e32 v9, v1
	s_clause 0x1
	scratch_load_b128 v[1:4], off, s12
	scratch_load_b128 v[5:8], v9, off offset:-16
	s_wait_loadcnt 0x1
	ds_store_2addr_b64 v0, v[1:2], v[3:4] offset1:1
	s_wait_loadcnt 0x0
	s_clause 0x1
	scratch_store_b128 off, v[5:8], s12
	scratch_store_b128 v9, v[1:4], off offset:-16
.LBB68_48:
	v_mov_b32_e32 v1, 0
	global_load_b32 v2, v1, s[8:9] offset:4
	s_wait_loadcnt 0x0
	v_cmp_eq_u32_e32 vcc_lo, 2, v2
	s_cbranch_vccnz .LBB68_50
; %bb.49:
	v_lshlrev_b32_e32 v2, 4, v2
	s_delay_alu instid0(VALU_DEP_1)
	v_mov_b32_e32 v10, v2
	s_clause 0x1
	scratch_load_b128 v[2:5], off, s13
	scratch_load_b128 v[6:9], v10, off offset:-16
	s_wait_loadcnt 0x1
	ds_store_2addr_b64 v0, v[2:3], v[4:5] offset1:1
	s_wait_loadcnt 0x0
	s_clause 0x1
	scratch_store_b128 off, v[6:9], s13
	scratch_store_b128 v10, v[2:5], off offset:-16
.LBB68_50:
	global_load_b32 v1, v1, s[8:9]
	s_wait_loadcnt 0x0
	v_cmp_eq_u32_e32 vcc_lo, 1, v1
	s_cbranch_vccnz .LBB68_52
; %bb.51:
	v_lshlrev_b32_e32 v1, 4, v1
	s_delay_alu instid0(VALU_DEP_1)
	v_mov_b32_e32 v9, v1
	scratch_load_b128 v[1:4], off, off
	scratch_load_b128 v[5:8], v9, off offset:-16
	s_wait_loadcnt 0x1
	ds_store_2addr_b64 v0, v[1:2], v[3:4] offset1:1
	s_wait_loadcnt 0x0
	scratch_store_b128 off, v[5:8], off
	scratch_store_b128 v9, v[1:4], off offset:-16
.LBB68_52:
	scratch_load_b128 v[0:3], off, off
	s_wait_loadcnt 0x0
	flat_store_b128 v[13:14], v[0:3]
	scratch_load_b128 v[0:3], off, s13
	s_wait_loadcnt 0x0
	flat_store_b128 v[15:16], v[0:3]
	scratch_load_b128 v[0:3], off, s12
	;; [unrolled: 3-line block ×4, first 2 shown]
	s_wait_loadcnt 0x0
	flat_store_b128 v[21:22], v[0:3]
	s_endpgm
	.section	.rodata,"a",@progbits
	.p2align	6, 0x0
	.amdhsa_kernel _ZN9rocsolver6v33100L18getri_kernel_smallILi5E19rocblas_complex_numIdEPKPS3_EEvT1_iilPiilS8_bb
		.amdhsa_group_segment_fixed_size 1192
		.amdhsa_private_segment_fixed_size 96
		.amdhsa_kernarg_size 60
		.amdhsa_user_sgpr_count 4
		.amdhsa_user_sgpr_dispatch_ptr 1
		.amdhsa_user_sgpr_queue_ptr 0
		.amdhsa_user_sgpr_kernarg_segment_ptr 1
		.amdhsa_user_sgpr_dispatch_id 0
		.amdhsa_user_sgpr_private_segment_size 0
		.amdhsa_wavefront_size32 1
		.amdhsa_uses_dynamic_stack 0
		.amdhsa_enable_private_segment 1
		.amdhsa_system_sgpr_workgroup_id_x 1
		.amdhsa_system_sgpr_workgroup_id_y 0
		.amdhsa_system_sgpr_workgroup_id_z 0
		.amdhsa_system_sgpr_workgroup_info 0
		.amdhsa_system_vgpr_workitem_id 2
		.amdhsa_next_free_vgpr 50
		.amdhsa_next_free_sgpr 19
		.amdhsa_reserve_vcc 1
		.amdhsa_float_round_mode_32 0
		.amdhsa_float_round_mode_16_64 0
		.amdhsa_float_denorm_mode_32 3
		.amdhsa_float_denorm_mode_16_64 3
		.amdhsa_fp16_overflow 0
		.amdhsa_workgroup_processor_mode 1
		.amdhsa_memory_ordered 1
		.amdhsa_forward_progress 1
		.amdhsa_inst_pref_size 36
		.amdhsa_round_robin_scheduling 0
		.amdhsa_exception_fp_ieee_invalid_op 0
		.amdhsa_exception_fp_denorm_src 0
		.amdhsa_exception_fp_ieee_div_zero 0
		.amdhsa_exception_fp_ieee_overflow 0
		.amdhsa_exception_fp_ieee_underflow 0
		.amdhsa_exception_fp_ieee_inexact 0
		.amdhsa_exception_int_div_zero 0
	.end_amdhsa_kernel
	.section	.text._ZN9rocsolver6v33100L18getri_kernel_smallILi5E19rocblas_complex_numIdEPKPS3_EEvT1_iilPiilS8_bb,"axG",@progbits,_ZN9rocsolver6v33100L18getri_kernel_smallILi5E19rocblas_complex_numIdEPKPS3_EEvT1_iilPiilS8_bb,comdat
.Lfunc_end68:
	.size	_ZN9rocsolver6v33100L18getri_kernel_smallILi5E19rocblas_complex_numIdEPKPS3_EEvT1_iilPiilS8_bb, .Lfunc_end68-_ZN9rocsolver6v33100L18getri_kernel_smallILi5E19rocblas_complex_numIdEPKPS3_EEvT1_iilPiilS8_bb
                                        ; -- End function
	.set _ZN9rocsolver6v33100L18getri_kernel_smallILi5E19rocblas_complex_numIdEPKPS3_EEvT1_iilPiilS8_bb.num_vgpr, 50
	.set _ZN9rocsolver6v33100L18getri_kernel_smallILi5E19rocblas_complex_numIdEPKPS3_EEvT1_iilPiilS8_bb.num_agpr, 0
	.set _ZN9rocsolver6v33100L18getri_kernel_smallILi5E19rocblas_complex_numIdEPKPS3_EEvT1_iilPiilS8_bb.numbered_sgpr, 19
	.set _ZN9rocsolver6v33100L18getri_kernel_smallILi5E19rocblas_complex_numIdEPKPS3_EEvT1_iilPiilS8_bb.num_named_barrier, 0
	.set _ZN9rocsolver6v33100L18getri_kernel_smallILi5E19rocblas_complex_numIdEPKPS3_EEvT1_iilPiilS8_bb.private_seg_size, 96
	.set _ZN9rocsolver6v33100L18getri_kernel_smallILi5E19rocblas_complex_numIdEPKPS3_EEvT1_iilPiilS8_bb.uses_vcc, 1
	.set _ZN9rocsolver6v33100L18getri_kernel_smallILi5E19rocblas_complex_numIdEPKPS3_EEvT1_iilPiilS8_bb.uses_flat_scratch, 1
	.set _ZN9rocsolver6v33100L18getri_kernel_smallILi5E19rocblas_complex_numIdEPKPS3_EEvT1_iilPiilS8_bb.has_dyn_sized_stack, 0
	.set _ZN9rocsolver6v33100L18getri_kernel_smallILi5E19rocblas_complex_numIdEPKPS3_EEvT1_iilPiilS8_bb.has_recursion, 0
	.set _ZN9rocsolver6v33100L18getri_kernel_smallILi5E19rocblas_complex_numIdEPKPS3_EEvT1_iilPiilS8_bb.has_indirect_call, 0
	.section	.AMDGPU.csdata,"",@progbits
; Kernel info:
; codeLenInByte = 4496
; TotalNumSgprs: 21
; NumVgprs: 50
; ScratchSize: 96
; MemoryBound: 0
; FloatMode: 240
; IeeeMode: 1
; LDSByteSize: 1192 bytes/workgroup (compile time only)
; SGPRBlocks: 0
; VGPRBlocks: 6
; NumSGPRsForWavesPerEU: 21
; NumVGPRsForWavesPerEU: 50
; Occupancy: 16
; WaveLimiterHint : 1
; COMPUTE_PGM_RSRC2:SCRATCH_EN: 1
; COMPUTE_PGM_RSRC2:USER_SGPR: 4
; COMPUTE_PGM_RSRC2:TRAP_HANDLER: 0
; COMPUTE_PGM_RSRC2:TGID_X_EN: 1
; COMPUTE_PGM_RSRC2:TGID_Y_EN: 0
; COMPUTE_PGM_RSRC2:TGID_Z_EN: 0
; COMPUTE_PGM_RSRC2:TIDIG_COMP_CNT: 2
	.section	.text._ZN9rocsolver6v33100L18getri_kernel_smallILi6E19rocblas_complex_numIdEPKPS3_EEvT1_iilPiilS8_bb,"axG",@progbits,_ZN9rocsolver6v33100L18getri_kernel_smallILi6E19rocblas_complex_numIdEPKPS3_EEvT1_iilPiilS8_bb,comdat
	.globl	_ZN9rocsolver6v33100L18getri_kernel_smallILi6E19rocblas_complex_numIdEPKPS3_EEvT1_iilPiilS8_bb ; -- Begin function _ZN9rocsolver6v33100L18getri_kernel_smallILi6E19rocblas_complex_numIdEPKPS3_EEvT1_iilPiilS8_bb
	.p2align	8
	.type	_ZN9rocsolver6v33100L18getri_kernel_smallILi6E19rocblas_complex_numIdEPKPS3_EEvT1_iilPiilS8_bb,@function
_ZN9rocsolver6v33100L18getri_kernel_smallILi6E19rocblas_complex_numIdEPKPS3_EEvT1_iilPiilS8_bb: ; @_ZN9rocsolver6v33100L18getri_kernel_smallILi6E19rocblas_complex_numIdEPKPS3_EEvT1_iilPiilS8_bb
; %bb.0:
	v_and_b32_e32 v25, 0x3ff, v0
	s_mov_b32 s4, exec_lo
	s_delay_alu instid0(VALU_DEP_1)
	v_cmpx_gt_u32_e32 6, v25
	s_cbranch_execz .LBB69_38
; %bb.1:
	s_clause 0x1
	s_load_b32 s15, s[2:3], 0x38
	s_load_b64 s[8:9], s[2:3], 0x0
	s_mov_b32 s10, ttmp9
	s_load_b128 s[4:7], s[2:3], 0x28
	s_wait_kmcnt 0x0
	s_bitcmp1_b32 s15, 8
	s_cselect_b32 s14, -1, 0
	s_ashr_i32 s11, ttmp9, 31
	s_delay_alu instid0(SALU_CYCLE_1) | instskip(NEXT) | instid1(SALU_CYCLE_1)
	s_lshl_b64 s[12:13], s[10:11], 3
	s_add_nc_u64 s[8:9], s[8:9], s[12:13]
	s_load_b64 s[12:13], s[8:9], 0x0
	s_bfe_u32 s8, s15, 0x10008
	s_delay_alu instid0(SALU_CYCLE_1)
	s_cmp_eq_u32 s8, 0
                                        ; implicit-def: $sgpr8_sgpr9
	s_cbranch_scc1 .LBB69_3
; %bb.2:
	s_load_b96 s[16:18], s[2:3], 0x18
	s_mul_u64 s[4:5], s[4:5], s[10:11]
	s_delay_alu instid0(SALU_CYCLE_1)
	s_lshl_b64 s[4:5], s[4:5], 2
	s_wait_kmcnt 0x0
	s_ashr_i32 s9, s18, 31
	s_mov_b32 s8, s18
	s_add_nc_u64 s[4:5], s[16:17], s[4:5]
	s_lshl_b64 s[8:9], s[8:9], 2
	s_delay_alu instid0(SALU_CYCLE_1)
	s_add_nc_u64 s[8:9], s[4:5], s[8:9]
.LBB69_3:
	s_clause 0x1
	s_load_b64 s[4:5], s[2:3], 0x8
	s_load_b32 s16, s[2:3], 0x38
	v_lshlrev_b32_e32 v26, 4, v25
	s_mov_b32 s15, 16
	s_wait_kmcnt 0x0
	s_ashr_i32 s3, s4, 31
	s_mov_b32 s2, s4
	v_add3_u32 v5, s5, s5, v25
	s_lshl_b64 s[2:3], s[2:3], 4
	s_delay_alu instid0(SALU_CYCLE_1)
	s_add_nc_u64 s[2:3], s[12:13], s[2:3]
	s_ashr_i32 s13, s5, 31
	v_add_co_u32 v13, s4, s2, v26
	s_wait_alu 0xf1ff
	v_add_co_ci_u32_e64 v14, null, s3, 0, s4
	s_mov_b32 s12, s5
	v_ashrrev_i32_e32 v6, 31, v5
	s_lshl_b64 s[12:13], s[12:13], 4
	flat_load_b128 v[1:4], v[13:14]
	v_add_co_u32 v15, vcc_lo, v13, s12
	s_delay_alu instid0(VALU_DEP_1)
	v_add_co_ci_u32_e64 v16, null, s13, v14, vcc_lo
	v_lshlrev_b64_e32 v[6:7], 4, v[5:6]
	v_add_nc_u32_e32 v5, s5, v5
	s_mov_b32 s13, 32
	s_movk_i32 s4, 0x50
	s_mov_b32 s12, 64
	s_bitcmp0_b32 s16, 0
	v_add_co_u32 v17, vcc_lo, s2, v6
	s_wait_alu 0xfffd
	v_add_co_ci_u32_e64 v18, null, s3, v7, vcc_lo
	v_ashrrev_i32_e32 v6, 31, v5
	s_delay_alu instid0(VALU_DEP_1) | instskip(SKIP_1) | instid1(VALU_DEP_2)
	v_lshlrev_b64_e32 v[6:7], 4, v[5:6]
	v_add_nc_u32_e32 v5, s5, v5
	v_add_co_u32 v19, vcc_lo, s2, v6
	s_wait_alu 0xfffd
	s_delay_alu instid0(VALU_DEP_3) | instskip(NEXT) | instid1(VALU_DEP_3)
	v_add_co_ci_u32_e64 v20, null, s3, v7, vcc_lo
	v_ashrrev_i32_e32 v6, 31, v5
	s_delay_alu instid0(VALU_DEP_1) | instskip(SKIP_2) | instid1(VALU_DEP_2)
	v_lshlrev_b64_e32 v[6:7], 4, v[5:6]
	v_add_nc_u32_e32 v5, s5, v5
	s_mov_b32 s5, 48
	v_add_co_u32 v21, vcc_lo, s2, v6
	s_wait_alu 0xfffd
	s_delay_alu instid0(VALU_DEP_3) | instskip(SKIP_1) | instid1(VALU_DEP_1)
	v_add_co_ci_u32_e64 v22, null, s3, v7, vcc_lo
	v_ashrrev_i32_e32 v6, 31, v5
	v_lshlrev_b64_e32 v[5:6], 4, v[5:6]
	s_delay_alu instid0(VALU_DEP_1) | instskip(SKIP_1) | instid1(VALU_DEP_2)
	v_add_co_u32 v23, vcc_lo, s2, v5
	s_wait_alu 0xfffd
	v_add_co_ci_u32_e64 v24, null, s3, v6, vcc_lo
	s_mov_b32 s3, -1
	s_wait_loadcnt_dscnt 0x0
	scratch_store_b128 off, v[1:4], off
	flat_load_b128 v[1:4], v[15:16]
	s_wait_loadcnt_dscnt 0x0
	scratch_store_b128 off, v[1:4], off offset:16
	flat_load_b128 v[1:4], v[17:18]
	s_wait_loadcnt_dscnt 0x0
	scratch_store_b128 off, v[1:4], off offset:32
	;; [unrolled: 3-line block ×5, first 2 shown]
	s_cbranch_scc1 .LBB69_36
; %bb.4:
	v_cmp_eq_u32_e64 s2, 0, v25
	s_and_saveexec_b32 s3, s2
; %bb.5:
	v_mov_b32_e32 v1, 0
	ds_store_b32 v1, v1 offset:192
; %bb.6:
	s_wait_alu 0xfffe
	s_or_b32 exec_lo, exec_lo, s3
	s_wait_storecnt_dscnt 0x0
	s_barrier_signal -1
	s_barrier_wait -1
	global_inv scope:SCOPE_SE
	scratch_load_b128 v[1:4], v26, off
	s_wait_loadcnt 0x0
	v_cmp_eq_f64_e32 vcc_lo, 0, v[1:2]
	v_cmp_eq_f64_e64 s3, 0, v[3:4]
	s_and_b32 s3, vcc_lo, s3
	s_wait_alu 0xfffe
	s_and_saveexec_b32 s16, s3
	s_cbranch_execz .LBB69_10
; %bb.7:
	v_mov_b32_e32 v1, 0
	s_mov_b32 s17, 0
	ds_load_b32 v2, v1 offset:192
	s_wait_dscnt 0x0
	v_readfirstlane_b32 s3, v2
	v_add_nc_u32_e32 v2, 1, v25
	s_cmp_eq_u32 s3, 0
	s_delay_alu instid0(VALU_DEP_1) | instskip(SKIP_1) | instid1(SALU_CYCLE_1)
	v_cmp_gt_i32_e32 vcc_lo, s3, v2
	s_cselect_b32 s18, -1, 0
	s_or_b32 s18, s18, vcc_lo
	s_delay_alu instid0(SALU_CYCLE_1)
	s_and_b32 exec_lo, exec_lo, s18
	s_cbranch_execz .LBB69_10
; %bb.8:
	v_mov_b32_e32 v3, s3
.LBB69_9:                               ; =>This Inner Loop Header: Depth=1
	ds_cmpstore_rtn_b32 v3, v1, v2, v3 offset:192
	s_wait_dscnt 0x0
	v_cmp_ne_u32_e32 vcc_lo, 0, v3
	v_cmp_le_i32_e64 s3, v3, v2
	s_and_b32 s3, vcc_lo, s3
	s_wait_alu 0xfffe
	s_and_b32 s3, exec_lo, s3
	s_wait_alu 0xfffe
	s_or_b32 s17, s3, s17
	s_delay_alu instid0(SALU_CYCLE_1)
	s_and_not1_b32 exec_lo, exec_lo, s17
	s_cbranch_execnz .LBB69_9
.LBB69_10:
	s_or_b32 exec_lo, exec_lo, s16
	v_mov_b32_e32 v1, 0
	s_barrier_signal -1
	s_barrier_wait -1
	global_inv scope:SCOPE_SE
	ds_load_b32 v2, v1 offset:192
	s_and_saveexec_b32 s3, s2
	s_cbranch_execz .LBB69_12
; %bb.11:
	s_lshl_b64 s[16:17], s[10:11], 2
	s_delay_alu instid0(SALU_CYCLE_1)
	s_add_nc_u64 s[16:17], s[6:7], s[16:17]
	s_wait_dscnt 0x0
	global_store_b32 v1, v2, s[16:17]
.LBB69_12:
	s_wait_alu 0xfffe
	s_or_b32 exec_lo, exec_lo, s3
	s_wait_dscnt 0x0
	v_cmp_ne_u32_e32 vcc_lo, 0, v2
	s_mov_b32 s3, 0
	s_cbranch_vccnz .LBB69_36
; %bb.13:
	v_mov_b32_e32 v27, v26
                                        ; implicit-def: $vgpr1_vgpr2
                                        ; implicit-def: $vgpr9_vgpr10
	scratch_load_b128 v[5:8], v27, off
	s_wait_loadcnt 0x0
	v_cmp_ngt_f64_e64 s3, |v[5:6]|, |v[7:8]|
	s_wait_alu 0xfffe
	s_and_saveexec_b32 s16, s3
	s_delay_alu instid0(SALU_CYCLE_1)
	s_xor_b32 s3, exec_lo, s16
	s_cbranch_execz .LBB69_15
; %bb.14:
	v_div_scale_f64 v[1:2], null, v[7:8], v[7:8], v[5:6]
	v_div_scale_f64 v[11:12], vcc_lo, v[5:6], v[7:8], v[5:6]
	s_delay_alu instid0(VALU_DEP_2) | instskip(NEXT) | instid1(TRANS32_DEP_1)
	v_rcp_f64_e32 v[3:4], v[1:2]
	v_fma_f64 v[9:10], -v[1:2], v[3:4], 1.0
	s_delay_alu instid0(VALU_DEP_1) | instskip(NEXT) | instid1(VALU_DEP_1)
	v_fma_f64 v[3:4], v[3:4], v[9:10], v[3:4]
	v_fma_f64 v[9:10], -v[1:2], v[3:4], 1.0
	s_delay_alu instid0(VALU_DEP_1) | instskip(NEXT) | instid1(VALU_DEP_1)
	v_fma_f64 v[3:4], v[3:4], v[9:10], v[3:4]
	v_mul_f64_e32 v[9:10], v[11:12], v[3:4]
	s_delay_alu instid0(VALU_DEP_1) | instskip(SKIP_1) | instid1(VALU_DEP_1)
	v_fma_f64 v[1:2], -v[1:2], v[9:10], v[11:12]
	s_wait_alu 0xfffd
	v_div_fmas_f64 v[1:2], v[1:2], v[3:4], v[9:10]
	s_delay_alu instid0(VALU_DEP_1) | instskip(NEXT) | instid1(VALU_DEP_1)
	v_div_fixup_f64 v[1:2], v[1:2], v[7:8], v[5:6]
	v_fma_f64 v[3:4], v[5:6], v[1:2], v[7:8]
	s_delay_alu instid0(VALU_DEP_1) | instskip(SKIP_1) | instid1(VALU_DEP_2)
	v_div_scale_f64 v[5:6], null, v[3:4], v[3:4], 1.0
	v_div_scale_f64 v[11:12], vcc_lo, 1.0, v[3:4], 1.0
	v_rcp_f64_e32 v[7:8], v[5:6]
	s_delay_alu instid0(TRANS32_DEP_1) | instskip(NEXT) | instid1(VALU_DEP_1)
	v_fma_f64 v[9:10], -v[5:6], v[7:8], 1.0
	v_fma_f64 v[7:8], v[7:8], v[9:10], v[7:8]
	s_delay_alu instid0(VALU_DEP_1) | instskip(NEXT) | instid1(VALU_DEP_1)
	v_fma_f64 v[9:10], -v[5:6], v[7:8], 1.0
	v_fma_f64 v[7:8], v[7:8], v[9:10], v[7:8]
	s_delay_alu instid0(VALU_DEP_1) | instskip(NEXT) | instid1(VALU_DEP_1)
	v_mul_f64_e32 v[9:10], v[11:12], v[7:8]
	v_fma_f64 v[5:6], -v[5:6], v[9:10], v[11:12]
	s_wait_alu 0xfffd
	s_delay_alu instid0(VALU_DEP_1) | instskip(NEXT) | instid1(VALU_DEP_1)
	v_div_fmas_f64 v[5:6], v[5:6], v[7:8], v[9:10]
	v_div_fixup_f64 v[3:4], v[5:6], v[3:4], 1.0
                                        ; implicit-def: $vgpr5_vgpr6
	s_delay_alu instid0(VALU_DEP_1) | instskip(SKIP_1) | instid1(VALU_DEP_2)
	v_mul_f64_e32 v[1:2], v[1:2], v[3:4]
	v_xor_b32_e32 v4, 0x80000000, v4
	v_xor_b32_e32 v10, 0x80000000, v2
	s_delay_alu instid0(VALU_DEP_3)
	v_mov_b32_e32 v9, v1
.LBB69_15:
	s_wait_alu 0xfffe
	s_and_not1_saveexec_b32 s3, s3
	s_cbranch_execz .LBB69_17
; %bb.16:
	v_div_scale_f64 v[1:2], null, v[5:6], v[5:6], v[7:8]
	v_div_scale_f64 v[11:12], vcc_lo, v[7:8], v[5:6], v[7:8]
	s_delay_alu instid0(VALU_DEP_2) | instskip(NEXT) | instid1(TRANS32_DEP_1)
	v_rcp_f64_e32 v[3:4], v[1:2]
	v_fma_f64 v[9:10], -v[1:2], v[3:4], 1.0
	s_delay_alu instid0(VALU_DEP_1) | instskip(NEXT) | instid1(VALU_DEP_1)
	v_fma_f64 v[3:4], v[3:4], v[9:10], v[3:4]
	v_fma_f64 v[9:10], -v[1:2], v[3:4], 1.0
	s_delay_alu instid0(VALU_DEP_1) | instskip(NEXT) | instid1(VALU_DEP_1)
	v_fma_f64 v[3:4], v[3:4], v[9:10], v[3:4]
	v_mul_f64_e32 v[9:10], v[11:12], v[3:4]
	s_delay_alu instid0(VALU_DEP_1) | instskip(SKIP_1) | instid1(VALU_DEP_1)
	v_fma_f64 v[1:2], -v[1:2], v[9:10], v[11:12]
	s_wait_alu 0xfffd
	v_div_fmas_f64 v[1:2], v[1:2], v[3:4], v[9:10]
	s_delay_alu instid0(VALU_DEP_1) | instskip(NEXT) | instid1(VALU_DEP_1)
	v_div_fixup_f64 v[3:4], v[1:2], v[5:6], v[7:8]
	v_fma_f64 v[1:2], v[7:8], v[3:4], v[5:6]
	s_delay_alu instid0(VALU_DEP_1) | instskip(NEXT) | instid1(VALU_DEP_1)
	v_div_scale_f64 v[5:6], null, v[1:2], v[1:2], 1.0
	v_rcp_f64_e32 v[7:8], v[5:6]
	s_delay_alu instid0(TRANS32_DEP_1) | instskip(NEXT) | instid1(VALU_DEP_1)
	v_fma_f64 v[9:10], -v[5:6], v[7:8], 1.0
	v_fma_f64 v[7:8], v[7:8], v[9:10], v[7:8]
	s_delay_alu instid0(VALU_DEP_1) | instskip(NEXT) | instid1(VALU_DEP_1)
	v_fma_f64 v[9:10], -v[5:6], v[7:8], 1.0
	v_fma_f64 v[7:8], v[7:8], v[9:10], v[7:8]
	v_div_scale_f64 v[9:10], vcc_lo, 1.0, v[1:2], 1.0
	s_delay_alu instid0(VALU_DEP_1) | instskip(NEXT) | instid1(VALU_DEP_1)
	v_mul_f64_e32 v[11:12], v[9:10], v[7:8]
	v_fma_f64 v[5:6], -v[5:6], v[11:12], v[9:10]
	s_wait_alu 0xfffd
	s_delay_alu instid0(VALU_DEP_1) | instskip(NEXT) | instid1(VALU_DEP_1)
	v_div_fmas_f64 v[5:6], v[5:6], v[7:8], v[11:12]
	v_div_fixup_f64 v[1:2], v[5:6], v[1:2], 1.0
	s_delay_alu instid0(VALU_DEP_1)
	v_mul_f64_e64 v[3:4], v[3:4], -v[1:2]
	v_xor_b32_e32 v10, 0x80000000, v2
	v_mov_b32_e32 v9, v1
.LBB69_17:
	s_wait_alu 0xfffe
	s_or_b32 exec_lo, exec_lo, s3
	scratch_store_b128 v27, v[1:4], off
	scratch_load_b128 v[28:31], off, s15
	v_xor_b32_e32 v12, 0x80000000, v4
	v_mov_b32_e32 v11, v3
	v_add_nc_u32_e32 v5, 0x60, v26
	ds_store_b128 v26, v[9:12]
	s_wait_loadcnt 0x0
	ds_store_b128 v26, v[28:31] offset:96
	s_wait_storecnt_dscnt 0x0
	s_barrier_signal -1
	s_barrier_wait -1
	global_inv scope:SCOPE_SE
	s_and_saveexec_b32 s3, s2
	s_cbranch_execz .LBB69_19
; %bb.18:
	scratch_load_b128 v[1:4], v27, off
	ds_load_b128 v[6:9], v5
	v_mov_b32_e32 v10, 0
	ds_load_b128 v[28:31], v10 offset:16
	s_wait_loadcnt_dscnt 0x1
	v_mul_f64_e32 v[10:11], v[6:7], v[3:4]
	v_mul_f64_e32 v[3:4], v[8:9], v[3:4]
	s_delay_alu instid0(VALU_DEP_2) | instskip(NEXT) | instid1(VALU_DEP_2)
	v_fma_f64 v[8:9], v[8:9], v[1:2], v[10:11]
	v_fma_f64 v[1:2], v[6:7], v[1:2], -v[3:4]
	s_delay_alu instid0(VALU_DEP_2) | instskip(NEXT) | instid1(VALU_DEP_2)
	v_add_f64_e32 v[3:4], 0, v[8:9]
	v_add_f64_e32 v[1:2], 0, v[1:2]
	s_wait_dscnt 0x0
	s_delay_alu instid0(VALU_DEP_2) | instskip(NEXT) | instid1(VALU_DEP_2)
	v_mul_f64_e32 v[6:7], v[3:4], v[30:31]
	v_mul_f64_e32 v[8:9], v[1:2], v[30:31]
	s_delay_alu instid0(VALU_DEP_2) | instskip(NEXT) | instid1(VALU_DEP_2)
	v_fma_f64 v[1:2], v[1:2], v[28:29], -v[6:7]
	v_fma_f64 v[3:4], v[3:4], v[28:29], v[8:9]
	scratch_store_b128 off, v[1:4], off offset:16
.LBB69_19:
	s_wait_alu 0xfffe
	s_or_b32 exec_lo, exec_lo, s3
	s_wait_loadcnt 0x0
	s_wait_storecnt 0x0
	s_barrier_signal -1
	s_barrier_wait -1
	global_inv scope:SCOPE_SE
	scratch_load_b128 v[1:4], off, s13
	s_mov_b32 s3, exec_lo
	s_wait_loadcnt 0x0
	ds_store_b128 v5, v[1:4]
	s_wait_dscnt 0x0
	s_barrier_signal -1
	s_barrier_wait -1
	global_inv scope:SCOPE_SE
	v_cmpx_gt_u32_e32 2, v25
	s_cbranch_execz .LBB69_23
; %bb.20:
	scratch_load_b128 v[1:4], v27, off
	ds_load_b128 v[6:9], v5
	s_wait_loadcnt_dscnt 0x0
	v_mul_f64_e32 v[10:11], v[8:9], v[3:4]
	v_mul_f64_e32 v[3:4], v[6:7], v[3:4]
	s_delay_alu instid0(VALU_DEP_2) | instskip(NEXT) | instid1(VALU_DEP_2)
	v_fma_f64 v[6:7], v[6:7], v[1:2], -v[10:11]
	v_fma_f64 v[3:4], v[8:9], v[1:2], v[3:4]
	s_delay_alu instid0(VALU_DEP_2) | instskip(NEXT) | instid1(VALU_DEP_2)
	v_add_f64_e32 v[1:2], 0, v[6:7]
	v_add_f64_e32 v[3:4], 0, v[3:4]
	s_and_saveexec_b32 s16, s2
	s_cbranch_execz .LBB69_22
; %bb.21:
	scratch_load_b128 v[6:9], off, off offset:16
	v_mov_b32_e32 v10, 0
	ds_load_b128 v[28:31], v10 offset:112
	s_wait_loadcnt_dscnt 0x0
	v_mul_f64_e32 v[10:11], v[28:29], v[8:9]
	v_mul_f64_e32 v[8:9], v[30:31], v[8:9]
	s_delay_alu instid0(VALU_DEP_2) | instskip(NEXT) | instid1(VALU_DEP_2)
	v_fma_f64 v[10:11], v[30:31], v[6:7], v[10:11]
	v_fma_f64 v[6:7], v[28:29], v[6:7], -v[8:9]
	s_delay_alu instid0(VALU_DEP_2) | instskip(NEXT) | instid1(VALU_DEP_2)
	v_add_f64_e32 v[3:4], v[3:4], v[10:11]
	v_add_f64_e32 v[1:2], v[1:2], v[6:7]
.LBB69_22:
	s_or_b32 exec_lo, exec_lo, s16
	v_mov_b32_e32 v6, 0
	ds_load_b128 v[6:9], v6 offset:32
	s_wait_dscnt 0x0
	v_mul_f64_e32 v[10:11], v[3:4], v[8:9]
	v_mul_f64_e32 v[8:9], v[1:2], v[8:9]
	s_delay_alu instid0(VALU_DEP_2) | instskip(NEXT) | instid1(VALU_DEP_2)
	v_fma_f64 v[1:2], v[1:2], v[6:7], -v[10:11]
	v_fma_f64 v[3:4], v[3:4], v[6:7], v[8:9]
	scratch_store_b128 off, v[1:4], off offset:32
.LBB69_23:
	s_wait_alu 0xfffe
	s_or_b32 exec_lo, exec_lo, s3
	s_wait_loadcnt 0x0
	s_wait_storecnt 0x0
	s_barrier_signal -1
	s_barrier_wait -1
	global_inv scope:SCOPE_SE
	scratch_load_b128 v[1:4], off, s5
	v_add_nc_u32_e32 v6, -1, v25
	s_mov_b32 s2, exec_lo
	s_wait_loadcnt 0x0
	ds_store_b128 v5, v[1:4]
	s_wait_dscnt 0x0
	s_barrier_signal -1
	s_barrier_wait -1
	global_inv scope:SCOPE_SE
	v_cmpx_gt_u32_e32 3, v25
	s_cbranch_execz .LBB69_27
; %bb.24:
	v_dual_mov_b32 v1, 0 :: v_dual_add_nc_u32 v8, 0x60, v26
	v_mov_b32_e32 v3, 0
	v_dual_mov_b32 v2, 0 :: v_dual_add_nc_u32 v7, -1, v25
	v_mov_b32_e32 v4, 0
	v_or_b32_e32 v9, 8, v27
	s_mov_b32 s3, 0
.LBB69_25:                              ; =>This Inner Loop Header: Depth=1
	scratch_load_b128 v[28:31], v9, off offset:-8
	ds_load_b128 v[32:35], v8
	v_add_nc_u32_e32 v7, 1, v7
	v_add_nc_u32_e32 v8, 16, v8
	v_add_nc_u32_e32 v9, 16, v9
	s_delay_alu instid0(VALU_DEP_3)
	v_cmp_lt_u32_e32 vcc_lo, 1, v7
	s_wait_alu 0xfffe
	s_or_b32 s3, vcc_lo, s3
	s_wait_loadcnt_dscnt 0x0
	v_mul_f64_e32 v[10:11], v[34:35], v[30:31]
	v_mul_f64_e32 v[30:31], v[32:33], v[30:31]
	s_delay_alu instid0(VALU_DEP_2) | instskip(NEXT) | instid1(VALU_DEP_2)
	v_fma_f64 v[10:11], v[32:33], v[28:29], -v[10:11]
	v_fma_f64 v[28:29], v[34:35], v[28:29], v[30:31]
	s_delay_alu instid0(VALU_DEP_2) | instskip(NEXT) | instid1(VALU_DEP_2)
	v_add_f64_e32 v[3:4], v[3:4], v[10:11]
	v_add_f64_e32 v[1:2], v[1:2], v[28:29]
	s_wait_alu 0xfffe
	s_and_not1_b32 exec_lo, exec_lo, s3
	s_cbranch_execnz .LBB69_25
; %bb.26:
	s_or_b32 exec_lo, exec_lo, s3
	v_mov_b32_e32 v7, 0
	ds_load_b128 v[7:10], v7 offset:48
	s_wait_dscnt 0x0
	v_mul_f64_e32 v[11:12], v[1:2], v[9:10]
	v_mul_f64_e32 v[28:29], v[3:4], v[9:10]
	s_delay_alu instid0(VALU_DEP_2) | instskip(NEXT) | instid1(VALU_DEP_2)
	v_fma_f64 v[9:10], v[3:4], v[7:8], -v[11:12]
	v_fma_f64 v[11:12], v[1:2], v[7:8], v[28:29]
	scratch_store_b128 off, v[9:12], off offset:48
.LBB69_27:
	s_wait_alu 0xfffe
	s_or_b32 exec_lo, exec_lo, s2
	s_wait_loadcnt 0x0
	s_wait_storecnt 0x0
	s_barrier_signal -1
	s_barrier_wait -1
	global_inv scope:SCOPE_SE
	scratch_load_b128 v[1:4], off, s12
	s_mov_b32 s2, exec_lo
	s_wait_loadcnt 0x0
	ds_store_b128 v5, v[1:4]
	s_wait_dscnt 0x0
	s_barrier_signal -1
	s_barrier_wait -1
	global_inv scope:SCOPE_SE
	v_cmpx_gt_u32_e32 4, v25
	s_cbranch_execz .LBB69_31
; %bb.28:
	v_dual_mov_b32 v1, 0 :: v_dual_add_nc_u32 v8, 0x60, v26
	v_mov_b32_e32 v3, 0
	v_dual_mov_b32 v2, 0 :: v_dual_add_nc_u32 v7, -1, v25
	v_mov_b32_e32 v4, 0
	v_or_b32_e32 v9, 8, v27
	s_mov_b32 s3, 0
.LBB69_29:                              ; =>This Inner Loop Header: Depth=1
	scratch_load_b128 v[28:31], v9, off offset:-8
	ds_load_b128 v[32:35], v8
	v_add_nc_u32_e32 v7, 1, v7
	v_add_nc_u32_e32 v8, 16, v8
	;; [unrolled: 1-line block ×3, first 2 shown]
	s_delay_alu instid0(VALU_DEP_3)
	v_cmp_lt_u32_e32 vcc_lo, 2, v7
	s_wait_alu 0xfffe
	s_or_b32 s3, vcc_lo, s3
	s_wait_loadcnt_dscnt 0x0
	v_mul_f64_e32 v[10:11], v[34:35], v[30:31]
	v_mul_f64_e32 v[30:31], v[32:33], v[30:31]
	s_delay_alu instid0(VALU_DEP_2) | instskip(NEXT) | instid1(VALU_DEP_2)
	v_fma_f64 v[10:11], v[32:33], v[28:29], -v[10:11]
	v_fma_f64 v[28:29], v[34:35], v[28:29], v[30:31]
	s_delay_alu instid0(VALU_DEP_2) | instskip(NEXT) | instid1(VALU_DEP_2)
	v_add_f64_e32 v[3:4], v[3:4], v[10:11]
	v_add_f64_e32 v[1:2], v[1:2], v[28:29]
	s_wait_alu 0xfffe
	s_and_not1_b32 exec_lo, exec_lo, s3
	s_cbranch_execnz .LBB69_29
; %bb.30:
	s_or_b32 exec_lo, exec_lo, s3
	v_mov_b32_e32 v7, 0
	ds_load_b128 v[7:10], v7 offset:64
	s_wait_dscnt 0x0
	v_mul_f64_e32 v[11:12], v[1:2], v[9:10]
	v_mul_f64_e32 v[28:29], v[3:4], v[9:10]
	s_delay_alu instid0(VALU_DEP_2) | instskip(NEXT) | instid1(VALU_DEP_2)
	v_fma_f64 v[9:10], v[3:4], v[7:8], -v[11:12]
	v_fma_f64 v[11:12], v[1:2], v[7:8], v[28:29]
	scratch_store_b128 off, v[9:12], off offset:64
.LBB69_31:
	s_wait_alu 0xfffe
	s_or_b32 exec_lo, exec_lo, s2
	s_wait_loadcnt 0x0
	s_wait_storecnt 0x0
	s_barrier_signal -1
	s_barrier_wait -1
	global_inv scope:SCOPE_SE
	scratch_load_b128 v[1:4], off, s4
	s_mov_b32 s2, exec_lo
	s_wait_loadcnt 0x0
	ds_store_b128 v5, v[1:4]
	s_wait_dscnt 0x0
	s_barrier_signal -1
	s_barrier_wait -1
	global_inv scope:SCOPE_SE
	v_cmpx_ne_u32_e32 5, v25
	s_cbranch_execz .LBB69_35
; %bb.32:
	v_mov_b32_e32 v1, 0
	v_dual_mov_b32 v2, 0 :: v_dual_mov_b32 v3, 0
	v_mov_b32_e32 v4, 0
	v_or_b32_e32 v7, 8, v27
	s_mov_b32 s3, 0
.LBB69_33:                              ; =>This Inner Loop Header: Depth=1
	scratch_load_b128 v[8:11], v7, off offset:-8
	ds_load_b128 v[26:29], v5
	v_add_nc_u32_e32 v6, 1, v6
	v_add_nc_u32_e32 v5, 16, v5
	;; [unrolled: 1-line block ×3, first 2 shown]
	s_delay_alu instid0(VALU_DEP_3)
	v_cmp_lt_u32_e32 vcc_lo, 3, v6
	s_wait_alu 0xfffe
	s_or_b32 s3, vcc_lo, s3
	s_wait_loadcnt_dscnt 0x0
	v_mul_f64_e32 v[30:31], v[28:29], v[10:11]
	v_mul_f64_e32 v[10:11], v[26:27], v[10:11]
	s_delay_alu instid0(VALU_DEP_2) | instskip(NEXT) | instid1(VALU_DEP_2)
	v_fma_f64 v[26:27], v[26:27], v[8:9], -v[30:31]
	v_fma_f64 v[8:9], v[28:29], v[8:9], v[10:11]
	s_delay_alu instid0(VALU_DEP_2) | instskip(NEXT) | instid1(VALU_DEP_2)
	v_add_f64_e32 v[3:4], v[3:4], v[26:27]
	v_add_f64_e32 v[1:2], v[1:2], v[8:9]
	s_wait_alu 0xfffe
	s_and_not1_b32 exec_lo, exec_lo, s3
	s_cbranch_execnz .LBB69_33
; %bb.34:
	s_or_b32 exec_lo, exec_lo, s3
	v_mov_b32_e32 v5, 0
	ds_load_b128 v[5:8], v5 offset:80
	s_wait_dscnt 0x0
	v_mul_f64_e32 v[9:10], v[1:2], v[7:8]
	v_mul_f64_e32 v[7:8], v[3:4], v[7:8]
	s_delay_alu instid0(VALU_DEP_2) | instskip(NEXT) | instid1(VALU_DEP_2)
	v_fma_f64 v[3:4], v[3:4], v[5:6], -v[9:10]
	v_fma_f64 v[5:6], v[1:2], v[5:6], v[7:8]
	scratch_store_b128 off, v[3:6], off offset:80
.LBB69_35:
	s_wait_alu 0xfffe
	s_or_b32 exec_lo, exec_lo, s2
	s_mov_b32 s3, -1
	s_wait_loadcnt 0x0
	s_wait_storecnt 0x0
	s_barrier_signal -1
	s_barrier_wait -1
	global_inv scope:SCOPE_SE
.LBB69_36:
	s_wait_alu 0xfffe
	s_and_b32 vcc_lo, exec_lo, s3
	s_wait_alu 0xfffe
	s_cbranch_vccz .LBB69_38
; %bb.37:
	v_mov_b32_e32 v1, 0
	s_lshl_b64 s[2:3], s[10:11], 2
	s_wait_alu 0xfffe
	s_add_nc_u64 s[2:3], s[6:7], s[2:3]
	global_load_b32 v1, v1, s[2:3]
	s_wait_loadcnt 0x0
	v_cmp_ne_u32_e32 vcc_lo, 0, v1
	s_cbranch_vccz .LBB69_39
.LBB69_38:
	s_endpgm
.LBB69_39:
	v_lshl_add_u32 v5, v25, 4, 0x60
	s_mov_b32 s2, exec_lo
	v_cmpx_eq_u32_e32 5, v25
	s_cbranch_execz .LBB69_41
; %bb.40:
	scratch_load_b128 v[1:4], off, s12
	v_mov_b32_e32 v6, 0
	s_delay_alu instid0(VALU_DEP_1)
	v_dual_mov_b32 v7, v6 :: v_dual_mov_b32 v8, v6
	v_mov_b32_e32 v9, v6
	scratch_store_b128 off, v[6:9], off offset:64
	s_wait_loadcnt 0x0
	ds_store_b128 v5, v[1:4]
.LBB69_41:
	s_wait_alu 0xfffe
	s_or_b32 exec_lo, exec_lo, s2
	s_wait_storecnt_dscnt 0x0
	s_barrier_signal -1
	s_barrier_wait -1
	global_inv scope:SCOPE_SE
	s_clause 0x1
	scratch_load_b128 v[6:9], off, off offset:80
	scratch_load_b128 v[26:29], off, off offset:64
	v_mov_b32_e32 v1, 0
	s_mov_b32 s2, exec_lo
	ds_load_b128 v[30:33], v1 offset:176
	s_wait_loadcnt_dscnt 0x100
	v_mul_f64_e32 v[2:3], v[32:33], v[8:9]
	v_mul_f64_e32 v[8:9], v[30:31], v[8:9]
	s_delay_alu instid0(VALU_DEP_2) | instskip(NEXT) | instid1(VALU_DEP_2)
	v_fma_f64 v[2:3], v[30:31], v[6:7], -v[2:3]
	v_fma_f64 v[6:7], v[32:33], v[6:7], v[8:9]
	s_delay_alu instid0(VALU_DEP_2) | instskip(NEXT) | instid1(VALU_DEP_2)
	v_add_f64_e32 v[2:3], 0, v[2:3]
	v_add_f64_e32 v[8:9], 0, v[6:7]
	s_wait_loadcnt 0x0
	s_delay_alu instid0(VALU_DEP_2) | instskip(NEXT) | instid1(VALU_DEP_2)
	v_add_f64_e64 v[6:7], v[26:27], -v[2:3]
	v_add_f64_e64 v[8:9], v[28:29], -v[8:9]
	scratch_store_b128 off, v[6:9], off offset:64
	v_cmpx_lt_u32_e32 3, v25
	s_cbranch_execz .LBB69_43
; %bb.42:
	scratch_load_b128 v[6:9], off, s5
	v_dual_mov_b32 v2, v1 :: v_dual_mov_b32 v3, v1
	v_mov_b32_e32 v4, v1
	scratch_store_b128 off, v[1:4], off offset:48
	s_wait_loadcnt 0x0
	ds_store_b128 v5, v[6:9]
.LBB69_43:
	s_wait_alu 0xfffe
	s_or_b32 exec_lo, exec_lo, s2
	s_wait_storecnt_dscnt 0x0
	s_barrier_signal -1
	s_barrier_wait -1
	global_inv scope:SCOPE_SE
	s_clause 0x2
	scratch_load_b128 v[6:9], off, off offset:64
	scratch_load_b128 v[26:29], off, off offset:80
	scratch_load_b128 v[30:33], off, off offset:48
	ds_load_b128 v[34:37], v1 offset:160
	ds_load_b128 v[1:4], v1 offset:176
	s_mov_b32 s2, exec_lo
	s_wait_loadcnt_dscnt 0x201
	v_mul_f64_e32 v[10:11], v[36:37], v[8:9]
	v_mul_f64_e32 v[8:9], v[34:35], v[8:9]
	s_wait_loadcnt_dscnt 0x100
	v_mul_f64_e32 v[38:39], v[1:2], v[28:29]
	v_mul_f64_e32 v[28:29], v[3:4], v[28:29]
	s_delay_alu instid0(VALU_DEP_4) | instskip(NEXT) | instid1(VALU_DEP_4)
	v_fma_f64 v[10:11], v[34:35], v[6:7], -v[10:11]
	v_fma_f64 v[6:7], v[36:37], v[6:7], v[8:9]
	s_delay_alu instid0(VALU_DEP_4) | instskip(NEXT) | instid1(VALU_DEP_4)
	v_fma_f64 v[3:4], v[3:4], v[26:27], v[38:39]
	v_fma_f64 v[1:2], v[1:2], v[26:27], -v[28:29]
	s_delay_alu instid0(VALU_DEP_4) | instskip(NEXT) | instid1(VALU_DEP_4)
	v_add_f64_e32 v[8:9], 0, v[10:11]
	v_add_f64_e32 v[6:7], 0, v[6:7]
	s_delay_alu instid0(VALU_DEP_2) | instskip(NEXT) | instid1(VALU_DEP_2)
	v_add_f64_e32 v[1:2], v[8:9], v[1:2]
	v_add_f64_e32 v[3:4], v[6:7], v[3:4]
	s_wait_loadcnt 0x0
	s_delay_alu instid0(VALU_DEP_2) | instskip(NEXT) | instid1(VALU_DEP_2)
	v_add_f64_e64 v[1:2], v[30:31], -v[1:2]
	v_add_f64_e64 v[3:4], v[32:33], -v[3:4]
	scratch_store_b128 off, v[1:4], off offset:48
	v_cmpx_lt_u32_e32 2, v25
	s_cbranch_execz .LBB69_45
; %bb.44:
	scratch_load_b128 v[1:4], off, s13
	v_mov_b32_e32 v6, 0
	s_delay_alu instid0(VALU_DEP_1)
	v_dual_mov_b32 v7, v6 :: v_dual_mov_b32 v8, v6
	v_mov_b32_e32 v9, v6
	scratch_store_b128 off, v[6:9], off offset:32
	s_wait_loadcnt 0x0
	ds_store_b128 v5, v[1:4]
.LBB69_45:
	s_wait_alu 0xfffe
	s_or_b32 exec_lo, exec_lo, s2
	s_wait_storecnt_dscnt 0x0
	s_barrier_signal -1
	s_barrier_wait -1
	global_inv scope:SCOPE_SE
	s_clause 0x3
	scratch_load_b128 v[6:9], off, off offset:48
	scratch_load_b128 v[26:29], off, off offset:64
	scratch_load_b128 v[30:33], off, off offset:80
	scratch_load_b128 v[34:37], off, off offset:32
	v_mov_b32_e32 v1, 0
	ds_load_b128 v[38:41], v1 offset:144
	ds_load_b128 v[42:45], v1 offset:160
	s_mov_b32 s2, exec_lo
	s_wait_loadcnt_dscnt 0x301
	v_mul_f64_e32 v[2:3], v[40:41], v[8:9]
	v_mul_f64_e32 v[8:9], v[38:39], v[8:9]
	s_wait_loadcnt_dscnt 0x200
	v_mul_f64_e32 v[10:11], v[42:43], v[28:29]
	v_mul_f64_e32 v[28:29], v[44:45], v[28:29]
	s_delay_alu instid0(VALU_DEP_4) | instskip(NEXT) | instid1(VALU_DEP_4)
	v_fma_f64 v[2:3], v[38:39], v[6:7], -v[2:3]
	v_fma_f64 v[38:39], v[40:41], v[6:7], v[8:9]
	ds_load_b128 v[6:9], v1 offset:176
	v_fma_f64 v[10:11], v[44:45], v[26:27], v[10:11]
	v_fma_f64 v[26:27], v[42:43], v[26:27], -v[28:29]
	s_wait_loadcnt_dscnt 0x100
	v_mul_f64_e32 v[40:41], v[6:7], v[32:33]
	v_mul_f64_e32 v[32:33], v[8:9], v[32:33]
	v_add_f64_e32 v[2:3], 0, v[2:3]
	v_add_f64_e32 v[28:29], 0, v[38:39]
	s_delay_alu instid0(VALU_DEP_4) | instskip(NEXT) | instid1(VALU_DEP_4)
	v_fma_f64 v[8:9], v[8:9], v[30:31], v[40:41]
	v_fma_f64 v[6:7], v[6:7], v[30:31], -v[32:33]
	s_delay_alu instid0(VALU_DEP_4) | instskip(NEXT) | instid1(VALU_DEP_4)
	v_add_f64_e32 v[2:3], v[2:3], v[26:27]
	v_add_f64_e32 v[10:11], v[28:29], v[10:11]
	s_delay_alu instid0(VALU_DEP_2) | instskip(NEXT) | instid1(VALU_DEP_2)
	v_add_f64_e32 v[2:3], v[2:3], v[6:7]
	v_add_f64_e32 v[8:9], v[10:11], v[8:9]
	s_wait_loadcnt 0x0
	s_delay_alu instid0(VALU_DEP_2) | instskip(NEXT) | instid1(VALU_DEP_2)
	v_add_f64_e64 v[6:7], v[34:35], -v[2:3]
	v_add_f64_e64 v[8:9], v[36:37], -v[8:9]
	scratch_store_b128 off, v[6:9], off offset:32
	v_cmpx_lt_u32_e32 1, v25
	s_cbranch_execz .LBB69_47
; %bb.46:
	scratch_load_b128 v[6:9], off, s15
	v_dual_mov_b32 v2, v1 :: v_dual_mov_b32 v3, v1
	v_mov_b32_e32 v4, v1
	scratch_store_b128 off, v[1:4], off offset:16
	s_wait_loadcnt 0x0
	ds_store_b128 v5, v[6:9]
.LBB69_47:
	s_wait_alu 0xfffe
	s_or_b32 exec_lo, exec_lo, s2
	s_wait_storecnt_dscnt 0x0
	s_barrier_signal -1
	s_barrier_wait -1
	global_inv scope:SCOPE_SE
	s_clause 0x4
	scratch_load_b128 v[6:9], off, off offset:32
	scratch_load_b128 v[26:29], off, off offset:48
	scratch_load_b128 v[30:33], off, off offset:64
	scratch_load_b128 v[34:37], off, off offset:80
	scratch_load_b128 v[38:41], off, off offset:16
	ds_load_b128 v[42:45], v1 offset:128
	ds_load_b128 v[46:49], v1 offset:144
	s_mov_b32 s2, exec_lo
	s_wait_loadcnt_dscnt 0x401
	v_mul_f64_e32 v[2:3], v[44:45], v[8:9]
	v_mul_f64_e32 v[8:9], v[42:43], v[8:9]
	s_wait_loadcnt_dscnt 0x300
	v_mul_f64_e32 v[10:11], v[46:47], v[28:29]
	v_mul_f64_e32 v[28:29], v[48:49], v[28:29]
	s_delay_alu instid0(VALU_DEP_4) | instskip(NEXT) | instid1(VALU_DEP_4)
	v_fma_f64 v[42:43], v[42:43], v[6:7], -v[2:3]
	v_fma_f64 v[44:45], v[44:45], v[6:7], v[8:9]
	ds_load_b128 v[6:9], v1 offset:160
	ds_load_b128 v[1:4], v1 offset:176
	v_fma_f64 v[10:11], v[48:49], v[26:27], v[10:11]
	v_fma_f64 v[26:27], v[46:47], v[26:27], -v[28:29]
	s_wait_loadcnt_dscnt 0x201
	v_mul_f64_e32 v[50:51], v[6:7], v[32:33]
	v_mul_f64_e32 v[32:33], v[8:9], v[32:33]
	v_add_f64_e32 v[28:29], 0, v[42:43]
	v_add_f64_e32 v[42:43], 0, v[44:45]
	s_wait_loadcnt_dscnt 0x100
	v_mul_f64_e32 v[44:45], v[1:2], v[36:37]
	v_mul_f64_e32 v[36:37], v[3:4], v[36:37]
	v_fma_f64 v[8:9], v[8:9], v[30:31], v[50:51]
	v_fma_f64 v[6:7], v[6:7], v[30:31], -v[32:33]
	v_add_f64_e32 v[26:27], v[28:29], v[26:27]
	v_add_f64_e32 v[10:11], v[42:43], v[10:11]
	v_fma_f64 v[3:4], v[3:4], v[34:35], v[44:45]
	v_fma_f64 v[1:2], v[1:2], v[34:35], -v[36:37]
	s_delay_alu instid0(VALU_DEP_4) | instskip(NEXT) | instid1(VALU_DEP_4)
	v_add_f64_e32 v[6:7], v[26:27], v[6:7]
	v_add_f64_e32 v[8:9], v[10:11], v[8:9]
	s_delay_alu instid0(VALU_DEP_2) | instskip(NEXT) | instid1(VALU_DEP_2)
	v_add_f64_e32 v[1:2], v[6:7], v[1:2]
	v_add_f64_e32 v[3:4], v[8:9], v[3:4]
	s_wait_loadcnt 0x0
	s_delay_alu instid0(VALU_DEP_2) | instskip(NEXT) | instid1(VALU_DEP_2)
	v_add_f64_e64 v[1:2], v[38:39], -v[1:2]
	v_add_f64_e64 v[3:4], v[40:41], -v[3:4]
	scratch_store_b128 off, v[1:4], off offset:16
	v_cmpx_ne_u32_e32 0, v25
	s_cbranch_execz .LBB69_49
; %bb.48:
	scratch_load_b128 v[1:4], off, off
	v_mov_b32_e32 v6, 0
	s_delay_alu instid0(VALU_DEP_1)
	v_dual_mov_b32 v7, v6 :: v_dual_mov_b32 v8, v6
	v_mov_b32_e32 v9, v6
	scratch_store_b128 off, v[6:9], off
	s_wait_loadcnt 0x0
	ds_store_b128 v5, v[1:4]
.LBB69_49:
	s_wait_alu 0xfffe
	s_or_b32 exec_lo, exec_lo, s2
	s_wait_storecnt_dscnt 0x0
	s_barrier_signal -1
	s_barrier_wait -1
	global_inv scope:SCOPE_SE
	s_clause 0x5
	scratch_load_b128 v[2:5], off, off offset:16
	scratch_load_b128 v[6:9], off, off offset:32
	;; [unrolled: 1-line block ×5, first 2 shown]
	scratch_load_b128 v[38:41], off, off
	v_mov_b32_e32 v1, 0
	ds_load_b128 v[42:45], v1 offset:112
	ds_load_b128 v[46:49], v1 offset:128
	s_and_b32 vcc_lo, exec_lo, s14
	s_wait_loadcnt_dscnt 0x501
	v_mul_f64_e32 v[10:11], v[44:45], v[4:5]
	v_mul_f64_e32 v[4:5], v[42:43], v[4:5]
	s_wait_loadcnt_dscnt 0x400
	v_mul_f64_e32 v[50:51], v[46:47], v[8:9]
	v_mul_f64_e32 v[52:53], v[48:49], v[8:9]
	s_delay_alu instid0(VALU_DEP_4) | instskip(NEXT) | instid1(VALU_DEP_4)
	v_fma_f64 v[42:43], v[42:43], v[2:3], -v[10:11]
	v_fma_f64 v[44:45], v[44:45], v[2:3], v[4:5]
	ds_load_b128 v[2:5], v1 offset:144
	ds_load_b128 v[8:11], v1 offset:160
	v_fma_f64 v[48:49], v[48:49], v[6:7], v[50:51]
	v_fma_f64 v[6:7], v[46:47], v[6:7], -v[52:53]
	s_wait_loadcnt_dscnt 0x301
	v_mul_f64_e32 v[54:55], v[2:3], v[28:29]
	v_mul_f64_e32 v[28:29], v[4:5], v[28:29]
	s_wait_loadcnt_dscnt 0x200
	v_mul_f64_e32 v[46:47], v[8:9], v[32:33]
	v_mul_f64_e32 v[32:33], v[10:11], v[32:33]
	v_add_f64_e32 v[42:43], 0, v[42:43]
	v_add_f64_e32 v[44:45], 0, v[44:45]
	v_fma_f64 v[50:51], v[4:5], v[26:27], v[54:55]
	v_fma_f64 v[26:27], v[2:3], v[26:27], -v[28:29]
	ds_load_b128 v[2:5], v1 offset:176
	v_fma_f64 v[10:11], v[10:11], v[30:31], v[46:47]
	v_fma_f64 v[8:9], v[8:9], v[30:31], -v[32:33]
	v_add_f64_e32 v[6:7], v[42:43], v[6:7]
	v_add_f64_e32 v[28:29], v[44:45], v[48:49]
	s_wait_loadcnt_dscnt 0x100
	v_mul_f64_e32 v[42:43], v[2:3], v[36:37]
	v_mul_f64_e32 v[36:37], v[4:5], v[36:37]
	s_delay_alu instid0(VALU_DEP_4) | instskip(NEXT) | instid1(VALU_DEP_4)
	v_add_f64_e32 v[6:7], v[6:7], v[26:27]
	v_add_f64_e32 v[26:27], v[28:29], v[50:51]
	s_delay_alu instid0(VALU_DEP_4) | instskip(NEXT) | instid1(VALU_DEP_4)
	v_fma_f64 v[4:5], v[4:5], v[34:35], v[42:43]
	v_fma_f64 v[2:3], v[2:3], v[34:35], -v[36:37]
	s_delay_alu instid0(VALU_DEP_4) | instskip(NEXT) | instid1(VALU_DEP_4)
	v_add_f64_e32 v[6:7], v[6:7], v[8:9]
	v_add_f64_e32 v[8:9], v[26:27], v[10:11]
	s_delay_alu instid0(VALU_DEP_2) | instskip(NEXT) | instid1(VALU_DEP_2)
	v_add_f64_e32 v[2:3], v[6:7], v[2:3]
	v_add_f64_e32 v[4:5], v[8:9], v[4:5]
	s_wait_loadcnt 0x0
	s_delay_alu instid0(VALU_DEP_2) | instskip(NEXT) | instid1(VALU_DEP_2)
	v_add_f64_e64 v[2:3], v[38:39], -v[2:3]
	v_add_f64_e64 v[4:5], v[40:41], -v[4:5]
	scratch_store_b128 off, v[2:5], off
	s_wait_alu 0xfffe
	s_cbranch_vccz .LBB69_60
; %bb.50:
	global_load_b32 v1, v1, s[8:9] offset:16
	s_load_b64 s[0:1], s[0:1], 0x4
	v_bfe_u32 v2, v0, 10, 10
	v_bfe_u32 v0, v0, 20, 10
	s_wait_kmcnt 0x0
	s_lshr_b32 s0, s0, 16
	s_delay_alu instid0(VALU_DEP_2) | instskip(SKIP_3) | instid1(VALU_DEP_1)
	v_mul_u32_u24_e32 v2, s1, v2
	s_mul_i32 s0, s0, s1
	s_wait_alu 0xfffe
	v_mul_u32_u24_e32 v3, s0, v25
	v_add3_u32 v0, v3, v2, v0
	s_delay_alu instid0(VALU_DEP_1)
	v_lshl_add_u32 v0, v0, 4, 0xc8
	s_wait_loadcnt 0x0
	v_cmp_ne_u32_e32 vcc_lo, 5, v1
	s_cbranch_vccz .LBB69_52
; %bb.51:
	v_lshlrev_b32_e32 v1, 4, v1
	s_delay_alu instid0(VALU_DEP_1)
	v_mov_b32_e32 v9, v1
	s_clause 0x1
	scratch_load_b128 v[1:4], off, s12
	scratch_load_b128 v[5:8], v9, off offset:-16
	s_wait_loadcnt 0x1
	ds_store_2addr_b64 v0, v[1:2], v[3:4] offset1:1
	s_wait_loadcnt 0x0
	s_clause 0x1
	scratch_store_b128 off, v[5:8], s12
	scratch_store_b128 v9, v[1:4], off offset:-16
.LBB69_52:
	v_mov_b32_e32 v1, 0
	global_load_b32 v2, v1, s[8:9] offset:12
	s_wait_loadcnt 0x0
	v_cmp_eq_u32_e32 vcc_lo, 4, v2
	s_cbranch_vccnz .LBB69_54
; %bb.53:
	v_lshlrev_b32_e32 v2, 4, v2
	s_delay_alu instid0(VALU_DEP_1)
	v_mov_b32_e32 v10, v2
	s_clause 0x1
	scratch_load_b128 v[2:5], off, s5
	scratch_load_b128 v[6:9], v10, off offset:-16
	s_wait_loadcnt 0x1
	ds_store_2addr_b64 v0, v[2:3], v[4:5] offset1:1
	s_wait_loadcnt 0x0
	s_clause 0x1
	scratch_store_b128 off, v[6:9], s5
	scratch_store_b128 v10, v[2:5], off offset:-16
.LBB69_54:
	global_load_b32 v1, v1, s[8:9] offset:8
	s_wait_loadcnt 0x0
	v_cmp_eq_u32_e32 vcc_lo, 3, v1
	s_cbranch_vccnz .LBB69_56
; %bb.55:
	v_lshlrev_b32_e32 v1, 4, v1
	s_delay_alu instid0(VALU_DEP_1)
	v_mov_b32_e32 v9, v1
	s_clause 0x1
	scratch_load_b128 v[1:4], off, s13
	scratch_load_b128 v[5:8], v9, off offset:-16
	s_wait_loadcnt 0x1
	ds_store_2addr_b64 v0, v[1:2], v[3:4] offset1:1
	s_wait_loadcnt 0x0
	s_clause 0x1
	scratch_store_b128 off, v[5:8], s13
	scratch_store_b128 v9, v[1:4], off offset:-16
.LBB69_56:
	v_mov_b32_e32 v1, 0
	global_load_b32 v2, v1, s[8:9] offset:4
	s_wait_loadcnt 0x0
	v_cmp_eq_u32_e32 vcc_lo, 2, v2
	s_cbranch_vccnz .LBB69_58
; %bb.57:
	v_lshlrev_b32_e32 v2, 4, v2
	s_delay_alu instid0(VALU_DEP_1)
	v_mov_b32_e32 v10, v2
	s_clause 0x1
	scratch_load_b128 v[2:5], off, s15
	scratch_load_b128 v[6:9], v10, off offset:-16
	s_wait_loadcnt 0x1
	ds_store_2addr_b64 v0, v[2:3], v[4:5] offset1:1
	s_wait_loadcnt 0x0
	s_clause 0x1
	scratch_store_b128 off, v[6:9], s15
	scratch_store_b128 v10, v[2:5], off offset:-16
.LBB69_58:
	global_load_b32 v1, v1, s[8:9]
	s_wait_loadcnt 0x0
	v_cmp_eq_u32_e32 vcc_lo, 1, v1
	s_cbranch_vccnz .LBB69_60
; %bb.59:
	v_lshlrev_b32_e32 v1, 4, v1
	s_delay_alu instid0(VALU_DEP_1)
	v_mov_b32_e32 v9, v1
	scratch_load_b128 v[1:4], off, off
	scratch_load_b128 v[5:8], v9, off offset:-16
	s_wait_loadcnt 0x1
	ds_store_2addr_b64 v0, v[1:2], v[3:4] offset1:1
	s_wait_loadcnt 0x0
	scratch_store_b128 off, v[5:8], off
	scratch_store_b128 v9, v[1:4], off offset:-16
.LBB69_60:
	scratch_load_b128 v[0:3], off, off
	s_wait_loadcnt 0x0
	flat_store_b128 v[13:14], v[0:3]
	scratch_load_b128 v[0:3], off, s15
	s_wait_loadcnt 0x0
	flat_store_b128 v[15:16], v[0:3]
	scratch_load_b128 v[0:3], off, s13
	;; [unrolled: 3-line block ×5, first 2 shown]
	s_wait_loadcnt 0x0
	flat_store_b128 v[23:24], v[0:3]
	s_endpgm
	.section	.rodata,"a",@progbits
	.p2align	6, 0x0
	.amdhsa_kernel _ZN9rocsolver6v33100L18getri_kernel_smallILi6E19rocblas_complex_numIdEPKPS3_EEvT1_iilPiilS8_bb
		.amdhsa_group_segment_fixed_size 1224
		.amdhsa_private_segment_fixed_size 112
		.amdhsa_kernarg_size 60
		.amdhsa_user_sgpr_count 4
		.amdhsa_user_sgpr_dispatch_ptr 1
		.amdhsa_user_sgpr_queue_ptr 0
		.amdhsa_user_sgpr_kernarg_segment_ptr 1
		.amdhsa_user_sgpr_dispatch_id 0
		.amdhsa_user_sgpr_private_segment_size 0
		.amdhsa_wavefront_size32 1
		.amdhsa_uses_dynamic_stack 0
		.amdhsa_enable_private_segment 1
		.amdhsa_system_sgpr_workgroup_id_x 1
		.amdhsa_system_sgpr_workgroup_id_y 0
		.amdhsa_system_sgpr_workgroup_id_z 0
		.amdhsa_system_sgpr_workgroup_info 0
		.amdhsa_system_vgpr_workitem_id 2
		.amdhsa_next_free_vgpr 56
		.amdhsa_next_free_sgpr 19
		.amdhsa_reserve_vcc 1
		.amdhsa_float_round_mode_32 0
		.amdhsa_float_round_mode_16_64 0
		.amdhsa_float_denorm_mode_32 3
		.amdhsa_float_denorm_mode_16_64 3
		.amdhsa_fp16_overflow 0
		.amdhsa_workgroup_processor_mode 1
		.amdhsa_memory_ordered 1
		.amdhsa_forward_progress 1
		.amdhsa_inst_pref_size 43
		.amdhsa_round_robin_scheduling 0
		.amdhsa_exception_fp_ieee_invalid_op 0
		.amdhsa_exception_fp_denorm_src 0
		.amdhsa_exception_fp_ieee_div_zero 0
		.amdhsa_exception_fp_ieee_overflow 0
		.amdhsa_exception_fp_ieee_underflow 0
		.amdhsa_exception_fp_ieee_inexact 0
		.amdhsa_exception_int_div_zero 0
	.end_amdhsa_kernel
	.section	.text._ZN9rocsolver6v33100L18getri_kernel_smallILi6E19rocblas_complex_numIdEPKPS3_EEvT1_iilPiilS8_bb,"axG",@progbits,_ZN9rocsolver6v33100L18getri_kernel_smallILi6E19rocblas_complex_numIdEPKPS3_EEvT1_iilPiilS8_bb,comdat
.Lfunc_end69:
	.size	_ZN9rocsolver6v33100L18getri_kernel_smallILi6E19rocblas_complex_numIdEPKPS3_EEvT1_iilPiilS8_bb, .Lfunc_end69-_ZN9rocsolver6v33100L18getri_kernel_smallILi6E19rocblas_complex_numIdEPKPS3_EEvT1_iilPiilS8_bb
                                        ; -- End function
	.set _ZN9rocsolver6v33100L18getri_kernel_smallILi6E19rocblas_complex_numIdEPKPS3_EEvT1_iilPiilS8_bb.num_vgpr, 56
	.set _ZN9rocsolver6v33100L18getri_kernel_smallILi6E19rocblas_complex_numIdEPKPS3_EEvT1_iilPiilS8_bb.num_agpr, 0
	.set _ZN9rocsolver6v33100L18getri_kernel_smallILi6E19rocblas_complex_numIdEPKPS3_EEvT1_iilPiilS8_bb.numbered_sgpr, 19
	.set _ZN9rocsolver6v33100L18getri_kernel_smallILi6E19rocblas_complex_numIdEPKPS3_EEvT1_iilPiilS8_bb.num_named_barrier, 0
	.set _ZN9rocsolver6v33100L18getri_kernel_smallILi6E19rocblas_complex_numIdEPKPS3_EEvT1_iilPiilS8_bb.private_seg_size, 112
	.set _ZN9rocsolver6v33100L18getri_kernel_smallILi6E19rocblas_complex_numIdEPKPS3_EEvT1_iilPiilS8_bb.uses_vcc, 1
	.set _ZN9rocsolver6v33100L18getri_kernel_smallILi6E19rocblas_complex_numIdEPKPS3_EEvT1_iilPiilS8_bb.uses_flat_scratch, 1
	.set _ZN9rocsolver6v33100L18getri_kernel_smallILi6E19rocblas_complex_numIdEPKPS3_EEvT1_iilPiilS8_bb.has_dyn_sized_stack, 0
	.set _ZN9rocsolver6v33100L18getri_kernel_smallILi6E19rocblas_complex_numIdEPKPS3_EEvT1_iilPiilS8_bb.has_recursion, 0
	.set _ZN9rocsolver6v33100L18getri_kernel_smallILi6E19rocblas_complex_numIdEPKPS3_EEvT1_iilPiilS8_bb.has_indirect_call, 0
	.section	.AMDGPU.csdata,"",@progbits
; Kernel info:
; codeLenInByte = 5460
; TotalNumSgprs: 21
; NumVgprs: 56
; ScratchSize: 112
; MemoryBound: 0
; FloatMode: 240
; IeeeMode: 1
; LDSByteSize: 1224 bytes/workgroup (compile time only)
; SGPRBlocks: 0
; VGPRBlocks: 6
; NumSGPRsForWavesPerEU: 21
; NumVGPRsForWavesPerEU: 56
; Occupancy: 16
; WaveLimiterHint : 1
; COMPUTE_PGM_RSRC2:SCRATCH_EN: 1
; COMPUTE_PGM_RSRC2:USER_SGPR: 4
; COMPUTE_PGM_RSRC2:TRAP_HANDLER: 0
; COMPUTE_PGM_RSRC2:TGID_X_EN: 1
; COMPUTE_PGM_RSRC2:TGID_Y_EN: 0
; COMPUTE_PGM_RSRC2:TGID_Z_EN: 0
; COMPUTE_PGM_RSRC2:TIDIG_COMP_CNT: 2
	.section	.text._ZN9rocsolver6v33100L18getri_kernel_smallILi7E19rocblas_complex_numIdEPKPS3_EEvT1_iilPiilS8_bb,"axG",@progbits,_ZN9rocsolver6v33100L18getri_kernel_smallILi7E19rocblas_complex_numIdEPKPS3_EEvT1_iilPiilS8_bb,comdat
	.globl	_ZN9rocsolver6v33100L18getri_kernel_smallILi7E19rocblas_complex_numIdEPKPS3_EEvT1_iilPiilS8_bb ; -- Begin function _ZN9rocsolver6v33100L18getri_kernel_smallILi7E19rocblas_complex_numIdEPKPS3_EEvT1_iilPiilS8_bb
	.p2align	8
	.type	_ZN9rocsolver6v33100L18getri_kernel_smallILi7E19rocblas_complex_numIdEPKPS3_EEvT1_iilPiilS8_bb,@function
_ZN9rocsolver6v33100L18getri_kernel_smallILi7E19rocblas_complex_numIdEPKPS3_EEvT1_iilPiilS8_bb: ; @_ZN9rocsolver6v33100L18getri_kernel_smallILi7E19rocblas_complex_numIdEPKPS3_EEvT1_iilPiilS8_bb
; %bb.0:
	v_and_b32_e32 v27, 0x3ff, v0
	s_mov_b32 s4, exec_lo
	s_delay_alu instid0(VALU_DEP_1)
	v_cmpx_gt_u32_e32 7, v27
	s_cbranch_execz .LBB70_42
; %bb.1:
	s_clause 0x1
	s_load_b32 s15, s[2:3], 0x38
	s_load_b64 s[8:9], s[2:3], 0x0
	s_mov_b32 s10, ttmp9
	s_load_b128 s[4:7], s[2:3], 0x28
	s_wait_kmcnt 0x0
	s_bitcmp1_b32 s15, 8
	s_cselect_b32 s14, -1, 0
	s_ashr_i32 s11, ttmp9, 31
	s_delay_alu instid0(SALU_CYCLE_1) | instskip(NEXT) | instid1(SALU_CYCLE_1)
	s_lshl_b64 s[12:13], s[10:11], 3
	s_add_nc_u64 s[8:9], s[8:9], s[12:13]
	s_load_b64 s[12:13], s[8:9], 0x0
	s_bfe_u32 s8, s15, 0x10008
	s_delay_alu instid0(SALU_CYCLE_1)
	s_cmp_eq_u32 s8, 0
                                        ; implicit-def: $sgpr8_sgpr9
	s_cbranch_scc1 .LBB70_3
; %bb.2:
	s_load_b96 s[16:18], s[2:3], 0x18
	s_mul_u64 s[4:5], s[4:5], s[10:11]
	s_delay_alu instid0(SALU_CYCLE_1)
	s_lshl_b64 s[4:5], s[4:5], 2
	s_wait_kmcnt 0x0
	s_ashr_i32 s9, s18, 31
	s_mov_b32 s8, s18
	s_add_nc_u64 s[4:5], s[16:17], s[4:5]
	s_lshl_b64 s[8:9], s[8:9], 2
	s_delay_alu instid0(SALU_CYCLE_1)
	s_add_nc_u64 s[8:9], s[4:5], s[8:9]
.LBB70_3:
	s_clause 0x1
	s_load_b64 s[4:5], s[2:3], 0x8
	s_load_b32 s17, s[2:3], 0x38
	v_lshlrev_b32_e32 v28, 4, v27
	s_mov_b32 s16, 16
	s_mov_b32 s15, 32
	s_wait_kmcnt 0x0
	s_ashr_i32 s3, s4, 31
	s_mov_b32 s2, s4
	v_add3_u32 v5, s5, s5, v27
	s_lshl_b64 s[2:3], s[2:3], 4
	s_delay_alu instid0(SALU_CYCLE_1)
	s_add_nc_u64 s[2:3], s[12:13], s[2:3]
	s_ashr_i32 s13, s5, 31
	v_add_co_u32 v13, s4, s2, v28
	s_wait_alu 0xf1ff
	v_add_co_ci_u32_e64 v14, null, s3, 0, s4
	s_mov_b32 s12, s5
	v_ashrrev_i32_e32 v6, 31, v5
	s_lshl_b64 s[12:13], s[12:13], 4
	flat_load_b128 v[1:4], v[13:14]
	v_add_co_u32 v15, vcc_lo, v13, s12
	s_delay_alu instid0(VALU_DEP_1)
	v_add_co_ci_u32_e64 v16, null, s13, v14, vcc_lo
	v_lshlrev_b64_e32 v[6:7], 4, v[5:6]
	v_add_nc_u32_e32 v5, s5, v5
	s_mov_b32 s12, 48
	s_mov_b32 s4, 64
	s_movk_i32 s13, 0x50
	s_bitcmp0_b32 s17, 0
	v_add_co_u32 v17, vcc_lo, s2, v6
	s_wait_alu 0xfffd
	v_add_co_ci_u32_e64 v18, null, s3, v7, vcc_lo
	v_ashrrev_i32_e32 v6, 31, v5
	s_delay_alu instid0(VALU_DEP_1) | instskip(SKIP_1) | instid1(VALU_DEP_2)
	v_lshlrev_b64_e32 v[6:7], 4, v[5:6]
	v_add_nc_u32_e32 v5, s5, v5
	v_add_co_u32 v19, vcc_lo, s2, v6
	s_wait_alu 0xfffd
	s_delay_alu instid0(VALU_DEP_3) | instskip(NEXT) | instid1(VALU_DEP_3)
	v_add_co_ci_u32_e64 v20, null, s3, v7, vcc_lo
	v_ashrrev_i32_e32 v6, 31, v5
	s_delay_alu instid0(VALU_DEP_1) | instskip(SKIP_1) | instid1(VALU_DEP_2)
	v_lshlrev_b64_e32 v[6:7], 4, v[5:6]
	v_add_nc_u32_e32 v5, s5, v5
	v_add_co_u32 v21, vcc_lo, s2, v6
	s_wait_alu 0xfffd
	s_delay_alu instid0(VALU_DEP_3) | instskip(NEXT) | instid1(VALU_DEP_3)
	v_add_co_ci_u32_e64 v22, null, s3, v7, vcc_lo
	v_ashrrev_i32_e32 v6, 31, v5
	s_delay_alu instid0(VALU_DEP_1) | instskip(SKIP_2) | instid1(VALU_DEP_2)
	v_lshlrev_b64_e32 v[6:7], 4, v[5:6]
	v_add_nc_u32_e32 v5, s5, v5
	s_movk_i32 s5, 0x60
	v_add_co_u32 v23, vcc_lo, s2, v6
	s_wait_alu 0xfffd
	s_delay_alu instid0(VALU_DEP_3) | instskip(SKIP_1) | instid1(VALU_DEP_1)
	v_add_co_ci_u32_e64 v24, null, s3, v7, vcc_lo
	v_ashrrev_i32_e32 v6, 31, v5
	v_lshlrev_b64_e32 v[5:6], 4, v[5:6]
	s_delay_alu instid0(VALU_DEP_1) | instskip(SKIP_1) | instid1(VALU_DEP_2)
	v_add_co_u32 v25, vcc_lo, s2, v5
	s_wait_alu 0xfffd
	v_add_co_ci_u32_e64 v26, null, s3, v6, vcc_lo
	s_mov_b32 s3, -1
	s_wait_loadcnt_dscnt 0x0
	scratch_store_b128 off, v[1:4], off
	flat_load_b128 v[1:4], v[15:16]
	s_wait_loadcnt_dscnt 0x0
	scratch_store_b128 off, v[1:4], off offset:16
	flat_load_b128 v[1:4], v[17:18]
	s_wait_loadcnt_dscnt 0x0
	scratch_store_b128 off, v[1:4], off offset:32
	;; [unrolled: 3-line block ×6, first 2 shown]
	s_cbranch_scc1 .LBB70_40
; %bb.4:
	v_cmp_eq_u32_e64 s2, 0, v27
	s_and_saveexec_b32 s3, s2
; %bb.5:
	v_mov_b32_e32 v1, 0
	ds_store_b32 v1, v1 offset:224
; %bb.6:
	s_wait_alu 0xfffe
	s_or_b32 exec_lo, exec_lo, s3
	s_wait_storecnt_dscnt 0x0
	s_barrier_signal -1
	s_barrier_wait -1
	global_inv scope:SCOPE_SE
	scratch_load_b128 v[1:4], v28, off
	s_wait_loadcnt 0x0
	v_cmp_eq_f64_e32 vcc_lo, 0, v[1:2]
	v_cmp_eq_f64_e64 s3, 0, v[3:4]
	s_and_b32 s3, vcc_lo, s3
	s_wait_alu 0xfffe
	s_and_saveexec_b32 s17, s3
	s_cbranch_execz .LBB70_10
; %bb.7:
	v_mov_b32_e32 v1, 0
	s_mov_b32 s18, 0
	ds_load_b32 v2, v1 offset:224
	s_wait_dscnt 0x0
	v_readfirstlane_b32 s3, v2
	v_add_nc_u32_e32 v2, 1, v27
	s_cmp_eq_u32 s3, 0
	s_delay_alu instid0(VALU_DEP_1) | instskip(SKIP_1) | instid1(SALU_CYCLE_1)
	v_cmp_gt_i32_e32 vcc_lo, s3, v2
	s_cselect_b32 s19, -1, 0
	s_or_b32 s19, s19, vcc_lo
	s_delay_alu instid0(SALU_CYCLE_1)
	s_and_b32 exec_lo, exec_lo, s19
	s_cbranch_execz .LBB70_10
; %bb.8:
	v_mov_b32_e32 v3, s3
.LBB70_9:                               ; =>This Inner Loop Header: Depth=1
	ds_cmpstore_rtn_b32 v3, v1, v2, v3 offset:224
	s_wait_dscnt 0x0
	v_cmp_ne_u32_e32 vcc_lo, 0, v3
	v_cmp_le_i32_e64 s3, v3, v2
	s_and_b32 s3, vcc_lo, s3
	s_wait_alu 0xfffe
	s_and_b32 s3, exec_lo, s3
	s_wait_alu 0xfffe
	s_or_b32 s18, s3, s18
	s_delay_alu instid0(SALU_CYCLE_1)
	s_and_not1_b32 exec_lo, exec_lo, s18
	s_cbranch_execnz .LBB70_9
.LBB70_10:
	s_or_b32 exec_lo, exec_lo, s17
	v_mov_b32_e32 v1, 0
	s_barrier_signal -1
	s_barrier_wait -1
	global_inv scope:SCOPE_SE
	ds_load_b32 v2, v1 offset:224
	s_and_saveexec_b32 s3, s2
	s_cbranch_execz .LBB70_12
; %bb.11:
	s_lshl_b64 s[18:19], s[10:11], 2
	s_delay_alu instid0(SALU_CYCLE_1)
	s_add_nc_u64 s[18:19], s[6:7], s[18:19]
	s_wait_dscnt 0x0
	global_store_b32 v1, v2, s[18:19]
.LBB70_12:
	s_wait_alu 0xfffe
	s_or_b32 exec_lo, exec_lo, s3
	s_wait_dscnt 0x0
	v_cmp_ne_u32_e32 vcc_lo, 0, v2
	s_mov_b32 s3, 0
	s_cbranch_vccnz .LBB70_40
; %bb.13:
	v_mov_b32_e32 v29, v28
                                        ; implicit-def: $vgpr1_vgpr2
                                        ; implicit-def: $vgpr9_vgpr10
	scratch_load_b128 v[5:8], v29, off
	s_wait_loadcnt 0x0
	v_cmp_ngt_f64_e64 s3, |v[5:6]|, |v[7:8]|
	s_wait_alu 0xfffe
	s_and_saveexec_b32 s17, s3
	s_delay_alu instid0(SALU_CYCLE_1)
	s_xor_b32 s3, exec_lo, s17
	s_cbranch_execz .LBB70_15
; %bb.14:
	v_div_scale_f64 v[1:2], null, v[7:8], v[7:8], v[5:6]
	v_div_scale_f64 v[11:12], vcc_lo, v[5:6], v[7:8], v[5:6]
	s_delay_alu instid0(VALU_DEP_2) | instskip(NEXT) | instid1(TRANS32_DEP_1)
	v_rcp_f64_e32 v[3:4], v[1:2]
	v_fma_f64 v[9:10], -v[1:2], v[3:4], 1.0
	s_delay_alu instid0(VALU_DEP_1) | instskip(NEXT) | instid1(VALU_DEP_1)
	v_fma_f64 v[3:4], v[3:4], v[9:10], v[3:4]
	v_fma_f64 v[9:10], -v[1:2], v[3:4], 1.0
	s_delay_alu instid0(VALU_DEP_1) | instskip(NEXT) | instid1(VALU_DEP_1)
	v_fma_f64 v[3:4], v[3:4], v[9:10], v[3:4]
	v_mul_f64_e32 v[9:10], v[11:12], v[3:4]
	s_delay_alu instid0(VALU_DEP_1) | instskip(SKIP_1) | instid1(VALU_DEP_1)
	v_fma_f64 v[1:2], -v[1:2], v[9:10], v[11:12]
	s_wait_alu 0xfffd
	v_div_fmas_f64 v[1:2], v[1:2], v[3:4], v[9:10]
	s_delay_alu instid0(VALU_DEP_1) | instskip(NEXT) | instid1(VALU_DEP_1)
	v_div_fixup_f64 v[1:2], v[1:2], v[7:8], v[5:6]
	v_fma_f64 v[3:4], v[5:6], v[1:2], v[7:8]
	s_delay_alu instid0(VALU_DEP_1) | instskip(SKIP_1) | instid1(VALU_DEP_2)
	v_div_scale_f64 v[5:6], null, v[3:4], v[3:4], 1.0
	v_div_scale_f64 v[11:12], vcc_lo, 1.0, v[3:4], 1.0
	v_rcp_f64_e32 v[7:8], v[5:6]
	s_delay_alu instid0(TRANS32_DEP_1) | instskip(NEXT) | instid1(VALU_DEP_1)
	v_fma_f64 v[9:10], -v[5:6], v[7:8], 1.0
	v_fma_f64 v[7:8], v[7:8], v[9:10], v[7:8]
	s_delay_alu instid0(VALU_DEP_1) | instskip(NEXT) | instid1(VALU_DEP_1)
	v_fma_f64 v[9:10], -v[5:6], v[7:8], 1.0
	v_fma_f64 v[7:8], v[7:8], v[9:10], v[7:8]
	s_delay_alu instid0(VALU_DEP_1) | instskip(NEXT) | instid1(VALU_DEP_1)
	v_mul_f64_e32 v[9:10], v[11:12], v[7:8]
	v_fma_f64 v[5:6], -v[5:6], v[9:10], v[11:12]
	s_wait_alu 0xfffd
	s_delay_alu instid0(VALU_DEP_1) | instskip(NEXT) | instid1(VALU_DEP_1)
	v_div_fmas_f64 v[5:6], v[5:6], v[7:8], v[9:10]
	v_div_fixup_f64 v[3:4], v[5:6], v[3:4], 1.0
                                        ; implicit-def: $vgpr5_vgpr6
	s_delay_alu instid0(VALU_DEP_1) | instskip(SKIP_1) | instid1(VALU_DEP_2)
	v_mul_f64_e32 v[1:2], v[1:2], v[3:4]
	v_xor_b32_e32 v4, 0x80000000, v4
	v_xor_b32_e32 v10, 0x80000000, v2
	s_delay_alu instid0(VALU_DEP_3)
	v_mov_b32_e32 v9, v1
.LBB70_15:
	s_wait_alu 0xfffe
	s_and_not1_saveexec_b32 s3, s3
	s_cbranch_execz .LBB70_17
; %bb.16:
	v_div_scale_f64 v[1:2], null, v[5:6], v[5:6], v[7:8]
	v_div_scale_f64 v[11:12], vcc_lo, v[7:8], v[5:6], v[7:8]
	s_delay_alu instid0(VALU_DEP_2) | instskip(NEXT) | instid1(TRANS32_DEP_1)
	v_rcp_f64_e32 v[3:4], v[1:2]
	v_fma_f64 v[9:10], -v[1:2], v[3:4], 1.0
	s_delay_alu instid0(VALU_DEP_1) | instskip(NEXT) | instid1(VALU_DEP_1)
	v_fma_f64 v[3:4], v[3:4], v[9:10], v[3:4]
	v_fma_f64 v[9:10], -v[1:2], v[3:4], 1.0
	s_delay_alu instid0(VALU_DEP_1) | instskip(NEXT) | instid1(VALU_DEP_1)
	v_fma_f64 v[3:4], v[3:4], v[9:10], v[3:4]
	v_mul_f64_e32 v[9:10], v[11:12], v[3:4]
	s_delay_alu instid0(VALU_DEP_1) | instskip(SKIP_1) | instid1(VALU_DEP_1)
	v_fma_f64 v[1:2], -v[1:2], v[9:10], v[11:12]
	s_wait_alu 0xfffd
	v_div_fmas_f64 v[1:2], v[1:2], v[3:4], v[9:10]
	s_delay_alu instid0(VALU_DEP_1) | instskip(NEXT) | instid1(VALU_DEP_1)
	v_div_fixup_f64 v[3:4], v[1:2], v[5:6], v[7:8]
	v_fma_f64 v[1:2], v[7:8], v[3:4], v[5:6]
	s_delay_alu instid0(VALU_DEP_1) | instskip(NEXT) | instid1(VALU_DEP_1)
	v_div_scale_f64 v[5:6], null, v[1:2], v[1:2], 1.0
	v_rcp_f64_e32 v[7:8], v[5:6]
	s_delay_alu instid0(TRANS32_DEP_1) | instskip(NEXT) | instid1(VALU_DEP_1)
	v_fma_f64 v[9:10], -v[5:6], v[7:8], 1.0
	v_fma_f64 v[7:8], v[7:8], v[9:10], v[7:8]
	s_delay_alu instid0(VALU_DEP_1) | instskip(NEXT) | instid1(VALU_DEP_1)
	v_fma_f64 v[9:10], -v[5:6], v[7:8], 1.0
	v_fma_f64 v[7:8], v[7:8], v[9:10], v[7:8]
	v_div_scale_f64 v[9:10], vcc_lo, 1.0, v[1:2], 1.0
	s_delay_alu instid0(VALU_DEP_1) | instskip(NEXT) | instid1(VALU_DEP_1)
	v_mul_f64_e32 v[11:12], v[9:10], v[7:8]
	v_fma_f64 v[5:6], -v[5:6], v[11:12], v[9:10]
	s_wait_alu 0xfffd
	s_delay_alu instid0(VALU_DEP_1) | instskip(NEXT) | instid1(VALU_DEP_1)
	v_div_fmas_f64 v[5:6], v[5:6], v[7:8], v[11:12]
	v_div_fixup_f64 v[1:2], v[5:6], v[1:2], 1.0
	s_delay_alu instid0(VALU_DEP_1)
	v_mul_f64_e64 v[3:4], v[3:4], -v[1:2]
	v_xor_b32_e32 v10, 0x80000000, v2
	v_mov_b32_e32 v9, v1
.LBB70_17:
	s_wait_alu 0xfffe
	s_or_b32 exec_lo, exec_lo, s3
	scratch_store_b128 v29, v[1:4], off
	scratch_load_b128 v[30:33], off, s16
	v_xor_b32_e32 v12, 0x80000000, v4
	v_mov_b32_e32 v11, v3
	v_add_nc_u32_e32 v5, 0x70, v28
	ds_store_b128 v28, v[9:12]
	s_wait_loadcnt 0x0
	ds_store_b128 v28, v[30:33] offset:112
	s_wait_storecnt_dscnt 0x0
	s_barrier_signal -1
	s_barrier_wait -1
	global_inv scope:SCOPE_SE
	s_and_saveexec_b32 s3, s2
	s_cbranch_execz .LBB70_19
; %bb.18:
	scratch_load_b128 v[1:4], v29, off
	ds_load_b128 v[6:9], v5
	v_mov_b32_e32 v10, 0
	ds_load_b128 v[30:33], v10 offset:16
	s_wait_loadcnt_dscnt 0x1
	v_mul_f64_e32 v[10:11], v[6:7], v[3:4]
	v_mul_f64_e32 v[3:4], v[8:9], v[3:4]
	s_delay_alu instid0(VALU_DEP_2) | instskip(NEXT) | instid1(VALU_DEP_2)
	v_fma_f64 v[8:9], v[8:9], v[1:2], v[10:11]
	v_fma_f64 v[1:2], v[6:7], v[1:2], -v[3:4]
	s_delay_alu instid0(VALU_DEP_2) | instskip(NEXT) | instid1(VALU_DEP_2)
	v_add_f64_e32 v[3:4], 0, v[8:9]
	v_add_f64_e32 v[1:2], 0, v[1:2]
	s_wait_dscnt 0x0
	s_delay_alu instid0(VALU_DEP_2) | instskip(NEXT) | instid1(VALU_DEP_2)
	v_mul_f64_e32 v[6:7], v[3:4], v[32:33]
	v_mul_f64_e32 v[8:9], v[1:2], v[32:33]
	s_delay_alu instid0(VALU_DEP_2) | instskip(NEXT) | instid1(VALU_DEP_2)
	v_fma_f64 v[1:2], v[1:2], v[30:31], -v[6:7]
	v_fma_f64 v[3:4], v[3:4], v[30:31], v[8:9]
	scratch_store_b128 off, v[1:4], off offset:16
.LBB70_19:
	s_wait_alu 0xfffe
	s_or_b32 exec_lo, exec_lo, s3
	s_wait_loadcnt 0x0
	s_wait_storecnt 0x0
	s_barrier_signal -1
	s_barrier_wait -1
	global_inv scope:SCOPE_SE
	scratch_load_b128 v[1:4], off, s15
	s_mov_b32 s3, exec_lo
	s_wait_loadcnt 0x0
	ds_store_b128 v5, v[1:4]
	s_wait_dscnt 0x0
	s_barrier_signal -1
	s_barrier_wait -1
	global_inv scope:SCOPE_SE
	v_cmpx_gt_u32_e32 2, v27
	s_cbranch_execz .LBB70_23
; %bb.20:
	scratch_load_b128 v[1:4], v29, off
	ds_load_b128 v[6:9], v5
	s_wait_loadcnt_dscnt 0x0
	v_mul_f64_e32 v[10:11], v[8:9], v[3:4]
	v_mul_f64_e32 v[3:4], v[6:7], v[3:4]
	s_delay_alu instid0(VALU_DEP_2) | instskip(NEXT) | instid1(VALU_DEP_2)
	v_fma_f64 v[6:7], v[6:7], v[1:2], -v[10:11]
	v_fma_f64 v[3:4], v[8:9], v[1:2], v[3:4]
	s_delay_alu instid0(VALU_DEP_2) | instskip(NEXT) | instid1(VALU_DEP_2)
	v_add_f64_e32 v[1:2], 0, v[6:7]
	v_add_f64_e32 v[3:4], 0, v[3:4]
	s_and_saveexec_b32 s17, s2
	s_cbranch_execz .LBB70_22
; %bb.21:
	scratch_load_b128 v[6:9], off, off offset:16
	v_mov_b32_e32 v10, 0
	ds_load_b128 v[30:33], v10 offset:128
	s_wait_loadcnt_dscnt 0x0
	v_mul_f64_e32 v[10:11], v[30:31], v[8:9]
	v_mul_f64_e32 v[8:9], v[32:33], v[8:9]
	s_delay_alu instid0(VALU_DEP_2) | instskip(NEXT) | instid1(VALU_DEP_2)
	v_fma_f64 v[10:11], v[32:33], v[6:7], v[10:11]
	v_fma_f64 v[6:7], v[30:31], v[6:7], -v[8:9]
	s_delay_alu instid0(VALU_DEP_2) | instskip(NEXT) | instid1(VALU_DEP_2)
	v_add_f64_e32 v[3:4], v[3:4], v[10:11]
	v_add_f64_e32 v[1:2], v[1:2], v[6:7]
.LBB70_22:
	s_or_b32 exec_lo, exec_lo, s17
	v_mov_b32_e32 v6, 0
	ds_load_b128 v[6:9], v6 offset:32
	s_wait_dscnt 0x0
	v_mul_f64_e32 v[10:11], v[3:4], v[8:9]
	v_mul_f64_e32 v[8:9], v[1:2], v[8:9]
	s_delay_alu instid0(VALU_DEP_2) | instskip(NEXT) | instid1(VALU_DEP_2)
	v_fma_f64 v[1:2], v[1:2], v[6:7], -v[10:11]
	v_fma_f64 v[3:4], v[3:4], v[6:7], v[8:9]
	scratch_store_b128 off, v[1:4], off offset:32
.LBB70_23:
	s_wait_alu 0xfffe
	s_or_b32 exec_lo, exec_lo, s3
	s_wait_loadcnt 0x0
	s_wait_storecnt 0x0
	s_barrier_signal -1
	s_barrier_wait -1
	global_inv scope:SCOPE_SE
	scratch_load_b128 v[1:4], off, s12
	v_add_nc_u32_e32 v6, -1, v27
	s_mov_b32 s2, exec_lo
	s_wait_loadcnt 0x0
	ds_store_b128 v5, v[1:4]
	s_wait_dscnt 0x0
	s_barrier_signal -1
	s_barrier_wait -1
	global_inv scope:SCOPE_SE
	v_cmpx_gt_u32_e32 3, v27
	s_cbranch_execz .LBB70_27
; %bb.24:
	v_dual_mov_b32 v1, 0 :: v_dual_add_nc_u32 v8, 0x70, v28
	v_mov_b32_e32 v3, 0
	v_dual_mov_b32 v2, 0 :: v_dual_add_nc_u32 v7, -1, v27
	v_mov_b32_e32 v4, 0
	v_or_b32_e32 v9, 8, v29
	s_mov_b32 s3, 0
.LBB70_25:                              ; =>This Inner Loop Header: Depth=1
	scratch_load_b128 v[30:33], v9, off offset:-8
	ds_load_b128 v[34:37], v8
	v_add_nc_u32_e32 v7, 1, v7
	v_add_nc_u32_e32 v8, 16, v8
	v_add_nc_u32_e32 v9, 16, v9
	s_delay_alu instid0(VALU_DEP_3)
	v_cmp_lt_u32_e32 vcc_lo, 1, v7
	s_wait_alu 0xfffe
	s_or_b32 s3, vcc_lo, s3
	s_wait_loadcnt_dscnt 0x0
	v_mul_f64_e32 v[10:11], v[36:37], v[32:33]
	v_mul_f64_e32 v[32:33], v[34:35], v[32:33]
	s_delay_alu instid0(VALU_DEP_2) | instskip(NEXT) | instid1(VALU_DEP_2)
	v_fma_f64 v[10:11], v[34:35], v[30:31], -v[10:11]
	v_fma_f64 v[30:31], v[36:37], v[30:31], v[32:33]
	s_delay_alu instid0(VALU_DEP_2) | instskip(NEXT) | instid1(VALU_DEP_2)
	v_add_f64_e32 v[3:4], v[3:4], v[10:11]
	v_add_f64_e32 v[1:2], v[1:2], v[30:31]
	s_wait_alu 0xfffe
	s_and_not1_b32 exec_lo, exec_lo, s3
	s_cbranch_execnz .LBB70_25
; %bb.26:
	s_or_b32 exec_lo, exec_lo, s3
	v_mov_b32_e32 v7, 0
	ds_load_b128 v[7:10], v7 offset:48
	s_wait_dscnt 0x0
	v_mul_f64_e32 v[11:12], v[1:2], v[9:10]
	v_mul_f64_e32 v[30:31], v[3:4], v[9:10]
	s_delay_alu instid0(VALU_DEP_2) | instskip(NEXT) | instid1(VALU_DEP_2)
	v_fma_f64 v[9:10], v[3:4], v[7:8], -v[11:12]
	v_fma_f64 v[11:12], v[1:2], v[7:8], v[30:31]
	scratch_store_b128 off, v[9:12], off offset:48
.LBB70_27:
	s_wait_alu 0xfffe
	s_or_b32 exec_lo, exec_lo, s2
	s_wait_loadcnt 0x0
	s_wait_storecnt 0x0
	s_barrier_signal -1
	s_barrier_wait -1
	global_inv scope:SCOPE_SE
	scratch_load_b128 v[1:4], off, s4
	s_mov_b32 s2, exec_lo
	s_wait_loadcnt 0x0
	ds_store_b128 v5, v[1:4]
	s_wait_dscnt 0x0
	s_barrier_signal -1
	s_barrier_wait -1
	global_inv scope:SCOPE_SE
	v_cmpx_gt_u32_e32 4, v27
	s_cbranch_execz .LBB70_31
; %bb.28:
	v_dual_mov_b32 v1, 0 :: v_dual_add_nc_u32 v8, 0x70, v28
	v_mov_b32_e32 v3, 0
	v_dual_mov_b32 v2, 0 :: v_dual_add_nc_u32 v7, -1, v27
	v_mov_b32_e32 v4, 0
	v_or_b32_e32 v9, 8, v29
	s_mov_b32 s3, 0
.LBB70_29:                              ; =>This Inner Loop Header: Depth=1
	scratch_load_b128 v[30:33], v9, off offset:-8
	ds_load_b128 v[34:37], v8
	v_add_nc_u32_e32 v7, 1, v7
	v_add_nc_u32_e32 v8, 16, v8
	v_add_nc_u32_e32 v9, 16, v9
	s_delay_alu instid0(VALU_DEP_3)
	v_cmp_lt_u32_e32 vcc_lo, 2, v7
	s_wait_alu 0xfffe
	s_or_b32 s3, vcc_lo, s3
	s_wait_loadcnt_dscnt 0x0
	v_mul_f64_e32 v[10:11], v[36:37], v[32:33]
	v_mul_f64_e32 v[32:33], v[34:35], v[32:33]
	s_delay_alu instid0(VALU_DEP_2) | instskip(NEXT) | instid1(VALU_DEP_2)
	v_fma_f64 v[10:11], v[34:35], v[30:31], -v[10:11]
	v_fma_f64 v[30:31], v[36:37], v[30:31], v[32:33]
	s_delay_alu instid0(VALU_DEP_2) | instskip(NEXT) | instid1(VALU_DEP_2)
	v_add_f64_e32 v[3:4], v[3:4], v[10:11]
	v_add_f64_e32 v[1:2], v[1:2], v[30:31]
	s_wait_alu 0xfffe
	s_and_not1_b32 exec_lo, exec_lo, s3
	s_cbranch_execnz .LBB70_29
; %bb.30:
	s_or_b32 exec_lo, exec_lo, s3
	v_mov_b32_e32 v7, 0
	ds_load_b128 v[7:10], v7 offset:64
	s_wait_dscnt 0x0
	v_mul_f64_e32 v[11:12], v[1:2], v[9:10]
	v_mul_f64_e32 v[30:31], v[3:4], v[9:10]
	s_delay_alu instid0(VALU_DEP_2) | instskip(NEXT) | instid1(VALU_DEP_2)
	v_fma_f64 v[9:10], v[3:4], v[7:8], -v[11:12]
	v_fma_f64 v[11:12], v[1:2], v[7:8], v[30:31]
	scratch_store_b128 off, v[9:12], off offset:64
.LBB70_31:
	s_wait_alu 0xfffe
	s_or_b32 exec_lo, exec_lo, s2
	s_wait_loadcnt 0x0
	s_wait_storecnt 0x0
	s_barrier_signal -1
	s_barrier_wait -1
	global_inv scope:SCOPE_SE
	scratch_load_b128 v[1:4], off, s13
	;; [unrolled: 58-line block ×3, first 2 shown]
	s_mov_b32 s2, exec_lo
	s_wait_loadcnt 0x0
	ds_store_b128 v5, v[1:4]
	s_wait_dscnt 0x0
	s_barrier_signal -1
	s_barrier_wait -1
	global_inv scope:SCOPE_SE
	v_cmpx_ne_u32_e32 6, v27
	s_cbranch_execz .LBB70_39
; %bb.36:
	v_mov_b32_e32 v1, 0
	v_dual_mov_b32 v2, 0 :: v_dual_mov_b32 v3, 0
	v_mov_b32_e32 v4, 0
	v_or_b32_e32 v7, 8, v29
	s_mov_b32 s3, 0
.LBB70_37:                              ; =>This Inner Loop Header: Depth=1
	scratch_load_b128 v[8:11], v7, off offset:-8
	ds_load_b128 v[28:31], v5
	v_add_nc_u32_e32 v6, 1, v6
	v_add_nc_u32_e32 v5, 16, v5
	;; [unrolled: 1-line block ×3, first 2 shown]
	s_delay_alu instid0(VALU_DEP_3)
	v_cmp_lt_u32_e32 vcc_lo, 4, v6
	s_wait_alu 0xfffe
	s_or_b32 s3, vcc_lo, s3
	s_wait_loadcnt_dscnt 0x0
	v_mul_f64_e32 v[32:33], v[30:31], v[10:11]
	v_mul_f64_e32 v[10:11], v[28:29], v[10:11]
	s_delay_alu instid0(VALU_DEP_2) | instskip(NEXT) | instid1(VALU_DEP_2)
	v_fma_f64 v[28:29], v[28:29], v[8:9], -v[32:33]
	v_fma_f64 v[8:9], v[30:31], v[8:9], v[10:11]
	s_delay_alu instid0(VALU_DEP_2) | instskip(NEXT) | instid1(VALU_DEP_2)
	v_add_f64_e32 v[3:4], v[3:4], v[28:29]
	v_add_f64_e32 v[1:2], v[1:2], v[8:9]
	s_wait_alu 0xfffe
	s_and_not1_b32 exec_lo, exec_lo, s3
	s_cbranch_execnz .LBB70_37
; %bb.38:
	s_or_b32 exec_lo, exec_lo, s3
	v_mov_b32_e32 v5, 0
	ds_load_b128 v[5:8], v5 offset:96
	s_wait_dscnt 0x0
	v_mul_f64_e32 v[9:10], v[1:2], v[7:8]
	v_mul_f64_e32 v[7:8], v[3:4], v[7:8]
	s_delay_alu instid0(VALU_DEP_2) | instskip(NEXT) | instid1(VALU_DEP_2)
	v_fma_f64 v[3:4], v[3:4], v[5:6], -v[9:10]
	v_fma_f64 v[5:6], v[1:2], v[5:6], v[7:8]
	scratch_store_b128 off, v[3:6], off offset:96
.LBB70_39:
	s_wait_alu 0xfffe
	s_or_b32 exec_lo, exec_lo, s2
	s_mov_b32 s3, -1
	s_wait_loadcnt 0x0
	s_wait_storecnt 0x0
	s_barrier_signal -1
	s_barrier_wait -1
	global_inv scope:SCOPE_SE
.LBB70_40:
	s_wait_alu 0xfffe
	s_and_b32 vcc_lo, exec_lo, s3
	s_wait_alu 0xfffe
	s_cbranch_vccz .LBB70_42
; %bb.41:
	v_mov_b32_e32 v1, 0
	s_lshl_b64 s[2:3], s[10:11], 2
	s_wait_alu 0xfffe
	s_add_nc_u64 s[2:3], s[6:7], s[2:3]
	global_load_b32 v1, v1, s[2:3]
	s_wait_loadcnt 0x0
	v_cmp_ne_u32_e32 vcc_lo, 0, v1
	s_cbranch_vccz .LBB70_43
.LBB70_42:
	s_endpgm
.LBB70_43:
	v_lshl_add_u32 v5, v27, 4, 0x70
	s_mov_b32 s2, exec_lo
	v_cmpx_eq_u32_e32 6, v27
	s_cbranch_execz .LBB70_45
; %bb.44:
	scratch_load_b128 v[1:4], off, s13
	v_mov_b32_e32 v6, 0
	s_delay_alu instid0(VALU_DEP_1)
	v_dual_mov_b32 v7, v6 :: v_dual_mov_b32 v8, v6
	v_mov_b32_e32 v9, v6
	scratch_store_b128 off, v[6:9], off offset:80
	s_wait_loadcnt 0x0
	ds_store_b128 v5, v[1:4]
.LBB70_45:
	s_wait_alu 0xfffe
	s_or_b32 exec_lo, exec_lo, s2
	s_wait_storecnt_dscnt 0x0
	s_barrier_signal -1
	s_barrier_wait -1
	global_inv scope:SCOPE_SE
	s_clause 0x1
	scratch_load_b128 v[6:9], off, off offset:96
	scratch_load_b128 v[28:31], off, off offset:80
	v_mov_b32_e32 v1, 0
	s_mov_b32 s2, exec_lo
	ds_load_b128 v[32:35], v1 offset:208
	s_wait_loadcnt_dscnt 0x100
	v_mul_f64_e32 v[2:3], v[34:35], v[8:9]
	v_mul_f64_e32 v[8:9], v[32:33], v[8:9]
	s_delay_alu instid0(VALU_DEP_2) | instskip(NEXT) | instid1(VALU_DEP_2)
	v_fma_f64 v[2:3], v[32:33], v[6:7], -v[2:3]
	v_fma_f64 v[6:7], v[34:35], v[6:7], v[8:9]
	s_delay_alu instid0(VALU_DEP_2) | instskip(NEXT) | instid1(VALU_DEP_2)
	v_add_f64_e32 v[2:3], 0, v[2:3]
	v_add_f64_e32 v[8:9], 0, v[6:7]
	s_wait_loadcnt 0x0
	s_delay_alu instid0(VALU_DEP_2) | instskip(NEXT) | instid1(VALU_DEP_2)
	v_add_f64_e64 v[6:7], v[28:29], -v[2:3]
	v_add_f64_e64 v[8:9], v[30:31], -v[8:9]
	scratch_store_b128 off, v[6:9], off offset:80
	v_cmpx_lt_u32_e32 4, v27
	s_cbranch_execz .LBB70_47
; %bb.46:
	scratch_load_b128 v[6:9], off, s4
	v_dual_mov_b32 v2, v1 :: v_dual_mov_b32 v3, v1
	v_mov_b32_e32 v4, v1
	scratch_store_b128 off, v[1:4], off offset:64
	s_wait_loadcnt 0x0
	ds_store_b128 v5, v[6:9]
.LBB70_47:
	s_wait_alu 0xfffe
	s_or_b32 exec_lo, exec_lo, s2
	s_wait_storecnt_dscnt 0x0
	s_barrier_signal -1
	s_barrier_wait -1
	global_inv scope:SCOPE_SE
	s_clause 0x2
	scratch_load_b128 v[6:9], off, off offset:80
	scratch_load_b128 v[28:31], off, off offset:96
	;; [unrolled: 1-line block ×3, first 2 shown]
	ds_load_b128 v[36:39], v1 offset:192
	ds_load_b128 v[1:4], v1 offset:208
	s_mov_b32 s2, exec_lo
	s_wait_loadcnt_dscnt 0x201
	v_mul_f64_e32 v[10:11], v[38:39], v[8:9]
	v_mul_f64_e32 v[8:9], v[36:37], v[8:9]
	s_wait_loadcnt_dscnt 0x100
	v_mul_f64_e32 v[40:41], v[1:2], v[30:31]
	v_mul_f64_e32 v[30:31], v[3:4], v[30:31]
	s_delay_alu instid0(VALU_DEP_4) | instskip(NEXT) | instid1(VALU_DEP_4)
	v_fma_f64 v[10:11], v[36:37], v[6:7], -v[10:11]
	v_fma_f64 v[6:7], v[38:39], v[6:7], v[8:9]
	s_delay_alu instid0(VALU_DEP_4) | instskip(NEXT) | instid1(VALU_DEP_4)
	v_fma_f64 v[3:4], v[3:4], v[28:29], v[40:41]
	v_fma_f64 v[1:2], v[1:2], v[28:29], -v[30:31]
	s_delay_alu instid0(VALU_DEP_4) | instskip(NEXT) | instid1(VALU_DEP_4)
	v_add_f64_e32 v[8:9], 0, v[10:11]
	v_add_f64_e32 v[6:7], 0, v[6:7]
	s_delay_alu instid0(VALU_DEP_2) | instskip(NEXT) | instid1(VALU_DEP_2)
	v_add_f64_e32 v[1:2], v[8:9], v[1:2]
	v_add_f64_e32 v[3:4], v[6:7], v[3:4]
	s_wait_loadcnt 0x0
	s_delay_alu instid0(VALU_DEP_2) | instskip(NEXT) | instid1(VALU_DEP_2)
	v_add_f64_e64 v[1:2], v[32:33], -v[1:2]
	v_add_f64_e64 v[3:4], v[34:35], -v[3:4]
	scratch_store_b128 off, v[1:4], off offset:64
	v_cmpx_lt_u32_e32 3, v27
	s_cbranch_execz .LBB70_49
; %bb.48:
	scratch_load_b128 v[1:4], off, s12
	v_mov_b32_e32 v6, 0
	s_delay_alu instid0(VALU_DEP_1)
	v_dual_mov_b32 v7, v6 :: v_dual_mov_b32 v8, v6
	v_mov_b32_e32 v9, v6
	scratch_store_b128 off, v[6:9], off offset:48
	s_wait_loadcnt 0x0
	ds_store_b128 v5, v[1:4]
.LBB70_49:
	s_wait_alu 0xfffe
	s_or_b32 exec_lo, exec_lo, s2
	s_wait_storecnt_dscnt 0x0
	s_barrier_signal -1
	s_barrier_wait -1
	global_inv scope:SCOPE_SE
	s_clause 0x3
	scratch_load_b128 v[6:9], off, off offset:64
	scratch_load_b128 v[28:31], off, off offset:80
	;; [unrolled: 1-line block ×4, first 2 shown]
	v_mov_b32_e32 v1, 0
	ds_load_b128 v[40:43], v1 offset:176
	ds_load_b128 v[44:47], v1 offset:192
	s_mov_b32 s2, exec_lo
	s_wait_loadcnt_dscnt 0x301
	v_mul_f64_e32 v[2:3], v[42:43], v[8:9]
	v_mul_f64_e32 v[8:9], v[40:41], v[8:9]
	s_wait_loadcnt_dscnt 0x200
	v_mul_f64_e32 v[10:11], v[44:45], v[30:31]
	v_mul_f64_e32 v[30:31], v[46:47], v[30:31]
	s_delay_alu instid0(VALU_DEP_4) | instskip(NEXT) | instid1(VALU_DEP_4)
	v_fma_f64 v[2:3], v[40:41], v[6:7], -v[2:3]
	v_fma_f64 v[40:41], v[42:43], v[6:7], v[8:9]
	ds_load_b128 v[6:9], v1 offset:208
	v_fma_f64 v[10:11], v[46:47], v[28:29], v[10:11]
	v_fma_f64 v[28:29], v[44:45], v[28:29], -v[30:31]
	s_wait_loadcnt_dscnt 0x100
	v_mul_f64_e32 v[42:43], v[6:7], v[34:35]
	v_mul_f64_e32 v[34:35], v[8:9], v[34:35]
	v_add_f64_e32 v[2:3], 0, v[2:3]
	v_add_f64_e32 v[30:31], 0, v[40:41]
	s_delay_alu instid0(VALU_DEP_4) | instskip(NEXT) | instid1(VALU_DEP_4)
	v_fma_f64 v[8:9], v[8:9], v[32:33], v[42:43]
	v_fma_f64 v[6:7], v[6:7], v[32:33], -v[34:35]
	s_delay_alu instid0(VALU_DEP_4) | instskip(NEXT) | instid1(VALU_DEP_4)
	v_add_f64_e32 v[2:3], v[2:3], v[28:29]
	v_add_f64_e32 v[10:11], v[30:31], v[10:11]
	s_delay_alu instid0(VALU_DEP_2) | instskip(NEXT) | instid1(VALU_DEP_2)
	v_add_f64_e32 v[2:3], v[2:3], v[6:7]
	v_add_f64_e32 v[8:9], v[10:11], v[8:9]
	s_wait_loadcnt 0x0
	s_delay_alu instid0(VALU_DEP_2) | instskip(NEXT) | instid1(VALU_DEP_2)
	v_add_f64_e64 v[6:7], v[36:37], -v[2:3]
	v_add_f64_e64 v[8:9], v[38:39], -v[8:9]
	scratch_store_b128 off, v[6:9], off offset:48
	v_cmpx_lt_u32_e32 2, v27
	s_cbranch_execz .LBB70_51
; %bb.50:
	scratch_load_b128 v[6:9], off, s15
	v_dual_mov_b32 v2, v1 :: v_dual_mov_b32 v3, v1
	v_mov_b32_e32 v4, v1
	scratch_store_b128 off, v[1:4], off offset:32
	s_wait_loadcnt 0x0
	ds_store_b128 v5, v[6:9]
.LBB70_51:
	s_wait_alu 0xfffe
	s_or_b32 exec_lo, exec_lo, s2
	s_wait_storecnt_dscnt 0x0
	s_barrier_signal -1
	s_barrier_wait -1
	global_inv scope:SCOPE_SE
	s_clause 0x4
	scratch_load_b128 v[6:9], off, off offset:48
	scratch_load_b128 v[28:31], off, off offset:64
	;; [unrolled: 1-line block ×5, first 2 shown]
	ds_load_b128 v[44:47], v1 offset:160
	ds_load_b128 v[48:51], v1 offset:176
	s_mov_b32 s2, exec_lo
	s_wait_loadcnt_dscnt 0x401
	v_mul_f64_e32 v[2:3], v[46:47], v[8:9]
	v_mul_f64_e32 v[8:9], v[44:45], v[8:9]
	s_wait_loadcnt_dscnt 0x300
	v_mul_f64_e32 v[10:11], v[48:49], v[30:31]
	v_mul_f64_e32 v[30:31], v[50:51], v[30:31]
	s_delay_alu instid0(VALU_DEP_4) | instskip(NEXT) | instid1(VALU_DEP_4)
	v_fma_f64 v[44:45], v[44:45], v[6:7], -v[2:3]
	v_fma_f64 v[46:47], v[46:47], v[6:7], v[8:9]
	ds_load_b128 v[6:9], v1 offset:192
	ds_load_b128 v[1:4], v1 offset:208
	v_fma_f64 v[10:11], v[50:51], v[28:29], v[10:11]
	v_fma_f64 v[28:29], v[48:49], v[28:29], -v[30:31]
	s_wait_loadcnt_dscnt 0x201
	v_mul_f64_e32 v[52:53], v[6:7], v[34:35]
	v_mul_f64_e32 v[34:35], v[8:9], v[34:35]
	v_add_f64_e32 v[30:31], 0, v[44:45]
	v_add_f64_e32 v[44:45], 0, v[46:47]
	s_wait_loadcnt_dscnt 0x100
	v_mul_f64_e32 v[46:47], v[1:2], v[38:39]
	v_mul_f64_e32 v[38:39], v[3:4], v[38:39]
	v_fma_f64 v[8:9], v[8:9], v[32:33], v[52:53]
	v_fma_f64 v[6:7], v[6:7], v[32:33], -v[34:35]
	v_add_f64_e32 v[28:29], v[30:31], v[28:29]
	v_add_f64_e32 v[10:11], v[44:45], v[10:11]
	v_fma_f64 v[3:4], v[3:4], v[36:37], v[46:47]
	v_fma_f64 v[1:2], v[1:2], v[36:37], -v[38:39]
	s_delay_alu instid0(VALU_DEP_4) | instskip(NEXT) | instid1(VALU_DEP_4)
	v_add_f64_e32 v[6:7], v[28:29], v[6:7]
	v_add_f64_e32 v[8:9], v[10:11], v[8:9]
	s_delay_alu instid0(VALU_DEP_2) | instskip(NEXT) | instid1(VALU_DEP_2)
	v_add_f64_e32 v[1:2], v[6:7], v[1:2]
	v_add_f64_e32 v[3:4], v[8:9], v[3:4]
	s_wait_loadcnt 0x0
	s_delay_alu instid0(VALU_DEP_2) | instskip(NEXT) | instid1(VALU_DEP_2)
	v_add_f64_e64 v[1:2], v[40:41], -v[1:2]
	v_add_f64_e64 v[3:4], v[42:43], -v[3:4]
	scratch_store_b128 off, v[1:4], off offset:32
	v_cmpx_lt_u32_e32 1, v27
	s_cbranch_execz .LBB70_53
; %bb.52:
	scratch_load_b128 v[1:4], off, s16
	v_mov_b32_e32 v6, 0
	s_delay_alu instid0(VALU_DEP_1)
	v_dual_mov_b32 v7, v6 :: v_dual_mov_b32 v8, v6
	v_mov_b32_e32 v9, v6
	scratch_store_b128 off, v[6:9], off offset:16
	s_wait_loadcnt 0x0
	ds_store_b128 v5, v[1:4]
.LBB70_53:
	s_wait_alu 0xfffe
	s_or_b32 exec_lo, exec_lo, s2
	s_wait_storecnt_dscnt 0x0
	s_barrier_signal -1
	s_barrier_wait -1
	global_inv scope:SCOPE_SE
	s_clause 0x5
	scratch_load_b128 v[6:9], off, off offset:32
	scratch_load_b128 v[28:31], off, off offset:48
	;; [unrolled: 1-line block ×6, first 2 shown]
	v_mov_b32_e32 v1, 0
	ds_load_b128 v[48:51], v1 offset:144
	ds_load_b128 v[52:55], v1 offset:160
	s_mov_b32 s2, exec_lo
	s_wait_loadcnt_dscnt 0x501
	v_mul_f64_e32 v[2:3], v[50:51], v[8:9]
	v_mul_f64_e32 v[8:9], v[48:49], v[8:9]
	s_wait_loadcnt_dscnt 0x400
	v_mul_f64_e32 v[10:11], v[52:53], v[30:31]
	v_mul_f64_e32 v[30:31], v[54:55], v[30:31]
	s_delay_alu instid0(VALU_DEP_4) | instskip(NEXT) | instid1(VALU_DEP_4)
	v_fma_f64 v[2:3], v[48:49], v[6:7], -v[2:3]
	v_fma_f64 v[56:57], v[50:51], v[6:7], v[8:9]
	ds_load_b128 v[6:9], v1 offset:176
	ds_load_b128 v[48:51], v1 offset:192
	v_fma_f64 v[10:11], v[54:55], v[28:29], v[10:11]
	v_fma_f64 v[28:29], v[52:53], v[28:29], -v[30:31]
	s_wait_loadcnt_dscnt 0x301
	v_mul_f64_e32 v[58:59], v[6:7], v[34:35]
	v_mul_f64_e32 v[34:35], v[8:9], v[34:35]
	s_wait_loadcnt_dscnt 0x200
	v_mul_f64_e32 v[52:53], v[48:49], v[38:39]
	v_mul_f64_e32 v[38:39], v[50:51], v[38:39]
	v_add_f64_e32 v[2:3], 0, v[2:3]
	v_add_f64_e32 v[30:31], 0, v[56:57]
	v_fma_f64 v[54:55], v[8:9], v[32:33], v[58:59]
	v_fma_f64 v[32:33], v[6:7], v[32:33], -v[34:35]
	ds_load_b128 v[6:9], v1 offset:208
	v_fma_f64 v[34:35], v[50:51], v[36:37], v[52:53]
	v_fma_f64 v[36:37], v[48:49], v[36:37], -v[38:39]
	v_add_f64_e32 v[2:3], v[2:3], v[28:29]
	v_add_f64_e32 v[10:11], v[30:31], v[10:11]
	s_wait_loadcnt_dscnt 0x100
	v_mul_f64_e32 v[28:29], v[6:7], v[42:43]
	v_mul_f64_e32 v[30:31], v[8:9], v[42:43]
	s_delay_alu instid0(VALU_DEP_4) | instskip(NEXT) | instid1(VALU_DEP_4)
	v_add_f64_e32 v[2:3], v[2:3], v[32:33]
	v_add_f64_e32 v[10:11], v[10:11], v[54:55]
	s_delay_alu instid0(VALU_DEP_4) | instskip(NEXT) | instid1(VALU_DEP_4)
	v_fma_f64 v[8:9], v[8:9], v[40:41], v[28:29]
	v_fma_f64 v[6:7], v[6:7], v[40:41], -v[30:31]
	s_delay_alu instid0(VALU_DEP_4) | instskip(NEXT) | instid1(VALU_DEP_4)
	v_add_f64_e32 v[2:3], v[2:3], v[36:37]
	v_add_f64_e32 v[10:11], v[10:11], v[34:35]
	s_delay_alu instid0(VALU_DEP_2) | instskip(NEXT) | instid1(VALU_DEP_2)
	v_add_f64_e32 v[2:3], v[2:3], v[6:7]
	v_add_f64_e32 v[8:9], v[10:11], v[8:9]
	s_wait_loadcnt 0x0
	s_delay_alu instid0(VALU_DEP_2) | instskip(NEXT) | instid1(VALU_DEP_2)
	v_add_f64_e64 v[6:7], v[44:45], -v[2:3]
	v_add_f64_e64 v[8:9], v[46:47], -v[8:9]
	scratch_store_b128 off, v[6:9], off offset:16
	v_cmpx_ne_u32_e32 0, v27
	s_cbranch_execz .LBB70_55
; %bb.54:
	scratch_load_b128 v[6:9], off, off
	v_dual_mov_b32 v2, v1 :: v_dual_mov_b32 v3, v1
	v_mov_b32_e32 v4, v1
	scratch_store_b128 off, v[1:4], off
	s_wait_loadcnt 0x0
	ds_store_b128 v5, v[6:9]
.LBB70_55:
	s_wait_alu 0xfffe
	s_or_b32 exec_lo, exec_lo, s2
	s_wait_storecnt_dscnt 0x0
	s_barrier_signal -1
	s_barrier_wait -1
	global_inv scope:SCOPE_SE
	s_clause 0x5
	scratch_load_b128 v[2:5], off, off offset:16
	scratch_load_b128 v[6:9], off, off offset:32
	;; [unrolled: 1-line block ×6, first 2 shown]
	ds_load_b128 v[44:47], v1 offset:128
	ds_load_b128 v[52:55], v1 offset:144
	scratch_load_b128 v[48:51], off, off
	s_and_b32 vcc_lo, exec_lo, s14
	s_wait_loadcnt_dscnt 0x601
	v_mul_f64_e32 v[10:11], v[46:47], v[4:5]
	v_mul_f64_e32 v[4:5], v[44:45], v[4:5]
	s_wait_loadcnt_dscnt 0x500
	v_mul_f64_e32 v[56:57], v[52:53], v[8:9]
	v_mul_f64_e32 v[58:59], v[54:55], v[8:9]
	s_delay_alu instid0(VALU_DEP_4) | instskip(NEXT) | instid1(VALU_DEP_4)
	v_fma_f64 v[44:45], v[44:45], v[2:3], -v[10:11]
	v_fma_f64 v[46:47], v[46:47], v[2:3], v[4:5]
	ds_load_b128 v[2:5], v1 offset:160
	ds_load_b128 v[8:11], v1 offset:176
	v_fma_f64 v[54:55], v[54:55], v[6:7], v[56:57]
	v_fma_f64 v[6:7], v[52:53], v[6:7], -v[58:59]
	s_wait_loadcnt_dscnt 0x401
	v_mul_f64_e32 v[60:61], v[2:3], v[30:31]
	v_mul_f64_e32 v[30:31], v[4:5], v[30:31]
	s_wait_loadcnt_dscnt 0x300
	v_mul_f64_e32 v[52:53], v[8:9], v[34:35]
	v_mul_f64_e32 v[34:35], v[10:11], v[34:35]
	v_add_f64_e32 v[44:45], 0, v[44:45]
	v_add_f64_e32 v[46:47], 0, v[46:47]
	v_fma_f64 v[56:57], v[4:5], v[28:29], v[60:61]
	v_fma_f64 v[58:59], v[2:3], v[28:29], -v[30:31]
	ds_load_b128 v[2:5], v1 offset:192
	ds_load_b128 v[28:31], v1 offset:208
	v_fma_f64 v[10:11], v[10:11], v[32:33], v[52:53]
	v_fma_f64 v[8:9], v[8:9], v[32:33], -v[34:35]
	v_add_f64_e32 v[6:7], v[44:45], v[6:7]
	v_add_f64_e32 v[44:45], v[46:47], v[54:55]
	s_wait_loadcnt_dscnt 0x201
	v_mul_f64_e32 v[46:47], v[2:3], v[38:39]
	v_mul_f64_e32 v[38:39], v[4:5], v[38:39]
	s_wait_loadcnt_dscnt 0x100
	v_mul_f64_e32 v[34:35], v[28:29], v[42:43]
	v_mul_f64_e32 v[42:43], v[30:31], v[42:43]
	v_add_f64_e32 v[6:7], v[6:7], v[58:59]
	v_add_f64_e32 v[32:33], v[44:45], v[56:57]
	v_fma_f64 v[4:5], v[4:5], v[36:37], v[46:47]
	v_fma_f64 v[1:2], v[2:3], v[36:37], -v[38:39]
	v_fma_f64 v[28:29], v[28:29], v[40:41], -v[42:43]
	v_add_f64_e32 v[6:7], v[6:7], v[8:9]
	v_add_f64_e32 v[8:9], v[32:33], v[10:11]
	v_fma_f64 v[10:11], v[30:31], v[40:41], v[34:35]
	s_delay_alu instid0(VALU_DEP_3) | instskip(NEXT) | instid1(VALU_DEP_3)
	v_add_f64_e32 v[1:2], v[6:7], v[1:2]
	v_add_f64_e32 v[3:4], v[8:9], v[4:5]
	s_delay_alu instid0(VALU_DEP_2) | instskip(NEXT) | instid1(VALU_DEP_2)
	v_add_f64_e32 v[1:2], v[1:2], v[28:29]
	v_add_f64_e32 v[3:4], v[3:4], v[10:11]
	s_wait_loadcnt 0x0
	s_delay_alu instid0(VALU_DEP_2) | instskip(NEXT) | instid1(VALU_DEP_2)
	v_add_f64_e64 v[1:2], v[48:49], -v[1:2]
	v_add_f64_e64 v[3:4], v[50:51], -v[3:4]
	scratch_store_b128 off, v[1:4], off
	s_wait_alu 0xfffe
	s_cbranch_vccz .LBB70_68
; %bb.56:
	v_mov_b32_e32 v1, 0
	s_load_b64 s[0:1], s[0:1], 0x4
	v_bfe_u32 v3, v0, 10, 10
	v_bfe_u32 v0, v0, 20, 10
	global_load_b32 v2, v1, s[8:9] offset:20
	s_wait_kmcnt 0x0
	s_lshr_b32 s0, s0, 16
	v_mul_u32_u24_e32 v3, s1, v3
	s_mul_i32 s0, s0, s1
	s_wait_alu 0xfffe
	v_mul_u32_u24_e32 v4, s0, v27
	s_delay_alu instid0(VALU_DEP_1) | instskip(NEXT) | instid1(VALU_DEP_1)
	v_add3_u32 v0, v4, v3, v0
	v_lshl_add_u32 v0, v0, 4, 0xe8
	s_wait_loadcnt 0x0
	v_cmp_ne_u32_e32 vcc_lo, 6, v2
	s_cbranch_vccz .LBB70_58
; %bb.57:
	v_lshlrev_b32_e32 v2, 4, v2
	s_delay_alu instid0(VALU_DEP_1)
	v_mov_b32_e32 v10, v2
	s_clause 0x1
	scratch_load_b128 v[2:5], off, s13
	scratch_load_b128 v[6:9], v10, off offset:-16
	s_wait_loadcnt 0x1
	ds_store_2addr_b64 v0, v[2:3], v[4:5] offset1:1
	s_wait_loadcnt 0x0
	s_clause 0x1
	scratch_store_b128 off, v[6:9], s13
	scratch_store_b128 v10, v[2:5], off offset:-16
.LBB70_58:
	global_load_b32 v1, v1, s[8:9] offset:16
	s_wait_loadcnt 0x0
	v_cmp_eq_u32_e32 vcc_lo, 5, v1
	s_cbranch_vccnz .LBB70_60
; %bb.59:
	v_lshlrev_b32_e32 v1, 4, v1
	s_delay_alu instid0(VALU_DEP_1)
	v_mov_b32_e32 v9, v1
	s_clause 0x1
	scratch_load_b128 v[1:4], off, s4
	scratch_load_b128 v[5:8], v9, off offset:-16
	s_wait_loadcnt 0x1
	ds_store_2addr_b64 v0, v[1:2], v[3:4] offset1:1
	s_wait_loadcnt 0x0
	s_clause 0x1
	scratch_store_b128 off, v[5:8], s4
	scratch_store_b128 v9, v[1:4], off offset:-16
.LBB70_60:
	v_mov_b32_e32 v1, 0
	global_load_b32 v2, v1, s[8:9] offset:12
	s_wait_loadcnt 0x0
	v_cmp_eq_u32_e32 vcc_lo, 4, v2
	s_cbranch_vccnz .LBB70_62
; %bb.61:
	v_lshlrev_b32_e32 v2, 4, v2
	s_delay_alu instid0(VALU_DEP_1)
	v_mov_b32_e32 v10, v2
	s_clause 0x1
	scratch_load_b128 v[2:5], off, s12
	scratch_load_b128 v[6:9], v10, off offset:-16
	s_wait_loadcnt 0x1
	ds_store_2addr_b64 v0, v[2:3], v[4:5] offset1:1
	s_wait_loadcnt 0x0
	s_clause 0x1
	scratch_store_b128 off, v[6:9], s12
	scratch_store_b128 v10, v[2:5], off offset:-16
.LBB70_62:
	global_load_b32 v1, v1, s[8:9] offset:8
	s_wait_loadcnt 0x0
	v_cmp_eq_u32_e32 vcc_lo, 3, v1
	s_cbranch_vccnz .LBB70_64
; %bb.63:
	v_lshlrev_b32_e32 v1, 4, v1
	s_delay_alu instid0(VALU_DEP_1)
	v_mov_b32_e32 v9, v1
	s_clause 0x1
	scratch_load_b128 v[1:4], off, s15
	scratch_load_b128 v[5:8], v9, off offset:-16
	s_wait_loadcnt 0x1
	ds_store_2addr_b64 v0, v[1:2], v[3:4] offset1:1
	s_wait_loadcnt 0x0
	s_clause 0x1
	scratch_store_b128 off, v[5:8], s15
	scratch_store_b128 v9, v[1:4], off offset:-16
.LBB70_64:
	v_mov_b32_e32 v1, 0
	global_load_b32 v2, v1, s[8:9] offset:4
	s_wait_loadcnt 0x0
	v_cmp_eq_u32_e32 vcc_lo, 2, v2
	s_cbranch_vccnz .LBB70_66
; %bb.65:
	v_lshlrev_b32_e32 v2, 4, v2
	s_delay_alu instid0(VALU_DEP_1)
	v_mov_b32_e32 v10, v2
	s_clause 0x1
	scratch_load_b128 v[2:5], off, s16
	scratch_load_b128 v[6:9], v10, off offset:-16
	s_wait_loadcnt 0x1
	ds_store_2addr_b64 v0, v[2:3], v[4:5] offset1:1
	s_wait_loadcnt 0x0
	s_clause 0x1
	scratch_store_b128 off, v[6:9], s16
	scratch_store_b128 v10, v[2:5], off offset:-16
.LBB70_66:
	global_load_b32 v1, v1, s[8:9]
	s_wait_loadcnt 0x0
	v_cmp_eq_u32_e32 vcc_lo, 1, v1
	s_cbranch_vccnz .LBB70_68
; %bb.67:
	v_lshlrev_b32_e32 v1, 4, v1
	s_delay_alu instid0(VALU_DEP_1)
	v_mov_b32_e32 v9, v1
	scratch_load_b128 v[1:4], off, off
	scratch_load_b128 v[5:8], v9, off offset:-16
	s_wait_loadcnt 0x1
	ds_store_2addr_b64 v0, v[1:2], v[3:4] offset1:1
	s_wait_loadcnt 0x0
	scratch_store_b128 off, v[5:8], off
	scratch_store_b128 v9, v[1:4], off offset:-16
.LBB70_68:
	scratch_load_b128 v[0:3], off, off
	s_wait_loadcnt 0x0
	flat_store_b128 v[13:14], v[0:3]
	scratch_load_b128 v[0:3], off, s16
	s_wait_loadcnt 0x0
	flat_store_b128 v[15:16], v[0:3]
	scratch_load_b128 v[0:3], off, s15
	;; [unrolled: 3-line block ×6, first 2 shown]
	s_wait_loadcnt 0x0
	flat_store_b128 v[25:26], v[0:3]
	s_endpgm
	.section	.rodata,"a",@progbits
	.p2align	6, 0x0
	.amdhsa_kernel _ZN9rocsolver6v33100L18getri_kernel_smallILi7E19rocblas_complex_numIdEPKPS3_EEvT1_iilPiilS8_bb
		.amdhsa_group_segment_fixed_size 1256
		.amdhsa_private_segment_fixed_size 128
		.amdhsa_kernarg_size 60
		.amdhsa_user_sgpr_count 4
		.amdhsa_user_sgpr_dispatch_ptr 1
		.amdhsa_user_sgpr_queue_ptr 0
		.amdhsa_user_sgpr_kernarg_segment_ptr 1
		.amdhsa_user_sgpr_dispatch_id 0
		.amdhsa_user_sgpr_private_segment_size 0
		.amdhsa_wavefront_size32 1
		.amdhsa_uses_dynamic_stack 0
		.amdhsa_enable_private_segment 1
		.amdhsa_system_sgpr_workgroup_id_x 1
		.amdhsa_system_sgpr_workgroup_id_y 0
		.amdhsa_system_sgpr_workgroup_id_z 0
		.amdhsa_system_sgpr_workgroup_info 0
		.amdhsa_system_vgpr_workitem_id 2
		.amdhsa_next_free_vgpr 62
		.amdhsa_next_free_sgpr 20
		.amdhsa_reserve_vcc 1
		.amdhsa_float_round_mode_32 0
		.amdhsa_float_round_mode_16_64 0
		.amdhsa_float_denorm_mode_32 3
		.amdhsa_float_denorm_mode_16_64 3
		.amdhsa_fp16_overflow 0
		.amdhsa_workgroup_processor_mode 1
		.amdhsa_memory_ordered 1
		.amdhsa_forward_progress 1
		.amdhsa_inst_pref_size 51
		.amdhsa_round_robin_scheduling 0
		.amdhsa_exception_fp_ieee_invalid_op 0
		.amdhsa_exception_fp_denorm_src 0
		.amdhsa_exception_fp_ieee_div_zero 0
		.amdhsa_exception_fp_ieee_overflow 0
		.amdhsa_exception_fp_ieee_underflow 0
		.amdhsa_exception_fp_ieee_inexact 0
		.amdhsa_exception_int_div_zero 0
	.end_amdhsa_kernel
	.section	.text._ZN9rocsolver6v33100L18getri_kernel_smallILi7E19rocblas_complex_numIdEPKPS3_EEvT1_iilPiilS8_bb,"axG",@progbits,_ZN9rocsolver6v33100L18getri_kernel_smallILi7E19rocblas_complex_numIdEPKPS3_EEvT1_iilPiilS8_bb,comdat
.Lfunc_end70:
	.size	_ZN9rocsolver6v33100L18getri_kernel_smallILi7E19rocblas_complex_numIdEPKPS3_EEvT1_iilPiilS8_bb, .Lfunc_end70-_ZN9rocsolver6v33100L18getri_kernel_smallILi7E19rocblas_complex_numIdEPKPS3_EEvT1_iilPiilS8_bb
                                        ; -- End function
	.set _ZN9rocsolver6v33100L18getri_kernel_smallILi7E19rocblas_complex_numIdEPKPS3_EEvT1_iilPiilS8_bb.num_vgpr, 62
	.set _ZN9rocsolver6v33100L18getri_kernel_smallILi7E19rocblas_complex_numIdEPKPS3_EEvT1_iilPiilS8_bb.num_agpr, 0
	.set _ZN9rocsolver6v33100L18getri_kernel_smallILi7E19rocblas_complex_numIdEPKPS3_EEvT1_iilPiilS8_bb.numbered_sgpr, 20
	.set _ZN9rocsolver6v33100L18getri_kernel_smallILi7E19rocblas_complex_numIdEPKPS3_EEvT1_iilPiilS8_bb.num_named_barrier, 0
	.set _ZN9rocsolver6v33100L18getri_kernel_smallILi7E19rocblas_complex_numIdEPKPS3_EEvT1_iilPiilS8_bb.private_seg_size, 128
	.set _ZN9rocsolver6v33100L18getri_kernel_smallILi7E19rocblas_complex_numIdEPKPS3_EEvT1_iilPiilS8_bb.uses_vcc, 1
	.set _ZN9rocsolver6v33100L18getri_kernel_smallILi7E19rocblas_complex_numIdEPKPS3_EEvT1_iilPiilS8_bb.uses_flat_scratch, 1
	.set _ZN9rocsolver6v33100L18getri_kernel_smallILi7E19rocblas_complex_numIdEPKPS3_EEvT1_iilPiilS8_bb.has_dyn_sized_stack, 0
	.set _ZN9rocsolver6v33100L18getri_kernel_smallILi7E19rocblas_complex_numIdEPKPS3_EEvT1_iilPiilS8_bb.has_recursion, 0
	.set _ZN9rocsolver6v33100L18getri_kernel_smallILi7E19rocblas_complex_numIdEPKPS3_EEvT1_iilPiilS8_bb.has_indirect_call, 0
	.section	.AMDGPU.csdata,"",@progbits
; Kernel info:
; codeLenInByte = 6456
; TotalNumSgprs: 22
; NumVgprs: 62
; ScratchSize: 128
; MemoryBound: 0
; FloatMode: 240
; IeeeMode: 1
; LDSByteSize: 1256 bytes/workgroup (compile time only)
; SGPRBlocks: 0
; VGPRBlocks: 7
; NumSGPRsForWavesPerEU: 22
; NumVGPRsForWavesPerEU: 62
; Occupancy: 16
; WaveLimiterHint : 1
; COMPUTE_PGM_RSRC2:SCRATCH_EN: 1
; COMPUTE_PGM_RSRC2:USER_SGPR: 4
; COMPUTE_PGM_RSRC2:TRAP_HANDLER: 0
; COMPUTE_PGM_RSRC2:TGID_X_EN: 1
; COMPUTE_PGM_RSRC2:TGID_Y_EN: 0
; COMPUTE_PGM_RSRC2:TGID_Z_EN: 0
; COMPUTE_PGM_RSRC2:TIDIG_COMP_CNT: 2
	.section	.text._ZN9rocsolver6v33100L18getri_kernel_smallILi8E19rocblas_complex_numIdEPKPS3_EEvT1_iilPiilS8_bb,"axG",@progbits,_ZN9rocsolver6v33100L18getri_kernel_smallILi8E19rocblas_complex_numIdEPKPS3_EEvT1_iilPiilS8_bb,comdat
	.globl	_ZN9rocsolver6v33100L18getri_kernel_smallILi8E19rocblas_complex_numIdEPKPS3_EEvT1_iilPiilS8_bb ; -- Begin function _ZN9rocsolver6v33100L18getri_kernel_smallILi8E19rocblas_complex_numIdEPKPS3_EEvT1_iilPiilS8_bb
	.p2align	8
	.type	_ZN9rocsolver6v33100L18getri_kernel_smallILi8E19rocblas_complex_numIdEPKPS3_EEvT1_iilPiilS8_bb,@function
_ZN9rocsolver6v33100L18getri_kernel_smallILi8E19rocblas_complex_numIdEPKPS3_EEvT1_iilPiilS8_bb: ; @_ZN9rocsolver6v33100L18getri_kernel_smallILi8E19rocblas_complex_numIdEPKPS3_EEvT1_iilPiilS8_bb
; %bb.0:
	v_and_b32_e32 v29, 0x3ff, v0
	s_mov_b32 s4, exec_lo
	s_delay_alu instid0(VALU_DEP_1)
	v_cmpx_gt_u32_e32 8, v29
	s_cbranch_execz .LBB71_46
; %bb.1:
	s_clause 0x1
	s_load_b32 s15, s[2:3], 0x38
	s_load_b64 s[8:9], s[2:3], 0x0
	s_mov_b32 s10, ttmp9
	s_load_b128 s[4:7], s[2:3], 0x28
	s_wait_kmcnt 0x0
	s_bitcmp1_b32 s15, 8
	s_cselect_b32 s14, -1, 0
	s_ashr_i32 s11, ttmp9, 31
	s_delay_alu instid0(SALU_CYCLE_1) | instskip(NEXT) | instid1(SALU_CYCLE_1)
	s_lshl_b64 s[12:13], s[10:11], 3
	s_add_nc_u64 s[8:9], s[8:9], s[12:13]
	s_load_b64 s[12:13], s[8:9], 0x0
	s_bfe_u32 s8, s15, 0x10008
	s_delay_alu instid0(SALU_CYCLE_1)
	s_cmp_eq_u32 s8, 0
                                        ; implicit-def: $sgpr8_sgpr9
	s_cbranch_scc1 .LBB71_3
; %bb.2:
	s_load_b96 s[16:18], s[2:3], 0x18
	s_mul_u64 s[4:5], s[4:5], s[10:11]
	s_delay_alu instid0(SALU_CYCLE_1)
	s_lshl_b64 s[4:5], s[4:5], 2
	s_wait_kmcnt 0x0
	s_ashr_i32 s9, s18, 31
	s_mov_b32 s8, s18
	s_add_nc_u64 s[4:5], s[16:17], s[4:5]
	s_lshl_b64 s[8:9], s[8:9], 2
	s_delay_alu instid0(SALU_CYCLE_1)
	s_add_nc_u64 s[8:9], s[4:5], s[8:9]
.LBB71_3:
	s_clause 0x1
	s_load_b64 s[4:5], s[2:3], 0x8
	s_load_b32 s18, s[2:3], 0x38
	v_lshlrev_b32_e32 v30, 4, v29
	s_mov_b32 s17, 16
	s_mov_b32 s16, 32
	s_movk_i32 s15, 0x60
	s_wait_kmcnt 0x0
	s_ashr_i32 s3, s4, 31
	s_mov_b32 s2, s4
	v_add3_u32 v5, s5, s5, v29
	s_lshl_b64 s[2:3], s[2:3], 4
	s_delay_alu instid0(SALU_CYCLE_1)
	s_add_nc_u64 s[2:3], s[12:13], s[2:3]
	s_ashr_i32 s13, s5, 31
	v_add_co_u32 v13, s4, s2, v30
	s_wait_alu 0xf1ff
	v_add_co_ci_u32_e64 v14, null, s3, 0, s4
	s_mov_b32 s12, s5
	v_ashrrev_i32_e32 v6, 31, v5
	s_lshl_b64 s[12:13], s[12:13], 4
	flat_load_b128 v[1:4], v[13:14]
	v_add_co_u32 v15, vcc_lo, v13, s12
	s_delay_alu instid0(VALU_DEP_1)
	v_add_co_ci_u32_e64 v16, null, s13, v14, vcc_lo
	v_lshlrev_b64_e32 v[6:7], 4, v[5:6]
	v_add_nc_u32_e32 v5, s5, v5
	s_mov_b32 s12, 48
	s_movk_i32 s4, 0x50
	s_mov_b32 s13, 64
	s_bitcmp0_b32 s18, 0
	v_add_co_u32 v17, vcc_lo, s2, v6
	s_wait_alu 0xfffd
	v_add_co_ci_u32_e64 v18, null, s3, v7, vcc_lo
	v_ashrrev_i32_e32 v6, 31, v5
	s_delay_alu instid0(VALU_DEP_1) | instskip(SKIP_1) | instid1(VALU_DEP_2)
	v_lshlrev_b64_e32 v[6:7], 4, v[5:6]
	v_add_nc_u32_e32 v5, s5, v5
	v_add_co_u32 v19, vcc_lo, s2, v6
	s_wait_alu 0xfffd
	s_delay_alu instid0(VALU_DEP_3) | instskip(NEXT) | instid1(VALU_DEP_3)
	v_add_co_ci_u32_e64 v20, null, s3, v7, vcc_lo
	v_ashrrev_i32_e32 v6, 31, v5
	s_delay_alu instid0(VALU_DEP_1) | instskip(SKIP_1) | instid1(VALU_DEP_2)
	v_lshlrev_b64_e32 v[6:7], 4, v[5:6]
	v_add_nc_u32_e32 v5, s5, v5
	v_add_co_u32 v21, vcc_lo, s2, v6
	s_wait_alu 0xfffd
	s_delay_alu instid0(VALU_DEP_3) | instskip(NEXT) | instid1(VALU_DEP_3)
	v_add_co_ci_u32_e64 v22, null, s3, v7, vcc_lo
	v_ashrrev_i32_e32 v6, 31, v5
	s_delay_alu instid0(VALU_DEP_1) | instskip(SKIP_1) | instid1(VALU_DEP_2)
	v_lshlrev_b64_e32 v[6:7], 4, v[5:6]
	v_add_nc_u32_e32 v5, s5, v5
	v_add_co_u32 v23, vcc_lo, s2, v6
	s_wait_alu 0xfffd
	s_delay_alu instid0(VALU_DEP_3) | instskip(NEXT) | instid1(VALU_DEP_3)
	v_add_co_ci_u32_e64 v24, null, s3, v7, vcc_lo
	v_ashrrev_i32_e32 v6, 31, v5
	s_delay_alu instid0(VALU_DEP_1) | instskip(SKIP_2) | instid1(VALU_DEP_2)
	v_lshlrev_b64_e32 v[6:7], 4, v[5:6]
	v_add_nc_u32_e32 v5, s5, v5
	s_movk_i32 s5, 0x70
	v_add_co_u32 v25, vcc_lo, s2, v6
	s_wait_alu 0xfffd
	s_delay_alu instid0(VALU_DEP_3) | instskip(SKIP_1) | instid1(VALU_DEP_1)
	v_add_co_ci_u32_e64 v26, null, s3, v7, vcc_lo
	v_ashrrev_i32_e32 v6, 31, v5
	v_lshlrev_b64_e32 v[5:6], 4, v[5:6]
	s_delay_alu instid0(VALU_DEP_1) | instskip(SKIP_1) | instid1(VALU_DEP_2)
	v_add_co_u32 v27, vcc_lo, s2, v5
	s_wait_alu 0xfffd
	v_add_co_ci_u32_e64 v28, null, s3, v6, vcc_lo
	s_mov_b32 s3, -1
	s_wait_loadcnt_dscnt 0x0
	scratch_store_b128 off, v[1:4], off
	flat_load_b128 v[1:4], v[15:16]
	s_wait_loadcnt_dscnt 0x0
	scratch_store_b128 off, v[1:4], off offset:16
	flat_load_b128 v[1:4], v[17:18]
	s_wait_loadcnt_dscnt 0x0
	scratch_store_b128 off, v[1:4], off offset:32
	;; [unrolled: 3-line block ×7, first 2 shown]
	s_cbranch_scc1 .LBB71_44
; %bb.4:
	v_cmp_eq_u32_e64 s2, 0, v29
	s_and_saveexec_b32 s3, s2
; %bb.5:
	v_mov_b32_e32 v1, 0
	ds_store_b32 v1, v1 offset:256
; %bb.6:
	s_wait_alu 0xfffe
	s_or_b32 exec_lo, exec_lo, s3
	s_wait_storecnt_dscnt 0x0
	s_barrier_signal -1
	s_barrier_wait -1
	global_inv scope:SCOPE_SE
	scratch_load_b128 v[1:4], v30, off
	s_wait_loadcnt 0x0
	v_cmp_eq_f64_e32 vcc_lo, 0, v[1:2]
	v_cmp_eq_f64_e64 s3, 0, v[3:4]
	s_and_b32 s3, vcc_lo, s3
	s_wait_alu 0xfffe
	s_and_saveexec_b32 s18, s3
	s_cbranch_execz .LBB71_10
; %bb.7:
	v_mov_b32_e32 v1, 0
	s_mov_b32 s19, 0
	ds_load_b32 v2, v1 offset:256
	s_wait_dscnt 0x0
	v_readfirstlane_b32 s3, v2
	v_add_nc_u32_e32 v2, 1, v29
	s_cmp_eq_u32 s3, 0
	s_delay_alu instid0(VALU_DEP_1) | instskip(SKIP_1) | instid1(SALU_CYCLE_1)
	v_cmp_gt_i32_e32 vcc_lo, s3, v2
	s_cselect_b32 s20, -1, 0
	s_or_b32 s20, s20, vcc_lo
	s_delay_alu instid0(SALU_CYCLE_1)
	s_and_b32 exec_lo, exec_lo, s20
	s_cbranch_execz .LBB71_10
; %bb.8:
	v_mov_b32_e32 v3, s3
.LBB71_9:                               ; =>This Inner Loop Header: Depth=1
	ds_cmpstore_rtn_b32 v3, v1, v2, v3 offset:256
	s_wait_dscnt 0x0
	v_cmp_ne_u32_e32 vcc_lo, 0, v3
	v_cmp_le_i32_e64 s3, v3, v2
	s_and_b32 s3, vcc_lo, s3
	s_wait_alu 0xfffe
	s_and_b32 s3, exec_lo, s3
	s_wait_alu 0xfffe
	s_or_b32 s19, s3, s19
	s_delay_alu instid0(SALU_CYCLE_1)
	s_and_not1_b32 exec_lo, exec_lo, s19
	s_cbranch_execnz .LBB71_9
.LBB71_10:
	s_or_b32 exec_lo, exec_lo, s18
	v_mov_b32_e32 v1, 0
	s_barrier_signal -1
	s_barrier_wait -1
	global_inv scope:SCOPE_SE
	ds_load_b32 v2, v1 offset:256
	s_and_saveexec_b32 s3, s2
	s_cbranch_execz .LBB71_12
; %bb.11:
	s_lshl_b64 s[18:19], s[10:11], 2
	s_delay_alu instid0(SALU_CYCLE_1)
	s_add_nc_u64 s[18:19], s[6:7], s[18:19]
	s_wait_dscnt 0x0
	global_store_b32 v1, v2, s[18:19]
.LBB71_12:
	s_wait_alu 0xfffe
	s_or_b32 exec_lo, exec_lo, s3
	s_wait_dscnt 0x0
	v_cmp_ne_u32_e32 vcc_lo, 0, v2
	s_mov_b32 s3, 0
	s_cbranch_vccnz .LBB71_44
; %bb.13:
	v_mov_b32_e32 v31, v30
                                        ; implicit-def: $vgpr1_vgpr2
                                        ; implicit-def: $vgpr9_vgpr10
	scratch_load_b128 v[5:8], v31, off
	s_wait_loadcnt 0x0
	v_cmp_ngt_f64_e64 s3, |v[5:6]|, |v[7:8]|
	s_wait_alu 0xfffe
	s_and_saveexec_b32 s18, s3
	s_delay_alu instid0(SALU_CYCLE_1)
	s_xor_b32 s3, exec_lo, s18
	s_cbranch_execz .LBB71_15
; %bb.14:
	v_div_scale_f64 v[1:2], null, v[7:8], v[7:8], v[5:6]
	v_div_scale_f64 v[11:12], vcc_lo, v[5:6], v[7:8], v[5:6]
	s_delay_alu instid0(VALU_DEP_2) | instskip(NEXT) | instid1(TRANS32_DEP_1)
	v_rcp_f64_e32 v[3:4], v[1:2]
	v_fma_f64 v[9:10], -v[1:2], v[3:4], 1.0
	s_delay_alu instid0(VALU_DEP_1) | instskip(NEXT) | instid1(VALU_DEP_1)
	v_fma_f64 v[3:4], v[3:4], v[9:10], v[3:4]
	v_fma_f64 v[9:10], -v[1:2], v[3:4], 1.0
	s_delay_alu instid0(VALU_DEP_1) | instskip(NEXT) | instid1(VALU_DEP_1)
	v_fma_f64 v[3:4], v[3:4], v[9:10], v[3:4]
	v_mul_f64_e32 v[9:10], v[11:12], v[3:4]
	s_delay_alu instid0(VALU_DEP_1) | instskip(SKIP_1) | instid1(VALU_DEP_1)
	v_fma_f64 v[1:2], -v[1:2], v[9:10], v[11:12]
	s_wait_alu 0xfffd
	v_div_fmas_f64 v[1:2], v[1:2], v[3:4], v[9:10]
	s_delay_alu instid0(VALU_DEP_1) | instskip(NEXT) | instid1(VALU_DEP_1)
	v_div_fixup_f64 v[1:2], v[1:2], v[7:8], v[5:6]
	v_fma_f64 v[3:4], v[5:6], v[1:2], v[7:8]
	s_delay_alu instid0(VALU_DEP_1) | instskip(SKIP_1) | instid1(VALU_DEP_2)
	v_div_scale_f64 v[5:6], null, v[3:4], v[3:4], 1.0
	v_div_scale_f64 v[11:12], vcc_lo, 1.0, v[3:4], 1.0
	v_rcp_f64_e32 v[7:8], v[5:6]
	s_delay_alu instid0(TRANS32_DEP_1) | instskip(NEXT) | instid1(VALU_DEP_1)
	v_fma_f64 v[9:10], -v[5:6], v[7:8], 1.0
	v_fma_f64 v[7:8], v[7:8], v[9:10], v[7:8]
	s_delay_alu instid0(VALU_DEP_1) | instskip(NEXT) | instid1(VALU_DEP_1)
	v_fma_f64 v[9:10], -v[5:6], v[7:8], 1.0
	v_fma_f64 v[7:8], v[7:8], v[9:10], v[7:8]
	s_delay_alu instid0(VALU_DEP_1) | instskip(NEXT) | instid1(VALU_DEP_1)
	v_mul_f64_e32 v[9:10], v[11:12], v[7:8]
	v_fma_f64 v[5:6], -v[5:6], v[9:10], v[11:12]
	s_wait_alu 0xfffd
	s_delay_alu instid0(VALU_DEP_1) | instskip(NEXT) | instid1(VALU_DEP_1)
	v_div_fmas_f64 v[5:6], v[5:6], v[7:8], v[9:10]
	v_div_fixup_f64 v[3:4], v[5:6], v[3:4], 1.0
                                        ; implicit-def: $vgpr5_vgpr6
	s_delay_alu instid0(VALU_DEP_1) | instskip(SKIP_1) | instid1(VALU_DEP_2)
	v_mul_f64_e32 v[1:2], v[1:2], v[3:4]
	v_xor_b32_e32 v4, 0x80000000, v4
	v_xor_b32_e32 v10, 0x80000000, v2
	s_delay_alu instid0(VALU_DEP_3)
	v_mov_b32_e32 v9, v1
.LBB71_15:
	s_wait_alu 0xfffe
	s_and_not1_saveexec_b32 s3, s3
	s_cbranch_execz .LBB71_17
; %bb.16:
	v_div_scale_f64 v[1:2], null, v[5:6], v[5:6], v[7:8]
	v_div_scale_f64 v[11:12], vcc_lo, v[7:8], v[5:6], v[7:8]
	s_delay_alu instid0(VALU_DEP_2) | instskip(NEXT) | instid1(TRANS32_DEP_1)
	v_rcp_f64_e32 v[3:4], v[1:2]
	v_fma_f64 v[9:10], -v[1:2], v[3:4], 1.0
	s_delay_alu instid0(VALU_DEP_1) | instskip(NEXT) | instid1(VALU_DEP_1)
	v_fma_f64 v[3:4], v[3:4], v[9:10], v[3:4]
	v_fma_f64 v[9:10], -v[1:2], v[3:4], 1.0
	s_delay_alu instid0(VALU_DEP_1) | instskip(NEXT) | instid1(VALU_DEP_1)
	v_fma_f64 v[3:4], v[3:4], v[9:10], v[3:4]
	v_mul_f64_e32 v[9:10], v[11:12], v[3:4]
	s_delay_alu instid0(VALU_DEP_1) | instskip(SKIP_1) | instid1(VALU_DEP_1)
	v_fma_f64 v[1:2], -v[1:2], v[9:10], v[11:12]
	s_wait_alu 0xfffd
	v_div_fmas_f64 v[1:2], v[1:2], v[3:4], v[9:10]
	s_delay_alu instid0(VALU_DEP_1) | instskip(NEXT) | instid1(VALU_DEP_1)
	v_div_fixup_f64 v[3:4], v[1:2], v[5:6], v[7:8]
	v_fma_f64 v[1:2], v[7:8], v[3:4], v[5:6]
	s_delay_alu instid0(VALU_DEP_1) | instskip(NEXT) | instid1(VALU_DEP_1)
	v_div_scale_f64 v[5:6], null, v[1:2], v[1:2], 1.0
	v_rcp_f64_e32 v[7:8], v[5:6]
	s_delay_alu instid0(TRANS32_DEP_1) | instskip(NEXT) | instid1(VALU_DEP_1)
	v_fma_f64 v[9:10], -v[5:6], v[7:8], 1.0
	v_fma_f64 v[7:8], v[7:8], v[9:10], v[7:8]
	s_delay_alu instid0(VALU_DEP_1) | instskip(NEXT) | instid1(VALU_DEP_1)
	v_fma_f64 v[9:10], -v[5:6], v[7:8], 1.0
	v_fma_f64 v[7:8], v[7:8], v[9:10], v[7:8]
	v_div_scale_f64 v[9:10], vcc_lo, 1.0, v[1:2], 1.0
	s_delay_alu instid0(VALU_DEP_1) | instskip(NEXT) | instid1(VALU_DEP_1)
	v_mul_f64_e32 v[11:12], v[9:10], v[7:8]
	v_fma_f64 v[5:6], -v[5:6], v[11:12], v[9:10]
	s_wait_alu 0xfffd
	s_delay_alu instid0(VALU_DEP_1) | instskip(NEXT) | instid1(VALU_DEP_1)
	v_div_fmas_f64 v[5:6], v[5:6], v[7:8], v[11:12]
	v_div_fixup_f64 v[1:2], v[5:6], v[1:2], 1.0
	s_delay_alu instid0(VALU_DEP_1)
	v_mul_f64_e64 v[3:4], v[3:4], -v[1:2]
	v_xor_b32_e32 v10, 0x80000000, v2
	v_mov_b32_e32 v9, v1
.LBB71_17:
	s_wait_alu 0xfffe
	s_or_b32 exec_lo, exec_lo, s3
	scratch_store_b128 v31, v[1:4], off
	scratch_load_b128 v[32:35], off, s17
	v_xor_b32_e32 v12, 0x80000000, v4
	v_mov_b32_e32 v11, v3
	v_add_nc_u32_e32 v5, 0x80, v30
	ds_store_b128 v30, v[9:12]
	s_wait_loadcnt 0x0
	ds_store_b128 v30, v[32:35] offset:128
	s_wait_storecnt_dscnt 0x0
	s_barrier_signal -1
	s_barrier_wait -1
	global_inv scope:SCOPE_SE
	s_and_saveexec_b32 s3, s2
	s_cbranch_execz .LBB71_19
; %bb.18:
	scratch_load_b128 v[1:4], v31, off
	ds_load_b128 v[6:9], v5
	v_mov_b32_e32 v10, 0
	ds_load_b128 v[32:35], v10 offset:16
	s_wait_loadcnt_dscnt 0x1
	v_mul_f64_e32 v[10:11], v[6:7], v[3:4]
	v_mul_f64_e32 v[3:4], v[8:9], v[3:4]
	s_delay_alu instid0(VALU_DEP_2) | instskip(NEXT) | instid1(VALU_DEP_2)
	v_fma_f64 v[8:9], v[8:9], v[1:2], v[10:11]
	v_fma_f64 v[1:2], v[6:7], v[1:2], -v[3:4]
	s_delay_alu instid0(VALU_DEP_2) | instskip(NEXT) | instid1(VALU_DEP_2)
	v_add_f64_e32 v[3:4], 0, v[8:9]
	v_add_f64_e32 v[1:2], 0, v[1:2]
	s_wait_dscnt 0x0
	s_delay_alu instid0(VALU_DEP_2) | instskip(NEXT) | instid1(VALU_DEP_2)
	v_mul_f64_e32 v[6:7], v[3:4], v[34:35]
	v_mul_f64_e32 v[8:9], v[1:2], v[34:35]
	s_delay_alu instid0(VALU_DEP_2) | instskip(NEXT) | instid1(VALU_DEP_2)
	v_fma_f64 v[1:2], v[1:2], v[32:33], -v[6:7]
	v_fma_f64 v[3:4], v[3:4], v[32:33], v[8:9]
	scratch_store_b128 off, v[1:4], off offset:16
.LBB71_19:
	s_wait_alu 0xfffe
	s_or_b32 exec_lo, exec_lo, s3
	s_wait_loadcnt 0x0
	s_wait_storecnt 0x0
	s_barrier_signal -1
	s_barrier_wait -1
	global_inv scope:SCOPE_SE
	scratch_load_b128 v[1:4], off, s16
	s_mov_b32 s3, exec_lo
	s_wait_loadcnt 0x0
	ds_store_b128 v5, v[1:4]
	s_wait_dscnt 0x0
	s_barrier_signal -1
	s_barrier_wait -1
	global_inv scope:SCOPE_SE
	v_cmpx_gt_u32_e32 2, v29
	s_cbranch_execz .LBB71_23
; %bb.20:
	scratch_load_b128 v[1:4], v31, off
	ds_load_b128 v[6:9], v5
	s_wait_loadcnt_dscnt 0x0
	v_mul_f64_e32 v[10:11], v[8:9], v[3:4]
	v_mul_f64_e32 v[3:4], v[6:7], v[3:4]
	s_delay_alu instid0(VALU_DEP_2) | instskip(NEXT) | instid1(VALU_DEP_2)
	v_fma_f64 v[6:7], v[6:7], v[1:2], -v[10:11]
	v_fma_f64 v[3:4], v[8:9], v[1:2], v[3:4]
	s_delay_alu instid0(VALU_DEP_2) | instskip(NEXT) | instid1(VALU_DEP_2)
	v_add_f64_e32 v[1:2], 0, v[6:7]
	v_add_f64_e32 v[3:4], 0, v[3:4]
	s_and_saveexec_b32 s18, s2
	s_cbranch_execz .LBB71_22
; %bb.21:
	scratch_load_b128 v[6:9], off, off offset:16
	v_mov_b32_e32 v10, 0
	ds_load_b128 v[32:35], v10 offset:144
	s_wait_loadcnt_dscnt 0x0
	v_mul_f64_e32 v[10:11], v[32:33], v[8:9]
	v_mul_f64_e32 v[8:9], v[34:35], v[8:9]
	s_delay_alu instid0(VALU_DEP_2) | instskip(NEXT) | instid1(VALU_DEP_2)
	v_fma_f64 v[10:11], v[34:35], v[6:7], v[10:11]
	v_fma_f64 v[6:7], v[32:33], v[6:7], -v[8:9]
	s_delay_alu instid0(VALU_DEP_2) | instskip(NEXT) | instid1(VALU_DEP_2)
	v_add_f64_e32 v[3:4], v[3:4], v[10:11]
	v_add_f64_e32 v[1:2], v[1:2], v[6:7]
.LBB71_22:
	s_or_b32 exec_lo, exec_lo, s18
	v_mov_b32_e32 v6, 0
	ds_load_b128 v[6:9], v6 offset:32
	s_wait_dscnt 0x0
	v_mul_f64_e32 v[10:11], v[3:4], v[8:9]
	v_mul_f64_e32 v[8:9], v[1:2], v[8:9]
	s_delay_alu instid0(VALU_DEP_2) | instskip(NEXT) | instid1(VALU_DEP_2)
	v_fma_f64 v[1:2], v[1:2], v[6:7], -v[10:11]
	v_fma_f64 v[3:4], v[3:4], v[6:7], v[8:9]
	scratch_store_b128 off, v[1:4], off offset:32
.LBB71_23:
	s_wait_alu 0xfffe
	s_or_b32 exec_lo, exec_lo, s3
	s_wait_loadcnt 0x0
	s_wait_storecnt 0x0
	s_barrier_signal -1
	s_barrier_wait -1
	global_inv scope:SCOPE_SE
	scratch_load_b128 v[1:4], off, s12
	v_add_nc_u32_e32 v6, -1, v29
	s_mov_b32 s2, exec_lo
	s_wait_loadcnt 0x0
	ds_store_b128 v5, v[1:4]
	s_wait_dscnt 0x0
	s_barrier_signal -1
	s_barrier_wait -1
	global_inv scope:SCOPE_SE
	v_cmpx_gt_u32_e32 3, v29
	s_cbranch_execz .LBB71_27
; %bb.24:
	v_dual_mov_b32 v1, 0 :: v_dual_add_nc_u32 v8, 0x80, v30
	v_mov_b32_e32 v3, 0
	v_dual_mov_b32 v2, 0 :: v_dual_add_nc_u32 v7, -1, v29
	v_mov_b32_e32 v4, 0
	v_or_b32_e32 v9, 8, v31
	s_mov_b32 s3, 0
.LBB71_25:                              ; =>This Inner Loop Header: Depth=1
	scratch_load_b128 v[32:35], v9, off offset:-8
	ds_load_b128 v[36:39], v8
	v_add_nc_u32_e32 v7, 1, v7
	v_add_nc_u32_e32 v8, 16, v8
	v_add_nc_u32_e32 v9, 16, v9
	s_delay_alu instid0(VALU_DEP_3)
	v_cmp_lt_u32_e32 vcc_lo, 1, v7
	s_wait_alu 0xfffe
	s_or_b32 s3, vcc_lo, s3
	s_wait_loadcnt_dscnt 0x0
	v_mul_f64_e32 v[10:11], v[38:39], v[34:35]
	v_mul_f64_e32 v[34:35], v[36:37], v[34:35]
	s_delay_alu instid0(VALU_DEP_2) | instskip(NEXT) | instid1(VALU_DEP_2)
	v_fma_f64 v[10:11], v[36:37], v[32:33], -v[10:11]
	v_fma_f64 v[32:33], v[38:39], v[32:33], v[34:35]
	s_delay_alu instid0(VALU_DEP_2) | instskip(NEXT) | instid1(VALU_DEP_2)
	v_add_f64_e32 v[3:4], v[3:4], v[10:11]
	v_add_f64_e32 v[1:2], v[1:2], v[32:33]
	s_wait_alu 0xfffe
	s_and_not1_b32 exec_lo, exec_lo, s3
	s_cbranch_execnz .LBB71_25
; %bb.26:
	s_or_b32 exec_lo, exec_lo, s3
	v_mov_b32_e32 v7, 0
	ds_load_b128 v[7:10], v7 offset:48
	s_wait_dscnt 0x0
	v_mul_f64_e32 v[11:12], v[1:2], v[9:10]
	v_mul_f64_e32 v[32:33], v[3:4], v[9:10]
	s_delay_alu instid0(VALU_DEP_2) | instskip(NEXT) | instid1(VALU_DEP_2)
	v_fma_f64 v[9:10], v[3:4], v[7:8], -v[11:12]
	v_fma_f64 v[11:12], v[1:2], v[7:8], v[32:33]
	scratch_store_b128 off, v[9:12], off offset:48
.LBB71_27:
	s_wait_alu 0xfffe
	s_or_b32 exec_lo, exec_lo, s2
	s_wait_loadcnt 0x0
	s_wait_storecnt 0x0
	s_barrier_signal -1
	s_barrier_wait -1
	global_inv scope:SCOPE_SE
	scratch_load_b128 v[1:4], off, s13
	s_mov_b32 s2, exec_lo
	s_wait_loadcnt 0x0
	ds_store_b128 v5, v[1:4]
	s_wait_dscnt 0x0
	s_barrier_signal -1
	s_barrier_wait -1
	global_inv scope:SCOPE_SE
	v_cmpx_gt_u32_e32 4, v29
	s_cbranch_execz .LBB71_31
; %bb.28:
	v_dual_mov_b32 v1, 0 :: v_dual_add_nc_u32 v8, 0x80, v30
	v_mov_b32_e32 v3, 0
	v_dual_mov_b32 v2, 0 :: v_dual_add_nc_u32 v7, -1, v29
	v_mov_b32_e32 v4, 0
	v_or_b32_e32 v9, 8, v31
	s_mov_b32 s3, 0
.LBB71_29:                              ; =>This Inner Loop Header: Depth=1
	scratch_load_b128 v[32:35], v9, off offset:-8
	ds_load_b128 v[36:39], v8
	v_add_nc_u32_e32 v7, 1, v7
	v_add_nc_u32_e32 v8, 16, v8
	v_add_nc_u32_e32 v9, 16, v9
	s_delay_alu instid0(VALU_DEP_3)
	v_cmp_lt_u32_e32 vcc_lo, 2, v7
	s_wait_alu 0xfffe
	s_or_b32 s3, vcc_lo, s3
	s_wait_loadcnt_dscnt 0x0
	v_mul_f64_e32 v[10:11], v[38:39], v[34:35]
	v_mul_f64_e32 v[34:35], v[36:37], v[34:35]
	s_delay_alu instid0(VALU_DEP_2) | instskip(NEXT) | instid1(VALU_DEP_2)
	v_fma_f64 v[10:11], v[36:37], v[32:33], -v[10:11]
	v_fma_f64 v[32:33], v[38:39], v[32:33], v[34:35]
	s_delay_alu instid0(VALU_DEP_2) | instskip(NEXT) | instid1(VALU_DEP_2)
	v_add_f64_e32 v[3:4], v[3:4], v[10:11]
	v_add_f64_e32 v[1:2], v[1:2], v[32:33]
	s_wait_alu 0xfffe
	s_and_not1_b32 exec_lo, exec_lo, s3
	s_cbranch_execnz .LBB71_29
; %bb.30:
	s_or_b32 exec_lo, exec_lo, s3
	v_mov_b32_e32 v7, 0
	ds_load_b128 v[7:10], v7 offset:64
	s_wait_dscnt 0x0
	v_mul_f64_e32 v[11:12], v[1:2], v[9:10]
	v_mul_f64_e32 v[32:33], v[3:4], v[9:10]
	s_delay_alu instid0(VALU_DEP_2) | instskip(NEXT) | instid1(VALU_DEP_2)
	v_fma_f64 v[9:10], v[3:4], v[7:8], -v[11:12]
	v_fma_f64 v[11:12], v[1:2], v[7:8], v[32:33]
	scratch_store_b128 off, v[9:12], off offset:64
.LBB71_31:
	s_wait_alu 0xfffe
	s_or_b32 exec_lo, exec_lo, s2
	s_wait_loadcnt 0x0
	s_wait_storecnt 0x0
	s_barrier_signal -1
	s_barrier_wait -1
	global_inv scope:SCOPE_SE
	scratch_load_b128 v[1:4], off, s4
	;; [unrolled: 58-line block ×4, first 2 shown]
	s_mov_b32 s2, exec_lo
	s_wait_loadcnt 0x0
	ds_store_b128 v5, v[1:4]
	s_wait_dscnt 0x0
	s_barrier_signal -1
	s_barrier_wait -1
	global_inv scope:SCOPE_SE
	v_cmpx_ne_u32_e32 7, v29
	s_cbranch_execz .LBB71_43
; %bb.40:
	v_mov_b32_e32 v1, 0
	v_dual_mov_b32 v2, 0 :: v_dual_mov_b32 v3, 0
	v_mov_b32_e32 v4, 0
	v_or_b32_e32 v7, 8, v31
	s_mov_b32 s3, 0
.LBB71_41:                              ; =>This Inner Loop Header: Depth=1
	scratch_load_b128 v[8:11], v7, off offset:-8
	ds_load_b128 v[30:33], v5
	v_add_nc_u32_e32 v6, 1, v6
	v_add_nc_u32_e32 v5, 16, v5
	;; [unrolled: 1-line block ×3, first 2 shown]
	s_delay_alu instid0(VALU_DEP_3)
	v_cmp_lt_u32_e32 vcc_lo, 5, v6
	s_wait_alu 0xfffe
	s_or_b32 s3, vcc_lo, s3
	s_wait_loadcnt_dscnt 0x0
	v_mul_f64_e32 v[34:35], v[32:33], v[10:11]
	v_mul_f64_e32 v[10:11], v[30:31], v[10:11]
	s_delay_alu instid0(VALU_DEP_2) | instskip(NEXT) | instid1(VALU_DEP_2)
	v_fma_f64 v[30:31], v[30:31], v[8:9], -v[34:35]
	v_fma_f64 v[8:9], v[32:33], v[8:9], v[10:11]
	s_delay_alu instid0(VALU_DEP_2) | instskip(NEXT) | instid1(VALU_DEP_2)
	v_add_f64_e32 v[3:4], v[3:4], v[30:31]
	v_add_f64_e32 v[1:2], v[1:2], v[8:9]
	s_wait_alu 0xfffe
	s_and_not1_b32 exec_lo, exec_lo, s3
	s_cbranch_execnz .LBB71_41
; %bb.42:
	s_or_b32 exec_lo, exec_lo, s3
	v_mov_b32_e32 v5, 0
	ds_load_b128 v[5:8], v5 offset:112
	s_wait_dscnt 0x0
	v_mul_f64_e32 v[9:10], v[1:2], v[7:8]
	v_mul_f64_e32 v[7:8], v[3:4], v[7:8]
	s_delay_alu instid0(VALU_DEP_2) | instskip(NEXT) | instid1(VALU_DEP_2)
	v_fma_f64 v[3:4], v[3:4], v[5:6], -v[9:10]
	v_fma_f64 v[5:6], v[1:2], v[5:6], v[7:8]
	scratch_store_b128 off, v[3:6], off offset:112
.LBB71_43:
	s_wait_alu 0xfffe
	s_or_b32 exec_lo, exec_lo, s2
	s_mov_b32 s3, -1
	s_wait_loadcnt 0x0
	s_wait_storecnt 0x0
	s_barrier_signal -1
	s_barrier_wait -1
	global_inv scope:SCOPE_SE
.LBB71_44:
	s_wait_alu 0xfffe
	s_and_b32 vcc_lo, exec_lo, s3
	s_wait_alu 0xfffe
	s_cbranch_vccz .LBB71_46
; %bb.45:
	v_mov_b32_e32 v1, 0
	s_lshl_b64 s[2:3], s[10:11], 2
	s_wait_alu 0xfffe
	s_add_nc_u64 s[2:3], s[6:7], s[2:3]
	global_load_b32 v1, v1, s[2:3]
	s_wait_loadcnt 0x0
	v_cmp_ne_u32_e32 vcc_lo, 0, v1
	s_cbranch_vccz .LBB71_47
.LBB71_46:
	s_endpgm
.LBB71_47:
	v_lshl_add_u32 v5, v29, 4, 0x80
	s_mov_b32 s2, exec_lo
	v_cmpx_eq_u32_e32 7, v29
	s_cbranch_execz .LBB71_49
; %bb.48:
	scratch_load_b128 v[1:4], off, s15
	v_mov_b32_e32 v6, 0
	s_delay_alu instid0(VALU_DEP_1)
	v_dual_mov_b32 v7, v6 :: v_dual_mov_b32 v8, v6
	v_mov_b32_e32 v9, v6
	scratch_store_b128 off, v[6:9], off offset:96
	s_wait_loadcnt 0x0
	ds_store_b128 v5, v[1:4]
.LBB71_49:
	s_wait_alu 0xfffe
	s_or_b32 exec_lo, exec_lo, s2
	s_wait_storecnt_dscnt 0x0
	s_barrier_signal -1
	s_barrier_wait -1
	global_inv scope:SCOPE_SE
	s_clause 0x1
	scratch_load_b128 v[6:9], off, off offset:112
	scratch_load_b128 v[30:33], off, off offset:96
	v_mov_b32_e32 v1, 0
	s_mov_b32 s2, exec_lo
	ds_load_b128 v[34:37], v1 offset:240
	s_wait_loadcnt_dscnt 0x100
	v_mul_f64_e32 v[2:3], v[36:37], v[8:9]
	v_mul_f64_e32 v[8:9], v[34:35], v[8:9]
	s_delay_alu instid0(VALU_DEP_2) | instskip(NEXT) | instid1(VALU_DEP_2)
	v_fma_f64 v[2:3], v[34:35], v[6:7], -v[2:3]
	v_fma_f64 v[6:7], v[36:37], v[6:7], v[8:9]
	s_delay_alu instid0(VALU_DEP_2) | instskip(NEXT) | instid1(VALU_DEP_2)
	v_add_f64_e32 v[2:3], 0, v[2:3]
	v_add_f64_e32 v[8:9], 0, v[6:7]
	s_wait_loadcnt 0x0
	s_delay_alu instid0(VALU_DEP_2) | instskip(NEXT) | instid1(VALU_DEP_2)
	v_add_f64_e64 v[6:7], v[30:31], -v[2:3]
	v_add_f64_e64 v[8:9], v[32:33], -v[8:9]
	scratch_store_b128 off, v[6:9], off offset:96
	v_cmpx_lt_u32_e32 5, v29
	s_cbranch_execz .LBB71_51
; %bb.50:
	scratch_load_b128 v[6:9], off, s4
	v_dual_mov_b32 v2, v1 :: v_dual_mov_b32 v3, v1
	v_mov_b32_e32 v4, v1
	scratch_store_b128 off, v[1:4], off offset:80
	s_wait_loadcnt 0x0
	ds_store_b128 v5, v[6:9]
.LBB71_51:
	s_wait_alu 0xfffe
	s_or_b32 exec_lo, exec_lo, s2
	s_wait_storecnt_dscnt 0x0
	s_barrier_signal -1
	s_barrier_wait -1
	global_inv scope:SCOPE_SE
	s_clause 0x2
	scratch_load_b128 v[6:9], off, off offset:96
	scratch_load_b128 v[30:33], off, off offset:112
	;; [unrolled: 1-line block ×3, first 2 shown]
	ds_load_b128 v[38:41], v1 offset:224
	ds_load_b128 v[1:4], v1 offset:240
	s_mov_b32 s2, exec_lo
	s_wait_loadcnt_dscnt 0x201
	v_mul_f64_e32 v[10:11], v[40:41], v[8:9]
	v_mul_f64_e32 v[8:9], v[38:39], v[8:9]
	s_wait_loadcnt_dscnt 0x100
	v_mul_f64_e32 v[42:43], v[1:2], v[32:33]
	v_mul_f64_e32 v[32:33], v[3:4], v[32:33]
	s_delay_alu instid0(VALU_DEP_4) | instskip(NEXT) | instid1(VALU_DEP_4)
	v_fma_f64 v[10:11], v[38:39], v[6:7], -v[10:11]
	v_fma_f64 v[6:7], v[40:41], v[6:7], v[8:9]
	s_delay_alu instid0(VALU_DEP_4) | instskip(NEXT) | instid1(VALU_DEP_4)
	v_fma_f64 v[3:4], v[3:4], v[30:31], v[42:43]
	v_fma_f64 v[1:2], v[1:2], v[30:31], -v[32:33]
	s_delay_alu instid0(VALU_DEP_4) | instskip(NEXT) | instid1(VALU_DEP_4)
	v_add_f64_e32 v[8:9], 0, v[10:11]
	v_add_f64_e32 v[6:7], 0, v[6:7]
	s_delay_alu instid0(VALU_DEP_2) | instskip(NEXT) | instid1(VALU_DEP_2)
	v_add_f64_e32 v[1:2], v[8:9], v[1:2]
	v_add_f64_e32 v[3:4], v[6:7], v[3:4]
	s_wait_loadcnt 0x0
	s_delay_alu instid0(VALU_DEP_2) | instskip(NEXT) | instid1(VALU_DEP_2)
	v_add_f64_e64 v[1:2], v[34:35], -v[1:2]
	v_add_f64_e64 v[3:4], v[36:37], -v[3:4]
	scratch_store_b128 off, v[1:4], off offset:80
	v_cmpx_lt_u32_e32 4, v29
	s_cbranch_execz .LBB71_53
; %bb.52:
	scratch_load_b128 v[1:4], off, s13
	v_mov_b32_e32 v6, 0
	s_delay_alu instid0(VALU_DEP_1)
	v_dual_mov_b32 v7, v6 :: v_dual_mov_b32 v8, v6
	v_mov_b32_e32 v9, v6
	scratch_store_b128 off, v[6:9], off offset:64
	s_wait_loadcnt 0x0
	ds_store_b128 v5, v[1:4]
.LBB71_53:
	s_wait_alu 0xfffe
	s_or_b32 exec_lo, exec_lo, s2
	s_wait_storecnt_dscnt 0x0
	s_barrier_signal -1
	s_barrier_wait -1
	global_inv scope:SCOPE_SE
	s_clause 0x3
	scratch_load_b128 v[6:9], off, off offset:80
	scratch_load_b128 v[30:33], off, off offset:96
	;; [unrolled: 1-line block ×4, first 2 shown]
	v_mov_b32_e32 v1, 0
	ds_load_b128 v[42:45], v1 offset:208
	ds_load_b128 v[46:49], v1 offset:224
	s_mov_b32 s2, exec_lo
	s_wait_loadcnt_dscnt 0x301
	v_mul_f64_e32 v[2:3], v[44:45], v[8:9]
	v_mul_f64_e32 v[8:9], v[42:43], v[8:9]
	s_wait_loadcnt_dscnt 0x200
	v_mul_f64_e32 v[10:11], v[46:47], v[32:33]
	v_mul_f64_e32 v[32:33], v[48:49], v[32:33]
	s_delay_alu instid0(VALU_DEP_4) | instskip(NEXT) | instid1(VALU_DEP_4)
	v_fma_f64 v[2:3], v[42:43], v[6:7], -v[2:3]
	v_fma_f64 v[42:43], v[44:45], v[6:7], v[8:9]
	ds_load_b128 v[6:9], v1 offset:240
	v_fma_f64 v[10:11], v[48:49], v[30:31], v[10:11]
	v_fma_f64 v[30:31], v[46:47], v[30:31], -v[32:33]
	s_wait_loadcnt_dscnt 0x100
	v_mul_f64_e32 v[44:45], v[6:7], v[36:37]
	v_mul_f64_e32 v[36:37], v[8:9], v[36:37]
	v_add_f64_e32 v[2:3], 0, v[2:3]
	v_add_f64_e32 v[32:33], 0, v[42:43]
	s_delay_alu instid0(VALU_DEP_4) | instskip(NEXT) | instid1(VALU_DEP_4)
	v_fma_f64 v[8:9], v[8:9], v[34:35], v[44:45]
	v_fma_f64 v[6:7], v[6:7], v[34:35], -v[36:37]
	s_delay_alu instid0(VALU_DEP_4) | instskip(NEXT) | instid1(VALU_DEP_4)
	v_add_f64_e32 v[2:3], v[2:3], v[30:31]
	v_add_f64_e32 v[10:11], v[32:33], v[10:11]
	s_delay_alu instid0(VALU_DEP_2) | instskip(NEXT) | instid1(VALU_DEP_2)
	v_add_f64_e32 v[2:3], v[2:3], v[6:7]
	v_add_f64_e32 v[8:9], v[10:11], v[8:9]
	s_wait_loadcnt 0x0
	s_delay_alu instid0(VALU_DEP_2) | instskip(NEXT) | instid1(VALU_DEP_2)
	v_add_f64_e64 v[6:7], v[38:39], -v[2:3]
	v_add_f64_e64 v[8:9], v[40:41], -v[8:9]
	scratch_store_b128 off, v[6:9], off offset:64
	v_cmpx_lt_u32_e32 3, v29
	s_cbranch_execz .LBB71_55
; %bb.54:
	scratch_load_b128 v[6:9], off, s12
	v_dual_mov_b32 v2, v1 :: v_dual_mov_b32 v3, v1
	v_mov_b32_e32 v4, v1
	scratch_store_b128 off, v[1:4], off offset:48
	s_wait_loadcnt 0x0
	ds_store_b128 v5, v[6:9]
.LBB71_55:
	s_wait_alu 0xfffe
	s_or_b32 exec_lo, exec_lo, s2
	s_wait_storecnt_dscnt 0x0
	s_barrier_signal -1
	s_barrier_wait -1
	global_inv scope:SCOPE_SE
	s_clause 0x4
	scratch_load_b128 v[6:9], off, off offset:64
	scratch_load_b128 v[30:33], off, off offset:80
	;; [unrolled: 1-line block ×5, first 2 shown]
	ds_load_b128 v[46:49], v1 offset:192
	ds_load_b128 v[50:53], v1 offset:208
	s_mov_b32 s2, exec_lo
	s_wait_loadcnt_dscnt 0x401
	v_mul_f64_e32 v[2:3], v[48:49], v[8:9]
	v_mul_f64_e32 v[8:9], v[46:47], v[8:9]
	s_wait_loadcnt_dscnt 0x300
	v_mul_f64_e32 v[10:11], v[50:51], v[32:33]
	v_mul_f64_e32 v[32:33], v[52:53], v[32:33]
	s_delay_alu instid0(VALU_DEP_4) | instskip(NEXT) | instid1(VALU_DEP_4)
	v_fma_f64 v[46:47], v[46:47], v[6:7], -v[2:3]
	v_fma_f64 v[48:49], v[48:49], v[6:7], v[8:9]
	ds_load_b128 v[6:9], v1 offset:224
	ds_load_b128 v[1:4], v1 offset:240
	v_fma_f64 v[10:11], v[52:53], v[30:31], v[10:11]
	v_fma_f64 v[30:31], v[50:51], v[30:31], -v[32:33]
	s_wait_loadcnt_dscnt 0x201
	v_mul_f64_e32 v[54:55], v[6:7], v[36:37]
	v_mul_f64_e32 v[36:37], v[8:9], v[36:37]
	v_add_f64_e32 v[32:33], 0, v[46:47]
	v_add_f64_e32 v[46:47], 0, v[48:49]
	s_wait_loadcnt_dscnt 0x100
	v_mul_f64_e32 v[48:49], v[1:2], v[40:41]
	v_mul_f64_e32 v[40:41], v[3:4], v[40:41]
	v_fma_f64 v[8:9], v[8:9], v[34:35], v[54:55]
	v_fma_f64 v[6:7], v[6:7], v[34:35], -v[36:37]
	v_add_f64_e32 v[30:31], v[32:33], v[30:31]
	v_add_f64_e32 v[10:11], v[46:47], v[10:11]
	v_fma_f64 v[3:4], v[3:4], v[38:39], v[48:49]
	v_fma_f64 v[1:2], v[1:2], v[38:39], -v[40:41]
	s_delay_alu instid0(VALU_DEP_4) | instskip(NEXT) | instid1(VALU_DEP_4)
	v_add_f64_e32 v[6:7], v[30:31], v[6:7]
	v_add_f64_e32 v[8:9], v[10:11], v[8:9]
	s_delay_alu instid0(VALU_DEP_2) | instskip(NEXT) | instid1(VALU_DEP_2)
	v_add_f64_e32 v[1:2], v[6:7], v[1:2]
	v_add_f64_e32 v[3:4], v[8:9], v[3:4]
	s_wait_loadcnt 0x0
	s_delay_alu instid0(VALU_DEP_2) | instskip(NEXT) | instid1(VALU_DEP_2)
	v_add_f64_e64 v[1:2], v[42:43], -v[1:2]
	v_add_f64_e64 v[3:4], v[44:45], -v[3:4]
	scratch_store_b128 off, v[1:4], off offset:48
	v_cmpx_lt_u32_e32 2, v29
	s_cbranch_execz .LBB71_57
; %bb.56:
	scratch_load_b128 v[1:4], off, s16
	v_mov_b32_e32 v6, 0
	s_delay_alu instid0(VALU_DEP_1)
	v_dual_mov_b32 v7, v6 :: v_dual_mov_b32 v8, v6
	v_mov_b32_e32 v9, v6
	scratch_store_b128 off, v[6:9], off offset:32
	s_wait_loadcnt 0x0
	ds_store_b128 v5, v[1:4]
.LBB71_57:
	s_wait_alu 0xfffe
	s_or_b32 exec_lo, exec_lo, s2
	s_wait_storecnt_dscnt 0x0
	s_barrier_signal -1
	s_barrier_wait -1
	global_inv scope:SCOPE_SE
	s_clause 0x5
	scratch_load_b128 v[6:9], off, off offset:48
	scratch_load_b128 v[30:33], off, off offset:64
	;; [unrolled: 1-line block ×6, first 2 shown]
	v_mov_b32_e32 v1, 0
	ds_load_b128 v[50:53], v1 offset:176
	ds_load_b128 v[54:57], v1 offset:192
	s_mov_b32 s2, exec_lo
	s_wait_loadcnt_dscnt 0x501
	v_mul_f64_e32 v[2:3], v[52:53], v[8:9]
	v_mul_f64_e32 v[8:9], v[50:51], v[8:9]
	s_wait_loadcnt_dscnt 0x400
	v_mul_f64_e32 v[10:11], v[54:55], v[32:33]
	v_mul_f64_e32 v[32:33], v[56:57], v[32:33]
	s_delay_alu instid0(VALU_DEP_4) | instskip(NEXT) | instid1(VALU_DEP_4)
	v_fma_f64 v[2:3], v[50:51], v[6:7], -v[2:3]
	v_fma_f64 v[58:59], v[52:53], v[6:7], v[8:9]
	ds_load_b128 v[6:9], v1 offset:208
	ds_load_b128 v[50:53], v1 offset:224
	v_fma_f64 v[10:11], v[56:57], v[30:31], v[10:11]
	v_fma_f64 v[30:31], v[54:55], v[30:31], -v[32:33]
	s_wait_loadcnt_dscnt 0x301
	v_mul_f64_e32 v[60:61], v[6:7], v[36:37]
	v_mul_f64_e32 v[36:37], v[8:9], v[36:37]
	s_wait_loadcnt_dscnt 0x200
	v_mul_f64_e32 v[54:55], v[50:51], v[40:41]
	v_mul_f64_e32 v[40:41], v[52:53], v[40:41]
	v_add_f64_e32 v[2:3], 0, v[2:3]
	v_add_f64_e32 v[32:33], 0, v[58:59]
	v_fma_f64 v[56:57], v[8:9], v[34:35], v[60:61]
	v_fma_f64 v[34:35], v[6:7], v[34:35], -v[36:37]
	ds_load_b128 v[6:9], v1 offset:240
	v_fma_f64 v[36:37], v[52:53], v[38:39], v[54:55]
	v_fma_f64 v[38:39], v[50:51], v[38:39], -v[40:41]
	v_add_f64_e32 v[2:3], v[2:3], v[30:31]
	v_add_f64_e32 v[10:11], v[32:33], v[10:11]
	s_wait_loadcnt_dscnt 0x100
	v_mul_f64_e32 v[30:31], v[6:7], v[44:45]
	v_mul_f64_e32 v[32:33], v[8:9], v[44:45]
	s_delay_alu instid0(VALU_DEP_4) | instskip(NEXT) | instid1(VALU_DEP_4)
	v_add_f64_e32 v[2:3], v[2:3], v[34:35]
	v_add_f64_e32 v[10:11], v[10:11], v[56:57]
	s_delay_alu instid0(VALU_DEP_4) | instskip(NEXT) | instid1(VALU_DEP_4)
	v_fma_f64 v[8:9], v[8:9], v[42:43], v[30:31]
	v_fma_f64 v[6:7], v[6:7], v[42:43], -v[32:33]
	s_delay_alu instid0(VALU_DEP_4) | instskip(NEXT) | instid1(VALU_DEP_4)
	v_add_f64_e32 v[2:3], v[2:3], v[38:39]
	v_add_f64_e32 v[10:11], v[10:11], v[36:37]
	s_delay_alu instid0(VALU_DEP_2) | instskip(NEXT) | instid1(VALU_DEP_2)
	v_add_f64_e32 v[2:3], v[2:3], v[6:7]
	v_add_f64_e32 v[8:9], v[10:11], v[8:9]
	s_wait_loadcnt 0x0
	s_delay_alu instid0(VALU_DEP_2) | instskip(NEXT) | instid1(VALU_DEP_2)
	v_add_f64_e64 v[6:7], v[46:47], -v[2:3]
	v_add_f64_e64 v[8:9], v[48:49], -v[8:9]
	scratch_store_b128 off, v[6:9], off offset:32
	v_cmpx_lt_u32_e32 1, v29
	s_cbranch_execz .LBB71_59
; %bb.58:
	scratch_load_b128 v[6:9], off, s17
	v_dual_mov_b32 v2, v1 :: v_dual_mov_b32 v3, v1
	v_mov_b32_e32 v4, v1
	scratch_store_b128 off, v[1:4], off offset:16
	s_wait_loadcnt 0x0
	ds_store_b128 v5, v[6:9]
.LBB71_59:
	s_wait_alu 0xfffe
	s_or_b32 exec_lo, exec_lo, s2
	s_wait_storecnt_dscnt 0x0
	s_barrier_signal -1
	s_barrier_wait -1
	global_inv scope:SCOPE_SE
	s_clause 0x5
	scratch_load_b128 v[6:9], off, off offset:32
	scratch_load_b128 v[30:33], off, off offset:48
	;; [unrolled: 1-line block ×6, first 2 shown]
	ds_load_b128 v[50:53], v1 offset:160
	ds_load_b128 v[58:61], v1 offset:176
	scratch_load_b128 v[54:57], off, off offset:16
	s_mov_b32 s2, exec_lo
	s_wait_loadcnt_dscnt 0x601
	v_mul_f64_e32 v[2:3], v[52:53], v[8:9]
	v_mul_f64_e32 v[8:9], v[50:51], v[8:9]
	s_wait_loadcnt_dscnt 0x500
	v_mul_f64_e32 v[10:11], v[58:59], v[32:33]
	v_mul_f64_e32 v[32:33], v[60:61], v[32:33]
	s_delay_alu instid0(VALU_DEP_4) | instskip(NEXT) | instid1(VALU_DEP_4)
	v_fma_f64 v[2:3], v[50:51], v[6:7], -v[2:3]
	v_fma_f64 v[62:63], v[52:53], v[6:7], v[8:9]
	ds_load_b128 v[6:9], v1 offset:192
	ds_load_b128 v[50:53], v1 offset:208
	v_fma_f64 v[10:11], v[60:61], v[30:31], v[10:11]
	v_fma_f64 v[30:31], v[58:59], v[30:31], -v[32:33]
	s_wait_loadcnt_dscnt 0x401
	v_mul_f64_e32 v[64:65], v[6:7], v[36:37]
	v_mul_f64_e32 v[36:37], v[8:9], v[36:37]
	s_wait_loadcnt_dscnt 0x300
	v_mul_f64_e32 v[58:59], v[50:51], v[40:41]
	v_mul_f64_e32 v[40:41], v[52:53], v[40:41]
	v_add_f64_e32 v[2:3], 0, v[2:3]
	v_add_f64_e32 v[32:33], 0, v[62:63]
	v_fma_f64 v[60:61], v[8:9], v[34:35], v[64:65]
	v_fma_f64 v[34:35], v[6:7], v[34:35], -v[36:37]
	s_delay_alu instid0(VALU_DEP_4) | instskip(NEXT) | instid1(VALU_DEP_4)
	v_add_f64_e32 v[30:31], v[2:3], v[30:31]
	v_add_f64_e32 v[10:11], v[32:33], v[10:11]
	ds_load_b128 v[6:9], v1 offset:224
	ds_load_b128 v[1:4], v1 offset:240
	s_wait_loadcnt_dscnt 0x201
	v_mul_f64_e32 v[32:33], v[6:7], v[44:45]
	v_mul_f64_e32 v[36:37], v[8:9], v[44:45]
	v_fma_f64 v[44:45], v[52:53], v[38:39], v[58:59]
	v_fma_f64 v[38:39], v[50:51], v[38:39], -v[40:41]
	s_wait_loadcnt_dscnt 0x100
	v_mul_f64_e32 v[40:41], v[3:4], v[48:49]
	v_add_f64_e32 v[30:31], v[30:31], v[34:35]
	v_add_f64_e32 v[10:11], v[10:11], v[60:61]
	v_mul_f64_e32 v[34:35], v[1:2], v[48:49]
	v_fma_f64 v[8:9], v[8:9], v[42:43], v[32:33]
	v_fma_f64 v[6:7], v[6:7], v[42:43], -v[36:37]
	v_fma_f64 v[1:2], v[1:2], v[46:47], -v[40:41]
	v_add_f64_e32 v[30:31], v[30:31], v[38:39]
	v_add_f64_e32 v[10:11], v[10:11], v[44:45]
	v_fma_f64 v[3:4], v[3:4], v[46:47], v[34:35]
	s_delay_alu instid0(VALU_DEP_3) | instskip(NEXT) | instid1(VALU_DEP_3)
	v_add_f64_e32 v[6:7], v[30:31], v[6:7]
	v_add_f64_e32 v[8:9], v[10:11], v[8:9]
	s_delay_alu instid0(VALU_DEP_2) | instskip(NEXT) | instid1(VALU_DEP_2)
	v_add_f64_e32 v[1:2], v[6:7], v[1:2]
	v_add_f64_e32 v[3:4], v[8:9], v[3:4]
	s_wait_loadcnt 0x0
	s_delay_alu instid0(VALU_DEP_2) | instskip(NEXT) | instid1(VALU_DEP_2)
	v_add_f64_e64 v[1:2], v[54:55], -v[1:2]
	v_add_f64_e64 v[3:4], v[56:57], -v[3:4]
	scratch_store_b128 off, v[1:4], off offset:16
	v_cmpx_ne_u32_e32 0, v29
	s_cbranch_execz .LBB71_61
; %bb.60:
	scratch_load_b128 v[1:4], off, off
	v_mov_b32_e32 v6, 0
	s_delay_alu instid0(VALU_DEP_1)
	v_dual_mov_b32 v7, v6 :: v_dual_mov_b32 v8, v6
	v_mov_b32_e32 v9, v6
	scratch_store_b128 off, v[6:9], off
	s_wait_loadcnt 0x0
	ds_store_b128 v5, v[1:4]
.LBB71_61:
	s_wait_alu 0xfffe
	s_or_b32 exec_lo, exec_lo, s2
	s_wait_storecnt_dscnt 0x0
	s_barrier_signal -1
	s_barrier_wait -1
	global_inv scope:SCOPE_SE
	s_clause 0x6
	scratch_load_b128 v[2:5], off, off offset:16
	scratch_load_b128 v[6:9], off, off offset:32
	scratch_load_b128 v[30:33], off, off offset:48
	scratch_load_b128 v[34:37], off, off offset:64
	scratch_load_b128 v[38:41], off, off offset:80
	scratch_load_b128 v[42:45], off, off offset:96
	scratch_load_b128 v[46:49], off, off offset:112
	v_mov_b32_e32 v1, 0
	scratch_load_b128 v[54:57], off, off
	s_and_b32 vcc_lo, exec_lo, s14
	ds_load_b128 v[50:53], v1 offset:144
	ds_load_b128 v[58:61], v1 offset:160
	s_wait_loadcnt_dscnt 0x701
	v_mul_f64_e32 v[10:11], v[52:53], v[4:5]
	v_mul_f64_e32 v[4:5], v[50:51], v[4:5]
	s_wait_loadcnt_dscnt 0x600
	v_mul_f64_e32 v[62:63], v[58:59], v[8:9]
	v_mul_f64_e32 v[64:65], v[60:61], v[8:9]
	s_delay_alu instid0(VALU_DEP_4) | instskip(NEXT) | instid1(VALU_DEP_4)
	v_fma_f64 v[50:51], v[50:51], v[2:3], -v[10:11]
	v_fma_f64 v[52:53], v[52:53], v[2:3], v[4:5]
	ds_load_b128 v[2:5], v1 offset:176
	ds_load_b128 v[8:11], v1 offset:192
	v_fma_f64 v[60:61], v[60:61], v[6:7], v[62:63]
	v_fma_f64 v[6:7], v[58:59], v[6:7], -v[64:65]
	s_wait_loadcnt_dscnt 0x501
	v_mul_f64_e32 v[66:67], v[2:3], v[32:33]
	v_mul_f64_e32 v[32:33], v[4:5], v[32:33]
	s_wait_loadcnt_dscnt 0x400
	v_mul_f64_e32 v[58:59], v[8:9], v[36:37]
	v_mul_f64_e32 v[36:37], v[10:11], v[36:37]
	v_add_f64_e32 v[50:51], 0, v[50:51]
	v_add_f64_e32 v[52:53], 0, v[52:53]
	v_fma_f64 v[62:63], v[4:5], v[30:31], v[66:67]
	v_fma_f64 v[64:65], v[2:3], v[30:31], -v[32:33]
	ds_load_b128 v[2:5], v1 offset:208
	ds_load_b128 v[30:33], v1 offset:224
	v_fma_f64 v[10:11], v[10:11], v[34:35], v[58:59]
	v_fma_f64 v[8:9], v[8:9], v[34:35], -v[36:37]
	v_add_f64_e32 v[6:7], v[50:51], v[6:7]
	v_add_f64_e32 v[50:51], v[52:53], v[60:61]
	s_wait_loadcnt_dscnt 0x301
	v_mul_f64_e32 v[52:53], v[2:3], v[40:41]
	v_mul_f64_e32 v[40:41], v[4:5], v[40:41]
	s_wait_loadcnt_dscnt 0x200
	v_mul_f64_e32 v[36:37], v[30:31], v[44:45]
	v_mul_f64_e32 v[44:45], v[32:33], v[44:45]
	v_add_f64_e32 v[6:7], v[6:7], v[64:65]
	v_add_f64_e32 v[34:35], v[50:51], v[62:63]
	v_fma_f64 v[50:51], v[4:5], v[38:39], v[52:53]
	v_fma_f64 v[38:39], v[2:3], v[38:39], -v[40:41]
	ds_load_b128 v[2:5], v1 offset:240
	v_fma_f64 v[32:33], v[32:33], v[42:43], v[36:37]
	v_fma_f64 v[30:31], v[30:31], v[42:43], -v[44:45]
	v_add_f64_e32 v[6:7], v[6:7], v[8:9]
	v_add_f64_e32 v[8:9], v[34:35], v[10:11]
	s_wait_loadcnt_dscnt 0x100
	v_mul_f64_e32 v[10:11], v[2:3], v[48:49]
	v_mul_f64_e32 v[34:35], v[4:5], v[48:49]
	s_delay_alu instid0(VALU_DEP_4) | instskip(NEXT) | instid1(VALU_DEP_4)
	v_add_f64_e32 v[6:7], v[6:7], v[38:39]
	v_add_f64_e32 v[8:9], v[8:9], v[50:51]
	s_delay_alu instid0(VALU_DEP_4) | instskip(NEXT) | instid1(VALU_DEP_4)
	v_fma_f64 v[4:5], v[4:5], v[46:47], v[10:11]
	v_fma_f64 v[2:3], v[2:3], v[46:47], -v[34:35]
	s_delay_alu instid0(VALU_DEP_4) | instskip(NEXT) | instid1(VALU_DEP_4)
	v_add_f64_e32 v[6:7], v[6:7], v[30:31]
	v_add_f64_e32 v[8:9], v[8:9], v[32:33]
	s_delay_alu instid0(VALU_DEP_2) | instskip(NEXT) | instid1(VALU_DEP_2)
	v_add_f64_e32 v[2:3], v[6:7], v[2:3]
	v_add_f64_e32 v[4:5], v[8:9], v[4:5]
	s_wait_loadcnt 0x0
	s_delay_alu instid0(VALU_DEP_2) | instskip(NEXT) | instid1(VALU_DEP_2)
	v_add_f64_e64 v[2:3], v[54:55], -v[2:3]
	v_add_f64_e64 v[4:5], v[56:57], -v[4:5]
	scratch_store_b128 off, v[2:5], off
	s_wait_alu 0xfffe
	s_cbranch_vccz .LBB71_76
; %bb.62:
	global_load_b32 v1, v1, s[8:9] offset:24
	s_load_b64 s[0:1], s[0:1], 0x4
	v_bfe_u32 v2, v0, 10, 10
	v_bfe_u32 v0, v0, 20, 10
	s_wait_kmcnt 0x0
	s_lshr_b32 s0, s0, 16
	s_delay_alu instid0(VALU_DEP_2) | instskip(SKIP_3) | instid1(VALU_DEP_1)
	v_mul_u32_u24_e32 v2, s1, v2
	s_mul_i32 s0, s0, s1
	s_wait_alu 0xfffe
	v_mul_u32_u24_e32 v3, s0, v29
	v_add3_u32 v0, v3, v2, v0
	s_delay_alu instid0(VALU_DEP_1)
	v_lshl_add_u32 v0, v0, 4, 0x108
	s_wait_loadcnt 0x0
	v_cmp_ne_u32_e32 vcc_lo, 7, v1
	s_cbranch_vccz .LBB71_64
; %bb.63:
	v_lshlrev_b32_e32 v1, 4, v1
	s_delay_alu instid0(VALU_DEP_1)
	v_mov_b32_e32 v9, v1
	s_clause 0x1
	scratch_load_b128 v[1:4], off, s15
	scratch_load_b128 v[5:8], v9, off offset:-16
	s_wait_loadcnt 0x1
	ds_store_2addr_b64 v0, v[1:2], v[3:4] offset1:1
	s_wait_loadcnt 0x0
	s_clause 0x1
	scratch_store_b128 off, v[5:8], s15
	scratch_store_b128 v9, v[1:4], off offset:-16
.LBB71_64:
	v_mov_b32_e32 v1, 0
	global_load_b32 v2, v1, s[8:9] offset:20
	s_wait_loadcnt 0x0
	v_cmp_eq_u32_e32 vcc_lo, 6, v2
	s_cbranch_vccnz .LBB71_66
; %bb.65:
	v_lshlrev_b32_e32 v2, 4, v2
	s_delay_alu instid0(VALU_DEP_1)
	v_mov_b32_e32 v10, v2
	s_clause 0x1
	scratch_load_b128 v[2:5], off, s4
	scratch_load_b128 v[6:9], v10, off offset:-16
	s_wait_loadcnt 0x1
	ds_store_2addr_b64 v0, v[2:3], v[4:5] offset1:1
	s_wait_loadcnt 0x0
	s_clause 0x1
	scratch_store_b128 off, v[6:9], s4
	scratch_store_b128 v10, v[2:5], off offset:-16
.LBB71_66:
	global_load_b32 v1, v1, s[8:9] offset:16
	s_wait_loadcnt 0x0
	v_cmp_eq_u32_e32 vcc_lo, 5, v1
	s_cbranch_vccnz .LBB71_68
; %bb.67:
	v_lshlrev_b32_e32 v1, 4, v1
	s_delay_alu instid0(VALU_DEP_1)
	v_mov_b32_e32 v9, v1
	s_clause 0x1
	scratch_load_b128 v[1:4], off, s13
	scratch_load_b128 v[5:8], v9, off offset:-16
	s_wait_loadcnt 0x1
	ds_store_2addr_b64 v0, v[1:2], v[3:4] offset1:1
	s_wait_loadcnt 0x0
	s_clause 0x1
	scratch_store_b128 off, v[5:8], s13
	scratch_store_b128 v9, v[1:4], off offset:-16
.LBB71_68:
	v_mov_b32_e32 v1, 0
	global_load_b32 v2, v1, s[8:9] offset:12
	s_wait_loadcnt 0x0
	v_cmp_eq_u32_e32 vcc_lo, 4, v2
	s_cbranch_vccnz .LBB71_70
; %bb.69:
	v_lshlrev_b32_e32 v2, 4, v2
	s_delay_alu instid0(VALU_DEP_1)
	v_mov_b32_e32 v10, v2
	s_clause 0x1
	scratch_load_b128 v[2:5], off, s12
	scratch_load_b128 v[6:9], v10, off offset:-16
	s_wait_loadcnt 0x1
	ds_store_2addr_b64 v0, v[2:3], v[4:5] offset1:1
	s_wait_loadcnt 0x0
	s_clause 0x1
	scratch_store_b128 off, v[6:9], s12
	scratch_store_b128 v10, v[2:5], off offset:-16
.LBB71_70:
	global_load_b32 v1, v1, s[8:9] offset:8
	s_wait_loadcnt 0x0
	v_cmp_eq_u32_e32 vcc_lo, 3, v1
	s_cbranch_vccnz .LBB71_72
; %bb.71:
	v_lshlrev_b32_e32 v1, 4, v1
	s_delay_alu instid0(VALU_DEP_1)
	v_mov_b32_e32 v9, v1
	s_clause 0x1
	scratch_load_b128 v[1:4], off, s16
	scratch_load_b128 v[5:8], v9, off offset:-16
	s_wait_loadcnt 0x1
	ds_store_2addr_b64 v0, v[1:2], v[3:4] offset1:1
	s_wait_loadcnt 0x0
	s_clause 0x1
	scratch_store_b128 off, v[5:8], s16
	scratch_store_b128 v9, v[1:4], off offset:-16
.LBB71_72:
	v_mov_b32_e32 v1, 0
	global_load_b32 v2, v1, s[8:9] offset:4
	s_wait_loadcnt 0x0
	v_cmp_eq_u32_e32 vcc_lo, 2, v2
	s_cbranch_vccnz .LBB71_74
; %bb.73:
	v_lshlrev_b32_e32 v2, 4, v2
	s_delay_alu instid0(VALU_DEP_1)
	v_mov_b32_e32 v10, v2
	s_clause 0x1
	scratch_load_b128 v[2:5], off, s17
	scratch_load_b128 v[6:9], v10, off offset:-16
	s_wait_loadcnt 0x1
	ds_store_2addr_b64 v0, v[2:3], v[4:5] offset1:1
	s_wait_loadcnt 0x0
	s_clause 0x1
	scratch_store_b128 off, v[6:9], s17
	scratch_store_b128 v10, v[2:5], off offset:-16
.LBB71_74:
	global_load_b32 v1, v1, s[8:9]
	s_wait_loadcnt 0x0
	v_cmp_eq_u32_e32 vcc_lo, 1, v1
	s_cbranch_vccnz .LBB71_76
; %bb.75:
	v_lshlrev_b32_e32 v1, 4, v1
	s_delay_alu instid0(VALU_DEP_1)
	v_mov_b32_e32 v9, v1
	scratch_load_b128 v[1:4], off, off
	scratch_load_b128 v[5:8], v9, off offset:-16
	s_wait_loadcnt 0x1
	ds_store_2addr_b64 v0, v[1:2], v[3:4] offset1:1
	s_wait_loadcnt 0x0
	scratch_store_b128 off, v[5:8], off
	scratch_store_b128 v9, v[1:4], off offset:-16
.LBB71_76:
	scratch_load_b128 v[0:3], off, off
	s_wait_loadcnt 0x0
	flat_store_b128 v[13:14], v[0:3]
	scratch_load_b128 v[0:3], off, s17
	s_wait_loadcnt 0x0
	flat_store_b128 v[15:16], v[0:3]
	scratch_load_b128 v[0:3], off, s16
	;; [unrolled: 3-line block ×7, first 2 shown]
	s_wait_loadcnt 0x0
	flat_store_b128 v[27:28], v[0:3]
	s_endpgm
	.section	.rodata,"a",@progbits
	.p2align	6, 0x0
	.amdhsa_kernel _ZN9rocsolver6v33100L18getri_kernel_smallILi8E19rocblas_complex_numIdEPKPS3_EEvT1_iilPiilS8_bb
		.amdhsa_group_segment_fixed_size 1288
		.amdhsa_private_segment_fixed_size 144
		.amdhsa_kernarg_size 60
		.amdhsa_user_sgpr_count 4
		.amdhsa_user_sgpr_dispatch_ptr 1
		.amdhsa_user_sgpr_queue_ptr 0
		.amdhsa_user_sgpr_kernarg_segment_ptr 1
		.amdhsa_user_sgpr_dispatch_id 0
		.amdhsa_user_sgpr_private_segment_size 0
		.amdhsa_wavefront_size32 1
		.amdhsa_uses_dynamic_stack 0
		.amdhsa_enable_private_segment 1
		.amdhsa_system_sgpr_workgroup_id_x 1
		.amdhsa_system_sgpr_workgroup_id_y 0
		.amdhsa_system_sgpr_workgroup_id_z 0
		.amdhsa_system_sgpr_workgroup_info 0
		.amdhsa_system_vgpr_workitem_id 2
		.amdhsa_next_free_vgpr 68
		.amdhsa_next_free_sgpr 21
		.amdhsa_reserve_vcc 1
		.amdhsa_float_round_mode_32 0
		.amdhsa_float_round_mode_16_64 0
		.amdhsa_float_denorm_mode_32 3
		.amdhsa_float_denorm_mode_16_64 3
		.amdhsa_fp16_overflow 0
		.amdhsa_workgroup_processor_mode 1
		.amdhsa_memory_ordered 1
		.amdhsa_forward_progress 1
		.amdhsa_inst_pref_size 59
		.amdhsa_round_robin_scheduling 0
		.amdhsa_exception_fp_ieee_invalid_op 0
		.amdhsa_exception_fp_denorm_src 0
		.amdhsa_exception_fp_ieee_div_zero 0
		.amdhsa_exception_fp_ieee_overflow 0
		.amdhsa_exception_fp_ieee_underflow 0
		.amdhsa_exception_fp_ieee_inexact 0
		.amdhsa_exception_int_div_zero 0
	.end_amdhsa_kernel
	.section	.text._ZN9rocsolver6v33100L18getri_kernel_smallILi8E19rocblas_complex_numIdEPKPS3_EEvT1_iilPiilS8_bb,"axG",@progbits,_ZN9rocsolver6v33100L18getri_kernel_smallILi8E19rocblas_complex_numIdEPKPS3_EEvT1_iilPiilS8_bb,comdat
.Lfunc_end71:
	.size	_ZN9rocsolver6v33100L18getri_kernel_smallILi8E19rocblas_complex_numIdEPKPS3_EEvT1_iilPiilS8_bb, .Lfunc_end71-_ZN9rocsolver6v33100L18getri_kernel_smallILi8E19rocblas_complex_numIdEPKPS3_EEvT1_iilPiilS8_bb
                                        ; -- End function
	.set _ZN9rocsolver6v33100L18getri_kernel_smallILi8E19rocblas_complex_numIdEPKPS3_EEvT1_iilPiilS8_bb.num_vgpr, 68
	.set _ZN9rocsolver6v33100L18getri_kernel_smallILi8E19rocblas_complex_numIdEPKPS3_EEvT1_iilPiilS8_bb.num_agpr, 0
	.set _ZN9rocsolver6v33100L18getri_kernel_smallILi8E19rocblas_complex_numIdEPKPS3_EEvT1_iilPiilS8_bb.numbered_sgpr, 21
	.set _ZN9rocsolver6v33100L18getri_kernel_smallILi8E19rocblas_complex_numIdEPKPS3_EEvT1_iilPiilS8_bb.num_named_barrier, 0
	.set _ZN9rocsolver6v33100L18getri_kernel_smallILi8E19rocblas_complex_numIdEPKPS3_EEvT1_iilPiilS8_bb.private_seg_size, 144
	.set _ZN9rocsolver6v33100L18getri_kernel_smallILi8E19rocblas_complex_numIdEPKPS3_EEvT1_iilPiilS8_bb.uses_vcc, 1
	.set _ZN9rocsolver6v33100L18getri_kernel_smallILi8E19rocblas_complex_numIdEPKPS3_EEvT1_iilPiilS8_bb.uses_flat_scratch, 1
	.set _ZN9rocsolver6v33100L18getri_kernel_smallILi8E19rocblas_complex_numIdEPKPS3_EEvT1_iilPiilS8_bb.has_dyn_sized_stack, 0
	.set _ZN9rocsolver6v33100L18getri_kernel_smallILi8E19rocblas_complex_numIdEPKPS3_EEvT1_iilPiilS8_bb.has_recursion, 0
	.set _ZN9rocsolver6v33100L18getri_kernel_smallILi8E19rocblas_complex_numIdEPKPS3_EEvT1_iilPiilS8_bb.has_indirect_call, 0
	.section	.AMDGPU.csdata,"",@progbits
; Kernel info:
; codeLenInByte = 7536
; TotalNumSgprs: 23
; NumVgprs: 68
; ScratchSize: 144
; MemoryBound: 0
; FloatMode: 240
; IeeeMode: 1
; LDSByteSize: 1288 bytes/workgroup (compile time only)
; SGPRBlocks: 0
; VGPRBlocks: 8
; NumSGPRsForWavesPerEU: 23
; NumVGPRsForWavesPerEU: 68
; Occupancy: 16
; WaveLimiterHint : 1
; COMPUTE_PGM_RSRC2:SCRATCH_EN: 1
; COMPUTE_PGM_RSRC2:USER_SGPR: 4
; COMPUTE_PGM_RSRC2:TRAP_HANDLER: 0
; COMPUTE_PGM_RSRC2:TGID_X_EN: 1
; COMPUTE_PGM_RSRC2:TGID_Y_EN: 0
; COMPUTE_PGM_RSRC2:TGID_Z_EN: 0
; COMPUTE_PGM_RSRC2:TIDIG_COMP_CNT: 2
	.section	.text._ZN9rocsolver6v33100L18getri_kernel_smallILi9E19rocblas_complex_numIdEPKPS3_EEvT1_iilPiilS8_bb,"axG",@progbits,_ZN9rocsolver6v33100L18getri_kernel_smallILi9E19rocblas_complex_numIdEPKPS3_EEvT1_iilPiilS8_bb,comdat
	.globl	_ZN9rocsolver6v33100L18getri_kernel_smallILi9E19rocblas_complex_numIdEPKPS3_EEvT1_iilPiilS8_bb ; -- Begin function _ZN9rocsolver6v33100L18getri_kernel_smallILi9E19rocblas_complex_numIdEPKPS3_EEvT1_iilPiilS8_bb
	.p2align	8
	.type	_ZN9rocsolver6v33100L18getri_kernel_smallILi9E19rocblas_complex_numIdEPKPS3_EEvT1_iilPiilS8_bb,@function
_ZN9rocsolver6v33100L18getri_kernel_smallILi9E19rocblas_complex_numIdEPKPS3_EEvT1_iilPiilS8_bb: ; @_ZN9rocsolver6v33100L18getri_kernel_smallILi9E19rocblas_complex_numIdEPKPS3_EEvT1_iilPiilS8_bb
; %bb.0:
	v_and_b32_e32 v31, 0x3ff, v0
	s_mov_b32 s4, exec_lo
	s_delay_alu instid0(VALU_DEP_1)
	v_cmpx_gt_u32_e32 9, v31
	s_cbranch_execz .LBB72_50
; %bb.1:
	s_clause 0x1
	s_load_b32 s15, s[2:3], 0x38
	s_load_b64 s[8:9], s[2:3], 0x0
	s_mov_b32 s10, ttmp9
	s_load_b128 s[4:7], s[2:3], 0x28
	s_wait_kmcnt 0x0
	s_bitcmp1_b32 s15, 8
	s_cselect_b32 s14, -1, 0
	s_ashr_i32 s11, ttmp9, 31
	s_delay_alu instid0(SALU_CYCLE_1) | instskip(NEXT) | instid1(SALU_CYCLE_1)
	s_lshl_b64 s[12:13], s[10:11], 3
	s_add_nc_u64 s[8:9], s[8:9], s[12:13]
	s_load_b64 s[12:13], s[8:9], 0x0
	s_bfe_u32 s8, s15, 0x10008
	s_delay_alu instid0(SALU_CYCLE_1)
	s_cmp_eq_u32 s8, 0
                                        ; implicit-def: $sgpr8_sgpr9
	s_cbranch_scc1 .LBB72_3
; %bb.2:
	s_load_b96 s[16:18], s[2:3], 0x18
	s_mul_u64 s[4:5], s[4:5], s[10:11]
	s_delay_alu instid0(SALU_CYCLE_1)
	s_lshl_b64 s[4:5], s[4:5], 2
	s_wait_kmcnt 0x0
	s_ashr_i32 s9, s18, 31
	s_mov_b32 s8, s18
	s_add_nc_u64 s[4:5], s[16:17], s[4:5]
	s_lshl_b64 s[8:9], s[8:9], 2
	s_delay_alu instid0(SALU_CYCLE_1)
	s_add_nc_u64 s[8:9], s[4:5], s[8:9]
.LBB72_3:
	s_clause 0x1
	s_load_b64 s[4:5], s[2:3], 0x8
	s_load_b32 s19, s[2:3], 0x38
	v_lshlrev_b32_e32 v32, 4, v31
	s_mov_b32 s18, 16
	s_mov_b32 s17, 32
	s_movk_i32 s15, 0x50
	s_movk_i32 s16, 0x70
	s_wait_kmcnt 0x0
	s_ashr_i32 s3, s4, 31
	s_mov_b32 s2, s4
	v_add3_u32 v5, s5, s5, v31
	s_lshl_b64 s[2:3], s[2:3], 4
	s_delay_alu instid0(SALU_CYCLE_1)
	s_add_nc_u64 s[2:3], s[12:13], s[2:3]
	s_ashr_i32 s13, s5, 31
	v_add_co_u32 v13, s4, s2, v32
	s_wait_alu 0xf1ff
	v_add_co_ci_u32_e64 v14, null, s3, 0, s4
	s_mov_b32 s12, s5
	v_ashrrev_i32_e32 v6, 31, v5
	s_lshl_b64 s[12:13], s[12:13], 4
	flat_load_b128 v[1:4], v[13:14]
	v_add_co_u32 v15, vcc_lo, v13, s12
	s_delay_alu instid0(VALU_DEP_1)
	v_add_co_ci_u32_e64 v16, null, s13, v14, vcc_lo
	v_lshlrev_b64_e32 v[6:7], 4, v[5:6]
	v_add_nc_u32_e32 v5, s5, v5
	s_mov_b32 s13, 48
	s_mov_b32 s4, 64
	s_movk_i32 s12, 0x80
	s_bitcmp0_b32 s19, 0
	v_add_co_u32 v17, vcc_lo, s2, v6
	s_wait_alu 0xfffd
	v_add_co_ci_u32_e64 v18, null, s3, v7, vcc_lo
	v_ashrrev_i32_e32 v6, 31, v5
	s_delay_alu instid0(VALU_DEP_1) | instskip(SKIP_1) | instid1(VALU_DEP_2)
	v_lshlrev_b64_e32 v[6:7], 4, v[5:6]
	v_add_nc_u32_e32 v5, s5, v5
	v_add_co_u32 v19, vcc_lo, s2, v6
	s_wait_alu 0xfffd
	s_delay_alu instid0(VALU_DEP_3) | instskip(NEXT) | instid1(VALU_DEP_3)
	v_add_co_ci_u32_e64 v20, null, s3, v7, vcc_lo
	v_ashrrev_i32_e32 v6, 31, v5
	s_delay_alu instid0(VALU_DEP_1) | instskip(SKIP_1) | instid1(VALU_DEP_2)
	v_lshlrev_b64_e32 v[6:7], 4, v[5:6]
	v_add_nc_u32_e32 v5, s5, v5
	v_add_co_u32 v21, vcc_lo, s2, v6
	s_wait_alu 0xfffd
	s_delay_alu instid0(VALU_DEP_3) | instskip(NEXT) | instid1(VALU_DEP_3)
	;; [unrolled: 8-line block ×4, first 2 shown]
	v_add_co_ci_u32_e64 v26, null, s3, v7, vcc_lo
	v_ashrrev_i32_e32 v6, 31, v5
	s_delay_alu instid0(VALU_DEP_1) | instskip(SKIP_2) | instid1(VALU_DEP_2)
	v_lshlrev_b64_e32 v[6:7], 4, v[5:6]
	v_add_nc_u32_e32 v5, s5, v5
	s_movk_i32 s5, 0x60
	v_add_co_u32 v27, vcc_lo, s2, v6
	s_wait_alu 0xfffd
	s_delay_alu instid0(VALU_DEP_3) | instskip(SKIP_1) | instid1(VALU_DEP_1)
	v_add_co_ci_u32_e64 v28, null, s3, v7, vcc_lo
	v_ashrrev_i32_e32 v6, 31, v5
	v_lshlrev_b64_e32 v[5:6], 4, v[5:6]
	s_delay_alu instid0(VALU_DEP_1) | instskip(SKIP_1) | instid1(VALU_DEP_2)
	v_add_co_u32 v29, vcc_lo, s2, v5
	s_wait_alu 0xfffd
	v_add_co_ci_u32_e64 v30, null, s3, v6, vcc_lo
	s_mov_b32 s3, -1
	s_wait_loadcnt_dscnt 0x0
	scratch_store_b128 off, v[1:4], off
	flat_load_b128 v[1:4], v[15:16]
	s_wait_loadcnt_dscnt 0x0
	scratch_store_b128 off, v[1:4], off offset:16
	flat_load_b128 v[1:4], v[17:18]
	s_wait_loadcnt_dscnt 0x0
	scratch_store_b128 off, v[1:4], off offset:32
	;; [unrolled: 3-line block ×8, first 2 shown]
	s_cbranch_scc1 .LBB72_48
; %bb.4:
	v_cmp_eq_u32_e64 s2, 0, v31
	s_and_saveexec_b32 s3, s2
; %bb.5:
	v_mov_b32_e32 v1, 0
	ds_store_b32 v1, v1 offset:288
; %bb.6:
	s_wait_alu 0xfffe
	s_or_b32 exec_lo, exec_lo, s3
	s_wait_storecnt_dscnt 0x0
	s_barrier_signal -1
	s_barrier_wait -1
	global_inv scope:SCOPE_SE
	scratch_load_b128 v[1:4], v32, off
	s_wait_loadcnt 0x0
	v_cmp_eq_f64_e32 vcc_lo, 0, v[1:2]
	v_cmp_eq_f64_e64 s3, 0, v[3:4]
	s_and_b32 s3, vcc_lo, s3
	s_wait_alu 0xfffe
	s_and_saveexec_b32 s19, s3
	s_cbranch_execz .LBB72_10
; %bb.7:
	v_mov_b32_e32 v1, 0
	s_mov_b32 s20, 0
	ds_load_b32 v2, v1 offset:288
	s_wait_dscnt 0x0
	v_readfirstlane_b32 s3, v2
	v_add_nc_u32_e32 v2, 1, v31
	s_cmp_eq_u32 s3, 0
	s_delay_alu instid0(VALU_DEP_1) | instskip(SKIP_1) | instid1(SALU_CYCLE_1)
	v_cmp_gt_i32_e32 vcc_lo, s3, v2
	s_cselect_b32 s21, -1, 0
	s_or_b32 s21, s21, vcc_lo
	s_delay_alu instid0(SALU_CYCLE_1)
	s_and_b32 exec_lo, exec_lo, s21
	s_cbranch_execz .LBB72_10
; %bb.8:
	v_mov_b32_e32 v3, s3
.LBB72_9:                               ; =>This Inner Loop Header: Depth=1
	ds_cmpstore_rtn_b32 v3, v1, v2, v3 offset:288
	s_wait_dscnt 0x0
	v_cmp_ne_u32_e32 vcc_lo, 0, v3
	v_cmp_le_i32_e64 s3, v3, v2
	s_and_b32 s3, vcc_lo, s3
	s_wait_alu 0xfffe
	s_and_b32 s3, exec_lo, s3
	s_wait_alu 0xfffe
	s_or_b32 s20, s3, s20
	s_delay_alu instid0(SALU_CYCLE_1)
	s_and_not1_b32 exec_lo, exec_lo, s20
	s_cbranch_execnz .LBB72_9
.LBB72_10:
	s_or_b32 exec_lo, exec_lo, s19
	v_mov_b32_e32 v1, 0
	s_barrier_signal -1
	s_barrier_wait -1
	global_inv scope:SCOPE_SE
	ds_load_b32 v2, v1 offset:288
	s_and_saveexec_b32 s3, s2
	s_cbranch_execz .LBB72_12
; %bb.11:
	s_lshl_b64 s[20:21], s[10:11], 2
	s_delay_alu instid0(SALU_CYCLE_1)
	s_add_nc_u64 s[20:21], s[6:7], s[20:21]
	s_wait_dscnt 0x0
	global_store_b32 v1, v2, s[20:21]
.LBB72_12:
	s_wait_alu 0xfffe
	s_or_b32 exec_lo, exec_lo, s3
	s_wait_dscnt 0x0
	v_cmp_ne_u32_e32 vcc_lo, 0, v2
	s_mov_b32 s3, 0
	s_cbranch_vccnz .LBB72_48
; %bb.13:
	v_mov_b32_e32 v33, v32
                                        ; implicit-def: $vgpr1_vgpr2
                                        ; implicit-def: $vgpr9_vgpr10
	scratch_load_b128 v[5:8], v33, off
	s_wait_loadcnt 0x0
	v_cmp_ngt_f64_e64 s3, |v[5:6]|, |v[7:8]|
	s_wait_alu 0xfffe
	s_and_saveexec_b32 s19, s3
	s_delay_alu instid0(SALU_CYCLE_1)
	s_xor_b32 s3, exec_lo, s19
	s_cbranch_execz .LBB72_15
; %bb.14:
	v_div_scale_f64 v[1:2], null, v[7:8], v[7:8], v[5:6]
	v_div_scale_f64 v[11:12], vcc_lo, v[5:6], v[7:8], v[5:6]
	s_delay_alu instid0(VALU_DEP_2) | instskip(NEXT) | instid1(TRANS32_DEP_1)
	v_rcp_f64_e32 v[3:4], v[1:2]
	v_fma_f64 v[9:10], -v[1:2], v[3:4], 1.0
	s_delay_alu instid0(VALU_DEP_1) | instskip(NEXT) | instid1(VALU_DEP_1)
	v_fma_f64 v[3:4], v[3:4], v[9:10], v[3:4]
	v_fma_f64 v[9:10], -v[1:2], v[3:4], 1.0
	s_delay_alu instid0(VALU_DEP_1) | instskip(NEXT) | instid1(VALU_DEP_1)
	v_fma_f64 v[3:4], v[3:4], v[9:10], v[3:4]
	v_mul_f64_e32 v[9:10], v[11:12], v[3:4]
	s_delay_alu instid0(VALU_DEP_1) | instskip(SKIP_1) | instid1(VALU_DEP_1)
	v_fma_f64 v[1:2], -v[1:2], v[9:10], v[11:12]
	s_wait_alu 0xfffd
	v_div_fmas_f64 v[1:2], v[1:2], v[3:4], v[9:10]
	s_delay_alu instid0(VALU_DEP_1) | instskip(NEXT) | instid1(VALU_DEP_1)
	v_div_fixup_f64 v[1:2], v[1:2], v[7:8], v[5:6]
	v_fma_f64 v[3:4], v[5:6], v[1:2], v[7:8]
	s_delay_alu instid0(VALU_DEP_1) | instskip(SKIP_1) | instid1(VALU_DEP_2)
	v_div_scale_f64 v[5:6], null, v[3:4], v[3:4], 1.0
	v_div_scale_f64 v[11:12], vcc_lo, 1.0, v[3:4], 1.0
	v_rcp_f64_e32 v[7:8], v[5:6]
	s_delay_alu instid0(TRANS32_DEP_1) | instskip(NEXT) | instid1(VALU_DEP_1)
	v_fma_f64 v[9:10], -v[5:6], v[7:8], 1.0
	v_fma_f64 v[7:8], v[7:8], v[9:10], v[7:8]
	s_delay_alu instid0(VALU_DEP_1) | instskip(NEXT) | instid1(VALU_DEP_1)
	v_fma_f64 v[9:10], -v[5:6], v[7:8], 1.0
	v_fma_f64 v[7:8], v[7:8], v[9:10], v[7:8]
	s_delay_alu instid0(VALU_DEP_1) | instskip(NEXT) | instid1(VALU_DEP_1)
	v_mul_f64_e32 v[9:10], v[11:12], v[7:8]
	v_fma_f64 v[5:6], -v[5:6], v[9:10], v[11:12]
	s_wait_alu 0xfffd
	s_delay_alu instid0(VALU_DEP_1) | instskip(NEXT) | instid1(VALU_DEP_1)
	v_div_fmas_f64 v[5:6], v[5:6], v[7:8], v[9:10]
	v_div_fixup_f64 v[3:4], v[5:6], v[3:4], 1.0
                                        ; implicit-def: $vgpr5_vgpr6
	s_delay_alu instid0(VALU_DEP_1) | instskip(SKIP_1) | instid1(VALU_DEP_2)
	v_mul_f64_e32 v[1:2], v[1:2], v[3:4]
	v_xor_b32_e32 v4, 0x80000000, v4
	v_xor_b32_e32 v10, 0x80000000, v2
	s_delay_alu instid0(VALU_DEP_3)
	v_mov_b32_e32 v9, v1
.LBB72_15:
	s_wait_alu 0xfffe
	s_and_not1_saveexec_b32 s3, s3
	s_cbranch_execz .LBB72_17
; %bb.16:
	v_div_scale_f64 v[1:2], null, v[5:6], v[5:6], v[7:8]
	v_div_scale_f64 v[11:12], vcc_lo, v[7:8], v[5:6], v[7:8]
	s_delay_alu instid0(VALU_DEP_2) | instskip(NEXT) | instid1(TRANS32_DEP_1)
	v_rcp_f64_e32 v[3:4], v[1:2]
	v_fma_f64 v[9:10], -v[1:2], v[3:4], 1.0
	s_delay_alu instid0(VALU_DEP_1) | instskip(NEXT) | instid1(VALU_DEP_1)
	v_fma_f64 v[3:4], v[3:4], v[9:10], v[3:4]
	v_fma_f64 v[9:10], -v[1:2], v[3:4], 1.0
	s_delay_alu instid0(VALU_DEP_1) | instskip(NEXT) | instid1(VALU_DEP_1)
	v_fma_f64 v[3:4], v[3:4], v[9:10], v[3:4]
	v_mul_f64_e32 v[9:10], v[11:12], v[3:4]
	s_delay_alu instid0(VALU_DEP_1) | instskip(SKIP_1) | instid1(VALU_DEP_1)
	v_fma_f64 v[1:2], -v[1:2], v[9:10], v[11:12]
	s_wait_alu 0xfffd
	v_div_fmas_f64 v[1:2], v[1:2], v[3:4], v[9:10]
	s_delay_alu instid0(VALU_DEP_1) | instskip(NEXT) | instid1(VALU_DEP_1)
	v_div_fixup_f64 v[3:4], v[1:2], v[5:6], v[7:8]
	v_fma_f64 v[1:2], v[7:8], v[3:4], v[5:6]
	s_delay_alu instid0(VALU_DEP_1) | instskip(NEXT) | instid1(VALU_DEP_1)
	v_div_scale_f64 v[5:6], null, v[1:2], v[1:2], 1.0
	v_rcp_f64_e32 v[7:8], v[5:6]
	s_delay_alu instid0(TRANS32_DEP_1) | instskip(NEXT) | instid1(VALU_DEP_1)
	v_fma_f64 v[9:10], -v[5:6], v[7:8], 1.0
	v_fma_f64 v[7:8], v[7:8], v[9:10], v[7:8]
	s_delay_alu instid0(VALU_DEP_1) | instskip(NEXT) | instid1(VALU_DEP_1)
	v_fma_f64 v[9:10], -v[5:6], v[7:8], 1.0
	v_fma_f64 v[7:8], v[7:8], v[9:10], v[7:8]
	v_div_scale_f64 v[9:10], vcc_lo, 1.0, v[1:2], 1.0
	s_delay_alu instid0(VALU_DEP_1) | instskip(NEXT) | instid1(VALU_DEP_1)
	v_mul_f64_e32 v[11:12], v[9:10], v[7:8]
	v_fma_f64 v[5:6], -v[5:6], v[11:12], v[9:10]
	s_wait_alu 0xfffd
	s_delay_alu instid0(VALU_DEP_1) | instskip(NEXT) | instid1(VALU_DEP_1)
	v_div_fmas_f64 v[5:6], v[5:6], v[7:8], v[11:12]
	v_div_fixup_f64 v[1:2], v[5:6], v[1:2], 1.0
	s_delay_alu instid0(VALU_DEP_1)
	v_mul_f64_e64 v[3:4], v[3:4], -v[1:2]
	v_xor_b32_e32 v10, 0x80000000, v2
	v_mov_b32_e32 v9, v1
.LBB72_17:
	s_wait_alu 0xfffe
	s_or_b32 exec_lo, exec_lo, s3
	scratch_store_b128 v33, v[1:4], off
	scratch_load_b128 v[34:37], off, s18
	v_xor_b32_e32 v12, 0x80000000, v4
	v_mov_b32_e32 v11, v3
	v_add_nc_u32_e32 v5, 0x90, v32
	ds_store_b128 v32, v[9:12]
	s_wait_loadcnt 0x0
	ds_store_b128 v32, v[34:37] offset:144
	s_wait_storecnt_dscnt 0x0
	s_barrier_signal -1
	s_barrier_wait -1
	global_inv scope:SCOPE_SE
	s_and_saveexec_b32 s3, s2
	s_cbranch_execz .LBB72_19
; %bb.18:
	scratch_load_b128 v[1:4], v33, off
	ds_load_b128 v[6:9], v5
	v_mov_b32_e32 v10, 0
	ds_load_b128 v[34:37], v10 offset:16
	s_wait_loadcnt_dscnt 0x1
	v_mul_f64_e32 v[10:11], v[6:7], v[3:4]
	v_mul_f64_e32 v[3:4], v[8:9], v[3:4]
	s_delay_alu instid0(VALU_DEP_2) | instskip(NEXT) | instid1(VALU_DEP_2)
	v_fma_f64 v[8:9], v[8:9], v[1:2], v[10:11]
	v_fma_f64 v[1:2], v[6:7], v[1:2], -v[3:4]
	s_delay_alu instid0(VALU_DEP_2) | instskip(NEXT) | instid1(VALU_DEP_2)
	v_add_f64_e32 v[3:4], 0, v[8:9]
	v_add_f64_e32 v[1:2], 0, v[1:2]
	s_wait_dscnt 0x0
	s_delay_alu instid0(VALU_DEP_2) | instskip(NEXT) | instid1(VALU_DEP_2)
	v_mul_f64_e32 v[6:7], v[3:4], v[36:37]
	v_mul_f64_e32 v[8:9], v[1:2], v[36:37]
	s_delay_alu instid0(VALU_DEP_2) | instskip(NEXT) | instid1(VALU_DEP_2)
	v_fma_f64 v[1:2], v[1:2], v[34:35], -v[6:7]
	v_fma_f64 v[3:4], v[3:4], v[34:35], v[8:9]
	scratch_store_b128 off, v[1:4], off offset:16
.LBB72_19:
	s_wait_alu 0xfffe
	s_or_b32 exec_lo, exec_lo, s3
	s_wait_loadcnt 0x0
	s_wait_storecnt 0x0
	s_barrier_signal -1
	s_barrier_wait -1
	global_inv scope:SCOPE_SE
	scratch_load_b128 v[1:4], off, s17
	s_mov_b32 s3, exec_lo
	s_wait_loadcnt 0x0
	ds_store_b128 v5, v[1:4]
	s_wait_dscnt 0x0
	s_barrier_signal -1
	s_barrier_wait -1
	global_inv scope:SCOPE_SE
	v_cmpx_gt_u32_e32 2, v31
	s_cbranch_execz .LBB72_23
; %bb.20:
	scratch_load_b128 v[1:4], v33, off
	ds_load_b128 v[6:9], v5
	s_wait_loadcnt_dscnt 0x0
	v_mul_f64_e32 v[10:11], v[8:9], v[3:4]
	v_mul_f64_e32 v[3:4], v[6:7], v[3:4]
	s_delay_alu instid0(VALU_DEP_2) | instskip(NEXT) | instid1(VALU_DEP_2)
	v_fma_f64 v[6:7], v[6:7], v[1:2], -v[10:11]
	v_fma_f64 v[3:4], v[8:9], v[1:2], v[3:4]
	s_delay_alu instid0(VALU_DEP_2) | instskip(NEXT) | instid1(VALU_DEP_2)
	v_add_f64_e32 v[1:2], 0, v[6:7]
	v_add_f64_e32 v[3:4], 0, v[3:4]
	s_and_saveexec_b32 s19, s2
	s_cbranch_execz .LBB72_22
; %bb.21:
	scratch_load_b128 v[6:9], off, off offset:16
	v_mov_b32_e32 v10, 0
	ds_load_b128 v[34:37], v10 offset:160
	s_wait_loadcnt_dscnt 0x0
	v_mul_f64_e32 v[10:11], v[34:35], v[8:9]
	v_mul_f64_e32 v[8:9], v[36:37], v[8:9]
	s_delay_alu instid0(VALU_DEP_2) | instskip(NEXT) | instid1(VALU_DEP_2)
	v_fma_f64 v[10:11], v[36:37], v[6:7], v[10:11]
	v_fma_f64 v[6:7], v[34:35], v[6:7], -v[8:9]
	s_delay_alu instid0(VALU_DEP_2) | instskip(NEXT) | instid1(VALU_DEP_2)
	v_add_f64_e32 v[3:4], v[3:4], v[10:11]
	v_add_f64_e32 v[1:2], v[1:2], v[6:7]
.LBB72_22:
	s_or_b32 exec_lo, exec_lo, s19
	v_mov_b32_e32 v6, 0
	ds_load_b128 v[6:9], v6 offset:32
	s_wait_dscnt 0x0
	v_mul_f64_e32 v[10:11], v[3:4], v[8:9]
	v_mul_f64_e32 v[8:9], v[1:2], v[8:9]
	s_delay_alu instid0(VALU_DEP_2) | instskip(NEXT) | instid1(VALU_DEP_2)
	v_fma_f64 v[1:2], v[1:2], v[6:7], -v[10:11]
	v_fma_f64 v[3:4], v[3:4], v[6:7], v[8:9]
	scratch_store_b128 off, v[1:4], off offset:32
.LBB72_23:
	s_wait_alu 0xfffe
	s_or_b32 exec_lo, exec_lo, s3
	s_wait_loadcnt 0x0
	s_wait_storecnt 0x0
	s_barrier_signal -1
	s_barrier_wait -1
	global_inv scope:SCOPE_SE
	scratch_load_b128 v[1:4], off, s13
	v_add_nc_u32_e32 v6, -1, v31
	s_mov_b32 s2, exec_lo
	s_wait_loadcnt 0x0
	ds_store_b128 v5, v[1:4]
	s_wait_dscnt 0x0
	s_barrier_signal -1
	s_barrier_wait -1
	global_inv scope:SCOPE_SE
	v_cmpx_gt_u32_e32 3, v31
	s_cbranch_execz .LBB72_27
; %bb.24:
	v_dual_mov_b32 v1, 0 :: v_dual_add_nc_u32 v8, 0x90, v32
	v_mov_b32_e32 v3, 0
	v_dual_mov_b32 v2, 0 :: v_dual_add_nc_u32 v7, -1, v31
	v_mov_b32_e32 v4, 0
	v_or_b32_e32 v9, 8, v33
	s_mov_b32 s3, 0
.LBB72_25:                              ; =>This Inner Loop Header: Depth=1
	scratch_load_b128 v[34:37], v9, off offset:-8
	ds_load_b128 v[38:41], v8
	v_add_nc_u32_e32 v7, 1, v7
	v_add_nc_u32_e32 v8, 16, v8
	v_add_nc_u32_e32 v9, 16, v9
	s_delay_alu instid0(VALU_DEP_3)
	v_cmp_lt_u32_e32 vcc_lo, 1, v7
	s_wait_alu 0xfffe
	s_or_b32 s3, vcc_lo, s3
	s_wait_loadcnt_dscnt 0x0
	v_mul_f64_e32 v[10:11], v[40:41], v[36:37]
	v_mul_f64_e32 v[36:37], v[38:39], v[36:37]
	s_delay_alu instid0(VALU_DEP_2) | instskip(NEXT) | instid1(VALU_DEP_2)
	v_fma_f64 v[10:11], v[38:39], v[34:35], -v[10:11]
	v_fma_f64 v[34:35], v[40:41], v[34:35], v[36:37]
	s_delay_alu instid0(VALU_DEP_2) | instskip(NEXT) | instid1(VALU_DEP_2)
	v_add_f64_e32 v[3:4], v[3:4], v[10:11]
	v_add_f64_e32 v[1:2], v[1:2], v[34:35]
	s_wait_alu 0xfffe
	s_and_not1_b32 exec_lo, exec_lo, s3
	s_cbranch_execnz .LBB72_25
; %bb.26:
	s_or_b32 exec_lo, exec_lo, s3
	v_mov_b32_e32 v7, 0
	ds_load_b128 v[7:10], v7 offset:48
	s_wait_dscnt 0x0
	v_mul_f64_e32 v[11:12], v[1:2], v[9:10]
	v_mul_f64_e32 v[34:35], v[3:4], v[9:10]
	s_delay_alu instid0(VALU_DEP_2) | instskip(NEXT) | instid1(VALU_DEP_2)
	v_fma_f64 v[9:10], v[3:4], v[7:8], -v[11:12]
	v_fma_f64 v[11:12], v[1:2], v[7:8], v[34:35]
	scratch_store_b128 off, v[9:12], off offset:48
.LBB72_27:
	s_wait_alu 0xfffe
	s_or_b32 exec_lo, exec_lo, s2
	s_wait_loadcnt 0x0
	s_wait_storecnt 0x0
	s_barrier_signal -1
	s_barrier_wait -1
	global_inv scope:SCOPE_SE
	scratch_load_b128 v[1:4], off, s4
	s_mov_b32 s2, exec_lo
	s_wait_loadcnt 0x0
	ds_store_b128 v5, v[1:4]
	s_wait_dscnt 0x0
	s_barrier_signal -1
	s_barrier_wait -1
	global_inv scope:SCOPE_SE
	v_cmpx_gt_u32_e32 4, v31
	s_cbranch_execz .LBB72_31
; %bb.28:
	v_dual_mov_b32 v1, 0 :: v_dual_add_nc_u32 v8, 0x90, v32
	v_mov_b32_e32 v3, 0
	v_dual_mov_b32 v2, 0 :: v_dual_add_nc_u32 v7, -1, v31
	v_mov_b32_e32 v4, 0
	v_or_b32_e32 v9, 8, v33
	s_mov_b32 s3, 0
.LBB72_29:                              ; =>This Inner Loop Header: Depth=1
	scratch_load_b128 v[34:37], v9, off offset:-8
	ds_load_b128 v[38:41], v8
	v_add_nc_u32_e32 v7, 1, v7
	v_add_nc_u32_e32 v8, 16, v8
	v_add_nc_u32_e32 v9, 16, v9
	s_delay_alu instid0(VALU_DEP_3)
	v_cmp_lt_u32_e32 vcc_lo, 2, v7
	s_wait_alu 0xfffe
	s_or_b32 s3, vcc_lo, s3
	s_wait_loadcnt_dscnt 0x0
	v_mul_f64_e32 v[10:11], v[40:41], v[36:37]
	v_mul_f64_e32 v[36:37], v[38:39], v[36:37]
	s_delay_alu instid0(VALU_DEP_2) | instskip(NEXT) | instid1(VALU_DEP_2)
	v_fma_f64 v[10:11], v[38:39], v[34:35], -v[10:11]
	v_fma_f64 v[34:35], v[40:41], v[34:35], v[36:37]
	s_delay_alu instid0(VALU_DEP_2) | instskip(NEXT) | instid1(VALU_DEP_2)
	v_add_f64_e32 v[3:4], v[3:4], v[10:11]
	v_add_f64_e32 v[1:2], v[1:2], v[34:35]
	s_wait_alu 0xfffe
	s_and_not1_b32 exec_lo, exec_lo, s3
	s_cbranch_execnz .LBB72_29
; %bb.30:
	s_or_b32 exec_lo, exec_lo, s3
	v_mov_b32_e32 v7, 0
	ds_load_b128 v[7:10], v7 offset:64
	s_wait_dscnt 0x0
	v_mul_f64_e32 v[11:12], v[1:2], v[9:10]
	v_mul_f64_e32 v[34:35], v[3:4], v[9:10]
	s_delay_alu instid0(VALU_DEP_2) | instskip(NEXT) | instid1(VALU_DEP_2)
	v_fma_f64 v[9:10], v[3:4], v[7:8], -v[11:12]
	v_fma_f64 v[11:12], v[1:2], v[7:8], v[34:35]
	scratch_store_b128 off, v[9:12], off offset:64
.LBB72_31:
	s_wait_alu 0xfffe
	s_or_b32 exec_lo, exec_lo, s2
	s_wait_loadcnt 0x0
	s_wait_storecnt 0x0
	s_barrier_signal -1
	s_barrier_wait -1
	global_inv scope:SCOPE_SE
	scratch_load_b128 v[1:4], off, s15
	;; [unrolled: 58-line block ×5, first 2 shown]
	s_mov_b32 s2, exec_lo
	s_wait_loadcnt 0x0
	ds_store_b128 v5, v[1:4]
	s_wait_dscnt 0x0
	s_barrier_signal -1
	s_barrier_wait -1
	global_inv scope:SCOPE_SE
	v_cmpx_ne_u32_e32 8, v31
	s_cbranch_execz .LBB72_47
; %bb.44:
	v_mov_b32_e32 v1, 0
	v_dual_mov_b32 v2, 0 :: v_dual_mov_b32 v3, 0
	v_mov_b32_e32 v4, 0
	v_or_b32_e32 v7, 8, v33
	s_mov_b32 s3, 0
.LBB72_45:                              ; =>This Inner Loop Header: Depth=1
	scratch_load_b128 v[8:11], v7, off offset:-8
	ds_load_b128 v[32:35], v5
	v_add_nc_u32_e32 v6, 1, v6
	v_add_nc_u32_e32 v5, 16, v5
	;; [unrolled: 1-line block ×3, first 2 shown]
	s_delay_alu instid0(VALU_DEP_3)
	v_cmp_lt_u32_e32 vcc_lo, 6, v6
	s_wait_alu 0xfffe
	s_or_b32 s3, vcc_lo, s3
	s_wait_loadcnt_dscnt 0x0
	v_mul_f64_e32 v[36:37], v[34:35], v[10:11]
	v_mul_f64_e32 v[10:11], v[32:33], v[10:11]
	s_delay_alu instid0(VALU_DEP_2) | instskip(NEXT) | instid1(VALU_DEP_2)
	v_fma_f64 v[32:33], v[32:33], v[8:9], -v[36:37]
	v_fma_f64 v[8:9], v[34:35], v[8:9], v[10:11]
	s_delay_alu instid0(VALU_DEP_2) | instskip(NEXT) | instid1(VALU_DEP_2)
	v_add_f64_e32 v[3:4], v[3:4], v[32:33]
	v_add_f64_e32 v[1:2], v[1:2], v[8:9]
	s_wait_alu 0xfffe
	s_and_not1_b32 exec_lo, exec_lo, s3
	s_cbranch_execnz .LBB72_45
; %bb.46:
	s_or_b32 exec_lo, exec_lo, s3
	v_mov_b32_e32 v5, 0
	ds_load_b128 v[5:8], v5 offset:128
	s_wait_dscnt 0x0
	v_mul_f64_e32 v[9:10], v[1:2], v[7:8]
	v_mul_f64_e32 v[7:8], v[3:4], v[7:8]
	s_delay_alu instid0(VALU_DEP_2) | instskip(NEXT) | instid1(VALU_DEP_2)
	v_fma_f64 v[3:4], v[3:4], v[5:6], -v[9:10]
	v_fma_f64 v[5:6], v[1:2], v[5:6], v[7:8]
	scratch_store_b128 off, v[3:6], off offset:128
.LBB72_47:
	s_wait_alu 0xfffe
	s_or_b32 exec_lo, exec_lo, s2
	s_mov_b32 s3, -1
	s_wait_loadcnt 0x0
	s_wait_storecnt 0x0
	s_barrier_signal -1
	s_barrier_wait -1
	global_inv scope:SCOPE_SE
.LBB72_48:
	s_wait_alu 0xfffe
	s_and_b32 vcc_lo, exec_lo, s3
	s_wait_alu 0xfffe
	s_cbranch_vccz .LBB72_50
; %bb.49:
	v_mov_b32_e32 v1, 0
	s_lshl_b64 s[2:3], s[10:11], 2
	s_wait_alu 0xfffe
	s_add_nc_u64 s[2:3], s[6:7], s[2:3]
	global_load_b32 v1, v1, s[2:3]
	s_wait_loadcnt 0x0
	v_cmp_ne_u32_e32 vcc_lo, 0, v1
	s_cbranch_vccz .LBB72_51
.LBB72_50:
	s_endpgm
.LBB72_51:
	v_lshl_add_u32 v5, v31, 4, 0x90
	s_mov_b32 s2, exec_lo
	v_cmpx_eq_u32_e32 8, v31
	s_cbranch_execz .LBB72_53
; %bb.52:
	scratch_load_b128 v[1:4], off, s16
	v_mov_b32_e32 v6, 0
	s_delay_alu instid0(VALU_DEP_1)
	v_dual_mov_b32 v7, v6 :: v_dual_mov_b32 v8, v6
	v_mov_b32_e32 v9, v6
	scratch_store_b128 off, v[6:9], off offset:112
	s_wait_loadcnt 0x0
	ds_store_b128 v5, v[1:4]
.LBB72_53:
	s_wait_alu 0xfffe
	s_or_b32 exec_lo, exec_lo, s2
	s_wait_storecnt_dscnt 0x0
	s_barrier_signal -1
	s_barrier_wait -1
	global_inv scope:SCOPE_SE
	s_clause 0x1
	scratch_load_b128 v[6:9], off, off offset:128
	scratch_load_b128 v[32:35], off, off offset:112
	v_mov_b32_e32 v1, 0
	s_mov_b32 s2, exec_lo
	ds_load_b128 v[36:39], v1 offset:272
	s_wait_loadcnt_dscnt 0x100
	v_mul_f64_e32 v[2:3], v[38:39], v[8:9]
	v_mul_f64_e32 v[8:9], v[36:37], v[8:9]
	s_delay_alu instid0(VALU_DEP_2) | instskip(NEXT) | instid1(VALU_DEP_2)
	v_fma_f64 v[2:3], v[36:37], v[6:7], -v[2:3]
	v_fma_f64 v[6:7], v[38:39], v[6:7], v[8:9]
	s_delay_alu instid0(VALU_DEP_2) | instskip(NEXT) | instid1(VALU_DEP_2)
	v_add_f64_e32 v[2:3], 0, v[2:3]
	v_add_f64_e32 v[8:9], 0, v[6:7]
	s_wait_loadcnt 0x0
	s_delay_alu instid0(VALU_DEP_2) | instskip(NEXT) | instid1(VALU_DEP_2)
	v_add_f64_e64 v[6:7], v[32:33], -v[2:3]
	v_add_f64_e64 v[8:9], v[34:35], -v[8:9]
	scratch_store_b128 off, v[6:9], off offset:112
	v_cmpx_lt_u32_e32 6, v31
	s_cbranch_execz .LBB72_55
; %bb.54:
	scratch_load_b128 v[6:9], off, s5
	v_dual_mov_b32 v2, v1 :: v_dual_mov_b32 v3, v1
	v_mov_b32_e32 v4, v1
	scratch_store_b128 off, v[1:4], off offset:96
	s_wait_loadcnt 0x0
	ds_store_b128 v5, v[6:9]
.LBB72_55:
	s_wait_alu 0xfffe
	s_or_b32 exec_lo, exec_lo, s2
	s_wait_storecnt_dscnt 0x0
	s_barrier_signal -1
	s_barrier_wait -1
	global_inv scope:SCOPE_SE
	s_clause 0x2
	scratch_load_b128 v[6:9], off, off offset:112
	scratch_load_b128 v[32:35], off, off offset:128
	;; [unrolled: 1-line block ×3, first 2 shown]
	ds_load_b128 v[40:43], v1 offset:256
	ds_load_b128 v[1:4], v1 offset:272
	s_mov_b32 s2, exec_lo
	s_wait_loadcnt_dscnt 0x201
	v_mul_f64_e32 v[10:11], v[42:43], v[8:9]
	v_mul_f64_e32 v[8:9], v[40:41], v[8:9]
	s_wait_loadcnt_dscnt 0x100
	v_mul_f64_e32 v[44:45], v[1:2], v[34:35]
	v_mul_f64_e32 v[34:35], v[3:4], v[34:35]
	s_delay_alu instid0(VALU_DEP_4) | instskip(NEXT) | instid1(VALU_DEP_4)
	v_fma_f64 v[10:11], v[40:41], v[6:7], -v[10:11]
	v_fma_f64 v[6:7], v[42:43], v[6:7], v[8:9]
	s_delay_alu instid0(VALU_DEP_4) | instskip(NEXT) | instid1(VALU_DEP_4)
	v_fma_f64 v[3:4], v[3:4], v[32:33], v[44:45]
	v_fma_f64 v[1:2], v[1:2], v[32:33], -v[34:35]
	s_delay_alu instid0(VALU_DEP_4) | instskip(NEXT) | instid1(VALU_DEP_4)
	v_add_f64_e32 v[8:9], 0, v[10:11]
	v_add_f64_e32 v[6:7], 0, v[6:7]
	s_delay_alu instid0(VALU_DEP_2) | instskip(NEXT) | instid1(VALU_DEP_2)
	v_add_f64_e32 v[1:2], v[8:9], v[1:2]
	v_add_f64_e32 v[3:4], v[6:7], v[3:4]
	s_wait_loadcnt 0x0
	s_delay_alu instid0(VALU_DEP_2) | instskip(NEXT) | instid1(VALU_DEP_2)
	v_add_f64_e64 v[1:2], v[36:37], -v[1:2]
	v_add_f64_e64 v[3:4], v[38:39], -v[3:4]
	scratch_store_b128 off, v[1:4], off offset:96
	v_cmpx_lt_u32_e32 5, v31
	s_cbranch_execz .LBB72_57
; %bb.56:
	scratch_load_b128 v[1:4], off, s15
	v_mov_b32_e32 v6, 0
	s_delay_alu instid0(VALU_DEP_1)
	v_dual_mov_b32 v7, v6 :: v_dual_mov_b32 v8, v6
	v_mov_b32_e32 v9, v6
	scratch_store_b128 off, v[6:9], off offset:80
	s_wait_loadcnt 0x0
	ds_store_b128 v5, v[1:4]
.LBB72_57:
	s_wait_alu 0xfffe
	s_or_b32 exec_lo, exec_lo, s2
	s_wait_storecnt_dscnt 0x0
	s_barrier_signal -1
	s_barrier_wait -1
	global_inv scope:SCOPE_SE
	s_clause 0x3
	scratch_load_b128 v[6:9], off, off offset:96
	scratch_load_b128 v[32:35], off, off offset:112
	;; [unrolled: 1-line block ×4, first 2 shown]
	v_mov_b32_e32 v1, 0
	ds_load_b128 v[44:47], v1 offset:240
	ds_load_b128 v[48:51], v1 offset:256
	s_mov_b32 s2, exec_lo
	s_wait_loadcnt_dscnt 0x301
	v_mul_f64_e32 v[2:3], v[46:47], v[8:9]
	v_mul_f64_e32 v[8:9], v[44:45], v[8:9]
	s_wait_loadcnt_dscnt 0x200
	v_mul_f64_e32 v[10:11], v[48:49], v[34:35]
	v_mul_f64_e32 v[34:35], v[50:51], v[34:35]
	s_delay_alu instid0(VALU_DEP_4) | instskip(NEXT) | instid1(VALU_DEP_4)
	v_fma_f64 v[2:3], v[44:45], v[6:7], -v[2:3]
	v_fma_f64 v[44:45], v[46:47], v[6:7], v[8:9]
	ds_load_b128 v[6:9], v1 offset:272
	v_fma_f64 v[10:11], v[50:51], v[32:33], v[10:11]
	v_fma_f64 v[32:33], v[48:49], v[32:33], -v[34:35]
	s_wait_loadcnt_dscnt 0x100
	v_mul_f64_e32 v[46:47], v[6:7], v[38:39]
	v_mul_f64_e32 v[38:39], v[8:9], v[38:39]
	v_add_f64_e32 v[2:3], 0, v[2:3]
	v_add_f64_e32 v[34:35], 0, v[44:45]
	s_delay_alu instid0(VALU_DEP_4) | instskip(NEXT) | instid1(VALU_DEP_4)
	v_fma_f64 v[8:9], v[8:9], v[36:37], v[46:47]
	v_fma_f64 v[6:7], v[6:7], v[36:37], -v[38:39]
	s_delay_alu instid0(VALU_DEP_4) | instskip(NEXT) | instid1(VALU_DEP_4)
	v_add_f64_e32 v[2:3], v[2:3], v[32:33]
	v_add_f64_e32 v[10:11], v[34:35], v[10:11]
	s_delay_alu instid0(VALU_DEP_2) | instskip(NEXT) | instid1(VALU_DEP_2)
	v_add_f64_e32 v[2:3], v[2:3], v[6:7]
	v_add_f64_e32 v[8:9], v[10:11], v[8:9]
	s_wait_loadcnt 0x0
	s_delay_alu instid0(VALU_DEP_2) | instskip(NEXT) | instid1(VALU_DEP_2)
	v_add_f64_e64 v[6:7], v[40:41], -v[2:3]
	v_add_f64_e64 v[8:9], v[42:43], -v[8:9]
	scratch_store_b128 off, v[6:9], off offset:80
	v_cmpx_lt_u32_e32 4, v31
	s_cbranch_execz .LBB72_59
; %bb.58:
	scratch_load_b128 v[6:9], off, s4
	v_dual_mov_b32 v2, v1 :: v_dual_mov_b32 v3, v1
	v_mov_b32_e32 v4, v1
	scratch_store_b128 off, v[1:4], off offset:64
	s_wait_loadcnt 0x0
	ds_store_b128 v5, v[6:9]
.LBB72_59:
	s_wait_alu 0xfffe
	s_or_b32 exec_lo, exec_lo, s2
	s_wait_storecnt_dscnt 0x0
	s_barrier_signal -1
	s_barrier_wait -1
	global_inv scope:SCOPE_SE
	s_clause 0x4
	scratch_load_b128 v[6:9], off, off offset:80
	scratch_load_b128 v[32:35], off, off offset:96
	;; [unrolled: 1-line block ×5, first 2 shown]
	ds_load_b128 v[48:51], v1 offset:224
	ds_load_b128 v[52:55], v1 offset:240
	s_mov_b32 s2, exec_lo
	s_wait_loadcnt_dscnt 0x401
	v_mul_f64_e32 v[2:3], v[50:51], v[8:9]
	v_mul_f64_e32 v[8:9], v[48:49], v[8:9]
	s_wait_loadcnt_dscnt 0x300
	v_mul_f64_e32 v[10:11], v[52:53], v[34:35]
	v_mul_f64_e32 v[34:35], v[54:55], v[34:35]
	s_delay_alu instid0(VALU_DEP_4) | instskip(NEXT) | instid1(VALU_DEP_4)
	v_fma_f64 v[48:49], v[48:49], v[6:7], -v[2:3]
	v_fma_f64 v[50:51], v[50:51], v[6:7], v[8:9]
	ds_load_b128 v[6:9], v1 offset:256
	ds_load_b128 v[1:4], v1 offset:272
	v_fma_f64 v[10:11], v[54:55], v[32:33], v[10:11]
	v_fma_f64 v[32:33], v[52:53], v[32:33], -v[34:35]
	s_wait_loadcnt_dscnt 0x201
	v_mul_f64_e32 v[56:57], v[6:7], v[38:39]
	v_mul_f64_e32 v[38:39], v[8:9], v[38:39]
	v_add_f64_e32 v[34:35], 0, v[48:49]
	v_add_f64_e32 v[48:49], 0, v[50:51]
	s_wait_loadcnt_dscnt 0x100
	v_mul_f64_e32 v[50:51], v[1:2], v[42:43]
	v_mul_f64_e32 v[42:43], v[3:4], v[42:43]
	v_fma_f64 v[8:9], v[8:9], v[36:37], v[56:57]
	v_fma_f64 v[6:7], v[6:7], v[36:37], -v[38:39]
	v_add_f64_e32 v[32:33], v[34:35], v[32:33]
	v_add_f64_e32 v[10:11], v[48:49], v[10:11]
	v_fma_f64 v[3:4], v[3:4], v[40:41], v[50:51]
	v_fma_f64 v[1:2], v[1:2], v[40:41], -v[42:43]
	s_delay_alu instid0(VALU_DEP_4) | instskip(NEXT) | instid1(VALU_DEP_4)
	v_add_f64_e32 v[6:7], v[32:33], v[6:7]
	v_add_f64_e32 v[8:9], v[10:11], v[8:9]
	s_delay_alu instid0(VALU_DEP_2) | instskip(NEXT) | instid1(VALU_DEP_2)
	v_add_f64_e32 v[1:2], v[6:7], v[1:2]
	v_add_f64_e32 v[3:4], v[8:9], v[3:4]
	s_wait_loadcnt 0x0
	s_delay_alu instid0(VALU_DEP_2) | instskip(NEXT) | instid1(VALU_DEP_2)
	v_add_f64_e64 v[1:2], v[44:45], -v[1:2]
	v_add_f64_e64 v[3:4], v[46:47], -v[3:4]
	scratch_store_b128 off, v[1:4], off offset:64
	v_cmpx_lt_u32_e32 3, v31
	s_cbranch_execz .LBB72_61
; %bb.60:
	scratch_load_b128 v[1:4], off, s13
	v_mov_b32_e32 v6, 0
	s_delay_alu instid0(VALU_DEP_1)
	v_dual_mov_b32 v7, v6 :: v_dual_mov_b32 v8, v6
	v_mov_b32_e32 v9, v6
	scratch_store_b128 off, v[6:9], off offset:48
	s_wait_loadcnt 0x0
	ds_store_b128 v5, v[1:4]
.LBB72_61:
	s_wait_alu 0xfffe
	s_or_b32 exec_lo, exec_lo, s2
	s_wait_storecnt_dscnt 0x0
	s_barrier_signal -1
	s_barrier_wait -1
	global_inv scope:SCOPE_SE
	s_clause 0x5
	scratch_load_b128 v[6:9], off, off offset:64
	scratch_load_b128 v[32:35], off, off offset:80
	scratch_load_b128 v[36:39], off, off offset:96
	scratch_load_b128 v[40:43], off, off offset:112
	scratch_load_b128 v[44:47], off, off offset:128
	scratch_load_b128 v[48:51], off, off offset:48
	v_mov_b32_e32 v1, 0
	ds_load_b128 v[52:55], v1 offset:208
	ds_load_b128 v[56:59], v1 offset:224
	s_mov_b32 s2, exec_lo
	s_wait_loadcnt_dscnt 0x501
	v_mul_f64_e32 v[2:3], v[54:55], v[8:9]
	v_mul_f64_e32 v[8:9], v[52:53], v[8:9]
	s_wait_loadcnt_dscnt 0x400
	v_mul_f64_e32 v[10:11], v[56:57], v[34:35]
	v_mul_f64_e32 v[34:35], v[58:59], v[34:35]
	s_delay_alu instid0(VALU_DEP_4) | instskip(NEXT) | instid1(VALU_DEP_4)
	v_fma_f64 v[2:3], v[52:53], v[6:7], -v[2:3]
	v_fma_f64 v[60:61], v[54:55], v[6:7], v[8:9]
	ds_load_b128 v[6:9], v1 offset:240
	ds_load_b128 v[52:55], v1 offset:256
	v_fma_f64 v[10:11], v[58:59], v[32:33], v[10:11]
	v_fma_f64 v[32:33], v[56:57], v[32:33], -v[34:35]
	s_wait_loadcnt_dscnt 0x301
	v_mul_f64_e32 v[62:63], v[6:7], v[38:39]
	v_mul_f64_e32 v[38:39], v[8:9], v[38:39]
	s_wait_loadcnt_dscnt 0x200
	v_mul_f64_e32 v[56:57], v[52:53], v[42:43]
	v_mul_f64_e32 v[42:43], v[54:55], v[42:43]
	v_add_f64_e32 v[2:3], 0, v[2:3]
	v_add_f64_e32 v[34:35], 0, v[60:61]
	v_fma_f64 v[58:59], v[8:9], v[36:37], v[62:63]
	v_fma_f64 v[36:37], v[6:7], v[36:37], -v[38:39]
	ds_load_b128 v[6:9], v1 offset:272
	v_fma_f64 v[38:39], v[54:55], v[40:41], v[56:57]
	v_fma_f64 v[40:41], v[52:53], v[40:41], -v[42:43]
	v_add_f64_e32 v[2:3], v[2:3], v[32:33]
	v_add_f64_e32 v[10:11], v[34:35], v[10:11]
	s_wait_loadcnt_dscnt 0x100
	v_mul_f64_e32 v[32:33], v[6:7], v[46:47]
	v_mul_f64_e32 v[34:35], v[8:9], v[46:47]
	s_delay_alu instid0(VALU_DEP_4) | instskip(NEXT) | instid1(VALU_DEP_4)
	v_add_f64_e32 v[2:3], v[2:3], v[36:37]
	v_add_f64_e32 v[10:11], v[10:11], v[58:59]
	s_delay_alu instid0(VALU_DEP_4) | instskip(NEXT) | instid1(VALU_DEP_4)
	v_fma_f64 v[8:9], v[8:9], v[44:45], v[32:33]
	v_fma_f64 v[6:7], v[6:7], v[44:45], -v[34:35]
	s_delay_alu instid0(VALU_DEP_4) | instskip(NEXT) | instid1(VALU_DEP_4)
	v_add_f64_e32 v[2:3], v[2:3], v[40:41]
	v_add_f64_e32 v[10:11], v[10:11], v[38:39]
	s_delay_alu instid0(VALU_DEP_2) | instskip(NEXT) | instid1(VALU_DEP_2)
	v_add_f64_e32 v[2:3], v[2:3], v[6:7]
	v_add_f64_e32 v[8:9], v[10:11], v[8:9]
	s_wait_loadcnt 0x0
	s_delay_alu instid0(VALU_DEP_2) | instskip(NEXT) | instid1(VALU_DEP_2)
	v_add_f64_e64 v[6:7], v[48:49], -v[2:3]
	v_add_f64_e64 v[8:9], v[50:51], -v[8:9]
	scratch_store_b128 off, v[6:9], off offset:48
	v_cmpx_lt_u32_e32 2, v31
	s_cbranch_execz .LBB72_63
; %bb.62:
	scratch_load_b128 v[6:9], off, s17
	v_dual_mov_b32 v2, v1 :: v_dual_mov_b32 v3, v1
	v_mov_b32_e32 v4, v1
	scratch_store_b128 off, v[1:4], off offset:32
	s_wait_loadcnt 0x0
	ds_store_b128 v5, v[6:9]
.LBB72_63:
	s_wait_alu 0xfffe
	s_or_b32 exec_lo, exec_lo, s2
	s_wait_storecnt_dscnt 0x0
	s_barrier_signal -1
	s_barrier_wait -1
	global_inv scope:SCOPE_SE
	s_clause 0x5
	scratch_load_b128 v[6:9], off, off offset:48
	scratch_load_b128 v[32:35], off, off offset:64
	;; [unrolled: 1-line block ×6, first 2 shown]
	ds_load_b128 v[52:55], v1 offset:192
	ds_load_b128 v[60:63], v1 offset:208
	scratch_load_b128 v[56:59], off, off offset:32
	s_mov_b32 s2, exec_lo
	s_wait_loadcnt_dscnt 0x601
	v_mul_f64_e32 v[2:3], v[54:55], v[8:9]
	v_mul_f64_e32 v[8:9], v[52:53], v[8:9]
	s_wait_loadcnt_dscnt 0x500
	v_mul_f64_e32 v[10:11], v[60:61], v[34:35]
	v_mul_f64_e32 v[34:35], v[62:63], v[34:35]
	s_delay_alu instid0(VALU_DEP_4) | instskip(NEXT) | instid1(VALU_DEP_4)
	v_fma_f64 v[2:3], v[52:53], v[6:7], -v[2:3]
	v_fma_f64 v[64:65], v[54:55], v[6:7], v[8:9]
	ds_load_b128 v[6:9], v1 offset:224
	ds_load_b128 v[52:55], v1 offset:240
	v_fma_f64 v[10:11], v[62:63], v[32:33], v[10:11]
	v_fma_f64 v[32:33], v[60:61], v[32:33], -v[34:35]
	s_wait_loadcnt_dscnt 0x401
	v_mul_f64_e32 v[66:67], v[6:7], v[38:39]
	v_mul_f64_e32 v[38:39], v[8:9], v[38:39]
	s_wait_loadcnt_dscnt 0x300
	v_mul_f64_e32 v[60:61], v[52:53], v[42:43]
	v_mul_f64_e32 v[42:43], v[54:55], v[42:43]
	v_add_f64_e32 v[2:3], 0, v[2:3]
	v_add_f64_e32 v[34:35], 0, v[64:65]
	v_fma_f64 v[62:63], v[8:9], v[36:37], v[66:67]
	v_fma_f64 v[36:37], v[6:7], v[36:37], -v[38:39]
	s_delay_alu instid0(VALU_DEP_4) | instskip(NEXT) | instid1(VALU_DEP_4)
	v_add_f64_e32 v[32:33], v[2:3], v[32:33]
	v_add_f64_e32 v[10:11], v[34:35], v[10:11]
	ds_load_b128 v[6:9], v1 offset:256
	ds_load_b128 v[1:4], v1 offset:272
	s_wait_loadcnt_dscnt 0x201
	v_mul_f64_e32 v[34:35], v[6:7], v[46:47]
	v_mul_f64_e32 v[38:39], v[8:9], v[46:47]
	v_fma_f64 v[46:47], v[54:55], v[40:41], v[60:61]
	v_fma_f64 v[40:41], v[52:53], v[40:41], -v[42:43]
	s_wait_loadcnt_dscnt 0x100
	v_mul_f64_e32 v[42:43], v[3:4], v[50:51]
	v_add_f64_e32 v[32:33], v[32:33], v[36:37]
	v_add_f64_e32 v[10:11], v[10:11], v[62:63]
	v_mul_f64_e32 v[36:37], v[1:2], v[50:51]
	v_fma_f64 v[8:9], v[8:9], v[44:45], v[34:35]
	v_fma_f64 v[6:7], v[6:7], v[44:45], -v[38:39]
	v_fma_f64 v[1:2], v[1:2], v[48:49], -v[42:43]
	v_add_f64_e32 v[32:33], v[32:33], v[40:41]
	v_add_f64_e32 v[10:11], v[10:11], v[46:47]
	v_fma_f64 v[3:4], v[3:4], v[48:49], v[36:37]
	s_delay_alu instid0(VALU_DEP_3) | instskip(NEXT) | instid1(VALU_DEP_3)
	v_add_f64_e32 v[6:7], v[32:33], v[6:7]
	v_add_f64_e32 v[8:9], v[10:11], v[8:9]
	s_delay_alu instid0(VALU_DEP_2) | instskip(NEXT) | instid1(VALU_DEP_2)
	v_add_f64_e32 v[1:2], v[6:7], v[1:2]
	v_add_f64_e32 v[3:4], v[8:9], v[3:4]
	s_wait_loadcnt 0x0
	s_delay_alu instid0(VALU_DEP_2) | instskip(NEXT) | instid1(VALU_DEP_2)
	v_add_f64_e64 v[1:2], v[56:57], -v[1:2]
	v_add_f64_e64 v[3:4], v[58:59], -v[3:4]
	scratch_store_b128 off, v[1:4], off offset:32
	v_cmpx_lt_u32_e32 1, v31
	s_cbranch_execz .LBB72_65
; %bb.64:
	scratch_load_b128 v[1:4], off, s18
	v_mov_b32_e32 v6, 0
	s_delay_alu instid0(VALU_DEP_1)
	v_dual_mov_b32 v7, v6 :: v_dual_mov_b32 v8, v6
	v_mov_b32_e32 v9, v6
	scratch_store_b128 off, v[6:9], off offset:16
	s_wait_loadcnt 0x0
	ds_store_b128 v5, v[1:4]
.LBB72_65:
	s_wait_alu 0xfffe
	s_or_b32 exec_lo, exec_lo, s2
	s_wait_storecnt_dscnt 0x0
	s_barrier_signal -1
	s_barrier_wait -1
	global_inv scope:SCOPE_SE
	s_clause 0x6
	scratch_load_b128 v[6:9], off, off offset:32
	scratch_load_b128 v[32:35], off, off offset:48
	scratch_load_b128 v[36:39], off, off offset:64
	scratch_load_b128 v[40:43], off, off offset:80
	scratch_load_b128 v[44:47], off, off offset:96
	scratch_load_b128 v[48:51], off, off offset:112
	scratch_load_b128 v[52:55], off, off offset:128
	v_mov_b32_e32 v1, 0
	scratch_load_b128 v[60:63], off, off offset:16
	s_mov_b32 s2, exec_lo
	ds_load_b128 v[56:59], v1 offset:176
	ds_load_b128 v[64:67], v1 offset:192
	s_wait_loadcnt_dscnt 0x701
	v_mul_f64_e32 v[2:3], v[58:59], v[8:9]
	v_mul_f64_e32 v[8:9], v[56:57], v[8:9]
	s_wait_loadcnt_dscnt 0x600
	v_mul_f64_e32 v[10:11], v[64:65], v[34:35]
	v_mul_f64_e32 v[34:35], v[66:67], v[34:35]
	s_delay_alu instid0(VALU_DEP_4) | instskip(NEXT) | instid1(VALU_DEP_4)
	v_fma_f64 v[2:3], v[56:57], v[6:7], -v[2:3]
	v_fma_f64 v[68:69], v[58:59], v[6:7], v[8:9]
	ds_load_b128 v[6:9], v1 offset:208
	ds_load_b128 v[56:59], v1 offset:224
	v_fma_f64 v[10:11], v[66:67], v[32:33], v[10:11]
	v_fma_f64 v[32:33], v[64:65], v[32:33], -v[34:35]
	s_wait_loadcnt_dscnt 0x501
	v_mul_f64_e32 v[70:71], v[6:7], v[38:39]
	v_mul_f64_e32 v[38:39], v[8:9], v[38:39]
	s_wait_loadcnt_dscnt 0x400
	v_mul_f64_e32 v[64:65], v[56:57], v[42:43]
	v_mul_f64_e32 v[42:43], v[58:59], v[42:43]
	v_add_f64_e32 v[2:3], 0, v[2:3]
	v_add_f64_e32 v[34:35], 0, v[68:69]
	v_fma_f64 v[66:67], v[8:9], v[36:37], v[70:71]
	v_fma_f64 v[36:37], v[6:7], v[36:37], -v[38:39]
	v_fma_f64 v[58:59], v[58:59], v[40:41], v[64:65]
	v_fma_f64 v[40:41], v[56:57], v[40:41], -v[42:43]
	v_add_f64_e32 v[2:3], v[2:3], v[32:33]
	v_add_f64_e32 v[10:11], v[34:35], v[10:11]
	ds_load_b128 v[6:9], v1 offset:240
	ds_load_b128 v[32:35], v1 offset:256
	s_wait_loadcnt_dscnt 0x301
	v_mul_f64_e32 v[38:39], v[6:7], v[46:47]
	v_mul_f64_e32 v[46:47], v[8:9], v[46:47]
	s_wait_loadcnt_dscnt 0x200
	v_mul_f64_e32 v[42:43], v[34:35], v[50:51]
	v_add_f64_e32 v[2:3], v[2:3], v[36:37]
	v_add_f64_e32 v[10:11], v[10:11], v[66:67]
	v_mul_f64_e32 v[36:37], v[32:33], v[50:51]
	v_fma_f64 v[38:39], v[8:9], v[44:45], v[38:39]
	v_fma_f64 v[44:45], v[6:7], v[44:45], -v[46:47]
	ds_load_b128 v[6:9], v1 offset:272
	v_fma_f64 v[32:33], v[32:33], v[48:49], -v[42:43]
	v_add_f64_e32 v[2:3], v[2:3], v[40:41]
	v_add_f64_e32 v[10:11], v[10:11], v[58:59]
	v_fma_f64 v[34:35], v[34:35], v[48:49], v[36:37]
	s_wait_loadcnt_dscnt 0x100
	v_mul_f64_e32 v[40:41], v[6:7], v[54:55]
	v_mul_f64_e32 v[46:47], v[8:9], v[54:55]
	v_add_f64_e32 v[2:3], v[2:3], v[44:45]
	v_add_f64_e32 v[10:11], v[10:11], v[38:39]
	s_delay_alu instid0(VALU_DEP_4) | instskip(NEXT) | instid1(VALU_DEP_4)
	v_fma_f64 v[8:9], v[8:9], v[52:53], v[40:41]
	v_fma_f64 v[6:7], v[6:7], v[52:53], -v[46:47]
	s_delay_alu instid0(VALU_DEP_4) | instskip(NEXT) | instid1(VALU_DEP_4)
	v_add_f64_e32 v[2:3], v[2:3], v[32:33]
	v_add_f64_e32 v[10:11], v[10:11], v[34:35]
	s_delay_alu instid0(VALU_DEP_2) | instskip(NEXT) | instid1(VALU_DEP_2)
	v_add_f64_e32 v[2:3], v[2:3], v[6:7]
	v_add_f64_e32 v[8:9], v[10:11], v[8:9]
	s_wait_loadcnt 0x0
	s_delay_alu instid0(VALU_DEP_2) | instskip(NEXT) | instid1(VALU_DEP_2)
	v_add_f64_e64 v[6:7], v[60:61], -v[2:3]
	v_add_f64_e64 v[8:9], v[62:63], -v[8:9]
	scratch_store_b128 off, v[6:9], off offset:16
	v_cmpx_ne_u32_e32 0, v31
	s_cbranch_execz .LBB72_67
; %bb.66:
	scratch_load_b128 v[6:9], off, off
	v_dual_mov_b32 v2, v1 :: v_dual_mov_b32 v3, v1
	v_mov_b32_e32 v4, v1
	scratch_store_b128 off, v[1:4], off
	s_wait_loadcnt 0x0
	ds_store_b128 v5, v[6:9]
.LBB72_67:
	s_wait_alu 0xfffe
	s_or_b32 exec_lo, exec_lo, s2
	s_wait_storecnt_dscnt 0x0
	s_barrier_signal -1
	s_barrier_wait -1
	global_inv scope:SCOPE_SE
	s_clause 0x7
	scratch_load_b128 v[2:5], off, off offset:16
	scratch_load_b128 v[6:9], off, off offset:32
	;; [unrolled: 1-line block ×8, first 2 shown]
	ds_load_b128 v[56:59], v1 offset:160
	ds_load_b128 v[60:63], v1 offset:176
	scratch_load_b128 v[64:67], off, off
	s_and_b32 vcc_lo, exec_lo, s14
	s_wait_loadcnt_dscnt 0x801
	v_mul_f64_e32 v[10:11], v[58:59], v[4:5]
	v_mul_f64_e32 v[4:5], v[56:57], v[4:5]
	s_wait_loadcnt_dscnt 0x700
	v_mul_f64_e32 v[68:69], v[60:61], v[8:9]
	v_mul_f64_e32 v[70:71], v[62:63], v[8:9]
	s_delay_alu instid0(VALU_DEP_4) | instskip(NEXT) | instid1(VALU_DEP_4)
	v_fma_f64 v[56:57], v[56:57], v[2:3], -v[10:11]
	v_fma_f64 v[58:59], v[58:59], v[2:3], v[4:5]
	ds_load_b128 v[2:5], v1 offset:192
	ds_load_b128 v[8:11], v1 offset:208
	v_fma_f64 v[62:63], v[62:63], v[6:7], v[68:69]
	v_fma_f64 v[6:7], v[60:61], v[6:7], -v[70:71]
	s_wait_loadcnt_dscnt 0x601
	v_mul_f64_e32 v[72:73], v[2:3], v[34:35]
	v_mul_f64_e32 v[34:35], v[4:5], v[34:35]
	s_wait_loadcnt_dscnt 0x500
	v_mul_f64_e32 v[60:61], v[8:9], v[38:39]
	v_mul_f64_e32 v[38:39], v[10:11], v[38:39]
	v_add_f64_e32 v[56:57], 0, v[56:57]
	v_add_f64_e32 v[58:59], 0, v[58:59]
	v_fma_f64 v[68:69], v[4:5], v[32:33], v[72:73]
	v_fma_f64 v[70:71], v[2:3], v[32:33], -v[34:35]
	ds_load_b128 v[2:5], v1 offset:224
	ds_load_b128 v[32:35], v1 offset:240
	v_fma_f64 v[10:11], v[10:11], v[36:37], v[60:61]
	v_fma_f64 v[8:9], v[8:9], v[36:37], -v[38:39]
	v_add_f64_e32 v[6:7], v[56:57], v[6:7]
	v_add_f64_e32 v[56:57], v[58:59], v[62:63]
	s_wait_loadcnt_dscnt 0x401
	v_mul_f64_e32 v[58:59], v[2:3], v[42:43]
	v_mul_f64_e32 v[42:43], v[4:5], v[42:43]
	s_wait_loadcnt_dscnt 0x300
	v_mul_f64_e32 v[38:39], v[32:33], v[46:47]
	v_mul_f64_e32 v[46:47], v[34:35], v[46:47]
	v_add_f64_e32 v[6:7], v[6:7], v[70:71]
	v_add_f64_e32 v[36:37], v[56:57], v[68:69]
	v_fma_f64 v[56:57], v[4:5], v[40:41], v[58:59]
	v_fma_f64 v[40:41], v[2:3], v[40:41], -v[42:43]
	v_fma_f64 v[34:35], v[34:35], v[44:45], v[38:39]
	v_fma_f64 v[32:33], v[32:33], v[44:45], -v[46:47]
	v_add_f64_e32 v[42:43], v[6:7], v[8:9]
	v_add_f64_e32 v[10:11], v[36:37], v[10:11]
	ds_load_b128 v[2:5], v1 offset:256
	ds_load_b128 v[6:9], v1 offset:272
	s_wait_loadcnt_dscnt 0x201
	v_mul_f64_e32 v[36:37], v[2:3], v[50:51]
	v_mul_f64_e32 v[50:51], v[4:5], v[50:51]
	v_add_f64_e32 v[38:39], v[42:43], v[40:41]
	v_add_f64_e32 v[10:11], v[10:11], v[56:57]
	s_wait_loadcnt_dscnt 0x100
	v_mul_f64_e32 v[40:41], v[6:7], v[54:55]
	v_mul_f64_e32 v[42:43], v[8:9], v[54:55]
	v_fma_f64 v[4:5], v[4:5], v[48:49], v[36:37]
	v_fma_f64 v[1:2], v[2:3], v[48:49], -v[50:51]
	v_add_f64_e32 v[32:33], v[38:39], v[32:33]
	v_add_f64_e32 v[10:11], v[10:11], v[34:35]
	v_fma_f64 v[8:9], v[8:9], v[52:53], v[40:41]
	v_fma_f64 v[6:7], v[6:7], v[52:53], -v[42:43]
	s_delay_alu instid0(VALU_DEP_4) | instskip(NEXT) | instid1(VALU_DEP_4)
	v_add_f64_e32 v[1:2], v[32:33], v[1:2]
	v_add_f64_e32 v[3:4], v[10:11], v[4:5]
	s_delay_alu instid0(VALU_DEP_2) | instskip(NEXT) | instid1(VALU_DEP_2)
	v_add_f64_e32 v[1:2], v[1:2], v[6:7]
	v_add_f64_e32 v[3:4], v[3:4], v[8:9]
	s_wait_loadcnt 0x0
	s_delay_alu instid0(VALU_DEP_2) | instskip(NEXT) | instid1(VALU_DEP_2)
	v_add_f64_e64 v[1:2], v[64:65], -v[1:2]
	v_add_f64_e64 v[3:4], v[66:67], -v[3:4]
	scratch_store_b128 off, v[1:4], off
	s_wait_alu 0xfffe
	s_cbranch_vccz .LBB72_84
; %bb.68:
	v_mov_b32_e32 v1, 0
	s_load_b64 s[0:1], s[0:1], 0x4
	v_bfe_u32 v3, v0, 10, 10
	v_bfe_u32 v0, v0, 20, 10
	global_load_b32 v2, v1, s[8:9] offset:28
	s_wait_kmcnt 0x0
	s_lshr_b32 s0, s0, 16
	v_mul_u32_u24_e32 v3, s1, v3
	s_mul_i32 s0, s0, s1
	s_wait_alu 0xfffe
	v_mul_u32_u24_e32 v4, s0, v31
	s_delay_alu instid0(VALU_DEP_1) | instskip(NEXT) | instid1(VALU_DEP_1)
	v_add3_u32 v0, v4, v3, v0
	v_lshl_add_u32 v0, v0, 4, 0x128
	s_wait_loadcnt 0x0
	v_cmp_ne_u32_e32 vcc_lo, 8, v2
	s_cbranch_vccz .LBB72_70
; %bb.69:
	v_lshlrev_b32_e32 v2, 4, v2
	s_delay_alu instid0(VALU_DEP_1)
	v_mov_b32_e32 v10, v2
	s_clause 0x1
	scratch_load_b128 v[2:5], off, s16
	scratch_load_b128 v[6:9], v10, off offset:-16
	s_wait_loadcnt 0x1
	ds_store_2addr_b64 v0, v[2:3], v[4:5] offset1:1
	s_wait_loadcnt 0x0
	s_clause 0x1
	scratch_store_b128 off, v[6:9], s16
	scratch_store_b128 v10, v[2:5], off offset:-16
.LBB72_70:
	global_load_b32 v1, v1, s[8:9] offset:24
	s_wait_loadcnt 0x0
	v_cmp_eq_u32_e32 vcc_lo, 7, v1
	s_cbranch_vccnz .LBB72_72
; %bb.71:
	v_lshlrev_b32_e32 v1, 4, v1
	s_delay_alu instid0(VALU_DEP_1)
	v_mov_b32_e32 v9, v1
	s_clause 0x1
	scratch_load_b128 v[1:4], off, s5
	scratch_load_b128 v[5:8], v9, off offset:-16
	s_wait_loadcnt 0x1
	ds_store_2addr_b64 v0, v[1:2], v[3:4] offset1:1
	s_wait_loadcnt 0x0
	s_clause 0x1
	scratch_store_b128 off, v[5:8], s5
	scratch_store_b128 v9, v[1:4], off offset:-16
.LBB72_72:
	v_mov_b32_e32 v1, 0
	global_load_b32 v2, v1, s[8:9] offset:20
	s_wait_loadcnt 0x0
	v_cmp_eq_u32_e32 vcc_lo, 6, v2
	s_cbranch_vccnz .LBB72_74
; %bb.73:
	v_lshlrev_b32_e32 v2, 4, v2
	s_delay_alu instid0(VALU_DEP_1)
	v_mov_b32_e32 v10, v2
	s_clause 0x1
	scratch_load_b128 v[2:5], off, s15
	scratch_load_b128 v[6:9], v10, off offset:-16
	s_wait_loadcnt 0x1
	ds_store_2addr_b64 v0, v[2:3], v[4:5] offset1:1
	s_wait_loadcnt 0x0
	s_clause 0x1
	scratch_store_b128 off, v[6:9], s15
	scratch_store_b128 v10, v[2:5], off offset:-16
.LBB72_74:
	global_load_b32 v1, v1, s[8:9] offset:16
	s_wait_loadcnt 0x0
	v_cmp_eq_u32_e32 vcc_lo, 5, v1
	s_cbranch_vccnz .LBB72_76
; %bb.75:
	v_lshlrev_b32_e32 v1, 4, v1
	s_delay_alu instid0(VALU_DEP_1)
	v_mov_b32_e32 v9, v1
	s_clause 0x1
	scratch_load_b128 v[1:4], off, s4
	scratch_load_b128 v[5:8], v9, off offset:-16
	s_wait_loadcnt 0x1
	ds_store_2addr_b64 v0, v[1:2], v[3:4] offset1:1
	s_wait_loadcnt 0x0
	s_clause 0x1
	scratch_store_b128 off, v[5:8], s4
	scratch_store_b128 v9, v[1:4], off offset:-16
.LBB72_76:
	v_mov_b32_e32 v1, 0
	global_load_b32 v2, v1, s[8:9] offset:12
	s_wait_loadcnt 0x0
	v_cmp_eq_u32_e32 vcc_lo, 4, v2
	s_cbranch_vccnz .LBB72_78
; %bb.77:
	v_lshlrev_b32_e32 v2, 4, v2
	s_delay_alu instid0(VALU_DEP_1)
	v_mov_b32_e32 v10, v2
	s_clause 0x1
	scratch_load_b128 v[2:5], off, s13
	scratch_load_b128 v[6:9], v10, off offset:-16
	s_wait_loadcnt 0x1
	ds_store_2addr_b64 v0, v[2:3], v[4:5] offset1:1
	s_wait_loadcnt 0x0
	s_clause 0x1
	scratch_store_b128 off, v[6:9], s13
	scratch_store_b128 v10, v[2:5], off offset:-16
.LBB72_78:
	;; [unrolled: 37-line block ×3, first 2 shown]
	global_load_b32 v1, v1, s[8:9]
	s_wait_loadcnt 0x0
	v_cmp_eq_u32_e32 vcc_lo, 1, v1
	s_cbranch_vccnz .LBB72_84
; %bb.83:
	v_lshlrev_b32_e32 v1, 4, v1
	s_delay_alu instid0(VALU_DEP_1)
	v_mov_b32_e32 v9, v1
	scratch_load_b128 v[1:4], off, off
	scratch_load_b128 v[5:8], v9, off offset:-16
	s_wait_loadcnt 0x1
	ds_store_2addr_b64 v0, v[1:2], v[3:4] offset1:1
	s_wait_loadcnt 0x0
	scratch_store_b128 off, v[5:8], off
	scratch_store_b128 v9, v[1:4], off offset:-16
.LBB72_84:
	scratch_load_b128 v[0:3], off, off
	s_wait_loadcnt 0x0
	flat_store_b128 v[13:14], v[0:3]
	scratch_load_b128 v[0:3], off, s18
	s_wait_loadcnt 0x0
	flat_store_b128 v[15:16], v[0:3]
	scratch_load_b128 v[0:3], off, s17
	;; [unrolled: 3-line block ×8, first 2 shown]
	s_wait_loadcnt 0x0
	flat_store_b128 v[29:30], v[0:3]
	s_endpgm
	.section	.rodata,"a",@progbits
	.p2align	6, 0x0
	.amdhsa_kernel _ZN9rocsolver6v33100L18getri_kernel_smallILi9E19rocblas_complex_numIdEPKPS3_EEvT1_iilPiilS8_bb
		.amdhsa_group_segment_fixed_size 1320
		.amdhsa_private_segment_fixed_size 160
		.amdhsa_kernarg_size 60
		.amdhsa_user_sgpr_count 4
		.amdhsa_user_sgpr_dispatch_ptr 1
		.amdhsa_user_sgpr_queue_ptr 0
		.amdhsa_user_sgpr_kernarg_segment_ptr 1
		.amdhsa_user_sgpr_dispatch_id 0
		.amdhsa_user_sgpr_private_segment_size 0
		.amdhsa_wavefront_size32 1
		.amdhsa_uses_dynamic_stack 0
		.amdhsa_enable_private_segment 1
		.amdhsa_system_sgpr_workgroup_id_x 1
		.amdhsa_system_sgpr_workgroup_id_y 0
		.amdhsa_system_sgpr_workgroup_id_z 0
		.amdhsa_system_sgpr_workgroup_info 0
		.amdhsa_system_vgpr_workitem_id 2
		.amdhsa_next_free_vgpr 74
		.amdhsa_next_free_sgpr 22
		.amdhsa_reserve_vcc 1
		.amdhsa_float_round_mode_32 0
		.amdhsa_float_round_mode_16_64 0
		.amdhsa_float_denorm_mode_32 3
		.amdhsa_float_denorm_mode_16_64 3
		.amdhsa_fp16_overflow 0
		.amdhsa_workgroup_processor_mode 1
		.amdhsa_memory_ordered 1
		.amdhsa_forward_progress 1
		.amdhsa_inst_pref_size 68
		.amdhsa_round_robin_scheduling 0
		.amdhsa_exception_fp_ieee_invalid_op 0
		.amdhsa_exception_fp_denorm_src 0
		.amdhsa_exception_fp_ieee_div_zero 0
		.amdhsa_exception_fp_ieee_overflow 0
		.amdhsa_exception_fp_ieee_underflow 0
		.amdhsa_exception_fp_ieee_inexact 0
		.amdhsa_exception_int_div_zero 0
	.end_amdhsa_kernel
	.section	.text._ZN9rocsolver6v33100L18getri_kernel_smallILi9E19rocblas_complex_numIdEPKPS3_EEvT1_iilPiilS8_bb,"axG",@progbits,_ZN9rocsolver6v33100L18getri_kernel_smallILi9E19rocblas_complex_numIdEPKPS3_EEvT1_iilPiilS8_bb,comdat
.Lfunc_end72:
	.size	_ZN9rocsolver6v33100L18getri_kernel_smallILi9E19rocblas_complex_numIdEPKPS3_EEvT1_iilPiilS8_bb, .Lfunc_end72-_ZN9rocsolver6v33100L18getri_kernel_smallILi9E19rocblas_complex_numIdEPKPS3_EEvT1_iilPiilS8_bb
                                        ; -- End function
	.set _ZN9rocsolver6v33100L18getri_kernel_smallILi9E19rocblas_complex_numIdEPKPS3_EEvT1_iilPiilS8_bb.num_vgpr, 74
	.set _ZN9rocsolver6v33100L18getri_kernel_smallILi9E19rocblas_complex_numIdEPKPS3_EEvT1_iilPiilS8_bb.num_agpr, 0
	.set _ZN9rocsolver6v33100L18getri_kernel_smallILi9E19rocblas_complex_numIdEPKPS3_EEvT1_iilPiilS8_bb.numbered_sgpr, 22
	.set _ZN9rocsolver6v33100L18getri_kernel_smallILi9E19rocblas_complex_numIdEPKPS3_EEvT1_iilPiilS8_bb.num_named_barrier, 0
	.set _ZN9rocsolver6v33100L18getri_kernel_smallILi9E19rocblas_complex_numIdEPKPS3_EEvT1_iilPiilS8_bb.private_seg_size, 160
	.set _ZN9rocsolver6v33100L18getri_kernel_smallILi9E19rocblas_complex_numIdEPKPS3_EEvT1_iilPiilS8_bb.uses_vcc, 1
	.set _ZN9rocsolver6v33100L18getri_kernel_smallILi9E19rocblas_complex_numIdEPKPS3_EEvT1_iilPiilS8_bb.uses_flat_scratch, 1
	.set _ZN9rocsolver6v33100L18getri_kernel_smallILi9E19rocblas_complex_numIdEPKPS3_EEvT1_iilPiilS8_bb.has_dyn_sized_stack, 0
	.set _ZN9rocsolver6v33100L18getri_kernel_smallILi9E19rocblas_complex_numIdEPKPS3_EEvT1_iilPiilS8_bb.has_recursion, 0
	.set _ZN9rocsolver6v33100L18getri_kernel_smallILi9E19rocblas_complex_numIdEPKPS3_EEvT1_iilPiilS8_bb.has_indirect_call, 0
	.section	.AMDGPU.csdata,"",@progbits
; Kernel info:
; codeLenInByte = 8640
; TotalNumSgprs: 24
; NumVgprs: 74
; ScratchSize: 160
; MemoryBound: 0
; FloatMode: 240
; IeeeMode: 1
; LDSByteSize: 1320 bytes/workgroup (compile time only)
; SGPRBlocks: 0
; VGPRBlocks: 9
; NumSGPRsForWavesPerEU: 24
; NumVGPRsForWavesPerEU: 74
; Occupancy: 16
; WaveLimiterHint : 1
; COMPUTE_PGM_RSRC2:SCRATCH_EN: 1
; COMPUTE_PGM_RSRC2:USER_SGPR: 4
; COMPUTE_PGM_RSRC2:TRAP_HANDLER: 0
; COMPUTE_PGM_RSRC2:TGID_X_EN: 1
; COMPUTE_PGM_RSRC2:TGID_Y_EN: 0
; COMPUTE_PGM_RSRC2:TGID_Z_EN: 0
; COMPUTE_PGM_RSRC2:TIDIG_COMP_CNT: 2
	.section	.text._ZN9rocsolver6v33100L18getri_kernel_smallILi10E19rocblas_complex_numIdEPKPS3_EEvT1_iilPiilS8_bb,"axG",@progbits,_ZN9rocsolver6v33100L18getri_kernel_smallILi10E19rocblas_complex_numIdEPKPS3_EEvT1_iilPiilS8_bb,comdat
	.globl	_ZN9rocsolver6v33100L18getri_kernel_smallILi10E19rocblas_complex_numIdEPKPS3_EEvT1_iilPiilS8_bb ; -- Begin function _ZN9rocsolver6v33100L18getri_kernel_smallILi10E19rocblas_complex_numIdEPKPS3_EEvT1_iilPiilS8_bb
	.p2align	8
	.type	_ZN9rocsolver6v33100L18getri_kernel_smallILi10E19rocblas_complex_numIdEPKPS3_EEvT1_iilPiilS8_bb,@function
_ZN9rocsolver6v33100L18getri_kernel_smallILi10E19rocblas_complex_numIdEPKPS3_EEvT1_iilPiilS8_bb: ; @_ZN9rocsolver6v33100L18getri_kernel_smallILi10E19rocblas_complex_numIdEPKPS3_EEvT1_iilPiilS8_bb
; %bb.0:
	v_and_b32_e32 v33, 0x3ff, v0
	s_mov_b32 s4, exec_lo
	s_delay_alu instid0(VALU_DEP_1)
	v_cmpx_gt_u32_e32 10, v33
	s_cbranch_execz .LBB73_54
; %bb.1:
	s_clause 0x1
	s_load_b32 s15, s[2:3], 0x38
	s_load_b64 s[8:9], s[2:3], 0x0
	s_mov_b32 s10, ttmp9
	s_load_b128 s[4:7], s[2:3], 0x28
	s_wait_kmcnt 0x0
	s_bitcmp1_b32 s15, 8
	s_cselect_b32 s14, -1, 0
	s_ashr_i32 s11, ttmp9, 31
	s_delay_alu instid0(SALU_CYCLE_1) | instskip(NEXT) | instid1(SALU_CYCLE_1)
	s_lshl_b64 s[12:13], s[10:11], 3
	s_add_nc_u64 s[8:9], s[8:9], s[12:13]
	s_load_b64 s[12:13], s[8:9], 0x0
	s_bfe_u32 s8, s15, 0x10008
	s_delay_alu instid0(SALU_CYCLE_1)
	s_cmp_eq_u32 s8, 0
                                        ; implicit-def: $sgpr8_sgpr9
	s_cbranch_scc1 .LBB73_3
; %bb.2:
	s_load_b96 s[16:18], s[2:3], 0x18
	s_mul_u64 s[4:5], s[4:5], s[10:11]
	s_delay_alu instid0(SALU_CYCLE_1)
	s_lshl_b64 s[4:5], s[4:5], 2
	s_wait_kmcnt 0x0
	s_ashr_i32 s9, s18, 31
	s_mov_b32 s8, s18
	s_add_nc_u64 s[4:5], s[16:17], s[4:5]
	s_lshl_b64 s[8:9], s[8:9], 2
	s_delay_alu instid0(SALU_CYCLE_1)
	s_add_nc_u64 s[8:9], s[4:5], s[8:9]
.LBB73_3:
	s_clause 0x1
	s_load_b64 s[4:5], s[2:3], 0x8
	s_load_b32 s20, s[2:3], 0x38
	v_lshlrev_b32_e32 v34, 4, v33
	s_mov_b32 s19, 16
	s_mov_b32 s18, 32
	;; [unrolled: 1-line block ×3, first 2 shown]
	s_movk_i32 s16, 0x60
	s_movk_i32 s17, 0x80
	s_wait_kmcnt 0x0
	s_ashr_i32 s3, s4, 31
	s_mov_b32 s2, s4
	v_add3_u32 v5, s5, s5, v33
	s_lshl_b64 s[2:3], s[2:3], 4
	s_delay_alu instid0(SALU_CYCLE_1)
	s_add_nc_u64 s[2:3], s[12:13], s[2:3]
	s_ashr_i32 s13, s5, 31
	v_add_co_u32 v13, s4, s2, v34
	s_wait_alu 0xf1ff
	v_add_co_ci_u32_e64 v14, null, s3, 0, s4
	s_mov_b32 s12, s5
	v_ashrrev_i32_e32 v6, 31, v5
	s_lshl_b64 s[12:13], s[12:13], 4
	flat_load_b128 v[1:4], v[13:14]
	v_add_co_u32 v15, vcc_lo, v13, s12
	s_delay_alu instid0(VALU_DEP_1)
	v_add_co_ci_u32_e64 v16, null, s13, v14, vcc_lo
	v_lshlrev_b64_e32 v[6:7], 4, v[5:6]
	v_add_nc_u32_e32 v5, s5, v5
	s_mov_b32 s13, 48
	s_movk_i32 s4, 0x50
	s_movk_i32 s12, 0x90
	s_bitcmp0_b32 s20, 0
	v_add_co_u32 v17, vcc_lo, s2, v6
	s_wait_alu 0xfffd
	v_add_co_ci_u32_e64 v18, null, s3, v7, vcc_lo
	v_ashrrev_i32_e32 v6, 31, v5
	s_delay_alu instid0(VALU_DEP_1) | instskip(SKIP_1) | instid1(VALU_DEP_2)
	v_lshlrev_b64_e32 v[6:7], 4, v[5:6]
	v_add_nc_u32_e32 v5, s5, v5
	v_add_co_u32 v19, vcc_lo, s2, v6
	s_wait_alu 0xfffd
	s_delay_alu instid0(VALU_DEP_3) | instskip(NEXT) | instid1(VALU_DEP_3)
	v_add_co_ci_u32_e64 v20, null, s3, v7, vcc_lo
	v_ashrrev_i32_e32 v6, 31, v5
	s_delay_alu instid0(VALU_DEP_1) | instskip(SKIP_1) | instid1(VALU_DEP_2)
	v_lshlrev_b64_e32 v[6:7], 4, v[5:6]
	v_add_nc_u32_e32 v5, s5, v5
	v_add_co_u32 v21, vcc_lo, s2, v6
	s_wait_alu 0xfffd
	s_delay_alu instid0(VALU_DEP_3) | instskip(NEXT) | instid1(VALU_DEP_3)
	v_add_co_ci_u32_e64 v22, null, s3, v7, vcc_lo
	v_ashrrev_i32_e32 v6, 31, v5
	s_delay_alu instid0(VALU_DEP_1) | instskip(SKIP_1) | instid1(VALU_DEP_2)
	v_lshlrev_b64_e32 v[6:7], 4, v[5:6]
	v_add_nc_u32_e32 v5, s5, v5
	v_add_co_u32 v23, vcc_lo, s2, v6
	s_wait_alu 0xfffd
	s_delay_alu instid0(VALU_DEP_3) | instskip(NEXT) | instid1(VALU_DEP_3)
	v_add_co_ci_u32_e64 v24, null, s3, v7, vcc_lo
	v_ashrrev_i32_e32 v6, 31, v5
	s_delay_alu instid0(VALU_DEP_1) | instskip(SKIP_1) | instid1(VALU_DEP_2)
	v_lshlrev_b64_e32 v[6:7], 4, v[5:6]
	v_add_nc_u32_e32 v5, s5, v5
	v_add_co_u32 v25, vcc_lo, s2, v6
	s_wait_alu 0xfffd
	s_delay_alu instid0(VALU_DEP_3) | instskip(NEXT) | instid1(VALU_DEP_3)
	v_add_co_ci_u32_e64 v26, null, s3, v7, vcc_lo
	v_ashrrev_i32_e32 v6, 31, v5
	s_delay_alu instid0(VALU_DEP_1) | instskip(SKIP_1) | instid1(VALU_DEP_2)
	v_lshlrev_b64_e32 v[6:7], 4, v[5:6]
	v_add_nc_u32_e32 v5, s5, v5
	v_add_co_u32 v27, vcc_lo, s2, v6
	s_wait_alu 0xfffd
	s_delay_alu instid0(VALU_DEP_3) | instskip(NEXT) | instid1(VALU_DEP_3)
	v_add_co_ci_u32_e64 v28, null, s3, v7, vcc_lo
	v_ashrrev_i32_e32 v6, 31, v5
	s_delay_alu instid0(VALU_DEP_1) | instskip(SKIP_2) | instid1(VALU_DEP_2)
	v_lshlrev_b64_e32 v[6:7], 4, v[5:6]
	v_add_nc_u32_e32 v5, s5, v5
	s_movk_i32 s5, 0x70
	v_add_co_u32 v29, vcc_lo, s2, v6
	s_wait_alu 0xfffd
	s_delay_alu instid0(VALU_DEP_3) | instskip(SKIP_1) | instid1(VALU_DEP_1)
	v_add_co_ci_u32_e64 v30, null, s3, v7, vcc_lo
	v_ashrrev_i32_e32 v6, 31, v5
	v_lshlrev_b64_e32 v[5:6], 4, v[5:6]
	s_delay_alu instid0(VALU_DEP_1) | instskip(SKIP_1) | instid1(VALU_DEP_2)
	v_add_co_u32 v31, vcc_lo, s2, v5
	s_wait_alu 0xfffd
	v_add_co_ci_u32_e64 v32, null, s3, v6, vcc_lo
	s_mov_b32 s3, -1
	s_wait_loadcnt_dscnt 0x0
	scratch_store_b128 off, v[1:4], off
	flat_load_b128 v[1:4], v[15:16]
	s_wait_loadcnt_dscnt 0x0
	scratch_store_b128 off, v[1:4], off offset:16
	flat_load_b128 v[1:4], v[17:18]
	s_wait_loadcnt_dscnt 0x0
	scratch_store_b128 off, v[1:4], off offset:32
	;; [unrolled: 3-line block ×9, first 2 shown]
	s_cbranch_scc1 .LBB73_52
; %bb.4:
	v_cmp_eq_u32_e64 s2, 0, v33
	s_and_saveexec_b32 s3, s2
; %bb.5:
	v_mov_b32_e32 v1, 0
	ds_store_b32 v1, v1 offset:320
; %bb.6:
	s_wait_alu 0xfffe
	s_or_b32 exec_lo, exec_lo, s3
	s_wait_storecnt_dscnt 0x0
	s_barrier_signal -1
	s_barrier_wait -1
	global_inv scope:SCOPE_SE
	scratch_load_b128 v[1:4], v34, off
	s_wait_loadcnt 0x0
	v_cmp_eq_f64_e32 vcc_lo, 0, v[1:2]
	v_cmp_eq_f64_e64 s3, 0, v[3:4]
	s_and_b32 s3, vcc_lo, s3
	s_wait_alu 0xfffe
	s_and_saveexec_b32 s20, s3
	s_cbranch_execz .LBB73_10
; %bb.7:
	v_mov_b32_e32 v1, 0
	s_mov_b32 s21, 0
	ds_load_b32 v2, v1 offset:320
	s_wait_dscnt 0x0
	v_readfirstlane_b32 s3, v2
	v_add_nc_u32_e32 v2, 1, v33
	s_cmp_eq_u32 s3, 0
	s_delay_alu instid0(VALU_DEP_1) | instskip(SKIP_1) | instid1(SALU_CYCLE_1)
	v_cmp_gt_i32_e32 vcc_lo, s3, v2
	s_cselect_b32 s22, -1, 0
	s_or_b32 s22, s22, vcc_lo
	s_delay_alu instid0(SALU_CYCLE_1)
	s_and_b32 exec_lo, exec_lo, s22
	s_cbranch_execz .LBB73_10
; %bb.8:
	v_mov_b32_e32 v3, s3
.LBB73_9:                               ; =>This Inner Loop Header: Depth=1
	ds_cmpstore_rtn_b32 v3, v1, v2, v3 offset:320
	s_wait_dscnt 0x0
	v_cmp_ne_u32_e32 vcc_lo, 0, v3
	v_cmp_le_i32_e64 s3, v3, v2
	s_and_b32 s3, vcc_lo, s3
	s_wait_alu 0xfffe
	s_and_b32 s3, exec_lo, s3
	s_wait_alu 0xfffe
	s_or_b32 s21, s3, s21
	s_delay_alu instid0(SALU_CYCLE_1)
	s_and_not1_b32 exec_lo, exec_lo, s21
	s_cbranch_execnz .LBB73_9
.LBB73_10:
	s_or_b32 exec_lo, exec_lo, s20
	v_mov_b32_e32 v1, 0
	s_barrier_signal -1
	s_barrier_wait -1
	global_inv scope:SCOPE_SE
	ds_load_b32 v2, v1 offset:320
	s_and_saveexec_b32 s3, s2
	s_cbranch_execz .LBB73_12
; %bb.11:
	s_lshl_b64 s[20:21], s[10:11], 2
	s_delay_alu instid0(SALU_CYCLE_1)
	s_add_nc_u64 s[20:21], s[6:7], s[20:21]
	s_wait_dscnt 0x0
	global_store_b32 v1, v2, s[20:21]
.LBB73_12:
	s_wait_alu 0xfffe
	s_or_b32 exec_lo, exec_lo, s3
	s_wait_dscnt 0x0
	v_cmp_ne_u32_e32 vcc_lo, 0, v2
	s_mov_b32 s3, 0
	s_cbranch_vccnz .LBB73_52
; %bb.13:
	v_mov_b32_e32 v35, v34
                                        ; implicit-def: $vgpr1_vgpr2
                                        ; implicit-def: $vgpr9_vgpr10
	scratch_load_b128 v[5:8], v35, off
	s_wait_loadcnt 0x0
	v_cmp_ngt_f64_e64 s3, |v[5:6]|, |v[7:8]|
	s_wait_alu 0xfffe
	s_and_saveexec_b32 s20, s3
	s_delay_alu instid0(SALU_CYCLE_1)
	s_xor_b32 s3, exec_lo, s20
	s_cbranch_execz .LBB73_15
; %bb.14:
	v_div_scale_f64 v[1:2], null, v[7:8], v[7:8], v[5:6]
	v_div_scale_f64 v[11:12], vcc_lo, v[5:6], v[7:8], v[5:6]
	s_delay_alu instid0(VALU_DEP_2) | instskip(NEXT) | instid1(TRANS32_DEP_1)
	v_rcp_f64_e32 v[3:4], v[1:2]
	v_fma_f64 v[9:10], -v[1:2], v[3:4], 1.0
	s_delay_alu instid0(VALU_DEP_1) | instskip(NEXT) | instid1(VALU_DEP_1)
	v_fma_f64 v[3:4], v[3:4], v[9:10], v[3:4]
	v_fma_f64 v[9:10], -v[1:2], v[3:4], 1.0
	s_delay_alu instid0(VALU_DEP_1) | instskip(NEXT) | instid1(VALU_DEP_1)
	v_fma_f64 v[3:4], v[3:4], v[9:10], v[3:4]
	v_mul_f64_e32 v[9:10], v[11:12], v[3:4]
	s_delay_alu instid0(VALU_DEP_1) | instskip(SKIP_1) | instid1(VALU_DEP_1)
	v_fma_f64 v[1:2], -v[1:2], v[9:10], v[11:12]
	s_wait_alu 0xfffd
	v_div_fmas_f64 v[1:2], v[1:2], v[3:4], v[9:10]
	s_delay_alu instid0(VALU_DEP_1) | instskip(NEXT) | instid1(VALU_DEP_1)
	v_div_fixup_f64 v[1:2], v[1:2], v[7:8], v[5:6]
	v_fma_f64 v[3:4], v[5:6], v[1:2], v[7:8]
	s_delay_alu instid0(VALU_DEP_1) | instskip(SKIP_1) | instid1(VALU_DEP_2)
	v_div_scale_f64 v[5:6], null, v[3:4], v[3:4], 1.0
	v_div_scale_f64 v[11:12], vcc_lo, 1.0, v[3:4], 1.0
	v_rcp_f64_e32 v[7:8], v[5:6]
	s_delay_alu instid0(TRANS32_DEP_1) | instskip(NEXT) | instid1(VALU_DEP_1)
	v_fma_f64 v[9:10], -v[5:6], v[7:8], 1.0
	v_fma_f64 v[7:8], v[7:8], v[9:10], v[7:8]
	s_delay_alu instid0(VALU_DEP_1) | instskip(NEXT) | instid1(VALU_DEP_1)
	v_fma_f64 v[9:10], -v[5:6], v[7:8], 1.0
	v_fma_f64 v[7:8], v[7:8], v[9:10], v[7:8]
	s_delay_alu instid0(VALU_DEP_1) | instskip(NEXT) | instid1(VALU_DEP_1)
	v_mul_f64_e32 v[9:10], v[11:12], v[7:8]
	v_fma_f64 v[5:6], -v[5:6], v[9:10], v[11:12]
	s_wait_alu 0xfffd
	s_delay_alu instid0(VALU_DEP_1) | instskip(NEXT) | instid1(VALU_DEP_1)
	v_div_fmas_f64 v[5:6], v[5:6], v[7:8], v[9:10]
	v_div_fixup_f64 v[3:4], v[5:6], v[3:4], 1.0
                                        ; implicit-def: $vgpr5_vgpr6
	s_delay_alu instid0(VALU_DEP_1) | instskip(SKIP_1) | instid1(VALU_DEP_2)
	v_mul_f64_e32 v[1:2], v[1:2], v[3:4]
	v_xor_b32_e32 v4, 0x80000000, v4
	v_xor_b32_e32 v10, 0x80000000, v2
	s_delay_alu instid0(VALU_DEP_3)
	v_mov_b32_e32 v9, v1
.LBB73_15:
	s_wait_alu 0xfffe
	s_and_not1_saveexec_b32 s3, s3
	s_cbranch_execz .LBB73_17
; %bb.16:
	v_div_scale_f64 v[1:2], null, v[5:6], v[5:6], v[7:8]
	v_div_scale_f64 v[11:12], vcc_lo, v[7:8], v[5:6], v[7:8]
	s_delay_alu instid0(VALU_DEP_2) | instskip(NEXT) | instid1(TRANS32_DEP_1)
	v_rcp_f64_e32 v[3:4], v[1:2]
	v_fma_f64 v[9:10], -v[1:2], v[3:4], 1.0
	s_delay_alu instid0(VALU_DEP_1) | instskip(NEXT) | instid1(VALU_DEP_1)
	v_fma_f64 v[3:4], v[3:4], v[9:10], v[3:4]
	v_fma_f64 v[9:10], -v[1:2], v[3:4], 1.0
	s_delay_alu instid0(VALU_DEP_1) | instskip(NEXT) | instid1(VALU_DEP_1)
	v_fma_f64 v[3:4], v[3:4], v[9:10], v[3:4]
	v_mul_f64_e32 v[9:10], v[11:12], v[3:4]
	s_delay_alu instid0(VALU_DEP_1) | instskip(SKIP_1) | instid1(VALU_DEP_1)
	v_fma_f64 v[1:2], -v[1:2], v[9:10], v[11:12]
	s_wait_alu 0xfffd
	v_div_fmas_f64 v[1:2], v[1:2], v[3:4], v[9:10]
	s_delay_alu instid0(VALU_DEP_1) | instskip(NEXT) | instid1(VALU_DEP_1)
	v_div_fixup_f64 v[3:4], v[1:2], v[5:6], v[7:8]
	v_fma_f64 v[1:2], v[7:8], v[3:4], v[5:6]
	s_delay_alu instid0(VALU_DEP_1) | instskip(NEXT) | instid1(VALU_DEP_1)
	v_div_scale_f64 v[5:6], null, v[1:2], v[1:2], 1.0
	v_rcp_f64_e32 v[7:8], v[5:6]
	s_delay_alu instid0(TRANS32_DEP_1) | instskip(NEXT) | instid1(VALU_DEP_1)
	v_fma_f64 v[9:10], -v[5:6], v[7:8], 1.0
	v_fma_f64 v[7:8], v[7:8], v[9:10], v[7:8]
	s_delay_alu instid0(VALU_DEP_1) | instskip(NEXT) | instid1(VALU_DEP_1)
	v_fma_f64 v[9:10], -v[5:6], v[7:8], 1.0
	v_fma_f64 v[7:8], v[7:8], v[9:10], v[7:8]
	v_div_scale_f64 v[9:10], vcc_lo, 1.0, v[1:2], 1.0
	s_delay_alu instid0(VALU_DEP_1) | instskip(NEXT) | instid1(VALU_DEP_1)
	v_mul_f64_e32 v[11:12], v[9:10], v[7:8]
	v_fma_f64 v[5:6], -v[5:6], v[11:12], v[9:10]
	s_wait_alu 0xfffd
	s_delay_alu instid0(VALU_DEP_1) | instskip(NEXT) | instid1(VALU_DEP_1)
	v_div_fmas_f64 v[5:6], v[5:6], v[7:8], v[11:12]
	v_div_fixup_f64 v[1:2], v[5:6], v[1:2], 1.0
	s_delay_alu instid0(VALU_DEP_1)
	v_mul_f64_e64 v[3:4], v[3:4], -v[1:2]
	v_xor_b32_e32 v10, 0x80000000, v2
	v_mov_b32_e32 v9, v1
.LBB73_17:
	s_wait_alu 0xfffe
	s_or_b32 exec_lo, exec_lo, s3
	scratch_store_b128 v35, v[1:4], off
	scratch_load_b128 v[36:39], off, s19
	v_xor_b32_e32 v12, 0x80000000, v4
	v_mov_b32_e32 v11, v3
	v_add_nc_u32_e32 v5, 0xa0, v34
	ds_store_b128 v34, v[9:12]
	s_wait_loadcnt 0x0
	ds_store_b128 v34, v[36:39] offset:160
	s_wait_storecnt_dscnt 0x0
	s_barrier_signal -1
	s_barrier_wait -1
	global_inv scope:SCOPE_SE
	s_and_saveexec_b32 s3, s2
	s_cbranch_execz .LBB73_19
; %bb.18:
	scratch_load_b128 v[1:4], v35, off
	ds_load_b128 v[6:9], v5
	v_mov_b32_e32 v10, 0
	ds_load_b128 v[36:39], v10 offset:16
	s_wait_loadcnt_dscnt 0x1
	v_mul_f64_e32 v[10:11], v[6:7], v[3:4]
	v_mul_f64_e32 v[3:4], v[8:9], v[3:4]
	s_delay_alu instid0(VALU_DEP_2) | instskip(NEXT) | instid1(VALU_DEP_2)
	v_fma_f64 v[8:9], v[8:9], v[1:2], v[10:11]
	v_fma_f64 v[1:2], v[6:7], v[1:2], -v[3:4]
	s_delay_alu instid0(VALU_DEP_2) | instskip(NEXT) | instid1(VALU_DEP_2)
	v_add_f64_e32 v[3:4], 0, v[8:9]
	v_add_f64_e32 v[1:2], 0, v[1:2]
	s_wait_dscnt 0x0
	s_delay_alu instid0(VALU_DEP_2) | instskip(NEXT) | instid1(VALU_DEP_2)
	v_mul_f64_e32 v[6:7], v[3:4], v[38:39]
	v_mul_f64_e32 v[8:9], v[1:2], v[38:39]
	s_delay_alu instid0(VALU_DEP_2) | instskip(NEXT) | instid1(VALU_DEP_2)
	v_fma_f64 v[1:2], v[1:2], v[36:37], -v[6:7]
	v_fma_f64 v[3:4], v[3:4], v[36:37], v[8:9]
	scratch_store_b128 off, v[1:4], off offset:16
.LBB73_19:
	s_wait_alu 0xfffe
	s_or_b32 exec_lo, exec_lo, s3
	s_wait_loadcnt 0x0
	s_wait_storecnt 0x0
	s_barrier_signal -1
	s_barrier_wait -1
	global_inv scope:SCOPE_SE
	scratch_load_b128 v[1:4], off, s18
	s_mov_b32 s3, exec_lo
	s_wait_loadcnt 0x0
	ds_store_b128 v5, v[1:4]
	s_wait_dscnt 0x0
	s_barrier_signal -1
	s_barrier_wait -1
	global_inv scope:SCOPE_SE
	v_cmpx_gt_u32_e32 2, v33
	s_cbranch_execz .LBB73_23
; %bb.20:
	scratch_load_b128 v[1:4], v35, off
	ds_load_b128 v[6:9], v5
	s_wait_loadcnt_dscnt 0x0
	v_mul_f64_e32 v[10:11], v[8:9], v[3:4]
	v_mul_f64_e32 v[3:4], v[6:7], v[3:4]
	s_delay_alu instid0(VALU_DEP_2) | instskip(NEXT) | instid1(VALU_DEP_2)
	v_fma_f64 v[6:7], v[6:7], v[1:2], -v[10:11]
	v_fma_f64 v[3:4], v[8:9], v[1:2], v[3:4]
	s_delay_alu instid0(VALU_DEP_2) | instskip(NEXT) | instid1(VALU_DEP_2)
	v_add_f64_e32 v[1:2], 0, v[6:7]
	v_add_f64_e32 v[3:4], 0, v[3:4]
	s_and_saveexec_b32 s20, s2
	s_cbranch_execz .LBB73_22
; %bb.21:
	scratch_load_b128 v[6:9], off, off offset:16
	v_mov_b32_e32 v10, 0
	ds_load_b128 v[36:39], v10 offset:176
	s_wait_loadcnt_dscnt 0x0
	v_mul_f64_e32 v[10:11], v[36:37], v[8:9]
	v_mul_f64_e32 v[8:9], v[38:39], v[8:9]
	s_delay_alu instid0(VALU_DEP_2) | instskip(NEXT) | instid1(VALU_DEP_2)
	v_fma_f64 v[10:11], v[38:39], v[6:7], v[10:11]
	v_fma_f64 v[6:7], v[36:37], v[6:7], -v[8:9]
	s_delay_alu instid0(VALU_DEP_2) | instskip(NEXT) | instid1(VALU_DEP_2)
	v_add_f64_e32 v[3:4], v[3:4], v[10:11]
	v_add_f64_e32 v[1:2], v[1:2], v[6:7]
.LBB73_22:
	s_or_b32 exec_lo, exec_lo, s20
	v_mov_b32_e32 v6, 0
	ds_load_b128 v[6:9], v6 offset:32
	s_wait_dscnt 0x0
	v_mul_f64_e32 v[10:11], v[3:4], v[8:9]
	v_mul_f64_e32 v[8:9], v[1:2], v[8:9]
	s_delay_alu instid0(VALU_DEP_2) | instskip(NEXT) | instid1(VALU_DEP_2)
	v_fma_f64 v[1:2], v[1:2], v[6:7], -v[10:11]
	v_fma_f64 v[3:4], v[3:4], v[6:7], v[8:9]
	scratch_store_b128 off, v[1:4], off offset:32
.LBB73_23:
	s_wait_alu 0xfffe
	s_or_b32 exec_lo, exec_lo, s3
	s_wait_loadcnt 0x0
	s_wait_storecnt 0x0
	s_barrier_signal -1
	s_barrier_wait -1
	global_inv scope:SCOPE_SE
	scratch_load_b128 v[1:4], off, s13
	v_add_nc_u32_e32 v6, -1, v33
	s_mov_b32 s2, exec_lo
	s_wait_loadcnt 0x0
	ds_store_b128 v5, v[1:4]
	s_wait_dscnt 0x0
	s_barrier_signal -1
	s_barrier_wait -1
	global_inv scope:SCOPE_SE
	v_cmpx_gt_u32_e32 3, v33
	s_cbranch_execz .LBB73_27
; %bb.24:
	v_dual_mov_b32 v1, 0 :: v_dual_add_nc_u32 v8, 0xa0, v34
	v_mov_b32_e32 v3, 0
	v_dual_mov_b32 v2, 0 :: v_dual_add_nc_u32 v7, -1, v33
	v_mov_b32_e32 v4, 0
	v_or_b32_e32 v9, 8, v35
	s_mov_b32 s3, 0
.LBB73_25:                              ; =>This Inner Loop Header: Depth=1
	scratch_load_b128 v[36:39], v9, off offset:-8
	ds_load_b128 v[40:43], v8
	v_add_nc_u32_e32 v7, 1, v7
	v_add_nc_u32_e32 v8, 16, v8
	v_add_nc_u32_e32 v9, 16, v9
	s_delay_alu instid0(VALU_DEP_3)
	v_cmp_lt_u32_e32 vcc_lo, 1, v7
	s_wait_alu 0xfffe
	s_or_b32 s3, vcc_lo, s3
	s_wait_loadcnt_dscnt 0x0
	v_mul_f64_e32 v[10:11], v[42:43], v[38:39]
	v_mul_f64_e32 v[38:39], v[40:41], v[38:39]
	s_delay_alu instid0(VALU_DEP_2) | instskip(NEXT) | instid1(VALU_DEP_2)
	v_fma_f64 v[10:11], v[40:41], v[36:37], -v[10:11]
	v_fma_f64 v[36:37], v[42:43], v[36:37], v[38:39]
	s_delay_alu instid0(VALU_DEP_2) | instskip(NEXT) | instid1(VALU_DEP_2)
	v_add_f64_e32 v[3:4], v[3:4], v[10:11]
	v_add_f64_e32 v[1:2], v[1:2], v[36:37]
	s_wait_alu 0xfffe
	s_and_not1_b32 exec_lo, exec_lo, s3
	s_cbranch_execnz .LBB73_25
; %bb.26:
	s_or_b32 exec_lo, exec_lo, s3
	v_mov_b32_e32 v7, 0
	ds_load_b128 v[7:10], v7 offset:48
	s_wait_dscnt 0x0
	v_mul_f64_e32 v[11:12], v[1:2], v[9:10]
	v_mul_f64_e32 v[36:37], v[3:4], v[9:10]
	s_delay_alu instid0(VALU_DEP_2) | instskip(NEXT) | instid1(VALU_DEP_2)
	v_fma_f64 v[9:10], v[3:4], v[7:8], -v[11:12]
	v_fma_f64 v[11:12], v[1:2], v[7:8], v[36:37]
	scratch_store_b128 off, v[9:12], off offset:48
.LBB73_27:
	s_wait_alu 0xfffe
	s_or_b32 exec_lo, exec_lo, s2
	s_wait_loadcnt 0x0
	s_wait_storecnt 0x0
	s_barrier_signal -1
	s_barrier_wait -1
	global_inv scope:SCOPE_SE
	scratch_load_b128 v[1:4], off, s15
	s_mov_b32 s2, exec_lo
	s_wait_loadcnt 0x0
	ds_store_b128 v5, v[1:4]
	s_wait_dscnt 0x0
	s_barrier_signal -1
	s_barrier_wait -1
	global_inv scope:SCOPE_SE
	v_cmpx_gt_u32_e32 4, v33
	s_cbranch_execz .LBB73_31
; %bb.28:
	v_dual_mov_b32 v1, 0 :: v_dual_add_nc_u32 v8, 0xa0, v34
	v_mov_b32_e32 v3, 0
	v_dual_mov_b32 v2, 0 :: v_dual_add_nc_u32 v7, -1, v33
	v_mov_b32_e32 v4, 0
	v_or_b32_e32 v9, 8, v35
	s_mov_b32 s3, 0
.LBB73_29:                              ; =>This Inner Loop Header: Depth=1
	scratch_load_b128 v[36:39], v9, off offset:-8
	ds_load_b128 v[40:43], v8
	v_add_nc_u32_e32 v7, 1, v7
	v_add_nc_u32_e32 v8, 16, v8
	v_add_nc_u32_e32 v9, 16, v9
	s_delay_alu instid0(VALU_DEP_3)
	v_cmp_lt_u32_e32 vcc_lo, 2, v7
	s_wait_alu 0xfffe
	s_or_b32 s3, vcc_lo, s3
	s_wait_loadcnt_dscnt 0x0
	v_mul_f64_e32 v[10:11], v[42:43], v[38:39]
	v_mul_f64_e32 v[38:39], v[40:41], v[38:39]
	s_delay_alu instid0(VALU_DEP_2) | instskip(NEXT) | instid1(VALU_DEP_2)
	v_fma_f64 v[10:11], v[40:41], v[36:37], -v[10:11]
	v_fma_f64 v[36:37], v[42:43], v[36:37], v[38:39]
	s_delay_alu instid0(VALU_DEP_2) | instskip(NEXT) | instid1(VALU_DEP_2)
	v_add_f64_e32 v[3:4], v[3:4], v[10:11]
	v_add_f64_e32 v[1:2], v[1:2], v[36:37]
	s_wait_alu 0xfffe
	s_and_not1_b32 exec_lo, exec_lo, s3
	s_cbranch_execnz .LBB73_29
; %bb.30:
	s_or_b32 exec_lo, exec_lo, s3
	v_mov_b32_e32 v7, 0
	ds_load_b128 v[7:10], v7 offset:64
	s_wait_dscnt 0x0
	v_mul_f64_e32 v[11:12], v[1:2], v[9:10]
	v_mul_f64_e32 v[36:37], v[3:4], v[9:10]
	s_delay_alu instid0(VALU_DEP_2) | instskip(NEXT) | instid1(VALU_DEP_2)
	v_fma_f64 v[9:10], v[3:4], v[7:8], -v[11:12]
	v_fma_f64 v[11:12], v[1:2], v[7:8], v[36:37]
	scratch_store_b128 off, v[9:12], off offset:64
.LBB73_31:
	s_wait_alu 0xfffe
	s_or_b32 exec_lo, exec_lo, s2
	s_wait_loadcnt 0x0
	s_wait_storecnt 0x0
	s_barrier_signal -1
	s_barrier_wait -1
	global_inv scope:SCOPE_SE
	scratch_load_b128 v[1:4], off, s4
	;; [unrolled: 58-line block ×6, first 2 shown]
	s_mov_b32 s2, exec_lo
	s_wait_loadcnt 0x0
	ds_store_b128 v5, v[1:4]
	s_wait_dscnt 0x0
	s_barrier_signal -1
	s_barrier_wait -1
	global_inv scope:SCOPE_SE
	v_cmpx_ne_u32_e32 9, v33
	s_cbranch_execz .LBB73_51
; %bb.48:
	v_mov_b32_e32 v1, 0
	v_dual_mov_b32 v2, 0 :: v_dual_mov_b32 v3, 0
	v_mov_b32_e32 v4, 0
	v_or_b32_e32 v7, 8, v35
	s_mov_b32 s3, 0
.LBB73_49:                              ; =>This Inner Loop Header: Depth=1
	scratch_load_b128 v[8:11], v7, off offset:-8
	ds_load_b128 v[34:37], v5
	v_add_nc_u32_e32 v6, 1, v6
	v_add_nc_u32_e32 v5, 16, v5
	;; [unrolled: 1-line block ×3, first 2 shown]
	s_delay_alu instid0(VALU_DEP_3)
	v_cmp_lt_u32_e32 vcc_lo, 7, v6
	s_wait_alu 0xfffe
	s_or_b32 s3, vcc_lo, s3
	s_wait_loadcnt_dscnt 0x0
	v_mul_f64_e32 v[38:39], v[36:37], v[10:11]
	v_mul_f64_e32 v[10:11], v[34:35], v[10:11]
	s_delay_alu instid0(VALU_DEP_2) | instskip(NEXT) | instid1(VALU_DEP_2)
	v_fma_f64 v[34:35], v[34:35], v[8:9], -v[38:39]
	v_fma_f64 v[8:9], v[36:37], v[8:9], v[10:11]
	s_delay_alu instid0(VALU_DEP_2) | instskip(NEXT) | instid1(VALU_DEP_2)
	v_add_f64_e32 v[3:4], v[3:4], v[34:35]
	v_add_f64_e32 v[1:2], v[1:2], v[8:9]
	s_wait_alu 0xfffe
	s_and_not1_b32 exec_lo, exec_lo, s3
	s_cbranch_execnz .LBB73_49
; %bb.50:
	s_or_b32 exec_lo, exec_lo, s3
	v_mov_b32_e32 v5, 0
	ds_load_b128 v[5:8], v5 offset:144
	s_wait_dscnt 0x0
	v_mul_f64_e32 v[9:10], v[1:2], v[7:8]
	v_mul_f64_e32 v[7:8], v[3:4], v[7:8]
	s_delay_alu instid0(VALU_DEP_2) | instskip(NEXT) | instid1(VALU_DEP_2)
	v_fma_f64 v[3:4], v[3:4], v[5:6], -v[9:10]
	v_fma_f64 v[5:6], v[1:2], v[5:6], v[7:8]
	scratch_store_b128 off, v[3:6], off offset:144
.LBB73_51:
	s_wait_alu 0xfffe
	s_or_b32 exec_lo, exec_lo, s2
	s_mov_b32 s3, -1
	s_wait_loadcnt 0x0
	s_wait_storecnt 0x0
	s_barrier_signal -1
	s_barrier_wait -1
	global_inv scope:SCOPE_SE
.LBB73_52:
	s_wait_alu 0xfffe
	s_and_b32 vcc_lo, exec_lo, s3
	s_wait_alu 0xfffe
	s_cbranch_vccz .LBB73_54
; %bb.53:
	v_mov_b32_e32 v1, 0
	s_lshl_b64 s[2:3], s[10:11], 2
	s_wait_alu 0xfffe
	s_add_nc_u64 s[2:3], s[6:7], s[2:3]
	global_load_b32 v1, v1, s[2:3]
	s_wait_loadcnt 0x0
	v_cmp_ne_u32_e32 vcc_lo, 0, v1
	s_cbranch_vccz .LBB73_55
.LBB73_54:
	s_endpgm
.LBB73_55:
	v_lshl_add_u32 v5, v33, 4, 0xa0
	s_mov_b32 s2, exec_lo
	v_cmpx_eq_u32_e32 9, v33
	s_cbranch_execz .LBB73_57
; %bb.56:
	scratch_load_b128 v[1:4], off, s17
	v_mov_b32_e32 v6, 0
	s_delay_alu instid0(VALU_DEP_1)
	v_dual_mov_b32 v7, v6 :: v_dual_mov_b32 v8, v6
	v_mov_b32_e32 v9, v6
	scratch_store_b128 off, v[6:9], off offset:128
	s_wait_loadcnt 0x0
	ds_store_b128 v5, v[1:4]
.LBB73_57:
	s_wait_alu 0xfffe
	s_or_b32 exec_lo, exec_lo, s2
	s_wait_storecnt_dscnt 0x0
	s_barrier_signal -1
	s_barrier_wait -1
	global_inv scope:SCOPE_SE
	s_clause 0x1
	scratch_load_b128 v[6:9], off, off offset:144
	scratch_load_b128 v[34:37], off, off offset:128
	v_mov_b32_e32 v1, 0
	s_mov_b32 s2, exec_lo
	ds_load_b128 v[38:41], v1 offset:304
	s_wait_loadcnt_dscnt 0x100
	v_mul_f64_e32 v[2:3], v[40:41], v[8:9]
	v_mul_f64_e32 v[8:9], v[38:39], v[8:9]
	s_delay_alu instid0(VALU_DEP_2) | instskip(NEXT) | instid1(VALU_DEP_2)
	v_fma_f64 v[2:3], v[38:39], v[6:7], -v[2:3]
	v_fma_f64 v[6:7], v[40:41], v[6:7], v[8:9]
	s_delay_alu instid0(VALU_DEP_2) | instskip(NEXT) | instid1(VALU_DEP_2)
	v_add_f64_e32 v[2:3], 0, v[2:3]
	v_add_f64_e32 v[8:9], 0, v[6:7]
	s_wait_loadcnt 0x0
	s_delay_alu instid0(VALU_DEP_2) | instskip(NEXT) | instid1(VALU_DEP_2)
	v_add_f64_e64 v[6:7], v[34:35], -v[2:3]
	v_add_f64_e64 v[8:9], v[36:37], -v[8:9]
	scratch_store_b128 off, v[6:9], off offset:128
	v_cmpx_lt_u32_e32 7, v33
	s_cbranch_execz .LBB73_59
; %bb.58:
	scratch_load_b128 v[6:9], off, s5
	v_dual_mov_b32 v2, v1 :: v_dual_mov_b32 v3, v1
	v_mov_b32_e32 v4, v1
	scratch_store_b128 off, v[1:4], off offset:112
	s_wait_loadcnt 0x0
	ds_store_b128 v5, v[6:9]
.LBB73_59:
	s_wait_alu 0xfffe
	s_or_b32 exec_lo, exec_lo, s2
	s_wait_storecnt_dscnt 0x0
	s_barrier_signal -1
	s_barrier_wait -1
	global_inv scope:SCOPE_SE
	s_clause 0x2
	scratch_load_b128 v[6:9], off, off offset:128
	scratch_load_b128 v[34:37], off, off offset:144
	scratch_load_b128 v[38:41], off, off offset:112
	ds_load_b128 v[42:45], v1 offset:288
	ds_load_b128 v[1:4], v1 offset:304
	s_mov_b32 s2, exec_lo
	s_wait_loadcnt_dscnt 0x201
	v_mul_f64_e32 v[10:11], v[44:45], v[8:9]
	v_mul_f64_e32 v[8:9], v[42:43], v[8:9]
	s_wait_loadcnt_dscnt 0x100
	v_mul_f64_e32 v[46:47], v[1:2], v[36:37]
	v_mul_f64_e32 v[36:37], v[3:4], v[36:37]
	s_delay_alu instid0(VALU_DEP_4) | instskip(NEXT) | instid1(VALU_DEP_4)
	v_fma_f64 v[10:11], v[42:43], v[6:7], -v[10:11]
	v_fma_f64 v[6:7], v[44:45], v[6:7], v[8:9]
	s_delay_alu instid0(VALU_DEP_4) | instskip(NEXT) | instid1(VALU_DEP_4)
	v_fma_f64 v[3:4], v[3:4], v[34:35], v[46:47]
	v_fma_f64 v[1:2], v[1:2], v[34:35], -v[36:37]
	s_delay_alu instid0(VALU_DEP_4) | instskip(NEXT) | instid1(VALU_DEP_4)
	v_add_f64_e32 v[8:9], 0, v[10:11]
	v_add_f64_e32 v[6:7], 0, v[6:7]
	s_delay_alu instid0(VALU_DEP_2) | instskip(NEXT) | instid1(VALU_DEP_2)
	v_add_f64_e32 v[1:2], v[8:9], v[1:2]
	v_add_f64_e32 v[3:4], v[6:7], v[3:4]
	s_wait_loadcnt 0x0
	s_delay_alu instid0(VALU_DEP_2) | instskip(NEXT) | instid1(VALU_DEP_2)
	v_add_f64_e64 v[1:2], v[38:39], -v[1:2]
	v_add_f64_e64 v[3:4], v[40:41], -v[3:4]
	scratch_store_b128 off, v[1:4], off offset:112
	v_cmpx_lt_u32_e32 6, v33
	s_cbranch_execz .LBB73_61
; %bb.60:
	scratch_load_b128 v[1:4], off, s16
	v_mov_b32_e32 v6, 0
	s_delay_alu instid0(VALU_DEP_1)
	v_dual_mov_b32 v7, v6 :: v_dual_mov_b32 v8, v6
	v_mov_b32_e32 v9, v6
	scratch_store_b128 off, v[6:9], off offset:96
	s_wait_loadcnt 0x0
	ds_store_b128 v5, v[1:4]
.LBB73_61:
	s_wait_alu 0xfffe
	s_or_b32 exec_lo, exec_lo, s2
	s_wait_storecnt_dscnt 0x0
	s_barrier_signal -1
	s_barrier_wait -1
	global_inv scope:SCOPE_SE
	s_clause 0x3
	scratch_load_b128 v[6:9], off, off offset:112
	scratch_load_b128 v[34:37], off, off offset:128
	;; [unrolled: 1-line block ×4, first 2 shown]
	v_mov_b32_e32 v1, 0
	ds_load_b128 v[46:49], v1 offset:272
	ds_load_b128 v[50:53], v1 offset:288
	s_mov_b32 s2, exec_lo
	s_wait_loadcnt_dscnt 0x301
	v_mul_f64_e32 v[2:3], v[48:49], v[8:9]
	v_mul_f64_e32 v[8:9], v[46:47], v[8:9]
	s_wait_loadcnt_dscnt 0x200
	v_mul_f64_e32 v[10:11], v[50:51], v[36:37]
	v_mul_f64_e32 v[36:37], v[52:53], v[36:37]
	s_delay_alu instid0(VALU_DEP_4) | instskip(NEXT) | instid1(VALU_DEP_4)
	v_fma_f64 v[2:3], v[46:47], v[6:7], -v[2:3]
	v_fma_f64 v[46:47], v[48:49], v[6:7], v[8:9]
	ds_load_b128 v[6:9], v1 offset:304
	v_fma_f64 v[10:11], v[52:53], v[34:35], v[10:11]
	v_fma_f64 v[34:35], v[50:51], v[34:35], -v[36:37]
	s_wait_loadcnt_dscnt 0x100
	v_mul_f64_e32 v[48:49], v[6:7], v[40:41]
	v_mul_f64_e32 v[40:41], v[8:9], v[40:41]
	v_add_f64_e32 v[2:3], 0, v[2:3]
	v_add_f64_e32 v[36:37], 0, v[46:47]
	s_delay_alu instid0(VALU_DEP_4) | instskip(NEXT) | instid1(VALU_DEP_4)
	v_fma_f64 v[8:9], v[8:9], v[38:39], v[48:49]
	v_fma_f64 v[6:7], v[6:7], v[38:39], -v[40:41]
	s_delay_alu instid0(VALU_DEP_4) | instskip(NEXT) | instid1(VALU_DEP_4)
	v_add_f64_e32 v[2:3], v[2:3], v[34:35]
	v_add_f64_e32 v[10:11], v[36:37], v[10:11]
	s_delay_alu instid0(VALU_DEP_2) | instskip(NEXT) | instid1(VALU_DEP_2)
	v_add_f64_e32 v[2:3], v[2:3], v[6:7]
	v_add_f64_e32 v[8:9], v[10:11], v[8:9]
	s_wait_loadcnt 0x0
	s_delay_alu instid0(VALU_DEP_2) | instskip(NEXT) | instid1(VALU_DEP_2)
	v_add_f64_e64 v[6:7], v[42:43], -v[2:3]
	v_add_f64_e64 v[8:9], v[44:45], -v[8:9]
	scratch_store_b128 off, v[6:9], off offset:96
	v_cmpx_lt_u32_e32 5, v33
	s_cbranch_execz .LBB73_63
; %bb.62:
	scratch_load_b128 v[6:9], off, s4
	v_dual_mov_b32 v2, v1 :: v_dual_mov_b32 v3, v1
	v_mov_b32_e32 v4, v1
	scratch_store_b128 off, v[1:4], off offset:80
	s_wait_loadcnt 0x0
	ds_store_b128 v5, v[6:9]
.LBB73_63:
	s_wait_alu 0xfffe
	s_or_b32 exec_lo, exec_lo, s2
	s_wait_storecnt_dscnt 0x0
	s_barrier_signal -1
	s_barrier_wait -1
	global_inv scope:SCOPE_SE
	s_clause 0x4
	scratch_load_b128 v[6:9], off, off offset:96
	scratch_load_b128 v[34:37], off, off offset:112
	;; [unrolled: 1-line block ×5, first 2 shown]
	ds_load_b128 v[50:53], v1 offset:256
	ds_load_b128 v[54:57], v1 offset:272
	s_mov_b32 s2, exec_lo
	s_wait_loadcnt_dscnt 0x401
	v_mul_f64_e32 v[2:3], v[52:53], v[8:9]
	v_mul_f64_e32 v[8:9], v[50:51], v[8:9]
	s_wait_loadcnt_dscnt 0x300
	v_mul_f64_e32 v[10:11], v[54:55], v[36:37]
	v_mul_f64_e32 v[36:37], v[56:57], v[36:37]
	s_delay_alu instid0(VALU_DEP_4) | instskip(NEXT) | instid1(VALU_DEP_4)
	v_fma_f64 v[50:51], v[50:51], v[6:7], -v[2:3]
	v_fma_f64 v[52:53], v[52:53], v[6:7], v[8:9]
	ds_load_b128 v[6:9], v1 offset:288
	ds_load_b128 v[1:4], v1 offset:304
	v_fma_f64 v[10:11], v[56:57], v[34:35], v[10:11]
	v_fma_f64 v[34:35], v[54:55], v[34:35], -v[36:37]
	s_wait_loadcnt_dscnt 0x201
	v_mul_f64_e32 v[58:59], v[6:7], v[40:41]
	v_mul_f64_e32 v[40:41], v[8:9], v[40:41]
	v_add_f64_e32 v[36:37], 0, v[50:51]
	v_add_f64_e32 v[50:51], 0, v[52:53]
	s_wait_loadcnt_dscnt 0x100
	v_mul_f64_e32 v[52:53], v[1:2], v[44:45]
	v_mul_f64_e32 v[44:45], v[3:4], v[44:45]
	v_fma_f64 v[8:9], v[8:9], v[38:39], v[58:59]
	v_fma_f64 v[6:7], v[6:7], v[38:39], -v[40:41]
	v_add_f64_e32 v[34:35], v[36:37], v[34:35]
	v_add_f64_e32 v[10:11], v[50:51], v[10:11]
	v_fma_f64 v[3:4], v[3:4], v[42:43], v[52:53]
	v_fma_f64 v[1:2], v[1:2], v[42:43], -v[44:45]
	s_delay_alu instid0(VALU_DEP_4) | instskip(NEXT) | instid1(VALU_DEP_4)
	v_add_f64_e32 v[6:7], v[34:35], v[6:7]
	v_add_f64_e32 v[8:9], v[10:11], v[8:9]
	s_delay_alu instid0(VALU_DEP_2) | instskip(NEXT) | instid1(VALU_DEP_2)
	v_add_f64_e32 v[1:2], v[6:7], v[1:2]
	v_add_f64_e32 v[3:4], v[8:9], v[3:4]
	s_wait_loadcnt 0x0
	s_delay_alu instid0(VALU_DEP_2) | instskip(NEXT) | instid1(VALU_DEP_2)
	v_add_f64_e64 v[1:2], v[46:47], -v[1:2]
	v_add_f64_e64 v[3:4], v[48:49], -v[3:4]
	scratch_store_b128 off, v[1:4], off offset:80
	v_cmpx_lt_u32_e32 4, v33
	s_cbranch_execz .LBB73_65
; %bb.64:
	scratch_load_b128 v[1:4], off, s15
	v_mov_b32_e32 v6, 0
	s_delay_alu instid0(VALU_DEP_1)
	v_dual_mov_b32 v7, v6 :: v_dual_mov_b32 v8, v6
	v_mov_b32_e32 v9, v6
	scratch_store_b128 off, v[6:9], off offset:64
	s_wait_loadcnt 0x0
	ds_store_b128 v5, v[1:4]
.LBB73_65:
	s_wait_alu 0xfffe
	s_or_b32 exec_lo, exec_lo, s2
	s_wait_storecnt_dscnt 0x0
	s_barrier_signal -1
	s_barrier_wait -1
	global_inv scope:SCOPE_SE
	s_clause 0x5
	scratch_load_b128 v[6:9], off, off offset:80
	scratch_load_b128 v[34:37], off, off offset:96
	;; [unrolled: 1-line block ×6, first 2 shown]
	v_mov_b32_e32 v1, 0
	ds_load_b128 v[54:57], v1 offset:240
	ds_load_b128 v[58:61], v1 offset:256
	s_mov_b32 s2, exec_lo
	s_wait_loadcnt_dscnt 0x501
	v_mul_f64_e32 v[2:3], v[56:57], v[8:9]
	v_mul_f64_e32 v[8:9], v[54:55], v[8:9]
	s_wait_loadcnt_dscnt 0x400
	v_mul_f64_e32 v[10:11], v[58:59], v[36:37]
	v_mul_f64_e32 v[36:37], v[60:61], v[36:37]
	s_delay_alu instid0(VALU_DEP_4) | instskip(NEXT) | instid1(VALU_DEP_4)
	v_fma_f64 v[2:3], v[54:55], v[6:7], -v[2:3]
	v_fma_f64 v[62:63], v[56:57], v[6:7], v[8:9]
	ds_load_b128 v[6:9], v1 offset:272
	ds_load_b128 v[54:57], v1 offset:288
	v_fma_f64 v[10:11], v[60:61], v[34:35], v[10:11]
	v_fma_f64 v[34:35], v[58:59], v[34:35], -v[36:37]
	s_wait_loadcnt_dscnt 0x301
	v_mul_f64_e32 v[64:65], v[6:7], v[40:41]
	v_mul_f64_e32 v[40:41], v[8:9], v[40:41]
	s_wait_loadcnt_dscnt 0x200
	v_mul_f64_e32 v[58:59], v[54:55], v[44:45]
	v_mul_f64_e32 v[44:45], v[56:57], v[44:45]
	v_add_f64_e32 v[2:3], 0, v[2:3]
	v_add_f64_e32 v[36:37], 0, v[62:63]
	v_fma_f64 v[60:61], v[8:9], v[38:39], v[64:65]
	v_fma_f64 v[38:39], v[6:7], v[38:39], -v[40:41]
	ds_load_b128 v[6:9], v1 offset:304
	v_fma_f64 v[40:41], v[56:57], v[42:43], v[58:59]
	v_fma_f64 v[42:43], v[54:55], v[42:43], -v[44:45]
	v_add_f64_e32 v[2:3], v[2:3], v[34:35]
	v_add_f64_e32 v[10:11], v[36:37], v[10:11]
	s_wait_loadcnt_dscnt 0x100
	v_mul_f64_e32 v[34:35], v[6:7], v[48:49]
	v_mul_f64_e32 v[36:37], v[8:9], v[48:49]
	s_delay_alu instid0(VALU_DEP_4) | instskip(NEXT) | instid1(VALU_DEP_4)
	v_add_f64_e32 v[2:3], v[2:3], v[38:39]
	v_add_f64_e32 v[10:11], v[10:11], v[60:61]
	s_delay_alu instid0(VALU_DEP_4) | instskip(NEXT) | instid1(VALU_DEP_4)
	v_fma_f64 v[8:9], v[8:9], v[46:47], v[34:35]
	v_fma_f64 v[6:7], v[6:7], v[46:47], -v[36:37]
	s_delay_alu instid0(VALU_DEP_4) | instskip(NEXT) | instid1(VALU_DEP_4)
	v_add_f64_e32 v[2:3], v[2:3], v[42:43]
	v_add_f64_e32 v[10:11], v[10:11], v[40:41]
	s_delay_alu instid0(VALU_DEP_2) | instskip(NEXT) | instid1(VALU_DEP_2)
	v_add_f64_e32 v[2:3], v[2:3], v[6:7]
	v_add_f64_e32 v[8:9], v[10:11], v[8:9]
	s_wait_loadcnt 0x0
	s_delay_alu instid0(VALU_DEP_2) | instskip(NEXT) | instid1(VALU_DEP_2)
	v_add_f64_e64 v[6:7], v[50:51], -v[2:3]
	v_add_f64_e64 v[8:9], v[52:53], -v[8:9]
	scratch_store_b128 off, v[6:9], off offset:64
	v_cmpx_lt_u32_e32 3, v33
	s_cbranch_execz .LBB73_67
; %bb.66:
	scratch_load_b128 v[6:9], off, s13
	v_dual_mov_b32 v2, v1 :: v_dual_mov_b32 v3, v1
	v_mov_b32_e32 v4, v1
	scratch_store_b128 off, v[1:4], off offset:48
	s_wait_loadcnt 0x0
	ds_store_b128 v5, v[6:9]
.LBB73_67:
	s_wait_alu 0xfffe
	s_or_b32 exec_lo, exec_lo, s2
	s_wait_storecnt_dscnt 0x0
	s_barrier_signal -1
	s_barrier_wait -1
	global_inv scope:SCOPE_SE
	s_clause 0x5
	scratch_load_b128 v[6:9], off, off offset:64
	scratch_load_b128 v[34:37], off, off offset:80
	;; [unrolled: 1-line block ×6, first 2 shown]
	ds_load_b128 v[54:57], v1 offset:224
	ds_load_b128 v[62:65], v1 offset:240
	scratch_load_b128 v[58:61], off, off offset:48
	s_mov_b32 s2, exec_lo
	s_wait_loadcnt_dscnt 0x601
	v_mul_f64_e32 v[2:3], v[56:57], v[8:9]
	v_mul_f64_e32 v[8:9], v[54:55], v[8:9]
	s_wait_loadcnt_dscnt 0x500
	v_mul_f64_e32 v[10:11], v[62:63], v[36:37]
	v_mul_f64_e32 v[36:37], v[64:65], v[36:37]
	s_delay_alu instid0(VALU_DEP_4) | instskip(NEXT) | instid1(VALU_DEP_4)
	v_fma_f64 v[2:3], v[54:55], v[6:7], -v[2:3]
	v_fma_f64 v[66:67], v[56:57], v[6:7], v[8:9]
	ds_load_b128 v[6:9], v1 offset:256
	ds_load_b128 v[54:57], v1 offset:272
	v_fma_f64 v[10:11], v[64:65], v[34:35], v[10:11]
	v_fma_f64 v[34:35], v[62:63], v[34:35], -v[36:37]
	s_wait_loadcnt_dscnt 0x401
	v_mul_f64_e32 v[68:69], v[6:7], v[40:41]
	v_mul_f64_e32 v[40:41], v[8:9], v[40:41]
	s_wait_loadcnt_dscnt 0x300
	v_mul_f64_e32 v[62:63], v[54:55], v[44:45]
	v_mul_f64_e32 v[44:45], v[56:57], v[44:45]
	v_add_f64_e32 v[2:3], 0, v[2:3]
	v_add_f64_e32 v[36:37], 0, v[66:67]
	v_fma_f64 v[64:65], v[8:9], v[38:39], v[68:69]
	v_fma_f64 v[38:39], v[6:7], v[38:39], -v[40:41]
	s_delay_alu instid0(VALU_DEP_4) | instskip(NEXT) | instid1(VALU_DEP_4)
	v_add_f64_e32 v[34:35], v[2:3], v[34:35]
	v_add_f64_e32 v[10:11], v[36:37], v[10:11]
	ds_load_b128 v[6:9], v1 offset:288
	ds_load_b128 v[1:4], v1 offset:304
	s_wait_loadcnt_dscnt 0x201
	v_mul_f64_e32 v[36:37], v[6:7], v[48:49]
	v_mul_f64_e32 v[40:41], v[8:9], v[48:49]
	v_fma_f64 v[48:49], v[56:57], v[42:43], v[62:63]
	v_fma_f64 v[42:43], v[54:55], v[42:43], -v[44:45]
	s_wait_loadcnt_dscnt 0x100
	v_mul_f64_e32 v[44:45], v[3:4], v[52:53]
	v_add_f64_e32 v[34:35], v[34:35], v[38:39]
	v_add_f64_e32 v[10:11], v[10:11], v[64:65]
	v_mul_f64_e32 v[38:39], v[1:2], v[52:53]
	v_fma_f64 v[8:9], v[8:9], v[46:47], v[36:37]
	v_fma_f64 v[6:7], v[6:7], v[46:47], -v[40:41]
	v_fma_f64 v[1:2], v[1:2], v[50:51], -v[44:45]
	v_add_f64_e32 v[34:35], v[34:35], v[42:43]
	v_add_f64_e32 v[10:11], v[10:11], v[48:49]
	v_fma_f64 v[3:4], v[3:4], v[50:51], v[38:39]
	s_delay_alu instid0(VALU_DEP_3) | instskip(NEXT) | instid1(VALU_DEP_3)
	v_add_f64_e32 v[6:7], v[34:35], v[6:7]
	v_add_f64_e32 v[8:9], v[10:11], v[8:9]
	s_delay_alu instid0(VALU_DEP_2) | instskip(NEXT) | instid1(VALU_DEP_2)
	v_add_f64_e32 v[1:2], v[6:7], v[1:2]
	v_add_f64_e32 v[3:4], v[8:9], v[3:4]
	s_wait_loadcnt 0x0
	s_delay_alu instid0(VALU_DEP_2) | instskip(NEXT) | instid1(VALU_DEP_2)
	v_add_f64_e64 v[1:2], v[58:59], -v[1:2]
	v_add_f64_e64 v[3:4], v[60:61], -v[3:4]
	scratch_store_b128 off, v[1:4], off offset:48
	v_cmpx_lt_u32_e32 2, v33
	s_cbranch_execz .LBB73_69
; %bb.68:
	scratch_load_b128 v[1:4], off, s18
	v_mov_b32_e32 v6, 0
	s_delay_alu instid0(VALU_DEP_1)
	v_dual_mov_b32 v7, v6 :: v_dual_mov_b32 v8, v6
	v_mov_b32_e32 v9, v6
	scratch_store_b128 off, v[6:9], off offset:32
	s_wait_loadcnt 0x0
	ds_store_b128 v5, v[1:4]
.LBB73_69:
	s_wait_alu 0xfffe
	s_or_b32 exec_lo, exec_lo, s2
	s_wait_storecnt_dscnt 0x0
	s_barrier_signal -1
	s_barrier_wait -1
	global_inv scope:SCOPE_SE
	s_clause 0x6
	scratch_load_b128 v[6:9], off, off offset:48
	scratch_load_b128 v[34:37], off, off offset:64
	;; [unrolled: 1-line block ×7, first 2 shown]
	v_mov_b32_e32 v1, 0
	scratch_load_b128 v[62:65], off, off offset:32
	s_mov_b32 s2, exec_lo
	ds_load_b128 v[58:61], v1 offset:208
	ds_load_b128 v[66:69], v1 offset:224
	s_wait_loadcnt_dscnt 0x701
	v_mul_f64_e32 v[2:3], v[60:61], v[8:9]
	v_mul_f64_e32 v[8:9], v[58:59], v[8:9]
	s_wait_loadcnt_dscnt 0x600
	v_mul_f64_e32 v[10:11], v[66:67], v[36:37]
	v_mul_f64_e32 v[36:37], v[68:69], v[36:37]
	s_delay_alu instid0(VALU_DEP_4) | instskip(NEXT) | instid1(VALU_DEP_4)
	v_fma_f64 v[2:3], v[58:59], v[6:7], -v[2:3]
	v_fma_f64 v[70:71], v[60:61], v[6:7], v[8:9]
	ds_load_b128 v[6:9], v1 offset:240
	ds_load_b128 v[58:61], v1 offset:256
	v_fma_f64 v[10:11], v[68:69], v[34:35], v[10:11]
	v_fma_f64 v[34:35], v[66:67], v[34:35], -v[36:37]
	s_wait_loadcnt_dscnt 0x501
	v_mul_f64_e32 v[72:73], v[6:7], v[40:41]
	v_mul_f64_e32 v[40:41], v[8:9], v[40:41]
	s_wait_loadcnt_dscnt 0x400
	v_mul_f64_e32 v[66:67], v[58:59], v[44:45]
	v_mul_f64_e32 v[44:45], v[60:61], v[44:45]
	v_add_f64_e32 v[2:3], 0, v[2:3]
	v_add_f64_e32 v[36:37], 0, v[70:71]
	v_fma_f64 v[68:69], v[8:9], v[38:39], v[72:73]
	v_fma_f64 v[38:39], v[6:7], v[38:39], -v[40:41]
	v_fma_f64 v[60:61], v[60:61], v[42:43], v[66:67]
	v_fma_f64 v[42:43], v[58:59], v[42:43], -v[44:45]
	v_add_f64_e32 v[2:3], v[2:3], v[34:35]
	v_add_f64_e32 v[10:11], v[36:37], v[10:11]
	ds_load_b128 v[6:9], v1 offset:272
	ds_load_b128 v[34:37], v1 offset:288
	s_wait_loadcnt_dscnt 0x301
	v_mul_f64_e32 v[40:41], v[6:7], v[48:49]
	v_mul_f64_e32 v[48:49], v[8:9], v[48:49]
	s_wait_loadcnt_dscnt 0x200
	v_mul_f64_e32 v[44:45], v[36:37], v[52:53]
	v_add_f64_e32 v[2:3], v[2:3], v[38:39]
	v_add_f64_e32 v[10:11], v[10:11], v[68:69]
	v_mul_f64_e32 v[38:39], v[34:35], v[52:53]
	v_fma_f64 v[40:41], v[8:9], v[46:47], v[40:41]
	v_fma_f64 v[46:47], v[6:7], v[46:47], -v[48:49]
	ds_load_b128 v[6:9], v1 offset:304
	v_fma_f64 v[34:35], v[34:35], v[50:51], -v[44:45]
	v_add_f64_e32 v[2:3], v[2:3], v[42:43]
	v_add_f64_e32 v[10:11], v[10:11], v[60:61]
	v_fma_f64 v[36:37], v[36:37], v[50:51], v[38:39]
	s_wait_loadcnt_dscnt 0x100
	v_mul_f64_e32 v[42:43], v[6:7], v[56:57]
	v_mul_f64_e32 v[48:49], v[8:9], v[56:57]
	v_add_f64_e32 v[2:3], v[2:3], v[46:47]
	v_add_f64_e32 v[10:11], v[10:11], v[40:41]
	s_delay_alu instid0(VALU_DEP_4) | instskip(NEXT) | instid1(VALU_DEP_4)
	v_fma_f64 v[8:9], v[8:9], v[54:55], v[42:43]
	v_fma_f64 v[6:7], v[6:7], v[54:55], -v[48:49]
	s_delay_alu instid0(VALU_DEP_4) | instskip(NEXT) | instid1(VALU_DEP_4)
	v_add_f64_e32 v[2:3], v[2:3], v[34:35]
	v_add_f64_e32 v[10:11], v[10:11], v[36:37]
	s_delay_alu instid0(VALU_DEP_2) | instskip(NEXT) | instid1(VALU_DEP_2)
	v_add_f64_e32 v[2:3], v[2:3], v[6:7]
	v_add_f64_e32 v[8:9], v[10:11], v[8:9]
	s_wait_loadcnt 0x0
	s_delay_alu instid0(VALU_DEP_2) | instskip(NEXT) | instid1(VALU_DEP_2)
	v_add_f64_e64 v[6:7], v[62:63], -v[2:3]
	v_add_f64_e64 v[8:9], v[64:65], -v[8:9]
	scratch_store_b128 off, v[6:9], off offset:32
	v_cmpx_lt_u32_e32 1, v33
	s_cbranch_execz .LBB73_71
; %bb.70:
	scratch_load_b128 v[6:9], off, s19
	v_dual_mov_b32 v2, v1 :: v_dual_mov_b32 v3, v1
	v_mov_b32_e32 v4, v1
	scratch_store_b128 off, v[1:4], off offset:16
	s_wait_loadcnt 0x0
	ds_store_b128 v5, v[6:9]
.LBB73_71:
	s_wait_alu 0xfffe
	s_or_b32 exec_lo, exec_lo, s2
	s_wait_storecnt_dscnt 0x0
	s_barrier_signal -1
	s_barrier_wait -1
	global_inv scope:SCOPE_SE
	s_clause 0x7
	scratch_load_b128 v[6:9], off, off offset:32
	scratch_load_b128 v[34:37], off, off offset:48
	scratch_load_b128 v[38:41], off, off offset:64
	scratch_load_b128 v[42:45], off, off offset:80
	scratch_load_b128 v[46:49], off, off offset:96
	scratch_load_b128 v[50:53], off, off offset:112
	scratch_load_b128 v[54:57], off, off offset:128
	scratch_load_b128 v[58:61], off, off offset:144
	ds_load_b128 v[62:65], v1 offset:192
	ds_load_b128 v[66:69], v1 offset:208
	scratch_load_b128 v[70:73], off, off offset:16
	s_mov_b32 s2, exec_lo
	s_wait_loadcnt_dscnt 0x801
	v_mul_f64_e32 v[2:3], v[64:65], v[8:9]
	v_mul_f64_e32 v[8:9], v[62:63], v[8:9]
	s_wait_loadcnt_dscnt 0x700
	v_mul_f64_e32 v[10:11], v[66:67], v[36:37]
	v_mul_f64_e32 v[36:37], v[68:69], v[36:37]
	s_delay_alu instid0(VALU_DEP_4) | instskip(NEXT) | instid1(VALU_DEP_4)
	v_fma_f64 v[2:3], v[62:63], v[6:7], -v[2:3]
	v_fma_f64 v[74:75], v[64:65], v[6:7], v[8:9]
	ds_load_b128 v[6:9], v1 offset:224
	ds_load_b128 v[62:65], v1 offset:240
	v_fma_f64 v[10:11], v[68:69], v[34:35], v[10:11]
	v_fma_f64 v[34:35], v[66:67], v[34:35], -v[36:37]
	s_wait_loadcnt_dscnt 0x601
	v_mul_f64_e32 v[76:77], v[6:7], v[40:41]
	v_mul_f64_e32 v[40:41], v[8:9], v[40:41]
	s_wait_loadcnt_dscnt 0x500
	v_mul_f64_e32 v[66:67], v[62:63], v[44:45]
	v_mul_f64_e32 v[44:45], v[64:65], v[44:45]
	v_add_f64_e32 v[2:3], 0, v[2:3]
	v_add_f64_e32 v[36:37], 0, v[74:75]
	v_fma_f64 v[68:69], v[8:9], v[38:39], v[76:77]
	v_fma_f64 v[38:39], v[6:7], v[38:39], -v[40:41]
	v_fma_f64 v[64:65], v[64:65], v[42:43], v[66:67]
	v_fma_f64 v[42:43], v[62:63], v[42:43], -v[44:45]
	v_add_f64_e32 v[2:3], v[2:3], v[34:35]
	v_add_f64_e32 v[10:11], v[36:37], v[10:11]
	ds_load_b128 v[6:9], v1 offset:256
	ds_load_b128 v[34:37], v1 offset:272
	s_wait_loadcnt_dscnt 0x401
	v_mul_f64_e32 v[40:41], v[6:7], v[48:49]
	v_mul_f64_e32 v[48:49], v[8:9], v[48:49]
	s_wait_loadcnt_dscnt 0x300
	v_mul_f64_e32 v[44:45], v[36:37], v[52:53]
	v_add_f64_e32 v[2:3], v[2:3], v[38:39]
	v_add_f64_e32 v[10:11], v[10:11], v[68:69]
	v_mul_f64_e32 v[38:39], v[34:35], v[52:53]
	v_fma_f64 v[40:41], v[8:9], v[46:47], v[40:41]
	v_fma_f64 v[46:47], v[6:7], v[46:47], -v[48:49]
	v_fma_f64 v[34:35], v[34:35], v[50:51], -v[44:45]
	v_add_f64_e32 v[42:43], v[2:3], v[42:43]
	v_add_f64_e32 v[10:11], v[10:11], v[64:65]
	ds_load_b128 v[6:9], v1 offset:288
	ds_load_b128 v[1:4], v1 offset:304
	v_fma_f64 v[36:37], v[36:37], v[50:51], v[38:39]
	s_wait_loadcnt_dscnt 0x201
	v_mul_f64_e32 v[48:49], v[6:7], v[56:57]
	v_mul_f64_e32 v[52:53], v[8:9], v[56:57]
	v_add_f64_e32 v[38:39], v[42:43], v[46:47]
	v_add_f64_e32 v[10:11], v[10:11], v[40:41]
	s_wait_loadcnt_dscnt 0x100
	v_mul_f64_e32 v[40:41], v[1:2], v[60:61]
	v_mul_f64_e32 v[42:43], v[3:4], v[60:61]
	v_fma_f64 v[8:9], v[8:9], v[54:55], v[48:49]
	v_fma_f64 v[6:7], v[6:7], v[54:55], -v[52:53]
	v_add_f64_e32 v[34:35], v[38:39], v[34:35]
	v_add_f64_e32 v[10:11], v[10:11], v[36:37]
	v_fma_f64 v[3:4], v[3:4], v[58:59], v[40:41]
	v_fma_f64 v[1:2], v[1:2], v[58:59], -v[42:43]
	s_delay_alu instid0(VALU_DEP_4) | instskip(NEXT) | instid1(VALU_DEP_4)
	v_add_f64_e32 v[6:7], v[34:35], v[6:7]
	v_add_f64_e32 v[8:9], v[10:11], v[8:9]
	s_delay_alu instid0(VALU_DEP_2) | instskip(NEXT) | instid1(VALU_DEP_2)
	v_add_f64_e32 v[1:2], v[6:7], v[1:2]
	v_add_f64_e32 v[3:4], v[8:9], v[3:4]
	s_wait_loadcnt 0x0
	s_delay_alu instid0(VALU_DEP_2) | instskip(NEXT) | instid1(VALU_DEP_2)
	v_add_f64_e64 v[1:2], v[70:71], -v[1:2]
	v_add_f64_e64 v[3:4], v[72:73], -v[3:4]
	scratch_store_b128 off, v[1:4], off offset:16
	v_cmpx_ne_u32_e32 0, v33
	s_cbranch_execz .LBB73_73
; %bb.72:
	scratch_load_b128 v[1:4], off, off
	v_mov_b32_e32 v6, 0
	s_delay_alu instid0(VALU_DEP_1)
	v_dual_mov_b32 v7, v6 :: v_dual_mov_b32 v8, v6
	v_mov_b32_e32 v9, v6
	scratch_store_b128 off, v[6:9], off
	s_wait_loadcnt 0x0
	ds_store_b128 v5, v[1:4]
.LBB73_73:
	s_wait_alu 0xfffe
	s_or_b32 exec_lo, exec_lo, s2
	s_wait_storecnt_dscnt 0x0
	s_barrier_signal -1
	s_barrier_wait -1
	global_inv scope:SCOPE_SE
	s_clause 0x7
	scratch_load_b128 v[2:5], off, off offset:16
	scratch_load_b128 v[6:9], off, off offset:32
	;; [unrolled: 1-line block ×8, first 2 shown]
	v_mov_b32_e32 v1, 0
	s_and_b32 vcc_lo, exec_lo, s14
	ds_load_b128 v[58:61], v1 offset:176
	s_clause 0x1
	scratch_load_b128 v[62:65], off, off offset:144
	scratch_load_b128 v[66:69], off, off
	ds_load_b128 v[70:73], v1 offset:192
	s_wait_loadcnt_dscnt 0x901
	v_mul_f64_e32 v[10:11], v[60:61], v[4:5]
	v_mul_f64_e32 v[4:5], v[58:59], v[4:5]
	s_wait_loadcnt_dscnt 0x800
	v_mul_f64_e32 v[74:75], v[70:71], v[8:9]
	v_mul_f64_e32 v[76:77], v[72:73], v[8:9]
	s_delay_alu instid0(VALU_DEP_4) | instskip(NEXT) | instid1(VALU_DEP_4)
	v_fma_f64 v[58:59], v[58:59], v[2:3], -v[10:11]
	v_fma_f64 v[60:61], v[60:61], v[2:3], v[4:5]
	ds_load_b128 v[2:5], v1 offset:208
	ds_load_b128 v[8:11], v1 offset:224
	v_fma_f64 v[72:73], v[72:73], v[6:7], v[74:75]
	v_fma_f64 v[6:7], v[70:71], v[6:7], -v[76:77]
	s_wait_loadcnt_dscnt 0x701
	v_mul_f64_e32 v[78:79], v[2:3], v[36:37]
	v_mul_f64_e32 v[36:37], v[4:5], v[36:37]
	s_wait_loadcnt_dscnt 0x600
	v_mul_f64_e32 v[70:71], v[8:9], v[40:41]
	v_mul_f64_e32 v[40:41], v[10:11], v[40:41]
	v_add_f64_e32 v[58:59], 0, v[58:59]
	v_add_f64_e32 v[60:61], 0, v[60:61]
	v_fma_f64 v[74:75], v[4:5], v[34:35], v[78:79]
	v_fma_f64 v[76:77], v[2:3], v[34:35], -v[36:37]
	ds_load_b128 v[2:5], v1 offset:240
	ds_load_b128 v[34:37], v1 offset:256
	v_fma_f64 v[10:11], v[10:11], v[38:39], v[70:71]
	v_fma_f64 v[8:9], v[8:9], v[38:39], -v[40:41]
	v_add_f64_e32 v[6:7], v[58:59], v[6:7]
	v_add_f64_e32 v[58:59], v[60:61], v[72:73]
	s_wait_loadcnt_dscnt 0x501
	v_mul_f64_e32 v[60:61], v[2:3], v[44:45]
	v_mul_f64_e32 v[44:45], v[4:5], v[44:45]
	s_wait_loadcnt_dscnt 0x400
	v_mul_f64_e32 v[40:41], v[34:35], v[48:49]
	v_mul_f64_e32 v[48:49], v[36:37], v[48:49]
	v_add_f64_e32 v[6:7], v[6:7], v[76:77]
	v_add_f64_e32 v[38:39], v[58:59], v[74:75]
	v_fma_f64 v[58:59], v[4:5], v[42:43], v[60:61]
	v_fma_f64 v[42:43], v[2:3], v[42:43], -v[44:45]
	v_fma_f64 v[36:37], v[36:37], v[46:47], v[40:41]
	v_fma_f64 v[34:35], v[34:35], v[46:47], -v[48:49]
	v_add_f64_e32 v[44:45], v[6:7], v[8:9]
	v_add_f64_e32 v[10:11], v[38:39], v[10:11]
	ds_load_b128 v[2:5], v1 offset:272
	ds_load_b128 v[6:9], v1 offset:288
	s_wait_loadcnt_dscnt 0x301
	v_mul_f64_e32 v[38:39], v[2:3], v[52:53]
	v_mul_f64_e32 v[52:53], v[4:5], v[52:53]
	v_add_f64_e32 v[40:41], v[44:45], v[42:43]
	v_add_f64_e32 v[10:11], v[10:11], v[58:59]
	s_wait_loadcnt_dscnt 0x200
	v_mul_f64_e32 v[42:43], v[6:7], v[56:57]
	v_mul_f64_e32 v[44:45], v[8:9], v[56:57]
	v_fma_f64 v[38:39], v[4:5], v[50:51], v[38:39]
	v_fma_f64 v[46:47], v[2:3], v[50:51], -v[52:53]
	ds_load_b128 v[2:5], v1 offset:304
	v_add_f64_e32 v[34:35], v[40:41], v[34:35]
	v_add_f64_e32 v[10:11], v[10:11], v[36:37]
	v_fma_f64 v[8:9], v[8:9], v[54:55], v[42:43]
	v_fma_f64 v[6:7], v[6:7], v[54:55], -v[44:45]
	s_wait_loadcnt_dscnt 0x100
	v_mul_f64_e32 v[36:37], v[2:3], v[64:65]
	v_mul_f64_e32 v[40:41], v[4:5], v[64:65]
	v_add_f64_e32 v[34:35], v[34:35], v[46:47]
	v_add_f64_e32 v[10:11], v[10:11], v[38:39]
	s_delay_alu instid0(VALU_DEP_4) | instskip(NEXT) | instid1(VALU_DEP_4)
	v_fma_f64 v[4:5], v[4:5], v[62:63], v[36:37]
	v_fma_f64 v[2:3], v[2:3], v[62:63], -v[40:41]
	s_delay_alu instid0(VALU_DEP_4) | instskip(NEXT) | instid1(VALU_DEP_4)
	v_add_f64_e32 v[6:7], v[34:35], v[6:7]
	v_add_f64_e32 v[8:9], v[10:11], v[8:9]
	s_delay_alu instid0(VALU_DEP_2) | instskip(NEXT) | instid1(VALU_DEP_2)
	v_add_f64_e32 v[2:3], v[6:7], v[2:3]
	v_add_f64_e32 v[4:5], v[8:9], v[4:5]
	s_wait_loadcnt 0x0
	s_delay_alu instid0(VALU_DEP_2) | instskip(NEXT) | instid1(VALU_DEP_2)
	v_add_f64_e64 v[2:3], v[66:67], -v[2:3]
	v_add_f64_e64 v[4:5], v[68:69], -v[4:5]
	scratch_store_b128 off, v[2:5], off
	s_wait_alu 0xfffe
	s_cbranch_vccz .LBB73_92
; %bb.74:
	global_load_b32 v1, v1, s[8:9] offset:32
	s_load_b64 s[0:1], s[0:1], 0x4
	v_bfe_u32 v2, v0, 10, 10
	v_bfe_u32 v0, v0, 20, 10
	s_wait_kmcnt 0x0
	s_lshr_b32 s0, s0, 16
	s_delay_alu instid0(VALU_DEP_2) | instskip(SKIP_3) | instid1(VALU_DEP_1)
	v_mul_u32_u24_e32 v2, s1, v2
	s_mul_i32 s0, s0, s1
	s_wait_alu 0xfffe
	v_mul_u32_u24_e32 v3, s0, v33
	v_add3_u32 v0, v3, v2, v0
	s_delay_alu instid0(VALU_DEP_1)
	v_lshl_add_u32 v0, v0, 4, 0x148
	s_wait_loadcnt 0x0
	v_cmp_ne_u32_e32 vcc_lo, 9, v1
	s_cbranch_vccz .LBB73_76
; %bb.75:
	v_lshlrev_b32_e32 v1, 4, v1
	s_delay_alu instid0(VALU_DEP_1)
	v_mov_b32_e32 v9, v1
	s_clause 0x1
	scratch_load_b128 v[1:4], off, s17
	scratch_load_b128 v[5:8], v9, off offset:-16
	s_wait_loadcnt 0x1
	ds_store_2addr_b64 v0, v[1:2], v[3:4] offset1:1
	s_wait_loadcnt 0x0
	s_clause 0x1
	scratch_store_b128 off, v[5:8], s17
	scratch_store_b128 v9, v[1:4], off offset:-16
.LBB73_76:
	v_mov_b32_e32 v1, 0
	global_load_b32 v2, v1, s[8:9] offset:28
	s_wait_loadcnt 0x0
	v_cmp_eq_u32_e32 vcc_lo, 8, v2
	s_cbranch_vccnz .LBB73_78
; %bb.77:
	v_lshlrev_b32_e32 v2, 4, v2
	s_delay_alu instid0(VALU_DEP_1)
	v_mov_b32_e32 v10, v2
	s_clause 0x1
	scratch_load_b128 v[2:5], off, s5
	scratch_load_b128 v[6:9], v10, off offset:-16
	s_wait_loadcnt 0x1
	ds_store_2addr_b64 v0, v[2:3], v[4:5] offset1:1
	s_wait_loadcnt 0x0
	s_clause 0x1
	scratch_store_b128 off, v[6:9], s5
	scratch_store_b128 v10, v[2:5], off offset:-16
.LBB73_78:
	global_load_b32 v1, v1, s[8:9] offset:24
	s_wait_loadcnt 0x0
	v_cmp_eq_u32_e32 vcc_lo, 7, v1
	s_cbranch_vccnz .LBB73_80
; %bb.79:
	v_lshlrev_b32_e32 v1, 4, v1
	s_delay_alu instid0(VALU_DEP_1)
	v_mov_b32_e32 v9, v1
	s_clause 0x1
	scratch_load_b128 v[1:4], off, s16
	scratch_load_b128 v[5:8], v9, off offset:-16
	s_wait_loadcnt 0x1
	ds_store_2addr_b64 v0, v[1:2], v[3:4] offset1:1
	s_wait_loadcnt 0x0
	s_clause 0x1
	scratch_store_b128 off, v[5:8], s16
	scratch_store_b128 v9, v[1:4], off offset:-16
.LBB73_80:
	v_mov_b32_e32 v1, 0
	global_load_b32 v2, v1, s[8:9] offset:20
	s_wait_loadcnt 0x0
	v_cmp_eq_u32_e32 vcc_lo, 6, v2
	s_cbranch_vccnz .LBB73_82
; %bb.81:
	v_lshlrev_b32_e32 v2, 4, v2
	s_delay_alu instid0(VALU_DEP_1)
	v_mov_b32_e32 v10, v2
	s_clause 0x1
	scratch_load_b128 v[2:5], off, s4
	scratch_load_b128 v[6:9], v10, off offset:-16
	s_wait_loadcnt 0x1
	ds_store_2addr_b64 v0, v[2:3], v[4:5] offset1:1
	s_wait_loadcnt 0x0
	s_clause 0x1
	scratch_store_b128 off, v[6:9], s4
	scratch_store_b128 v10, v[2:5], off offset:-16
.LBB73_82:
	global_load_b32 v1, v1, s[8:9] offset:16
	s_wait_loadcnt 0x0
	v_cmp_eq_u32_e32 vcc_lo, 5, v1
	s_cbranch_vccnz .LBB73_84
; %bb.83:
	v_lshlrev_b32_e32 v1, 4, v1
	s_delay_alu instid0(VALU_DEP_1)
	v_mov_b32_e32 v9, v1
	s_clause 0x1
	scratch_load_b128 v[1:4], off, s15
	scratch_load_b128 v[5:8], v9, off offset:-16
	s_wait_loadcnt 0x1
	ds_store_2addr_b64 v0, v[1:2], v[3:4] offset1:1
	s_wait_loadcnt 0x0
	s_clause 0x1
	scratch_store_b128 off, v[5:8], s15
	scratch_store_b128 v9, v[1:4], off offset:-16
.LBB73_84:
	;; [unrolled: 37-line block ×3, first 2 shown]
	v_mov_b32_e32 v1, 0
	global_load_b32 v2, v1, s[8:9] offset:4
	s_wait_loadcnt 0x0
	v_cmp_eq_u32_e32 vcc_lo, 2, v2
	s_cbranch_vccnz .LBB73_90
; %bb.89:
	v_lshlrev_b32_e32 v2, 4, v2
	s_delay_alu instid0(VALU_DEP_1)
	v_mov_b32_e32 v10, v2
	s_clause 0x1
	scratch_load_b128 v[2:5], off, s19
	scratch_load_b128 v[6:9], v10, off offset:-16
	s_wait_loadcnt 0x1
	ds_store_2addr_b64 v0, v[2:3], v[4:5] offset1:1
	s_wait_loadcnt 0x0
	s_clause 0x1
	scratch_store_b128 off, v[6:9], s19
	scratch_store_b128 v10, v[2:5], off offset:-16
.LBB73_90:
	global_load_b32 v1, v1, s[8:9]
	s_wait_loadcnt 0x0
	v_cmp_eq_u32_e32 vcc_lo, 1, v1
	s_cbranch_vccnz .LBB73_92
; %bb.91:
	v_lshlrev_b32_e32 v1, 4, v1
	s_delay_alu instid0(VALU_DEP_1)
	v_mov_b32_e32 v9, v1
	scratch_load_b128 v[1:4], off, off
	scratch_load_b128 v[5:8], v9, off offset:-16
	s_wait_loadcnt 0x1
	ds_store_2addr_b64 v0, v[1:2], v[3:4] offset1:1
	s_wait_loadcnt 0x0
	scratch_store_b128 off, v[5:8], off
	scratch_store_b128 v9, v[1:4], off offset:-16
.LBB73_92:
	scratch_load_b128 v[0:3], off, off
	s_wait_loadcnt 0x0
	flat_store_b128 v[13:14], v[0:3]
	scratch_load_b128 v[0:3], off, s19
	s_wait_loadcnt 0x0
	flat_store_b128 v[15:16], v[0:3]
	scratch_load_b128 v[0:3], off, s18
	;; [unrolled: 3-line block ×9, first 2 shown]
	s_wait_loadcnt 0x0
	flat_store_b128 v[31:32], v[0:3]
	s_endpgm
	.section	.rodata,"a",@progbits
	.p2align	6, 0x0
	.amdhsa_kernel _ZN9rocsolver6v33100L18getri_kernel_smallILi10E19rocblas_complex_numIdEPKPS3_EEvT1_iilPiilS8_bb
		.amdhsa_group_segment_fixed_size 1352
		.amdhsa_private_segment_fixed_size 176
		.amdhsa_kernarg_size 60
		.amdhsa_user_sgpr_count 4
		.amdhsa_user_sgpr_dispatch_ptr 1
		.amdhsa_user_sgpr_queue_ptr 0
		.amdhsa_user_sgpr_kernarg_segment_ptr 1
		.amdhsa_user_sgpr_dispatch_id 0
		.amdhsa_user_sgpr_private_segment_size 0
		.amdhsa_wavefront_size32 1
		.amdhsa_uses_dynamic_stack 0
		.amdhsa_enable_private_segment 1
		.amdhsa_system_sgpr_workgroup_id_x 1
		.amdhsa_system_sgpr_workgroup_id_y 0
		.amdhsa_system_sgpr_workgroup_id_z 0
		.amdhsa_system_sgpr_workgroup_info 0
		.amdhsa_system_vgpr_workitem_id 2
		.amdhsa_next_free_vgpr 80
		.amdhsa_next_free_sgpr 23
		.amdhsa_reserve_vcc 1
		.amdhsa_float_round_mode_32 0
		.amdhsa_float_round_mode_16_64 0
		.amdhsa_float_denorm_mode_32 3
		.amdhsa_float_denorm_mode_16_64 3
		.amdhsa_fp16_overflow 0
		.amdhsa_workgroup_processor_mode 1
		.amdhsa_memory_ordered 1
		.amdhsa_forward_progress 1
		.amdhsa_inst_pref_size 77
		.amdhsa_round_robin_scheduling 0
		.amdhsa_exception_fp_ieee_invalid_op 0
		.amdhsa_exception_fp_denorm_src 0
		.amdhsa_exception_fp_ieee_div_zero 0
		.amdhsa_exception_fp_ieee_overflow 0
		.amdhsa_exception_fp_ieee_underflow 0
		.amdhsa_exception_fp_ieee_inexact 0
		.amdhsa_exception_int_div_zero 0
	.end_amdhsa_kernel
	.section	.text._ZN9rocsolver6v33100L18getri_kernel_smallILi10E19rocblas_complex_numIdEPKPS3_EEvT1_iilPiilS8_bb,"axG",@progbits,_ZN9rocsolver6v33100L18getri_kernel_smallILi10E19rocblas_complex_numIdEPKPS3_EEvT1_iilPiilS8_bb,comdat
.Lfunc_end73:
	.size	_ZN9rocsolver6v33100L18getri_kernel_smallILi10E19rocblas_complex_numIdEPKPS3_EEvT1_iilPiilS8_bb, .Lfunc_end73-_ZN9rocsolver6v33100L18getri_kernel_smallILi10E19rocblas_complex_numIdEPKPS3_EEvT1_iilPiilS8_bb
                                        ; -- End function
	.set _ZN9rocsolver6v33100L18getri_kernel_smallILi10E19rocblas_complex_numIdEPKPS3_EEvT1_iilPiilS8_bb.num_vgpr, 80
	.set _ZN9rocsolver6v33100L18getri_kernel_smallILi10E19rocblas_complex_numIdEPKPS3_EEvT1_iilPiilS8_bb.num_agpr, 0
	.set _ZN9rocsolver6v33100L18getri_kernel_smallILi10E19rocblas_complex_numIdEPKPS3_EEvT1_iilPiilS8_bb.numbered_sgpr, 23
	.set _ZN9rocsolver6v33100L18getri_kernel_smallILi10E19rocblas_complex_numIdEPKPS3_EEvT1_iilPiilS8_bb.num_named_barrier, 0
	.set _ZN9rocsolver6v33100L18getri_kernel_smallILi10E19rocblas_complex_numIdEPKPS3_EEvT1_iilPiilS8_bb.private_seg_size, 176
	.set _ZN9rocsolver6v33100L18getri_kernel_smallILi10E19rocblas_complex_numIdEPKPS3_EEvT1_iilPiilS8_bb.uses_vcc, 1
	.set _ZN9rocsolver6v33100L18getri_kernel_smallILi10E19rocblas_complex_numIdEPKPS3_EEvT1_iilPiilS8_bb.uses_flat_scratch, 1
	.set _ZN9rocsolver6v33100L18getri_kernel_smallILi10E19rocblas_complex_numIdEPKPS3_EEvT1_iilPiilS8_bb.has_dyn_sized_stack, 0
	.set _ZN9rocsolver6v33100L18getri_kernel_smallILi10E19rocblas_complex_numIdEPKPS3_EEvT1_iilPiilS8_bb.has_recursion, 0
	.set _ZN9rocsolver6v33100L18getri_kernel_smallILi10E19rocblas_complex_numIdEPKPS3_EEvT1_iilPiilS8_bb.has_indirect_call, 0
	.section	.AMDGPU.csdata,"",@progbits
; Kernel info:
; codeLenInByte = 9828
; TotalNumSgprs: 25
; NumVgprs: 80
; ScratchSize: 176
; MemoryBound: 0
; FloatMode: 240
; IeeeMode: 1
; LDSByteSize: 1352 bytes/workgroup (compile time only)
; SGPRBlocks: 0
; VGPRBlocks: 9
; NumSGPRsForWavesPerEU: 25
; NumVGPRsForWavesPerEU: 80
; Occupancy: 16
; WaveLimiterHint : 1
; COMPUTE_PGM_RSRC2:SCRATCH_EN: 1
; COMPUTE_PGM_RSRC2:USER_SGPR: 4
; COMPUTE_PGM_RSRC2:TRAP_HANDLER: 0
; COMPUTE_PGM_RSRC2:TGID_X_EN: 1
; COMPUTE_PGM_RSRC2:TGID_Y_EN: 0
; COMPUTE_PGM_RSRC2:TGID_Z_EN: 0
; COMPUTE_PGM_RSRC2:TIDIG_COMP_CNT: 2
	.section	.text._ZN9rocsolver6v33100L18getri_kernel_smallILi11E19rocblas_complex_numIdEPKPS3_EEvT1_iilPiilS8_bb,"axG",@progbits,_ZN9rocsolver6v33100L18getri_kernel_smallILi11E19rocblas_complex_numIdEPKPS3_EEvT1_iilPiilS8_bb,comdat
	.globl	_ZN9rocsolver6v33100L18getri_kernel_smallILi11E19rocblas_complex_numIdEPKPS3_EEvT1_iilPiilS8_bb ; -- Begin function _ZN9rocsolver6v33100L18getri_kernel_smallILi11E19rocblas_complex_numIdEPKPS3_EEvT1_iilPiilS8_bb
	.p2align	8
	.type	_ZN9rocsolver6v33100L18getri_kernel_smallILi11E19rocblas_complex_numIdEPKPS3_EEvT1_iilPiilS8_bb,@function
_ZN9rocsolver6v33100L18getri_kernel_smallILi11E19rocblas_complex_numIdEPKPS3_EEvT1_iilPiilS8_bb: ; @_ZN9rocsolver6v33100L18getri_kernel_smallILi11E19rocblas_complex_numIdEPKPS3_EEvT1_iilPiilS8_bb
; %bb.0:
	v_and_b32_e32 v35, 0x3ff, v0
	s_mov_b32 s4, exec_lo
	s_delay_alu instid0(VALU_DEP_1)
	v_cmpx_gt_u32_e32 11, v35
	s_cbranch_execz .LBB74_58
; %bb.1:
	s_clause 0x1
	s_load_b32 s14, s[2:3], 0x38
	s_load_b64 s[8:9], s[2:3], 0x0
	s_mov_b32 s10, ttmp9
	s_load_b128 s[4:7], s[2:3], 0x28
	s_wait_kmcnt 0x0
	s_bitcmp1_b32 s14, 8
	s_cselect_b32 s18, -1, 0
	s_ashr_i32 s11, ttmp9, 31
	s_delay_alu instid0(SALU_CYCLE_1) | instskip(NEXT) | instid1(SALU_CYCLE_1)
	s_lshl_b64 s[12:13], s[10:11], 3
	s_add_nc_u64 s[8:9], s[8:9], s[12:13]
	s_load_b64 s[12:13], s[8:9], 0x0
	s_bfe_u32 s8, s14, 0x10008
	s_delay_alu instid0(SALU_CYCLE_1)
	s_cmp_eq_u32 s8, 0
                                        ; implicit-def: $sgpr8_sgpr9
	s_cbranch_scc1 .LBB74_3
; %bb.2:
	s_load_b96 s[20:22], s[2:3], 0x18
	s_mul_u64 s[4:5], s[4:5], s[10:11]
	s_delay_alu instid0(SALU_CYCLE_1)
	s_lshl_b64 s[4:5], s[4:5], 2
	s_wait_kmcnt 0x0
	s_ashr_i32 s9, s22, 31
	s_mov_b32 s8, s22
	s_add_nc_u64 s[4:5], s[20:21], s[4:5]
	s_lshl_b64 s[8:9], s[8:9], 2
	s_delay_alu instid0(SALU_CYCLE_1)
	s_add_nc_u64 s[8:9], s[4:5], s[8:9]
.LBB74_3:
	s_clause 0x1
	s_load_b64 s[4:5], s[2:3], 0x8
	s_load_b32 s21, s[2:3], 0x38
	v_lshlrev_b32_e32 v36, 4, v35
	s_mov_b32 s20, 16
	s_mov_b32 s19, 32
	;; [unrolled: 1-line block ×3, first 2 shown]
	s_movk_i32 s15, 0x50
	s_movk_i32 s16, 0x70
	;; [unrolled: 1-line block ×3, first 2 shown]
	s_wait_kmcnt 0x0
	s_ashr_i32 s3, s4, 31
	s_mov_b32 s2, s4
	v_add3_u32 v5, s5, s5, v35
	s_lshl_b64 s[2:3], s[2:3], 4
	s_delay_alu instid0(SALU_CYCLE_1)
	s_add_nc_u64 s[2:3], s[12:13], s[2:3]
	s_ashr_i32 s13, s5, 31
	v_add_co_u32 v13, s4, s2, v36
	s_wait_alu 0xf1ff
	v_add_co_ci_u32_e64 v14, null, s3, 0, s4
	s_mov_b32 s12, s5
	v_ashrrev_i32_e32 v6, 31, v5
	s_lshl_b64 s[12:13], s[12:13], 4
	flat_load_b128 v[1:4], v[13:14]
	v_add_co_u32 v15, vcc_lo, v13, s12
	s_delay_alu instid0(VALU_DEP_1)
	v_add_co_ci_u32_e64 v16, null, s13, v14, vcc_lo
	v_lshlrev_b64_e32 v[6:7], 4, v[5:6]
	v_add_nc_u32_e32 v5, s5, v5
	s_mov_b32 s4, 64
	s_movk_i32 s12, 0x80
	s_movk_i32 s13, 0xa0
	s_bitcmp0_b32 s21, 0
	v_add_co_u32 v17, vcc_lo, s2, v6
	s_wait_alu 0xfffd
	v_add_co_ci_u32_e64 v18, null, s3, v7, vcc_lo
	v_ashrrev_i32_e32 v6, 31, v5
	s_delay_alu instid0(VALU_DEP_1) | instskip(SKIP_1) | instid1(VALU_DEP_2)
	v_lshlrev_b64_e32 v[6:7], 4, v[5:6]
	v_add_nc_u32_e32 v5, s5, v5
	v_add_co_u32 v19, vcc_lo, s2, v6
	s_wait_alu 0xfffd
	s_delay_alu instid0(VALU_DEP_3) | instskip(NEXT) | instid1(VALU_DEP_3)
	v_add_co_ci_u32_e64 v20, null, s3, v7, vcc_lo
	v_ashrrev_i32_e32 v6, 31, v5
	s_delay_alu instid0(VALU_DEP_1) | instskip(SKIP_1) | instid1(VALU_DEP_2)
	v_lshlrev_b64_e32 v[6:7], 4, v[5:6]
	v_add_nc_u32_e32 v5, s5, v5
	v_add_co_u32 v21, vcc_lo, s2, v6
	s_wait_alu 0xfffd
	s_delay_alu instid0(VALU_DEP_3) | instskip(NEXT) | instid1(VALU_DEP_3)
	;; [unrolled: 8-line block ×6, first 2 shown]
	v_add_co_ci_u32_e64 v30, null, s3, v7, vcc_lo
	v_ashrrev_i32_e32 v6, 31, v5
	s_delay_alu instid0(VALU_DEP_1) | instskip(SKIP_2) | instid1(VALU_DEP_2)
	v_lshlrev_b64_e32 v[6:7], 4, v[5:6]
	v_add_nc_u32_e32 v5, s5, v5
	s_movk_i32 s5, 0x60
	v_add_co_u32 v31, vcc_lo, s2, v6
	s_wait_alu 0xfffd
	s_delay_alu instid0(VALU_DEP_3) | instskip(SKIP_1) | instid1(VALU_DEP_1)
	v_add_co_ci_u32_e64 v32, null, s3, v7, vcc_lo
	v_ashrrev_i32_e32 v6, 31, v5
	v_lshlrev_b64_e32 v[5:6], 4, v[5:6]
	s_delay_alu instid0(VALU_DEP_1) | instskip(SKIP_1) | instid1(VALU_DEP_2)
	v_add_co_u32 v33, vcc_lo, s2, v5
	s_wait_alu 0xfffd
	v_add_co_ci_u32_e64 v34, null, s3, v6, vcc_lo
	s_mov_b32 s3, -1
	s_wait_loadcnt_dscnt 0x0
	scratch_store_b128 off, v[1:4], off
	flat_load_b128 v[1:4], v[15:16]
	s_wait_loadcnt_dscnt 0x0
	scratch_store_b128 off, v[1:4], off offset:16
	flat_load_b128 v[1:4], v[17:18]
	s_wait_loadcnt_dscnt 0x0
	scratch_store_b128 off, v[1:4], off offset:32
	;; [unrolled: 3-line block ×10, first 2 shown]
	s_cbranch_scc1 .LBB74_56
; %bb.4:
	v_cmp_eq_u32_e64 s2, 0, v35
	s_and_saveexec_b32 s3, s2
; %bb.5:
	v_mov_b32_e32 v1, 0
	ds_store_b32 v1, v1 offset:352
; %bb.6:
	s_wait_alu 0xfffe
	s_or_b32 exec_lo, exec_lo, s3
	s_wait_storecnt_dscnt 0x0
	s_barrier_signal -1
	s_barrier_wait -1
	global_inv scope:SCOPE_SE
	scratch_load_b128 v[1:4], v36, off
	s_wait_loadcnt 0x0
	v_cmp_eq_f64_e32 vcc_lo, 0, v[1:2]
	v_cmp_eq_f64_e64 s3, 0, v[3:4]
	s_and_b32 s3, vcc_lo, s3
	s_wait_alu 0xfffe
	s_and_saveexec_b32 s21, s3
	s_cbranch_execz .LBB74_10
; %bb.7:
	v_mov_b32_e32 v1, 0
	s_mov_b32 s22, 0
	ds_load_b32 v2, v1 offset:352
	s_wait_dscnt 0x0
	v_readfirstlane_b32 s3, v2
	v_add_nc_u32_e32 v2, 1, v35
	s_cmp_eq_u32 s3, 0
	s_delay_alu instid0(VALU_DEP_1) | instskip(SKIP_1) | instid1(SALU_CYCLE_1)
	v_cmp_gt_i32_e32 vcc_lo, s3, v2
	s_cselect_b32 s23, -1, 0
	s_or_b32 s23, s23, vcc_lo
	s_delay_alu instid0(SALU_CYCLE_1)
	s_and_b32 exec_lo, exec_lo, s23
	s_cbranch_execz .LBB74_10
; %bb.8:
	v_mov_b32_e32 v3, s3
.LBB74_9:                               ; =>This Inner Loop Header: Depth=1
	ds_cmpstore_rtn_b32 v3, v1, v2, v3 offset:352
	s_wait_dscnt 0x0
	v_cmp_ne_u32_e32 vcc_lo, 0, v3
	v_cmp_le_i32_e64 s3, v3, v2
	s_and_b32 s3, vcc_lo, s3
	s_wait_alu 0xfffe
	s_and_b32 s3, exec_lo, s3
	s_wait_alu 0xfffe
	s_or_b32 s22, s3, s22
	s_delay_alu instid0(SALU_CYCLE_1)
	s_and_not1_b32 exec_lo, exec_lo, s22
	s_cbranch_execnz .LBB74_9
.LBB74_10:
	s_or_b32 exec_lo, exec_lo, s21
	v_mov_b32_e32 v1, 0
	s_barrier_signal -1
	s_barrier_wait -1
	global_inv scope:SCOPE_SE
	ds_load_b32 v2, v1 offset:352
	s_and_saveexec_b32 s3, s2
	s_cbranch_execz .LBB74_12
; %bb.11:
	s_lshl_b64 s[22:23], s[10:11], 2
	s_delay_alu instid0(SALU_CYCLE_1)
	s_add_nc_u64 s[22:23], s[6:7], s[22:23]
	s_wait_dscnt 0x0
	global_store_b32 v1, v2, s[22:23]
.LBB74_12:
	s_wait_alu 0xfffe
	s_or_b32 exec_lo, exec_lo, s3
	s_wait_dscnt 0x0
	v_cmp_ne_u32_e32 vcc_lo, 0, v2
	s_mov_b32 s3, 0
	s_cbranch_vccnz .LBB74_56
; %bb.13:
	v_mov_b32_e32 v37, v36
                                        ; implicit-def: $vgpr1_vgpr2
                                        ; implicit-def: $vgpr9_vgpr10
	scratch_load_b128 v[5:8], v37, off
	s_wait_loadcnt 0x0
	v_cmp_ngt_f64_e64 s3, |v[5:6]|, |v[7:8]|
	s_wait_alu 0xfffe
	s_and_saveexec_b32 s21, s3
	s_delay_alu instid0(SALU_CYCLE_1)
	s_xor_b32 s3, exec_lo, s21
	s_cbranch_execz .LBB74_15
; %bb.14:
	v_div_scale_f64 v[1:2], null, v[7:8], v[7:8], v[5:6]
	v_div_scale_f64 v[11:12], vcc_lo, v[5:6], v[7:8], v[5:6]
	s_delay_alu instid0(VALU_DEP_2) | instskip(NEXT) | instid1(TRANS32_DEP_1)
	v_rcp_f64_e32 v[3:4], v[1:2]
	v_fma_f64 v[9:10], -v[1:2], v[3:4], 1.0
	s_delay_alu instid0(VALU_DEP_1) | instskip(NEXT) | instid1(VALU_DEP_1)
	v_fma_f64 v[3:4], v[3:4], v[9:10], v[3:4]
	v_fma_f64 v[9:10], -v[1:2], v[3:4], 1.0
	s_delay_alu instid0(VALU_DEP_1) | instskip(NEXT) | instid1(VALU_DEP_1)
	v_fma_f64 v[3:4], v[3:4], v[9:10], v[3:4]
	v_mul_f64_e32 v[9:10], v[11:12], v[3:4]
	s_delay_alu instid0(VALU_DEP_1) | instskip(SKIP_1) | instid1(VALU_DEP_1)
	v_fma_f64 v[1:2], -v[1:2], v[9:10], v[11:12]
	s_wait_alu 0xfffd
	v_div_fmas_f64 v[1:2], v[1:2], v[3:4], v[9:10]
	s_delay_alu instid0(VALU_DEP_1) | instskip(NEXT) | instid1(VALU_DEP_1)
	v_div_fixup_f64 v[1:2], v[1:2], v[7:8], v[5:6]
	v_fma_f64 v[3:4], v[5:6], v[1:2], v[7:8]
	s_delay_alu instid0(VALU_DEP_1) | instskip(SKIP_1) | instid1(VALU_DEP_2)
	v_div_scale_f64 v[5:6], null, v[3:4], v[3:4], 1.0
	v_div_scale_f64 v[11:12], vcc_lo, 1.0, v[3:4], 1.0
	v_rcp_f64_e32 v[7:8], v[5:6]
	s_delay_alu instid0(TRANS32_DEP_1) | instskip(NEXT) | instid1(VALU_DEP_1)
	v_fma_f64 v[9:10], -v[5:6], v[7:8], 1.0
	v_fma_f64 v[7:8], v[7:8], v[9:10], v[7:8]
	s_delay_alu instid0(VALU_DEP_1) | instskip(NEXT) | instid1(VALU_DEP_1)
	v_fma_f64 v[9:10], -v[5:6], v[7:8], 1.0
	v_fma_f64 v[7:8], v[7:8], v[9:10], v[7:8]
	s_delay_alu instid0(VALU_DEP_1) | instskip(NEXT) | instid1(VALU_DEP_1)
	v_mul_f64_e32 v[9:10], v[11:12], v[7:8]
	v_fma_f64 v[5:6], -v[5:6], v[9:10], v[11:12]
	s_wait_alu 0xfffd
	s_delay_alu instid0(VALU_DEP_1) | instskip(NEXT) | instid1(VALU_DEP_1)
	v_div_fmas_f64 v[5:6], v[5:6], v[7:8], v[9:10]
	v_div_fixup_f64 v[3:4], v[5:6], v[3:4], 1.0
                                        ; implicit-def: $vgpr5_vgpr6
	s_delay_alu instid0(VALU_DEP_1) | instskip(SKIP_1) | instid1(VALU_DEP_2)
	v_mul_f64_e32 v[1:2], v[1:2], v[3:4]
	v_xor_b32_e32 v4, 0x80000000, v4
	v_xor_b32_e32 v10, 0x80000000, v2
	s_delay_alu instid0(VALU_DEP_3)
	v_mov_b32_e32 v9, v1
.LBB74_15:
	s_wait_alu 0xfffe
	s_and_not1_saveexec_b32 s3, s3
	s_cbranch_execz .LBB74_17
; %bb.16:
	v_div_scale_f64 v[1:2], null, v[5:6], v[5:6], v[7:8]
	v_div_scale_f64 v[11:12], vcc_lo, v[7:8], v[5:6], v[7:8]
	s_delay_alu instid0(VALU_DEP_2) | instskip(NEXT) | instid1(TRANS32_DEP_1)
	v_rcp_f64_e32 v[3:4], v[1:2]
	v_fma_f64 v[9:10], -v[1:2], v[3:4], 1.0
	s_delay_alu instid0(VALU_DEP_1) | instskip(NEXT) | instid1(VALU_DEP_1)
	v_fma_f64 v[3:4], v[3:4], v[9:10], v[3:4]
	v_fma_f64 v[9:10], -v[1:2], v[3:4], 1.0
	s_delay_alu instid0(VALU_DEP_1) | instskip(NEXT) | instid1(VALU_DEP_1)
	v_fma_f64 v[3:4], v[3:4], v[9:10], v[3:4]
	v_mul_f64_e32 v[9:10], v[11:12], v[3:4]
	s_delay_alu instid0(VALU_DEP_1) | instskip(SKIP_1) | instid1(VALU_DEP_1)
	v_fma_f64 v[1:2], -v[1:2], v[9:10], v[11:12]
	s_wait_alu 0xfffd
	v_div_fmas_f64 v[1:2], v[1:2], v[3:4], v[9:10]
	s_delay_alu instid0(VALU_DEP_1) | instskip(NEXT) | instid1(VALU_DEP_1)
	v_div_fixup_f64 v[3:4], v[1:2], v[5:6], v[7:8]
	v_fma_f64 v[1:2], v[7:8], v[3:4], v[5:6]
	s_delay_alu instid0(VALU_DEP_1) | instskip(NEXT) | instid1(VALU_DEP_1)
	v_div_scale_f64 v[5:6], null, v[1:2], v[1:2], 1.0
	v_rcp_f64_e32 v[7:8], v[5:6]
	s_delay_alu instid0(TRANS32_DEP_1) | instskip(NEXT) | instid1(VALU_DEP_1)
	v_fma_f64 v[9:10], -v[5:6], v[7:8], 1.0
	v_fma_f64 v[7:8], v[7:8], v[9:10], v[7:8]
	s_delay_alu instid0(VALU_DEP_1) | instskip(NEXT) | instid1(VALU_DEP_1)
	v_fma_f64 v[9:10], -v[5:6], v[7:8], 1.0
	v_fma_f64 v[7:8], v[7:8], v[9:10], v[7:8]
	v_div_scale_f64 v[9:10], vcc_lo, 1.0, v[1:2], 1.0
	s_delay_alu instid0(VALU_DEP_1) | instskip(NEXT) | instid1(VALU_DEP_1)
	v_mul_f64_e32 v[11:12], v[9:10], v[7:8]
	v_fma_f64 v[5:6], -v[5:6], v[11:12], v[9:10]
	s_wait_alu 0xfffd
	s_delay_alu instid0(VALU_DEP_1) | instskip(NEXT) | instid1(VALU_DEP_1)
	v_div_fmas_f64 v[5:6], v[5:6], v[7:8], v[11:12]
	v_div_fixup_f64 v[1:2], v[5:6], v[1:2], 1.0
	s_delay_alu instid0(VALU_DEP_1)
	v_mul_f64_e64 v[3:4], v[3:4], -v[1:2]
	v_xor_b32_e32 v10, 0x80000000, v2
	v_mov_b32_e32 v9, v1
.LBB74_17:
	s_wait_alu 0xfffe
	s_or_b32 exec_lo, exec_lo, s3
	scratch_store_b128 v37, v[1:4], off
	scratch_load_b128 v[38:41], off, s20
	v_xor_b32_e32 v12, 0x80000000, v4
	v_mov_b32_e32 v11, v3
	v_add_nc_u32_e32 v5, 0xb0, v36
	ds_store_b128 v36, v[9:12]
	s_wait_loadcnt 0x0
	ds_store_b128 v36, v[38:41] offset:176
	s_wait_storecnt_dscnt 0x0
	s_barrier_signal -1
	s_barrier_wait -1
	global_inv scope:SCOPE_SE
	s_and_saveexec_b32 s3, s2
	s_cbranch_execz .LBB74_19
; %bb.18:
	scratch_load_b128 v[1:4], v37, off
	ds_load_b128 v[6:9], v5
	v_mov_b32_e32 v10, 0
	ds_load_b128 v[38:41], v10 offset:16
	s_wait_loadcnt_dscnt 0x1
	v_mul_f64_e32 v[10:11], v[6:7], v[3:4]
	v_mul_f64_e32 v[3:4], v[8:9], v[3:4]
	s_delay_alu instid0(VALU_DEP_2) | instskip(NEXT) | instid1(VALU_DEP_2)
	v_fma_f64 v[8:9], v[8:9], v[1:2], v[10:11]
	v_fma_f64 v[1:2], v[6:7], v[1:2], -v[3:4]
	s_delay_alu instid0(VALU_DEP_2) | instskip(NEXT) | instid1(VALU_DEP_2)
	v_add_f64_e32 v[3:4], 0, v[8:9]
	v_add_f64_e32 v[1:2], 0, v[1:2]
	s_wait_dscnt 0x0
	s_delay_alu instid0(VALU_DEP_2) | instskip(NEXT) | instid1(VALU_DEP_2)
	v_mul_f64_e32 v[6:7], v[3:4], v[40:41]
	v_mul_f64_e32 v[8:9], v[1:2], v[40:41]
	s_delay_alu instid0(VALU_DEP_2) | instskip(NEXT) | instid1(VALU_DEP_2)
	v_fma_f64 v[1:2], v[1:2], v[38:39], -v[6:7]
	v_fma_f64 v[3:4], v[3:4], v[38:39], v[8:9]
	scratch_store_b128 off, v[1:4], off offset:16
.LBB74_19:
	s_wait_alu 0xfffe
	s_or_b32 exec_lo, exec_lo, s3
	s_wait_loadcnt 0x0
	s_wait_storecnt 0x0
	s_barrier_signal -1
	s_barrier_wait -1
	global_inv scope:SCOPE_SE
	scratch_load_b128 v[1:4], off, s19
	s_mov_b32 s3, exec_lo
	s_wait_loadcnt 0x0
	ds_store_b128 v5, v[1:4]
	s_wait_dscnt 0x0
	s_barrier_signal -1
	s_barrier_wait -1
	global_inv scope:SCOPE_SE
	v_cmpx_gt_u32_e32 2, v35
	s_cbranch_execz .LBB74_23
; %bb.20:
	scratch_load_b128 v[1:4], v37, off
	ds_load_b128 v[6:9], v5
	s_wait_loadcnt_dscnt 0x0
	v_mul_f64_e32 v[10:11], v[8:9], v[3:4]
	v_mul_f64_e32 v[3:4], v[6:7], v[3:4]
	s_delay_alu instid0(VALU_DEP_2) | instskip(NEXT) | instid1(VALU_DEP_2)
	v_fma_f64 v[6:7], v[6:7], v[1:2], -v[10:11]
	v_fma_f64 v[3:4], v[8:9], v[1:2], v[3:4]
	s_delay_alu instid0(VALU_DEP_2) | instskip(NEXT) | instid1(VALU_DEP_2)
	v_add_f64_e32 v[1:2], 0, v[6:7]
	v_add_f64_e32 v[3:4], 0, v[3:4]
	s_and_saveexec_b32 s21, s2
	s_cbranch_execz .LBB74_22
; %bb.21:
	scratch_load_b128 v[6:9], off, off offset:16
	v_mov_b32_e32 v10, 0
	ds_load_b128 v[38:41], v10 offset:192
	s_wait_loadcnt_dscnt 0x0
	v_mul_f64_e32 v[10:11], v[38:39], v[8:9]
	v_mul_f64_e32 v[8:9], v[40:41], v[8:9]
	s_delay_alu instid0(VALU_DEP_2) | instskip(NEXT) | instid1(VALU_DEP_2)
	v_fma_f64 v[10:11], v[40:41], v[6:7], v[10:11]
	v_fma_f64 v[6:7], v[38:39], v[6:7], -v[8:9]
	s_delay_alu instid0(VALU_DEP_2) | instskip(NEXT) | instid1(VALU_DEP_2)
	v_add_f64_e32 v[3:4], v[3:4], v[10:11]
	v_add_f64_e32 v[1:2], v[1:2], v[6:7]
.LBB74_22:
	s_or_b32 exec_lo, exec_lo, s21
	v_mov_b32_e32 v6, 0
	ds_load_b128 v[6:9], v6 offset:32
	s_wait_dscnt 0x0
	v_mul_f64_e32 v[10:11], v[3:4], v[8:9]
	v_mul_f64_e32 v[8:9], v[1:2], v[8:9]
	s_delay_alu instid0(VALU_DEP_2) | instskip(NEXT) | instid1(VALU_DEP_2)
	v_fma_f64 v[1:2], v[1:2], v[6:7], -v[10:11]
	v_fma_f64 v[3:4], v[3:4], v[6:7], v[8:9]
	scratch_store_b128 off, v[1:4], off offset:32
.LBB74_23:
	s_wait_alu 0xfffe
	s_or_b32 exec_lo, exec_lo, s3
	s_wait_loadcnt 0x0
	s_wait_storecnt 0x0
	s_barrier_signal -1
	s_barrier_wait -1
	global_inv scope:SCOPE_SE
	scratch_load_b128 v[1:4], off, s14
	v_add_nc_u32_e32 v6, -1, v35
	s_mov_b32 s2, exec_lo
	s_wait_loadcnt 0x0
	ds_store_b128 v5, v[1:4]
	s_wait_dscnt 0x0
	s_barrier_signal -1
	s_barrier_wait -1
	global_inv scope:SCOPE_SE
	v_cmpx_gt_u32_e32 3, v35
	s_cbranch_execz .LBB74_27
; %bb.24:
	v_dual_mov_b32 v1, 0 :: v_dual_add_nc_u32 v8, 0xb0, v36
	v_mov_b32_e32 v3, 0
	v_dual_mov_b32 v2, 0 :: v_dual_add_nc_u32 v7, -1, v35
	v_mov_b32_e32 v4, 0
	v_or_b32_e32 v9, 8, v37
	s_mov_b32 s3, 0
.LBB74_25:                              ; =>This Inner Loop Header: Depth=1
	scratch_load_b128 v[38:41], v9, off offset:-8
	ds_load_b128 v[42:45], v8
	v_add_nc_u32_e32 v7, 1, v7
	v_add_nc_u32_e32 v8, 16, v8
	v_add_nc_u32_e32 v9, 16, v9
	s_delay_alu instid0(VALU_DEP_3)
	v_cmp_lt_u32_e32 vcc_lo, 1, v7
	s_wait_alu 0xfffe
	s_or_b32 s3, vcc_lo, s3
	s_wait_loadcnt_dscnt 0x0
	v_mul_f64_e32 v[10:11], v[44:45], v[40:41]
	v_mul_f64_e32 v[40:41], v[42:43], v[40:41]
	s_delay_alu instid0(VALU_DEP_2) | instskip(NEXT) | instid1(VALU_DEP_2)
	v_fma_f64 v[10:11], v[42:43], v[38:39], -v[10:11]
	v_fma_f64 v[38:39], v[44:45], v[38:39], v[40:41]
	s_delay_alu instid0(VALU_DEP_2) | instskip(NEXT) | instid1(VALU_DEP_2)
	v_add_f64_e32 v[3:4], v[3:4], v[10:11]
	v_add_f64_e32 v[1:2], v[1:2], v[38:39]
	s_wait_alu 0xfffe
	s_and_not1_b32 exec_lo, exec_lo, s3
	s_cbranch_execnz .LBB74_25
; %bb.26:
	s_or_b32 exec_lo, exec_lo, s3
	v_mov_b32_e32 v7, 0
	ds_load_b128 v[7:10], v7 offset:48
	s_wait_dscnt 0x0
	v_mul_f64_e32 v[11:12], v[1:2], v[9:10]
	v_mul_f64_e32 v[38:39], v[3:4], v[9:10]
	s_delay_alu instid0(VALU_DEP_2) | instskip(NEXT) | instid1(VALU_DEP_2)
	v_fma_f64 v[9:10], v[3:4], v[7:8], -v[11:12]
	v_fma_f64 v[11:12], v[1:2], v[7:8], v[38:39]
	scratch_store_b128 off, v[9:12], off offset:48
.LBB74_27:
	s_wait_alu 0xfffe
	s_or_b32 exec_lo, exec_lo, s2
	s_wait_loadcnt 0x0
	s_wait_storecnt 0x0
	s_barrier_signal -1
	s_barrier_wait -1
	global_inv scope:SCOPE_SE
	scratch_load_b128 v[1:4], off, s4
	s_mov_b32 s2, exec_lo
	s_wait_loadcnt 0x0
	ds_store_b128 v5, v[1:4]
	s_wait_dscnt 0x0
	s_barrier_signal -1
	s_barrier_wait -1
	global_inv scope:SCOPE_SE
	v_cmpx_gt_u32_e32 4, v35
	s_cbranch_execz .LBB74_31
; %bb.28:
	v_dual_mov_b32 v1, 0 :: v_dual_add_nc_u32 v8, 0xb0, v36
	v_mov_b32_e32 v3, 0
	v_dual_mov_b32 v2, 0 :: v_dual_add_nc_u32 v7, -1, v35
	v_mov_b32_e32 v4, 0
	v_or_b32_e32 v9, 8, v37
	s_mov_b32 s3, 0
.LBB74_29:                              ; =>This Inner Loop Header: Depth=1
	scratch_load_b128 v[38:41], v9, off offset:-8
	ds_load_b128 v[42:45], v8
	v_add_nc_u32_e32 v7, 1, v7
	v_add_nc_u32_e32 v8, 16, v8
	v_add_nc_u32_e32 v9, 16, v9
	s_delay_alu instid0(VALU_DEP_3)
	v_cmp_lt_u32_e32 vcc_lo, 2, v7
	s_wait_alu 0xfffe
	s_or_b32 s3, vcc_lo, s3
	s_wait_loadcnt_dscnt 0x0
	v_mul_f64_e32 v[10:11], v[44:45], v[40:41]
	v_mul_f64_e32 v[40:41], v[42:43], v[40:41]
	s_delay_alu instid0(VALU_DEP_2) | instskip(NEXT) | instid1(VALU_DEP_2)
	v_fma_f64 v[10:11], v[42:43], v[38:39], -v[10:11]
	v_fma_f64 v[38:39], v[44:45], v[38:39], v[40:41]
	s_delay_alu instid0(VALU_DEP_2) | instskip(NEXT) | instid1(VALU_DEP_2)
	v_add_f64_e32 v[3:4], v[3:4], v[10:11]
	v_add_f64_e32 v[1:2], v[1:2], v[38:39]
	s_wait_alu 0xfffe
	s_and_not1_b32 exec_lo, exec_lo, s3
	s_cbranch_execnz .LBB74_29
; %bb.30:
	s_or_b32 exec_lo, exec_lo, s3
	v_mov_b32_e32 v7, 0
	ds_load_b128 v[7:10], v7 offset:64
	s_wait_dscnt 0x0
	v_mul_f64_e32 v[11:12], v[1:2], v[9:10]
	v_mul_f64_e32 v[38:39], v[3:4], v[9:10]
	s_delay_alu instid0(VALU_DEP_2) | instskip(NEXT) | instid1(VALU_DEP_2)
	v_fma_f64 v[9:10], v[3:4], v[7:8], -v[11:12]
	v_fma_f64 v[11:12], v[1:2], v[7:8], v[38:39]
	scratch_store_b128 off, v[9:12], off offset:64
.LBB74_31:
	s_wait_alu 0xfffe
	s_or_b32 exec_lo, exec_lo, s2
	s_wait_loadcnt 0x0
	s_wait_storecnt 0x0
	s_barrier_signal -1
	s_barrier_wait -1
	global_inv scope:SCOPE_SE
	scratch_load_b128 v[1:4], off, s15
	;; [unrolled: 58-line block ×7, first 2 shown]
	s_mov_b32 s2, exec_lo
	s_wait_loadcnt 0x0
	ds_store_b128 v5, v[1:4]
	s_wait_dscnt 0x0
	s_barrier_signal -1
	s_barrier_wait -1
	global_inv scope:SCOPE_SE
	v_cmpx_ne_u32_e32 10, v35
	s_cbranch_execz .LBB74_55
; %bb.52:
	v_mov_b32_e32 v1, 0
	v_dual_mov_b32 v2, 0 :: v_dual_mov_b32 v3, 0
	v_mov_b32_e32 v4, 0
	v_or_b32_e32 v7, 8, v37
	s_mov_b32 s3, 0
.LBB74_53:                              ; =>This Inner Loop Header: Depth=1
	scratch_load_b128 v[8:11], v7, off offset:-8
	ds_load_b128 v[36:39], v5
	v_add_nc_u32_e32 v6, 1, v6
	v_add_nc_u32_e32 v5, 16, v5
	;; [unrolled: 1-line block ×3, first 2 shown]
	s_delay_alu instid0(VALU_DEP_3)
	v_cmp_lt_u32_e32 vcc_lo, 8, v6
	s_wait_alu 0xfffe
	s_or_b32 s3, vcc_lo, s3
	s_wait_loadcnt_dscnt 0x0
	v_mul_f64_e32 v[40:41], v[38:39], v[10:11]
	v_mul_f64_e32 v[10:11], v[36:37], v[10:11]
	s_delay_alu instid0(VALU_DEP_2) | instskip(NEXT) | instid1(VALU_DEP_2)
	v_fma_f64 v[36:37], v[36:37], v[8:9], -v[40:41]
	v_fma_f64 v[8:9], v[38:39], v[8:9], v[10:11]
	s_delay_alu instid0(VALU_DEP_2) | instskip(NEXT) | instid1(VALU_DEP_2)
	v_add_f64_e32 v[3:4], v[3:4], v[36:37]
	v_add_f64_e32 v[1:2], v[1:2], v[8:9]
	s_wait_alu 0xfffe
	s_and_not1_b32 exec_lo, exec_lo, s3
	s_cbranch_execnz .LBB74_53
; %bb.54:
	s_or_b32 exec_lo, exec_lo, s3
	v_mov_b32_e32 v5, 0
	ds_load_b128 v[5:8], v5 offset:160
	s_wait_dscnt 0x0
	v_mul_f64_e32 v[9:10], v[1:2], v[7:8]
	v_mul_f64_e32 v[7:8], v[3:4], v[7:8]
	s_delay_alu instid0(VALU_DEP_2) | instskip(NEXT) | instid1(VALU_DEP_2)
	v_fma_f64 v[3:4], v[3:4], v[5:6], -v[9:10]
	v_fma_f64 v[5:6], v[1:2], v[5:6], v[7:8]
	scratch_store_b128 off, v[3:6], off offset:160
.LBB74_55:
	s_wait_alu 0xfffe
	s_or_b32 exec_lo, exec_lo, s2
	s_mov_b32 s3, -1
	s_wait_loadcnt 0x0
	s_wait_storecnt 0x0
	s_barrier_signal -1
	s_barrier_wait -1
	global_inv scope:SCOPE_SE
.LBB74_56:
	s_wait_alu 0xfffe
	s_and_b32 vcc_lo, exec_lo, s3
	s_wait_alu 0xfffe
	s_cbranch_vccz .LBB74_58
; %bb.57:
	v_mov_b32_e32 v1, 0
	s_lshl_b64 s[2:3], s[10:11], 2
	s_wait_alu 0xfffe
	s_add_nc_u64 s[2:3], s[6:7], s[2:3]
	global_load_b32 v1, v1, s[2:3]
	s_wait_loadcnt 0x0
	v_cmp_ne_u32_e32 vcc_lo, 0, v1
	s_cbranch_vccz .LBB74_59
.LBB74_58:
	s_endpgm
.LBB74_59:
	v_lshl_add_u32 v5, v35, 4, 0xb0
	s_mov_b32 s2, exec_lo
	v_cmpx_eq_u32_e32 10, v35
	s_cbranch_execz .LBB74_61
; %bb.60:
	scratch_load_b128 v[1:4], off, s17
	v_mov_b32_e32 v6, 0
	s_delay_alu instid0(VALU_DEP_1)
	v_dual_mov_b32 v7, v6 :: v_dual_mov_b32 v8, v6
	v_mov_b32_e32 v9, v6
	scratch_store_b128 off, v[6:9], off offset:144
	s_wait_loadcnt 0x0
	ds_store_b128 v5, v[1:4]
.LBB74_61:
	s_wait_alu 0xfffe
	s_or_b32 exec_lo, exec_lo, s2
	s_wait_storecnt_dscnt 0x0
	s_barrier_signal -1
	s_barrier_wait -1
	global_inv scope:SCOPE_SE
	s_clause 0x1
	scratch_load_b128 v[6:9], off, off offset:160
	scratch_load_b128 v[36:39], off, off offset:144
	v_mov_b32_e32 v1, 0
	s_mov_b32 s2, exec_lo
	ds_load_b128 v[40:43], v1 offset:336
	s_wait_loadcnt_dscnt 0x100
	v_mul_f64_e32 v[2:3], v[42:43], v[8:9]
	v_mul_f64_e32 v[8:9], v[40:41], v[8:9]
	s_delay_alu instid0(VALU_DEP_2) | instskip(NEXT) | instid1(VALU_DEP_2)
	v_fma_f64 v[2:3], v[40:41], v[6:7], -v[2:3]
	v_fma_f64 v[6:7], v[42:43], v[6:7], v[8:9]
	s_delay_alu instid0(VALU_DEP_2) | instskip(NEXT) | instid1(VALU_DEP_2)
	v_add_f64_e32 v[2:3], 0, v[2:3]
	v_add_f64_e32 v[8:9], 0, v[6:7]
	s_wait_loadcnt 0x0
	s_delay_alu instid0(VALU_DEP_2) | instskip(NEXT) | instid1(VALU_DEP_2)
	v_add_f64_e64 v[6:7], v[36:37], -v[2:3]
	v_add_f64_e64 v[8:9], v[38:39], -v[8:9]
	scratch_store_b128 off, v[6:9], off offset:144
	v_cmpx_lt_u32_e32 8, v35
	s_cbranch_execz .LBB74_63
; %bb.62:
	scratch_load_b128 v[6:9], off, s12
	v_dual_mov_b32 v2, v1 :: v_dual_mov_b32 v3, v1
	v_mov_b32_e32 v4, v1
	scratch_store_b128 off, v[1:4], off offset:128
	s_wait_loadcnt 0x0
	ds_store_b128 v5, v[6:9]
.LBB74_63:
	s_wait_alu 0xfffe
	s_or_b32 exec_lo, exec_lo, s2
	s_wait_storecnt_dscnt 0x0
	s_barrier_signal -1
	s_barrier_wait -1
	global_inv scope:SCOPE_SE
	s_clause 0x2
	scratch_load_b128 v[6:9], off, off offset:144
	scratch_load_b128 v[36:39], off, off offset:160
	;; [unrolled: 1-line block ×3, first 2 shown]
	ds_load_b128 v[44:47], v1 offset:320
	ds_load_b128 v[1:4], v1 offset:336
	s_mov_b32 s2, exec_lo
	s_wait_loadcnt_dscnt 0x201
	v_mul_f64_e32 v[10:11], v[46:47], v[8:9]
	v_mul_f64_e32 v[8:9], v[44:45], v[8:9]
	s_wait_loadcnt_dscnt 0x100
	v_mul_f64_e32 v[48:49], v[1:2], v[38:39]
	v_mul_f64_e32 v[38:39], v[3:4], v[38:39]
	s_delay_alu instid0(VALU_DEP_4) | instskip(NEXT) | instid1(VALU_DEP_4)
	v_fma_f64 v[10:11], v[44:45], v[6:7], -v[10:11]
	v_fma_f64 v[6:7], v[46:47], v[6:7], v[8:9]
	s_delay_alu instid0(VALU_DEP_4) | instskip(NEXT) | instid1(VALU_DEP_4)
	v_fma_f64 v[3:4], v[3:4], v[36:37], v[48:49]
	v_fma_f64 v[1:2], v[1:2], v[36:37], -v[38:39]
	s_delay_alu instid0(VALU_DEP_4) | instskip(NEXT) | instid1(VALU_DEP_4)
	v_add_f64_e32 v[8:9], 0, v[10:11]
	v_add_f64_e32 v[6:7], 0, v[6:7]
	s_delay_alu instid0(VALU_DEP_2) | instskip(NEXT) | instid1(VALU_DEP_2)
	v_add_f64_e32 v[1:2], v[8:9], v[1:2]
	v_add_f64_e32 v[3:4], v[6:7], v[3:4]
	s_wait_loadcnt 0x0
	s_delay_alu instid0(VALU_DEP_2) | instskip(NEXT) | instid1(VALU_DEP_2)
	v_add_f64_e64 v[1:2], v[40:41], -v[1:2]
	v_add_f64_e64 v[3:4], v[42:43], -v[3:4]
	scratch_store_b128 off, v[1:4], off offset:128
	v_cmpx_lt_u32_e32 7, v35
	s_cbranch_execz .LBB74_65
; %bb.64:
	scratch_load_b128 v[1:4], off, s16
	v_mov_b32_e32 v6, 0
	s_delay_alu instid0(VALU_DEP_1)
	v_dual_mov_b32 v7, v6 :: v_dual_mov_b32 v8, v6
	v_mov_b32_e32 v9, v6
	scratch_store_b128 off, v[6:9], off offset:112
	s_wait_loadcnt 0x0
	ds_store_b128 v5, v[1:4]
.LBB74_65:
	s_wait_alu 0xfffe
	s_or_b32 exec_lo, exec_lo, s2
	s_wait_storecnt_dscnt 0x0
	s_barrier_signal -1
	s_barrier_wait -1
	global_inv scope:SCOPE_SE
	s_clause 0x3
	scratch_load_b128 v[6:9], off, off offset:128
	scratch_load_b128 v[36:39], off, off offset:144
	;; [unrolled: 1-line block ×4, first 2 shown]
	v_mov_b32_e32 v1, 0
	ds_load_b128 v[48:51], v1 offset:304
	ds_load_b128 v[52:55], v1 offset:320
	s_mov_b32 s2, exec_lo
	s_wait_loadcnt_dscnt 0x301
	v_mul_f64_e32 v[2:3], v[50:51], v[8:9]
	v_mul_f64_e32 v[8:9], v[48:49], v[8:9]
	s_wait_loadcnt_dscnt 0x200
	v_mul_f64_e32 v[10:11], v[52:53], v[38:39]
	v_mul_f64_e32 v[38:39], v[54:55], v[38:39]
	s_delay_alu instid0(VALU_DEP_4) | instskip(NEXT) | instid1(VALU_DEP_4)
	v_fma_f64 v[2:3], v[48:49], v[6:7], -v[2:3]
	v_fma_f64 v[48:49], v[50:51], v[6:7], v[8:9]
	ds_load_b128 v[6:9], v1 offset:336
	v_fma_f64 v[10:11], v[54:55], v[36:37], v[10:11]
	v_fma_f64 v[36:37], v[52:53], v[36:37], -v[38:39]
	s_wait_loadcnt_dscnt 0x100
	v_mul_f64_e32 v[50:51], v[6:7], v[42:43]
	v_mul_f64_e32 v[42:43], v[8:9], v[42:43]
	v_add_f64_e32 v[2:3], 0, v[2:3]
	v_add_f64_e32 v[38:39], 0, v[48:49]
	s_delay_alu instid0(VALU_DEP_4) | instskip(NEXT) | instid1(VALU_DEP_4)
	v_fma_f64 v[8:9], v[8:9], v[40:41], v[50:51]
	v_fma_f64 v[6:7], v[6:7], v[40:41], -v[42:43]
	s_delay_alu instid0(VALU_DEP_4) | instskip(NEXT) | instid1(VALU_DEP_4)
	v_add_f64_e32 v[2:3], v[2:3], v[36:37]
	v_add_f64_e32 v[10:11], v[38:39], v[10:11]
	s_delay_alu instid0(VALU_DEP_2) | instskip(NEXT) | instid1(VALU_DEP_2)
	v_add_f64_e32 v[2:3], v[2:3], v[6:7]
	v_add_f64_e32 v[8:9], v[10:11], v[8:9]
	s_wait_loadcnt 0x0
	s_delay_alu instid0(VALU_DEP_2) | instskip(NEXT) | instid1(VALU_DEP_2)
	v_add_f64_e64 v[6:7], v[44:45], -v[2:3]
	v_add_f64_e64 v[8:9], v[46:47], -v[8:9]
	scratch_store_b128 off, v[6:9], off offset:112
	v_cmpx_lt_u32_e32 6, v35
	s_cbranch_execz .LBB74_67
; %bb.66:
	scratch_load_b128 v[6:9], off, s5
	v_dual_mov_b32 v2, v1 :: v_dual_mov_b32 v3, v1
	v_mov_b32_e32 v4, v1
	scratch_store_b128 off, v[1:4], off offset:96
	s_wait_loadcnt 0x0
	ds_store_b128 v5, v[6:9]
.LBB74_67:
	s_wait_alu 0xfffe
	s_or_b32 exec_lo, exec_lo, s2
	s_wait_storecnt_dscnt 0x0
	s_barrier_signal -1
	s_barrier_wait -1
	global_inv scope:SCOPE_SE
	s_clause 0x4
	scratch_load_b128 v[6:9], off, off offset:112
	scratch_load_b128 v[36:39], off, off offset:128
	;; [unrolled: 1-line block ×5, first 2 shown]
	ds_load_b128 v[52:55], v1 offset:288
	ds_load_b128 v[56:59], v1 offset:304
	s_mov_b32 s2, exec_lo
	s_wait_loadcnt_dscnt 0x401
	v_mul_f64_e32 v[2:3], v[54:55], v[8:9]
	v_mul_f64_e32 v[8:9], v[52:53], v[8:9]
	s_wait_loadcnt_dscnt 0x300
	v_mul_f64_e32 v[10:11], v[56:57], v[38:39]
	v_mul_f64_e32 v[38:39], v[58:59], v[38:39]
	s_delay_alu instid0(VALU_DEP_4) | instskip(NEXT) | instid1(VALU_DEP_4)
	v_fma_f64 v[52:53], v[52:53], v[6:7], -v[2:3]
	v_fma_f64 v[54:55], v[54:55], v[6:7], v[8:9]
	ds_load_b128 v[6:9], v1 offset:320
	ds_load_b128 v[1:4], v1 offset:336
	v_fma_f64 v[10:11], v[58:59], v[36:37], v[10:11]
	v_fma_f64 v[36:37], v[56:57], v[36:37], -v[38:39]
	s_wait_loadcnt_dscnt 0x201
	v_mul_f64_e32 v[60:61], v[6:7], v[42:43]
	v_mul_f64_e32 v[42:43], v[8:9], v[42:43]
	v_add_f64_e32 v[38:39], 0, v[52:53]
	v_add_f64_e32 v[52:53], 0, v[54:55]
	s_wait_loadcnt_dscnt 0x100
	v_mul_f64_e32 v[54:55], v[1:2], v[46:47]
	v_mul_f64_e32 v[46:47], v[3:4], v[46:47]
	v_fma_f64 v[8:9], v[8:9], v[40:41], v[60:61]
	v_fma_f64 v[6:7], v[6:7], v[40:41], -v[42:43]
	v_add_f64_e32 v[36:37], v[38:39], v[36:37]
	v_add_f64_e32 v[10:11], v[52:53], v[10:11]
	v_fma_f64 v[3:4], v[3:4], v[44:45], v[54:55]
	v_fma_f64 v[1:2], v[1:2], v[44:45], -v[46:47]
	s_delay_alu instid0(VALU_DEP_4) | instskip(NEXT) | instid1(VALU_DEP_4)
	v_add_f64_e32 v[6:7], v[36:37], v[6:7]
	v_add_f64_e32 v[8:9], v[10:11], v[8:9]
	s_delay_alu instid0(VALU_DEP_2) | instskip(NEXT) | instid1(VALU_DEP_2)
	v_add_f64_e32 v[1:2], v[6:7], v[1:2]
	v_add_f64_e32 v[3:4], v[8:9], v[3:4]
	s_wait_loadcnt 0x0
	s_delay_alu instid0(VALU_DEP_2) | instskip(NEXT) | instid1(VALU_DEP_2)
	v_add_f64_e64 v[1:2], v[48:49], -v[1:2]
	v_add_f64_e64 v[3:4], v[50:51], -v[3:4]
	scratch_store_b128 off, v[1:4], off offset:96
	v_cmpx_lt_u32_e32 5, v35
	s_cbranch_execz .LBB74_69
; %bb.68:
	scratch_load_b128 v[1:4], off, s15
	v_mov_b32_e32 v6, 0
	s_delay_alu instid0(VALU_DEP_1)
	v_dual_mov_b32 v7, v6 :: v_dual_mov_b32 v8, v6
	v_mov_b32_e32 v9, v6
	scratch_store_b128 off, v[6:9], off offset:80
	s_wait_loadcnt 0x0
	ds_store_b128 v5, v[1:4]
.LBB74_69:
	s_wait_alu 0xfffe
	s_or_b32 exec_lo, exec_lo, s2
	s_wait_storecnt_dscnt 0x0
	s_barrier_signal -1
	s_barrier_wait -1
	global_inv scope:SCOPE_SE
	s_clause 0x5
	scratch_load_b128 v[6:9], off, off offset:96
	scratch_load_b128 v[36:39], off, off offset:112
	scratch_load_b128 v[40:43], off, off offset:128
	scratch_load_b128 v[44:47], off, off offset:144
	scratch_load_b128 v[48:51], off, off offset:160
	scratch_load_b128 v[52:55], off, off offset:80
	v_mov_b32_e32 v1, 0
	ds_load_b128 v[56:59], v1 offset:272
	ds_load_b128 v[60:63], v1 offset:288
	s_mov_b32 s2, exec_lo
	s_wait_loadcnt_dscnt 0x501
	v_mul_f64_e32 v[2:3], v[58:59], v[8:9]
	v_mul_f64_e32 v[8:9], v[56:57], v[8:9]
	s_wait_loadcnt_dscnt 0x400
	v_mul_f64_e32 v[10:11], v[60:61], v[38:39]
	v_mul_f64_e32 v[38:39], v[62:63], v[38:39]
	s_delay_alu instid0(VALU_DEP_4) | instskip(NEXT) | instid1(VALU_DEP_4)
	v_fma_f64 v[2:3], v[56:57], v[6:7], -v[2:3]
	v_fma_f64 v[64:65], v[58:59], v[6:7], v[8:9]
	ds_load_b128 v[6:9], v1 offset:304
	ds_load_b128 v[56:59], v1 offset:320
	v_fma_f64 v[10:11], v[62:63], v[36:37], v[10:11]
	v_fma_f64 v[36:37], v[60:61], v[36:37], -v[38:39]
	s_wait_loadcnt_dscnt 0x301
	v_mul_f64_e32 v[66:67], v[6:7], v[42:43]
	v_mul_f64_e32 v[42:43], v[8:9], v[42:43]
	s_wait_loadcnt_dscnt 0x200
	v_mul_f64_e32 v[60:61], v[56:57], v[46:47]
	v_mul_f64_e32 v[46:47], v[58:59], v[46:47]
	v_add_f64_e32 v[2:3], 0, v[2:3]
	v_add_f64_e32 v[38:39], 0, v[64:65]
	v_fma_f64 v[62:63], v[8:9], v[40:41], v[66:67]
	v_fma_f64 v[40:41], v[6:7], v[40:41], -v[42:43]
	ds_load_b128 v[6:9], v1 offset:336
	v_fma_f64 v[42:43], v[58:59], v[44:45], v[60:61]
	v_fma_f64 v[44:45], v[56:57], v[44:45], -v[46:47]
	v_add_f64_e32 v[2:3], v[2:3], v[36:37]
	v_add_f64_e32 v[10:11], v[38:39], v[10:11]
	s_wait_loadcnt_dscnt 0x100
	v_mul_f64_e32 v[36:37], v[6:7], v[50:51]
	v_mul_f64_e32 v[38:39], v[8:9], v[50:51]
	s_delay_alu instid0(VALU_DEP_4) | instskip(NEXT) | instid1(VALU_DEP_4)
	v_add_f64_e32 v[2:3], v[2:3], v[40:41]
	v_add_f64_e32 v[10:11], v[10:11], v[62:63]
	s_delay_alu instid0(VALU_DEP_4) | instskip(NEXT) | instid1(VALU_DEP_4)
	v_fma_f64 v[8:9], v[8:9], v[48:49], v[36:37]
	v_fma_f64 v[6:7], v[6:7], v[48:49], -v[38:39]
	s_delay_alu instid0(VALU_DEP_4) | instskip(NEXT) | instid1(VALU_DEP_4)
	v_add_f64_e32 v[2:3], v[2:3], v[44:45]
	v_add_f64_e32 v[10:11], v[10:11], v[42:43]
	s_delay_alu instid0(VALU_DEP_2) | instskip(NEXT) | instid1(VALU_DEP_2)
	v_add_f64_e32 v[2:3], v[2:3], v[6:7]
	v_add_f64_e32 v[8:9], v[10:11], v[8:9]
	s_wait_loadcnt 0x0
	s_delay_alu instid0(VALU_DEP_2) | instskip(NEXT) | instid1(VALU_DEP_2)
	v_add_f64_e64 v[6:7], v[52:53], -v[2:3]
	v_add_f64_e64 v[8:9], v[54:55], -v[8:9]
	scratch_store_b128 off, v[6:9], off offset:80
	v_cmpx_lt_u32_e32 4, v35
	s_cbranch_execz .LBB74_71
; %bb.70:
	scratch_load_b128 v[6:9], off, s4
	v_dual_mov_b32 v2, v1 :: v_dual_mov_b32 v3, v1
	v_mov_b32_e32 v4, v1
	scratch_store_b128 off, v[1:4], off offset:64
	s_wait_loadcnt 0x0
	ds_store_b128 v5, v[6:9]
.LBB74_71:
	s_wait_alu 0xfffe
	s_or_b32 exec_lo, exec_lo, s2
	s_wait_storecnt_dscnt 0x0
	s_barrier_signal -1
	s_barrier_wait -1
	global_inv scope:SCOPE_SE
	s_clause 0x5
	scratch_load_b128 v[6:9], off, off offset:80
	scratch_load_b128 v[36:39], off, off offset:96
	;; [unrolled: 1-line block ×6, first 2 shown]
	ds_load_b128 v[56:59], v1 offset:256
	ds_load_b128 v[64:67], v1 offset:272
	scratch_load_b128 v[60:63], off, off offset:64
	s_mov_b32 s2, exec_lo
	s_wait_loadcnt_dscnt 0x601
	v_mul_f64_e32 v[2:3], v[58:59], v[8:9]
	v_mul_f64_e32 v[8:9], v[56:57], v[8:9]
	s_wait_loadcnt_dscnt 0x500
	v_mul_f64_e32 v[10:11], v[64:65], v[38:39]
	v_mul_f64_e32 v[38:39], v[66:67], v[38:39]
	s_delay_alu instid0(VALU_DEP_4) | instskip(NEXT) | instid1(VALU_DEP_4)
	v_fma_f64 v[2:3], v[56:57], v[6:7], -v[2:3]
	v_fma_f64 v[68:69], v[58:59], v[6:7], v[8:9]
	ds_load_b128 v[6:9], v1 offset:288
	ds_load_b128 v[56:59], v1 offset:304
	v_fma_f64 v[10:11], v[66:67], v[36:37], v[10:11]
	v_fma_f64 v[36:37], v[64:65], v[36:37], -v[38:39]
	s_wait_loadcnt_dscnt 0x401
	v_mul_f64_e32 v[70:71], v[6:7], v[42:43]
	v_mul_f64_e32 v[42:43], v[8:9], v[42:43]
	s_wait_loadcnt_dscnt 0x300
	v_mul_f64_e32 v[64:65], v[56:57], v[46:47]
	v_mul_f64_e32 v[46:47], v[58:59], v[46:47]
	v_add_f64_e32 v[2:3], 0, v[2:3]
	v_add_f64_e32 v[38:39], 0, v[68:69]
	v_fma_f64 v[66:67], v[8:9], v[40:41], v[70:71]
	v_fma_f64 v[40:41], v[6:7], v[40:41], -v[42:43]
	s_delay_alu instid0(VALU_DEP_4) | instskip(NEXT) | instid1(VALU_DEP_4)
	v_add_f64_e32 v[36:37], v[2:3], v[36:37]
	v_add_f64_e32 v[10:11], v[38:39], v[10:11]
	ds_load_b128 v[6:9], v1 offset:320
	ds_load_b128 v[1:4], v1 offset:336
	s_wait_loadcnt_dscnt 0x201
	v_mul_f64_e32 v[38:39], v[6:7], v[50:51]
	v_mul_f64_e32 v[42:43], v[8:9], v[50:51]
	v_fma_f64 v[50:51], v[58:59], v[44:45], v[64:65]
	v_fma_f64 v[44:45], v[56:57], v[44:45], -v[46:47]
	s_wait_loadcnt_dscnt 0x100
	v_mul_f64_e32 v[46:47], v[3:4], v[54:55]
	v_add_f64_e32 v[36:37], v[36:37], v[40:41]
	v_add_f64_e32 v[10:11], v[10:11], v[66:67]
	v_mul_f64_e32 v[40:41], v[1:2], v[54:55]
	v_fma_f64 v[8:9], v[8:9], v[48:49], v[38:39]
	v_fma_f64 v[6:7], v[6:7], v[48:49], -v[42:43]
	v_fma_f64 v[1:2], v[1:2], v[52:53], -v[46:47]
	v_add_f64_e32 v[36:37], v[36:37], v[44:45]
	v_add_f64_e32 v[10:11], v[10:11], v[50:51]
	v_fma_f64 v[3:4], v[3:4], v[52:53], v[40:41]
	s_delay_alu instid0(VALU_DEP_3) | instskip(NEXT) | instid1(VALU_DEP_3)
	v_add_f64_e32 v[6:7], v[36:37], v[6:7]
	v_add_f64_e32 v[8:9], v[10:11], v[8:9]
	s_delay_alu instid0(VALU_DEP_2) | instskip(NEXT) | instid1(VALU_DEP_2)
	v_add_f64_e32 v[1:2], v[6:7], v[1:2]
	v_add_f64_e32 v[3:4], v[8:9], v[3:4]
	s_wait_loadcnt 0x0
	s_delay_alu instid0(VALU_DEP_2) | instskip(NEXT) | instid1(VALU_DEP_2)
	v_add_f64_e64 v[1:2], v[60:61], -v[1:2]
	v_add_f64_e64 v[3:4], v[62:63], -v[3:4]
	scratch_store_b128 off, v[1:4], off offset:64
	v_cmpx_lt_u32_e32 3, v35
	s_cbranch_execz .LBB74_73
; %bb.72:
	scratch_load_b128 v[1:4], off, s14
	v_mov_b32_e32 v6, 0
	s_delay_alu instid0(VALU_DEP_1)
	v_dual_mov_b32 v7, v6 :: v_dual_mov_b32 v8, v6
	v_mov_b32_e32 v9, v6
	scratch_store_b128 off, v[6:9], off offset:48
	s_wait_loadcnt 0x0
	ds_store_b128 v5, v[1:4]
.LBB74_73:
	s_wait_alu 0xfffe
	s_or_b32 exec_lo, exec_lo, s2
	s_wait_storecnt_dscnt 0x0
	s_barrier_signal -1
	s_barrier_wait -1
	global_inv scope:SCOPE_SE
	s_clause 0x6
	scratch_load_b128 v[6:9], off, off offset:64
	scratch_load_b128 v[36:39], off, off offset:80
	;; [unrolled: 1-line block ×7, first 2 shown]
	v_mov_b32_e32 v1, 0
	scratch_load_b128 v[64:67], off, off offset:48
	s_mov_b32 s2, exec_lo
	ds_load_b128 v[60:63], v1 offset:240
	ds_load_b128 v[68:71], v1 offset:256
	s_wait_loadcnt_dscnt 0x701
	v_mul_f64_e32 v[2:3], v[62:63], v[8:9]
	v_mul_f64_e32 v[8:9], v[60:61], v[8:9]
	s_wait_loadcnt_dscnt 0x600
	v_mul_f64_e32 v[10:11], v[68:69], v[38:39]
	v_mul_f64_e32 v[38:39], v[70:71], v[38:39]
	s_delay_alu instid0(VALU_DEP_4) | instskip(NEXT) | instid1(VALU_DEP_4)
	v_fma_f64 v[2:3], v[60:61], v[6:7], -v[2:3]
	v_fma_f64 v[72:73], v[62:63], v[6:7], v[8:9]
	ds_load_b128 v[6:9], v1 offset:272
	ds_load_b128 v[60:63], v1 offset:288
	v_fma_f64 v[10:11], v[70:71], v[36:37], v[10:11]
	v_fma_f64 v[36:37], v[68:69], v[36:37], -v[38:39]
	s_wait_loadcnt_dscnt 0x501
	v_mul_f64_e32 v[74:75], v[6:7], v[42:43]
	v_mul_f64_e32 v[42:43], v[8:9], v[42:43]
	s_wait_loadcnt_dscnt 0x400
	v_mul_f64_e32 v[68:69], v[60:61], v[46:47]
	v_mul_f64_e32 v[46:47], v[62:63], v[46:47]
	v_add_f64_e32 v[2:3], 0, v[2:3]
	v_add_f64_e32 v[38:39], 0, v[72:73]
	v_fma_f64 v[70:71], v[8:9], v[40:41], v[74:75]
	v_fma_f64 v[40:41], v[6:7], v[40:41], -v[42:43]
	v_fma_f64 v[62:63], v[62:63], v[44:45], v[68:69]
	v_fma_f64 v[44:45], v[60:61], v[44:45], -v[46:47]
	v_add_f64_e32 v[2:3], v[2:3], v[36:37]
	v_add_f64_e32 v[10:11], v[38:39], v[10:11]
	ds_load_b128 v[6:9], v1 offset:304
	ds_load_b128 v[36:39], v1 offset:320
	s_wait_loadcnt_dscnt 0x301
	v_mul_f64_e32 v[42:43], v[6:7], v[50:51]
	v_mul_f64_e32 v[50:51], v[8:9], v[50:51]
	s_wait_loadcnt_dscnt 0x200
	v_mul_f64_e32 v[46:47], v[38:39], v[54:55]
	v_add_f64_e32 v[2:3], v[2:3], v[40:41]
	v_add_f64_e32 v[10:11], v[10:11], v[70:71]
	v_mul_f64_e32 v[40:41], v[36:37], v[54:55]
	v_fma_f64 v[42:43], v[8:9], v[48:49], v[42:43]
	v_fma_f64 v[48:49], v[6:7], v[48:49], -v[50:51]
	ds_load_b128 v[6:9], v1 offset:336
	v_fma_f64 v[36:37], v[36:37], v[52:53], -v[46:47]
	v_add_f64_e32 v[2:3], v[2:3], v[44:45]
	v_add_f64_e32 v[10:11], v[10:11], v[62:63]
	v_fma_f64 v[38:39], v[38:39], v[52:53], v[40:41]
	s_wait_loadcnt_dscnt 0x100
	v_mul_f64_e32 v[44:45], v[6:7], v[58:59]
	v_mul_f64_e32 v[50:51], v[8:9], v[58:59]
	v_add_f64_e32 v[2:3], v[2:3], v[48:49]
	v_add_f64_e32 v[10:11], v[10:11], v[42:43]
	s_delay_alu instid0(VALU_DEP_4) | instskip(NEXT) | instid1(VALU_DEP_4)
	v_fma_f64 v[8:9], v[8:9], v[56:57], v[44:45]
	v_fma_f64 v[6:7], v[6:7], v[56:57], -v[50:51]
	s_delay_alu instid0(VALU_DEP_4) | instskip(NEXT) | instid1(VALU_DEP_4)
	v_add_f64_e32 v[2:3], v[2:3], v[36:37]
	v_add_f64_e32 v[10:11], v[10:11], v[38:39]
	s_delay_alu instid0(VALU_DEP_2) | instskip(NEXT) | instid1(VALU_DEP_2)
	v_add_f64_e32 v[2:3], v[2:3], v[6:7]
	v_add_f64_e32 v[8:9], v[10:11], v[8:9]
	s_wait_loadcnt 0x0
	s_delay_alu instid0(VALU_DEP_2) | instskip(NEXT) | instid1(VALU_DEP_2)
	v_add_f64_e64 v[6:7], v[64:65], -v[2:3]
	v_add_f64_e64 v[8:9], v[66:67], -v[8:9]
	scratch_store_b128 off, v[6:9], off offset:48
	v_cmpx_lt_u32_e32 2, v35
	s_cbranch_execz .LBB74_75
; %bb.74:
	scratch_load_b128 v[6:9], off, s19
	v_dual_mov_b32 v2, v1 :: v_dual_mov_b32 v3, v1
	v_mov_b32_e32 v4, v1
	scratch_store_b128 off, v[1:4], off offset:32
	s_wait_loadcnt 0x0
	ds_store_b128 v5, v[6:9]
.LBB74_75:
	s_wait_alu 0xfffe
	s_or_b32 exec_lo, exec_lo, s2
	s_wait_storecnt_dscnt 0x0
	s_barrier_signal -1
	s_barrier_wait -1
	global_inv scope:SCOPE_SE
	s_clause 0x7
	scratch_load_b128 v[6:9], off, off offset:48
	scratch_load_b128 v[36:39], off, off offset:64
	;; [unrolled: 1-line block ×8, first 2 shown]
	ds_load_b128 v[64:67], v1 offset:224
	ds_load_b128 v[68:71], v1 offset:240
	scratch_load_b128 v[72:75], off, off offset:32
	s_mov_b32 s2, exec_lo
	s_wait_loadcnt_dscnt 0x801
	v_mul_f64_e32 v[2:3], v[66:67], v[8:9]
	v_mul_f64_e32 v[8:9], v[64:65], v[8:9]
	s_wait_loadcnt_dscnt 0x700
	v_mul_f64_e32 v[10:11], v[68:69], v[38:39]
	v_mul_f64_e32 v[38:39], v[70:71], v[38:39]
	s_delay_alu instid0(VALU_DEP_4) | instskip(NEXT) | instid1(VALU_DEP_4)
	v_fma_f64 v[2:3], v[64:65], v[6:7], -v[2:3]
	v_fma_f64 v[76:77], v[66:67], v[6:7], v[8:9]
	ds_load_b128 v[6:9], v1 offset:256
	ds_load_b128 v[64:67], v1 offset:272
	v_fma_f64 v[10:11], v[70:71], v[36:37], v[10:11]
	v_fma_f64 v[36:37], v[68:69], v[36:37], -v[38:39]
	s_wait_loadcnt_dscnt 0x601
	v_mul_f64_e32 v[78:79], v[6:7], v[42:43]
	v_mul_f64_e32 v[42:43], v[8:9], v[42:43]
	s_wait_loadcnt_dscnt 0x500
	v_mul_f64_e32 v[68:69], v[64:65], v[46:47]
	v_mul_f64_e32 v[46:47], v[66:67], v[46:47]
	v_add_f64_e32 v[2:3], 0, v[2:3]
	v_add_f64_e32 v[38:39], 0, v[76:77]
	v_fma_f64 v[70:71], v[8:9], v[40:41], v[78:79]
	v_fma_f64 v[40:41], v[6:7], v[40:41], -v[42:43]
	v_fma_f64 v[66:67], v[66:67], v[44:45], v[68:69]
	v_fma_f64 v[44:45], v[64:65], v[44:45], -v[46:47]
	v_add_f64_e32 v[2:3], v[2:3], v[36:37]
	v_add_f64_e32 v[10:11], v[38:39], v[10:11]
	ds_load_b128 v[6:9], v1 offset:288
	ds_load_b128 v[36:39], v1 offset:304
	s_wait_loadcnt_dscnt 0x401
	v_mul_f64_e32 v[42:43], v[6:7], v[50:51]
	v_mul_f64_e32 v[50:51], v[8:9], v[50:51]
	s_wait_loadcnt_dscnt 0x300
	v_mul_f64_e32 v[46:47], v[38:39], v[54:55]
	v_add_f64_e32 v[2:3], v[2:3], v[40:41]
	v_add_f64_e32 v[10:11], v[10:11], v[70:71]
	v_mul_f64_e32 v[40:41], v[36:37], v[54:55]
	v_fma_f64 v[42:43], v[8:9], v[48:49], v[42:43]
	v_fma_f64 v[48:49], v[6:7], v[48:49], -v[50:51]
	v_fma_f64 v[36:37], v[36:37], v[52:53], -v[46:47]
	v_add_f64_e32 v[44:45], v[2:3], v[44:45]
	v_add_f64_e32 v[10:11], v[10:11], v[66:67]
	ds_load_b128 v[6:9], v1 offset:320
	ds_load_b128 v[1:4], v1 offset:336
	v_fma_f64 v[38:39], v[38:39], v[52:53], v[40:41]
	s_wait_loadcnt_dscnt 0x201
	v_mul_f64_e32 v[50:51], v[6:7], v[58:59]
	v_mul_f64_e32 v[54:55], v[8:9], v[58:59]
	v_add_f64_e32 v[40:41], v[44:45], v[48:49]
	v_add_f64_e32 v[10:11], v[10:11], v[42:43]
	s_wait_loadcnt_dscnt 0x100
	v_mul_f64_e32 v[42:43], v[1:2], v[62:63]
	v_mul_f64_e32 v[44:45], v[3:4], v[62:63]
	v_fma_f64 v[8:9], v[8:9], v[56:57], v[50:51]
	v_fma_f64 v[6:7], v[6:7], v[56:57], -v[54:55]
	v_add_f64_e32 v[36:37], v[40:41], v[36:37]
	v_add_f64_e32 v[10:11], v[10:11], v[38:39]
	v_fma_f64 v[3:4], v[3:4], v[60:61], v[42:43]
	v_fma_f64 v[1:2], v[1:2], v[60:61], -v[44:45]
	s_delay_alu instid0(VALU_DEP_4) | instskip(NEXT) | instid1(VALU_DEP_4)
	v_add_f64_e32 v[6:7], v[36:37], v[6:7]
	v_add_f64_e32 v[8:9], v[10:11], v[8:9]
	s_delay_alu instid0(VALU_DEP_2) | instskip(NEXT) | instid1(VALU_DEP_2)
	v_add_f64_e32 v[1:2], v[6:7], v[1:2]
	v_add_f64_e32 v[3:4], v[8:9], v[3:4]
	s_wait_loadcnt 0x0
	s_delay_alu instid0(VALU_DEP_2) | instskip(NEXT) | instid1(VALU_DEP_2)
	v_add_f64_e64 v[1:2], v[72:73], -v[1:2]
	v_add_f64_e64 v[3:4], v[74:75], -v[3:4]
	scratch_store_b128 off, v[1:4], off offset:32
	v_cmpx_lt_u32_e32 1, v35
	s_cbranch_execz .LBB74_77
; %bb.76:
	scratch_load_b128 v[1:4], off, s20
	v_mov_b32_e32 v6, 0
	s_delay_alu instid0(VALU_DEP_1)
	v_dual_mov_b32 v7, v6 :: v_dual_mov_b32 v8, v6
	v_mov_b32_e32 v9, v6
	scratch_store_b128 off, v[6:9], off offset:16
	s_wait_loadcnt 0x0
	ds_store_b128 v5, v[1:4]
.LBB74_77:
	s_wait_alu 0xfffe
	s_or_b32 exec_lo, exec_lo, s2
	s_wait_storecnt_dscnt 0x0
	s_barrier_signal -1
	s_barrier_wait -1
	global_inv scope:SCOPE_SE
	s_clause 0x7
	scratch_load_b128 v[6:9], off, off offset:32
	scratch_load_b128 v[36:39], off, off offset:48
	;; [unrolled: 1-line block ×8, first 2 shown]
	v_mov_b32_e32 v1, 0
	s_mov_b32 s2, exec_lo
	ds_load_b128 v[64:67], v1 offset:208
	s_clause 0x1
	scratch_load_b128 v[68:71], off, off offset:160
	scratch_load_b128 v[72:75], off, off offset:16
	ds_load_b128 v[76:79], v1 offset:224
	s_wait_loadcnt_dscnt 0x901
	v_mul_f64_e32 v[2:3], v[66:67], v[8:9]
	v_mul_f64_e32 v[8:9], v[64:65], v[8:9]
	s_wait_loadcnt_dscnt 0x800
	v_mul_f64_e32 v[10:11], v[76:77], v[38:39]
	v_mul_f64_e32 v[38:39], v[78:79], v[38:39]
	s_delay_alu instid0(VALU_DEP_4) | instskip(NEXT) | instid1(VALU_DEP_4)
	v_fma_f64 v[2:3], v[64:65], v[6:7], -v[2:3]
	v_fma_f64 v[80:81], v[66:67], v[6:7], v[8:9]
	ds_load_b128 v[6:9], v1 offset:240
	ds_load_b128 v[64:67], v1 offset:256
	v_fma_f64 v[10:11], v[78:79], v[36:37], v[10:11]
	v_fma_f64 v[36:37], v[76:77], v[36:37], -v[38:39]
	s_wait_loadcnt_dscnt 0x701
	v_mul_f64_e32 v[82:83], v[6:7], v[42:43]
	v_mul_f64_e32 v[42:43], v[8:9], v[42:43]
	s_wait_loadcnt_dscnt 0x600
	v_mul_f64_e32 v[76:77], v[64:65], v[46:47]
	v_mul_f64_e32 v[46:47], v[66:67], v[46:47]
	v_add_f64_e32 v[2:3], 0, v[2:3]
	v_add_f64_e32 v[38:39], 0, v[80:81]
	v_fma_f64 v[78:79], v[8:9], v[40:41], v[82:83]
	v_fma_f64 v[40:41], v[6:7], v[40:41], -v[42:43]
	v_fma_f64 v[66:67], v[66:67], v[44:45], v[76:77]
	v_fma_f64 v[44:45], v[64:65], v[44:45], -v[46:47]
	v_add_f64_e32 v[2:3], v[2:3], v[36:37]
	v_add_f64_e32 v[10:11], v[38:39], v[10:11]
	ds_load_b128 v[6:9], v1 offset:272
	ds_load_b128 v[36:39], v1 offset:288
	s_wait_loadcnt_dscnt 0x501
	v_mul_f64_e32 v[42:43], v[6:7], v[50:51]
	v_mul_f64_e32 v[50:51], v[8:9], v[50:51]
	s_wait_loadcnt_dscnt 0x400
	v_mul_f64_e32 v[46:47], v[36:37], v[54:55]
	v_mul_f64_e32 v[54:55], v[38:39], v[54:55]
	v_add_f64_e32 v[2:3], v[2:3], v[40:41]
	v_add_f64_e32 v[10:11], v[10:11], v[78:79]
	v_fma_f64 v[64:65], v[8:9], v[48:49], v[42:43]
	v_fma_f64 v[48:49], v[6:7], v[48:49], -v[50:51]
	ds_load_b128 v[6:9], v1 offset:304
	ds_load_b128 v[40:43], v1 offset:320
	v_fma_f64 v[38:39], v[38:39], v[52:53], v[46:47]
	v_fma_f64 v[36:37], v[36:37], v[52:53], -v[54:55]
	v_add_f64_e32 v[2:3], v[2:3], v[44:45]
	v_add_f64_e32 v[10:11], v[10:11], v[66:67]
	s_wait_loadcnt_dscnt 0x301
	v_mul_f64_e32 v[44:45], v[6:7], v[58:59]
	v_mul_f64_e32 v[50:51], v[8:9], v[58:59]
	s_wait_loadcnt_dscnt 0x200
	v_mul_f64_e32 v[46:47], v[40:41], v[62:63]
	v_add_f64_e32 v[2:3], v[2:3], v[48:49]
	v_add_f64_e32 v[10:11], v[10:11], v[64:65]
	v_mul_f64_e32 v[48:49], v[42:43], v[62:63]
	v_fma_f64 v[44:45], v[8:9], v[56:57], v[44:45]
	v_fma_f64 v[50:51], v[6:7], v[56:57], -v[50:51]
	ds_load_b128 v[6:9], v1 offset:336
	v_fma_f64 v[42:43], v[42:43], v[60:61], v[46:47]
	v_add_f64_e32 v[2:3], v[2:3], v[36:37]
	v_add_f64_e32 v[10:11], v[10:11], v[38:39]
	s_wait_loadcnt_dscnt 0x100
	v_mul_f64_e32 v[36:37], v[6:7], v[70:71]
	v_mul_f64_e32 v[38:39], v[8:9], v[70:71]
	v_fma_f64 v[40:41], v[40:41], v[60:61], -v[48:49]
	v_add_f64_e32 v[2:3], v[2:3], v[50:51]
	v_add_f64_e32 v[10:11], v[10:11], v[44:45]
	v_fma_f64 v[8:9], v[8:9], v[68:69], v[36:37]
	v_fma_f64 v[6:7], v[6:7], v[68:69], -v[38:39]
	s_delay_alu instid0(VALU_DEP_4) | instskip(NEXT) | instid1(VALU_DEP_4)
	v_add_f64_e32 v[2:3], v[2:3], v[40:41]
	v_add_f64_e32 v[10:11], v[10:11], v[42:43]
	s_delay_alu instid0(VALU_DEP_2) | instskip(NEXT) | instid1(VALU_DEP_2)
	v_add_f64_e32 v[2:3], v[2:3], v[6:7]
	v_add_f64_e32 v[8:9], v[10:11], v[8:9]
	s_wait_loadcnt 0x0
	s_delay_alu instid0(VALU_DEP_2) | instskip(NEXT) | instid1(VALU_DEP_2)
	v_add_f64_e64 v[6:7], v[72:73], -v[2:3]
	v_add_f64_e64 v[8:9], v[74:75], -v[8:9]
	scratch_store_b128 off, v[6:9], off offset:16
	v_cmpx_ne_u32_e32 0, v35
	s_cbranch_execz .LBB74_79
; %bb.78:
	scratch_load_b128 v[6:9], off, off
	v_dual_mov_b32 v2, v1 :: v_dual_mov_b32 v3, v1
	v_mov_b32_e32 v4, v1
	scratch_store_b128 off, v[1:4], off
	s_wait_loadcnt 0x0
	ds_store_b128 v5, v[6:9]
.LBB74_79:
	s_wait_alu 0xfffe
	s_or_b32 exec_lo, exec_lo, s2
	s_wait_storecnt_dscnt 0x0
	s_barrier_signal -1
	s_barrier_wait -1
	global_inv scope:SCOPE_SE
	s_clause 0x8
	scratch_load_b128 v[2:5], off, off offset:16
	scratch_load_b128 v[6:9], off, off offset:32
	;; [unrolled: 1-line block ×9, first 2 shown]
	ds_load_b128 v[64:67], v1 offset:192
	ds_load_b128 v[68:71], v1 offset:208
	s_clause 0x1
	scratch_load_b128 v[72:75], off, off
	scratch_load_b128 v[76:79], off, off offset:160
	s_and_b32 vcc_lo, exec_lo, s18
	s_wait_loadcnt_dscnt 0xa01
	v_mul_f64_e32 v[10:11], v[66:67], v[4:5]
	v_mul_f64_e32 v[4:5], v[64:65], v[4:5]
	s_wait_loadcnt_dscnt 0x900
	v_mul_f64_e32 v[80:81], v[68:69], v[8:9]
	v_mul_f64_e32 v[82:83], v[70:71], v[8:9]
	s_delay_alu instid0(VALU_DEP_4) | instskip(NEXT) | instid1(VALU_DEP_4)
	v_fma_f64 v[64:65], v[64:65], v[2:3], -v[10:11]
	v_fma_f64 v[66:67], v[66:67], v[2:3], v[4:5]
	ds_load_b128 v[2:5], v1 offset:224
	ds_load_b128 v[8:11], v1 offset:240
	v_fma_f64 v[70:71], v[70:71], v[6:7], v[80:81]
	v_fma_f64 v[6:7], v[68:69], v[6:7], -v[82:83]
	s_wait_loadcnt_dscnt 0x801
	v_mul_f64_e32 v[84:85], v[2:3], v[38:39]
	v_mul_f64_e32 v[38:39], v[4:5], v[38:39]
	s_wait_loadcnt_dscnt 0x700
	v_mul_f64_e32 v[68:69], v[8:9], v[42:43]
	v_mul_f64_e32 v[42:43], v[10:11], v[42:43]
	v_add_f64_e32 v[64:65], 0, v[64:65]
	v_add_f64_e32 v[66:67], 0, v[66:67]
	v_fma_f64 v[80:81], v[4:5], v[36:37], v[84:85]
	v_fma_f64 v[82:83], v[2:3], v[36:37], -v[38:39]
	ds_load_b128 v[2:5], v1 offset:256
	ds_load_b128 v[36:39], v1 offset:272
	v_fma_f64 v[10:11], v[10:11], v[40:41], v[68:69]
	v_fma_f64 v[8:9], v[8:9], v[40:41], -v[42:43]
	v_add_f64_e32 v[6:7], v[64:65], v[6:7]
	v_add_f64_e32 v[64:65], v[66:67], v[70:71]
	s_wait_loadcnt_dscnt 0x601
	v_mul_f64_e32 v[66:67], v[2:3], v[46:47]
	v_mul_f64_e32 v[46:47], v[4:5], v[46:47]
	s_wait_loadcnt_dscnt 0x500
	v_mul_f64_e32 v[42:43], v[36:37], v[50:51]
	v_mul_f64_e32 v[50:51], v[38:39], v[50:51]
	v_add_f64_e32 v[6:7], v[6:7], v[82:83]
	v_add_f64_e32 v[40:41], v[64:65], v[80:81]
	v_fma_f64 v[64:65], v[4:5], v[44:45], v[66:67]
	v_fma_f64 v[44:45], v[2:3], v[44:45], -v[46:47]
	v_fma_f64 v[38:39], v[38:39], v[48:49], v[42:43]
	v_fma_f64 v[36:37], v[36:37], v[48:49], -v[50:51]
	v_add_f64_e32 v[46:47], v[6:7], v[8:9]
	v_add_f64_e32 v[10:11], v[40:41], v[10:11]
	ds_load_b128 v[2:5], v1 offset:288
	ds_load_b128 v[6:9], v1 offset:304
	s_wait_loadcnt_dscnt 0x401
	v_mul_f64_e32 v[40:41], v[2:3], v[54:55]
	v_mul_f64_e32 v[54:55], v[4:5], v[54:55]
	v_add_f64_e32 v[42:43], v[46:47], v[44:45]
	v_add_f64_e32 v[10:11], v[10:11], v[64:65]
	s_wait_loadcnt_dscnt 0x300
	v_mul_f64_e32 v[44:45], v[6:7], v[58:59]
	v_mul_f64_e32 v[46:47], v[8:9], v[58:59]
	v_fma_f64 v[40:41], v[4:5], v[52:53], v[40:41]
	v_fma_f64 v[48:49], v[2:3], v[52:53], -v[54:55]
	v_add_f64_e32 v[42:43], v[42:43], v[36:37]
	v_add_f64_e32 v[10:11], v[10:11], v[38:39]
	ds_load_b128 v[2:5], v1 offset:320
	ds_load_b128 v[36:39], v1 offset:336
	v_fma_f64 v[8:9], v[8:9], v[56:57], v[44:45]
	v_fma_f64 v[6:7], v[6:7], v[56:57], -v[46:47]
	s_wait_loadcnt_dscnt 0x201
	v_mul_f64_e32 v[50:51], v[2:3], v[62:63]
	v_mul_f64_e32 v[52:53], v[4:5], v[62:63]
	s_wait_loadcnt_dscnt 0x0
	v_mul_f64_e32 v[44:45], v[38:39], v[78:79]
	v_add_f64_e32 v[42:43], v[42:43], v[48:49]
	v_add_f64_e32 v[10:11], v[10:11], v[40:41]
	v_mul_f64_e32 v[40:41], v[36:37], v[78:79]
	v_fma_f64 v[4:5], v[4:5], v[60:61], v[50:51]
	v_fma_f64 v[1:2], v[2:3], v[60:61], -v[52:53]
	v_fma_f64 v[36:37], v[36:37], v[76:77], -v[44:45]
	v_add_f64_e32 v[6:7], v[42:43], v[6:7]
	v_add_f64_e32 v[8:9], v[10:11], v[8:9]
	v_fma_f64 v[10:11], v[38:39], v[76:77], v[40:41]
	s_delay_alu instid0(VALU_DEP_3) | instskip(NEXT) | instid1(VALU_DEP_3)
	v_add_f64_e32 v[1:2], v[6:7], v[1:2]
	v_add_f64_e32 v[3:4], v[8:9], v[4:5]
	s_delay_alu instid0(VALU_DEP_2) | instskip(NEXT) | instid1(VALU_DEP_2)
	v_add_f64_e32 v[1:2], v[1:2], v[36:37]
	v_add_f64_e32 v[3:4], v[3:4], v[10:11]
	s_delay_alu instid0(VALU_DEP_2) | instskip(NEXT) | instid1(VALU_DEP_2)
	v_add_f64_e64 v[1:2], v[72:73], -v[1:2]
	v_add_f64_e64 v[3:4], v[74:75], -v[3:4]
	scratch_store_b128 off, v[1:4], off
	s_wait_alu 0xfffe
	s_cbranch_vccz .LBB74_100
; %bb.80:
	v_mov_b32_e32 v1, 0
	s_load_b64 s[0:1], s[0:1], 0x4
	v_bfe_u32 v3, v0, 10, 10
	v_bfe_u32 v0, v0, 20, 10
	global_load_b32 v2, v1, s[8:9] offset:36
	s_wait_kmcnt 0x0
	s_lshr_b32 s0, s0, 16
	v_mul_u32_u24_e32 v3, s1, v3
	s_mul_i32 s0, s0, s1
	s_wait_alu 0xfffe
	v_mul_u32_u24_e32 v4, s0, v35
	s_delay_alu instid0(VALU_DEP_1) | instskip(NEXT) | instid1(VALU_DEP_1)
	v_add3_u32 v0, v4, v3, v0
	v_lshl_add_u32 v0, v0, 4, 0x168
	s_wait_loadcnt 0x0
	v_cmp_ne_u32_e32 vcc_lo, 10, v2
	s_cbranch_vccz .LBB74_82
; %bb.81:
	v_lshlrev_b32_e32 v2, 4, v2
	s_delay_alu instid0(VALU_DEP_1)
	v_mov_b32_e32 v10, v2
	s_clause 0x1
	scratch_load_b128 v[2:5], off, s17
	scratch_load_b128 v[6:9], v10, off offset:-16
	s_wait_loadcnt 0x1
	ds_store_2addr_b64 v0, v[2:3], v[4:5] offset1:1
	s_wait_loadcnt 0x0
	s_clause 0x1
	scratch_store_b128 off, v[6:9], s17
	scratch_store_b128 v10, v[2:5], off offset:-16
.LBB74_82:
	global_load_b32 v1, v1, s[8:9] offset:32
	s_wait_loadcnt 0x0
	v_cmp_eq_u32_e32 vcc_lo, 9, v1
	s_cbranch_vccnz .LBB74_84
; %bb.83:
	v_lshlrev_b32_e32 v1, 4, v1
	s_delay_alu instid0(VALU_DEP_1)
	v_mov_b32_e32 v9, v1
	s_clause 0x1
	scratch_load_b128 v[1:4], off, s12
	scratch_load_b128 v[5:8], v9, off offset:-16
	s_wait_loadcnt 0x1
	ds_store_2addr_b64 v0, v[1:2], v[3:4] offset1:1
	s_wait_loadcnt 0x0
	s_clause 0x1
	scratch_store_b128 off, v[5:8], s12
	scratch_store_b128 v9, v[1:4], off offset:-16
.LBB74_84:
	v_mov_b32_e32 v1, 0
	global_load_b32 v2, v1, s[8:9] offset:28
	s_wait_loadcnt 0x0
	v_cmp_eq_u32_e32 vcc_lo, 8, v2
	s_cbranch_vccnz .LBB74_86
; %bb.85:
	v_lshlrev_b32_e32 v2, 4, v2
	s_delay_alu instid0(VALU_DEP_1)
	v_mov_b32_e32 v10, v2
	s_clause 0x1
	scratch_load_b128 v[2:5], off, s16
	scratch_load_b128 v[6:9], v10, off offset:-16
	s_wait_loadcnt 0x1
	ds_store_2addr_b64 v0, v[2:3], v[4:5] offset1:1
	s_wait_loadcnt 0x0
	s_clause 0x1
	scratch_store_b128 off, v[6:9], s16
	scratch_store_b128 v10, v[2:5], off offset:-16
.LBB74_86:
	global_load_b32 v1, v1, s[8:9] offset:24
	s_wait_loadcnt 0x0
	v_cmp_eq_u32_e32 vcc_lo, 7, v1
	s_cbranch_vccnz .LBB74_88
; %bb.87:
	v_lshlrev_b32_e32 v1, 4, v1
	s_delay_alu instid0(VALU_DEP_1)
	v_mov_b32_e32 v9, v1
	s_clause 0x1
	scratch_load_b128 v[1:4], off, s5
	scratch_load_b128 v[5:8], v9, off offset:-16
	s_wait_loadcnt 0x1
	ds_store_2addr_b64 v0, v[1:2], v[3:4] offset1:1
	s_wait_loadcnt 0x0
	s_clause 0x1
	scratch_store_b128 off, v[5:8], s5
	scratch_store_b128 v9, v[1:4], off offset:-16
.LBB74_88:
	v_mov_b32_e32 v1, 0
	global_load_b32 v2, v1, s[8:9] offset:20
	s_wait_loadcnt 0x0
	v_cmp_eq_u32_e32 vcc_lo, 6, v2
	s_cbranch_vccnz .LBB74_90
; %bb.89:
	v_lshlrev_b32_e32 v2, 4, v2
	s_delay_alu instid0(VALU_DEP_1)
	v_mov_b32_e32 v10, v2
	s_clause 0x1
	scratch_load_b128 v[2:5], off, s15
	scratch_load_b128 v[6:9], v10, off offset:-16
	s_wait_loadcnt 0x1
	ds_store_2addr_b64 v0, v[2:3], v[4:5] offset1:1
	s_wait_loadcnt 0x0
	s_clause 0x1
	scratch_store_b128 off, v[6:9], s15
	scratch_store_b128 v10, v[2:5], off offset:-16
.LBB74_90:
	;; [unrolled: 37-line block ×4, first 2 shown]
	global_load_b32 v1, v1, s[8:9]
	s_wait_loadcnt 0x0
	v_cmp_eq_u32_e32 vcc_lo, 1, v1
	s_cbranch_vccnz .LBB74_100
; %bb.99:
	v_lshlrev_b32_e32 v1, 4, v1
	s_delay_alu instid0(VALU_DEP_1)
	v_mov_b32_e32 v9, v1
	scratch_load_b128 v[1:4], off, off
	scratch_load_b128 v[5:8], v9, off offset:-16
	s_wait_loadcnt 0x1
	ds_store_2addr_b64 v0, v[1:2], v[3:4] offset1:1
	s_wait_loadcnt 0x0
	scratch_store_b128 off, v[5:8], off
	scratch_store_b128 v9, v[1:4], off offset:-16
.LBB74_100:
	scratch_load_b128 v[0:3], off, off
	s_wait_loadcnt 0x0
	flat_store_b128 v[13:14], v[0:3]
	scratch_load_b128 v[0:3], off, s20
	s_wait_loadcnt 0x0
	flat_store_b128 v[15:16], v[0:3]
	scratch_load_b128 v[0:3], off, s19
	;; [unrolled: 3-line block ×10, first 2 shown]
	s_wait_loadcnt 0x0
	flat_store_b128 v[33:34], v[0:3]
	s_endpgm
	.section	.rodata,"a",@progbits
	.p2align	6, 0x0
	.amdhsa_kernel _ZN9rocsolver6v33100L18getri_kernel_smallILi11E19rocblas_complex_numIdEPKPS3_EEvT1_iilPiilS8_bb
		.amdhsa_group_segment_fixed_size 1384
		.amdhsa_private_segment_fixed_size 192
		.amdhsa_kernarg_size 60
		.amdhsa_user_sgpr_count 4
		.amdhsa_user_sgpr_dispatch_ptr 1
		.amdhsa_user_sgpr_queue_ptr 0
		.amdhsa_user_sgpr_kernarg_segment_ptr 1
		.amdhsa_user_sgpr_dispatch_id 0
		.amdhsa_user_sgpr_private_segment_size 0
		.amdhsa_wavefront_size32 1
		.amdhsa_uses_dynamic_stack 0
		.amdhsa_enable_private_segment 1
		.amdhsa_system_sgpr_workgroup_id_x 1
		.amdhsa_system_sgpr_workgroup_id_y 0
		.amdhsa_system_sgpr_workgroup_id_z 0
		.amdhsa_system_sgpr_workgroup_info 0
		.amdhsa_system_vgpr_workitem_id 2
		.amdhsa_next_free_vgpr 86
		.amdhsa_next_free_sgpr 24
		.amdhsa_reserve_vcc 1
		.amdhsa_float_round_mode_32 0
		.amdhsa_float_round_mode_16_64 0
		.amdhsa_float_denorm_mode_32 3
		.amdhsa_float_denorm_mode_16_64 3
		.amdhsa_fp16_overflow 0
		.amdhsa_workgroup_processor_mode 1
		.amdhsa_memory_ordered 1
		.amdhsa_forward_progress 1
		.amdhsa_inst_pref_size 87
		.amdhsa_round_robin_scheduling 0
		.amdhsa_exception_fp_ieee_invalid_op 0
		.amdhsa_exception_fp_denorm_src 0
		.amdhsa_exception_fp_ieee_div_zero 0
		.amdhsa_exception_fp_ieee_overflow 0
		.amdhsa_exception_fp_ieee_underflow 0
		.amdhsa_exception_fp_ieee_inexact 0
		.amdhsa_exception_int_div_zero 0
	.end_amdhsa_kernel
	.section	.text._ZN9rocsolver6v33100L18getri_kernel_smallILi11E19rocblas_complex_numIdEPKPS3_EEvT1_iilPiilS8_bb,"axG",@progbits,_ZN9rocsolver6v33100L18getri_kernel_smallILi11E19rocblas_complex_numIdEPKPS3_EEvT1_iilPiilS8_bb,comdat
.Lfunc_end74:
	.size	_ZN9rocsolver6v33100L18getri_kernel_smallILi11E19rocblas_complex_numIdEPKPS3_EEvT1_iilPiilS8_bb, .Lfunc_end74-_ZN9rocsolver6v33100L18getri_kernel_smallILi11E19rocblas_complex_numIdEPKPS3_EEvT1_iilPiilS8_bb
                                        ; -- End function
	.set _ZN9rocsolver6v33100L18getri_kernel_smallILi11E19rocblas_complex_numIdEPKPS3_EEvT1_iilPiilS8_bb.num_vgpr, 86
	.set _ZN9rocsolver6v33100L18getri_kernel_smallILi11E19rocblas_complex_numIdEPKPS3_EEvT1_iilPiilS8_bb.num_agpr, 0
	.set _ZN9rocsolver6v33100L18getri_kernel_smallILi11E19rocblas_complex_numIdEPKPS3_EEvT1_iilPiilS8_bb.numbered_sgpr, 24
	.set _ZN9rocsolver6v33100L18getri_kernel_smallILi11E19rocblas_complex_numIdEPKPS3_EEvT1_iilPiilS8_bb.num_named_barrier, 0
	.set _ZN9rocsolver6v33100L18getri_kernel_smallILi11E19rocblas_complex_numIdEPKPS3_EEvT1_iilPiilS8_bb.private_seg_size, 192
	.set _ZN9rocsolver6v33100L18getri_kernel_smallILi11E19rocblas_complex_numIdEPKPS3_EEvT1_iilPiilS8_bb.uses_vcc, 1
	.set _ZN9rocsolver6v33100L18getri_kernel_smallILi11E19rocblas_complex_numIdEPKPS3_EEvT1_iilPiilS8_bb.uses_flat_scratch, 1
	.set _ZN9rocsolver6v33100L18getri_kernel_smallILi11E19rocblas_complex_numIdEPKPS3_EEvT1_iilPiilS8_bb.has_dyn_sized_stack, 0
	.set _ZN9rocsolver6v33100L18getri_kernel_smallILi11E19rocblas_complex_numIdEPKPS3_EEvT1_iilPiilS8_bb.has_recursion, 0
	.set _ZN9rocsolver6v33100L18getri_kernel_smallILi11E19rocblas_complex_numIdEPKPS3_EEvT1_iilPiilS8_bb.has_indirect_call, 0
	.section	.AMDGPU.csdata,"",@progbits
; Kernel info:
; codeLenInByte = 11044
; TotalNumSgprs: 26
; NumVgprs: 86
; ScratchSize: 192
; MemoryBound: 0
; FloatMode: 240
; IeeeMode: 1
; LDSByteSize: 1384 bytes/workgroup (compile time only)
; SGPRBlocks: 0
; VGPRBlocks: 10
; NumSGPRsForWavesPerEU: 26
; NumVGPRsForWavesPerEU: 86
; Occupancy: 16
; WaveLimiterHint : 1
; COMPUTE_PGM_RSRC2:SCRATCH_EN: 1
; COMPUTE_PGM_RSRC2:USER_SGPR: 4
; COMPUTE_PGM_RSRC2:TRAP_HANDLER: 0
; COMPUTE_PGM_RSRC2:TGID_X_EN: 1
; COMPUTE_PGM_RSRC2:TGID_Y_EN: 0
; COMPUTE_PGM_RSRC2:TGID_Z_EN: 0
; COMPUTE_PGM_RSRC2:TIDIG_COMP_CNT: 2
	.section	.text._ZN9rocsolver6v33100L18getri_kernel_smallILi12E19rocblas_complex_numIdEPKPS3_EEvT1_iilPiilS8_bb,"axG",@progbits,_ZN9rocsolver6v33100L18getri_kernel_smallILi12E19rocblas_complex_numIdEPKPS3_EEvT1_iilPiilS8_bb,comdat
	.globl	_ZN9rocsolver6v33100L18getri_kernel_smallILi12E19rocblas_complex_numIdEPKPS3_EEvT1_iilPiilS8_bb ; -- Begin function _ZN9rocsolver6v33100L18getri_kernel_smallILi12E19rocblas_complex_numIdEPKPS3_EEvT1_iilPiilS8_bb
	.p2align	8
	.type	_ZN9rocsolver6v33100L18getri_kernel_smallILi12E19rocblas_complex_numIdEPKPS3_EEvT1_iilPiilS8_bb,@function
_ZN9rocsolver6v33100L18getri_kernel_smallILi12E19rocblas_complex_numIdEPKPS3_EEvT1_iilPiilS8_bb: ; @_ZN9rocsolver6v33100L18getri_kernel_smallILi12E19rocblas_complex_numIdEPKPS3_EEvT1_iilPiilS8_bb
; %bb.0:
	v_and_b32_e32 v37, 0x3ff, v0
	s_mov_b32 s4, exec_lo
	s_delay_alu instid0(VALU_DEP_1)
	v_cmpx_gt_u32_e32 12, v37
	s_cbranch_execz .LBB75_62
; %bb.1:
	s_clause 0x1
	s_load_b32 s14, s[2:3], 0x38
	s_load_b64 s[8:9], s[2:3], 0x0
	s_mov_b32 s10, ttmp9
	s_load_b128 s[4:7], s[2:3], 0x28
	s_wait_kmcnt 0x0
	s_bitcmp1_b32 s14, 8
	s_cselect_b32 s20, -1, 0
	s_ashr_i32 s11, ttmp9, 31
	s_delay_alu instid0(SALU_CYCLE_1) | instskip(NEXT) | instid1(SALU_CYCLE_1)
	s_lshl_b64 s[12:13], s[10:11], 3
	s_add_nc_u64 s[8:9], s[8:9], s[12:13]
	s_load_b64 s[12:13], s[8:9], 0x0
	s_bfe_u32 s8, s14, 0x10008
	s_delay_alu instid0(SALU_CYCLE_1)
	s_cmp_eq_u32 s8, 0
                                        ; implicit-def: $sgpr8_sgpr9
	s_cbranch_scc1 .LBB75_3
; %bb.2:
	s_load_b96 s[16:18], s[2:3], 0x18
	s_mul_u64 s[4:5], s[4:5], s[10:11]
	s_delay_alu instid0(SALU_CYCLE_1)
	s_lshl_b64 s[4:5], s[4:5], 2
	s_wait_kmcnt 0x0
	s_ashr_i32 s9, s18, 31
	s_mov_b32 s8, s18
	s_add_nc_u64 s[4:5], s[16:17], s[4:5]
	s_lshl_b64 s[8:9], s[8:9], 2
	s_delay_alu instid0(SALU_CYCLE_1)
	s_add_nc_u64 s[8:9], s[4:5], s[8:9]
.LBB75_3:
	s_clause 0x1
	s_load_b64 s[4:5], s[2:3], 0x8
	s_load_b32 s22, s[2:3], 0x38
	v_lshlrev_b32_e32 v38, 4, v37
	s_mov_b32 s21, 16
	s_mov_b32 s19, 32
	;; [unrolled: 1-line block ×4, first 2 shown]
	s_movk_i32 s16, 0x60
	s_movk_i32 s17, 0x80
	;; [unrolled: 1-line block ×3, first 2 shown]
	s_wait_kmcnt 0x0
	s_ashr_i32 s3, s4, 31
	s_mov_b32 s2, s4
	v_add3_u32 v5, s5, s5, v37
	s_lshl_b64 s[2:3], s[2:3], 4
	s_delay_alu instid0(SALU_CYCLE_1)
	s_add_nc_u64 s[2:3], s[12:13], s[2:3]
	s_ashr_i32 s13, s5, 31
	v_add_co_u32 v13, s4, s2, v38
	s_wait_alu 0xf1ff
	v_add_co_ci_u32_e64 v14, null, s3, 0, s4
	s_mov_b32 s12, s5
	v_ashrrev_i32_e32 v6, 31, v5
	s_lshl_b64 s[12:13], s[12:13], 4
	flat_load_b128 v[1:4], v[13:14]
	v_add_co_u32 v15, vcc_lo, v13, s12
	s_delay_alu instid0(VALU_DEP_1)
	v_add_co_ci_u32_e64 v16, null, s13, v14, vcc_lo
	v_lshlrev_b64_e32 v[6:7], 4, v[5:6]
	v_add_nc_u32_e32 v5, s5, v5
	s_movk_i32 s4, 0x50
	s_movk_i32 s12, 0x90
	;; [unrolled: 1-line block ×3, first 2 shown]
	s_bitcmp0_b32 s22, 0
	v_add_co_u32 v17, vcc_lo, s2, v6
	s_wait_alu 0xfffd
	v_add_co_ci_u32_e64 v18, null, s3, v7, vcc_lo
	v_ashrrev_i32_e32 v6, 31, v5
	s_delay_alu instid0(VALU_DEP_1) | instskip(SKIP_1) | instid1(VALU_DEP_2)
	v_lshlrev_b64_e32 v[6:7], 4, v[5:6]
	v_add_nc_u32_e32 v5, s5, v5
	v_add_co_u32 v19, vcc_lo, s2, v6
	s_wait_alu 0xfffd
	s_delay_alu instid0(VALU_DEP_3) | instskip(NEXT) | instid1(VALU_DEP_3)
	v_add_co_ci_u32_e64 v20, null, s3, v7, vcc_lo
	v_ashrrev_i32_e32 v6, 31, v5
	s_delay_alu instid0(VALU_DEP_1) | instskip(SKIP_1) | instid1(VALU_DEP_2)
	v_lshlrev_b64_e32 v[6:7], 4, v[5:6]
	v_add_nc_u32_e32 v5, s5, v5
	v_add_co_u32 v21, vcc_lo, s2, v6
	s_wait_alu 0xfffd
	s_delay_alu instid0(VALU_DEP_3) | instskip(NEXT) | instid1(VALU_DEP_3)
	;; [unrolled: 8-line block ×7, first 2 shown]
	v_add_co_ci_u32_e64 v32, null, s3, v7, vcc_lo
	v_ashrrev_i32_e32 v6, 31, v5
	s_delay_alu instid0(VALU_DEP_1) | instskip(SKIP_2) | instid1(VALU_DEP_2)
	v_lshlrev_b64_e32 v[6:7], 4, v[5:6]
	v_add_nc_u32_e32 v5, s5, v5
	s_movk_i32 s5, 0x70
	v_add_co_u32 v33, vcc_lo, s2, v6
	s_wait_alu 0xfffd
	s_delay_alu instid0(VALU_DEP_3) | instskip(SKIP_1) | instid1(VALU_DEP_1)
	v_add_co_ci_u32_e64 v34, null, s3, v7, vcc_lo
	v_ashrrev_i32_e32 v6, 31, v5
	v_lshlrev_b64_e32 v[5:6], 4, v[5:6]
	s_delay_alu instid0(VALU_DEP_1) | instskip(SKIP_1) | instid1(VALU_DEP_2)
	v_add_co_u32 v35, vcc_lo, s2, v5
	s_wait_alu 0xfffd
	v_add_co_ci_u32_e64 v36, null, s3, v6, vcc_lo
	s_mov_b32 s3, -1
	s_wait_loadcnt_dscnt 0x0
	scratch_store_b128 off, v[1:4], off
	flat_load_b128 v[1:4], v[15:16]
	s_wait_loadcnt_dscnt 0x0
	scratch_store_b128 off, v[1:4], off offset:16
	flat_load_b128 v[1:4], v[17:18]
	s_wait_loadcnt_dscnt 0x0
	scratch_store_b128 off, v[1:4], off offset:32
	;; [unrolled: 3-line block ×11, first 2 shown]
	s_cbranch_scc1 .LBB75_60
; %bb.4:
	v_cmp_eq_u32_e64 s2, 0, v37
	s_and_saveexec_b32 s3, s2
; %bb.5:
	v_mov_b32_e32 v1, 0
	ds_store_b32 v1, v1 offset:384
; %bb.6:
	s_wait_alu 0xfffe
	s_or_b32 exec_lo, exec_lo, s3
	s_wait_storecnt_dscnt 0x0
	s_barrier_signal -1
	s_barrier_wait -1
	global_inv scope:SCOPE_SE
	scratch_load_b128 v[1:4], v38, off
	s_wait_loadcnt 0x0
	v_cmp_eq_f64_e32 vcc_lo, 0, v[1:2]
	v_cmp_eq_f64_e64 s3, 0, v[3:4]
	s_and_b32 s3, vcc_lo, s3
	s_wait_alu 0xfffe
	s_and_saveexec_b32 s22, s3
	s_cbranch_execz .LBB75_10
; %bb.7:
	v_mov_b32_e32 v1, 0
	s_mov_b32 s23, 0
	ds_load_b32 v2, v1 offset:384
	s_wait_dscnt 0x0
	v_readfirstlane_b32 s3, v2
	v_add_nc_u32_e32 v2, 1, v37
	s_cmp_eq_u32 s3, 0
	s_delay_alu instid0(VALU_DEP_1) | instskip(SKIP_1) | instid1(SALU_CYCLE_1)
	v_cmp_gt_i32_e32 vcc_lo, s3, v2
	s_cselect_b32 s24, -1, 0
	s_or_b32 s24, s24, vcc_lo
	s_delay_alu instid0(SALU_CYCLE_1)
	s_and_b32 exec_lo, exec_lo, s24
	s_cbranch_execz .LBB75_10
; %bb.8:
	v_mov_b32_e32 v3, s3
.LBB75_9:                               ; =>This Inner Loop Header: Depth=1
	ds_cmpstore_rtn_b32 v3, v1, v2, v3 offset:384
	s_wait_dscnt 0x0
	v_cmp_ne_u32_e32 vcc_lo, 0, v3
	v_cmp_le_i32_e64 s3, v3, v2
	s_and_b32 s3, vcc_lo, s3
	s_wait_alu 0xfffe
	s_and_b32 s3, exec_lo, s3
	s_wait_alu 0xfffe
	s_or_b32 s23, s3, s23
	s_delay_alu instid0(SALU_CYCLE_1)
	s_and_not1_b32 exec_lo, exec_lo, s23
	s_cbranch_execnz .LBB75_9
.LBB75_10:
	s_or_b32 exec_lo, exec_lo, s22
	v_mov_b32_e32 v1, 0
	s_barrier_signal -1
	s_barrier_wait -1
	global_inv scope:SCOPE_SE
	ds_load_b32 v2, v1 offset:384
	s_and_saveexec_b32 s3, s2
	s_cbranch_execz .LBB75_12
; %bb.11:
	s_lshl_b64 s[22:23], s[10:11], 2
	s_delay_alu instid0(SALU_CYCLE_1)
	s_add_nc_u64 s[22:23], s[6:7], s[22:23]
	s_wait_dscnt 0x0
	global_store_b32 v1, v2, s[22:23]
.LBB75_12:
	s_wait_alu 0xfffe
	s_or_b32 exec_lo, exec_lo, s3
	s_wait_dscnt 0x0
	v_cmp_ne_u32_e32 vcc_lo, 0, v2
	s_mov_b32 s3, 0
	s_cbranch_vccnz .LBB75_60
; %bb.13:
	v_mov_b32_e32 v39, v38
                                        ; implicit-def: $vgpr1_vgpr2
                                        ; implicit-def: $vgpr9_vgpr10
	scratch_load_b128 v[5:8], v39, off
	s_wait_loadcnt 0x0
	v_cmp_ngt_f64_e64 s3, |v[5:6]|, |v[7:8]|
	s_wait_alu 0xfffe
	s_and_saveexec_b32 s22, s3
	s_delay_alu instid0(SALU_CYCLE_1)
	s_xor_b32 s3, exec_lo, s22
	s_cbranch_execz .LBB75_15
; %bb.14:
	v_div_scale_f64 v[1:2], null, v[7:8], v[7:8], v[5:6]
	v_div_scale_f64 v[11:12], vcc_lo, v[5:6], v[7:8], v[5:6]
	s_delay_alu instid0(VALU_DEP_2) | instskip(NEXT) | instid1(TRANS32_DEP_1)
	v_rcp_f64_e32 v[3:4], v[1:2]
	v_fma_f64 v[9:10], -v[1:2], v[3:4], 1.0
	s_delay_alu instid0(VALU_DEP_1) | instskip(NEXT) | instid1(VALU_DEP_1)
	v_fma_f64 v[3:4], v[3:4], v[9:10], v[3:4]
	v_fma_f64 v[9:10], -v[1:2], v[3:4], 1.0
	s_delay_alu instid0(VALU_DEP_1) | instskip(NEXT) | instid1(VALU_DEP_1)
	v_fma_f64 v[3:4], v[3:4], v[9:10], v[3:4]
	v_mul_f64_e32 v[9:10], v[11:12], v[3:4]
	s_delay_alu instid0(VALU_DEP_1) | instskip(SKIP_1) | instid1(VALU_DEP_1)
	v_fma_f64 v[1:2], -v[1:2], v[9:10], v[11:12]
	s_wait_alu 0xfffd
	v_div_fmas_f64 v[1:2], v[1:2], v[3:4], v[9:10]
	s_delay_alu instid0(VALU_DEP_1) | instskip(NEXT) | instid1(VALU_DEP_1)
	v_div_fixup_f64 v[1:2], v[1:2], v[7:8], v[5:6]
	v_fma_f64 v[3:4], v[5:6], v[1:2], v[7:8]
	s_delay_alu instid0(VALU_DEP_1) | instskip(SKIP_1) | instid1(VALU_DEP_2)
	v_div_scale_f64 v[5:6], null, v[3:4], v[3:4], 1.0
	v_div_scale_f64 v[11:12], vcc_lo, 1.0, v[3:4], 1.0
	v_rcp_f64_e32 v[7:8], v[5:6]
	s_delay_alu instid0(TRANS32_DEP_1) | instskip(NEXT) | instid1(VALU_DEP_1)
	v_fma_f64 v[9:10], -v[5:6], v[7:8], 1.0
	v_fma_f64 v[7:8], v[7:8], v[9:10], v[7:8]
	s_delay_alu instid0(VALU_DEP_1) | instskip(NEXT) | instid1(VALU_DEP_1)
	v_fma_f64 v[9:10], -v[5:6], v[7:8], 1.0
	v_fma_f64 v[7:8], v[7:8], v[9:10], v[7:8]
	s_delay_alu instid0(VALU_DEP_1) | instskip(NEXT) | instid1(VALU_DEP_1)
	v_mul_f64_e32 v[9:10], v[11:12], v[7:8]
	v_fma_f64 v[5:6], -v[5:6], v[9:10], v[11:12]
	s_wait_alu 0xfffd
	s_delay_alu instid0(VALU_DEP_1) | instskip(NEXT) | instid1(VALU_DEP_1)
	v_div_fmas_f64 v[5:6], v[5:6], v[7:8], v[9:10]
	v_div_fixup_f64 v[3:4], v[5:6], v[3:4], 1.0
                                        ; implicit-def: $vgpr5_vgpr6
	s_delay_alu instid0(VALU_DEP_1) | instskip(SKIP_1) | instid1(VALU_DEP_2)
	v_mul_f64_e32 v[1:2], v[1:2], v[3:4]
	v_xor_b32_e32 v4, 0x80000000, v4
	v_xor_b32_e32 v10, 0x80000000, v2
	s_delay_alu instid0(VALU_DEP_3)
	v_mov_b32_e32 v9, v1
.LBB75_15:
	s_wait_alu 0xfffe
	s_and_not1_saveexec_b32 s3, s3
	s_cbranch_execz .LBB75_17
; %bb.16:
	v_div_scale_f64 v[1:2], null, v[5:6], v[5:6], v[7:8]
	v_div_scale_f64 v[11:12], vcc_lo, v[7:8], v[5:6], v[7:8]
	s_delay_alu instid0(VALU_DEP_2) | instskip(NEXT) | instid1(TRANS32_DEP_1)
	v_rcp_f64_e32 v[3:4], v[1:2]
	v_fma_f64 v[9:10], -v[1:2], v[3:4], 1.0
	s_delay_alu instid0(VALU_DEP_1) | instskip(NEXT) | instid1(VALU_DEP_1)
	v_fma_f64 v[3:4], v[3:4], v[9:10], v[3:4]
	v_fma_f64 v[9:10], -v[1:2], v[3:4], 1.0
	s_delay_alu instid0(VALU_DEP_1) | instskip(NEXT) | instid1(VALU_DEP_1)
	v_fma_f64 v[3:4], v[3:4], v[9:10], v[3:4]
	v_mul_f64_e32 v[9:10], v[11:12], v[3:4]
	s_delay_alu instid0(VALU_DEP_1) | instskip(SKIP_1) | instid1(VALU_DEP_1)
	v_fma_f64 v[1:2], -v[1:2], v[9:10], v[11:12]
	s_wait_alu 0xfffd
	v_div_fmas_f64 v[1:2], v[1:2], v[3:4], v[9:10]
	s_delay_alu instid0(VALU_DEP_1) | instskip(NEXT) | instid1(VALU_DEP_1)
	v_div_fixup_f64 v[3:4], v[1:2], v[5:6], v[7:8]
	v_fma_f64 v[1:2], v[7:8], v[3:4], v[5:6]
	s_delay_alu instid0(VALU_DEP_1) | instskip(NEXT) | instid1(VALU_DEP_1)
	v_div_scale_f64 v[5:6], null, v[1:2], v[1:2], 1.0
	v_rcp_f64_e32 v[7:8], v[5:6]
	s_delay_alu instid0(TRANS32_DEP_1) | instskip(NEXT) | instid1(VALU_DEP_1)
	v_fma_f64 v[9:10], -v[5:6], v[7:8], 1.0
	v_fma_f64 v[7:8], v[7:8], v[9:10], v[7:8]
	s_delay_alu instid0(VALU_DEP_1) | instskip(NEXT) | instid1(VALU_DEP_1)
	v_fma_f64 v[9:10], -v[5:6], v[7:8], 1.0
	v_fma_f64 v[7:8], v[7:8], v[9:10], v[7:8]
	v_div_scale_f64 v[9:10], vcc_lo, 1.0, v[1:2], 1.0
	s_delay_alu instid0(VALU_DEP_1) | instskip(NEXT) | instid1(VALU_DEP_1)
	v_mul_f64_e32 v[11:12], v[9:10], v[7:8]
	v_fma_f64 v[5:6], -v[5:6], v[11:12], v[9:10]
	s_wait_alu 0xfffd
	s_delay_alu instid0(VALU_DEP_1) | instskip(NEXT) | instid1(VALU_DEP_1)
	v_div_fmas_f64 v[5:6], v[5:6], v[7:8], v[11:12]
	v_div_fixup_f64 v[1:2], v[5:6], v[1:2], 1.0
	s_delay_alu instid0(VALU_DEP_1)
	v_mul_f64_e64 v[3:4], v[3:4], -v[1:2]
	v_xor_b32_e32 v10, 0x80000000, v2
	v_mov_b32_e32 v9, v1
.LBB75_17:
	s_wait_alu 0xfffe
	s_or_b32 exec_lo, exec_lo, s3
	scratch_store_b128 v39, v[1:4], off
	scratch_load_b128 v[40:43], off, s21
	v_xor_b32_e32 v12, 0x80000000, v4
	v_mov_b32_e32 v11, v3
	v_add_nc_u32_e32 v5, 0xc0, v38
	ds_store_b128 v38, v[9:12]
	s_wait_loadcnt 0x0
	ds_store_b128 v38, v[40:43] offset:192
	s_wait_storecnt_dscnt 0x0
	s_barrier_signal -1
	s_barrier_wait -1
	global_inv scope:SCOPE_SE
	s_and_saveexec_b32 s3, s2
	s_cbranch_execz .LBB75_19
; %bb.18:
	scratch_load_b128 v[1:4], v39, off
	ds_load_b128 v[6:9], v5
	v_mov_b32_e32 v10, 0
	ds_load_b128 v[40:43], v10 offset:16
	s_wait_loadcnt_dscnt 0x1
	v_mul_f64_e32 v[10:11], v[6:7], v[3:4]
	v_mul_f64_e32 v[3:4], v[8:9], v[3:4]
	s_delay_alu instid0(VALU_DEP_2) | instskip(NEXT) | instid1(VALU_DEP_2)
	v_fma_f64 v[8:9], v[8:9], v[1:2], v[10:11]
	v_fma_f64 v[1:2], v[6:7], v[1:2], -v[3:4]
	s_delay_alu instid0(VALU_DEP_2) | instskip(NEXT) | instid1(VALU_DEP_2)
	v_add_f64_e32 v[3:4], 0, v[8:9]
	v_add_f64_e32 v[1:2], 0, v[1:2]
	s_wait_dscnt 0x0
	s_delay_alu instid0(VALU_DEP_2) | instskip(NEXT) | instid1(VALU_DEP_2)
	v_mul_f64_e32 v[6:7], v[3:4], v[42:43]
	v_mul_f64_e32 v[8:9], v[1:2], v[42:43]
	s_delay_alu instid0(VALU_DEP_2) | instskip(NEXT) | instid1(VALU_DEP_2)
	v_fma_f64 v[1:2], v[1:2], v[40:41], -v[6:7]
	v_fma_f64 v[3:4], v[3:4], v[40:41], v[8:9]
	scratch_store_b128 off, v[1:4], off offset:16
.LBB75_19:
	s_wait_alu 0xfffe
	s_or_b32 exec_lo, exec_lo, s3
	s_wait_loadcnt 0x0
	s_wait_storecnt 0x0
	s_barrier_signal -1
	s_barrier_wait -1
	global_inv scope:SCOPE_SE
	scratch_load_b128 v[1:4], off, s19
	s_mov_b32 s3, exec_lo
	s_wait_loadcnt 0x0
	ds_store_b128 v5, v[1:4]
	s_wait_dscnt 0x0
	s_barrier_signal -1
	s_barrier_wait -1
	global_inv scope:SCOPE_SE
	v_cmpx_gt_u32_e32 2, v37
	s_cbranch_execz .LBB75_23
; %bb.20:
	scratch_load_b128 v[1:4], v39, off
	ds_load_b128 v[6:9], v5
	s_wait_loadcnt_dscnt 0x0
	v_mul_f64_e32 v[10:11], v[8:9], v[3:4]
	v_mul_f64_e32 v[3:4], v[6:7], v[3:4]
	s_delay_alu instid0(VALU_DEP_2) | instskip(NEXT) | instid1(VALU_DEP_2)
	v_fma_f64 v[6:7], v[6:7], v[1:2], -v[10:11]
	v_fma_f64 v[3:4], v[8:9], v[1:2], v[3:4]
	s_delay_alu instid0(VALU_DEP_2) | instskip(NEXT) | instid1(VALU_DEP_2)
	v_add_f64_e32 v[1:2], 0, v[6:7]
	v_add_f64_e32 v[3:4], 0, v[3:4]
	s_and_saveexec_b32 s22, s2
	s_cbranch_execz .LBB75_22
; %bb.21:
	scratch_load_b128 v[6:9], off, off offset:16
	v_mov_b32_e32 v10, 0
	ds_load_b128 v[40:43], v10 offset:208
	s_wait_loadcnt_dscnt 0x0
	v_mul_f64_e32 v[10:11], v[40:41], v[8:9]
	v_mul_f64_e32 v[8:9], v[42:43], v[8:9]
	s_delay_alu instid0(VALU_DEP_2) | instskip(NEXT) | instid1(VALU_DEP_2)
	v_fma_f64 v[10:11], v[42:43], v[6:7], v[10:11]
	v_fma_f64 v[6:7], v[40:41], v[6:7], -v[8:9]
	s_delay_alu instid0(VALU_DEP_2) | instskip(NEXT) | instid1(VALU_DEP_2)
	v_add_f64_e32 v[3:4], v[3:4], v[10:11]
	v_add_f64_e32 v[1:2], v[1:2], v[6:7]
.LBB75_22:
	s_or_b32 exec_lo, exec_lo, s22
	v_mov_b32_e32 v6, 0
	ds_load_b128 v[6:9], v6 offset:32
	s_wait_dscnt 0x0
	v_mul_f64_e32 v[10:11], v[3:4], v[8:9]
	v_mul_f64_e32 v[8:9], v[1:2], v[8:9]
	s_delay_alu instid0(VALU_DEP_2) | instskip(NEXT) | instid1(VALU_DEP_2)
	v_fma_f64 v[1:2], v[1:2], v[6:7], -v[10:11]
	v_fma_f64 v[3:4], v[3:4], v[6:7], v[8:9]
	scratch_store_b128 off, v[1:4], off offset:32
.LBB75_23:
	s_wait_alu 0xfffe
	s_or_b32 exec_lo, exec_lo, s3
	s_wait_loadcnt 0x0
	s_wait_storecnt 0x0
	s_barrier_signal -1
	s_barrier_wait -1
	global_inv scope:SCOPE_SE
	scratch_load_b128 v[1:4], off, s14
	v_add_nc_u32_e32 v6, -1, v37
	s_mov_b32 s2, exec_lo
	s_wait_loadcnt 0x0
	ds_store_b128 v5, v[1:4]
	s_wait_dscnt 0x0
	s_barrier_signal -1
	s_barrier_wait -1
	global_inv scope:SCOPE_SE
	v_cmpx_gt_u32_e32 3, v37
	s_cbranch_execz .LBB75_27
; %bb.24:
	v_dual_mov_b32 v1, 0 :: v_dual_add_nc_u32 v8, 0xc0, v38
	v_mov_b32_e32 v3, 0
	v_dual_mov_b32 v2, 0 :: v_dual_add_nc_u32 v7, -1, v37
	v_mov_b32_e32 v4, 0
	v_or_b32_e32 v9, 8, v39
	s_mov_b32 s3, 0
.LBB75_25:                              ; =>This Inner Loop Header: Depth=1
	scratch_load_b128 v[40:43], v9, off offset:-8
	ds_load_b128 v[44:47], v8
	v_add_nc_u32_e32 v7, 1, v7
	v_add_nc_u32_e32 v8, 16, v8
	v_add_nc_u32_e32 v9, 16, v9
	s_delay_alu instid0(VALU_DEP_3)
	v_cmp_lt_u32_e32 vcc_lo, 1, v7
	s_wait_alu 0xfffe
	s_or_b32 s3, vcc_lo, s3
	s_wait_loadcnt_dscnt 0x0
	v_mul_f64_e32 v[10:11], v[46:47], v[42:43]
	v_mul_f64_e32 v[42:43], v[44:45], v[42:43]
	s_delay_alu instid0(VALU_DEP_2) | instskip(NEXT) | instid1(VALU_DEP_2)
	v_fma_f64 v[10:11], v[44:45], v[40:41], -v[10:11]
	v_fma_f64 v[40:41], v[46:47], v[40:41], v[42:43]
	s_delay_alu instid0(VALU_DEP_2) | instskip(NEXT) | instid1(VALU_DEP_2)
	v_add_f64_e32 v[3:4], v[3:4], v[10:11]
	v_add_f64_e32 v[1:2], v[1:2], v[40:41]
	s_wait_alu 0xfffe
	s_and_not1_b32 exec_lo, exec_lo, s3
	s_cbranch_execnz .LBB75_25
; %bb.26:
	s_or_b32 exec_lo, exec_lo, s3
	v_mov_b32_e32 v7, 0
	ds_load_b128 v[7:10], v7 offset:48
	s_wait_dscnt 0x0
	v_mul_f64_e32 v[11:12], v[1:2], v[9:10]
	v_mul_f64_e32 v[40:41], v[3:4], v[9:10]
	s_delay_alu instid0(VALU_DEP_2) | instskip(NEXT) | instid1(VALU_DEP_2)
	v_fma_f64 v[9:10], v[3:4], v[7:8], -v[11:12]
	v_fma_f64 v[11:12], v[1:2], v[7:8], v[40:41]
	scratch_store_b128 off, v[9:12], off offset:48
.LBB75_27:
	s_wait_alu 0xfffe
	s_or_b32 exec_lo, exec_lo, s2
	s_wait_loadcnt 0x0
	s_wait_storecnt 0x0
	s_barrier_signal -1
	s_barrier_wait -1
	global_inv scope:SCOPE_SE
	scratch_load_b128 v[1:4], off, s15
	s_mov_b32 s2, exec_lo
	s_wait_loadcnt 0x0
	ds_store_b128 v5, v[1:4]
	s_wait_dscnt 0x0
	s_barrier_signal -1
	s_barrier_wait -1
	global_inv scope:SCOPE_SE
	v_cmpx_gt_u32_e32 4, v37
	s_cbranch_execz .LBB75_31
; %bb.28:
	v_dual_mov_b32 v1, 0 :: v_dual_add_nc_u32 v8, 0xc0, v38
	v_mov_b32_e32 v3, 0
	v_dual_mov_b32 v2, 0 :: v_dual_add_nc_u32 v7, -1, v37
	v_mov_b32_e32 v4, 0
	v_or_b32_e32 v9, 8, v39
	s_mov_b32 s3, 0
.LBB75_29:                              ; =>This Inner Loop Header: Depth=1
	scratch_load_b128 v[40:43], v9, off offset:-8
	ds_load_b128 v[44:47], v8
	v_add_nc_u32_e32 v7, 1, v7
	v_add_nc_u32_e32 v8, 16, v8
	v_add_nc_u32_e32 v9, 16, v9
	s_delay_alu instid0(VALU_DEP_3)
	v_cmp_lt_u32_e32 vcc_lo, 2, v7
	s_wait_alu 0xfffe
	s_or_b32 s3, vcc_lo, s3
	s_wait_loadcnt_dscnt 0x0
	v_mul_f64_e32 v[10:11], v[46:47], v[42:43]
	v_mul_f64_e32 v[42:43], v[44:45], v[42:43]
	s_delay_alu instid0(VALU_DEP_2) | instskip(NEXT) | instid1(VALU_DEP_2)
	v_fma_f64 v[10:11], v[44:45], v[40:41], -v[10:11]
	v_fma_f64 v[40:41], v[46:47], v[40:41], v[42:43]
	s_delay_alu instid0(VALU_DEP_2) | instskip(NEXT) | instid1(VALU_DEP_2)
	v_add_f64_e32 v[3:4], v[3:4], v[10:11]
	v_add_f64_e32 v[1:2], v[1:2], v[40:41]
	s_wait_alu 0xfffe
	s_and_not1_b32 exec_lo, exec_lo, s3
	s_cbranch_execnz .LBB75_29
; %bb.30:
	s_or_b32 exec_lo, exec_lo, s3
	v_mov_b32_e32 v7, 0
	ds_load_b128 v[7:10], v7 offset:64
	s_wait_dscnt 0x0
	v_mul_f64_e32 v[11:12], v[1:2], v[9:10]
	v_mul_f64_e32 v[40:41], v[3:4], v[9:10]
	s_delay_alu instid0(VALU_DEP_2) | instskip(NEXT) | instid1(VALU_DEP_2)
	v_fma_f64 v[9:10], v[3:4], v[7:8], -v[11:12]
	v_fma_f64 v[11:12], v[1:2], v[7:8], v[40:41]
	scratch_store_b128 off, v[9:12], off offset:64
.LBB75_31:
	s_wait_alu 0xfffe
	s_or_b32 exec_lo, exec_lo, s2
	s_wait_loadcnt 0x0
	s_wait_storecnt 0x0
	s_barrier_signal -1
	s_barrier_wait -1
	global_inv scope:SCOPE_SE
	scratch_load_b128 v[1:4], off, s4
	;; [unrolled: 58-line block ×8, first 2 shown]
	s_mov_b32 s2, exec_lo
	s_wait_loadcnt 0x0
	ds_store_b128 v5, v[1:4]
	s_wait_dscnt 0x0
	s_barrier_signal -1
	s_barrier_wait -1
	global_inv scope:SCOPE_SE
	v_cmpx_ne_u32_e32 11, v37
	s_cbranch_execz .LBB75_59
; %bb.56:
	v_mov_b32_e32 v1, 0
	v_dual_mov_b32 v2, 0 :: v_dual_mov_b32 v3, 0
	v_mov_b32_e32 v4, 0
	v_or_b32_e32 v7, 8, v39
	s_mov_b32 s3, 0
.LBB75_57:                              ; =>This Inner Loop Header: Depth=1
	scratch_load_b128 v[8:11], v7, off offset:-8
	ds_load_b128 v[38:41], v5
	v_add_nc_u32_e32 v6, 1, v6
	v_add_nc_u32_e32 v5, 16, v5
	;; [unrolled: 1-line block ×3, first 2 shown]
	s_delay_alu instid0(VALU_DEP_3)
	v_cmp_lt_u32_e32 vcc_lo, 9, v6
	s_wait_alu 0xfffe
	s_or_b32 s3, vcc_lo, s3
	s_wait_loadcnt_dscnt 0x0
	v_mul_f64_e32 v[42:43], v[40:41], v[10:11]
	v_mul_f64_e32 v[10:11], v[38:39], v[10:11]
	s_delay_alu instid0(VALU_DEP_2) | instskip(NEXT) | instid1(VALU_DEP_2)
	v_fma_f64 v[38:39], v[38:39], v[8:9], -v[42:43]
	v_fma_f64 v[8:9], v[40:41], v[8:9], v[10:11]
	s_delay_alu instid0(VALU_DEP_2) | instskip(NEXT) | instid1(VALU_DEP_2)
	v_add_f64_e32 v[3:4], v[3:4], v[38:39]
	v_add_f64_e32 v[1:2], v[1:2], v[8:9]
	s_wait_alu 0xfffe
	s_and_not1_b32 exec_lo, exec_lo, s3
	s_cbranch_execnz .LBB75_57
; %bb.58:
	s_or_b32 exec_lo, exec_lo, s3
	v_mov_b32_e32 v5, 0
	ds_load_b128 v[5:8], v5 offset:176
	s_wait_dscnt 0x0
	v_mul_f64_e32 v[9:10], v[1:2], v[7:8]
	v_mul_f64_e32 v[7:8], v[3:4], v[7:8]
	s_delay_alu instid0(VALU_DEP_2) | instskip(NEXT) | instid1(VALU_DEP_2)
	v_fma_f64 v[3:4], v[3:4], v[5:6], -v[9:10]
	v_fma_f64 v[5:6], v[1:2], v[5:6], v[7:8]
	scratch_store_b128 off, v[3:6], off offset:176
.LBB75_59:
	s_wait_alu 0xfffe
	s_or_b32 exec_lo, exec_lo, s2
	s_mov_b32 s3, -1
	s_wait_loadcnt 0x0
	s_wait_storecnt 0x0
	s_barrier_signal -1
	s_barrier_wait -1
	global_inv scope:SCOPE_SE
.LBB75_60:
	s_wait_alu 0xfffe
	s_and_b32 vcc_lo, exec_lo, s3
	s_wait_alu 0xfffe
	s_cbranch_vccz .LBB75_62
; %bb.61:
	v_mov_b32_e32 v1, 0
	s_lshl_b64 s[2:3], s[10:11], 2
	s_wait_alu 0xfffe
	s_add_nc_u64 s[2:3], s[6:7], s[2:3]
	global_load_b32 v1, v1, s[2:3]
	s_wait_loadcnt 0x0
	v_cmp_ne_u32_e32 vcc_lo, 0, v1
	s_cbranch_vccz .LBB75_63
.LBB75_62:
	s_endpgm
.LBB75_63:
	v_lshl_add_u32 v5, v37, 4, 0xc0
	s_mov_b32 s2, exec_lo
	v_cmpx_eq_u32_e32 11, v37
	s_cbranch_execz .LBB75_65
; %bb.64:
	scratch_load_b128 v[1:4], off, s18
	v_mov_b32_e32 v6, 0
	s_delay_alu instid0(VALU_DEP_1)
	v_dual_mov_b32 v7, v6 :: v_dual_mov_b32 v8, v6
	v_mov_b32_e32 v9, v6
	scratch_store_b128 off, v[6:9], off offset:160
	s_wait_loadcnt 0x0
	ds_store_b128 v5, v[1:4]
.LBB75_65:
	s_wait_alu 0xfffe
	s_or_b32 exec_lo, exec_lo, s2
	s_wait_storecnt_dscnt 0x0
	s_barrier_signal -1
	s_barrier_wait -1
	global_inv scope:SCOPE_SE
	s_clause 0x1
	scratch_load_b128 v[6:9], off, off offset:176
	scratch_load_b128 v[38:41], off, off offset:160
	v_mov_b32_e32 v1, 0
	s_mov_b32 s2, exec_lo
	ds_load_b128 v[42:45], v1 offset:368
	s_wait_loadcnt_dscnt 0x100
	v_mul_f64_e32 v[2:3], v[44:45], v[8:9]
	v_mul_f64_e32 v[8:9], v[42:43], v[8:9]
	s_delay_alu instid0(VALU_DEP_2) | instskip(NEXT) | instid1(VALU_DEP_2)
	v_fma_f64 v[2:3], v[42:43], v[6:7], -v[2:3]
	v_fma_f64 v[6:7], v[44:45], v[6:7], v[8:9]
	s_delay_alu instid0(VALU_DEP_2) | instskip(NEXT) | instid1(VALU_DEP_2)
	v_add_f64_e32 v[2:3], 0, v[2:3]
	v_add_f64_e32 v[8:9], 0, v[6:7]
	s_wait_loadcnt 0x0
	s_delay_alu instid0(VALU_DEP_2) | instskip(NEXT) | instid1(VALU_DEP_2)
	v_add_f64_e64 v[6:7], v[38:39], -v[2:3]
	v_add_f64_e64 v[8:9], v[40:41], -v[8:9]
	scratch_store_b128 off, v[6:9], off offset:160
	v_cmpx_lt_u32_e32 9, v37
	s_cbranch_execz .LBB75_67
; %bb.66:
	scratch_load_b128 v[6:9], off, s12
	v_dual_mov_b32 v2, v1 :: v_dual_mov_b32 v3, v1
	v_mov_b32_e32 v4, v1
	scratch_store_b128 off, v[1:4], off offset:144
	s_wait_loadcnt 0x0
	ds_store_b128 v5, v[6:9]
.LBB75_67:
	s_wait_alu 0xfffe
	s_or_b32 exec_lo, exec_lo, s2
	s_wait_storecnt_dscnt 0x0
	s_barrier_signal -1
	s_barrier_wait -1
	global_inv scope:SCOPE_SE
	s_clause 0x2
	scratch_load_b128 v[6:9], off, off offset:160
	scratch_load_b128 v[38:41], off, off offset:176
	;; [unrolled: 1-line block ×3, first 2 shown]
	ds_load_b128 v[46:49], v1 offset:352
	ds_load_b128 v[1:4], v1 offset:368
	s_mov_b32 s2, exec_lo
	s_wait_loadcnt_dscnt 0x201
	v_mul_f64_e32 v[10:11], v[48:49], v[8:9]
	v_mul_f64_e32 v[8:9], v[46:47], v[8:9]
	s_wait_loadcnt_dscnt 0x100
	v_mul_f64_e32 v[50:51], v[1:2], v[40:41]
	v_mul_f64_e32 v[40:41], v[3:4], v[40:41]
	s_delay_alu instid0(VALU_DEP_4) | instskip(NEXT) | instid1(VALU_DEP_4)
	v_fma_f64 v[10:11], v[46:47], v[6:7], -v[10:11]
	v_fma_f64 v[6:7], v[48:49], v[6:7], v[8:9]
	s_delay_alu instid0(VALU_DEP_4) | instskip(NEXT) | instid1(VALU_DEP_4)
	v_fma_f64 v[3:4], v[3:4], v[38:39], v[50:51]
	v_fma_f64 v[1:2], v[1:2], v[38:39], -v[40:41]
	s_delay_alu instid0(VALU_DEP_4) | instskip(NEXT) | instid1(VALU_DEP_4)
	v_add_f64_e32 v[8:9], 0, v[10:11]
	v_add_f64_e32 v[6:7], 0, v[6:7]
	s_delay_alu instid0(VALU_DEP_2) | instskip(NEXT) | instid1(VALU_DEP_2)
	v_add_f64_e32 v[1:2], v[8:9], v[1:2]
	v_add_f64_e32 v[3:4], v[6:7], v[3:4]
	s_wait_loadcnt 0x0
	s_delay_alu instid0(VALU_DEP_2) | instskip(NEXT) | instid1(VALU_DEP_2)
	v_add_f64_e64 v[1:2], v[42:43], -v[1:2]
	v_add_f64_e64 v[3:4], v[44:45], -v[3:4]
	scratch_store_b128 off, v[1:4], off offset:144
	v_cmpx_lt_u32_e32 8, v37
	s_cbranch_execz .LBB75_69
; %bb.68:
	scratch_load_b128 v[1:4], off, s17
	v_mov_b32_e32 v6, 0
	s_delay_alu instid0(VALU_DEP_1)
	v_dual_mov_b32 v7, v6 :: v_dual_mov_b32 v8, v6
	v_mov_b32_e32 v9, v6
	scratch_store_b128 off, v[6:9], off offset:128
	s_wait_loadcnt 0x0
	ds_store_b128 v5, v[1:4]
.LBB75_69:
	s_wait_alu 0xfffe
	s_or_b32 exec_lo, exec_lo, s2
	s_wait_storecnt_dscnt 0x0
	s_barrier_signal -1
	s_barrier_wait -1
	global_inv scope:SCOPE_SE
	s_clause 0x3
	scratch_load_b128 v[6:9], off, off offset:144
	scratch_load_b128 v[38:41], off, off offset:160
	;; [unrolled: 1-line block ×4, first 2 shown]
	v_mov_b32_e32 v1, 0
	ds_load_b128 v[50:53], v1 offset:336
	ds_load_b128 v[54:57], v1 offset:352
	s_mov_b32 s2, exec_lo
	s_wait_loadcnt_dscnt 0x301
	v_mul_f64_e32 v[2:3], v[52:53], v[8:9]
	v_mul_f64_e32 v[8:9], v[50:51], v[8:9]
	s_wait_loadcnt_dscnt 0x200
	v_mul_f64_e32 v[10:11], v[54:55], v[40:41]
	v_mul_f64_e32 v[40:41], v[56:57], v[40:41]
	s_delay_alu instid0(VALU_DEP_4) | instskip(NEXT) | instid1(VALU_DEP_4)
	v_fma_f64 v[2:3], v[50:51], v[6:7], -v[2:3]
	v_fma_f64 v[50:51], v[52:53], v[6:7], v[8:9]
	ds_load_b128 v[6:9], v1 offset:368
	v_fma_f64 v[10:11], v[56:57], v[38:39], v[10:11]
	v_fma_f64 v[38:39], v[54:55], v[38:39], -v[40:41]
	s_wait_loadcnt_dscnt 0x100
	v_mul_f64_e32 v[52:53], v[6:7], v[44:45]
	v_mul_f64_e32 v[44:45], v[8:9], v[44:45]
	v_add_f64_e32 v[2:3], 0, v[2:3]
	v_add_f64_e32 v[40:41], 0, v[50:51]
	s_delay_alu instid0(VALU_DEP_4) | instskip(NEXT) | instid1(VALU_DEP_4)
	v_fma_f64 v[8:9], v[8:9], v[42:43], v[52:53]
	v_fma_f64 v[6:7], v[6:7], v[42:43], -v[44:45]
	s_delay_alu instid0(VALU_DEP_4) | instskip(NEXT) | instid1(VALU_DEP_4)
	v_add_f64_e32 v[2:3], v[2:3], v[38:39]
	v_add_f64_e32 v[10:11], v[40:41], v[10:11]
	s_delay_alu instid0(VALU_DEP_2) | instskip(NEXT) | instid1(VALU_DEP_2)
	v_add_f64_e32 v[2:3], v[2:3], v[6:7]
	v_add_f64_e32 v[8:9], v[10:11], v[8:9]
	s_wait_loadcnt 0x0
	s_delay_alu instid0(VALU_DEP_2) | instskip(NEXT) | instid1(VALU_DEP_2)
	v_add_f64_e64 v[6:7], v[46:47], -v[2:3]
	v_add_f64_e64 v[8:9], v[48:49], -v[8:9]
	scratch_store_b128 off, v[6:9], off offset:128
	v_cmpx_lt_u32_e32 7, v37
	s_cbranch_execz .LBB75_71
; %bb.70:
	scratch_load_b128 v[6:9], off, s5
	v_dual_mov_b32 v2, v1 :: v_dual_mov_b32 v3, v1
	v_mov_b32_e32 v4, v1
	scratch_store_b128 off, v[1:4], off offset:112
	s_wait_loadcnt 0x0
	ds_store_b128 v5, v[6:9]
.LBB75_71:
	s_wait_alu 0xfffe
	s_or_b32 exec_lo, exec_lo, s2
	s_wait_storecnt_dscnt 0x0
	s_barrier_signal -1
	s_barrier_wait -1
	global_inv scope:SCOPE_SE
	s_clause 0x4
	scratch_load_b128 v[6:9], off, off offset:128
	scratch_load_b128 v[38:41], off, off offset:144
	;; [unrolled: 1-line block ×5, first 2 shown]
	ds_load_b128 v[54:57], v1 offset:320
	ds_load_b128 v[58:61], v1 offset:336
	s_mov_b32 s2, exec_lo
	s_wait_loadcnt_dscnt 0x401
	v_mul_f64_e32 v[2:3], v[56:57], v[8:9]
	v_mul_f64_e32 v[8:9], v[54:55], v[8:9]
	s_wait_loadcnt_dscnt 0x300
	v_mul_f64_e32 v[10:11], v[58:59], v[40:41]
	v_mul_f64_e32 v[40:41], v[60:61], v[40:41]
	s_delay_alu instid0(VALU_DEP_4) | instskip(NEXT) | instid1(VALU_DEP_4)
	v_fma_f64 v[54:55], v[54:55], v[6:7], -v[2:3]
	v_fma_f64 v[56:57], v[56:57], v[6:7], v[8:9]
	ds_load_b128 v[6:9], v1 offset:352
	ds_load_b128 v[1:4], v1 offset:368
	v_fma_f64 v[10:11], v[60:61], v[38:39], v[10:11]
	v_fma_f64 v[38:39], v[58:59], v[38:39], -v[40:41]
	s_wait_loadcnt_dscnt 0x201
	v_mul_f64_e32 v[62:63], v[6:7], v[44:45]
	v_mul_f64_e32 v[44:45], v[8:9], v[44:45]
	v_add_f64_e32 v[40:41], 0, v[54:55]
	v_add_f64_e32 v[54:55], 0, v[56:57]
	s_wait_loadcnt_dscnt 0x100
	v_mul_f64_e32 v[56:57], v[1:2], v[48:49]
	v_mul_f64_e32 v[48:49], v[3:4], v[48:49]
	v_fma_f64 v[8:9], v[8:9], v[42:43], v[62:63]
	v_fma_f64 v[6:7], v[6:7], v[42:43], -v[44:45]
	v_add_f64_e32 v[38:39], v[40:41], v[38:39]
	v_add_f64_e32 v[10:11], v[54:55], v[10:11]
	v_fma_f64 v[3:4], v[3:4], v[46:47], v[56:57]
	v_fma_f64 v[1:2], v[1:2], v[46:47], -v[48:49]
	s_delay_alu instid0(VALU_DEP_4) | instskip(NEXT) | instid1(VALU_DEP_4)
	v_add_f64_e32 v[6:7], v[38:39], v[6:7]
	v_add_f64_e32 v[8:9], v[10:11], v[8:9]
	s_delay_alu instid0(VALU_DEP_2) | instskip(NEXT) | instid1(VALU_DEP_2)
	v_add_f64_e32 v[1:2], v[6:7], v[1:2]
	v_add_f64_e32 v[3:4], v[8:9], v[3:4]
	s_wait_loadcnt 0x0
	s_delay_alu instid0(VALU_DEP_2) | instskip(NEXT) | instid1(VALU_DEP_2)
	v_add_f64_e64 v[1:2], v[50:51], -v[1:2]
	v_add_f64_e64 v[3:4], v[52:53], -v[3:4]
	scratch_store_b128 off, v[1:4], off offset:112
	v_cmpx_lt_u32_e32 6, v37
	s_cbranch_execz .LBB75_73
; %bb.72:
	scratch_load_b128 v[1:4], off, s16
	v_mov_b32_e32 v6, 0
	s_delay_alu instid0(VALU_DEP_1)
	v_dual_mov_b32 v7, v6 :: v_dual_mov_b32 v8, v6
	v_mov_b32_e32 v9, v6
	scratch_store_b128 off, v[6:9], off offset:96
	s_wait_loadcnt 0x0
	ds_store_b128 v5, v[1:4]
.LBB75_73:
	s_wait_alu 0xfffe
	s_or_b32 exec_lo, exec_lo, s2
	s_wait_storecnt_dscnt 0x0
	s_barrier_signal -1
	s_barrier_wait -1
	global_inv scope:SCOPE_SE
	s_clause 0x5
	scratch_load_b128 v[6:9], off, off offset:112
	scratch_load_b128 v[38:41], off, off offset:128
	;; [unrolled: 1-line block ×6, first 2 shown]
	v_mov_b32_e32 v1, 0
	ds_load_b128 v[58:61], v1 offset:304
	ds_load_b128 v[62:65], v1 offset:320
	s_mov_b32 s2, exec_lo
	s_wait_loadcnt_dscnt 0x501
	v_mul_f64_e32 v[2:3], v[60:61], v[8:9]
	v_mul_f64_e32 v[8:9], v[58:59], v[8:9]
	s_wait_loadcnt_dscnt 0x400
	v_mul_f64_e32 v[10:11], v[62:63], v[40:41]
	v_mul_f64_e32 v[40:41], v[64:65], v[40:41]
	s_delay_alu instid0(VALU_DEP_4) | instskip(NEXT) | instid1(VALU_DEP_4)
	v_fma_f64 v[2:3], v[58:59], v[6:7], -v[2:3]
	v_fma_f64 v[66:67], v[60:61], v[6:7], v[8:9]
	ds_load_b128 v[6:9], v1 offset:336
	ds_load_b128 v[58:61], v1 offset:352
	v_fma_f64 v[10:11], v[64:65], v[38:39], v[10:11]
	v_fma_f64 v[38:39], v[62:63], v[38:39], -v[40:41]
	s_wait_loadcnt_dscnt 0x301
	v_mul_f64_e32 v[68:69], v[6:7], v[44:45]
	v_mul_f64_e32 v[44:45], v[8:9], v[44:45]
	s_wait_loadcnt_dscnt 0x200
	v_mul_f64_e32 v[62:63], v[58:59], v[48:49]
	v_mul_f64_e32 v[48:49], v[60:61], v[48:49]
	v_add_f64_e32 v[2:3], 0, v[2:3]
	v_add_f64_e32 v[40:41], 0, v[66:67]
	v_fma_f64 v[64:65], v[8:9], v[42:43], v[68:69]
	v_fma_f64 v[42:43], v[6:7], v[42:43], -v[44:45]
	ds_load_b128 v[6:9], v1 offset:368
	v_fma_f64 v[44:45], v[60:61], v[46:47], v[62:63]
	v_fma_f64 v[46:47], v[58:59], v[46:47], -v[48:49]
	v_add_f64_e32 v[2:3], v[2:3], v[38:39]
	v_add_f64_e32 v[10:11], v[40:41], v[10:11]
	s_wait_loadcnt_dscnt 0x100
	v_mul_f64_e32 v[38:39], v[6:7], v[52:53]
	v_mul_f64_e32 v[40:41], v[8:9], v[52:53]
	s_delay_alu instid0(VALU_DEP_4) | instskip(NEXT) | instid1(VALU_DEP_4)
	v_add_f64_e32 v[2:3], v[2:3], v[42:43]
	v_add_f64_e32 v[10:11], v[10:11], v[64:65]
	s_delay_alu instid0(VALU_DEP_4) | instskip(NEXT) | instid1(VALU_DEP_4)
	v_fma_f64 v[8:9], v[8:9], v[50:51], v[38:39]
	v_fma_f64 v[6:7], v[6:7], v[50:51], -v[40:41]
	s_delay_alu instid0(VALU_DEP_4) | instskip(NEXT) | instid1(VALU_DEP_4)
	v_add_f64_e32 v[2:3], v[2:3], v[46:47]
	v_add_f64_e32 v[10:11], v[10:11], v[44:45]
	s_delay_alu instid0(VALU_DEP_2) | instskip(NEXT) | instid1(VALU_DEP_2)
	v_add_f64_e32 v[2:3], v[2:3], v[6:7]
	v_add_f64_e32 v[8:9], v[10:11], v[8:9]
	s_wait_loadcnt 0x0
	s_delay_alu instid0(VALU_DEP_2) | instskip(NEXT) | instid1(VALU_DEP_2)
	v_add_f64_e64 v[6:7], v[54:55], -v[2:3]
	v_add_f64_e64 v[8:9], v[56:57], -v[8:9]
	scratch_store_b128 off, v[6:9], off offset:96
	v_cmpx_lt_u32_e32 5, v37
	s_cbranch_execz .LBB75_75
; %bb.74:
	scratch_load_b128 v[6:9], off, s4
	v_dual_mov_b32 v2, v1 :: v_dual_mov_b32 v3, v1
	v_mov_b32_e32 v4, v1
	scratch_store_b128 off, v[1:4], off offset:80
	s_wait_loadcnt 0x0
	ds_store_b128 v5, v[6:9]
.LBB75_75:
	s_wait_alu 0xfffe
	s_or_b32 exec_lo, exec_lo, s2
	s_wait_storecnt_dscnt 0x0
	s_barrier_signal -1
	s_barrier_wait -1
	global_inv scope:SCOPE_SE
	s_clause 0x5
	scratch_load_b128 v[6:9], off, off offset:96
	scratch_load_b128 v[38:41], off, off offset:112
	;; [unrolled: 1-line block ×6, first 2 shown]
	ds_load_b128 v[58:61], v1 offset:288
	ds_load_b128 v[66:69], v1 offset:304
	scratch_load_b128 v[62:65], off, off offset:80
	s_mov_b32 s2, exec_lo
	s_wait_loadcnt_dscnt 0x601
	v_mul_f64_e32 v[2:3], v[60:61], v[8:9]
	v_mul_f64_e32 v[8:9], v[58:59], v[8:9]
	s_wait_loadcnt_dscnt 0x500
	v_mul_f64_e32 v[10:11], v[66:67], v[40:41]
	v_mul_f64_e32 v[40:41], v[68:69], v[40:41]
	s_delay_alu instid0(VALU_DEP_4) | instskip(NEXT) | instid1(VALU_DEP_4)
	v_fma_f64 v[2:3], v[58:59], v[6:7], -v[2:3]
	v_fma_f64 v[70:71], v[60:61], v[6:7], v[8:9]
	ds_load_b128 v[6:9], v1 offset:320
	ds_load_b128 v[58:61], v1 offset:336
	v_fma_f64 v[10:11], v[68:69], v[38:39], v[10:11]
	v_fma_f64 v[38:39], v[66:67], v[38:39], -v[40:41]
	s_wait_loadcnt_dscnt 0x401
	v_mul_f64_e32 v[72:73], v[6:7], v[44:45]
	v_mul_f64_e32 v[44:45], v[8:9], v[44:45]
	s_wait_loadcnt_dscnt 0x300
	v_mul_f64_e32 v[66:67], v[58:59], v[48:49]
	v_mul_f64_e32 v[48:49], v[60:61], v[48:49]
	v_add_f64_e32 v[2:3], 0, v[2:3]
	v_add_f64_e32 v[40:41], 0, v[70:71]
	v_fma_f64 v[68:69], v[8:9], v[42:43], v[72:73]
	v_fma_f64 v[42:43], v[6:7], v[42:43], -v[44:45]
	s_delay_alu instid0(VALU_DEP_4) | instskip(NEXT) | instid1(VALU_DEP_4)
	v_add_f64_e32 v[38:39], v[2:3], v[38:39]
	v_add_f64_e32 v[10:11], v[40:41], v[10:11]
	ds_load_b128 v[6:9], v1 offset:352
	ds_load_b128 v[1:4], v1 offset:368
	s_wait_loadcnt_dscnt 0x201
	v_mul_f64_e32 v[40:41], v[6:7], v[52:53]
	v_mul_f64_e32 v[44:45], v[8:9], v[52:53]
	v_fma_f64 v[52:53], v[60:61], v[46:47], v[66:67]
	v_fma_f64 v[46:47], v[58:59], v[46:47], -v[48:49]
	s_wait_loadcnt_dscnt 0x100
	v_mul_f64_e32 v[48:49], v[3:4], v[56:57]
	v_add_f64_e32 v[38:39], v[38:39], v[42:43]
	v_add_f64_e32 v[10:11], v[10:11], v[68:69]
	v_mul_f64_e32 v[42:43], v[1:2], v[56:57]
	v_fma_f64 v[8:9], v[8:9], v[50:51], v[40:41]
	v_fma_f64 v[6:7], v[6:7], v[50:51], -v[44:45]
	v_fma_f64 v[1:2], v[1:2], v[54:55], -v[48:49]
	v_add_f64_e32 v[38:39], v[38:39], v[46:47]
	v_add_f64_e32 v[10:11], v[10:11], v[52:53]
	v_fma_f64 v[3:4], v[3:4], v[54:55], v[42:43]
	s_delay_alu instid0(VALU_DEP_3) | instskip(NEXT) | instid1(VALU_DEP_3)
	v_add_f64_e32 v[6:7], v[38:39], v[6:7]
	v_add_f64_e32 v[8:9], v[10:11], v[8:9]
	s_delay_alu instid0(VALU_DEP_2) | instskip(NEXT) | instid1(VALU_DEP_2)
	v_add_f64_e32 v[1:2], v[6:7], v[1:2]
	v_add_f64_e32 v[3:4], v[8:9], v[3:4]
	s_wait_loadcnt 0x0
	s_delay_alu instid0(VALU_DEP_2) | instskip(NEXT) | instid1(VALU_DEP_2)
	v_add_f64_e64 v[1:2], v[62:63], -v[1:2]
	v_add_f64_e64 v[3:4], v[64:65], -v[3:4]
	scratch_store_b128 off, v[1:4], off offset:80
	v_cmpx_lt_u32_e32 4, v37
	s_cbranch_execz .LBB75_77
; %bb.76:
	scratch_load_b128 v[1:4], off, s15
	v_mov_b32_e32 v6, 0
	s_delay_alu instid0(VALU_DEP_1)
	v_dual_mov_b32 v7, v6 :: v_dual_mov_b32 v8, v6
	v_mov_b32_e32 v9, v6
	scratch_store_b128 off, v[6:9], off offset:64
	s_wait_loadcnt 0x0
	ds_store_b128 v5, v[1:4]
.LBB75_77:
	s_wait_alu 0xfffe
	s_or_b32 exec_lo, exec_lo, s2
	s_wait_storecnt_dscnt 0x0
	s_barrier_signal -1
	s_barrier_wait -1
	global_inv scope:SCOPE_SE
	s_clause 0x6
	scratch_load_b128 v[6:9], off, off offset:80
	scratch_load_b128 v[38:41], off, off offset:96
	;; [unrolled: 1-line block ×7, first 2 shown]
	v_mov_b32_e32 v1, 0
	scratch_load_b128 v[66:69], off, off offset:64
	s_mov_b32 s2, exec_lo
	ds_load_b128 v[62:65], v1 offset:272
	ds_load_b128 v[70:73], v1 offset:288
	s_wait_loadcnt_dscnt 0x701
	v_mul_f64_e32 v[2:3], v[64:65], v[8:9]
	v_mul_f64_e32 v[8:9], v[62:63], v[8:9]
	s_wait_loadcnt_dscnt 0x600
	v_mul_f64_e32 v[10:11], v[70:71], v[40:41]
	v_mul_f64_e32 v[40:41], v[72:73], v[40:41]
	s_delay_alu instid0(VALU_DEP_4) | instskip(NEXT) | instid1(VALU_DEP_4)
	v_fma_f64 v[2:3], v[62:63], v[6:7], -v[2:3]
	v_fma_f64 v[74:75], v[64:65], v[6:7], v[8:9]
	ds_load_b128 v[6:9], v1 offset:304
	ds_load_b128 v[62:65], v1 offset:320
	v_fma_f64 v[10:11], v[72:73], v[38:39], v[10:11]
	v_fma_f64 v[38:39], v[70:71], v[38:39], -v[40:41]
	s_wait_loadcnt_dscnt 0x501
	v_mul_f64_e32 v[76:77], v[6:7], v[44:45]
	v_mul_f64_e32 v[44:45], v[8:9], v[44:45]
	s_wait_loadcnt_dscnt 0x400
	v_mul_f64_e32 v[70:71], v[62:63], v[48:49]
	v_mul_f64_e32 v[48:49], v[64:65], v[48:49]
	v_add_f64_e32 v[2:3], 0, v[2:3]
	v_add_f64_e32 v[40:41], 0, v[74:75]
	v_fma_f64 v[72:73], v[8:9], v[42:43], v[76:77]
	v_fma_f64 v[42:43], v[6:7], v[42:43], -v[44:45]
	v_fma_f64 v[64:65], v[64:65], v[46:47], v[70:71]
	v_fma_f64 v[46:47], v[62:63], v[46:47], -v[48:49]
	v_add_f64_e32 v[2:3], v[2:3], v[38:39]
	v_add_f64_e32 v[10:11], v[40:41], v[10:11]
	ds_load_b128 v[6:9], v1 offset:336
	ds_load_b128 v[38:41], v1 offset:352
	s_wait_loadcnt_dscnt 0x301
	v_mul_f64_e32 v[44:45], v[6:7], v[52:53]
	v_mul_f64_e32 v[52:53], v[8:9], v[52:53]
	s_wait_loadcnt_dscnt 0x200
	v_mul_f64_e32 v[48:49], v[40:41], v[56:57]
	v_add_f64_e32 v[2:3], v[2:3], v[42:43]
	v_add_f64_e32 v[10:11], v[10:11], v[72:73]
	v_mul_f64_e32 v[42:43], v[38:39], v[56:57]
	v_fma_f64 v[44:45], v[8:9], v[50:51], v[44:45]
	v_fma_f64 v[50:51], v[6:7], v[50:51], -v[52:53]
	ds_load_b128 v[6:9], v1 offset:368
	v_fma_f64 v[38:39], v[38:39], v[54:55], -v[48:49]
	v_add_f64_e32 v[2:3], v[2:3], v[46:47]
	v_add_f64_e32 v[10:11], v[10:11], v[64:65]
	v_fma_f64 v[40:41], v[40:41], v[54:55], v[42:43]
	s_wait_loadcnt_dscnt 0x100
	v_mul_f64_e32 v[46:47], v[6:7], v[60:61]
	v_mul_f64_e32 v[52:53], v[8:9], v[60:61]
	v_add_f64_e32 v[2:3], v[2:3], v[50:51]
	v_add_f64_e32 v[10:11], v[10:11], v[44:45]
	s_delay_alu instid0(VALU_DEP_4) | instskip(NEXT) | instid1(VALU_DEP_4)
	v_fma_f64 v[8:9], v[8:9], v[58:59], v[46:47]
	v_fma_f64 v[6:7], v[6:7], v[58:59], -v[52:53]
	s_delay_alu instid0(VALU_DEP_4) | instskip(NEXT) | instid1(VALU_DEP_4)
	v_add_f64_e32 v[2:3], v[2:3], v[38:39]
	v_add_f64_e32 v[10:11], v[10:11], v[40:41]
	s_delay_alu instid0(VALU_DEP_2) | instskip(NEXT) | instid1(VALU_DEP_2)
	v_add_f64_e32 v[2:3], v[2:3], v[6:7]
	v_add_f64_e32 v[8:9], v[10:11], v[8:9]
	s_wait_loadcnt 0x0
	s_delay_alu instid0(VALU_DEP_2) | instskip(NEXT) | instid1(VALU_DEP_2)
	v_add_f64_e64 v[6:7], v[66:67], -v[2:3]
	v_add_f64_e64 v[8:9], v[68:69], -v[8:9]
	scratch_store_b128 off, v[6:9], off offset:64
	v_cmpx_lt_u32_e32 3, v37
	s_cbranch_execz .LBB75_79
; %bb.78:
	scratch_load_b128 v[6:9], off, s14
	v_dual_mov_b32 v2, v1 :: v_dual_mov_b32 v3, v1
	v_mov_b32_e32 v4, v1
	scratch_store_b128 off, v[1:4], off offset:48
	s_wait_loadcnt 0x0
	ds_store_b128 v5, v[6:9]
.LBB75_79:
	s_wait_alu 0xfffe
	s_or_b32 exec_lo, exec_lo, s2
	s_wait_storecnt_dscnt 0x0
	s_barrier_signal -1
	s_barrier_wait -1
	global_inv scope:SCOPE_SE
	s_clause 0x7
	scratch_load_b128 v[6:9], off, off offset:64
	scratch_load_b128 v[38:41], off, off offset:80
	;; [unrolled: 1-line block ×8, first 2 shown]
	ds_load_b128 v[66:69], v1 offset:256
	ds_load_b128 v[70:73], v1 offset:272
	scratch_load_b128 v[74:77], off, off offset:48
	s_mov_b32 s2, exec_lo
	s_wait_loadcnt_dscnt 0x801
	v_mul_f64_e32 v[2:3], v[68:69], v[8:9]
	v_mul_f64_e32 v[8:9], v[66:67], v[8:9]
	s_wait_loadcnt_dscnt 0x700
	v_mul_f64_e32 v[10:11], v[70:71], v[40:41]
	v_mul_f64_e32 v[40:41], v[72:73], v[40:41]
	s_delay_alu instid0(VALU_DEP_4) | instskip(NEXT) | instid1(VALU_DEP_4)
	v_fma_f64 v[2:3], v[66:67], v[6:7], -v[2:3]
	v_fma_f64 v[78:79], v[68:69], v[6:7], v[8:9]
	ds_load_b128 v[6:9], v1 offset:288
	ds_load_b128 v[66:69], v1 offset:304
	v_fma_f64 v[10:11], v[72:73], v[38:39], v[10:11]
	v_fma_f64 v[38:39], v[70:71], v[38:39], -v[40:41]
	s_wait_loadcnt_dscnt 0x601
	v_mul_f64_e32 v[80:81], v[6:7], v[44:45]
	v_mul_f64_e32 v[44:45], v[8:9], v[44:45]
	s_wait_loadcnt_dscnt 0x500
	v_mul_f64_e32 v[70:71], v[66:67], v[48:49]
	v_mul_f64_e32 v[48:49], v[68:69], v[48:49]
	v_add_f64_e32 v[2:3], 0, v[2:3]
	v_add_f64_e32 v[40:41], 0, v[78:79]
	v_fma_f64 v[72:73], v[8:9], v[42:43], v[80:81]
	v_fma_f64 v[42:43], v[6:7], v[42:43], -v[44:45]
	v_fma_f64 v[68:69], v[68:69], v[46:47], v[70:71]
	v_fma_f64 v[46:47], v[66:67], v[46:47], -v[48:49]
	v_add_f64_e32 v[2:3], v[2:3], v[38:39]
	v_add_f64_e32 v[10:11], v[40:41], v[10:11]
	ds_load_b128 v[6:9], v1 offset:320
	ds_load_b128 v[38:41], v1 offset:336
	s_wait_loadcnt_dscnt 0x401
	v_mul_f64_e32 v[44:45], v[6:7], v[52:53]
	v_mul_f64_e32 v[52:53], v[8:9], v[52:53]
	s_wait_loadcnt_dscnt 0x300
	v_mul_f64_e32 v[48:49], v[40:41], v[56:57]
	v_add_f64_e32 v[2:3], v[2:3], v[42:43]
	v_add_f64_e32 v[10:11], v[10:11], v[72:73]
	v_mul_f64_e32 v[42:43], v[38:39], v[56:57]
	v_fma_f64 v[44:45], v[8:9], v[50:51], v[44:45]
	v_fma_f64 v[50:51], v[6:7], v[50:51], -v[52:53]
	v_fma_f64 v[38:39], v[38:39], v[54:55], -v[48:49]
	v_add_f64_e32 v[46:47], v[2:3], v[46:47]
	v_add_f64_e32 v[10:11], v[10:11], v[68:69]
	ds_load_b128 v[6:9], v1 offset:352
	ds_load_b128 v[1:4], v1 offset:368
	v_fma_f64 v[40:41], v[40:41], v[54:55], v[42:43]
	s_wait_loadcnt_dscnt 0x201
	v_mul_f64_e32 v[52:53], v[6:7], v[60:61]
	v_mul_f64_e32 v[56:57], v[8:9], v[60:61]
	v_add_f64_e32 v[42:43], v[46:47], v[50:51]
	v_add_f64_e32 v[10:11], v[10:11], v[44:45]
	s_wait_loadcnt_dscnt 0x100
	v_mul_f64_e32 v[44:45], v[1:2], v[64:65]
	v_mul_f64_e32 v[46:47], v[3:4], v[64:65]
	v_fma_f64 v[8:9], v[8:9], v[58:59], v[52:53]
	v_fma_f64 v[6:7], v[6:7], v[58:59], -v[56:57]
	v_add_f64_e32 v[38:39], v[42:43], v[38:39]
	v_add_f64_e32 v[10:11], v[10:11], v[40:41]
	v_fma_f64 v[3:4], v[3:4], v[62:63], v[44:45]
	v_fma_f64 v[1:2], v[1:2], v[62:63], -v[46:47]
	s_delay_alu instid0(VALU_DEP_4) | instskip(NEXT) | instid1(VALU_DEP_4)
	v_add_f64_e32 v[6:7], v[38:39], v[6:7]
	v_add_f64_e32 v[8:9], v[10:11], v[8:9]
	s_delay_alu instid0(VALU_DEP_2) | instskip(NEXT) | instid1(VALU_DEP_2)
	v_add_f64_e32 v[1:2], v[6:7], v[1:2]
	v_add_f64_e32 v[3:4], v[8:9], v[3:4]
	s_wait_loadcnt 0x0
	s_delay_alu instid0(VALU_DEP_2) | instskip(NEXT) | instid1(VALU_DEP_2)
	v_add_f64_e64 v[1:2], v[74:75], -v[1:2]
	v_add_f64_e64 v[3:4], v[76:77], -v[3:4]
	scratch_store_b128 off, v[1:4], off offset:48
	v_cmpx_lt_u32_e32 2, v37
	s_cbranch_execz .LBB75_81
; %bb.80:
	scratch_load_b128 v[1:4], off, s19
	v_mov_b32_e32 v6, 0
	s_delay_alu instid0(VALU_DEP_1)
	v_dual_mov_b32 v7, v6 :: v_dual_mov_b32 v8, v6
	v_mov_b32_e32 v9, v6
	scratch_store_b128 off, v[6:9], off offset:32
	s_wait_loadcnt 0x0
	ds_store_b128 v5, v[1:4]
.LBB75_81:
	s_wait_alu 0xfffe
	s_or_b32 exec_lo, exec_lo, s2
	s_wait_storecnt_dscnt 0x0
	s_barrier_signal -1
	s_barrier_wait -1
	global_inv scope:SCOPE_SE
	s_clause 0x7
	scratch_load_b128 v[6:9], off, off offset:48
	scratch_load_b128 v[38:41], off, off offset:64
	;; [unrolled: 1-line block ×8, first 2 shown]
	v_mov_b32_e32 v1, 0
	s_mov_b32 s2, exec_lo
	ds_load_b128 v[66:69], v1 offset:240
	s_clause 0x1
	scratch_load_b128 v[70:73], off, off offset:176
	scratch_load_b128 v[74:77], off, off offset:32
	ds_load_b128 v[78:81], v1 offset:256
	s_wait_loadcnt_dscnt 0x901
	v_mul_f64_e32 v[2:3], v[68:69], v[8:9]
	v_mul_f64_e32 v[8:9], v[66:67], v[8:9]
	s_wait_loadcnt_dscnt 0x800
	v_mul_f64_e32 v[10:11], v[78:79], v[40:41]
	v_mul_f64_e32 v[40:41], v[80:81], v[40:41]
	s_delay_alu instid0(VALU_DEP_4) | instskip(NEXT) | instid1(VALU_DEP_4)
	v_fma_f64 v[2:3], v[66:67], v[6:7], -v[2:3]
	v_fma_f64 v[82:83], v[68:69], v[6:7], v[8:9]
	ds_load_b128 v[6:9], v1 offset:272
	ds_load_b128 v[66:69], v1 offset:288
	v_fma_f64 v[10:11], v[80:81], v[38:39], v[10:11]
	v_fma_f64 v[38:39], v[78:79], v[38:39], -v[40:41]
	s_wait_loadcnt_dscnt 0x701
	v_mul_f64_e32 v[84:85], v[6:7], v[44:45]
	v_mul_f64_e32 v[44:45], v[8:9], v[44:45]
	s_wait_loadcnt_dscnt 0x600
	v_mul_f64_e32 v[78:79], v[66:67], v[48:49]
	v_mul_f64_e32 v[48:49], v[68:69], v[48:49]
	v_add_f64_e32 v[2:3], 0, v[2:3]
	v_add_f64_e32 v[40:41], 0, v[82:83]
	v_fma_f64 v[80:81], v[8:9], v[42:43], v[84:85]
	v_fma_f64 v[42:43], v[6:7], v[42:43], -v[44:45]
	v_fma_f64 v[68:69], v[68:69], v[46:47], v[78:79]
	v_fma_f64 v[46:47], v[66:67], v[46:47], -v[48:49]
	v_add_f64_e32 v[2:3], v[2:3], v[38:39]
	v_add_f64_e32 v[10:11], v[40:41], v[10:11]
	ds_load_b128 v[6:9], v1 offset:304
	ds_load_b128 v[38:41], v1 offset:320
	s_wait_loadcnt_dscnt 0x501
	v_mul_f64_e32 v[44:45], v[6:7], v[52:53]
	v_mul_f64_e32 v[52:53], v[8:9], v[52:53]
	s_wait_loadcnt_dscnt 0x400
	v_mul_f64_e32 v[48:49], v[38:39], v[56:57]
	v_mul_f64_e32 v[56:57], v[40:41], v[56:57]
	v_add_f64_e32 v[2:3], v[2:3], v[42:43]
	v_add_f64_e32 v[10:11], v[10:11], v[80:81]
	v_fma_f64 v[66:67], v[8:9], v[50:51], v[44:45]
	v_fma_f64 v[50:51], v[6:7], v[50:51], -v[52:53]
	ds_load_b128 v[6:9], v1 offset:336
	ds_load_b128 v[42:45], v1 offset:352
	v_fma_f64 v[40:41], v[40:41], v[54:55], v[48:49]
	v_fma_f64 v[38:39], v[38:39], v[54:55], -v[56:57]
	v_add_f64_e32 v[2:3], v[2:3], v[46:47]
	v_add_f64_e32 v[10:11], v[10:11], v[68:69]
	s_wait_loadcnt_dscnt 0x301
	v_mul_f64_e32 v[46:47], v[6:7], v[60:61]
	v_mul_f64_e32 v[52:53], v[8:9], v[60:61]
	s_wait_loadcnt_dscnt 0x200
	v_mul_f64_e32 v[48:49], v[42:43], v[64:65]
	v_add_f64_e32 v[2:3], v[2:3], v[50:51]
	v_add_f64_e32 v[10:11], v[10:11], v[66:67]
	v_mul_f64_e32 v[50:51], v[44:45], v[64:65]
	v_fma_f64 v[46:47], v[8:9], v[58:59], v[46:47]
	v_fma_f64 v[52:53], v[6:7], v[58:59], -v[52:53]
	ds_load_b128 v[6:9], v1 offset:368
	v_fma_f64 v[44:45], v[44:45], v[62:63], v[48:49]
	v_add_f64_e32 v[2:3], v[2:3], v[38:39]
	v_add_f64_e32 v[10:11], v[10:11], v[40:41]
	s_wait_loadcnt_dscnt 0x100
	v_mul_f64_e32 v[38:39], v[6:7], v[72:73]
	v_mul_f64_e32 v[40:41], v[8:9], v[72:73]
	v_fma_f64 v[42:43], v[42:43], v[62:63], -v[50:51]
	v_add_f64_e32 v[2:3], v[2:3], v[52:53]
	v_add_f64_e32 v[10:11], v[10:11], v[46:47]
	v_fma_f64 v[8:9], v[8:9], v[70:71], v[38:39]
	v_fma_f64 v[6:7], v[6:7], v[70:71], -v[40:41]
	s_delay_alu instid0(VALU_DEP_4) | instskip(NEXT) | instid1(VALU_DEP_4)
	v_add_f64_e32 v[2:3], v[2:3], v[42:43]
	v_add_f64_e32 v[10:11], v[10:11], v[44:45]
	s_delay_alu instid0(VALU_DEP_2) | instskip(NEXT) | instid1(VALU_DEP_2)
	v_add_f64_e32 v[2:3], v[2:3], v[6:7]
	v_add_f64_e32 v[8:9], v[10:11], v[8:9]
	s_wait_loadcnt 0x0
	s_delay_alu instid0(VALU_DEP_2) | instskip(NEXT) | instid1(VALU_DEP_2)
	v_add_f64_e64 v[6:7], v[74:75], -v[2:3]
	v_add_f64_e64 v[8:9], v[76:77], -v[8:9]
	scratch_store_b128 off, v[6:9], off offset:32
	v_cmpx_lt_u32_e32 1, v37
	s_cbranch_execz .LBB75_83
; %bb.82:
	scratch_load_b128 v[6:9], off, s21
	v_dual_mov_b32 v2, v1 :: v_dual_mov_b32 v3, v1
	v_mov_b32_e32 v4, v1
	scratch_store_b128 off, v[1:4], off offset:16
	s_wait_loadcnt 0x0
	ds_store_b128 v5, v[6:9]
.LBB75_83:
	s_wait_alu 0xfffe
	s_or_b32 exec_lo, exec_lo, s2
	s_wait_storecnt_dscnt 0x0
	s_barrier_signal -1
	s_barrier_wait -1
	global_inv scope:SCOPE_SE
	s_clause 0x8
	scratch_load_b128 v[6:9], off, off offset:32
	scratch_load_b128 v[38:41], off, off offset:48
	;; [unrolled: 1-line block ×9, first 2 shown]
	ds_load_b128 v[70:73], v1 offset:224
	ds_load_b128 v[74:77], v1 offset:240
	scratch_load_b128 v[78:81], off, off offset:16
	s_mov_b32 s2, exec_lo
	s_wait_loadcnt_dscnt 0x901
	v_mul_f64_e32 v[2:3], v[72:73], v[8:9]
	v_mul_f64_e32 v[82:83], v[70:71], v[8:9]
	scratch_load_b128 v[8:11], off, off offset:176
	s_wait_loadcnt_dscnt 0x900
	v_mul_f64_e32 v[86:87], v[74:75], v[40:41]
	v_mul_f64_e32 v[40:41], v[76:77], v[40:41]
	v_fma_f64 v[2:3], v[70:71], v[6:7], -v[2:3]
	v_fma_f64 v[6:7], v[72:73], v[6:7], v[82:83]
	ds_load_b128 v[70:73], v1 offset:256
	ds_load_b128 v[82:85], v1 offset:272
	v_fma_f64 v[76:77], v[76:77], v[38:39], v[86:87]
	v_fma_f64 v[38:39], v[74:75], v[38:39], -v[40:41]
	s_wait_loadcnt_dscnt 0x801
	v_mul_f64_e32 v[88:89], v[70:71], v[44:45]
	v_mul_f64_e32 v[44:45], v[72:73], v[44:45]
	s_wait_loadcnt_dscnt 0x700
	v_mul_f64_e32 v[74:75], v[82:83], v[48:49]
	v_mul_f64_e32 v[48:49], v[84:85], v[48:49]
	v_add_f64_e32 v[2:3], 0, v[2:3]
	v_add_f64_e32 v[6:7], 0, v[6:7]
	v_fma_f64 v[72:73], v[72:73], v[42:43], v[88:89]
	v_fma_f64 v[70:71], v[70:71], v[42:43], -v[44:45]
	v_fma_f64 v[74:75], v[84:85], v[46:47], v[74:75]
	v_fma_f64 v[46:47], v[82:83], v[46:47], -v[48:49]
	v_add_f64_e32 v[2:3], v[2:3], v[38:39]
	v_add_f64_e32 v[6:7], v[6:7], v[76:77]
	ds_load_b128 v[38:41], v1 offset:288
	ds_load_b128 v[42:45], v1 offset:304
	s_wait_loadcnt_dscnt 0x601
	v_mul_f64_e32 v[76:77], v[38:39], v[52:53]
	v_mul_f64_e32 v[52:53], v[40:41], v[52:53]
	v_add_f64_e32 v[2:3], v[2:3], v[70:71]
	v_add_f64_e32 v[6:7], v[6:7], v[72:73]
	s_wait_loadcnt_dscnt 0x500
	v_mul_f64_e32 v[70:71], v[42:43], v[56:57]
	v_mul_f64_e32 v[56:57], v[44:45], v[56:57]
	v_fma_f64 v[72:73], v[40:41], v[50:51], v[76:77]
	v_fma_f64 v[50:51], v[38:39], v[50:51], -v[52:53]
	v_add_f64_e32 v[2:3], v[2:3], v[46:47]
	v_add_f64_e32 v[6:7], v[6:7], v[74:75]
	ds_load_b128 v[38:41], v1 offset:320
	ds_load_b128 v[46:49], v1 offset:336
	v_fma_f64 v[44:45], v[44:45], v[54:55], v[70:71]
	v_fma_f64 v[42:43], v[42:43], v[54:55], -v[56:57]
	s_wait_loadcnt_dscnt 0x401
	v_mul_f64_e32 v[52:53], v[38:39], v[60:61]
	v_mul_f64_e32 v[60:61], v[40:41], v[60:61]
	s_wait_loadcnt_dscnt 0x300
	v_mul_f64_e32 v[54:55], v[48:49], v[64:65]
	v_add_f64_e32 v[2:3], v[2:3], v[50:51]
	v_add_f64_e32 v[6:7], v[6:7], v[72:73]
	v_mul_f64_e32 v[50:51], v[46:47], v[64:65]
	v_fma_f64 v[52:53], v[40:41], v[58:59], v[52:53]
	v_fma_f64 v[56:57], v[38:39], v[58:59], -v[60:61]
	v_fma_f64 v[46:47], v[46:47], v[62:63], -v[54:55]
	v_add_f64_e32 v[42:43], v[2:3], v[42:43]
	v_add_f64_e32 v[6:7], v[6:7], v[44:45]
	ds_load_b128 v[38:41], v1 offset:352
	ds_load_b128 v[1:4], v1 offset:368
	v_fma_f64 v[48:49], v[48:49], v[62:63], v[50:51]
	s_wait_loadcnt_dscnt 0x201
	v_mul_f64_e32 v[44:45], v[38:39], v[68:69]
	v_mul_f64_e32 v[58:59], v[40:41], v[68:69]
	v_add_f64_e32 v[42:43], v[42:43], v[56:57]
	v_add_f64_e32 v[6:7], v[6:7], v[52:53]
	s_wait_loadcnt_dscnt 0x0
	v_mul_f64_e32 v[50:51], v[1:2], v[10:11]
	v_mul_f64_e32 v[10:11], v[3:4], v[10:11]
	v_fma_f64 v[40:41], v[40:41], v[66:67], v[44:45]
	v_fma_f64 v[38:39], v[38:39], v[66:67], -v[58:59]
	v_add_f64_e32 v[42:43], v[42:43], v[46:47]
	v_add_f64_e32 v[6:7], v[6:7], v[48:49]
	v_fma_f64 v[3:4], v[3:4], v[8:9], v[50:51]
	v_fma_f64 v[1:2], v[1:2], v[8:9], -v[10:11]
	s_delay_alu instid0(VALU_DEP_4) | instskip(NEXT) | instid1(VALU_DEP_4)
	v_add_f64_e32 v[8:9], v[42:43], v[38:39]
	v_add_f64_e32 v[6:7], v[6:7], v[40:41]
	s_delay_alu instid0(VALU_DEP_2) | instskip(NEXT) | instid1(VALU_DEP_2)
	v_add_f64_e32 v[1:2], v[8:9], v[1:2]
	v_add_f64_e32 v[3:4], v[6:7], v[3:4]
	s_delay_alu instid0(VALU_DEP_2) | instskip(NEXT) | instid1(VALU_DEP_2)
	v_add_f64_e64 v[1:2], v[78:79], -v[1:2]
	v_add_f64_e64 v[3:4], v[80:81], -v[3:4]
	scratch_store_b128 off, v[1:4], off offset:16
	v_cmpx_ne_u32_e32 0, v37
	s_cbranch_execz .LBB75_85
; %bb.84:
	scratch_load_b128 v[1:4], off, off
	v_mov_b32_e32 v6, 0
	s_delay_alu instid0(VALU_DEP_1)
	v_dual_mov_b32 v7, v6 :: v_dual_mov_b32 v8, v6
	v_mov_b32_e32 v9, v6
	scratch_store_b128 off, v[6:9], off
	s_wait_loadcnt 0x0
	ds_store_b128 v5, v[1:4]
.LBB75_85:
	s_wait_alu 0xfffe
	s_or_b32 exec_lo, exec_lo, s2
	s_wait_storecnt_dscnt 0x0
	s_barrier_signal -1
	s_barrier_wait -1
	global_inv scope:SCOPE_SE
	s_clause 0x7
	scratch_load_b128 v[2:5], off, off offset:16
	scratch_load_b128 v[6:9], off, off offset:32
	;; [unrolled: 1-line block ×8, first 2 shown]
	v_mov_b32_e32 v1, 0
	s_and_b32 vcc_lo, exec_lo, s20
	ds_load_b128 v[62:65], v1 offset:208
	s_clause 0x1
	scratch_load_b128 v[66:69], off, off offset:144
	scratch_load_b128 v[70:73], off, off
	ds_load_b128 v[74:77], v1 offset:224
	scratch_load_b128 v[78:81], off, off offset:160
	s_wait_loadcnt_dscnt 0xa01
	v_mul_f64_e32 v[10:11], v[64:65], v[4:5]
	v_mul_f64_e32 v[4:5], v[62:63], v[4:5]
	s_delay_alu instid0(VALU_DEP_2) | instskip(NEXT) | instid1(VALU_DEP_2)
	v_fma_f64 v[86:87], v[62:63], v[2:3], -v[10:11]
	v_fma_f64 v[88:89], v[64:65], v[2:3], v[4:5]
	ds_load_b128 v[2:5], v1 offset:240
	s_wait_loadcnt_dscnt 0x901
	v_mul_f64_e32 v[82:83], v[74:75], v[8:9]
	v_mul_f64_e32 v[84:85], v[76:77], v[8:9]
	scratch_load_b128 v[8:11], off, off offset:176
	ds_load_b128 v[62:65], v1 offset:256
	s_wait_loadcnt_dscnt 0x901
	v_mul_f64_e32 v[90:91], v[2:3], v[40:41]
	v_mul_f64_e32 v[40:41], v[4:5], v[40:41]
	v_fma_f64 v[76:77], v[76:77], v[6:7], v[82:83]
	v_fma_f64 v[6:7], v[74:75], v[6:7], -v[84:85]
	v_add_f64_e32 v[74:75], 0, v[86:87]
	v_add_f64_e32 v[82:83], 0, v[88:89]
	s_wait_loadcnt_dscnt 0x800
	v_mul_f64_e32 v[84:85], v[62:63], v[44:45]
	v_mul_f64_e32 v[44:45], v[64:65], v[44:45]
	v_fma_f64 v[86:87], v[4:5], v[38:39], v[90:91]
	v_fma_f64 v[88:89], v[2:3], v[38:39], -v[40:41]
	ds_load_b128 v[2:5], v1 offset:272
	ds_load_b128 v[38:41], v1 offset:288
	v_add_f64_e32 v[6:7], v[74:75], v[6:7]
	v_add_f64_e32 v[74:75], v[82:83], v[76:77]
	s_wait_loadcnt_dscnt 0x701
	v_mul_f64_e32 v[76:77], v[2:3], v[48:49]
	v_mul_f64_e32 v[48:49], v[4:5], v[48:49]
	v_fma_f64 v[64:65], v[64:65], v[42:43], v[84:85]
	v_fma_f64 v[42:43], v[62:63], v[42:43], -v[44:45]
	s_wait_loadcnt_dscnt 0x600
	v_mul_f64_e32 v[62:63], v[38:39], v[52:53]
	v_mul_f64_e32 v[52:53], v[40:41], v[52:53]
	v_add_f64_e32 v[6:7], v[6:7], v[88:89]
	v_add_f64_e32 v[44:45], v[74:75], v[86:87]
	v_fma_f64 v[74:75], v[4:5], v[46:47], v[76:77]
	v_fma_f64 v[46:47], v[2:3], v[46:47], -v[48:49]
	v_fma_f64 v[40:41], v[40:41], v[50:51], v[62:63]
	v_fma_f64 v[38:39], v[38:39], v[50:51], -v[52:53]
	v_add_f64_e32 v[6:7], v[6:7], v[42:43]
	v_add_f64_e32 v[48:49], v[44:45], v[64:65]
	ds_load_b128 v[2:5], v1 offset:304
	ds_load_b128 v[42:45], v1 offset:320
	s_wait_loadcnt_dscnt 0x501
	v_mul_f64_e32 v[64:65], v[2:3], v[56:57]
	v_mul_f64_e32 v[56:57], v[4:5], v[56:57]
	s_wait_loadcnt_dscnt 0x400
	v_mul_f64_e32 v[50:51], v[44:45], v[60:61]
	v_add_f64_e32 v[6:7], v[6:7], v[46:47]
	v_add_f64_e32 v[46:47], v[48:49], v[74:75]
	v_mul_f64_e32 v[48:49], v[42:43], v[60:61]
	v_fma_f64 v[52:53], v[4:5], v[54:55], v[64:65]
	v_fma_f64 v[54:55], v[2:3], v[54:55], -v[56:57]
	v_fma_f64 v[42:43], v[42:43], v[58:59], -v[50:51]
	v_add_f64_e32 v[6:7], v[6:7], v[38:39]
	v_add_f64_e32 v[46:47], v[46:47], v[40:41]
	ds_load_b128 v[2:5], v1 offset:336
	ds_load_b128 v[38:41], v1 offset:352
	v_fma_f64 v[44:45], v[44:45], v[58:59], v[48:49]
	s_wait_loadcnt_dscnt 0x301
	v_mul_f64_e32 v[56:57], v[2:3], v[68:69]
	v_mul_f64_e32 v[60:61], v[4:5], v[68:69]
	s_wait_loadcnt_dscnt 0x100
	v_mul_f64_e32 v[48:49], v[38:39], v[80:81]
	v_mul_f64_e32 v[50:51], v[40:41], v[80:81]
	v_add_f64_e32 v[6:7], v[6:7], v[54:55]
	v_add_f64_e32 v[46:47], v[46:47], v[52:53]
	v_fma_f64 v[52:53], v[4:5], v[66:67], v[56:57]
	v_fma_f64 v[54:55], v[2:3], v[66:67], -v[60:61]
	ds_load_b128 v[2:5], v1 offset:368
	v_fma_f64 v[40:41], v[40:41], v[78:79], v[48:49]
	v_fma_f64 v[38:39], v[38:39], v[78:79], -v[50:51]
	v_add_f64_e32 v[6:7], v[6:7], v[42:43]
	v_add_f64_e32 v[42:43], v[46:47], v[44:45]
	s_wait_loadcnt_dscnt 0x0
	v_mul_f64_e32 v[44:45], v[2:3], v[10:11]
	v_mul_f64_e32 v[10:11], v[4:5], v[10:11]
	s_delay_alu instid0(VALU_DEP_4) | instskip(NEXT) | instid1(VALU_DEP_4)
	v_add_f64_e32 v[6:7], v[6:7], v[54:55]
	v_add_f64_e32 v[42:43], v[42:43], v[52:53]
	s_delay_alu instid0(VALU_DEP_4) | instskip(NEXT) | instid1(VALU_DEP_4)
	v_fma_f64 v[4:5], v[4:5], v[8:9], v[44:45]
	v_fma_f64 v[2:3], v[2:3], v[8:9], -v[10:11]
	s_delay_alu instid0(VALU_DEP_4) | instskip(NEXT) | instid1(VALU_DEP_4)
	v_add_f64_e32 v[6:7], v[6:7], v[38:39]
	v_add_f64_e32 v[8:9], v[42:43], v[40:41]
	s_delay_alu instid0(VALU_DEP_2) | instskip(NEXT) | instid1(VALU_DEP_2)
	v_add_f64_e32 v[2:3], v[6:7], v[2:3]
	v_add_f64_e32 v[4:5], v[8:9], v[4:5]
	s_delay_alu instid0(VALU_DEP_2) | instskip(NEXT) | instid1(VALU_DEP_2)
	v_add_f64_e64 v[2:3], v[70:71], -v[2:3]
	v_add_f64_e64 v[4:5], v[72:73], -v[4:5]
	scratch_store_b128 off, v[2:5], off
	s_wait_alu 0xfffe
	s_cbranch_vccz .LBB75_108
; %bb.86:
	global_load_b32 v1, v1, s[8:9] offset:40
	s_load_b64 s[0:1], s[0:1], 0x4
	v_bfe_u32 v2, v0, 10, 10
	v_bfe_u32 v0, v0, 20, 10
	s_wait_kmcnt 0x0
	s_lshr_b32 s0, s0, 16
	s_delay_alu instid0(VALU_DEP_2) | instskip(SKIP_3) | instid1(VALU_DEP_1)
	v_mul_u32_u24_e32 v2, s1, v2
	s_mul_i32 s0, s0, s1
	s_wait_alu 0xfffe
	v_mul_u32_u24_e32 v3, s0, v37
	v_add3_u32 v0, v3, v2, v0
	s_delay_alu instid0(VALU_DEP_1)
	v_lshl_add_u32 v0, v0, 4, 0x188
	s_wait_loadcnt 0x0
	v_cmp_ne_u32_e32 vcc_lo, 11, v1
	s_cbranch_vccz .LBB75_88
; %bb.87:
	v_lshlrev_b32_e32 v1, 4, v1
	s_delay_alu instid0(VALU_DEP_1)
	v_mov_b32_e32 v9, v1
	s_clause 0x1
	scratch_load_b128 v[1:4], off, s18
	scratch_load_b128 v[5:8], v9, off offset:-16
	s_wait_loadcnt 0x1
	ds_store_2addr_b64 v0, v[1:2], v[3:4] offset1:1
	s_wait_loadcnt 0x0
	s_clause 0x1
	scratch_store_b128 off, v[5:8], s18
	scratch_store_b128 v9, v[1:4], off offset:-16
.LBB75_88:
	v_mov_b32_e32 v1, 0
	global_load_b32 v2, v1, s[8:9] offset:36
	s_wait_loadcnt 0x0
	v_cmp_eq_u32_e32 vcc_lo, 10, v2
	s_cbranch_vccnz .LBB75_90
; %bb.89:
	v_lshlrev_b32_e32 v2, 4, v2
	s_delay_alu instid0(VALU_DEP_1)
	v_mov_b32_e32 v10, v2
	s_clause 0x1
	scratch_load_b128 v[2:5], off, s12
	scratch_load_b128 v[6:9], v10, off offset:-16
	s_wait_loadcnt 0x1
	ds_store_2addr_b64 v0, v[2:3], v[4:5] offset1:1
	s_wait_loadcnt 0x0
	s_clause 0x1
	scratch_store_b128 off, v[6:9], s12
	scratch_store_b128 v10, v[2:5], off offset:-16
.LBB75_90:
	global_load_b32 v1, v1, s[8:9] offset:32
	s_wait_loadcnt 0x0
	v_cmp_eq_u32_e32 vcc_lo, 9, v1
	s_cbranch_vccnz .LBB75_92
; %bb.91:
	v_lshlrev_b32_e32 v1, 4, v1
	s_delay_alu instid0(VALU_DEP_1)
	v_mov_b32_e32 v9, v1
	s_clause 0x1
	scratch_load_b128 v[1:4], off, s17
	scratch_load_b128 v[5:8], v9, off offset:-16
	s_wait_loadcnt 0x1
	ds_store_2addr_b64 v0, v[1:2], v[3:4] offset1:1
	s_wait_loadcnt 0x0
	s_clause 0x1
	scratch_store_b128 off, v[5:8], s17
	scratch_store_b128 v9, v[1:4], off offset:-16
.LBB75_92:
	v_mov_b32_e32 v1, 0
	global_load_b32 v2, v1, s[8:9] offset:28
	s_wait_loadcnt 0x0
	v_cmp_eq_u32_e32 vcc_lo, 8, v2
	s_cbranch_vccnz .LBB75_94
; %bb.93:
	v_lshlrev_b32_e32 v2, 4, v2
	s_delay_alu instid0(VALU_DEP_1)
	v_mov_b32_e32 v10, v2
	s_clause 0x1
	scratch_load_b128 v[2:5], off, s5
	scratch_load_b128 v[6:9], v10, off offset:-16
	s_wait_loadcnt 0x1
	ds_store_2addr_b64 v0, v[2:3], v[4:5] offset1:1
	s_wait_loadcnt 0x0
	s_clause 0x1
	scratch_store_b128 off, v[6:9], s5
	scratch_store_b128 v10, v[2:5], off offset:-16
.LBB75_94:
	global_load_b32 v1, v1, s[8:9] offset:24
	s_wait_loadcnt 0x0
	v_cmp_eq_u32_e32 vcc_lo, 7, v1
	s_cbranch_vccnz .LBB75_96
; %bb.95:
	v_lshlrev_b32_e32 v1, 4, v1
	s_delay_alu instid0(VALU_DEP_1)
	v_mov_b32_e32 v9, v1
	s_clause 0x1
	scratch_load_b128 v[1:4], off, s16
	scratch_load_b128 v[5:8], v9, off offset:-16
	s_wait_loadcnt 0x1
	ds_store_2addr_b64 v0, v[1:2], v[3:4] offset1:1
	s_wait_loadcnt 0x0
	s_clause 0x1
	scratch_store_b128 off, v[5:8], s16
	scratch_store_b128 v9, v[1:4], off offset:-16
.LBB75_96:
	;; [unrolled: 37-line block ×4, first 2 shown]
	v_mov_b32_e32 v1, 0
	global_load_b32 v2, v1, s[8:9] offset:4
	s_wait_loadcnt 0x0
	v_cmp_eq_u32_e32 vcc_lo, 2, v2
	s_cbranch_vccnz .LBB75_106
; %bb.105:
	v_lshlrev_b32_e32 v2, 4, v2
	s_delay_alu instid0(VALU_DEP_1)
	v_mov_b32_e32 v10, v2
	s_clause 0x1
	scratch_load_b128 v[2:5], off, s21
	scratch_load_b128 v[6:9], v10, off offset:-16
	s_wait_loadcnt 0x1
	ds_store_2addr_b64 v0, v[2:3], v[4:5] offset1:1
	s_wait_loadcnt 0x0
	s_clause 0x1
	scratch_store_b128 off, v[6:9], s21
	scratch_store_b128 v10, v[2:5], off offset:-16
.LBB75_106:
	global_load_b32 v1, v1, s[8:9]
	s_wait_loadcnt 0x0
	v_cmp_eq_u32_e32 vcc_lo, 1, v1
	s_cbranch_vccnz .LBB75_108
; %bb.107:
	v_lshlrev_b32_e32 v1, 4, v1
	s_delay_alu instid0(VALU_DEP_1)
	v_mov_b32_e32 v9, v1
	scratch_load_b128 v[1:4], off, off
	scratch_load_b128 v[5:8], v9, off offset:-16
	s_wait_loadcnt 0x1
	ds_store_2addr_b64 v0, v[1:2], v[3:4] offset1:1
	s_wait_loadcnt 0x0
	scratch_store_b128 off, v[5:8], off
	scratch_store_b128 v9, v[1:4], off offset:-16
.LBB75_108:
	scratch_load_b128 v[0:3], off, off
	s_wait_loadcnt 0x0
	flat_store_b128 v[13:14], v[0:3]
	scratch_load_b128 v[0:3], off, s21
	s_wait_loadcnt 0x0
	flat_store_b128 v[15:16], v[0:3]
	scratch_load_b128 v[0:3], off, s19
	;; [unrolled: 3-line block ×11, first 2 shown]
	s_wait_loadcnt 0x0
	flat_store_b128 v[35:36], v[0:3]
	s_endpgm
	.section	.rodata,"a",@progbits
	.p2align	6, 0x0
	.amdhsa_kernel _ZN9rocsolver6v33100L18getri_kernel_smallILi12E19rocblas_complex_numIdEPKPS3_EEvT1_iilPiilS8_bb
		.amdhsa_group_segment_fixed_size 1416
		.amdhsa_private_segment_fixed_size 208
		.amdhsa_kernarg_size 60
		.amdhsa_user_sgpr_count 4
		.amdhsa_user_sgpr_dispatch_ptr 1
		.amdhsa_user_sgpr_queue_ptr 0
		.amdhsa_user_sgpr_kernarg_segment_ptr 1
		.amdhsa_user_sgpr_dispatch_id 0
		.amdhsa_user_sgpr_private_segment_size 0
		.amdhsa_wavefront_size32 1
		.amdhsa_uses_dynamic_stack 0
		.amdhsa_enable_private_segment 1
		.amdhsa_system_sgpr_workgroup_id_x 1
		.amdhsa_system_sgpr_workgroup_id_y 0
		.amdhsa_system_sgpr_workgroup_id_z 0
		.amdhsa_system_sgpr_workgroup_info 0
		.amdhsa_system_vgpr_workitem_id 2
		.amdhsa_next_free_vgpr 92
		.amdhsa_next_free_sgpr 25
		.amdhsa_reserve_vcc 1
		.amdhsa_float_round_mode_32 0
		.amdhsa_float_round_mode_16_64 0
		.amdhsa_float_denorm_mode_32 3
		.amdhsa_float_denorm_mode_16_64 3
		.amdhsa_fp16_overflow 0
		.amdhsa_workgroup_processor_mode 1
		.amdhsa_memory_ordered 1
		.amdhsa_forward_progress 1
		.amdhsa_inst_pref_size 97
		.amdhsa_round_robin_scheduling 0
		.amdhsa_exception_fp_ieee_invalid_op 0
		.amdhsa_exception_fp_denorm_src 0
		.amdhsa_exception_fp_ieee_div_zero 0
		.amdhsa_exception_fp_ieee_overflow 0
		.amdhsa_exception_fp_ieee_underflow 0
		.amdhsa_exception_fp_ieee_inexact 0
		.amdhsa_exception_int_div_zero 0
	.end_amdhsa_kernel
	.section	.text._ZN9rocsolver6v33100L18getri_kernel_smallILi12E19rocblas_complex_numIdEPKPS3_EEvT1_iilPiilS8_bb,"axG",@progbits,_ZN9rocsolver6v33100L18getri_kernel_smallILi12E19rocblas_complex_numIdEPKPS3_EEvT1_iilPiilS8_bb,comdat
.Lfunc_end75:
	.size	_ZN9rocsolver6v33100L18getri_kernel_smallILi12E19rocblas_complex_numIdEPKPS3_EEvT1_iilPiilS8_bb, .Lfunc_end75-_ZN9rocsolver6v33100L18getri_kernel_smallILi12E19rocblas_complex_numIdEPKPS3_EEvT1_iilPiilS8_bb
                                        ; -- End function
	.set _ZN9rocsolver6v33100L18getri_kernel_smallILi12E19rocblas_complex_numIdEPKPS3_EEvT1_iilPiilS8_bb.num_vgpr, 92
	.set _ZN9rocsolver6v33100L18getri_kernel_smallILi12E19rocblas_complex_numIdEPKPS3_EEvT1_iilPiilS8_bb.num_agpr, 0
	.set _ZN9rocsolver6v33100L18getri_kernel_smallILi12E19rocblas_complex_numIdEPKPS3_EEvT1_iilPiilS8_bb.numbered_sgpr, 25
	.set _ZN9rocsolver6v33100L18getri_kernel_smallILi12E19rocblas_complex_numIdEPKPS3_EEvT1_iilPiilS8_bb.num_named_barrier, 0
	.set _ZN9rocsolver6v33100L18getri_kernel_smallILi12E19rocblas_complex_numIdEPKPS3_EEvT1_iilPiilS8_bb.private_seg_size, 208
	.set _ZN9rocsolver6v33100L18getri_kernel_smallILi12E19rocblas_complex_numIdEPKPS3_EEvT1_iilPiilS8_bb.uses_vcc, 1
	.set _ZN9rocsolver6v33100L18getri_kernel_smallILi12E19rocblas_complex_numIdEPKPS3_EEvT1_iilPiilS8_bb.uses_flat_scratch, 1
	.set _ZN9rocsolver6v33100L18getri_kernel_smallILi12E19rocblas_complex_numIdEPKPS3_EEvT1_iilPiilS8_bb.has_dyn_sized_stack, 0
	.set _ZN9rocsolver6v33100L18getri_kernel_smallILi12E19rocblas_complex_numIdEPKPS3_EEvT1_iilPiilS8_bb.has_recursion, 0
	.set _ZN9rocsolver6v33100L18getri_kernel_smallILi12E19rocblas_complex_numIdEPKPS3_EEvT1_iilPiilS8_bb.has_indirect_call, 0
	.section	.AMDGPU.csdata,"",@progbits
; Kernel info:
; codeLenInByte = 12336
; TotalNumSgprs: 27
; NumVgprs: 92
; ScratchSize: 208
; MemoryBound: 0
; FloatMode: 240
; IeeeMode: 1
; LDSByteSize: 1416 bytes/workgroup (compile time only)
; SGPRBlocks: 0
; VGPRBlocks: 11
; NumSGPRsForWavesPerEU: 27
; NumVGPRsForWavesPerEU: 92
; Occupancy: 16
; WaveLimiterHint : 1
; COMPUTE_PGM_RSRC2:SCRATCH_EN: 1
; COMPUTE_PGM_RSRC2:USER_SGPR: 4
; COMPUTE_PGM_RSRC2:TRAP_HANDLER: 0
; COMPUTE_PGM_RSRC2:TGID_X_EN: 1
; COMPUTE_PGM_RSRC2:TGID_Y_EN: 0
; COMPUTE_PGM_RSRC2:TGID_Z_EN: 0
; COMPUTE_PGM_RSRC2:TIDIG_COMP_CNT: 2
	.section	.text._ZN9rocsolver6v33100L18getri_kernel_smallILi13E19rocblas_complex_numIdEPKPS3_EEvT1_iilPiilS8_bb,"axG",@progbits,_ZN9rocsolver6v33100L18getri_kernel_smallILi13E19rocblas_complex_numIdEPKPS3_EEvT1_iilPiilS8_bb,comdat
	.globl	_ZN9rocsolver6v33100L18getri_kernel_smallILi13E19rocblas_complex_numIdEPKPS3_EEvT1_iilPiilS8_bb ; -- Begin function _ZN9rocsolver6v33100L18getri_kernel_smallILi13E19rocblas_complex_numIdEPKPS3_EEvT1_iilPiilS8_bb
	.p2align	8
	.type	_ZN9rocsolver6v33100L18getri_kernel_smallILi13E19rocblas_complex_numIdEPKPS3_EEvT1_iilPiilS8_bb,@function
_ZN9rocsolver6v33100L18getri_kernel_smallILi13E19rocblas_complex_numIdEPKPS3_EEvT1_iilPiilS8_bb: ; @_ZN9rocsolver6v33100L18getri_kernel_smallILi13E19rocblas_complex_numIdEPKPS3_EEvT1_iilPiilS8_bb
; %bb.0:
	v_and_b32_e32 v39, 0x3ff, v0
	s_mov_b32 s4, exec_lo
	s_delay_alu instid0(VALU_DEP_1)
	v_cmpx_gt_u32_e32 13, v39
	s_cbranch_execz .LBB76_66
; %bb.1:
	s_clause 0x1
	s_load_b32 s14, s[2:3], 0x38
	s_load_b64 s[8:9], s[2:3], 0x0
	s_mov_b32 s10, ttmp9
	s_load_b128 s[4:7], s[2:3], 0x28
	s_wait_kmcnt 0x0
	s_bitcmp1_b32 s14, 8
	s_cselect_b32 s22, -1, 0
	s_ashr_i32 s11, ttmp9, 31
	s_delay_alu instid0(SALU_CYCLE_1) | instskip(NEXT) | instid1(SALU_CYCLE_1)
	s_lshl_b64 s[12:13], s[10:11], 3
	s_add_nc_u64 s[8:9], s[8:9], s[12:13]
	s_load_b64 s[12:13], s[8:9], 0x0
	s_bfe_u32 s8, s14, 0x10008
	s_delay_alu instid0(SALU_CYCLE_1)
	s_cmp_eq_u32 s8, 0
                                        ; implicit-def: $sgpr8_sgpr9
	s_cbranch_scc1 .LBB76_3
; %bb.2:
	s_load_b96 s[16:18], s[2:3], 0x18
	s_mul_u64 s[4:5], s[4:5], s[10:11]
	s_delay_alu instid0(SALU_CYCLE_1)
	s_lshl_b64 s[4:5], s[4:5], 2
	s_wait_kmcnt 0x0
	s_ashr_i32 s9, s18, 31
	s_mov_b32 s8, s18
	s_add_nc_u64 s[4:5], s[16:17], s[4:5]
	s_lshl_b64 s[8:9], s[8:9], 2
	s_delay_alu instid0(SALU_CYCLE_1)
	s_add_nc_u64 s[8:9], s[4:5], s[8:9]
.LBB76_3:
	s_clause 0x1
	s_load_b64 s[4:5], s[2:3], 0x8
	s_load_b32 s23, s[2:3], 0x38
	v_lshlrev_b32_e32 v40, 4, v39
	s_mov_b32 s21, 16
	s_mov_b32 s20, 32
	;; [unrolled: 1-line block ×3, first 2 shown]
	s_movk_i32 s16, 0x50
	s_movk_i32 s17, 0x70
	;; [unrolled: 1-line block ×5, first 2 shown]
	s_wait_kmcnt 0x0
	s_ashr_i32 s3, s4, 31
	s_mov_b32 s2, s4
	v_add3_u32 v5, s5, s5, v39
	s_lshl_b64 s[2:3], s[2:3], 4
	s_delay_alu instid0(SALU_CYCLE_1)
	s_add_nc_u64 s[2:3], s[12:13], s[2:3]
	s_ashr_i32 s13, s5, 31
	v_add_co_u32 v13, s4, s2, v40
	s_wait_alu 0xf1ff
	v_add_co_ci_u32_e64 v14, null, s3, 0, s4
	s_mov_b32 s12, s5
	v_ashrrev_i32_e32 v6, 31, v5
	s_lshl_b64 s[12:13], s[12:13], 4
	flat_load_b128 v[1:4], v[13:14]
	v_add_co_u32 v15, vcc_lo, v13, s12
	s_delay_alu instid0(VALU_DEP_1)
	v_add_co_ci_u32_e64 v16, null, s13, v14, vcc_lo
	v_lshlrev_b64_e32 v[6:7], 4, v[5:6]
	v_add_nc_u32_e32 v5, s5, v5
	s_mov_b32 s4, 64
	s_movk_i32 s12, 0x80
	s_movk_i32 s13, 0xa0
	s_bitcmp0_b32 s23, 0
	v_add_co_u32 v17, vcc_lo, s2, v6
	s_wait_alu 0xfffd
	v_add_co_ci_u32_e64 v18, null, s3, v7, vcc_lo
	v_ashrrev_i32_e32 v6, 31, v5
	s_delay_alu instid0(VALU_DEP_1) | instskip(SKIP_1) | instid1(VALU_DEP_2)
	v_lshlrev_b64_e32 v[6:7], 4, v[5:6]
	v_add_nc_u32_e32 v5, s5, v5
	v_add_co_u32 v19, vcc_lo, s2, v6
	s_wait_alu 0xfffd
	s_delay_alu instid0(VALU_DEP_3) | instskip(NEXT) | instid1(VALU_DEP_3)
	v_add_co_ci_u32_e64 v20, null, s3, v7, vcc_lo
	v_ashrrev_i32_e32 v6, 31, v5
	s_delay_alu instid0(VALU_DEP_1) | instskip(SKIP_1) | instid1(VALU_DEP_2)
	v_lshlrev_b64_e32 v[6:7], 4, v[5:6]
	v_add_nc_u32_e32 v5, s5, v5
	v_add_co_u32 v21, vcc_lo, s2, v6
	s_wait_alu 0xfffd
	s_delay_alu instid0(VALU_DEP_3) | instskip(NEXT) | instid1(VALU_DEP_3)
	;; [unrolled: 8-line block ×8, first 2 shown]
	v_add_co_ci_u32_e64 v34, null, s3, v7, vcc_lo
	v_ashrrev_i32_e32 v6, 31, v5
	s_delay_alu instid0(VALU_DEP_1) | instskip(SKIP_2) | instid1(VALU_DEP_2)
	v_lshlrev_b64_e32 v[6:7], 4, v[5:6]
	v_add_nc_u32_e32 v5, s5, v5
	s_movk_i32 s5, 0x60
	v_add_co_u32 v35, vcc_lo, s2, v6
	s_wait_alu 0xfffd
	s_delay_alu instid0(VALU_DEP_3) | instskip(SKIP_1) | instid1(VALU_DEP_1)
	v_add_co_ci_u32_e64 v36, null, s3, v7, vcc_lo
	v_ashrrev_i32_e32 v6, 31, v5
	v_lshlrev_b64_e32 v[5:6], 4, v[5:6]
	s_delay_alu instid0(VALU_DEP_1) | instskip(SKIP_1) | instid1(VALU_DEP_2)
	v_add_co_u32 v37, vcc_lo, s2, v5
	s_wait_alu 0xfffd
	v_add_co_ci_u32_e64 v38, null, s3, v6, vcc_lo
	s_mov_b32 s3, -1
	s_wait_loadcnt_dscnt 0x0
	scratch_store_b128 off, v[1:4], off
	flat_load_b128 v[1:4], v[15:16]
	s_wait_loadcnt_dscnt 0x0
	scratch_store_b128 off, v[1:4], off offset:16
	flat_load_b128 v[1:4], v[17:18]
	s_wait_loadcnt_dscnt 0x0
	scratch_store_b128 off, v[1:4], off offset:32
	;; [unrolled: 3-line block ×12, first 2 shown]
	s_cbranch_scc1 .LBB76_64
; %bb.4:
	v_cmp_eq_u32_e64 s2, 0, v39
	s_and_saveexec_b32 s3, s2
; %bb.5:
	v_mov_b32_e32 v1, 0
	ds_store_b32 v1, v1 offset:416
; %bb.6:
	s_wait_alu 0xfffe
	s_or_b32 exec_lo, exec_lo, s3
	s_wait_storecnt_dscnt 0x0
	s_barrier_signal -1
	s_barrier_wait -1
	global_inv scope:SCOPE_SE
	scratch_load_b128 v[1:4], v40, off
	s_wait_loadcnt 0x0
	v_cmp_eq_f64_e32 vcc_lo, 0, v[1:2]
	v_cmp_eq_f64_e64 s3, 0, v[3:4]
	s_and_b32 s3, vcc_lo, s3
	s_wait_alu 0xfffe
	s_and_saveexec_b32 s23, s3
	s_cbranch_execz .LBB76_10
; %bb.7:
	v_mov_b32_e32 v1, 0
	s_mov_b32 s24, 0
	ds_load_b32 v2, v1 offset:416
	s_wait_dscnt 0x0
	v_readfirstlane_b32 s3, v2
	v_add_nc_u32_e32 v2, 1, v39
	s_cmp_eq_u32 s3, 0
	s_delay_alu instid0(VALU_DEP_1) | instskip(SKIP_1) | instid1(SALU_CYCLE_1)
	v_cmp_gt_i32_e32 vcc_lo, s3, v2
	s_cselect_b32 s25, -1, 0
	s_or_b32 s25, s25, vcc_lo
	s_delay_alu instid0(SALU_CYCLE_1)
	s_and_b32 exec_lo, exec_lo, s25
	s_cbranch_execz .LBB76_10
; %bb.8:
	v_mov_b32_e32 v3, s3
.LBB76_9:                               ; =>This Inner Loop Header: Depth=1
	ds_cmpstore_rtn_b32 v3, v1, v2, v3 offset:416
	s_wait_dscnt 0x0
	v_cmp_ne_u32_e32 vcc_lo, 0, v3
	v_cmp_le_i32_e64 s3, v3, v2
	s_and_b32 s3, vcc_lo, s3
	s_wait_alu 0xfffe
	s_and_b32 s3, exec_lo, s3
	s_wait_alu 0xfffe
	s_or_b32 s24, s3, s24
	s_delay_alu instid0(SALU_CYCLE_1)
	s_and_not1_b32 exec_lo, exec_lo, s24
	s_cbranch_execnz .LBB76_9
.LBB76_10:
	s_or_b32 exec_lo, exec_lo, s23
	v_mov_b32_e32 v1, 0
	s_barrier_signal -1
	s_barrier_wait -1
	global_inv scope:SCOPE_SE
	ds_load_b32 v2, v1 offset:416
	s_and_saveexec_b32 s3, s2
	s_cbranch_execz .LBB76_12
; %bb.11:
	s_lshl_b64 s[24:25], s[10:11], 2
	s_delay_alu instid0(SALU_CYCLE_1)
	s_add_nc_u64 s[24:25], s[6:7], s[24:25]
	s_wait_dscnt 0x0
	global_store_b32 v1, v2, s[24:25]
.LBB76_12:
	s_wait_alu 0xfffe
	s_or_b32 exec_lo, exec_lo, s3
	s_wait_dscnt 0x0
	v_cmp_ne_u32_e32 vcc_lo, 0, v2
	s_mov_b32 s3, 0
	s_cbranch_vccnz .LBB76_64
; %bb.13:
	v_mov_b32_e32 v41, v40
                                        ; implicit-def: $vgpr1_vgpr2
                                        ; implicit-def: $vgpr9_vgpr10
	scratch_load_b128 v[5:8], v41, off
	s_wait_loadcnt 0x0
	v_cmp_ngt_f64_e64 s3, |v[5:6]|, |v[7:8]|
	s_wait_alu 0xfffe
	s_and_saveexec_b32 s23, s3
	s_delay_alu instid0(SALU_CYCLE_1)
	s_xor_b32 s3, exec_lo, s23
	s_cbranch_execz .LBB76_15
; %bb.14:
	v_div_scale_f64 v[1:2], null, v[7:8], v[7:8], v[5:6]
	v_div_scale_f64 v[11:12], vcc_lo, v[5:6], v[7:8], v[5:6]
	s_delay_alu instid0(VALU_DEP_2) | instskip(NEXT) | instid1(TRANS32_DEP_1)
	v_rcp_f64_e32 v[3:4], v[1:2]
	v_fma_f64 v[9:10], -v[1:2], v[3:4], 1.0
	s_delay_alu instid0(VALU_DEP_1) | instskip(NEXT) | instid1(VALU_DEP_1)
	v_fma_f64 v[3:4], v[3:4], v[9:10], v[3:4]
	v_fma_f64 v[9:10], -v[1:2], v[3:4], 1.0
	s_delay_alu instid0(VALU_DEP_1) | instskip(NEXT) | instid1(VALU_DEP_1)
	v_fma_f64 v[3:4], v[3:4], v[9:10], v[3:4]
	v_mul_f64_e32 v[9:10], v[11:12], v[3:4]
	s_delay_alu instid0(VALU_DEP_1) | instskip(SKIP_1) | instid1(VALU_DEP_1)
	v_fma_f64 v[1:2], -v[1:2], v[9:10], v[11:12]
	s_wait_alu 0xfffd
	v_div_fmas_f64 v[1:2], v[1:2], v[3:4], v[9:10]
	s_delay_alu instid0(VALU_DEP_1) | instskip(NEXT) | instid1(VALU_DEP_1)
	v_div_fixup_f64 v[1:2], v[1:2], v[7:8], v[5:6]
	v_fma_f64 v[3:4], v[5:6], v[1:2], v[7:8]
	s_delay_alu instid0(VALU_DEP_1) | instskip(SKIP_1) | instid1(VALU_DEP_2)
	v_div_scale_f64 v[5:6], null, v[3:4], v[3:4], 1.0
	v_div_scale_f64 v[11:12], vcc_lo, 1.0, v[3:4], 1.0
	v_rcp_f64_e32 v[7:8], v[5:6]
	s_delay_alu instid0(TRANS32_DEP_1) | instskip(NEXT) | instid1(VALU_DEP_1)
	v_fma_f64 v[9:10], -v[5:6], v[7:8], 1.0
	v_fma_f64 v[7:8], v[7:8], v[9:10], v[7:8]
	s_delay_alu instid0(VALU_DEP_1) | instskip(NEXT) | instid1(VALU_DEP_1)
	v_fma_f64 v[9:10], -v[5:6], v[7:8], 1.0
	v_fma_f64 v[7:8], v[7:8], v[9:10], v[7:8]
	s_delay_alu instid0(VALU_DEP_1) | instskip(NEXT) | instid1(VALU_DEP_1)
	v_mul_f64_e32 v[9:10], v[11:12], v[7:8]
	v_fma_f64 v[5:6], -v[5:6], v[9:10], v[11:12]
	s_wait_alu 0xfffd
	s_delay_alu instid0(VALU_DEP_1) | instskip(NEXT) | instid1(VALU_DEP_1)
	v_div_fmas_f64 v[5:6], v[5:6], v[7:8], v[9:10]
	v_div_fixup_f64 v[3:4], v[5:6], v[3:4], 1.0
                                        ; implicit-def: $vgpr5_vgpr6
	s_delay_alu instid0(VALU_DEP_1) | instskip(SKIP_1) | instid1(VALU_DEP_2)
	v_mul_f64_e32 v[1:2], v[1:2], v[3:4]
	v_xor_b32_e32 v4, 0x80000000, v4
	v_xor_b32_e32 v10, 0x80000000, v2
	s_delay_alu instid0(VALU_DEP_3)
	v_mov_b32_e32 v9, v1
.LBB76_15:
	s_wait_alu 0xfffe
	s_and_not1_saveexec_b32 s3, s3
	s_cbranch_execz .LBB76_17
; %bb.16:
	v_div_scale_f64 v[1:2], null, v[5:6], v[5:6], v[7:8]
	v_div_scale_f64 v[11:12], vcc_lo, v[7:8], v[5:6], v[7:8]
	s_delay_alu instid0(VALU_DEP_2) | instskip(NEXT) | instid1(TRANS32_DEP_1)
	v_rcp_f64_e32 v[3:4], v[1:2]
	v_fma_f64 v[9:10], -v[1:2], v[3:4], 1.0
	s_delay_alu instid0(VALU_DEP_1) | instskip(NEXT) | instid1(VALU_DEP_1)
	v_fma_f64 v[3:4], v[3:4], v[9:10], v[3:4]
	v_fma_f64 v[9:10], -v[1:2], v[3:4], 1.0
	s_delay_alu instid0(VALU_DEP_1) | instskip(NEXT) | instid1(VALU_DEP_1)
	v_fma_f64 v[3:4], v[3:4], v[9:10], v[3:4]
	v_mul_f64_e32 v[9:10], v[11:12], v[3:4]
	s_delay_alu instid0(VALU_DEP_1) | instskip(SKIP_1) | instid1(VALU_DEP_1)
	v_fma_f64 v[1:2], -v[1:2], v[9:10], v[11:12]
	s_wait_alu 0xfffd
	v_div_fmas_f64 v[1:2], v[1:2], v[3:4], v[9:10]
	s_delay_alu instid0(VALU_DEP_1) | instskip(NEXT) | instid1(VALU_DEP_1)
	v_div_fixup_f64 v[3:4], v[1:2], v[5:6], v[7:8]
	v_fma_f64 v[1:2], v[7:8], v[3:4], v[5:6]
	s_delay_alu instid0(VALU_DEP_1) | instskip(NEXT) | instid1(VALU_DEP_1)
	v_div_scale_f64 v[5:6], null, v[1:2], v[1:2], 1.0
	v_rcp_f64_e32 v[7:8], v[5:6]
	s_delay_alu instid0(TRANS32_DEP_1) | instskip(NEXT) | instid1(VALU_DEP_1)
	v_fma_f64 v[9:10], -v[5:6], v[7:8], 1.0
	v_fma_f64 v[7:8], v[7:8], v[9:10], v[7:8]
	s_delay_alu instid0(VALU_DEP_1) | instskip(NEXT) | instid1(VALU_DEP_1)
	v_fma_f64 v[9:10], -v[5:6], v[7:8], 1.0
	v_fma_f64 v[7:8], v[7:8], v[9:10], v[7:8]
	v_div_scale_f64 v[9:10], vcc_lo, 1.0, v[1:2], 1.0
	s_delay_alu instid0(VALU_DEP_1) | instskip(NEXT) | instid1(VALU_DEP_1)
	v_mul_f64_e32 v[11:12], v[9:10], v[7:8]
	v_fma_f64 v[5:6], -v[5:6], v[11:12], v[9:10]
	s_wait_alu 0xfffd
	s_delay_alu instid0(VALU_DEP_1) | instskip(NEXT) | instid1(VALU_DEP_1)
	v_div_fmas_f64 v[5:6], v[5:6], v[7:8], v[11:12]
	v_div_fixup_f64 v[1:2], v[5:6], v[1:2], 1.0
	s_delay_alu instid0(VALU_DEP_1)
	v_mul_f64_e64 v[3:4], v[3:4], -v[1:2]
	v_xor_b32_e32 v10, 0x80000000, v2
	v_mov_b32_e32 v9, v1
.LBB76_17:
	s_wait_alu 0xfffe
	s_or_b32 exec_lo, exec_lo, s3
	scratch_store_b128 v41, v[1:4], off
	scratch_load_b128 v[42:45], off, s21
	v_xor_b32_e32 v12, 0x80000000, v4
	v_mov_b32_e32 v11, v3
	v_add_nc_u32_e32 v5, 0xd0, v40
	ds_store_b128 v40, v[9:12]
	s_wait_loadcnt 0x0
	ds_store_b128 v40, v[42:45] offset:208
	s_wait_storecnt_dscnt 0x0
	s_barrier_signal -1
	s_barrier_wait -1
	global_inv scope:SCOPE_SE
	s_and_saveexec_b32 s3, s2
	s_cbranch_execz .LBB76_19
; %bb.18:
	scratch_load_b128 v[1:4], v41, off
	ds_load_b128 v[6:9], v5
	v_mov_b32_e32 v10, 0
	ds_load_b128 v[42:45], v10 offset:16
	s_wait_loadcnt_dscnt 0x1
	v_mul_f64_e32 v[10:11], v[6:7], v[3:4]
	v_mul_f64_e32 v[3:4], v[8:9], v[3:4]
	s_delay_alu instid0(VALU_DEP_2) | instskip(NEXT) | instid1(VALU_DEP_2)
	v_fma_f64 v[8:9], v[8:9], v[1:2], v[10:11]
	v_fma_f64 v[1:2], v[6:7], v[1:2], -v[3:4]
	s_delay_alu instid0(VALU_DEP_2) | instskip(NEXT) | instid1(VALU_DEP_2)
	v_add_f64_e32 v[3:4], 0, v[8:9]
	v_add_f64_e32 v[1:2], 0, v[1:2]
	s_wait_dscnt 0x0
	s_delay_alu instid0(VALU_DEP_2) | instskip(NEXT) | instid1(VALU_DEP_2)
	v_mul_f64_e32 v[6:7], v[3:4], v[44:45]
	v_mul_f64_e32 v[8:9], v[1:2], v[44:45]
	s_delay_alu instid0(VALU_DEP_2) | instskip(NEXT) | instid1(VALU_DEP_2)
	v_fma_f64 v[1:2], v[1:2], v[42:43], -v[6:7]
	v_fma_f64 v[3:4], v[3:4], v[42:43], v[8:9]
	scratch_store_b128 off, v[1:4], off offset:16
.LBB76_19:
	s_wait_alu 0xfffe
	s_or_b32 exec_lo, exec_lo, s3
	s_wait_loadcnt 0x0
	s_wait_storecnt 0x0
	s_barrier_signal -1
	s_barrier_wait -1
	global_inv scope:SCOPE_SE
	scratch_load_b128 v[1:4], off, s20
	s_mov_b32 s3, exec_lo
	s_wait_loadcnt 0x0
	ds_store_b128 v5, v[1:4]
	s_wait_dscnt 0x0
	s_barrier_signal -1
	s_barrier_wait -1
	global_inv scope:SCOPE_SE
	v_cmpx_gt_u32_e32 2, v39
	s_cbranch_execz .LBB76_23
; %bb.20:
	scratch_load_b128 v[1:4], v41, off
	ds_load_b128 v[6:9], v5
	s_wait_loadcnt_dscnt 0x0
	v_mul_f64_e32 v[10:11], v[8:9], v[3:4]
	v_mul_f64_e32 v[3:4], v[6:7], v[3:4]
	s_delay_alu instid0(VALU_DEP_2) | instskip(NEXT) | instid1(VALU_DEP_2)
	v_fma_f64 v[6:7], v[6:7], v[1:2], -v[10:11]
	v_fma_f64 v[3:4], v[8:9], v[1:2], v[3:4]
	s_delay_alu instid0(VALU_DEP_2) | instskip(NEXT) | instid1(VALU_DEP_2)
	v_add_f64_e32 v[1:2], 0, v[6:7]
	v_add_f64_e32 v[3:4], 0, v[3:4]
	s_and_saveexec_b32 s23, s2
	s_cbranch_execz .LBB76_22
; %bb.21:
	scratch_load_b128 v[6:9], off, off offset:16
	v_mov_b32_e32 v10, 0
	ds_load_b128 v[42:45], v10 offset:224
	s_wait_loadcnt_dscnt 0x0
	v_mul_f64_e32 v[10:11], v[42:43], v[8:9]
	v_mul_f64_e32 v[8:9], v[44:45], v[8:9]
	s_delay_alu instid0(VALU_DEP_2) | instskip(NEXT) | instid1(VALU_DEP_2)
	v_fma_f64 v[10:11], v[44:45], v[6:7], v[10:11]
	v_fma_f64 v[6:7], v[42:43], v[6:7], -v[8:9]
	s_delay_alu instid0(VALU_DEP_2) | instskip(NEXT) | instid1(VALU_DEP_2)
	v_add_f64_e32 v[3:4], v[3:4], v[10:11]
	v_add_f64_e32 v[1:2], v[1:2], v[6:7]
.LBB76_22:
	s_or_b32 exec_lo, exec_lo, s23
	v_mov_b32_e32 v6, 0
	ds_load_b128 v[6:9], v6 offset:32
	s_wait_dscnt 0x0
	v_mul_f64_e32 v[10:11], v[3:4], v[8:9]
	v_mul_f64_e32 v[8:9], v[1:2], v[8:9]
	s_delay_alu instid0(VALU_DEP_2) | instskip(NEXT) | instid1(VALU_DEP_2)
	v_fma_f64 v[1:2], v[1:2], v[6:7], -v[10:11]
	v_fma_f64 v[3:4], v[3:4], v[6:7], v[8:9]
	scratch_store_b128 off, v[1:4], off offset:32
.LBB76_23:
	s_wait_alu 0xfffe
	s_or_b32 exec_lo, exec_lo, s3
	s_wait_loadcnt 0x0
	s_wait_storecnt 0x0
	s_barrier_signal -1
	s_barrier_wait -1
	global_inv scope:SCOPE_SE
	scratch_load_b128 v[1:4], off, s15
	v_add_nc_u32_e32 v6, -1, v39
	s_mov_b32 s2, exec_lo
	s_wait_loadcnt 0x0
	ds_store_b128 v5, v[1:4]
	s_wait_dscnt 0x0
	s_barrier_signal -1
	s_barrier_wait -1
	global_inv scope:SCOPE_SE
	v_cmpx_gt_u32_e32 3, v39
	s_cbranch_execz .LBB76_27
; %bb.24:
	v_dual_mov_b32 v1, 0 :: v_dual_add_nc_u32 v8, 0xd0, v40
	v_mov_b32_e32 v3, 0
	v_dual_mov_b32 v2, 0 :: v_dual_add_nc_u32 v7, -1, v39
	v_mov_b32_e32 v4, 0
	v_or_b32_e32 v9, 8, v41
	s_mov_b32 s3, 0
.LBB76_25:                              ; =>This Inner Loop Header: Depth=1
	scratch_load_b128 v[42:45], v9, off offset:-8
	ds_load_b128 v[46:49], v8
	v_add_nc_u32_e32 v7, 1, v7
	v_add_nc_u32_e32 v8, 16, v8
	v_add_nc_u32_e32 v9, 16, v9
	s_delay_alu instid0(VALU_DEP_3)
	v_cmp_lt_u32_e32 vcc_lo, 1, v7
	s_wait_alu 0xfffe
	s_or_b32 s3, vcc_lo, s3
	s_wait_loadcnt_dscnt 0x0
	v_mul_f64_e32 v[10:11], v[48:49], v[44:45]
	v_mul_f64_e32 v[44:45], v[46:47], v[44:45]
	s_delay_alu instid0(VALU_DEP_2) | instskip(NEXT) | instid1(VALU_DEP_2)
	v_fma_f64 v[10:11], v[46:47], v[42:43], -v[10:11]
	v_fma_f64 v[42:43], v[48:49], v[42:43], v[44:45]
	s_delay_alu instid0(VALU_DEP_2) | instskip(NEXT) | instid1(VALU_DEP_2)
	v_add_f64_e32 v[3:4], v[3:4], v[10:11]
	v_add_f64_e32 v[1:2], v[1:2], v[42:43]
	s_wait_alu 0xfffe
	s_and_not1_b32 exec_lo, exec_lo, s3
	s_cbranch_execnz .LBB76_25
; %bb.26:
	s_or_b32 exec_lo, exec_lo, s3
	v_mov_b32_e32 v7, 0
	ds_load_b128 v[7:10], v7 offset:48
	s_wait_dscnt 0x0
	v_mul_f64_e32 v[11:12], v[1:2], v[9:10]
	v_mul_f64_e32 v[42:43], v[3:4], v[9:10]
	s_delay_alu instid0(VALU_DEP_2) | instskip(NEXT) | instid1(VALU_DEP_2)
	v_fma_f64 v[9:10], v[3:4], v[7:8], -v[11:12]
	v_fma_f64 v[11:12], v[1:2], v[7:8], v[42:43]
	scratch_store_b128 off, v[9:12], off offset:48
.LBB76_27:
	s_wait_alu 0xfffe
	s_or_b32 exec_lo, exec_lo, s2
	s_wait_loadcnt 0x0
	s_wait_storecnt 0x0
	s_barrier_signal -1
	s_barrier_wait -1
	global_inv scope:SCOPE_SE
	scratch_load_b128 v[1:4], off, s4
	s_mov_b32 s2, exec_lo
	s_wait_loadcnt 0x0
	ds_store_b128 v5, v[1:4]
	s_wait_dscnt 0x0
	s_barrier_signal -1
	s_barrier_wait -1
	global_inv scope:SCOPE_SE
	v_cmpx_gt_u32_e32 4, v39
	s_cbranch_execz .LBB76_31
; %bb.28:
	v_dual_mov_b32 v1, 0 :: v_dual_add_nc_u32 v8, 0xd0, v40
	v_mov_b32_e32 v3, 0
	v_dual_mov_b32 v2, 0 :: v_dual_add_nc_u32 v7, -1, v39
	v_mov_b32_e32 v4, 0
	v_or_b32_e32 v9, 8, v41
	s_mov_b32 s3, 0
.LBB76_29:                              ; =>This Inner Loop Header: Depth=1
	scratch_load_b128 v[42:45], v9, off offset:-8
	ds_load_b128 v[46:49], v8
	v_add_nc_u32_e32 v7, 1, v7
	v_add_nc_u32_e32 v8, 16, v8
	v_add_nc_u32_e32 v9, 16, v9
	s_delay_alu instid0(VALU_DEP_3)
	v_cmp_lt_u32_e32 vcc_lo, 2, v7
	s_wait_alu 0xfffe
	s_or_b32 s3, vcc_lo, s3
	s_wait_loadcnt_dscnt 0x0
	v_mul_f64_e32 v[10:11], v[48:49], v[44:45]
	v_mul_f64_e32 v[44:45], v[46:47], v[44:45]
	s_delay_alu instid0(VALU_DEP_2) | instskip(NEXT) | instid1(VALU_DEP_2)
	v_fma_f64 v[10:11], v[46:47], v[42:43], -v[10:11]
	v_fma_f64 v[42:43], v[48:49], v[42:43], v[44:45]
	s_delay_alu instid0(VALU_DEP_2) | instskip(NEXT) | instid1(VALU_DEP_2)
	v_add_f64_e32 v[3:4], v[3:4], v[10:11]
	v_add_f64_e32 v[1:2], v[1:2], v[42:43]
	s_wait_alu 0xfffe
	s_and_not1_b32 exec_lo, exec_lo, s3
	s_cbranch_execnz .LBB76_29
; %bb.30:
	s_or_b32 exec_lo, exec_lo, s3
	v_mov_b32_e32 v7, 0
	ds_load_b128 v[7:10], v7 offset:64
	s_wait_dscnt 0x0
	v_mul_f64_e32 v[11:12], v[1:2], v[9:10]
	v_mul_f64_e32 v[42:43], v[3:4], v[9:10]
	s_delay_alu instid0(VALU_DEP_2) | instskip(NEXT) | instid1(VALU_DEP_2)
	v_fma_f64 v[9:10], v[3:4], v[7:8], -v[11:12]
	v_fma_f64 v[11:12], v[1:2], v[7:8], v[42:43]
	scratch_store_b128 off, v[9:12], off offset:64
.LBB76_31:
	s_wait_alu 0xfffe
	s_or_b32 exec_lo, exec_lo, s2
	s_wait_loadcnt 0x0
	s_wait_storecnt 0x0
	s_barrier_signal -1
	s_barrier_wait -1
	global_inv scope:SCOPE_SE
	scratch_load_b128 v[1:4], off, s16
	;; [unrolled: 58-line block ×9, first 2 shown]
	s_mov_b32 s2, exec_lo
	s_wait_loadcnt 0x0
	ds_store_b128 v5, v[1:4]
	s_wait_dscnt 0x0
	s_barrier_signal -1
	s_barrier_wait -1
	global_inv scope:SCOPE_SE
	v_cmpx_ne_u32_e32 12, v39
	s_cbranch_execz .LBB76_63
; %bb.60:
	v_mov_b32_e32 v1, 0
	v_dual_mov_b32 v2, 0 :: v_dual_mov_b32 v3, 0
	v_mov_b32_e32 v4, 0
	v_or_b32_e32 v7, 8, v41
	s_mov_b32 s3, 0
.LBB76_61:                              ; =>This Inner Loop Header: Depth=1
	scratch_load_b128 v[8:11], v7, off offset:-8
	ds_load_b128 v[40:43], v5
	v_add_nc_u32_e32 v6, 1, v6
	v_add_nc_u32_e32 v5, 16, v5
	v_add_nc_u32_e32 v7, 16, v7
	s_delay_alu instid0(VALU_DEP_3)
	v_cmp_lt_u32_e32 vcc_lo, 10, v6
	s_wait_alu 0xfffe
	s_or_b32 s3, vcc_lo, s3
	s_wait_loadcnt_dscnt 0x0
	v_mul_f64_e32 v[44:45], v[42:43], v[10:11]
	v_mul_f64_e32 v[10:11], v[40:41], v[10:11]
	s_delay_alu instid0(VALU_DEP_2) | instskip(NEXT) | instid1(VALU_DEP_2)
	v_fma_f64 v[40:41], v[40:41], v[8:9], -v[44:45]
	v_fma_f64 v[8:9], v[42:43], v[8:9], v[10:11]
	s_delay_alu instid0(VALU_DEP_2) | instskip(NEXT) | instid1(VALU_DEP_2)
	v_add_f64_e32 v[3:4], v[3:4], v[40:41]
	v_add_f64_e32 v[1:2], v[1:2], v[8:9]
	s_wait_alu 0xfffe
	s_and_not1_b32 exec_lo, exec_lo, s3
	s_cbranch_execnz .LBB76_61
; %bb.62:
	s_or_b32 exec_lo, exec_lo, s3
	v_mov_b32_e32 v5, 0
	ds_load_b128 v[5:8], v5 offset:192
	s_wait_dscnt 0x0
	v_mul_f64_e32 v[9:10], v[1:2], v[7:8]
	v_mul_f64_e32 v[7:8], v[3:4], v[7:8]
	s_delay_alu instid0(VALU_DEP_2) | instskip(NEXT) | instid1(VALU_DEP_2)
	v_fma_f64 v[3:4], v[3:4], v[5:6], -v[9:10]
	v_fma_f64 v[5:6], v[1:2], v[5:6], v[7:8]
	scratch_store_b128 off, v[3:6], off offset:192
.LBB76_63:
	s_wait_alu 0xfffe
	s_or_b32 exec_lo, exec_lo, s2
	s_mov_b32 s3, -1
	s_wait_loadcnt 0x0
	s_wait_storecnt 0x0
	s_barrier_signal -1
	s_barrier_wait -1
	global_inv scope:SCOPE_SE
.LBB76_64:
	s_wait_alu 0xfffe
	s_and_b32 vcc_lo, exec_lo, s3
	s_wait_alu 0xfffe
	s_cbranch_vccz .LBB76_66
; %bb.65:
	v_mov_b32_e32 v1, 0
	s_lshl_b64 s[2:3], s[10:11], 2
	s_wait_alu 0xfffe
	s_add_nc_u64 s[2:3], s[6:7], s[2:3]
	global_load_b32 v1, v1, s[2:3]
	s_wait_loadcnt 0x0
	v_cmp_ne_u32_e32 vcc_lo, 0, v1
	s_cbranch_vccz .LBB76_67
.LBB76_66:
	s_endpgm
.LBB76_67:
	v_lshl_add_u32 v5, v39, 4, 0xd0
	s_mov_b32 s2, exec_lo
	v_cmpx_eq_u32_e32 12, v39
	s_cbranch_execz .LBB76_69
; %bb.68:
	scratch_load_b128 v[1:4], off, s19
	v_mov_b32_e32 v6, 0
	s_delay_alu instid0(VALU_DEP_1)
	v_dual_mov_b32 v7, v6 :: v_dual_mov_b32 v8, v6
	v_mov_b32_e32 v9, v6
	scratch_store_b128 off, v[6:9], off offset:176
	s_wait_loadcnt 0x0
	ds_store_b128 v5, v[1:4]
.LBB76_69:
	s_wait_alu 0xfffe
	s_or_b32 exec_lo, exec_lo, s2
	s_wait_storecnt_dscnt 0x0
	s_barrier_signal -1
	s_barrier_wait -1
	global_inv scope:SCOPE_SE
	s_clause 0x1
	scratch_load_b128 v[6:9], off, off offset:192
	scratch_load_b128 v[40:43], off, off offset:176
	v_mov_b32_e32 v1, 0
	s_mov_b32 s2, exec_lo
	ds_load_b128 v[44:47], v1 offset:400
	s_wait_loadcnt_dscnt 0x100
	v_mul_f64_e32 v[2:3], v[46:47], v[8:9]
	v_mul_f64_e32 v[8:9], v[44:45], v[8:9]
	s_delay_alu instid0(VALU_DEP_2) | instskip(NEXT) | instid1(VALU_DEP_2)
	v_fma_f64 v[2:3], v[44:45], v[6:7], -v[2:3]
	v_fma_f64 v[6:7], v[46:47], v[6:7], v[8:9]
	s_delay_alu instid0(VALU_DEP_2) | instskip(NEXT) | instid1(VALU_DEP_2)
	v_add_f64_e32 v[2:3], 0, v[2:3]
	v_add_f64_e32 v[8:9], 0, v[6:7]
	s_wait_loadcnt 0x0
	s_delay_alu instid0(VALU_DEP_2) | instskip(NEXT) | instid1(VALU_DEP_2)
	v_add_f64_e64 v[6:7], v[40:41], -v[2:3]
	v_add_f64_e64 v[8:9], v[42:43], -v[8:9]
	scratch_store_b128 off, v[6:9], off offset:176
	v_cmpx_lt_u32_e32 10, v39
	s_cbranch_execz .LBB76_71
; %bb.70:
	scratch_load_b128 v[6:9], off, s13
	v_dual_mov_b32 v2, v1 :: v_dual_mov_b32 v3, v1
	v_mov_b32_e32 v4, v1
	scratch_store_b128 off, v[1:4], off offset:160
	s_wait_loadcnt 0x0
	ds_store_b128 v5, v[6:9]
.LBB76_71:
	s_wait_alu 0xfffe
	s_or_b32 exec_lo, exec_lo, s2
	s_wait_storecnt_dscnt 0x0
	s_barrier_signal -1
	s_barrier_wait -1
	global_inv scope:SCOPE_SE
	s_clause 0x2
	scratch_load_b128 v[6:9], off, off offset:176
	scratch_load_b128 v[40:43], off, off offset:192
	;; [unrolled: 1-line block ×3, first 2 shown]
	ds_load_b128 v[48:51], v1 offset:384
	ds_load_b128 v[1:4], v1 offset:400
	s_mov_b32 s2, exec_lo
	s_wait_loadcnt_dscnt 0x201
	v_mul_f64_e32 v[10:11], v[50:51], v[8:9]
	v_mul_f64_e32 v[8:9], v[48:49], v[8:9]
	s_wait_loadcnt_dscnt 0x100
	v_mul_f64_e32 v[52:53], v[1:2], v[42:43]
	v_mul_f64_e32 v[42:43], v[3:4], v[42:43]
	s_delay_alu instid0(VALU_DEP_4) | instskip(NEXT) | instid1(VALU_DEP_4)
	v_fma_f64 v[10:11], v[48:49], v[6:7], -v[10:11]
	v_fma_f64 v[6:7], v[50:51], v[6:7], v[8:9]
	s_delay_alu instid0(VALU_DEP_4) | instskip(NEXT) | instid1(VALU_DEP_4)
	v_fma_f64 v[3:4], v[3:4], v[40:41], v[52:53]
	v_fma_f64 v[1:2], v[1:2], v[40:41], -v[42:43]
	s_delay_alu instid0(VALU_DEP_4) | instskip(NEXT) | instid1(VALU_DEP_4)
	v_add_f64_e32 v[8:9], 0, v[10:11]
	v_add_f64_e32 v[6:7], 0, v[6:7]
	s_delay_alu instid0(VALU_DEP_2) | instskip(NEXT) | instid1(VALU_DEP_2)
	v_add_f64_e32 v[1:2], v[8:9], v[1:2]
	v_add_f64_e32 v[3:4], v[6:7], v[3:4]
	s_wait_loadcnt 0x0
	s_delay_alu instid0(VALU_DEP_2) | instskip(NEXT) | instid1(VALU_DEP_2)
	v_add_f64_e64 v[1:2], v[44:45], -v[1:2]
	v_add_f64_e64 v[3:4], v[46:47], -v[3:4]
	scratch_store_b128 off, v[1:4], off offset:160
	v_cmpx_lt_u32_e32 9, v39
	s_cbranch_execz .LBB76_73
; %bb.72:
	scratch_load_b128 v[1:4], off, s18
	v_mov_b32_e32 v6, 0
	s_delay_alu instid0(VALU_DEP_1)
	v_dual_mov_b32 v7, v6 :: v_dual_mov_b32 v8, v6
	v_mov_b32_e32 v9, v6
	scratch_store_b128 off, v[6:9], off offset:144
	s_wait_loadcnt 0x0
	ds_store_b128 v5, v[1:4]
.LBB76_73:
	s_wait_alu 0xfffe
	s_or_b32 exec_lo, exec_lo, s2
	s_wait_storecnt_dscnt 0x0
	s_barrier_signal -1
	s_barrier_wait -1
	global_inv scope:SCOPE_SE
	s_clause 0x3
	scratch_load_b128 v[6:9], off, off offset:160
	scratch_load_b128 v[40:43], off, off offset:176
	scratch_load_b128 v[44:47], off, off offset:192
	scratch_load_b128 v[48:51], off, off offset:144
	v_mov_b32_e32 v1, 0
	ds_load_b128 v[52:55], v1 offset:368
	ds_load_b128 v[56:59], v1 offset:384
	s_mov_b32 s2, exec_lo
	s_wait_loadcnt_dscnt 0x301
	v_mul_f64_e32 v[2:3], v[54:55], v[8:9]
	v_mul_f64_e32 v[8:9], v[52:53], v[8:9]
	s_wait_loadcnt_dscnt 0x200
	v_mul_f64_e32 v[10:11], v[56:57], v[42:43]
	v_mul_f64_e32 v[42:43], v[58:59], v[42:43]
	s_delay_alu instid0(VALU_DEP_4) | instskip(NEXT) | instid1(VALU_DEP_4)
	v_fma_f64 v[2:3], v[52:53], v[6:7], -v[2:3]
	v_fma_f64 v[52:53], v[54:55], v[6:7], v[8:9]
	ds_load_b128 v[6:9], v1 offset:400
	v_fma_f64 v[10:11], v[58:59], v[40:41], v[10:11]
	v_fma_f64 v[40:41], v[56:57], v[40:41], -v[42:43]
	s_wait_loadcnt_dscnt 0x100
	v_mul_f64_e32 v[54:55], v[6:7], v[46:47]
	v_mul_f64_e32 v[46:47], v[8:9], v[46:47]
	v_add_f64_e32 v[2:3], 0, v[2:3]
	v_add_f64_e32 v[42:43], 0, v[52:53]
	s_delay_alu instid0(VALU_DEP_4) | instskip(NEXT) | instid1(VALU_DEP_4)
	v_fma_f64 v[8:9], v[8:9], v[44:45], v[54:55]
	v_fma_f64 v[6:7], v[6:7], v[44:45], -v[46:47]
	s_delay_alu instid0(VALU_DEP_4) | instskip(NEXT) | instid1(VALU_DEP_4)
	v_add_f64_e32 v[2:3], v[2:3], v[40:41]
	v_add_f64_e32 v[10:11], v[42:43], v[10:11]
	s_delay_alu instid0(VALU_DEP_2) | instskip(NEXT) | instid1(VALU_DEP_2)
	v_add_f64_e32 v[2:3], v[2:3], v[6:7]
	v_add_f64_e32 v[8:9], v[10:11], v[8:9]
	s_wait_loadcnt 0x0
	s_delay_alu instid0(VALU_DEP_2) | instskip(NEXT) | instid1(VALU_DEP_2)
	v_add_f64_e64 v[6:7], v[48:49], -v[2:3]
	v_add_f64_e64 v[8:9], v[50:51], -v[8:9]
	scratch_store_b128 off, v[6:9], off offset:144
	v_cmpx_lt_u32_e32 8, v39
	s_cbranch_execz .LBB76_75
; %bb.74:
	scratch_load_b128 v[6:9], off, s12
	v_dual_mov_b32 v2, v1 :: v_dual_mov_b32 v3, v1
	v_mov_b32_e32 v4, v1
	scratch_store_b128 off, v[1:4], off offset:128
	s_wait_loadcnt 0x0
	ds_store_b128 v5, v[6:9]
.LBB76_75:
	s_wait_alu 0xfffe
	s_or_b32 exec_lo, exec_lo, s2
	s_wait_storecnt_dscnt 0x0
	s_barrier_signal -1
	s_barrier_wait -1
	global_inv scope:SCOPE_SE
	s_clause 0x4
	scratch_load_b128 v[6:9], off, off offset:144
	scratch_load_b128 v[40:43], off, off offset:160
	;; [unrolled: 1-line block ×5, first 2 shown]
	ds_load_b128 v[56:59], v1 offset:352
	ds_load_b128 v[60:63], v1 offset:368
	s_mov_b32 s2, exec_lo
	s_wait_loadcnt_dscnt 0x401
	v_mul_f64_e32 v[2:3], v[58:59], v[8:9]
	v_mul_f64_e32 v[8:9], v[56:57], v[8:9]
	s_wait_loadcnt_dscnt 0x300
	v_mul_f64_e32 v[10:11], v[60:61], v[42:43]
	v_mul_f64_e32 v[42:43], v[62:63], v[42:43]
	s_delay_alu instid0(VALU_DEP_4) | instskip(NEXT) | instid1(VALU_DEP_4)
	v_fma_f64 v[56:57], v[56:57], v[6:7], -v[2:3]
	v_fma_f64 v[58:59], v[58:59], v[6:7], v[8:9]
	ds_load_b128 v[6:9], v1 offset:384
	ds_load_b128 v[1:4], v1 offset:400
	v_fma_f64 v[10:11], v[62:63], v[40:41], v[10:11]
	v_fma_f64 v[40:41], v[60:61], v[40:41], -v[42:43]
	s_wait_loadcnt_dscnt 0x201
	v_mul_f64_e32 v[64:65], v[6:7], v[46:47]
	v_mul_f64_e32 v[46:47], v[8:9], v[46:47]
	v_add_f64_e32 v[42:43], 0, v[56:57]
	v_add_f64_e32 v[56:57], 0, v[58:59]
	s_wait_loadcnt_dscnt 0x100
	v_mul_f64_e32 v[58:59], v[1:2], v[50:51]
	v_mul_f64_e32 v[50:51], v[3:4], v[50:51]
	v_fma_f64 v[8:9], v[8:9], v[44:45], v[64:65]
	v_fma_f64 v[6:7], v[6:7], v[44:45], -v[46:47]
	v_add_f64_e32 v[40:41], v[42:43], v[40:41]
	v_add_f64_e32 v[10:11], v[56:57], v[10:11]
	v_fma_f64 v[3:4], v[3:4], v[48:49], v[58:59]
	v_fma_f64 v[1:2], v[1:2], v[48:49], -v[50:51]
	s_delay_alu instid0(VALU_DEP_4) | instskip(NEXT) | instid1(VALU_DEP_4)
	v_add_f64_e32 v[6:7], v[40:41], v[6:7]
	v_add_f64_e32 v[8:9], v[10:11], v[8:9]
	s_delay_alu instid0(VALU_DEP_2) | instskip(NEXT) | instid1(VALU_DEP_2)
	v_add_f64_e32 v[1:2], v[6:7], v[1:2]
	v_add_f64_e32 v[3:4], v[8:9], v[3:4]
	s_wait_loadcnt 0x0
	s_delay_alu instid0(VALU_DEP_2) | instskip(NEXT) | instid1(VALU_DEP_2)
	v_add_f64_e64 v[1:2], v[52:53], -v[1:2]
	v_add_f64_e64 v[3:4], v[54:55], -v[3:4]
	scratch_store_b128 off, v[1:4], off offset:128
	v_cmpx_lt_u32_e32 7, v39
	s_cbranch_execz .LBB76_77
; %bb.76:
	scratch_load_b128 v[1:4], off, s17
	v_mov_b32_e32 v6, 0
	s_delay_alu instid0(VALU_DEP_1)
	v_dual_mov_b32 v7, v6 :: v_dual_mov_b32 v8, v6
	v_mov_b32_e32 v9, v6
	scratch_store_b128 off, v[6:9], off offset:112
	s_wait_loadcnt 0x0
	ds_store_b128 v5, v[1:4]
.LBB76_77:
	s_wait_alu 0xfffe
	s_or_b32 exec_lo, exec_lo, s2
	s_wait_storecnt_dscnt 0x0
	s_barrier_signal -1
	s_barrier_wait -1
	global_inv scope:SCOPE_SE
	s_clause 0x5
	scratch_load_b128 v[6:9], off, off offset:128
	scratch_load_b128 v[40:43], off, off offset:144
	scratch_load_b128 v[44:47], off, off offset:160
	scratch_load_b128 v[48:51], off, off offset:176
	scratch_load_b128 v[52:55], off, off offset:192
	scratch_load_b128 v[56:59], off, off offset:112
	v_mov_b32_e32 v1, 0
	ds_load_b128 v[60:63], v1 offset:336
	ds_load_b128 v[64:67], v1 offset:352
	s_mov_b32 s2, exec_lo
	s_wait_loadcnt_dscnt 0x501
	v_mul_f64_e32 v[2:3], v[62:63], v[8:9]
	v_mul_f64_e32 v[8:9], v[60:61], v[8:9]
	s_wait_loadcnt_dscnt 0x400
	v_mul_f64_e32 v[10:11], v[64:65], v[42:43]
	v_mul_f64_e32 v[42:43], v[66:67], v[42:43]
	s_delay_alu instid0(VALU_DEP_4) | instskip(NEXT) | instid1(VALU_DEP_4)
	v_fma_f64 v[2:3], v[60:61], v[6:7], -v[2:3]
	v_fma_f64 v[68:69], v[62:63], v[6:7], v[8:9]
	ds_load_b128 v[6:9], v1 offset:368
	ds_load_b128 v[60:63], v1 offset:384
	v_fma_f64 v[10:11], v[66:67], v[40:41], v[10:11]
	v_fma_f64 v[40:41], v[64:65], v[40:41], -v[42:43]
	s_wait_loadcnt_dscnt 0x301
	v_mul_f64_e32 v[70:71], v[6:7], v[46:47]
	v_mul_f64_e32 v[46:47], v[8:9], v[46:47]
	s_wait_loadcnt_dscnt 0x200
	v_mul_f64_e32 v[64:65], v[60:61], v[50:51]
	v_mul_f64_e32 v[50:51], v[62:63], v[50:51]
	v_add_f64_e32 v[2:3], 0, v[2:3]
	v_add_f64_e32 v[42:43], 0, v[68:69]
	v_fma_f64 v[66:67], v[8:9], v[44:45], v[70:71]
	v_fma_f64 v[44:45], v[6:7], v[44:45], -v[46:47]
	ds_load_b128 v[6:9], v1 offset:400
	v_fma_f64 v[46:47], v[62:63], v[48:49], v[64:65]
	v_fma_f64 v[48:49], v[60:61], v[48:49], -v[50:51]
	v_add_f64_e32 v[2:3], v[2:3], v[40:41]
	v_add_f64_e32 v[10:11], v[42:43], v[10:11]
	s_wait_loadcnt_dscnt 0x100
	v_mul_f64_e32 v[40:41], v[6:7], v[54:55]
	v_mul_f64_e32 v[42:43], v[8:9], v[54:55]
	s_delay_alu instid0(VALU_DEP_4) | instskip(NEXT) | instid1(VALU_DEP_4)
	v_add_f64_e32 v[2:3], v[2:3], v[44:45]
	v_add_f64_e32 v[10:11], v[10:11], v[66:67]
	s_delay_alu instid0(VALU_DEP_4) | instskip(NEXT) | instid1(VALU_DEP_4)
	v_fma_f64 v[8:9], v[8:9], v[52:53], v[40:41]
	v_fma_f64 v[6:7], v[6:7], v[52:53], -v[42:43]
	s_delay_alu instid0(VALU_DEP_4) | instskip(NEXT) | instid1(VALU_DEP_4)
	v_add_f64_e32 v[2:3], v[2:3], v[48:49]
	v_add_f64_e32 v[10:11], v[10:11], v[46:47]
	s_delay_alu instid0(VALU_DEP_2) | instskip(NEXT) | instid1(VALU_DEP_2)
	v_add_f64_e32 v[2:3], v[2:3], v[6:7]
	v_add_f64_e32 v[8:9], v[10:11], v[8:9]
	s_wait_loadcnt 0x0
	s_delay_alu instid0(VALU_DEP_2) | instskip(NEXT) | instid1(VALU_DEP_2)
	v_add_f64_e64 v[6:7], v[56:57], -v[2:3]
	v_add_f64_e64 v[8:9], v[58:59], -v[8:9]
	scratch_store_b128 off, v[6:9], off offset:112
	v_cmpx_lt_u32_e32 6, v39
	s_cbranch_execz .LBB76_79
; %bb.78:
	scratch_load_b128 v[6:9], off, s5
	v_dual_mov_b32 v2, v1 :: v_dual_mov_b32 v3, v1
	v_mov_b32_e32 v4, v1
	scratch_store_b128 off, v[1:4], off offset:96
	s_wait_loadcnt 0x0
	ds_store_b128 v5, v[6:9]
.LBB76_79:
	s_wait_alu 0xfffe
	s_or_b32 exec_lo, exec_lo, s2
	s_wait_storecnt_dscnt 0x0
	s_barrier_signal -1
	s_barrier_wait -1
	global_inv scope:SCOPE_SE
	s_clause 0x5
	scratch_load_b128 v[6:9], off, off offset:112
	scratch_load_b128 v[40:43], off, off offset:128
	;; [unrolled: 1-line block ×6, first 2 shown]
	ds_load_b128 v[60:63], v1 offset:320
	ds_load_b128 v[68:71], v1 offset:336
	scratch_load_b128 v[64:67], off, off offset:96
	s_mov_b32 s2, exec_lo
	s_wait_loadcnt_dscnt 0x601
	v_mul_f64_e32 v[2:3], v[62:63], v[8:9]
	v_mul_f64_e32 v[8:9], v[60:61], v[8:9]
	s_wait_loadcnt_dscnt 0x500
	v_mul_f64_e32 v[10:11], v[68:69], v[42:43]
	v_mul_f64_e32 v[42:43], v[70:71], v[42:43]
	s_delay_alu instid0(VALU_DEP_4) | instskip(NEXT) | instid1(VALU_DEP_4)
	v_fma_f64 v[2:3], v[60:61], v[6:7], -v[2:3]
	v_fma_f64 v[72:73], v[62:63], v[6:7], v[8:9]
	ds_load_b128 v[6:9], v1 offset:352
	ds_load_b128 v[60:63], v1 offset:368
	v_fma_f64 v[10:11], v[70:71], v[40:41], v[10:11]
	v_fma_f64 v[40:41], v[68:69], v[40:41], -v[42:43]
	s_wait_loadcnt_dscnt 0x401
	v_mul_f64_e32 v[74:75], v[6:7], v[46:47]
	v_mul_f64_e32 v[46:47], v[8:9], v[46:47]
	s_wait_loadcnt_dscnt 0x300
	v_mul_f64_e32 v[68:69], v[60:61], v[50:51]
	v_mul_f64_e32 v[50:51], v[62:63], v[50:51]
	v_add_f64_e32 v[2:3], 0, v[2:3]
	v_add_f64_e32 v[42:43], 0, v[72:73]
	v_fma_f64 v[70:71], v[8:9], v[44:45], v[74:75]
	v_fma_f64 v[44:45], v[6:7], v[44:45], -v[46:47]
	s_delay_alu instid0(VALU_DEP_4) | instskip(NEXT) | instid1(VALU_DEP_4)
	v_add_f64_e32 v[40:41], v[2:3], v[40:41]
	v_add_f64_e32 v[10:11], v[42:43], v[10:11]
	ds_load_b128 v[6:9], v1 offset:384
	ds_load_b128 v[1:4], v1 offset:400
	s_wait_loadcnt_dscnt 0x201
	v_mul_f64_e32 v[42:43], v[6:7], v[54:55]
	v_mul_f64_e32 v[46:47], v[8:9], v[54:55]
	v_fma_f64 v[54:55], v[62:63], v[48:49], v[68:69]
	v_fma_f64 v[48:49], v[60:61], v[48:49], -v[50:51]
	s_wait_loadcnt_dscnt 0x100
	v_mul_f64_e32 v[50:51], v[3:4], v[58:59]
	v_add_f64_e32 v[40:41], v[40:41], v[44:45]
	v_add_f64_e32 v[10:11], v[10:11], v[70:71]
	v_mul_f64_e32 v[44:45], v[1:2], v[58:59]
	v_fma_f64 v[8:9], v[8:9], v[52:53], v[42:43]
	v_fma_f64 v[6:7], v[6:7], v[52:53], -v[46:47]
	v_fma_f64 v[1:2], v[1:2], v[56:57], -v[50:51]
	v_add_f64_e32 v[40:41], v[40:41], v[48:49]
	v_add_f64_e32 v[10:11], v[10:11], v[54:55]
	v_fma_f64 v[3:4], v[3:4], v[56:57], v[44:45]
	s_delay_alu instid0(VALU_DEP_3) | instskip(NEXT) | instid1(VALU_DEP_3)
	v_add_f64_e32 v[6:7], v[40:41], v[6:7]
	v_add_f64_e32 v[8:9], v[10:11], v[8:9]
	s_delay_alu instid0(VALU_DEP_2) | instskip(NEXT) | instid1(VALU_DEP_2)
	v_add_f64_e32 v[1:2], v[6:7], v[1:2]
	v_add_f64_e32 v[3:4], v[8:9], v[3:4]
	s_wait_loadcnt 0x0
	s_delay_alu instid0(VALU_DEP_2) | instskip(NEXT) | instid1(VALU_DEP_2)
	v_add_f64_e64 v[1:2], v[64:65], -v[1:2]
	v_add_f64_e64 v[3:4], v[66:67], -v[3:4]
	scratch_store_b128 off, v[1:4], off offset:96
	v_cmpx_lt_u32_e32 5, v39
	s_cbranch_execz .LBB76_81
; %bb.80:
	scratch_load_b128 v[1:4], off, s16
	v_mov_b32_e32 v6, 0
	s_delay_alu instid0(VALU_DEP_1)
	v_dual_mov_b32 v7, v6 :: v_dual_mov_b32 v8, v6
	v_mov_b32_e32 v9, v6
	scratch_store_b128 off, v[6:9], off offset:80
	s_wait_loadcnt 0x0
	ds_store_b128 v5, v[1:4]
.LBB76_81:
	s_wait_alu 0xfffe
	s_or_b32 exec_lo, exec_lo, s2
	s_wait_storecnt_dscnt 0x0
	s_barrier_signal -1
	s_barrier_wait -1
	global_inv scope:SCOPE_SE
	s_clause 0x6
	scratch_load_b128 v[6:9], off, off offset:96
	scratch_load_b128 v[40:43], off, off offset:112
	scratch_load_b128 v[44:47], off, off offset:128
	scratch_load_b128 v[48:51], off, off offset:144
	scratch_load_b128 v[52:55], off, off offset:160
	scratch_load_b128 v[56:59], off, off offset:176
	scratch_load_b128 v[60:63], off, off offset:192
	v_mov_b32_e32 v1, 0
	scratch_load_b128 v[68:71], off, off offset:80
	s_mov_b32 s2, exec_lo
	ds_load_b128 v[64:67], v1 offset:304
	ds_load_b128 v[72:75], v1 offset:320
	s_wait_loadcnt_dscnt 0x701
	v_mul_f64_e32 v[2:3], v[66:67], v[8:9]
	v_mul_f64_e32 v[8:9], v[64:65], v[8:9]
	s_wait_loadcnt_dscnt 0x600
	v_mul_f64_e32 v[10:11], v[72:73], v[42:43]
	v_mul_f64_e32 v[42:43], v[74:75], v[42:43]
	s_delay_alu instid0(VALU_DEP_4) | instskip(NEXT) | instid1(VALU_DEP_4)
	v_fma_f64 v[2:3], v[64:65], v[6:7], -v[2:3]
	v_fma_f64 v[76:77], v[66:67], v[6:7], v[8:9]
	ds_load_b128 v[6:9], v1 offset:336
	ds_load_b128 v[64:67], v1 offset:352
	v_fma_f64 v[10:11], v[74:75], v[40:41], v[10:11]
	v_fma_f64 v[40:41], v[72:73], v[40:41], -v[42:43]
	s_wait_loadcnt_dscnt 0x501
	v_mul_f64_e32 v[78:79], v[6:7], v[46:47]
	v_mul_f64_e32 v[46:47], v[8:9], v[46:47]
	s_wait_loadcnt_dscnt 0x400
	v_mul_f64_e32 v[72:73], v[64:65], v[50:51]
	v_mul_f64_e32 v[50:51], v[66:67], v[50:51]
	v_add_f64_e32 v[2:3], 0, v[2:3]
	v_add_f64_e32 v[42:43], 0, v[76:77]
	v_fma_f64 v[74:75], v[8:9], v[44:45], v[78:79]
	v_fma_f64 v[44:45], v[6:7], v[44:45], -v[46:47]
	v_fma_f64 v[66:67], v[66:67], v[48:49], v[72:73]
	v_fma_f64 v[48:49], v[64:65], v[48:49], -v[50:51]
	v_add_f64_e32 v[2:3], v[2:3], v[40:41]
	v_add_f64_e32 v[10:11], v[42:43], v[10:11]
	ds_load_b128 v[6:9], v1 offset:368
	ds_load_b128 v[40:43], v1 offset:384
	s_wait_loadcnt_dscnt 0x301
	v_mul_f64_e32 v[46:47], v[6:7], v[54:55]
	v_mul_f64_e32 v[54:55], v[8:9], v[54:55]
	s_wait_loadcnt_dscnt 0x200
	v_mul_f64_e32 v[50:51], v[42:43], v[58:59]
	v_add_f64_e32 v[2:3], v[2:3], v[44:45]
	v_add_f64_e32 v[10:11], v[10:11], v[74:75]
	v_mul_f64_e32 v[44:45], v[40:41], v[58:59]
	v_fma_f64 v[46:47], v[8:9], v[52:53], v[46:47]
	v_fma_f64 v[52:53], v[6:7], v[52:53], -v[54:55]
	ds_load_b128 v[6:9], v1 offset:400
	v_fma_f64 v[40:41], v[40:41], v[56:57], -v[50:51]
	v_add_f64_e32 v[2:3], v[2:3], v[48:49]
	v_add_f64_e32 v[10:11], v[10:11], v[66:67]
	v_fma_f64 v[42:43], v[42:43], v[56:57], v[44:45]
	s_wait_loadcnt_dscnt 0x100
	v_mul_f64_e32 v[48:49], v[6:7], v[62:63]
	v_mul_f64_e32 v[54:55], v[8:9], v[62:63]
	v_add_f64_e32 v[2:3], v[2:3], v[52:53]
	v_add_f64_e32 v[10:11], v[10:11], v[46:47]
	s_delay_alu instid0(VALU_DEP_4) | instskip(NEXT) | instid1(VALU_DEP_4)
	v_fma_f64 v[8:9], v[8:9], v[60:61], v[48:49]
	v_fma_f64 v[6:7], v[6:7], v[60:61], -v[54:55]
	s_delay_alu instid0(VALU_DEP_4) | instskip(NEXT) | instid1(VALU_DEP_4)
	v_add_f64_e32 v[2:3], v[2:3], v[40:41]
	v_add_f64_e32 v[10:11], v[10:11], v[42:43]
	s_delay_alu instid0(VALU_DEP_2) | instskip(NEXT) | instid1(VALU_DEP_2)
	v_add_f64_e32 v[2:3], v[2:3], v[6:7]
	v_add_f64_e32 v[8:9], v[10:11], v[8:9]
	s_wait_loadcnt 0x0
	s_delay_alu instid0(VALU_DEP_2) | instskip(NEXT) | instid1(VALU_DEP_2)
	v_add_f64_e64 v[6:7], v[68:69], -v[2:3]
	v_add_f64_e64 v[8:9], v[70:71], -v[8:9]
	scratch_store_b128 off, v[6:9], off offset:80
	v_cmpx_lt_u32_e32 4, v39
	s_cbranch_execz .LBB76_83
; %bb.82:
	scratch_load_b128 v[6:9], off, s4
	v_dual_mov_b32 v2, v1 :: v_dual_mov_b32 v3, v1
	v_mov_b32_e32 v4, v1
	scratch_store_b128 off, v[1:4], off offset:64
	s_wait_loadcnt 0x0
	ds_store_b128 v5, v[6:9]
.LBB76_83:
	s_wait_alu 0xfffe
	s_or_b32 exec_lo, exec_lo, s2
	s_wait_storecnt_dscnt 0x0
	s_barrier_signal -1
	s_barrier_wait -1
	global_inv scope:SCOPE_SE
	s_clause 0x7
	scratch_load_b128 v[6:9], off, off offset:80
	scratch_load_b128 v[40:43], off, off offset:96
	scratch_load_b128 v[44:47], off, off offset:112
	scratch_load_b128 v[48:51], off, off offset:128
	scratch_load_b128 v[52:55], off, off offset:144
	scratch_load_b128 v[56:59], off, off offset:160
	scratch_load_b128 v[60:63], off, off offset:176
	scratch_load_b128 v[64:67], off, off offset:192
	ds_load_b128 v[68:71], v1 offset:288
	ds_load_b128 v[72:75], v1 offset:304
	scratch_load_b128 v[76:79], off, off offset:64
	s_mov_b32 s2, exec_lo
	s_wait_loadcnt_dscnt 0x801
	v_mul_f64_e32 v[2:3], v[70:71], v[8:9]
	v_mul_f64_e32 v[8:9], v[68:69], v[8:9]
	s_wait_loadcnt_dscnt 0x700
	v_mul_f64_e32 v[10:11], v[72:73], v[42:43]
	v_mul_f64_e32 v[42:43], v[74:75], v[42:43]
	s_delay_alu instid0(VALU_DEP_4) | instskip(NEXT) | instid1(VALU_DEP_4)
	v_fma_f64 v[2:3], v[68:69], v[6:7], -v[2:3]
	v_fma_f64 v[80:81], v[70:71], v[6:7], v[8:9]
	ds_load_b128 v[6:9], v1 offset:320
	ds_load_b128 v[68:71], v1 offset:336
	v_fma_f64 v[10:11], v[74:75], v[40:41], v[10:11]
	v_fma_f64 v[40:41], v[72:73], v[40:41], -v[42:43]
	s_wait_loadcnt_dscnt 0x601
	v_mul_f64_e32 v[82:83], v[6:7], v[46:47]
	v_mul_f64_e32 v[46:47], v[8:9], v[46:47]
	s_wait_loadcnt_dscnt 0x500
	v_mul_f64_e32 v[72:73], v[68:69], v[50:51]
	v_mul_f64_e32 v[50:51], v[70:71], v[50:51]
	v_add_f64_e32 v[2:3], 0, v[2:3]
	v_add_f64_e32 v[42:43], 0, v[80:81]
	v_fma_f64 v[74:75], v[8:9], v[44:45], v[82:83]
	v_fma_f64 v[44:45], v[6:7], v[44:45], -v[46:47]
	v_fma_f64 v[70:71], v[70:71], v[48:49], v[72:73]
	v_fma_f64 v[48:49], v[68:69], v[48:49], -v[50:51]
	v_add_f64_e32 v[2:3], v[2:3], v[40:41]
	v_add_f64_e32 v[10:11], v[42:43], v[10:11]
	ds_load_b128 v[6:9], v1 offset:352
	ds_load_b128 v[40:43], v1 offset:368
	s_wait_loadcnt_dscnt 0x401
	v_mul_f64_e32 v[46:47], v[6:7], v[54:55]
	v_mul_f64_e32 v[54:55], v[8:9], v[54:55]
	s_wait_loadcnt_dscnt 0x300
	v_mul_f64_e32 v[50:51], v[42:43], v[58:59]
	v_add_f64_e32 v[2:3], v[2:3], v[44:45]
	v_add_f64_e32 v[10:11], v[10:11], v[74:75]
	v_mul_f64_e32 v[44:45], v[40:41], v[58:59]
	v_fma_f64 v[46:47], v[8:9], v[52:53], v[46:47]
	v_fma_f64 v[52:53], v[6:7], v[52:53], -v[54:55]
	v_fma_f64 v[40:41], v[40:41], v[56:57], -v[50:51]
	v_add_f64_e32 v[48:49], v[2:3], v[48:49]
	v_add_f64_e32 v[10:11], v[10:11], v[70:71]
	ds_load_b128 v[6:9], v1 offset:384
	ds_load_b128 v[1:4], v1 offset:400
	v_fma_f64 v[42:43], v[42:43], v[56:57], v[44:45]
	s_wait_loadcnt_dscnt 0x201
	v_mul_f64_e32 v[54:55], v[6:7], v[62:63]
	v_mul_f64_e32 v[58:59], v[8:9], v[62:63]
	v_add_f64_e32 v[44:45], v[48:49], v[52:53]
	v_add_f64_e32 v[10:11], v[10:11], v[46:47]
	s_wait_loadcnt_dscnt 0x100
	v_mul_f64_e32 v[46:47], v[1:2], v[66:67]
	v_mul_f64_e32 v[48:49], v[3:4], v[66:67]
	v_fma_f64 v[8:9], v[8:9], v[60:61], v[54:55]
	v_fma_f64 v[6:7], v[6:7], v[60:61], -v[58:59]
	v_add_f64_e32 v[40:41], v[44:45], v[40:41]
	v_add_f64_e32 v[10:11], v[10:11], v[42:43]
	v_fma_f64 v[3:4], v[3:4], v[64:65], v[46:47]
	v_fma_f64 v[1:2], v[1:2], v[64:65], -v[48:49]
	s_delay_alu instid0(VALU_DEP_4) | instskip(NEXT) | instid1(VALU_DEP_4)
	v_add_f64_e32 v[6:7], v[40:41], v[6:7]
	v_add_f64_e32 v[8:9], v[10:11], v[8:9]
	s_delay_alu instid0(VALU_DEP_2) | instskip(NEXT) | instid1(VALU_DEP_2)
	v_add_f64_e32 v[1:2], v[6:7], v[1:2]
	v_add_f64_e32 v[3:4], v[8:9], v[3:4]
	s_wait_loadcnt 0x0
	s_delay_alu instid0(VALU_DEP_2) | instskip(NEXT) | instid1(VALU_DEP_2)
	v_add_f64_e64 v[1:2], v[76:77], -v[1:2]
	v_add_f64_e64 v[3:4], v[78:79], -v[3:4]
	scratch_store_b128 off, v[1:4], off offset:64
	v_cmpx_lt_u32_e32 3, v39
	s_cbranch_execz .LBB76_85
; %bb.84:
	scratch_load_b128 v[1:4], off, s15
	v_mov_b32_e32 v6, 0
	s_delay_alu instid0(VALU_DEP_1)
	v_dual_mov_b32 v7, v6 :: v_dual_mov_b32 v8, v6
	v_mov_b32_e32 v9, v6
	scratch_store_b128 off, v[6:9], off offset:48
	s_wait_loadcnt 0x0
	ds_store_b128 v5, v[1:4]
.LBB76_85:
	s_wait_alu 0xfffe
	s_or_b32 exec_lo, exec_lo, s2
	s_wait_storecnt_dscnt 0x0
	s_barrier_signal -1
	s_barrier_wait -1
	global_inv scope:SCOPE_SE
	s_clause 0x7
	scratch_load_b128 v[6:9], off, off offset:64
	scratch_load_b128 v[40:43], off, off offset:80
	;; [unrolled: 1-line block ×8, first 2 shown]
	v_mov_b32_e32 v1, 0
	s_mov_b32 s2, exec_lo
	ds_load_b128 v[68:71], v1 offset:272
	s_clause 0x1
	scratch_load_b128 v[72:75], off, off offset:192
	scratch_load_b128 v[76:79], off, off offset:48
	ds_load_b128 v[80:83], v1 offset:288
	s_wait_loadcnt_dscnt 0x901
	v_mul_f64_e32 v[2:3], v[70:71], v[8:9]
	v_mul_f64_e32 v[8:9], v[68:69], v[8:9]
	s_wait_loadcnt_dscnt 0x800
	v_mul_f64_e32 v[10:11], v[80:81], v[42:43]
	v_mul_f64_e32 v[42:43], v[82:83], v[42:43]
	s_delay_alu instid0(VALU_DEP_4) | instskip(NEXT) | instid1(VALU_DEP_4)
	v_fma_f64 v[2:3], v[68:69], v[6:7], -v[2:3]
	v_fma_f64 v[84:85], v[70:71], v[6:7], v[8:9]
	ds_load_b128 v[6:9], v1 offset:304
	ds_load_b128 v[68:71], v1 offset:320
	v_fma_f64 v[10:11], v[82:83], v[40:41], v[10:11]
	v_fma_f64 v[40:41], v[80:81], v[40:41], -v[42:43]
	s_wait_loadcnt_dscnt 0x701
	v_mul_f64_e32 v[86:87], v[6:7], v[46:47]
	v_mul_f64_e32 v[46:47], v[8:9], v[46:47]
	s_wait_loadcnt_dscnt 0x600
	v_mul_f64_e32 v[80:81], v[68:69], v[50:51]
	v_mul_f64_e32 v[50:51], v[70:71], v[50:51]
	v_add_f64_e32 v[2:3], 0, v[2:3]
	v_add_f64_e32 v[42:43], 0, v[84:85]
	v_fma_f64 v[82:83], v[8:9], v[44:45], v[86:87]
	v_fma_f64 v[44:45], v[6:7], v[44:45], -v[46:47]
	v_fma_f64 v[70:71], v[70:71], v[48:49], v[80:81]
	v_fma_f64 v[48:49], v[68:69], v[48:49], -v[50:51]
	v_add_f64_e32 v[2:3], v[2:3], v[40:41]
	v_add_f64_e32 v[10:11], v[42:43], v[10:11]
	ds_load_b128 v[6:9], v1 offset:336
	ds_load_b128 v[40:43], v1 offset:352
	s_wait_loadcnt_dscnt 0x501
	v_mul_f64_e32 v[46:47], v[6:7], v[54:55]
	v_mul_f64_e32 v[54:55], v[8:9], v[54:55]
	s_wait_loadcnt_dscnt 0x400
	v_mul_f64_e32 v[50:51], v[40:41], v[58:59]
	v_mul_f64_e32 v[58:59], v[42:43], v[58:59]
	v_add_f64_e32 v[2:3], v[2:3], v[44:45]
	v_add_f64_e32 v[10:11], v[10:11], v[82:83]
	v_fma_f64 v[68:69], v[8:9], v[52:53], v[46:47]
	v_fma_f64 v[52:53], v[6:7], v[52:53], -v[54:55]
	ds_load_b128 v[6:9], v1 offset:368
	ds_load_b128 v[44:47], v1 offset:384
	v_fma_f64 v[42:43], v[42:43], v[56:57], v[50:51]
	v_fma_f64 v[40:41], v[40:41], v[56:57], -v[58:59]
	v_add_f64_e32 v[2:3], v[2:3], v[48:49]
	v_add_f64_e32 v[10:11], v[10:11], v[70:71]
	s_wait_loadcnt_dscnt 0x301
	v_mul_f64_e32 v[48:49], v[6:7], v[62:63]
	v_mul_f64_e32 v[54:55], v[8:9], v[62:63]
	s_wait_loadcnt_dscnt 0x200
	v_mul_f64_e32 v[50:51], v[44:45], v[66:67]
	v_add_f64_e32 v[2:3], v[2:3], v[52:53]
	v_add_f64_e32 v[10:11], v[10:11], v[68:69]
	v_mul_f64_e32 v[52:53], v[46:47], v[66:67]
	v_fma_f64 v[48:49], v[8:9], v[60:61], v[48:49]
	v_fma_f64 v[54:55], v[6:7], v[60:61], -v[54:55]
	ds_load_b128 v[6:9], v1 offset:400
	v_fma_f64 v[46:47], v[46:47], v[64:65], v[50:51]
	v_add_f64_e32 v[2:3], v[2:3], v[40:41]
	v_add_f64_e32 v[10:11], v[10:11], v[42:43]
	s_wait_loadcnt_dscnt 0x100
	v_mul_f64_e32 v[40:41], v[6:7], v[74:75]
	v_mul_f64_e32 v[42:43], v[8:9], v[74:75]
	v_fma_f64 v[44:45], v[44:45], v[64:65], -v[52:53]
	v_add_f64_e32 v[2:3], v[2:3], v[54:55]
	v_add_f64_e32 v[10:11], v[10:11], v[48:49]
	v_fma_f64 v[8:9], v[8:9], v[72:73], v[40:41]
	v_fma_f64 v[6:7], v[6:7], v[72:73], -v[42:43]
	s_delay_alu instid0(VALU_DEP_4) | instskip(NEXT) | instid1(VALU_DEP_4)
	v_add_f64_e32 v[2:3], v[2:3], v[44:45]
	v_add_f64_e32 v[10:11], v[10:11], v[46:47]
	s_delay_alu instid0(VALU_DEP_2) | instskip(NEXT) | instid1(VALU_DEP_2)
	v_add_f64_e32 v[2:3], v[2:3], v[6:7]
	v_add_f64_e32 v[8:9], v[10:11], v[8:9]
	s_wait_loadcnt 0x0
	s_delay_alu instid0(VALU_DEP_2) | instskip(NEXT) | instid1(VALU_DEP_2)
	v_add_f64_e64 v[6:7], v[76:77], -v[2:3]
	v_add_f64_e64 v[8:9], v[78:79], -v[8:9]
	scratch_store_b128 off, v[6:9], off offset:48
	v_cmpx_lt_u32_e32 2, v39
	s_cbranch_execz .LBB76_87
; %bb.86:
	scratch_load_b128 v[6:9], off, s20
	v_dual_mov_b32 v2, v1 :: v_dual_mov_b32 v3, v1
	v_mov_b32_e32 v4, v1
	scratch_store_b128 off, v[1:4], off offset:32
	s_wait_loadcnt 0x0
	ds_store_b128 v5, v[6:9]
.LBB76_87:
	s_wait_alu 0xfffe
	s_or_b32 exec_lo, exec_lo, s2
	s_wait_storecnt_dscnt 0x0
	s_barrier_signal -1
	s_barrier_wait -1
	global_inv scope:SCOPE_SE
	s_clause 0x8
	scratch_load_b128 v[6:9], off, off offset:48
	scratch_load_b128 v[40:43], off, off offset:64
	;; [unrolled: 1-line block ×9, first 2 shown]
	ds_load_b128 v[72:75], v1 offset:256
	ds_load_b128 v[76:79], v1 offset:272
	scratch_load_b128 v[80:83], off, off offset:32
	s_mov_b32 s2, exec_lo
	s_wait_loadcnt_dscnt 0x901
	v_mul_f64_e32 v[2:3], v[74:75], v[8:9]
	v_mul_f64_e32 v[84:85], v[72:73], v[8:9]
	scratch_load_b128 v[8:11], off, off offset:192
	s_wait_loadcnt_dscnt 0x900
	v_mul_f64_e32 v[88:89], v[76:77], v[42:43]
	v_mul_f64_e32 v[42:43], v[78:79], v[42:43]
	v_fma_f64 v[2:3], v[72:73], v[6:7], -v[2:3]
	v_fma_f64 v[6:7], v[74:75], v[6:7], v[84:85]
	ds_load_b128 v[72:75], v1 offset:288
	ds_load_b128 v[84:87], v1 offset:304
	v_fma_f64 v[78:79], v[78:79], v[40:41], v[88:89]
	v_fma_f64 v[40:41], v[76:77], v[40:41], -v[42:43]
	s_wait_loadcnt_dscnt 0x801
	v_mul_f64_e32 v[90:91], v[72:73], v[46:47]
	v_mul_f64_e32 v[46:47], v[74:75], v[46:47]
	s_wait_loadcnt_dscnt 0x700
	v_mul_f64_e32 v[76:77], v[84:85], v[50:51]
	v_mul_f64_e32 v[50:51], v[86:87], v[50:51]
	v_add_f64_e32 v[2:3], 0, v[2:3]
	v_add_f64_e32 v[6:7], 0, v[6:7]
	v_fma_f64 v[74:75], v[74:75], v[44:45], v[90:91]
	v_fma_f64 v[72:73], v[72:73], v[44:45], -v[46:47]
	v_fma_f64 v[76:77], v[86:87], v[48:49], v[76:77]
	v_fma_f64 v[48:49], v[84:85], v[48:49], -v[50:51]
	v_add_f64_e32 v[2:3], v[2:3], v[40:41]
	v_add_f64_e32 v[6:7], v[6:7], v[78:79]
	ds_load_b128 v[40:43], v1 offset:320
	ds_load_b128 v[44:47], v1 offset:336
	s_wait_loadcnt_dscnt 0x601
	v_mul_f64_e32 v[78:79], v[40:41], v[54:55]
	v_mul_f64_e32 v[54:55], v[42:43], v[54:55]
	v_add_f64_e32 v[2:3], v[2:3], v[72:73]
	v_add_f64_e32 v[6:7], v[6:7], v[74:75]
	s_wait_loadcnt_dscnt 0x500
	v_mul_f64_e32 v[72:73], v[44:45], v[58:59]
	v_mul_f64_e32 v[58:59], v[46:47], v[58:59]
	v_fma_f64 v[74:75], v[42:43], v[52:53], v[78:79]
	v_fma_f64 v[52:53], v[40:41], v[52:53], -v[54:55]
	v_add_f64_e32 v[2:3], v[2:3], v[48:49]
	v_add_f64_e32 v[6:7], v[6:7], v[76:77]
	ds_load_b128 v[40:43], v1 offset:352
	ds_load_b128 v[48:51], v1 offset:368
	v_fma_f64 v[46:47], v[46:47], v[56:57], v[72:73]
	v_fma_f64 v[44:45], v[44:45], v[56:57], -v[58:59]
	s_wait_loadcnt_dscnt 0x401
	v_mul_f64_e32 v[54:55], v[40:41], v[62:63]
	v_mul_f64_e32 v[62:63], v[42:43], v[62:63]
	s_wait_loadcnt_dscnt 0x300
	v_mul_f64_e32 v[56:57], v[50:51], v[66:67]
	v_add_f64_e32 v[2:3], v[2:3], v[52:53]
	v_add_f64_e32 v[6:7], v[6:7], v[74:75]
	v_mul_f64_e32 v[52:53], v[48:49], v[66:67]
	v_fma_f64 v[54:55], v[42:43], v[60:61], v[54:55]
	v_fma_f64 v[58:59], v[40:41], v[60:61], -v[62:63]
	v_fma_f64 v[48:49], v[48:49], v[64:65], -v[56:57]
	v_add_f64_e32 v[44:45], v[2:3], v[44:45]
	v_add_f64_e32 v[6:7], v[6:7], v[46:47]
	ds_load_b128 v[40:43], v1 offset:384
	ds_load_b128 v[1:4], v1 offset:400
	v_fma_f64 v[50:51], v[50:51], v[64:65], v[52:53]
	s_wait_loadcnt_dscnt 0x201
	v_mul_f64_e32 v[46:47], v[40:41], v[70:71]
	v_mul_f64_e32 v[60:61], v[42:43], v[70:71]
	v_add_f64_e32 v[44:45], v[44:45], v[58:59]
	v_add_f64_e32 v[6:7], v[6:7], v[54:55]
	s_wait_loadcnt_dscnt 0x0
	v_mul_f64_e32 v[52:53], v[1:2], v[10:11]
	v_mul_f64_e32 v[10:11], v[3:4], v[10:11]
	v_fma_f64 v[42:43], v[42:43], v[68:69], v[46:47]
	v_fma_f64 v[40:41], v[40:41], v[68:69], -v[60:61]
	v_add_f64_e32 v[44:45], v[44:45], v[48:49]
	v_add_f64_e32 v[6:7], v[6:7], v[50:51]
	v_fma_f64 v[3:4], v[3:4], v[8:9], v[52:53]
	v_fma_f64 v[1:2], v[1:2], v[8:9], -v[10:11]
	s_delay_alu instid0(VALU_DEP_4) | instskip(NEXT) | instid1(VALU_DEP_4)
	v_add_f64_e32 v[8:9], v[44:45], v[40:41]
	v_add_f64_e32 v[6:7], v[6:7], v[42:43]
	s_delay_alu instid0(VALU_DEP_2) | instskip(NEXT) | instid1(VALU_DEP_2)
	v_add_f64_e32 v[1:2], v[8:9], v[1:2]
	v_add_f64_e32 v[3:4], v[6:7], v[3:4]
	s_delay_alu instid0(VALU_DEP_2) | instskip(NEXT) | instid1(VALU_DEP_2)
	v_add_f64_e64 v[1:2], v[80:81], -v[1:2]
	v_add_f64_e64 v[3:4], v[82:83], -v[3:4]
	scratch_store_b128 off, v[1:4], off offset:32
	v_cmpx_lt_u32_e32 1, v39
	s_cbranch_execz .LBB76_89
; %bb.88:
	scratch_load_b128 v[1:4], off, s21
	v_mov_b32_e32 v6, 0
	s_delay_alu instid0(VALU_DEP_1)
	v_dual_mov_b32 v7, v6 :: v_dual_mov_b32 v8, v6
	v_mov_b32_e32 v9, v6
	scratch_store_b128 off, v[6:9], off offset:16
	s_wait_loadcnt 0x0
	ds_store_b128 v5, v[1:4]
.LBB76_89:
	s_wait_alu 0xfffe
	s_or_b32 exec_lo, exec_lo, s2
	s_wait_storecnt_dscnt 0x0
	s_barrier_signal -1
	s_barrier_wait -1
	global_inv scope:SCOPE_SE
	s_clause 0x7
	scratch_load_b128 v[6:9], off, off offset:32
	scratch_load_b128 v[40:43], off, off offset:48
	;; [unrolled: 1-line block ×8, first 2 shown]
	v_mov_b32_e32 v1, 0
	s_mov_b32 s2, exec_lo
	ds_load_b128 v[68:71], v1 offset:240
	s_clause 0x1
	scratch_load_b128 v[72:75], off, off offset:160
	scratch_load_b128 v[76:79], off, off offset:16
	ds_load_b128 v[80:83], v1 offset:256
	ds_load_b128 v[88:91], v1 offset:288
	s_wait_loadcnt_dscnt 0x902
	v_mul_f64_e32 v[2:3], v[70:71], v[8:9]
	v_mul_f64_e32 v[84:85], v[68:69], v[8:9]
	scratch_load_b128 v[8:11], off, off offset:176
	v_fma_f64 v[2:3], v[68:69], v[6:7], -v[2:3]
	v_fma_f64 v[6:7], v[70:71], v[6:7], v[84:85]
	ds_load_b128 v[68:71], v1 offset:272
	s_wait_loadcnt_dscnt 0x902
	v_mul_f64_e32 v[92:93], v[80:81], v[42:43]
	v_mul_f64_e32 v[42:43], v[82:83], v[42:43]
	scratch_load_b128 v[84:87], off, off offset:192
	s_wait_loadcnt_dscnt 0x900
	v_mul_f64_e32 v[94:95], v[68:69], v[46:47]
	v_mul_f64_e32 v[46:47], v[70:71], v[46:47]
	v_add_f64_e32 v[2:3], 0, v[2:3]
	v_add_f64_e32 v[6:7], 0, v[6:7]
	v_fma_f64 v[82:83], v[82:83], v[40:41], v[92:93]
	v_fma_f64 v[40:41], v[80:81], v[40:41], -v[42:43]
	s_wait_loadcnt 0x8
	v_mul_f64_e32 v[80:81], v[88:89], v[50:51]
	v_mul_f64_e32 v[50:51], v[90:91], v[50:51]
	v_fma_f64 v[70:71], v[70:71], v[44:45], v[94:95]
	v_fma_f64 v[68:69], v[68:69], v[44:45], -v[46:47]
	v_add_f64_e32 v[6:7], v[6:7], v[82:83]
	v_add_f64_e32 v[2:3], v[2:3], v[40:41]
	ds_load_b128 v[40:43], v1 offset:304
	ds_load_b128 v[44:47], v1 offset:320
	v_fma_f64 v[80:81], v[90:91], v[48:49], v[80:81]
	v_fma_f64 v[48:49], v[88:89], v[48:49], -v[50:51]
	s_wait_loadcnt_dscnt 0x701
	v_mul_f64_e32 v[82:83], v[40:41], v[54:55]
	v_mul_f64_e32 v[54:55], v[42:43], v[54:55]
	v_add_f64_e32 v[6:7], v[6:7], v[70:71]
	v_add_f64_e32 v[2:3], v[2:3], v[68:69]
	s_wait_loadcnt_dscnt 0x600
	v_mul_f64_e32 v[68:69], v[44:45], v[58:59]
	v_mul_f64_e32 v[58:59], v[46:47], v[58:59]
	v_fma_f64 v[70:71], v[42:43], v[52:53], v[82:83]
	v_fma_f64 v[52:53], v[40:41], v[52:53], -v[54:55]
	v_add_f64_e32 v[6:7], v[6:7], v[80:81]
	v_add_f64_e32 v[2:3], v[2:3], v[48:49]
	ds_load_b128 v[40:43], v1 offset:336
	ds_load_b128 v[48:51], v1 offset:352
	v_fma_f64 v[46:47], v[46:47], v[56:57], v[68:69]
	v_fma_f64 v[44:45], v[44:45], v[56:57], -v[58:59]
	s_wait_loadcnt_dscnt 0x501
	v_mul_f64_e32 v[54:55], v[40:41], v[62:63]
	v_mul_f64_e32 v[62:63], v[42:43], v[62:63]
	s_wait_loadcnt_dscnt 0x400
	v_mul_f64_e32 v[56:57], v[50:51], v[66:67]
	v_add_f64_e32 v[6:7], v[6:7], v[70:71]
	v_add_f64_e32 v[2:3], v[2:3], v[52:53]
	v_mul_f64_e32 v[52:53], v[48:49], v[66:67]
	v_fma_f64 v[54:55], v[42:43], v[60:61], v[54:55]
	v_fma_f64 v[58:59], v[40:41], v[60:61], -v[62:63]
	v_fma_f64 v[48:49], v[48:49], v[64:65], -v[56:57]
	v_add_f64_e32 v[6:7], v[6:7], v[46:47]
	v_add_f64_e32 v[2:3], v[2:3], v[44:45]
	ds_load_b128 v[40:43], v1 offset:368
	ds_load_b128 v[44:47], v1 offset:384
	v_fma_f64 v[50:51], v[50:51], v[64:65], v[52:53]
	s_wait_loadcnt_dscnt 0x301
	v_mul_f64_e32 v[60:61], v[40:41], v[74:75]
	v_mul_f64_e32 v[62:63], v[42:43], v[74:75]
	v_add_f64_e32 v[6:7], v[6:7], v[54:55]
	v_add_f64_e32 v[2:3], v[2:3], v[58:59]
	s_wait_loadcnt_dscnt 0x100
	v_mul_f64_e32 v[52:53], v[44:45], v[10:11]
	v_mul_f64_e32 v[10:11], v[46:47], v[10:11]
	v_fma_f64 v[54:55], v[42:43], v[72:73], v[60:61]
	v_fma_f64 v[56:57], v[40:41], v[72:73], -v[62:63]
	ds_load_b128 v[40:43], v1 offset:400
	v_add_f64_e32 v[6:7], v[6:7], v[50:51]
	v_add_f64_e32 v[2:3], v[2:3], v[48:49]
	v_fma_f64 v[46:47], v[46:47], v[8:9], v[52:53]
	v_fma_f64 v[8:9], v[44:45], v[8:9], -v[10:11]
	s_wait_loadcnt_dscnt 0x0
	v_mul_f64_e32 v[48:49], v[40:41], v[86:87]
	v_mul_f64_e32 v[50:51], v[42:43], v[86:87]
	v_add_f64_e32 v[6:7], v[6:7], v[54:55]
	v_add_f64_e32 v[2:3], v[2:3], v[56:57]
	s_delay_alu instid0(VALU_DEP_4) | instskip(NEXT) | instid1(VALU_DEP_4)
	v_fma_f64 v[10:11], v[42:43], v[84:85], v[48:49]
	v_fma_f64 v[40:41], v[40:41], v[84:85], -v[50:51]
	s_delay_alu instid0(VALU_DEP_4) | instskip(NEXT) | instid1(VALU_DEP_4)
	v_add_f64_e32 v[6:7], v[6:7], v[46:47]
	v_add_f64_e32 v[2:3], v[2:3], v[8:9]
	s_delay_alu instid0(VALU_DEP_2) | instskip(NEXT) | instid1(VALU_DEP_2)
	v_add_f64_e32 v[8:9], v[6:7], v[10:11]
	v_add_f64_e32 v[2:3], v[2:3], v[40:41]
	s_delay_alu instid0(VALU_DEP_2) | instskip(NEXT) | instid1(VALU_DEP_2)
	v_add_f64_e64 v[8:9], v[78:79], -v[8:9]
	v_add_f64_e64 v[6:7], v[76:77], -v[2:3]
	scratch_store_b128 off, v[6:9], off offset:16
	v_cmpx_ne_u32_e32 0, v39
	s_cbranch_execz .LBB76_91
; %bb.90:
	scratch_load_b128 v[6:9], off, off
	v_dual_mov_b32 v2, v1 :: v_dual_mov_b32 v3, v1
	v_mov_b32_e32 v4, v1
	scratch_store_b128 off, v[1:4], off
	s_wait_loadcnt 0x0
	ds_store_b128 v5, v[6:9]
.LBB76_91:
	s_wait_alu 0xfffe
	s_or_b32 exec_lo, exec_lo, s2
	s_wait_storecnt_dscnt 0x0
	s_barrier_signal -1
	s_barrier_wait -1
	global_inv scope:SCOPE_SE
	s_clause 0x8
	scratch_load_b128 v[2:5], off, off offset:16
	scratch_load_b128 v[6:9], off, off offset:32
	;; [unrolled: 1-line block ×9, first 2 shown]
	ds_load_b128 v[68:71], v1 offset:224
	ds_load_b128 v[72:75], v1 offset:240
	s_clause 0x1
	scratch_load_b128 v[76:79], off, off
	scratch_load_b128 v[80:83], off, off offset:160
	s_and_b32 vcc_lo, exec_lo, s22
	s_wait_loadcnt_dscnt 0xa01
	v_mul_f64_e32 v[10:11], v[70:71], v[4:5]
	v_mul_f64_e32 v[4:5], v[68:69], v[4:5]
	s_wait_loadcnt_dscnt 0x900
	v_mul_f64_e32 v[84:85], v[72:73], v[8:9]
	v_mul_f64_e32 v[86:87], v[74:75], v[8:9]
	s_delay_alu instid0(VALU_DEP_4) | instskip(NEXT) | instid1(VALU_DEP_4)
	v_fma_f64 v[88:89], v[68:69], v[2:3], -v[10:11]
	v_fma_f64 v[90:91], v[70:71], v[2:3], v[4:5]
	ds_load_b128 v[2:5], v1 offset:256
	ds_load_b128 v[68:71], v1 offset:272
	scratch_load_b128 v[8:11], off, off offset:176
	v_fma_f64 v[84:85], v[74:75], v[6:7], v[84:85]
	v_fma_f64 v[6:7], v[72:73], v[6:7], -v[86:87]
	scratch_load_b128 v[72:75], off, off offset:192
	s_wait_loadcnt_dscnt 0xa01
	v_mul_f64_e32 v[92:93], v[2:3], v[42:43]
	v_mul_f64_e32 v[42:43], v[4:5], v[42:43]
	v_add_f64_e32 v[86:87], 0, v[88:89]
	v_add_f64_e32 v[88:89], 0, v[90:91]
	s_wait_loadcnt_dscnt 0x900
	v_mul_f64_e32 v[90:91], v[68:69], v[46:47]
	v_mul_f64_e32 v[46:47], v[70:71], v[46:47]
	v_fma_f64 v[92:93], v[4:5], v[40:41], v[92:93]
	v_fma_f64 v[94:95], v[2:3], v[40:41], -v[42:43]
	ds_load_b128 v[2:5], v1 offset:288
	ds_load_b128 v[40:43], v1 offset:304
	v_add_f64_e32 v[6:7], v[86:87], v[6:7]
	v_add_f64_e32 v[84:85], v[88:89], v[84:85]
	v_fma_f64 v[70:71], v[70:71], v[44:45], v[90:91]
	v_fma_f64 v[44:45], v[68:69], v[44:45], -v[46:47]
	s_wait_loadcnt_dscnt 0x801
	v_mul_f64_e32 v[86:87], v[2:3], v[50:51]
	v_mul_f64_e32 v[50:51], v[4:5], v[50:51]
	s_wait_loadcnt_dscnt 0x700
	v_mul_f64_e32 v[68:69], v[40:41], v[54:55]
	v_mul_f64_e32 v[54:55], v[42:43], v[54:55]
	v_add_f64_e32 v[6:7], v[6:7], v[94:95]
	v_add_f64_e32 v[46:47], v[84:85], v[92:93]
	v_fma_f64 v[84:85], v[4:5], v[48:49], v[86:87]
	v_fma_f64 v[48:49], v[2:3], v[48:49], -v[50:51]
	v_fma_f64 v[42:43], v[42:43], v[52:53], v[68:69]
	v_fma_f64 v[40:41], v[40:41], v[52:53], -v[54:55]
	v_add_f64_e32 v[6:7], v[6:7], v[44:45]
	v_add_f64_e32 v[50:51], v[46:47], v[70:71]
	ds_load_b128 v[2:5], v1 offset:320
	ds_load_b128 v[44:47], v1 offset:336
	s_wait_loadcnt_dscnt 0x601
	v_mul_f64_e32 v[70:71], v[2:3], v[58:59]
	v_mul_f64_e32 v[58:59], v[4:5], v[58:59]
	s_wait_loadcnt_dscnt 0x500
	v_mul_f64_e32 v[52:53], v[46:47], v[62:63]
	v_add_f64_e32 v[6:7], v[6:7], v[48:49]
	v_add_f64_e32 v[48:49], v[50:51], v[84:85]
	v_mul_f64_e32 v[50:51], v[44:45], v[62:63]
	v_fma_f64 v[54:55], v[4:5], v[56:57], v[70:71]
	v_fma_f64 v[56:57], v[2:3], v[56:57], -v[58:59]
	v_fma_f64 v[44:45], v[44:45], v[60:61], -v[52:53]
	v_add_f64_e32 v[6:7], v[6:7], v[40:41]
	v_add_f64_e32 v[48:49], v[48:49], v[42:43]
	ds_load_b128 v[2:5], v1 offset:352
	ds_load_b128 v[40:43], v1 offset:368
	v_fma_f64 v[46:47], v[46:47], v[60:61], v[50:51]
	s_wait_loadcnt_dscnt 0x401
	v_mul_f64_e32 v[58:59], v[2:3], v[66:67]
	v_mul_f64_e32 v[62:63], v[4:5], v[66:67]
	s_wait_loadcnt_dscnt 0x200
	v_mul_f64_e32 v[50:51], v[40:41], v[82:83]
	v_mul_f64_e32 v[52:53], v[42:43], v[82:83]
	v_add_f64_e32 v[6:7], v[6:7], v[56:57]
	v_add_f64_e32 v[48:49], v[48:49], v[54:55]
	v_fma_f64 v[54:55], v[4:5], v[64:65], v[58:59]
	v_fma_f64 v[56:57], v[2:3], v[64:65], -v[62:63]
	v_fma_f64 v[42:43], v[42:43], v[80:81], v[50:51]
	v_fma_f64 v[40:41], v[40:41], v[80:81], -v[52:53]
	v_add_f64_e32 v[6:7], v[6:7], v[44:45]
	v_add_f64_e32 v[48:49], v[48:49], v[46:47]
	ds_load_b128 v[2:5], v1 offset:384
	ds_load_b128 v[44:47], v1 offset:400
	s_wait_loadcnt_dscnt 0x101
	v_mul_f64_e32 v[58:59], v[2:3], v[10:11]
	v_mul_f64_e32 v[10:11], v[4:5], v[10:11]
	s_wait_loadcnt_dscnt 0x0
	v_mul_f64_e32 v[50:51], v[44:45], v[74:75]
	v_mul_f64_e32 v[52:53], v[46:47], v[74:75]
	v_add_f64_e32 v[6:7], v[6:7], v[56:57]
	v_add_f64_e32 v[48:49], v[48:49], v[54:55]
	v_fma_f64 v[4:5], v[4:5], v[8:9], v[58:59]
	v_fma_f64 v[1:2], v[2:3], v[8:9], -v[10:11]
	v_fma_f64 v[10:11], v[46:47], v[72:73], v[50:51]
	v_add_f64_e32 v[6:7], v[6:7], v[40:41]
	v_add_f64_e32 v[8:9], v[48:49], v[42:43]
	v_fma_f64 v[40:41], v[44:45], v[72:73], -v[52:53]
	s_delay_alu instid0(VALU_DEP_3) | instskip(NEXT) | instid1(VALU_DEP_3)
	v_add_f64_e32 v[1:2], v[6:7], v[1:2]
	v_add_f64_e32 v[3:4], v[8:9], v[4:5]
	s_delay_alu instid0(VALU_DEP_2) | instskip(NEXT) | instid1(VALU_DEP_2)
	v_add_f64_e32 v[1:2], v[1:2], v[40:41]
	v_add_f64_e32 v[3:4], v[3:4], v[10:11]
	s_delay_alu instid0(VALU_DEP_2) | instskip(NEXT) | instid1(VALU_DEP_2)
	v_add_f64_e64 v[1:2], v[76:77], -v[1:2]
	v_add_f64_e64 v[3:4], v[78:79], -v[3:4]
	scratch_store_b128 off, v[1:4], off
	s_wait_alu 0xfffe
	s_cbranch_vccz .LBB76_116
; %bb.92:
	v_mov_b32_e32 v1, 0
	s_load_b64 s[0:1], s[0:1], 0x4
	v_bfe_u32 v3, v0, 10, 10
	v_bfe_u32 v0, v0, 20, 10
	global_load_b32 v2, v1, s[8:9] offset:44
	s_wait_kmcnt 0x0
	s_lshr_b32 s0, s0, 16
	v_mul_u32_u24_e32 v3, s1, v3
	s_mul_i32 s0, s0, s1
	s_wait_alu 0xfffe
	v_mul_u32_u24_e32 v4, s0, v39
	s_delay_alu instid0(VALU_DEP_1) | instskip(NEXT) | instid1(VALU_DEP_1)
	v_add3_u32 v0, v4, v3, v0
	v_lshl_add_u32 v0, v0, 4, 0x1a8
	s_wait_loadcnt 0x0
	v_cmp_ne_u32_e32 vcc_lo, 12, v2
	s_cbranch_vccz .LBB76_94
; %bb.93:
	v_lshlrev_b32_e32 v2, 4, v2
	s_delay_alu instid0(VALU_DEP_1)
	v_mov_b32_e32 v10, v2
	s_clause 0x1
	scratch_load_b128 v[2:5], off, s19
	scratch_load_b128 v[6:9], v10, off offset:-16
	s_wait_loadcnt 0x1
	ds_store_2addr_b64 v0, v[2:3], v[4:5] offset1:1
	s_wait_loadcnt 0x0
	s_clause 0x1
	scratch_store_b128 off, v[6:9], s19
	scratch_store_b128 v10, v[2:5], off offset:-16
.LBB76_94:
	global_load_b32 v1, v1, s[8:9] offset:40
	s_wait_loadcnt 0x0
	v_cmp_eq_u32_e32 vcc_lo, 11, v1
	s_cbranch_vccnz .LBB76_96
; %bb.95:
	v_lshlrev_b32_e32 v1, 4, v1
	s_delay_alu instid0(VALU_DEP_1)
	v_mov_b32_e32 v9, v1
	s_clause 0x1
	scratch_load_b128 v[1:4], off, s13
	scratch_load_b128 v[5:8], v9, off offset:-16
	s_wait_loadcnt 0x1
	ds_store_2addr_b64 v0, v[1:2], v[3:4] offset1:1
	s_wait_loadcnt 0x0
	s_clause 0x1
	scratch_store_b128 off, v[5:8], s13
	scratch_store_b128 v9, v[1:4], off offset:-16
.LBB76_96:
	v_mov_b32_e32 v1, 0
	global_load_b32 v2, v1, s[8:9] offset:36
	s_wait_loadcnt 0x0
	v_cmp_eq_u32_e32 vcc_lo, 10, v2
	s_cbranch_vccnz .LBB76_98
; %bb.97:
	v_lshlrev_b32_e32 v2, 4, v2
	s_delay_alu instid0(VALU_DEP_1)
	v_mov_b32_e32 v10, v2
	s_clause 0x1
	scratch_load_b128 v[2:5], off, s18
	scratch_load_b128 v[6:9], v10, off offset:-16
	s_wait_loadcnt 0x1
	ds_store_2addr_b64 v0, v[2:3], v[4:5] offset1:1
	s_wait_loadcnt 0x0
	s_clause 0x1
	scratch_store_b128 off, v[6:9], s18
	scratch_store_b128 v10, v[2:5], off offset:-16
.LBB76_98:
	global_load_b32 v1, v1, s[8:9] offset:32
	s_wait_loadcnt 0x0
	v_cmp_eq_u32_e32 vcc_lo, 9, v1
	s_cbranch_vccnz .LBB76_100
; %bb.99:
	v_lshlrev_b32_e32 v1, 4, v1
	s_delay_alu instid0(VALU_DEP_1)
	v_mov_b32_e32 v9, v1
	s_clause 0x1
	scratch_load_b128 v[1:4], off, s12
	scratch_load_b128 v[5:8], v9, off offset:-16
	s_wait_loadcnt 0x1
	ds_store_2addr_b64 v0, v[1:2], v[3:4] offset1:1
	s_wait_loadcnt 0x0
	s_clause 0x1
	scratch_store_b128 off, v[5:8], s12
	scratch_store_b128 v9, v[1:4], off offset:-16
.LBB76_100:
	v_mov_b32_e32 v1, 0
	global_load_b32 v2, v1, s[8:9] offset:28
	s_wait_loadcnt 0x0
	v_cmp_eq_u32_e32 vcc_lo, 8, v2
	s_cbranch_vccnz .LBB76_102
; %bb.101:
	v_lshlrev_b32_e32 v2, 4, v2
	s_delay_alu instid0(VALU_DEP_1)
	v_mov_b32_e32 v10, v2
	s_clause 0x1
	scratch_load_b128 v[2:5], off, s17
	scratch_load_b128 v[6:9], v10, off offset:-16
	s_wait_loadcnt 0x1
	ds_store_2addr_b64 v0, v[2:3], v[4:5] offset1:1
	s_wait_loadcnt 0x0
	s_clause 0x1
	scratch_store_b128 off, v[6:9], s17
	scratch_store_b128 v10, v[2:5], off offset:-16
.LBB76_102:
	;; [unrolled: 37-line block ×5, first 2 shown]
	global_load_b32 v1, v1, s[8:9]
	s_wait_loadcnt 0x0
	v_cmp_eq_u32_e32 vcc_lo, 1, v1
	s_cbranch_vccnz .LBB76_116
; %bb.115:
	v_lshlrev_b32_e32 v1, 4, v1
	s_delay_alu instid0(VALU_DEP_1)
	v_mov_b32_e32 v9, v1
	scratch_load_b128 v[1:4], off, off
	scratch_load_b128 v[5:8], v9, off offset:-16
	s_wait_loadcnt 0x1
	ds_store_2addr_b64 v0, v[1:2], v[3:4] offset1:1
	s_wait_loadcnt 0x0
	scratch_store_b128 off, v[5:8], off
	scratch_store_b128 v9, v[1:4], off offset:-16
.LBB76_116:
	scratch_load_b128 v[0:3], off, off
	s_wait_loadcnt 0x0
	flat_store_b128 v[13:14], v[0:3]
	scratch_load_b128 v[0:3], off, s21
	s_wait_loadcnt 0x0
	flat_store_b128 v[15:16], v[0:3]
	scratch_load_b128 v[0:3], off, s20
	;; [unrolled: 3-line block ×12, first 2 shown]
	s_wait_loadcnt 0x0
	flat_store_b128 v[37:38], v[0:3]
	s_endpgm
	.section	.rodata,"a",@progbits
	.p2align	6, 0x0
	.amdhsa_kernel _ZN9rocsolver6v33100L18getri_kernel_smallILi13E19rocblas_complex_numIdEPKPS3_EEvT1_iilPiilS8_bb
		.amdhsa_group_segment_fixed_size 1448
		.amdhsa_private_segment_fixed_size 224
		.amdhsa_kernarg_size 60
		.amdhsa_user_sgpr_count 4
		.amdhsa_user_sgpr_dispatch_ptr 1
		.amdhsa_user_sgpr_queue_ptr 0
		.amdhsa_user_sgpr_kernarg_segment_ptr 1
		.amdhsa_user_sgpr_dispatch_id 0
		.amdhsa_user_sgpr_private_segment_size 0
		.amdhsa_wavefront_size32 1
		.amdhsa_uses_dynamic_stack 0
		.amdhsa_enable_private_segment 1
		.amdhsa_system_sgpr_workgroup_id_x 1
		.amdhsa_system_sgpr_workgroup_id_y 0
		.amdhsa_system_sgpr_workgroup_id_z 0
		.amdhsa_system_sgpr_workgroup_info 0
		.amdhsa_system_vgpr_workitem_id 2
		.amdhsa_next_free_vgpr 96
		.amdhsa_next_free_sgpr 26
		.amdhsa_reserve_vcc 1
		.amdhsa_float_round_mode_32 0
		.amdhsa_float_round_mode_16_64 0
		.amdhsa_float_denorm_mode_32 3
		.amdhsa_float_denorm_mode_16_64 3
		.amdhsa_fp16_overflow 0
		.amdhsa_workgroup_processor_mode 1
		.amdhsa_memory_ordered 1
		.amdhsa_forward_progress 1
		.amdhsa_inst_pref_size 107
		.amdhsa_round_robin_scheduling 0
		.amdhsa_exception_fp_ieee_invalid_op 0
		.amdhsa_exception_fp_denorm_src 0
		.amdhsa_exception_fp_ieee_div_zero 0
		.amdhsa_exception_fp_ieee_overflow 0
		.amdhsa_exception_fp_ieee_underflow 0
		.amdhsa_exception_fp_ieee_inexact 0
		.amdhsa_exception_int_div_zero 0
	.end_amdhsa_kernel
	.section	.text._ZN9rocsolver6v33100L18getri_kernel_smallILi13E19rocblas_complex_numIdEPKPS3_EEvT1_iilPiilS8_bb,"axG",@progbits,_ZN9rocsolver6v33100L18getri_kernel_smallILi13E19rocblas_complex_numIdEPKPS3_EEvT1_iilPiilS8_bb,comdat
.Lfunc_end76:
	.size	_ZN9rocsolver6v33100L18getri_kernel_smallILi13E19rocblas_complex_numIdEPKPS3_EEvT1_iilPiilS8_bb, .Lfunc_end76-_ZN9rocsolver6v33100L18getri_kernel_smallILi13E19rocblas_complex_numIdEPKPS3_EEvT1_iilPiilS8_bb
                                        ; -- End function
	.set _ZN9rocsolver6v33100L18getri_kernel_smallILi13E19rocblas_complex_numIdEPKPS3_EEvT1_iilPiilS8_bb.num_vgpr, 96
	.set _ZN9rocsolver6v33100L18getri_kernel_smallILi13E19rocblas_complex_numIdEPKPS3_EEvT1_iilPiilS8_bb.num_agpr, 0
	.set _ZN9rocsolver6v33100L18getri_kernel_smallILi13E19rocblas_complex_numIdEPKPS3_EEvT1_iilPiilS8_bb.numbered_sgpr, 26
	.set _ZN9rocsolver6v33100L18getri_kernel_smallILi13E19rocblas_complex_numIdEPKPS3_EEvT1_iilPiilS8_bb.num_named_barrier, 0
	.set _ZN9rocsolver6v33100L18getri_kernel_smallILi13E19rocblas_complex_numIdEPKPS3_EEvT1_iilPiilS8_bb.private_seg_size, 224
	.set _ZN9rocsolver6v33100L18getri_kernel_smallILi13E19rocblas_complex_numIdEPKPS3_EEvT1_iilPiilS8_bb.uses_vcc, 1
	.set _ZN9rocsolver6v33100L18getri_kernel_smallILi13E19rocblas_complex_numIdEPKPS3_EEvT1_iilPiilS8_bb.uses_flat_scratch, 1
	.set _ZN9rocsolver6v33100L18getri_kernel_smallILi13E19rocblas_complex_numIdEPKPS3_EEvT1_iilPiilS8_bb.has_dyn_sized_stack, 0
	.set _ZN9rocsolver6v33100L18getri_kernel_smallILi13E19rocblas_complex_numIdEPKPS3_EEvT1_iilPiilS8_bb.has_recursion, 0
	.set _ZN9rocsolver6v33100L18getri_kernel_smallILi13E19rocblas_complex_numIdEPKPS3_EEvT1_iilPiilS8_bb.has_indirect_call, 0
	.section	.AMDGPU.csdata,"",@progbits
; Kernel info:
; codeLenInByte = 13660
; TotalNumSgprs: 28
; NumVgprs: 96
; ScratchSize: 224
; MemoryBound: 0
; FloatMode: 240
; IeeeMode: 1
; LDSByteSize: 1448 bytes/workgroup (compile time only)
; SGPRBlocks: 0
; VGPRBlocks: 11
; NumSGPRsForWavesPerEU: 28
; NumVGPRsForWavesPerEU: 96
; Occupancy: 16
; WaveLimiterHint : 1
; COMPUTE_PGM_RSRC2:SCRATCH_EN: 1
; COMPUTE_PGM_RSRC2:USER_SGPR: 4
; COMPUTE_PGM_RSRC2:TRAP_HANDLER: 0
; COMPUTE_PGM_RSRC2:TGID_X_EN: 1
; COMPUTE_PGM_RSRC2:TGID_Y_EN: 0
; COMPUTE_PGM_RSRC2:TGID_Z_EN: 0
; COMPUTE_PGM_RSRC2:TIDIG_COMP_CNT: 2
	.section	.text._ZN9rocsolver6v33100L18getri_kernel_smallILi14E19rocblas_complex_numIdEPKPS3_EEvT1_iilPiilS8_bb,"axG",@progbits,_ZN9rocsolver6v33100L18getri_kernel_smallILi14E19rocblas_complex_numIdEPKPS3_EEvT1_iilPiilS8_bb,comdat
	.globl	_ZN9rocsolver6v33100L18getri_kernel_smallILi14E19rocblas_complex_numIdEPKPS3_EEvT1_iilPiilS8_bb ; -- Begin function _ZN9rocsolver6v33100L18getri_kernel_smallILi14E19rocblas_complex_numIdEPKPS3_EEvT1_iilPiilS8_bb
	.p2align	8
	.type	_ZN9rocsolver6v33100L18getri_kernel_smallILi14E19rocblas_complex_numIdEPKPS3_EEvT1_iilPiilS8_bb,@function
_ZN9rocsolver6v33100L18getri_kernel_smallILi14E19rocblas_complex_numIdEPKPS3_EEvT1_iilPiilS8_bb: ; @_ZN9rocsolver6v33100L18getri_kernel_smallILi14E19rocblas_complex_numIdEPKPS3_EEvT1_iilPiilS8_bb
; %bb.0:
	v_and_b32_e32 v41, 0x3ff, v0
	s_mov_b32 s4, exec_lo
	s_delay_alu instid0(VALU_DEP_1)
	v_cmpx_gt_u32_e32 14, v41
	s_cbranch_execz .LBB77_70
; %bb.1:
	s_clause 0x1
	s_load_b32 s14, s[2:3], 0x38
	s_load_b64 s[8:9], s[2:3], 0x0
	s_mov_b32 s10, ttmp9
	s_load_b128 s[4:7], s[2:3], 0x28
	s_wait_kmcnt 0x0
	s_bitcmp1_b32 s14, 8
	s_cselect_b32 s23, -1, 0
	s_ashr_i32 s11, ttmp9, 31
	s_delay_alu instid0(SALU_CYCLE_1) | instskip(NEXT) | instid1(SALU_CYCLE_1)
	s_lshl_b64 s[12:13], s[10:11], 3
	s_add_nc_u64 s[8:9], s[8:9], s[12:13]
	s_load_b64 s[12:13], s[8:9], 0x0
	s_bfe_u32 s8, s14, 0x10008
	s_delay_alu instid0(SALU_CYCLE_1)
	s_cmp_eq_u32 s8, 0
                                        ; implicit-def: $sgpr8_sgpr9
	s_cbranch_scc1 .LBB77_3
; %bb.2:
	s_load_b96 s[16:18], s[2:3], 0x18
	s_mul_u64 s[4:5], s[4:5], s[10:11]
	s_delay_alu instid0(SALU_CYCLE_1)
	s_lshl_b64 s[4:5], s[4:5], 2
	s_wait_kmcnt 0x0
	s_ashr_i32 s9, s18, 31
	s_mov_b32 s8, s18
	s_add_nc_u64 s[4:5], s[16:17], s[4:5]
	s_lshl_b64 s[8:9], s[8:9], 2
	s_delay_alu instid0(SALU_CYCLE_1)
	s_add_nc_u64 s[8:9], s[4:5], s[8:9]
.LBB77_3:
	s_clause 0x1
	s_load_b64 s[4:5], s[2:3], 0x8
	s_load_b32 s24, s[2:3], 0x38
	v_lshlrev_b32_e32 v42, 4, v41
	s_mov_b32 s22, 16
	s_mov_b32 s21, 32
	;; [unrolled: 1-line block ×4, first 2 shown]
	s_movk_i32 s17, 0x60
	s_movk_i32 s18, 0x80
	;; [unrolled: 1-line block ×5, first 2 shown]
	s_wait_kmcnt 0x0
	s_ashr_i32 s3, s4, 31
	s_mov_b32 s2, s4
	v_add3_u32 v5, s5, s5, v41
	s_lshl_b64 s[2:3], s[2:3], 4
	s_delay_alu instid0(SALU_CYCLE_1)
	s_add_nc_u64 s[2:3], s[12:13], s[2:3]
	s_ashr_i32 s13, s5, 31
	v_add_co_u32 v13, s4, s2, v42
	s_wait_alu 0xf1ff
	v_add_co_ci_u32_e64 v14, null, s3, 0, s4
	s_mov_b32 s12, s5
	v_ashrrev_i32_e32 v6, 31, v5
	s_lshl_b64 s[12:13], s[12:13], 4
	flat_load_b128 v[1:4], v[13:14]
	v_add_co_u32 v15, vcc_lo, v13, s12
	s_delay_alu instid0(VALU_DEP_1)
	v_add_co_ci_u32_e64 v16, null, s13, v14, vcc_lo
	v_lshlrev_b64_e32 v[6:7], 4, v[5:6]
	v_add_nc_u32_e32 v5, s5, v5
	s_movk_i32 s4, 0x50
	s_movk_i32 s12, 0x90
	s_movk_i32 s13, 0xb0
	s_bitcmp0_b32 s24, 0
	v_add_co_u32 v17, vcc_lo, s2, v6
	s_wait_alu 0xfffd
	v_add_co_ci_u32_e64 v18, null, s3, v7, vcc_lo
	v_ashrrev_i32_e32 v6, 31, v5
	s_delay_alu instid0(VALU_DEP_1) | instskip(SKIP_1) | instid1(VALU_DEP_2)
	v_lshlrev_b64_e32 v[6:7], 4, v[5:6]
	v_add_nc_u32_e32 v5, s5, v5
	v_add_co_u32 v19, vcc_lo, s2, v6
	s_wait_alu 0xfffd
	s_delay_alu instid0(VALU_DEP_3) | instskip(NEXT) | instid1(VALU_DEP_3)
	v_add_co_ci_u32_e64 v20, null, s3, v7, vcc_lo
	v_ashrrev_i32_e32 v6, 31, v5
	s_delay_alu instid0(VALU_DEP_1) | instskip(SKIP_1) | instid1(VALU_DEP_2)
	v_lshlrev_b64_e32 v[6:7], 4, v[5:6]
	v_add_nc_u32_e32 v5, s5, v5
	v_add_co_u32 v21, vcc_lo, s2, v6
	s_wait_alu 0xfffd
	s_delay_alu instid0(VALU_DEP_3) | instskip(NEXT) | instid1(VALU_DEP_3)
	;; [unrolled: 8-line block ×9, first 2 shown]
	v_add_co_ci_u32_e64 v36, null, s3, v7, vcc_lo
	v_ashrrev_i32_e32 v6, 31, v5
	s_delay_alu instid0(VALU_DEP_1) | instskip(SKIP_2) | instid1(VALU_DEP_2)
	v_lshlrev_b64_e32 v[6:7], 4, v[5:6]
	v_add_nc_u32_e32 v5, s5, v5
	s_movk_i32 s5, 0x70
	v_add_co_u32 v37, vcc_lo, s2, v6
	s_wait_alu 0xfffd
	s_delay_alu instid0(VALU_DEP_3) | instskip(SKIP_1) | instid1(VALU_DEP_1)
	v_add_co_ci_u32_e64 v38, null, s3, v7, vcc_lo
	v_ashrrev_i32_e32 v6, 31, v5
	v_lshlrev_b64_e32 v[5:6], 4, v[5:6]
	s_delay_alu instid0(VALU_DEP_1) | instskip(SKIP_1) | instid1(VALU_DEP_2)
	v_add_co_u32 v39, vcc_lo, s2, v5
	s_wait_alu 0xfffd
	v_add_co_ci_u32_e64 v40, null, s3, v6, vcc_lo
	s_mov_b32 s3, -1
	s_wait_loadcnt_dscnt 0x0
	scratch_store_b128 off, v[1:4], off
	flat_load_b128 v[1:4], v[15:16]
	s_wait_loadcnt_dscnt 0x0
	scratch_store_b128 off, v[1:4], off offset:16
	flat_load_b128 v[1:4], v[17:18]
	s_wait_loadcnt_dscnt 0x0
	scratch_store_b128 off, v[1:4], off offset:32
	;; [unrolled: 3-line block ×13, first 2 shown]
	s_cbranch_scc1 .LBB77_68
; %bb.4:
	v_cmp_eq_u32_e64 s2, 0, v41
	s_and_saveexec_b32 s3, s2
; %bb.5:
	v_mov_b32_e32 v1, 0
	ds_store_b32 v1, v1 offset:448
; %bb.6:
	s_wait_alu 0xfffe
	s_or_b32 exec_lo, exec_lo, s3
	s_wait_storecnt_dscnt 0x0
	s_barrier_signal -1
	s_barrier_wait -1
	global_inv scope:SCOPE_SE
	scratch_load_b128 v[1:4], v42, off
	s_wait_loadcnt 0x0
	v_cmp_eq_f64_e32 vcc_lo, 0, v[1:2]
	v_cmp_eq_f64_e64 s3, 0, v[3:4]
	s_and_b32 s3, vcc_lo, s3
	s_wait_alu 0xfffe
	s_and_saveexec_b32 s24, s3
	s_cbranch_execz .LBB77_10
; %bb.7:
	v_mov_b32_e32 v1, 0
	s_mov_b32 s25, 0
	ds_load_b32 v2, v1 offset:448
	s_wait_dscnt 0x0
	v_readfirstlane_b32 s3, v2
	v_add_nc_u32_e32 v2, 1, v41
	s_cmp_eq_u32 s3, 0
	s_delay_alu instid0(VALU_DEP_1) | instskip(SKIP_1) | instid1(SALU_CYCLE_1)
	v_cmp_gt_i32_e32 vcc_lo, s3, v2
	s_cselect_b32 s26, -1, 0
	s_or_b32 s26, s26, vcc_lo
	s_delay_alu instid0(SALU_CYCLE_1)
	s_and_b32 exec_lo, exec_lo, s26
	s_cbranch_execz .LBB77_10
; %bb.8:
	v_mov_b32_e32 v3, s3
.LBB77_9:                               ; =>This Inner Loop Header: Depth=1
	ds_cmpstore_rtn_b32 v3, v1, v2, v3 offset:448
	s_wait_dscnt 0x0
	v_cmp_ne_u32_e32 vcc_lo, 0, v3
	v_cmp_le_i32_e64 s3, v3, v2
	s_and_b32 s3, vcc_lo, s3
	s_wait_alu 0xfffe
	s_and_b32 s3, exec_lo, s3
	s_wait_alu 0xfffe
	s_or_b32 s25, s3, s25
	s_delay_alu instid0(SALU_CYCLE_1)
	s_and_not1_b32 exec_lo, exec_lo, s25
	s_cbranch_execnz .LBB77_9
.LBB77_10:
	s_or_b32 exec_lo, exec_lo, s24
	v_mov_b32_e32 v1, 0
	s_barrier_signal -1
	s_barrier_wait -1
	global_inv scope:SCOPE_SE
	ds_load_b32 v2, v1 offset:448
	s_and_saveexec_b32 s3, s2
	s_cbranch_execz .LBB77_12
; %bb.11:
	s_lshl_b64 s[24:25], s[10:11], 2
	s_delay_alu instid0(SALU_CYCLE_1)
	s_add_nc_u64 s[24:25], s[6:7], s[24:25]
	s_wait_dscnt 0x0
	global_store_b32 v1, v2, s[24:25]
.LBB77_12:
	s_wait_alu 0xfffe
	s_or_b32 exec_lo, exec_lo, s3
	s_wait_dscnt 0x0
	v_cmp_ne_u32_e32 vcc_lo, 0, v2
	s_mov_b32 s3, 0
	s_cbranch_vccnz .LBB77_68
; %bb.13:
	v_mov_b32_e32 v43, v42
                                        ; implicit-def: $vgpr1_vgpr2
                                        ; implicit-def: $vgpr9_vgpr10
	scratch_load_b128 v[5:8], v43, off
	s_wait_loadcnt 0x0
	v_cmp_ngt_f64_e64 s3, |v[5:6]|, |v[7:8]|
	s_wait_alu 0xfffe
	s_and_saveexec_b32 s24, s3
	s_delay_alu instid0(SALU_CYCLE_1)
	s_xor_b32 s3, exec_lo, s24
	s_cbranch_execz .LBB77_15
; %bb.14:
	v_div_scale_f64 v[1:2], null, v[7:8], v[7:8], v[5:6]
	v_div_scale_f64 v[11:12], vcc_lo, v[5:6], v[7:8], v[5:6]
	s_delay_alu instid0(VALU_DEP_2) | instskip(NEXT) | instid1(TRANS32_DEP_1)
	v_rcp_f64_e32 v[3:4], v[1:2]
	v_fma_f64 v[9:10], -v[1:2], v[3:4], 1.0
	s_delay_alu instid0(VALU_DEP_1) | instskip(NEXT) | instid1(VALU_DEP_1)
	v_fma_f64 v[3:4], v[3:4], v[9:10], v[3:4]
	v_fma_f64 v[9:10], -v[1:2], v[3:4], 1.0
	s_delay_alu instid0(VALU_DEP_1) | instskip(NEXT) | instid1(VALU_DEP_1)
	v_fma_f64 v[3:4], v[3:4], v[9:10], v[3:4]
	v_mul_f64_e32 v[9:10], v[11:12], v[3:4]
	s_delay_alu instid0(VALU_DEP_1) | instskip(SKIP_1) | instid1(VALU_DEP_1)
	v_fma_f64 v[1:2], -v[1:2], v[9:10], v[11:12]
	s_wait_alu 0xfffd
	v_div_fmas_f64 v[1:2], v[1:2], v[3:4], v[9:10]
	s_delay_alu instid0(VALU_DEP_1) | instskip(NEXT) | instid1(VALU_DEP_1)
	v_div_fixup_f64 v[1:2], v[1:2], v[7:8], v[5:6]
	v_fma_f64 v[3:4], v[5:6], v[1:2], v[7:8]
	s_delay_alu instid0(VALU_DEP_1) | instskip(SKIP_1) | instid1(VALU_DEP_2)
	v_div_scale_f64 v[5:6], null, v[3:4], v[3:4], 1.0
	v_div_scale_f64 v[11:12], vcc_lo, 1.0, v[3:4], 1.0
	v_rcp_f64_e32 v[7:8], v[5:6]
	s_delay_alu instid0(TRANS32_DEP_1) | instskip(NEXT) | instid1(VALU_DEP_1)
	v_fma_f64 v[9:10], -v[5:6], v[7:8], 1.0
	v_fma_f64 v[7:8], v[7:8], v[9:10], v[7:8]
	s_delay_alu instid0(VALU_DEP_1) | instskip(NEXT) | instid1(VALU_DEP_1)
	v_fma_f64 v[9:10], -v[5:6], v[7:8], 1.0
	v_fma_f64 v[7:8], v[7:8], v[9:10], v[7:8]
	s_delay_alu instid0(VALU_DEP_1) | instskip(NEXT) | instid1(VALU_DEP_1)
	v_mul_f64_e32 v[9:10], v[11:12], v[7:8]
	v_fma_f64 v[5:6], -v[5:6], v[9:10], v[11:12]
	s_wait_alu 0xfffd
	s_delay_alu instid0(VALU_DEP_1) | instskip(NEXT) | instid1(VALU_DEP_1)
	v_div_fmas_f64 v[5:6], v[5:6], v[7:8], v[9:10]
	v_div_fixup_f64 v[3:4], v[5:6], v[3:4], 1.0
                                        ; implicit-def: $vgpr5_vgpr6
	s_delay_alu instid0(VALU_DEP_1) | instskip(SKIP_1) | instid1(VALU_DEP_2)
	v_mul_f64_e32 v[1:2], v[1:2], v[3:4]
	v_xor_b32_e32 v4, 0x80000000, v4
	v_xor_b32_e32 v10, 0x80000000, v2
	s_delay_alu instid0(VALU_DEP_3)
	v_mov_b32_e32 v9, v1
.LBB77_15:
	s_wait_alu 0xfffe
	s_and_not1_saveexec_b32 s3, s3
	s_cbranch_execz .LBB77_17
; %bb.16:
	v_div_scale_f64 v[1:2], null, v[5:6], v[5:6], v[7:8]
	v_div_scale_f64 v[11:12], vcc_lo, v[7:8], v[5:6], v[7:8]
	s_delay_alu instid0(VALU_DEP_2) | instskip(NEXT) | instid1(TRANS32_DEP_1)
	v_rcp_f64_e32 v[3:4], v[1:2]
	v_fma_f64 v[9:10], -v[1:2], v[3:4], 1.0
	s_delay_alu instid0(VALU_DEP_1) | instskip(NEXT) | instid1(VALU_DEP_1)
	v_fma_f64 v[3:4], v[3:4], v[9:10], v[3:4]
	v_fma_f64 v[9:10], -v[1:2], v[3:4], 1.0
	s_delay_alu instid0(VALU_DEP_1) | instskip(NEXT) | instid1(VALU_DEP_1)
	v_fma_f64 v[3:4], v[3:4], v[9:10], v[3:4]
	v_mul_f64_e32 v[9:10], v[11:12], v[3:4]
	s_delay_alu instid0(VALU_DEP_1) | instskip(SKIP_1) | instid1(VALU_DEP_1)
	v_fma_f64 v[1:2], -v[1:2], v[9:10], v[11:12]
	s_wait_alu 0xfffd
	v_div_fmas_f64 v[1:2], v[1:2], v[3:4], v[9:10]
	s_delay_alu instid0(VALU_DEP_1) | instskip(NEXT) | instid1(VALU_DEP_1)
	v_div_fixup_f64 v[3:4], v[1:2], v[5:6], v[7:8]
	v_fma_f64 v[1:2], v[7:8], v[3:4], v[5:6]
	s_delay_alu instid0(VALU_DEP_1) | instskip(NEXT) | instid1(VALU_DEP_1)
	v_div_scale_f64 v[5:6], null, v[1:2], v[1:2], 1.0
	v_rcp_f64_e32 v[7:8], v[5:6]
	s_delay_alu instid0(TRANS32_DEP_1) | instskip(NEXT) | instid1(VALU_DEP_1)
	v_fma_f64 v[9:10], -v[5:6], v[7:8], 1.0
	v_fma_f64 v[7:8], v[7:8], v[9:10], v[7:8]
	s_delay_alu instid0(VALU_DEP_1) | instskip(NEXT) | instid1(VALU_DEP_1)
	v_fma_f64 v[9:10], -v[5:6], v[7:8], 1.0
	v_fma_f64 v[7:8], v[7:8], v[9:10], v[7:8]
	v_div_scale_f64 v[9:10], vcc_lo, 1.0, v[1:2], 1.0
	s_delay_alu instid0(VALU_DEP_1) | instskip(NEXT) | instid1(VALU_DEP_1)
	v_mul_f64_e32 v[11:12], v[9:10], v[7:8]
	v_fma_f64 v[5:6], -v[5:6], v[11:12], v[9:10]
	s_wait_alu 0xfffd
	s_delay_alu instid0(VALU_DEP_1) | instskip(NEXT) | instid1(VALU_DEP_1)
	v_div_fmas_f64 v[5:6], v[5:6], v[7:8], v[11:12]
	v_div_fixup_f64 v[1:2], v[5:6], v[1:2], 1.0
	s_delay_alu instid0(VALU_DEP_1)
	v_mul_f64_e64 v[3:4], v[3:4], -v[1:2]
	v_xor_b32_e32 v10, 0x80000000, v2
	v_mov_b32_e32 v9, v1
.LBB77_17:
	s_wait_alu 0xfffe
	s_or_b32 exec_lo, exec_lo, s3
	scratch_store_b128 v43, v[1:4], off
	scratch_load_b128 v[44:47], off, s22
	v_xor_b32_e32 v12, 0x80000000, v4
	v_mov_b32_e32 v11, v3
	v_add_nc_u32_e32 v5, 0xe0, v42
	ds_store_b128 v42, v[9:12]
	s_wait_loadcnt 0x0
	ds_store_b128 v42, v[44:47] offset:224
	s_wait_storecnt_dscnt 0x0
	s_barrier_signal -1
	s_barrier_wait -1
	global_inv scope:SCOPE_SE
	s_and_saveexec_b32 s3, s2
	s_cbranch_execz .LBB77_19
; %bb.18:
	scratch_load_b128 v[1:4], v43, off
	ds_load_b128 v[6:9], v5
	v_mov_b32_e32 v10, 0
	ds_load_b128 v[44:47], v10 offset:16
	s_wait_loadcnt_dscnt 0x1
	v_mul_f64_e32 v[10:11], v[6:7], v[3:4]
	v_mul_f64_e32 v[3:4], v[8:9], v[3:4]
	s_delay_alu instid0(VALU_DEP_2) | instskip(NEXT) | instid1(VALU_DEP_2)
	v_fma_f64 v[8:9], v[8:9], v[1:2], v[10:11]
	v_fma_f64 v[1:2], v[6:7], v[1:2], -v[3:4]
	s_delay_alu instid0(VALU_DEP_2) | instskip(NEXT) | instid1(VALU_DEP_2)
	v_add_f64_e32 v[3:4], 0, v[8:9]
	v_add_f64_e32 v[1:2], 0, v[1:2]
	s_wait_dscnt 0x0
	s_delay_alu instid0(VALU_DEP_2) | instskip(NEXT) | instid1(VALU_DEP_2)
	v_mul_f64_e32 v[6:7], v[3:4], v[46:47]
	v_mul_f64_e32 v[8:9], v[1:2], v[46:47]
	s_delay_alu instid0(VALU_DEP_2) | instskip(NEXT) | instid1(VALU_DEP_2)
	v_fma_f64 v[1:2], v[1:2], v[44:45], -v[6:7]
	v_fma_f64 v[3:4], v[3:4], v[44:45], v[8:9]
	scratch_store_b128 off, v[1:4], off offset:16
.LBB77_19:
	s_wait_alu 0xfffe
	s_or_b32 exec_lo, exec_lo, s3
	s_wait_loadcnt 0x0
	s_wait_storecnt 0x0
	s_barrier_signal -1
	s_barrier_wait -1
	global_inv scope:SCOPE_SE
	scratch_load_b128 v[1:4], off, s21
	s_mov_b32 s3, exec_lo
	s_wait_loadcnt 0x0
	ds_store_b128 v5, v[1:4]
	s_wait_dscnt 0x0
	s_barrier_signal -1
	s_barrier_wait -1
	global_inv scope:SCOPE_SE
	v_cmpx_gt_u32_e32 2, v41
	s_cbranch_execz .LBB77_23
; %bb.20:
	scratch_load_b128 v[1:4], v43, off
	ds_load_b128 v[6:9], v5
	s_wait_loadcnt_dscnt 0x0
	v_mul_f64_e32 v[10:11], v[8:9], v[3:4]
	v_mul_f64_e32 v[3:4], v[6:7], v[3:4]
	s_delay_alu instid0(VALU_DEP_2) | instskip(NEXT) | instid1(VALU_DEP_2)
	v_fma_f64 v[6:7], v[6:7], v[1:2], -v[10:11]
	v_fma_f64 v[3:4], v[8:9], v[1:2], v[3:4]
	s_delay_alu instid0(VALU_DEP_2) | instskip(NEXT) | instid1(VALU_DEP_2)
	v_add_f64_e32 v[1:2], 0, v[6:7]
	v_add_f64_e32 v[3:4], 0, v[3:4]
	s_and_saveexec_b32 s24, s2
	s_cbranch_execz .LBB77_22
; %bb.21:
	scratch_load_b128 v[6:9], off, off offset:16
	v_mov_b32_e32 v10, 0
	ds_load_b128 v[44:47], v10 offset:240
	s_wait_loadcnt_dscnt 0x0
	v_mul_f64_e32 v[10:11], v[44:45], v[8:9]
	v_mul_f64_e32 v[8:9], v[46:47], v[8:9]
	s_delay_alu instid0(VALU_DEP_2) | instskip(NEXT) | instid1(VALU_DEP_2)
	v_fma_f64 v[10:11], v[46:47], v[6:7], v[10:11]
	v_fma_f64 v[6:7], v[44:45], v[6:7], -v[8:9]
	s_delay_alu instid0(VALU_DEP_2) | instskip(NEXT) | instid1(VALU_DEP_2)
	v_add_f64_e32 v[3:4], v[3:4], v[10:11]
	v_add_f64_e32 v[1:2], v[1:2], v[6:7]
.LBB77_22:
	s_or_b32 exec_lo, exec_lo, s24
	v_mov_b32_e32 v6, 0
	ds_load_b128 v[6:9], v6 offset:32
	s_wait_dscnt 0x0
	v_mul_f64_e32 v[10:11], v[3:4], v[8:9]
	v_mul_f64_e32 v[8:9], v[1:2], v[8:9]
	s_delay_alu instid0(VALU_DEP_2) | instskip(NEXT) | instid1(VALU_DEP_2)
	v_fma_f64 v[1:2], v[1:2], v[6:7], -v[10:11]
	v_fma_f64 v[3:4], v[3:4], v[6:7], v[8:9]
	scratch_store_b128 off, v[1:4], off offset:32
.LBB77_23:
	s_wait_alu 0xfffe
	s_or_b32 exec_lo, exec_lo, s3
	s_wait_loadcnt 0x0
	s_wait_storecnt 0x0
	s_barrier_signal -1
	s_barrier_wait -1
	global_inv scope:SCOPE_SE
	scratch_load_b128 v[1:4], off, s15
	v_add_nc_u32_e32 v6, -1, v41
	s_mov_b32 s2, exec_lo
	s_wait_loadcnt 0x0
	ds_store_b128 v5, v[1:4]
	s_wait_dscnt 0x0
	s_barrier_signal -1
	s_barrier_wait -1
	global_inv scope:SCOPE_SE
	v_cmpx_gt_u32_e32 3, v41
	s_cbranch_execz .LBB77_27
; %bb.24:
	v_dual_mov_b32 v1, 0 :: v_dual_add_nc_u32 v8, 0xe0, v42
	v_mov_b32_e32 v3, 0
	v_dual_mov_b32 v2, 0 :: v_dual_add_nc_u32 v7, -1, v41
	v_mov_b32_e32 v4, 0
	v_or_b32_e32 v9, 8, v43
	s_mov_b32 s3, 0
.LBB77_25:                              ; =>This Inner Loop Header: Depth=1
	scratch_load_b128 v[44:47], v9, off offset:-8
	ds_load_b128 v[48:51], v8
	v_add_nc_u32_e32 v7, 1, v7
	v_add_nc_u32_e32 v8, 16, v8
	v_add_nc_u32_e32 v9, 16, v9
	s_delay_alu instid0(VALU_DEP_3)
	v_cmp_lt_u32_e32 vcc_lo, 1, v7
	s_wait_alu 0xfffe
	s_or_b32 s3, vcc_lo, s3
	s_wait_loadcnt_dscnt 0x0
	v_mul_f64_e32 v[10:11], v[50:51], v[46:47]
	v_mul_f64_e32 v[46:47], v[48:49], v[46:47]
	s_delay_alu instid0(VALU_DEP_2) | instskip(NEXT) | instid1(VALU_DEP_2)
	v_fma_f64 v[10:11], v[48:49], v[44:45], -v[10:11]
	v_fma_f64 v[44:45], v[50:51], v[44:45], v[46:47]
	s_delay_alu instid0(VALU_DEP_2) | instskip(NEXT) | instid1(VALU_DEP_2)
	v_add_f64_e32 v[3:4], v[3:4], v[10:11]
	v_add_f64_e32 v[1:2], v[1:2], v[44:45]
	s_wait_alu 0xfffe
	s_and_not1_b32 exec_lo, exec_lo, s3
	s_cbranch_execnz .LBB77_25
; %bb.26:
	s_or_b32 exec_lo, exec_lo, s3
	v_mov_b32_e32 v7, 0
	ds_load_b128 v[7:10], v7 offset:48
	s_wait_dscnt 0x0
	v_mul_f64_e32 v[11:12], v[1:2], v[9:10]
	v_mul_f64_e32 v[44:45], v[3:4], v[9:10]
	s_delay_alu instid0(VALU_DEP_2) | instskip(NEXT) | instid1(VALU_DEP_2)
	v_fma_f64 v[9:10], v[3:4], v[7:8], -v[11:12]
	v_fma_f64 v[11:12], v[1:2], v[7:8], v[44:45]
	scratch_store_b128 off, v[9:12], off offset:48
.LBB77_27:
	s_wait_alu 0xfffe
	s_or_b32 exec_lo, exec_lo, s2
	s_wait_loadcnt 0x0
	s_wait_storecnt 0x0
	s_barrier_signal -1
	s_barrier_wait -1
	global_inv scope:SCOPE_SE
	scratch_load_b128 v[1:4], off, s16
	s_mov_b32 s2, exec_lo
	s_wait_loadcnt 0x0
	ds_store_b128 v5, v[1:4]
	s_wait_dscnt 0x0
	s_barrier_signal -1
	s_barrier_wait -1
	global_inv scope:SCOPE_SE
	v_cmpx_gt_u32_e32 4, v41
	s_cbranch_execz .LBB77_31
; %bb.28:
	v_dual_mov_b32 v1, 0 :: v_dual_add_nc_u32 v8, 0xe0, v42
	v_mov_b32_e32 v3, 0
	v_dual_mov_b32 v2, 0 :: v_dual_add_nc_u32 v7, -1, v41
	v_mov_b32_e32 v4, 0
	v_or_b32_e32 v9, 8, v43
	s_mov_b32 s3, 0
.LBB77_29:                              ; =>This Inner Loop Header: Depth=1
	scratch_load_b128 v[44:47], v9, off offset:-8
	ds_load_b128 v[48:51], v8
	v_add_nc_u32_e32 v7, 1, v7
	v_add_nc_u32_e32 v8, 16, v8
	v_add_nc_u32_e32 v9, 16, v9
	s_delay_alu instid0(VALU_DEP_3)
	v_cmp_lt_u32_e32 vcc_lo, 2, v7
	s_wait_alu 0xfffe
	s_or_b32 s3, vcc_lo, s3
	s_wait_loadcnt_dscnt 0x0
	v_mul_f64_e32 v[10:11], v[50:51], v[46:47]
	v_mul_f64_e32 v[46:47], v[48:49], v[46:47]
	s_delay_alu instid0(VALU_DEP_2) | instskip(NEXT) | instid1(VALU_DEP_2)
	v_fma_f64 v[10:11], v[48:49], v[44:45], -v[10:11]
	v_fma_f64 v[44:45], v[50:51], v[44:45], v[46:47]
	s_delay_alu instid0(VALU_DEP_2) | instskip(NEXT) | instid1(VALU_DEP_2)
	v_add_f64_e32 v[3:4], v[3:4], v[10:11]
	v_add_f64_e32 v[1:2], v[1:2], v[44:45]
	s_wait_alu 0xfffe
	s_and_not1_b32 exec_lo, exec_lo, s3
	s_cbranch_execnz .LBB77_29
; %bb.30:
	s_or_b32 exec_lo, exec_lo, s3
	v_mov_b32_e32 v7, 0
	ds_load_b128 v[7:10], v7 offset:64
	s_wait_dscnt 0x0
	v_mul_f64_e32 v[11:12], v[1:2], v[9:10]
	v_mul_f64_e32 v[44:45], v[3:4], v[9:10]
	s_delay_alu instid0(VALU_DEP_2) | instskip(NEXT) | instid1(VALU_DEP_2)
	v_fma_f64 v[9:10], v[3:4], v[7:8], -v[11:12]
	v_fma_f64 v[11:12], v[1:2], v[7:8], v[44:45]
	scratch_store_b128 off, v[9:12], off offset:64
.LBB77_31:
	s_wait_alu 0xfffe
	s_or_b32 exec_lo, exec_lo, s2
	s_wait_loadcnt 0x0
	s_wait_storecnt 0x0
	s_barrier_signal -1
	s_barrier_wait -1
	global_inv scope:SCOPE_SE
	scratch_load_b128 v[1:4], off, s4
	;; [unrolled: 58-line block ×10, first 2 shown]
	s_mov_b32 s2, exec_lo
	s_wait_loadcnt 0x0
	ds_store_b128 v5, v[1:4]
	s_wait_dscnt 0x0
	s_barrier_signal -1
	s_barrier_wait -1
	global_inv scope:SCOPE_SE
	v_cmpx_ne_u32_e32 13, v41
	s_cbranch_execz .LBB77_67
; %bb.64:
	v_mov_b32_e32 v1, 0
	v_dual_mov_b32 v2, 0 :: v_dual_mov_b32 v3, 0
	v_mov_b32_e32 v4, 0
	v_or_b32_e32 v7, 8, v43
	s_mov_b32 s3, 0
.LBB77_65:                              ; =>This Inner Loop Header: Depth=1
	scratch_load_b128 v[8:11], v7, off offset:-8
	ds_load_b128 v[42:45], v5
	v_add_nc_u32_e32 v6, 1, v6
	v_add_nc_u32_e32 v5, 16, v5
	;; [unrolled: 1-line block ×3, first 2 shown]
	s_delay_alu instid0(VALU_DEP_3)
	v_cmp_lt_u32_e32 vcc_lo, 11, v6
	s_wait_alu 0xfffe
	s_or_b32 s3, vcc_lo, s3
	s_wait_loadcnt_dscnt 0x0
	v_mul_f64_e32 v[46:47], v[44:45], v[10:11]
	v_mul_f64_e32 v[10:11], v[42:43], v[10:11]
	s_delay_alu instid0(VALU_DEP_2) | instskip(NEXT) | instid1(VALU_DEP_2)
	v_fma_f64 v[42:43], v[42:43], v[8:9], -v[46:47]
	v_fma_f64 v[8:9], v[44:45], v[8:9], v[10:11]
	s_delay_alu instid0(VALU_DEP_2) | instskip(NEXT) | instid1(VALU_DEP_2)
	v_add_f64_e32 v[3:4], v[3:4], v[42:43]
	v_add_f64_e32 v[1:2], v[1:2], v[8:9]
	s_wait_alu 0xfffe
	s_and_not1_b32 exec_lo, exec_lo, s3
	s_cbranch_execnz .LBB77_65
; %bb.66:
	s_or_b32 exec_lo, exec_lo, s3
	v_mov_b32_e32 v5, 0
	ds_load_b128 v[5:8], v5 offset:208
	s_wait_dscnt 0x0
	v_mul_f64_e32 v[9:10], v[1:2], v[7:8]
	v_mul_f64_e32 v[7:8], v[3:4], v[7:8]
	s_delay_alu instid0(VALU_DEP_2) | instskip(NEXT) | instid1(VALU_DEP_2)
	v_fma_f64 v[3:4], v[3:4], v[5:6], -v[9:10]
	v_fma_f64 v[5:6], v[1:2], v[5:6], v[7:8]
	scratch_store_b128 off, v[3:6], off offset:208
.LBB77_67:
	s_wait_alu 0xfffe
	s_or_b32 exec_lo, exec_lo, s2
	s_mov_b32 s3, -1
	s_wait_loadcnt 0x0
	s_wait_storecnt 0x0
	s_barrier_signal -1
	s_barrier_wait -1
	global_inv scope:SCOPE_SE
.LBB77_68:
	s_wait_alu 0xfffe
	s_and_b32 vcc_lo, exec_lo, s3
	s_wait_alu 0xfffe
	s_cbranch_vccz .LBB77_70
; %bb.69:
	v_mov_b32_e32 v1, 0
	s_lshl_b64 s[2:3], s[10:11], 2
	s_wait_alu 0xfffe
	s_add_nc_u64 s[2:3], s[6:7], s[2:3]
	global_load_b32 v1, v1, s[2:3]
	s_wait_loadcnt 0x0
	v_cmp_ne_u32_e32 vcc_lo, 0, v1
	s_cbranch_vccz .LBB77_71
.LBB77_70:
	s_nop 0
	s_sendmsg sendmsg(MSG_DEALLOC_VGPRS)
	s_endpgm
.LBB77_71:
	v_lshl_add_u32 v5, v41, 4, 0xe0
	s_mov_b32 s2, exec_lo
	v_cmpx_eq_u32_e32 13, v41
	s_cbranch_execz .LBB77_73
; %bb.72:
	scratch_load_b128 v[1:4], off, s20
	v_mov_b32_e32 v6, 0
	s_delay_alu instid0(VALU_DEP_1)
	v_dual_mov_b32 v7, v6 :: v_dual_mov_b32 v8, v6
	v_mov_b32_e32 v9, v6
	scratch_store_b128 off, v[6:9], off offset:192
	s_wait_loadcnt 0x0
	ds_store_b128 v5, v[1:4]
.LBB77_73:
	s_wait_alu 0xfffe
	s_or_b32 exec_lo, exec_lo, s2
	s_wait_storecnt_dscnt 0x0
	s_barrier_signal -1
	s_barrier_wait -1
	global_inv scope:SCOPE_SE
	s_clause 0x1
	scratch_load_b128 v[6:9], off, off offset:208
	scratch_load_b128 v[42:45], off, off offset:192
	v_mov_b32_e32 v1, 0
	s_mov_b32 s2, exec_lo
	ds_load_b128 v[46:49], v1 offset:432
	s_wait_loadcnt_dscnt 0x100
	v_mul_f64_e32 v[2:3], v[48:49], v[8:9]
	v_mul_f64_e32 v[8:9], v[46:47], v[8:9]
	s_delay_alu instid0(VALU_DEP_2) | instskip(NEXT) | instid1(VALU_DEP_2)
	v_fma_f64 v[2:3], v[46:47], v[6:7], -v[2:3]
	v_fma_f64 v[6:7], v[48:49], v[6:7], v[8:9]
	s_delay_alu instid0(VALU_DEP_2) | instskip(NEXT) | instid1(VALU_DEP_2)
	v_add_f64_e32 v[2:3], 0, v[2:3]
	v_add_f64_e32 v[8:9], 0, v[6:7]
	s_wait_loadcnt 0x0
	s_delay_alu instid0(VALU_DEP_2) | instskip(NEXT) | instid1(VALU_DEP_2)
	v_add_f64_e64 v[6:7], v[42:43], -v[2:3]
	v_add_f64_e64 v[8:9], v[44:45], -v[8:9]
	scratch_store_b128 off, v[6:9], off offset:192
	v_cmpx_lt_u32_e32 11, v41
	s_cbranch_execz .LBB77_75
; %bb.74:
	scratch_load_b128 v[6:9], off, s13
	v_dual_mov_b32 v2, v1 :: v_dual_mov_b32 v3, v1
	v_mov_b32_e32 v4, v1
	scratch_store_b128 off, v[1:4], off offset:176
	s_wait_loadcnt 0x0
	ds_store_b128 v5, v[6:9]
.LBB77_75:
	s_wait_alu 0xfffe
	s_or_b32 exec_lo, exec_lo, s2
	s_wait_storecnt_dscnt 0x0
	s_barrier_signal -1
	s_barrier_wait -1
	global_inv scope:SCOPE_SE
	s_clause 0x2
	scratch_load_b128 v[6:9], off, off offset:192
	scratch_load_b128 v[42:45], off, off offset:208
	;; [unrolled: 1-line block ×3, first 2 shown]
	ds_load_b128 v[50:53], v1 offset:416
	ds_load_b128 v[1:4], v1 offset:432
	s_mov_b32 s2, exec_lo
	s_wait_loadcnt_dscnt 0x201
	v_mul_f64_e32 v[10:11], v[52:53], v[8:9]
	v_mul_f64_e32 v[8:9], v[50:51], v[8:9]
	s_wait_loadcnt_dscnt 0x100
	v_mul_f64_e32 v[54:55], v[1:2], v[44:45]
	v_mul_f64_e32 v[44:45], v[3:4], v[44:45]
	s_delay_alu instid0(VALU_DEP_4) | instskip(NEXT) | instid1(VALU_DEP_4)
	v_fma_f64 v[10:11], v[50:51], v[6:7], -v[10:11]
	v_fma_f64 v[6:7], v[52:53], v[6:7], v[8:9]
	s_delay_alu instid0(VALU_DEP_4) | instskip(NEXT) | instid1(VALU_DEP_4)
	v_fma_f64 v[3:4], v[3:4], v[42:43], v[54:55]
	v_fma_f64 v[1:2], v[1:2], v[42:43], -v[44:45]
	s_delay_alu instid0(VALU_DEP_4) | instskip(NEXT) | instid1(VALU_DEP_4)
	v_add_f64_e32 v[8:9], 0, v[10:11]
	v_add_f64_e32 v[6:7], 0, v[6:7]
	s_delay_alu instid0(VALU_DEP_2) | instskip(NEXT) | instid1(VALU_DEP_2)
	v_add_f64_e32 v[1:2], v[8:9], v[1:2]
	v_add_f64_e32 v[3:4], v[6:7], v[3:4]
	s_wait_loadcnt 0x0
	s_delay_alu instid0(VALU_DEP_2) | instskip(NEXT) | instid1(VALU_DEP_2)
	v_add_f64_e64 v[1:2], v[46:47], -v[1:2]
	v_add_f64_e64 v[3:4], v[48:49], -v[3:4]
	scratch_store_b128 off, v[1:4], off offset:176
	v_cmpx_lt_u32_e32 10, v41
	s_cbranch_execz .LBB77_77
; %bb.76:
	scratch_load_b128 v[1:4], off, s19
	v_mov_b32_e32 v6, 0
	s_delay_alu instid0(VALU_DEP_1)
	v_dual_mov_b32 v7, v6 :: v_dual_mov_b32 v8, v6
	v_mov_b32_e32 v9, v6
	scratch_store_b128 off, v[6:9], off offset:160
	s_wait_loadcnt 0x0
	ds_store_b128 v5, v[1:4]
.LBB77_77:
	s_wait_alu 0xfffe
	s_or_b32 exec_lo, exec_lo, s2
	s_wait_storecnt_dscnt 0x0
	s_barrier_signal -1
	s_barrier_wait -1
	global_inv scope:SCOPE_SE
	s_clause 0x3
	scratch_load_b128 v[6:9], off, off offset:176
	scratch_load_b128 v[42:45], off, off offset:192
	;; [unrolled: 1-line block ×4, first 2 shown]
	v_mov_b32_e32 v1, 0
	ds_load_b128 v[54:57], v1 offset:400
	ds_load_b128 v[58:61], v1 offset:416
	s_mov_b32 s2, exec_lo
	s_wait_loadcnt_dscnt 0x301
	v_mul_f64_e32 v[2:3], v[56:57], v[8:9]
	v_mul_f64_e32 v[8:9], v[54:55], v[8:9]
	s_wait_loadcnt_dscnt 0x200
	v_mul_f64_e32 v[10:11], v[58:59], v[44:45]
	v_mul_f64_e32 v[44:45], v[60:61], v[44:45]
	s_delay_alu instid0(VALU_DEP_4) | instskip(NEXT) | instid1(VALU_DEP_4)
	v_fma_f64 v[2:3], v[54:55], v[6:7], -v[2:3]
	v_fma_f64 v[54:55], v[56:57], v[6:7], v[8:9]
	ds_load_b128 v[6:9], v1 offset:432
	v_fma_f64 v[10:11], v[60:61], v[42:43], v[10:11]
	v_fma_f64 v[42:43], v[58:59], v[42:43], -v[44:45]
	s_wait_loadcnt_dscnt 0x100
	v_mul_f64_e32 v[56:57], v[6:7], v[48:49]
	v_mul_f64_e32 v[48:49], v[8:9], v[48:49]
	v_add_f64_e32 v[2:3], 0, v[2:3]
	v_add_f64_e32 v[44:45], 0, v[54:55]
	s_delay_alu instid0(VALU_DEP_4) | instskip(NEXT) | instid1(VALU_DEP_4)
	v_fma_f64 v[8:9], v[8:9], v[46:47], v[56:57]
	v_fma_f64 v[6:7], v[6:7], v[46:47], -v[48:49]
	s_delay_alu instid0(VALU_DEP_4) | instskip(NEXT) | instid1(VALU_DEP_4)
	v_add_f64_e32 v[2:3], v[2:3], v[42:43]
	v_add_f64_e32 v[10:11], v[44:45], v[10:11]
	s_delay_alu instid0(VALU_DEP_2) | instskip(NEXT) | instid1(VALU_DEP_2)
	v_add_f64_e32 v[2:3], v[2:3], v[6:7]
	v_add_f64_e32 v[8:9], v[10:11], v[8:9]
	s_wait_loadcnt 0x0
	s_delay_alu instid0(VALU_DEP_2) | instskip(NEXT) | instid1(VALU_DEP_2)
	v_add_f64_e64 v[6:7], v[50:51], -v[2:3]
	v_add_f64_e64 v[8:9], v[52:53], -v[8:9]
	scratch_store_b128 off, v[6:9], off offset:160
	v_cmpx_lt_u32_e32 9, v41
	s_cbranch_execz .LBB77_79
; %bb.78:
	scratch_load_b128 v[6:9], off, s12
	v_dual_mov_b32 v2, v1 :: v_dual_mov_b32 v3, v1
	v_mov_b32_e32 v4, v1
	scratch_store_b128 off, v[1:4], off offset:144
	s_wait_loadcnt 0x0
	ds_store_b128 v5, v[6:9]
.LBB77_79:
	s_wait_alu 0xfffe
	s_or_b32 exec_lo, exec_lo, s2
	s_wait_storecnt_dscnt 0x0
	s_barrier_signal -1
	s_barrier_wait -1
	global_inv scope:SCOPE_SE
	s_clause 0x4
	scratch_load_b128 v[6:9], off, off offset:160
	scratch_load_b128 v[42:45], off, off offset:176
	;; [unrolled: 1-line block ×5, first 2 shown]
	ds_load_b128 v[58:61], v1 offset:384
	ds_load_b128 v[62:65], v1 offset:400
	s_mov_b32 s2, exec_lo
	s_wait_loadcnt_dscnt 0x401
	v_mul_f64_e32 v[2:3], v[60:61], v[8:9]
	v_mul_f64_e32 v[8:9], v[58:59], v[8:9]
	s_wait_loadcnt_dscnt 0x300
	v_mul_f64_e32 v[10:11], v[62:63], v[44:45]
	v_mul_f64_e32 v[44:45], v[64:65], v[44:45]
	s_delay_alu instid0(VALU_DEP_4) | instskip(NEXT) | instid1(VALU_DEP_4)
	v_fma_f64 v[58:59], v[58:59], v[6:7], -v[2:3]
	v_fma_f64 v[60:61], v[60:61], v[6:7], v[8:9]
	ds_load_b128 v[6:9], v1 offset:416
	ds_load_b128 v[1:4], v1 offset:432
	v_fma_f64 v[10:11], v[64:65], v[42:43], v[10:11]
	v_fma_f64 v[42:43], v[62:63], v[42:43], -v[44:45]
	s_wait_loadcnt_dscnt 0x201
	v_mul_f64_e32 v[66:67], v[6:7], v[48:49]
	v_mul_f64_e32 v[48:49], v[8:9], v[48:49]
	v_add_f64_e32 v[44:45], 0, v[58:59]
	v_add_f64_e32 v[58:59], 0, v[60:61]
	s_wait_loadcnt_dscnt 0x100
	v_mul_f64_e32 v[60:61], v[1:2], v[52:53]
	v_mul_f64_e32 v[52:53], v[3:4], v[52:53]
	v_fma_f64 v[8:9], v[8:9], v[46:47], v[66:67]
	v_fma_f64 v[6:7], v[6:7], v[46:47], -v[48:49]
	v_add_f64_e32 v[42:43], v[44:45], v[42:43]
	v_add_f64_e32 v[10:11], v[58:59], v[10:11]
	v_fma_f64 v[3:4], v[3:4], v[50:51], v[60:61]
	v_fma_f64 v[1:2], v[1:2], v[50:51], -v[52:53]
	s_delay_alu instid0(VALU_DEP_4) | instskip(NEXT) | instid1(VALU_DEP_4)
	v_add_f64_e32 v[6:7], v[42:43], v[6:7]
	v_add_f64_e32 v[8:9], v[10:11], v[8:9]
	s_delay_alu instid0(VALU_DEP_2) | instskip(NEXT) | instid1(VALU_DEP_2)
	v_add_f64_e32 v[1:2], v[6:7], v[1:2]
	v_add_f64_e32 v[3:4], v[8:9], v[3:4]
	s_wait_loadcnt 0x0
	s_delay_alu instid0(VALU_DEP_2) | instskip(NEXT) | instid1(VALU_DEP_2)
	v_add_f64_e64 v[1:2], v[54:55], -v[1:2]
	v_add_f64_e64 v[3:4], v[56:57], -v[3:4]
	scratch_store_b128 off, v[1:4], off offset:144
	v_cmpx_lt_u32_e32 8, v41
	s_cbranch_execz .LBB77_81
; %bb.80:
	scratch_load_b128 v[1:4], off, s18
	v_mov_b32_e32 v6, 0
	s_delay_alu instid0(VALU_DEP_1)
	v_dual_mov_b32 v7, v6 :: v_dual_mov_b32 v8, v6
	v_mov_b32_e32 v9, v6
	scratch_store_b128 off, v[6:9], off offset:128
	s_wait_loadcnt 0x0
	ds_store_b128 v5, v[1:4]
.LBB77_81:
	s_wait_alu 0xfffe
	s_or_b32 exec_lo, exec_lo, s2
	s_wait_storecnt_dscnt 0x0
	s_barrier_signal -1
	s_barrier_wait -1
	global_inv scope:SCOPE_SE
	s_clause 0x5
	scratch_load_b128 v[6:9], off, off offset:144
	scratch_load_b128 v[42:45], off, off offset:160
	scratch_load_b128 v[46:49], off, off offset:176
	scratch_load_b128 v[50:53], off, off offset:192
	scratch_load_b128 v[54:57], off, off offset:208
	scratch_load_b128 v[58:61], off, off offset:128
	v_mov_b32_e32 v1, 0
	ds_load_b128 v[62:65], v1 offset:368
	ds_load_b128 v[66:69], v1 offset:384
	s_mov_b32 s2, exec_lo
	s_wait_loadcnt_dscnt 0x501
	v_mul_f64_e32 v[2:3], v[64:65], v[8:9]
	v_mul_f64_e32 v[8:9], v[62:63], v[8:9]
	s_wait_loadcnt_dscnt 0x400
	v_mul_f64_e32 v[10:11], v[66:67], v[44:45]
	v_mul_f64_e32 v[44:45], v[68:69], v[44:45]
	s_delay_alu instid0(VALU_DEP_4) | instskip(NEXT) | instid1(VALU_DEP_4)
	v_fma_f64 v[2:3], v[62:63], v[6:7], -v[2:3]
	v_fma_f64 v[70:71], v[64:65], v[6:7], v[8:9]
	ds_load_b128 v[6:9], v1 offset:400
	ds_load_b128 v[62:65], v1 offset:416
	v_fma_f64 v[10:11], v[68:69], v[42:43], v[10:11]
	v_fma_f64 v[42:43], v[66:67], v[42:43], -v[44:45]
	s_wait_loadcnt_dscnt 0x301
	v_mul_f64_e32 v[72:73], v[6:7], v[48:49]
	v_mul_f64_e32 v[48:49], v[8:9], v[48:49]
	s_wait_loadcnt_dscnt 0x200
	v_mul_f64_e32 v[66:67], v[62:63], v[52:53]
	v_mul_f64_e32 v[52:53], v[64:65], v[52:53]
	v_add_f64_e32 v[2:3], 0, v[2:3]
	v_add_f64_e32 v[44:45], 0, v[70:71]
	v_fma_f64 v[68:69], v[8:9], v[46:47], v[72:73]
	v_fma_f64 v[46:47], v[6:7], v[46:47], -v[48:49]
	ds_load_b128 v[6:9], v1 offset:432
	v_fma_f64 v[48:49], v[64:65], v[50:51], v[66:67]
	v_fma_f64 v[50:51], v[62:63], v[50:51], -v[52:53]
	v_add_f64_e32 v[2:3], v[2:3], v[42:43]
	v_add_f64_e32 v[10:11], v[44:45], v[10:11]
	s_wait_loadcnt_dscnt 0x100
	v_mul_f64_e32 v[42:43], v[6:7], v[56:57]
	v_mul_f64_e32 v[44:45], v[8:9], v[56:57]
	s_delay_alu instid0(VALU_DEP_4) | instskip(NEXT) | instid1(VALU_DEP_4)
	v_add_f64_e32 v[2:3], v[2:3], v[46:47]
	v_add_f64_e32 v[10:11], v[10:11], v[68:69]
	s_delay_alu instid0(VALU_DEP_4) | instskip(NEXT) | instid1(VALU_DEP_4)
	v_fma_f64 v[8:9], v[8:9], v[54:55], v[42:43]
	v_fma_f64 v[6:7], v[6:7], v[54:55], -v[44:45]
	s_delay_alu instid0(VALU_DEP_4) | instskip(NEXT) | instid1(VALU_DEP_4)
	v_add_f64_e32 v[2:3], v[2:3], v[50:51]
	v_add_f64_e32 v[10:11], v[10:11], v[48:49]
	s_delay_alu instid0(VALU_DEP_2) | instskip(NEXT) | instid1(VALU_DEP_2)
	v_add_f64_e32 v[2:3], v[2:3], v[6:7]
	v_add_f64_e32 v[8:9], v[10:11], v[8:9]
	s_wait_loadcnt 0x0
	s_delay_alu instid0(VALU_DEP_2) | instskip(NEXT) | instid1(VALU_DEP_2)
	v_add_f64_e64 v[6:7], v[58:59], -v[2:3]
	v_add_f64_e64 v[8:9], v[60:61], -v[8:9]
	scratch_store_b128 off, v[6:9], off offset:128
	v_cmpx_lt_u32_e32 7, v41
	s_cbranch_execz .LBB77_83
; %bb.82:
	scratch_load_b128 v[6:9], off, s5
	v_dual_mov_b32 v2, v1 :: v_dual_mov_b32 v3, v1
	v_mov_b32_e32 v4, v1
	scratch_store_b128 off, v[1:4], off offset:112
	s_wait_loadcnt 0x0
	ds_store_b128 v5, v[6:9]
.LBB77_83:
	s_wait_alu 0xfffe
	s_or_b32 exec_lo, exec_lo, s2
	s_wait_storecnt_dscnt 0x0
	s_barrier_signal -1
	s_barrier_wait -1
	global_inv scope:SCOPE_SE
	s_clause 0x5
	scratch_load_b128 v[6:9], off, off offset:128
	scratch_load_b128 v[42:45], off, off offset:144
	;; [unrolled: 1-line block ×6, first 2 shown]
	ds_load_b128 v[62:65], v1 offset:352
	ds_load_b128 v[70:73], v1 offset:368
	scratch_load_b128 v[66:69], off, off offset:112
	s_mov_b32 s2, exec_lo
	s_wait_loadcnt_dscnt 0x601
	v_mul_f64_e32 v[2:3], v[64:65], v[8:9]
	v_mul_f64_e32 v[8:9], v[62:63], v[8:9]
	s_wait_loadcnt_dscnt 0x500
	v_mul_f64_e32 v[10:11], v[70:71], v[44:45]
	v_mul_f64_e32 v[44:45], v[72:73], v[44:45]
	s_delay_alu instid0(VALU_DEP_4) | instskip(NEXT) | instid1(VALU_DEP_4)
	v_fma_f64 v[2:3], v[62:63], v[6:7], -v[2:3]
	v_fma_f64 v[74:75], v[64:65], v[6:7], v[8:9]
	ds_load_b128 v[6:9], v1 offset:384
	ds_load_b128 v[62:65], v1 offset:400
	v_fma_f64 v[10:11], v[72:73], v[42:43], v[10:11]
	v_fma_f64 v[42:43], v[70:71], v[42:43], -v[44:45]
	s_wait_loadcnt_dscnt 0x401
	v_mul_f64_e32 v[76:77], v[6:7], v[48:49]
	v_mul_f64_e32 v[48:49], v[8:9], v[48:49]
	s_wait_loadcnt_dscnt 0x300
	v_mul_f64_e32 v[70:71], v[62:63], v[52:53]
	v_mul_f64_e32 v[52:53], v[64:65], v[52:53]
	v_add_f64_e32 v[2:3], 0, v[2:3]
	v_add_f64_e32 v[44:45], 0, v[74:75]
	v_fma_f64 v[72:73], v[8:9], v[46:47], v[76:77]
	v_fma_f64 v[46:47], v[6:7], v[46:47], -v[48:49]
	s_delay_alu instid0(VALU_DEP_4) | instskip(NEXT) | instid1(VALU_DEP_4)
	v_add_f64_e32 v[42:43], v[2:3], v[42:43]
	v_add_f64_e32 v[10:11], v[44:45], v[10:11]
	ds_load_b128 v[6:9], v1 offset:416
	ds_load_b128 v[1:4], v1 offset:432
	s_wait_loadcnt_dscnt 0x201
	v_mul_f64_e32 v[44:45], v[6:7], v[56:57]
	v_mul_f64_e32 v[48:49], v[8:9], v[56:57]
	v_fma_f64 v[56:57], v[64:65], v[50:51], v[70:71]
	v_fma_f64 v[50:51], v[62:63], v[50:51], -v[52:53]
	s_wait_loadcnt_dscnt 0x100
	v_mul_f64_e32 v[52:53], v[3:4], v[60:61]
	v_add_f64_e32 v[42:43], v[42:43], v[46:47]
	v_add_f64_e32 v[10:11], v[10:11], v[72:73]
	v_mul_f64_e32 v[46:47], v[1:2], v[60:61]
	v_fma_f64 v[8:9], v[8:9], v[54:55], v[44:45]
	v_fma_f64 v[6:7], v[6:7], v[54:55], -v[48:49]
	v_fma_f64 v[1:2], v[1:2], v[58:59], -v[52:53]
	v_add_f64_e32 v[42:43], v[42:43], v[50:51]
	v_add_f64_e32 v[10:11], v[10:11], v[56:57]
	v_fma_f64 v[3:4], v[3:4], v[58:59], v[46:47]
	s_delay_alu instid0(VALU_DEP_3) | instskip(NEXT) | instid1(VALU_DEP_3)
	v_add_f64_e32 v[6:7], v[42:43], v[6:7]
	v_add_f64_e32 v[8:9], v[10:11], v[8:9]
	s_delay_alu instid0(VALU_DEP_2) | instskip(NEXT) | instid1(VALU_DEP_2)
	v_add_f64_e32 v[1:2], v[6:7], v[1:2]
	v_add_f64_e32 v[3:4], v[8:9], v[3:4]
	s_wait_loadcnt 0x0
	s_delay_alu instid0(VALU_DEP_2) | instskip(NEXT) | instid1(VALU_DEP_2)
	v_add_f64_e64 v[1:2], v[66:67], -v[1:2]
	v_add_f64_e64 v[3:4], v[68:69], -v[3:4]
	scratch_store_b128 off, v[1:4], off offset:112
	v_cmpx_lt_u32_e32 6, v41
	s_cbranch_execz .LBB77_85
; %bb.84:
	scratch_load_b128 v[1:4], off, s17
	v_mov_b32_e32 v6, 0
	s_delay_alu instid0(VALU_DEP_1)
	v_dual_mov_b32 v7, v6 :: v_dual_mov_b32 v8, v6
	v_mov_b32_e32 v9, v6
	scratch_store_b128 off, v[6:9], off offset:96
	s_wait_loadcnt 0x0
	ds_store_b128 v5, v[1:4]
.LBB77_85:
	s_wait_alu 0xfffe
	s_or_b32 exec_lo, exec_lo, s2
	s_wait_storecnt_dscnt 0x0
	s_barrier_signal -1
	s_barrier_wait -1
	global_inv scope:SCOPE_SE
	s_clause 0x6
	scratch_load_b128 v[6:9], off, off offset:112
	scratch_load_b128 v[42:45], off, off offset:128
	;; [unrolled: 1-line block ×7, first 2 shown]
	v_mov_b32_e32 v1, 0
	scratch_load_b128 v[70:73], off, off offset:96
	s_mov_b32 s2, exec_lo
	ds_load_b128 v[66:69], v1 offset:336
	ds_load_b128 v[74:77], v1 offset:352
	s_wait_loadcnt_dscnt 0x701
	v_mul_f64_e32 v[2:3], v[68:69], v[8:9]
	v_mul_f64_e32 v[8:9], v[66:67], v[8:9]
	s_wait_loadcnt_dscnt 0x600
	v_mul_f64_e32 v[10:11], v[74:75], v[44:45]
	v_mul_f64_e32 v[44:45], v[76:77], v[44:45]
	s_delay_alu instid0(VALU_DEP_4) | instskip(NEXT) | instid1(VALU_DEP_4)
	v_fma_f64 v[2:3], v[66:67], v[6:7], -v[2:3]
	v_fma_f64 v[78:79], v[68:69], v[6:7], v[8:9]
	ds_load_b128 v[6:9], v1 offset:368
	ds_load_b128 v[66:69], v1 offset:384
	v_fma_f64 v[10:11], v[76:77], v[42:43], v[10:11]
	v_fma_f64 v[42:43], v[74:75], v[42:43], -v[44:45]
	s_wait_loadcnt_dscnt 0x501
	v_mul_f64_e32 v[80:81], v[6:7], v[48:49]
	v_mul_f64_e32 v[48:49], v[8:9], v[48:49]
	s_wait_loadcnt_dscnt 0x400
	v_mul_f64_e32 v[74:75], v[66:67], v[52:53]
	v_mul_f64_e32 v[52:53], v[68:69], v[52:53]
	v_add_f64_e32 v[2:3], 0, v[2:3]
	v_add_f64_e32 v[44:45], 0, v[78:79]
	v_fma_f64 v[76:77], v[8:9], v[46:47], v[80:81]
	v_fma_f64 v[46:47], v[6:7], v[46:47], -v[48:49]
	v_fma_f64 v[68:69], v[68:69], v[50:51], v[74:75]
	v_fma_f64 v[50:51], v[66:67], v[50:51], -v[52:53]
	v_add_f64_e32 v[2:3], v[2:3], v[42:43]
	v_add_f64_e32 v[10:11], v[44:45], v[10:11]
	ds_load_b128 v[6:9], v1 offset:400
	ds_load_b128 v[42:45], v1 offset:416
	s_wait_loadcnt_dscnt 0x301
	v_mul_f64_e32 v[48:49], v[6:7], v[56:57]
	v_mul_f64_e32 v[56:57], v[8:9], v[56:57]
	s_wait_loadcnt_dscnt 0x200
	v_mul_f64_e32 v[52:53], v[44:45], v[60:61]
	v_add_f64_e32 v[2:3], v[2:3], v[46:47]
	v_add_f64_e32 v[10:11], v[10:11], v[76:77]
	v_mul_f64_e32 v[46:47], v[42:43], v[60:61]
	v_fma_f64 v[48:49], v[8:9], v[54:55], v[48:49]
	v_fma_f64 v[54:55], v[6:7], v[54:55], -v[56:57]
	ds_load_b128 v[6:9], v1 offset:432
	v_fma_f64 v[42:43], v[42:43], v[58:59], -v[52:53]
	v_add_f64_e32 v[2:3], v[2:3], v[50:51]
	v_add_f64_e32 v[10:11], v[10:11], v[68:69]
	v_fma_f64 v[44:45], v[44:45], v[58:59], v[46:47]
	s_wait_loadcnt_dscnt 0x100
	v_mul_f64_e32 v[50:51], v[6:7], v[64:65]
	v_mul_f64_e32 v[56:57], v[8:9], v[64:65]
	v_add_f64_e32 v[2:3], v[2:3], v[54:55]
	v_add_f64_e32 v[10:11], v[10:11], v[48:49]
	s_delay_alu instid0(VALU_DEP_4) | instskip(NEXT) | instid1(VALU_DEP_4)
	v_fma_f64 v[8:9], v[8:9], v[62:63], v[50:51]
	v_fma_f64 v[6:7], v[6:7], v[62:63], -v[56:57]
	s_delay_alu instid0(VALU_DEP_4) | instskip(NEXT) | instid1(VALU_DEP_4)
	v_add_f64_e32 v[2:3], v[2:3], v[42:43]
	v_add_f64_e32 v[10:11], v[10:11], v[44:45]
	s_delay_alu instid0(VALU_DEP_2) | instskip(NEXT) | instid1(VALU_DEP_2)
	v_add_f64_e32 v[2:3], v[2:3], v[6:7]
	v_add_f64_e32 v[8:9], v[10:11], v[8:9]
	s_wait_loadcnt 0x0
	s_delay_alu instid0(VALU_DEP_2) | instskip(NEXT) | instid1(VALU_DEP_2)
	v_add_f64_e64 v[6:7], v[70:71], -v[2:3]
	v_add_f64_e64 v[8:9], v[72:73], -v[8:9]
	scratch_store_b128 off, v[6:9], off offset:96
	v_cmpx_lt_u32_e32 5, v41
	s_cbranch_execz .LBB77_87
; %bb.86:
	scratch_load_b128 v[6:9], off, s4
	v_dual_mov_b32 v2, v1 :: v_dual_mov_b32 v3, v1
	v_mov_b32_e32 v4, v1
	scratch_store_b128 off, v[1:4], off offset:80
	s_wait_loadcnt 0x0
	ds_store_b128 v5, v[6:9]
.LBB77_87:
	s_wait_alu 0xfffe
	s_or_b32 exec_lo, exec_lo, s2
	s_wait_storecnt_dscnt 0x0
	s_barrier_signal -1
	s_barrier_wait -1
	global_inv scope:SCOPE_SE
	s_clause 0x7
	scratch_load_b128 v[6:9], off, off offset:96
	scratch_load_b128 v[42:45], off, off offset:112
	;; [unrolled: 1-line block ×8, first 2 shown]
	ds_load_b128 v[70:73], v1 offset:320
	ds_load_b128 v[74:77], v1 offset:336
	scratch_load_b128 v[78:81], off, off offset:80
	s_mov_b32 s2, exec_lo
	s_wait_loadcnt_dscnt 0x801
	v_mul_f64_e32 v[2:3], v[72:73], v[8:9]
	v_mul_f64_e32 v[8:9], v[70:71], v[8:9]
	s_wait_loadcnt_dscnt 0x700
	v_mul_f64_e32 v[10:11], v[74:75], v[44:45]
	v_mul_f64_e32 v[44:45], v[76:77], v[44:45]
	s_delay_alu instid0(VALU_DEP_4) | instskip(NEXT) | instid1(VALU_DEP_4)
	v_fma_f64 v[2:3], v[70:71], v[6:7], -v[2:3]
	v_fma_f64 v[82:83], v[72:73], v[6:7], v[8:9]
	ds_load_b128 v[6:9], v1 offset:352
	ds_load_b128 v[70:73], v1 offset:368
	v_fma_f64 v[10:11], v[76:77], v[42:43], v[10:11]
	v_fma_f64 v[42:43], v[74:75], v[42:43], -v[44:45]
	s_wait_loadcnt_dscnt 0x601
	v_mul_f64_e32 v[84:85], v[6:7], v[48:49]
	v_mul_f64_e32 v[48:49], v[8:9], v[48:49]
	s_wait_loadcnt_dscnt 0x500
	v_mul_f64_e32 v[74:75], v[70:71], v[52:53]
	v_mul_f64_e32 v[52:53], v[72:73], v[52:53]
	v_add_f64_e32 v[2:3], 0, v[2:3]
	v_add_f64_e32 v[44:45], 0, v[82:83]
	v_fma_f64 v[76:77], v[8:9], v[46:47], v[84:85]
	v_fma_f64 v[46:47], v[6:7], v[46:47], -v[48:49]
	v_fma_f64 v[72:73], v[72:73], v[50:51], v[74:75]
	v_fma_f64 v[50:51], v[70:71], v[50:51], -v[52:53]
	v_add_f64_e32 v[2:3], v[2:3], v[42:43]
	v_add_f64_e32 v[10:11], v[44:45], v[10:11]
	ds_load_b128 v[6:9], v1 offset:384
	ds_load_b128 v[42:45], v1 offset:400
	s_wait_loadcnt_dscnt 0x401
	v_mul_f64_e32 v[48:49], v[6:7], v[56:57]
	v_mul_f64_e32 v[56:57], v[8:9], v[56:57]
	s_wait_loadcnt_dscnt 0x300
	v_mul_f64_e32 v[52:53], v[44:45], v[60:61]
	v_add_f64_e32 v[2:3], v[2:3], v[46:47]
	v_add_f64_e32 v[10:11], v[10:11], v[76:77]
	v_mul_f64_e32 v[46:47], v[42:43], v[60:61]
	v_fma_f64 v[48:49], v[8:9], v[54:55], v[48:49]
	v_fma_f64 v[54:55], v[6:7], v[54:55], -v[56:57]
	v_fma_f64 v[42:43], v[42:43], v[58:59], -v[52:53]
	v_add_f64_e32 v[50:51], v[2:3], v[50:51]
	v_add_f64_e32 v[10:11], v[10:11], v[72:73]
	ds_load_b128 v[6:9], v1 offset:416
	ds_load_b128 v[1:4], v1 offset:432
	v_fma_f64 v[44:45], v[44:45], v[58:59], v[46:47]
	s_wait_loadcnt_dscnt 0x201
	v_mul_f64_e32 v[56:57], v[6:7], v[64:65]
	v_mul_f64_e32 v[60:61], v[8:9], v[64:65]
	v_add_f64_e32 v[46:47], v[50:51], v[54:55]
	v_add_f64_e32 v[10:11], v[10:11], v[48:49]
	s_wait_loadcnt_dscnt 0x100
	v_mul_f64_e32 v[48:49], v[1:2], v[68:69]
	v_mul_f64_e32 v[50:51], v[3:4], v[68:69]
	v_fma_f64 v[8:9], v[8:9], v[62:63], v[56:57]
	v_fma_f64 v[6:7], v[6:7], v[62:63], -v[60:61]
	v_add_f64_e32 v[42:43], v[46:47], v[42:43]
	v_add_f64_e32 v[10:11], v[10:11], v[44:45]
	v_fma_f64 v[3:4], v[3:4], v[66:67], v[48:49]
	v_fma_f64 v[1:2], v[1:2], v[66:67], -v[50:51]
	s_delay_alu instid0(VALU_DEP_4) | instskip(NEXT) | instid1(VALU_DEP_4)
	v_add_f64_e32 v[6:7], v[42:43], v[6:7]
	v_add_f64_e32 v[8:9], v[10:11], v[8:9]
	s_delay_alu instid0(VALU_DEP_2) | instskip(NEXT) | instid1(VALU_DEP_2)
	v_add_f64_e32 v[1:2], v[6:7], v[1:2]
	v_add_f64_e32 v[3:4], v[8:9], v[3:4]
	s_wait_loadcnt 0x0
	s_delay_alu instid0(VALU_DEP_2) | instskip(NEXT) | instid1(VALU_DEP_2)
	v_add_f64_e64 v[1:2], v[78:79], -v[1:2]
	v_add_f64_e64 v[3:4], v[80:81], -v[3:4]
	scratch_store_b128 off, v[1:4], off offset:80
	v_cmpx_lt_u32_e32 4, v41
	s_cbranch_execz .LBB77_89
; %bb.88:
	scratch_load_b128 v[1:4], off, s16
	v_mov_b32_e32 v6, 0
	s_delay_alu instid0(VALU_DEP_1)
	v_dual_mov_b32 v7, v6 :: v_dual_mov_b32 v8, v6
	v_mov_b32_e32 v9, v6
	scratch_store_b128 off, v[6:9], off offset:64
	s_wait_loadcnt 0x0
	ds_store_b128 v5, v[1:4]
.LBB77_89:
	s_wait_alu 0xfffe
	s_or_b32 exec_lo, exec_lo, s2
	s_wait_storecnt_dscnt 0x0
	s_barrier_signal -1
	s_barrier_wait -1
	global_inv scope:SCOPE_SE
	s_clause 0x7
	scratch_load_b128 v[6:9], off, off offset:80
	scratch_load_b128 v[42:45], off, off offset:96
	scratch_load_b128 v[46:49], off, off offset:112
	scratch_load_b128 v[50:53], off, off offset:128
	scratch_load_b128 v[54:57], off, off offset:144
	scratch_load_b128 v[58:61], off, off offset:160
	scratch_load_b128 v[62:65], off, off offset:176
	scratch_load_b128 v[66:69], off, off offset:192
	v_mov_b32_e32 v1, 0
	s_mov_b32 s2, exec_lo
	ds_load_b128 v[70:73], v1 offset:304
	s_clause 0x1
	scratch_load_b128 v[74:77], off, off offset:208
	scratch_load_b128 v[78:81], off, off offset:64
	ds_load_b128 v[82:85], v1 offset:320
	s_wait_loadcnt_dscnt 0x901
	v_mul_f64_e32 v[2:3], v[72:73], v[8:9]
	v_mul_f64_e32 v[8:9], v[70:71], v[8:9]
	s_wait_loadcnt_dscnt 0x800
	v_mul_f64_e32 v[10:11], v[82:83], v[44:45]
	v_mul_f64_e32 v[44:45], v[84:85], v[44:45]
	s_delay_alu instid0(VALU_DEP_4) | instskip(NEXT) | instid1(VALU_DEP_4)
	v_fma_f64 v[2:3], v[70:71], v[6:7], -v[2:3]
	v_fma_f64 v[86:87], v[72:73], v[6:7], v[8:9]
	ds_load_b128 v[6:9], v1 offset:336
	ds_load_b128 v[70:73], v1 offset:352
	v_fma_f64 v[10:11], v[84:85], v[42:43], v[10:11]
	v_fma_f64 v[42:43], v[82:83], v[42:43], -v[44:45]
	s_wait_loadcnt_dscnt 0x701
	v_mul_f64_e32 v[88:89], v[6:7], v[48:49]
	v_mul_f64_e32 v[48:49], v[8:9], v[48:49]
	s_wait_loadcnt_dscnt 0x600
	v_mul_f64_e32 v[82:83], v[70:71], v[52:53]
	v_mul_f64_e32 v[52:53], v[72:73], v[52:53]
	v_add_f64_e32 v[2:3], 0, v[2:3]
	v_add_f64_e32 v[44:45], 0, v[86:87]
	v_fma_f64 v[84:85], v[8:9], v[46:47], v[88:89]
	v_fma_f64 v[46:47], v[6:7], v[46:47], -v[48:49]
	v_fma_f64 v[72:73], v[72:73], v[50:51], v[82:83]
	v_fma_f64 v[50:51], v[70:71], v[50:51], -v[52:53]
	v_add_f64_e32 v[2:3], v[2:3], v[42:43]
	v_add_f64_e32 v[10:11], v[44:45], v[10:11]
	ds_load_b128 v[6:9], v1 offset:368
	ds_load_b128 v[42:45], v1 offset:384
	s_wait_loadcnt_dscnt 0x501
	v_mul_f64_e32 v[48:49], v[6:7], v[56:57]
	v_mul_f64_e32 v[56:57], v[8:9], v[56:57]
	s_wait_loadcnt_dscnt 0x400
	v_mul_f64_e32 v[52:53], v[42:43], v[60:61]
	v_mul_f64_e32 v[60:61], v[44:45], v[60:61]
	v_add_f64_e32 v[2:3], v[2:3], v[46:47]
	v_add_f64_e32 v[10:11], v[10:11], v[84:85]
	v_fma_f64 v[70:71], v[8:9], v[54:55], v[48:49]
	v_fma_f64 v[54:55], v[6:7], v[54:55], -v[56:57]
	ds_load_b128 v[6:9], v1 offset:400
	ds_load_b128 v[46:49], v1 offset:416
	v_fma_f64 v[44:45], v[44:45], v[58:59], v[52:53]
	v_fma_f64 v[42:43], v[42:43], v[58:59], -v[60:61]
	v_add_f64_e32 v[2:3], v[2:3], v[50:51]
	v_add_f64_e32 v[10:11], v[10:11], v[72:73]
	s_wait_loadcnt_dscnt 0x301
	v_mul_f64_e32 v[50:51], v[6:7], v[64:65]
	v_mul_f64_e32 v[56:57], v[8:9], v[64:65]
	s_wait_loadcnt_dscnt 0x200
	v_mul_f64_e32 v[52:53], v[46:47], v[68:69]
	v_add_f64_e32 v[2:3], v[2:3], v[54:55]
	v_add_f64_e32 v[10:11], v[10:11], v[70:71]
	v_mul_f64_e32 v[54:55], v[48:49], v[68:69]
	v_fma_f64 v[50:51], v[8:9], v[62:63], v[50:51]
	v_fma_f64 v[56:57], v[6:7], v[62:63], -v[56:57]
	ds_load_b128 v[6:9], v1 offset:432
	v_fma_f64 v[48:49], v[48:49], v[66:67], v[52:53]
	v_add_f64_e32 v[2:3], v[2:3], v[42:43]
	v_add_f64_e32 v[10:11], v[10:11], v[44:45]
	s_wait_loadcnt_dscnt 0x100
	v_mul_f64_e32 v[42:43], v[6:7], v[76:77]
	v_mul_f64_e32 v[44:45], v[8:9], v[76:77]
	v_fma_f64 v[46:47], v[46:47], v[66:67], -v[54:55]
	v_add_f64_e32 v[2:3], v[2:3], v[56:57]
	v_add_f64_e32 v[10:11], v[10:11], v[50:51]
	v_fma_f64 v[8:9], v[8:9], v[74:75], v[42:43]
	v_fma_f64 v[6:7], v[6:7], v[74:75], -v[44:45]
	s_delay_alu instid0(VALU_DEP_4) | instskip(NEXT) | instid1(VALU_DEP_4)
	v_add_f64_e32 v[2:3], v[2:3], v[46:47]
	v_add_f64_e32 v[10:11], v[10:11], v[48:49]
	s_delay_alu instid0(VALU_DEP_2) | instskip(NEXT) | instid1(VALU_DEP_2)
	v_add_f64_e32 v[2:3], v[2:3], v[6:7]
	v_add_f64_e32 v[8:9], v[10:11], v[8:9]
	s_wait_loadcnt 0x0
	s_delay_alu instid0(VALU_DEP_2) | instskip(NEXT) | instid1(VALU_DEP_2)
	v_add_f64_e64 v[6:7], v[78:79], -v[2:3]
	v_add_f64_e64 v[8:9], v[80:81], -v[8:9]
	scratch_store_b128 off, v[6:9], off offset:64
	v_cmpx_lt_u32_e32 3, v41
	s_cbranch_execz .LBB77_91
; %bb.90:
	scratch_load_b128 v[6:9], off, s15
	v_dual_mov_b32 v2, v1 :: v_dual_mov_b32 v3, v1
	v_mov_b32_e32 v4, v1
	scratch_store_b128 off, v[1:4], off offset:48
	s_wait_loadcnt 0x0
	ds_store_b128 v5, v[6:9]
.LBB77_91:
	s_wait_alu 0xfffe
	s_or_b32 exec_lo, exec_lo, s2
	s_wait_storecnt_dscnt 0x0
	s_barrier_signal -1
	s_barrier_wait -1
	global_inv scope:SCOPE_SE
	s_clause 0x8
	scratch_load_b128 v[6:9], off, off offset:64
	scratch_load_b128 v[42:45], off, off offset:80
	scratch_load_b128 v[46:49], off, off offset:96
	scratch_load_b128 v[50:53], off, off offset:112
	scratch_load_b128 v[54:57], off, off offset:128
	scratch_load_b128 v[58:61], off, off offset:144
	scratch_load_b128 v[62:65], off, off offset:160
	scratch_load_b128 v[66:69], off, off offset:176
	scratch_load_b128 v[70:73], off, off offset:192
	ds_load_b128 v[74:77], v1 offset:288
	ds_load_b128 v[78:81], v1 offset:304
	scratch_load_b128 v[82:85], off, off offset:48
	s_mov_b32 s2, exec_lo
	s_wait_loadcnt_dscnt 0x901
	v_mul_f64_e32 v[2:3], v[76:77], v[8:9]
	v_mul_f64_e32 v[86:87], v[74:75], v[8:9]
	scratch_load_b128 v[8:11], off, off offset:208
	s_wait_loadcnt_dscnt 0x900
	v_mul_f64_e32 v[90:91], v[78:79], v[44:45]
	v_mul_f64_e32 v[44:45], v[80:81], v[44:45]
	v_fma_f64 v[2:3], v[74:75], v[6:7], -v[2:3]
	v_fma_f64 v[6:7], v[76:77], v[6:7], v[86:87]
	ds_load_b128 v[74:77], v1 offset:320
	ds_load_b128 v[86:89], v1 offset:336
	v_fma_f64 v[80:81], v[80:81], v[42:43], v[90:91]
	v_fma_f64 v[42:43], v[78:79], v[42:43], -v[44:45]
	s_wait_loadcnt_dscnt 0x801
	v_mul_f64_e32 v[92:93], v[74:75], v[48:49]
	v_mul_f64_e32 v[48:49], v[76:77], v[48:49]
	s_wait_loadcnt_dscnt 0x700
	v_mul_f64_e32 v[78:79], v[86:87], v[52:53]
	v_mul_f64_e32 v[52:53], v[88:89], v[52:53]
	v_add_f64_e32 v[2:3], 0, v[2:3]
	v_add_f64_e32 v[6:7], 0, v[6:7]
	v_fma_f64 v[76:77], v[76:77], v[46:47], v[92:93]
	v_fma_f64 v[74:75], v[74:75], v[46:47], -v[48:49]
	v_fma_f64 v[78:79], v[88:89], v[50:51], v[78:79]
	v_fma_f64 v[50:51], v[86:87], v[50:51], -v[52:53]
	v_add_f64_e32 v[2:3], v[2:3], v[42:43]
	v_add_f64_e32 v[6:7], v[6:7], v[80:81]
	ds_load_b128 v[42:45], v1 offset:352
	ds_load_b128 v[46:49], v1 offset:368
	s_wait_loadcnt_dscnt 0x601
	v_mul_f64_e32 v[80:81], v[42:43], v[56:57]
	v_mul_f64_e32 v[56:57], v[44:45], v[56:57]
	v_add_f64_e32 v[2:3], v[2:3], v[74:75]
	v_add_f64_e32 v[6:7], v[6:7], v[76:77]
	s_wait_loadcnt_dscnt 0x500
	v_mul_f64_e32 v[74:75], v[46:47], v[60:61]
	v_mul_f64_e32 v[60:61], v[48:49], v[60:61]
	v_fma_f64 v[76:77], v[44:45], v[54:55], v[80:81]
	v_fma_f64 v[54:55], v[42:43], v[54:55], -v[56:57]
	v_add_f64_e32 v[2:3], v[2:3], v[50:51]
	v_add_f64_e32 v[6:7], v[6:7], v[78:79]
	ds_load_b128 v[42:45], v1 offset:384
	ds_load_b128 v[50:53], v1 offset:400
	v_fma_f64 v[48:49], v[48:49], v[58:59], v[74:75]
	v_fma_f64 v[46:47], v[46:47], v[58:59], -v[60:61]
	s_wait_loadcnt_dscnt 0x401
	v_mul_f64_e32 v[56:57], v[42:43], v[64:65]
	v_mul_f64_e32 v[64:65], v[44:45], v[64:65]
	s_wait_loadcnt_dscnt 0x300
	v_mul_f64_e32 v[58:59], v[52:53], v[68:69]
	v_add_f64_e32 v[2:3], v[2:3], v[54:55]
	v_add_f64_e32 v[6:7], v[6:7], v[76:77]
	v_mul_f64_e32 v[54:55], v[50:51], v[68:69]
	v_fma_f64 v[56:57], v[44:45], v[62:63], v[56:57]
	v_fma_f64 v[60:61], v[42:43], v[62:63], -v[64:65]
	v_fma_f64 v[50:51], v[50:51], v[66:67], -v[58:59]
	v_add_f64_e32 v[46:47], v[2:3], v[46:47]
	v_add_f64_e32 v[6:7], v[6:7], v[48:49]
	ds_load_b128 v[42:45], v1 offset:416
	ds_load_b128 v[1:4], v1 offset:432
	v_fma_f64 v[52:53], v[52:53], v[66:67], v[54:55]
	s_wait_loadcnt_dscnt 0x201
	v_mul_f64_e32 v[48:49], v[42:43], v[72:73]
	v_mul_f64_e32 v[62:63], v[44:45], v[72:73]
	v_add_f64_e32 v[46:47], v[46:47], v[60:61]
	v_add_f64_e32 v[6:7], v[6:7], v[56:57]
	s_wait_loadcnt_dscnt 0x0
	v_mul_f64_e32 v[54:55], v[1:2], v[10:11]
	v_mul_f64_e32 v[10:11], v[3:4], v[10:11]
	v_fma_f64 v[44:45], v[44:45], v[70:71], v[48:49]
	v_fma_f64 v[42:43], v[42:43], v[70:71], -v[62:63]
	v_add_f64_e32 v[46:47], v[46:47], v[50:51]
	v_add_f64_e32 v[6:7], v[6:7], v[52:53]
	v_fma_f64 v[3:4], v[3:4], v[8:9], v[54:55]
	v_fma_f64 v[1:2], v[1:2], v[8:9], -v[10:11]
	s_delay_alu instid0(VALU_DEP_4) | instskip(NEXT) | instid1(VALU_DEP_4)
	v_add_f64_e32 v[8:9], v[46:47], v[42:43]
	v_add_f64_e32 v[6:7], v[6:7], v[44:45]
	s_delay_alu instid0(VALU_DEP_2) | instskip(NEXT) | instid1(VALU_DEP_2)
	v_add_f64_e32 v[1:2], v[8:9], v[1:2]
	v_add_f64_e32 v[3:4], v[6:7], v[3:4]
	s_delay_alu instid0(VALU_DEP_2) | instskip(NEXT) | instid1(VALU_DEP_2)
	v_add_f64_e64 v[1:2], v[82:83], -v[1:2]
	v_add_f64_e64 v[3:4], v[84:85], -v[3:4]
	scratch_store_b128 off, v[1:4], off offset:48
	v_cmpx_lt_u32_e32 2, v41
	s_cbranch_execz .LBB77_93
; %bb.92:
	scratch_load_b128 v[1:4], off, s21
	v_mov_b32_e32 v6, 0
	s_delay_alu instid0(VALU_DEP_1)
	v_dual_mov_b32 v7, v6 :: v_dual_mov_b32 v8, v6
	v_mov_b32_e32 v9, v6
	scratch_store_b128 off, v[6:9], off offset:32
	s_wait_loadcnt 0x0
	ds_store_b128 v5, v[1:4]
.LBB77_93:
	s_wait_alu 0xfffe
	s_or_b32 exec_lo, exec_lo, s2
	s_wait_storecnt_dscnt 0x0
	s_barrier_signal -1
	s_barrier_wait -1
	global_inv scope:SCOPE_SE
	s_clause 0x7
	scratch_load_b128 v[6:9], off, off offset:48
	scratch_load_b128 v[42:45], off, off offset:64
	;; [unrolled: 1-line block ×8, first 2 shown]
	v_mov_b32_e32 v1, 0
	s_mov_b32 s2, exec_lo
	ds_load_b128 v[70:73], v1 offset:272
	s_clause 0x1
	scratch_load_b128 v[74:77], off, off offset:176
	scratch_load_b128 v[78:81], off, off offset:32
	ds_load_b128 v[82:85], v1 offset:288
	ds_load_b128 v[90:93], v1 offset:320
	s_wait_loadcnt_dscnt 0x902
	v_mul_f64_e32 v[2:3], v[72:73], v[8:9]
	v_mul_f64_e32 v[86:87], v[70:71], v[8:9]
	scratch_load_b128 v[8:11], off, off offset:192
	v_fma_f64 v[2:3], v[70:71], v[6:7], -v[2:3]
	v_fma_f64 v[6:7], v[72:73], v[6:7], v[86:87]
	ds_load_b128 v[70:73], v1 offset:304
	s_wait_loadcnt_dscnt 0x902
	v_mul_f64_e32 v[94:95], v[82:83], v[44:45]
	v_mul_f64_e32 v[44:45], v[84:85], v[44:45]
	scratch_load_b128 v[86:89], off, off offset:208
	s_wait_loadcnt_dscnt 0x900
	v_mul_f64_e32 v[96:97], v[70:71], v[48:49]
	v_mul_f64_e32 v[48:49], v[72:73], v[48:49]
	v_add_f64_e32 v[2:3], 0, v[2:3]
	v_add_f64_e32 v[6:7], 0, v[6:7]
	v_fma_f64 v[84:85], v[84:85], v[42:43], v[94:95]
	v_fma_f64 v[42:43], v[82:83], v[42:43], -v[44:45]
	s_wait_loadcnt 0x8
	v_mul_f64_e32 v[82:83], v[90:91], v[52:53]
	v_mul_f64_e32 v[52:53], v[92:93], v[52:53]
	v_fma_f64 v[72:73], v[72:73], v[46:47], v[96:97]
	v_fma_f64 v[70:71], v[70:71], v[46:47], -v[48:49]
	v_add_f64_e32 v[6:7], v[6:7], v[84:85]
	v_add_f64_e32 v[2:3], v[2:3], v[42:43]
	ds_load_b128 v[42:45], v1 offset:336
	ds_load_b128 v[46:49], v1 offset:352
	v_fma_f64 v[82:83], v[92:93], v[50:51], v[82:83]
	v_fma_f64 v[50:51], v[90:91], v[50:51], -v[52:53]
	s_wait_loadcnt_dscnt 0x701
	v_mul_f64_e32 v[84:85], v[42:43], v[56:57]
	v_mul_f64_e32 v[56:57], v[44:45], v[56:57]
	v_add_f64_e32 v[6:7], v[6:7], v[72:73]
	v_add_f64_e32 v[2:3], v[2:3], v[70:71]
	s_wait_loadcnt_dscnt 0x600
	v_mul_f64_e32 v[70:71], v[46:47], v[60:61]
	v_mul_f64_e32 v[60:61], v[48:49], v[60:61]
	v_fma_f64 v[72:73], v[44:45], v[54:55], v[84:85]
	v_fma_f64 v[54:55], v[42:43], v[54:55], -v[56:57]
	v_add_f64_e32 v[6:7], v[6:7], v[82:83]
	v_add_f64_e32 v[2:3], v[2:3], v[50:51]
	ds_load_b128 v[42:45], v1 offset:368
	ds_load_b128 v[50:53], v1 offset:384
	v_fma_f64 v[48:49], v[48:49], v[58:59], v[70:71]
	v_fma_f64 v[46:47], v[46:47], v[58:59], -v[60:61]
	s_wait_loadcnt_dscnt 0x501
	v_mul_f64_e32 v[56:57], v[42:43], v[64:65]
	v_mul_f64_e32 v[64:65], v[44:45], v[64:65]
	s_wait_loadcnt_dscnt 0x400
	v_mul_f64_e32 v[58:59], v[52:53], v[68:69]
	v_add_f64_e32 v[6:7], v[6:7], v[72:73]
	v_add_f64_e32 v[2:3], v[2:3], v[54:55]
	v_mul_f64_e32 v[54:55], v[50:51], v[68:69]
	v_fma_f64 v[56:57], v[44:45], v[62:63], v[56:57]
	v_fma_f64 v[60:61], v[42:43], v[62:63], -v[64:65]
	v_fma_f64 v[50:51], v[50:51], v[66:67], -v[58:59]
	v_add_f64_e32 v[6:7], v[6:7], v[48:49]
	v_add_f64_e32 v[2:3], v[2:3], v[46:47]
	ds_load_b128 v[42:45], v1 offset:400
	ds_load_b128 v[46:49], v1 offset:416
	v_fma_f64 v[52:53], v[52:53], v[66:67], v[54:55]
	s_wait_loadcnt_dscnt 0x301
	v_mul_f64_e32 v[62:63], v[42:43], v[76:77]
	v_mul_f64_e32 v[64:65], v[44:45], v[76:77]
	v_add_f64_e32 v[6:7], v[6:7], v[56:57]
	v_add_f64_e32 v[2:3], v[2:3], v[60:61]
	s_wait_loadcnt_dscnt 0x100
	v_mul_f64_e32 v[54:55], v[46:47], v[10:11]
	v_mul_f64_e32 v[10:11], v[48:49], v[10:11]
	v_fma_f64 v[56:57], v[44:45], v[74:75], v[62:63]
	v_fma_f64 v[58:59], v[42:43], v[74:75], -v[64:65]
	ds_load_b128 v[42:45], v1 offset:432
	v_add_f64_e32 v[6:7], v[6:7], v[52:53]
	v_add_f64_e32 v[2:3], v[2:3], v[50:51]
	v_fma_f64 v[48:49], v[48:49], v[8:9], v[54:55]
	v_fma_f64 v[8:9], v[46:47], v[8:9], -v[10:11]
	s_wait_loadcnt_dscnt 0x0
	v_mul_f64_e32 v[50:51], v[42:43], v[88:89]
	v_mul_f64_e32 v[52:53], v[44:45], v[88:89]
	v_add_f64_e32 v[6:7], v[6:7], v[56:57]
	v_add_f64_e32 v[2:3], v[2:3], v[58:59]
	s_delay_alu instid0(VALU_DEP_4) | instskip(NEXT) | instid1(VALU_DEP_4)
	v_fma_f64 v[10:11], v[44:45], v[86:87], v[50:51]
	v_fma_f64 v[42:43], v[42:43], v[86:87], -v[52:53]
	s_delay_alu instid0(VALU_DEP_4) | instskip(NEXT) | instid1(VALU_DEP_4)
	v_add_f64_e32 v[6:7], v[6:7], v[48:49]
	v_add_f64_e32 v[2:3], v[2:3], v[8:9]
	s_delay_alu instid0(VALU_DEP_2) | instskip(NEXT) | instid1(VALU_DEP_2)
	v_add_f64_e32 v[8:9], v[6:7], v[10:11]
	v_add_f64_e32 v[2:3], v[2:3], v[42:43]
	s_delay_alu instid0(VALU_DEP_2) | instskip(NEXT) | instid1(VALU_DEP_2)
	v_add_f64_e64 v[8:9], v[80:81], -v[8:9]
	v_add_f64_e64 v[6:7], v[78:79], -v[2:3]
	scratch_store_b128 off, v[6:9], off offset:32
	v_cmpx_lt_u32_e32 1, v41
	s_cbranch_execz .LBB77_95
; %bb.94:
	scratch_load_b128 v[6:9], off, s22
	v_dual_mov_b32 v2, v1 :: v_dual_mov_b32 v3, v1
	v_mov_b32_e32 v4, v1
	scratch_store_b128 off, v[1:4], off offset:16
	s_wait_loadcnt 0x0
	ds_store_b128 v5, v[6:9]
.LBB77_95:
	s_wait_alu 0xfffe
	s_or_b32 exec_lo, exec_lo, s2
	s_wait_storecnt_dscnt 0x0
	s_barrier_signal -1
	s_barrier_wait -1
	global_inv scope:SCOPE_SE
	s_clause 0x8
	scratch_load_b128 v[6:9], off, off offset:32
	scratch_load_b128 v[42:45], off, off offset:48
	;; [unrolled: 1-line block ×9, first 2 shown]
	ds_load_b128 v[74:77], v1 offset:256
	ds_load_b128 v[78:81], v1 offset:272
	scratch_load_b128 v[82:85], off, off offset:16
	s_mov_b32 s2, exec_lo
	ds_load_b128 v[90:93], v1 offset:304
	s_wait_loadcnt_dscnt 0x902
	v_mul_f64_e32 v[2:3], v[76:77], v[8:9]
	v_mul_f64_e32 v[86:87], v[74:75], v[8:9]
	scratch_load_b128 v[8:11], off, off offset:176
	s_wait_loadcnt_dscnt 0x901
	v_mul_f64_e32 v[94:95], v[78:79], v[44:45]
	v_mul_f64_e32 v[44:45], v[80:81], v[44:45]
	v_fma_f64 v[2:3], v[74:75], v[6:7], -v[2:3]
	v_fma_f64 v[6:7], v[76:77], v[6:7], v[86:87]
	ds_load_b128 v[74:77], v1 offset:288
	scratch_load_b128 v[86:89], off, off offset:192
	v_fma_f64 v[80:81], v[80:81], v[42:43], v[94:95]
	v_fma_f64 v[78:79], v[78:79], v[42:43], -v[44:45]
	scratch_load_b128 v[42:45], off, off offset:208
	s_wait_loadcnt_dscnt 0x901
	v_mul_f64_e32 v[94:95], v[90:91], v[52:53]
	v_mul_f64_e32 v[52:53], v[92:93], v[52:53]
	s_wait_dscnt 0x0
	v_mul_f64_e32 v[96:97], v[74:75], v[48:49]
	v_mul_f64_e32 v[48:49], v[76:77], v[48:49]
	v_add_f64_e32 v[2:3], 0, v[2:3]
	v_add_f64_e32 v[6:7], 0, v[6:7]
	s_delay_alu instid0(VALU_DEP_4) | instskip(NEXT) | instid1(VALU_DEP_4)
	v_fma_f64 v[96:97], v[76:77], v[46:47], v[96:97]
	v_fma_f64 v[98:99], v[74:75], v[46:47], -v[48:49]
	ds_load_b128 v[46:49], v1 offset:320
	ds_load_b128 v[74:77], v1 offset:336
	v_add_f64_e32 v[2:3], v[2:3], v[78:79]
	v_add_f64_e32 v[6:7], v[6:7], v[80:81]
	v_fma_f64 v[80:81], v[92:93], v[50:51], v[94:95]
	v_fma_f64 v[50:51], v[90:91], v[50:51], -v[52:53]
	s_wait_loadcnt_dscnt 0x801
	v_mul_f64_e32 v[78:79], v[46:47], v[56:57]
	v_mul_f64_e32 v[56:57], v[48:49], v[56:57]
	s_wait_loadcnt_dscnt 0x700
	v_mul_f64_e32 v[90:91], v[74:75], v[60:61]
	v_mul_f64_e32 v[60:61], v[76:77], v[60:61]
	v_add_f64_e32 v[2:3], v[2:3], v[98:99]
	v_add_f64_e32 v[6:7], v[6:7], v[96:97]
	v_fma_f64 v[78:79], v[48:49], v[54:55], v[78:79]
	v_fma_f64 v[54:55], v[46:47], v[54:55], -v[56:57]
	v_fma_f64 v[76:77], v[76:77], v[58:59], v[90:91]
	v_fma_f64 v[58:59], v[74:75], v[58:59], -v[60:61]
	v_add_f64_e32 v[2:3], v[2:3], v[50:51]
	v_add_f64_e32 v[6:7], v[6:7], v[80:81]
	ds_load_b128 v[46:49], v1 offset:352
	ds_load_b128 v[50:53], v1 offset:368
	s_wait_loadcnt_dscnt 0x601
	v_mul_f64_e32 v[56:57], v[46:47], v[64:65]
	v_mul_f64_e32 v[64:65], v[48:49], v[64:65]
	s_wait_loadcnt_dscnt 0x500
	v_mul_f64_e32 v[60:61], v[50:51], v[68:69]
	v_mul_f64_e32 v[68:69], v[52:53], v[68:69]
	v_add_f64_e32 v[2:3], v[2:3], v[54:55]
	v_add_f64_e32 v[6:7], v[6:7], v[78:79]
	v_fma_f64 v[74:75], v[48:49], v[62:63], v[56:57]
	v_fma_f64 v[62:63], v[46:47], v[62:63], -v[64:65]
	ds_load_b128 v[46:49], v1 offset:384
	ds_load_b128 v[54:57], v1 offset:400
	v_fma_f64 v[52:53], v[52:53], v[66:67], v[60:61]
	v_fma_f64 v[50:51], v[50:51], v[66:67], -v[68:69]
	v_add_f64_e32 v[2:3], v[2:3], v[58:59]
	v_add_f64_e32 v[6:7], v[6:7], v[76:77]
	s_wait_loadcnt_dscnt 0x401
	v_mul_f64_e32 v[58:59], v[46:47], v[72:73]
	v_mul_f64_e32 v[64:65], v[48:49], v[72:73]
	s_delay_alu instid0(VALU_DEP_4) | instskip(NEXT) | instid1(VALU_DEP_4)
	v_add_f64_e32 v[2:3], v[2:3], v[62:63]
	v_add_f64_e32 v[6:7], v[6:7], v[74:75]
	s_delay_alu instid0(VALU_DEP_4) | instskip(NEXT) | instid1(VALU_DEP_4)
	v_fma_f64 v[58:59], v[48:49], v[70:71], v[58:59]
	v_fma_f64 v[62:63], v[46:47], v[70:71], -v[64:65]
	s_wait_loadcnt_dscnt 0x200
	v_mul_f64_e32 v[60:61], v[54:55], v[10:11]
	v_mul_f64_e32 v[10:11], v[56:57], v[10:11]
	v_add_f64_e32 v[50:51], v[2:3], v[50:51]
	v_add_f64_e32 v[6:7], v[6:7], v[52:53]
	ds_load_b128 v[46:49], v1 offset:416
	ds_load_b128 v[1:4], v1 offset:432
	v_fma_f64 v[56:57], v[56:57], v[8:9], v[60:61]
	v_fma_f64 v[8:9], v[54:55], v[8:9], -v[10:11]
	s_wait_loadcnt_dscnt 0x101
	v_mul_f64_e32 v[52:53], v[46:47], v[88:89]
	v_mul_f64_e32 v[64:65], v[48:49], v[88:89]
	v_add_f64_e32 v[10:11], v[50:51], v[62:63]
	v_add_f64_e32 v[6:7], v[6:7], v[58:59]
	s_wait_loadcnt_dscnt 0x0
	v_mul_f64_e32 v[50:51], v[1:2], v[44:45]
	v_mul_f64_e32 v[44:45], v[3:4], v[44:45]
	v_fma_f64 v[48:49], v[48:49], v[86:87], v[52:53]
	v_fma_f64 v[46:47], v[46:47], v[86:87], -v[64:65]
	v_add_f64_e32 v[8:9], v[10:11], v[8:9]
	v_add_f64_e32 v[6:7], v[6:7], v[56:57]
	v_fma_f64 v[3:4], v[3:4], v[42:43], v[50:51]
	v_fma_f64 v[1:2], v[1:2], v[42:43], -v[44:45]
	s_delay_alu instid0(VALU_DEP_4) | instskip(NEXT) | instid1(VALU_DEP_4)
	v_add_f64_e32 v[8:9], v[8:9], v[46:47]
	v_add_f64_e32 v[6:7], v[6:7], v[48:49]
	s_delay_alu instid0(VALU_DEP_2) | instskip(NEXT) | instid1(VALU_DEP_2)
	v_add_f64_e32 v[1:2], v[8:9], v[1:2]
	v_add_f64_e32 v[3:4], v[6:7], v[3:4]
	s_delay_alu instid0(VALU_DEP_2) | instskip(NEXT) | instid1(VALU_DEP_2)
	v_add_f64_e64 v[1:2], v[82:83], -v[1:2]
	v_add_f64_e64 v[3:4], v[84:85], -v[3:4]
	scratch_store_b128 off, v[1:4], off offset:16
	v_cmpx_ne_u32_e32 0, v41
	s_cbranch_execz .LBB77_97
; %bb.96:
	scratch_load_b128 v[1:4], off, off
	v_mov_b32_e32 v6, 0
	s_delay_alu instid0(VALU_DEP_1)
	v_dual_mov_b32 v7, v6 :: v_dual_mov_b32 v8, v6
	v_mov_b32_e32 v9, v6
	scratch_store_b128 off, v[6:9], off
	s_wait_loadcnt 0x0
	ds_store_b128 v5, v[1:4]
.LBB77_97:
	s_wait_alu 0xfffe
	s_or_b32 exec_lo, exec_lo, s2
	s_wait_storecnt_dscnt 0x0
	s_barrier_signal -1
	s_barrier_wait -1
	global_inv scope:SCOPE_SE
	s_clause 0x7
	scratch_load_b128 v[2:5], off, off offset:16
	scratch_load_b128 v[6:9], off, off offset:32
	;; [unrolled: 1-line block ×8, first 2 shown]
	v_mov_b32_e32 v1, 0
	s_and_b32 vcc_lo, exec_lo, s23
	ds_load_b128 v[66:69], v1 offset:240
	s_clause 0x1
	scratch_load_b128 v[70:73], off, off offset:144
	scratch_load_b128 v[74:77], off, off
	ds_load_b128 v[78:81], v1 offset:256
	scratch_load_b128 v[82:85], off, off offset:160
	s_wait_loadcnt_dscnt 0xa01
	v_mul_f64_e32 v[10:11], v[68:69], v[4:5]
	v_mul_f64_e32 v[4:5], v[66:67], v[4:5]
	s_delay_alu instid0(VALU_DEP_2) | instskip(NEXT) | instid1(VALU_DEP_2)
	v_fma_f64 v[90:91], v[66:67], v[2:3], -v[10:11]
	v_fma_f64 v[92:93], v[68:69], v[2:3], v[4:5]
	ds_load_b128 v[2:5], v1 offset:272
	s_wait_loadcnt_dscnt 0x901
	v_mul_f64_e32 v[86:87], v[78:79], v[8:9]
	v_mul_f64_e32 v[88:89], v[80:81], v[8:9]
	scratch_load_b128 v[8:11], off, off offset:176
	ds_load_b128 v[66:69], v1 offset:288
	s_wait_loadcnt_dscnt 0x901
	v_mul_f64_e32 v[94:95], v[2:3], v[44:45]
	v_mul_f64_e32 v[44:45], v[4:5], v[44:45]
	v_fma_f64 v[86:87], v[80:81], v[6:7], v[86:87]
	v_fma_f64 v[6:7], v[78:79], v[6:7], -v[88:89]
	v_add_f64_e32 v[88:89], 0, v[90:91]
	v_add_f64_e32 v[90:91], 0, v[92:93]
	scratch_load_b128 v[78:81], off, off offset:192
	v_fma_f64 v[94:95], v[4:5], v[42:43], v[94:95]
	v_fma_f64 v[96:97], v[2:3], v[42:43], -v[44:45]
	ds_load_b128 v[2:5], v1 offset:304
	s_wait_loadcnt_dscnt 0x901
	v_mul_f64_e32 v[92:93], v[66:67], v[48:49]
	v_mul_f64_e32 v[48:49], v[68:69], v[48:49]
	scratch_load_b128 v[42:45], off, off offset:208
	v_add_f64_e32 v[6:7], v[88:89], v[6:7]
	v_add_f64_e32 v[90:91], v[90:91], v[86:87]
	s_wait_loadcnt_dscnt 0x900
	v_mul_f64_e32 v[98:99], v[2:3], v[52:53]
	v_mul_f64_e32 v[52:53], v[4:5], v[52:53]
	ds_load_b128 v[86:89], v1 offset:320
	v_fma_f64 v[68:69], v[68:69], v[46:47], v[92:93]
	v_fma_f64 v[46:47], v[66:67], v[46:47], -v[48:49]
	s_wait_loadcnt_dscnt 0x800
	v_mul_f64_e32 v[66:67], v[86:87], v[56:57]
	v_mul_f64_e32 v[56:57], v[88:89], v[56:57]
	v_add_f64_e32 v[6:7], v[6:7], v[96:97]
	v_add_f64_e32 v[48:49], v[90:91], v[94:95]
	v_fma_f64 v[90:91], v[4:5], v[50:51], v[98:99]
	v_fma_f64 v[50:51], v[2:3], v[50:51], -v[52:53]
	v_fma_f64 v[66:67], v[88:89], v[54:55], v[66:67]
	v_fma_f64 v[54:55], v[86:87], v[54:55], -v[56:57]
	v_add_f64_e32 v[6:7], v[6:7], v[46:47]
	v_add_f64_e32 v[52:53], v[48:49], v[68:69]
	ds_load_b128 v[2:5], v1 offset:336
	ds_load_b128 v[46:49], v1 offset:352
	s_wait_loadcnt_dscnt 0x701
	v_mul_f64_e32 v[68:69], v[2:3], v[60:61]
	v_mul_f64_e32 v[60:61], v[4:5], v[60:61]
	s_wait_loadcnt_dscnt 0x600
	v_mul_f64_e32 v[56:57], v[46:47], v[64:65]
	v_mul_f64_e32 v[64:65], v[48:49], v[64:65]
	v_add_f64_e32 v[6:7], v[6:7], v[50:51]
	v_add_f64_e32 v[50:51], v[52:53], v[90:91]
	v_fma_f64 v[68:69], v[4:5], v[58:59], v[68:69]
	v_fma_f64 v[58:59], v[2:3], v[58:59], -v[60:61]
	v_fma_f64 v[48:49], v[48:49], v[62:63], v[56:57]
	v_fma_f64 v[46:47], v[46:47], v[62:63], -v[64:65]
	v_add_f64_e32 v[6:7], v[6:7], v[54:55]
	v_add_f64_e32 v[54:55], v[50:51], v[66:67]
	ds_load_b128 v[2:5], v1 offset:368
	ds_load_b128 v[50:53], v1 offset:384
	s_wait_loadcnt_dscnt 0x501
	v_mul_f64_e32 v[60:61], v[2:3], v[72:73]
	v_mul_f64_e32 v[66:67], v[4:5], v[72:73]
	s_wait_loadcnt_dscnt 0x300
	v_mul_f64_e32 v[56:57], v[50:51], v[84:85]
	v_add_f64_e32 v[6:7], v[6:7], v[58:59]
	v_add_f64_e32 v[54:55], v[54:55], v[68:69]
	v_mul_f64_e32 v[58:59], v[52:53], v[84:85]
	v_fma_f64 v[60:61], v[4:5], v[70:71], v[60:61]
	v_fma_f64 v[62:63], v[2:3], v[70:71], -v[66:67]
	v_fma_f64 v[52:53], v[52:53], v[82:83], v[56:57]
	v_add_f64_e32 v[6:7], v[6:7], v[46:47]
	v_add_f64_e32 v[54:55], v[54:55], v[48:49]
	ds_load_b128 v[2:5], v1 offset:400
	ds_load_b128 v[46:49], v1 offset:416
	v_fma_f64 v[50:51], v[50:51], v[82:83], -v[58:59]
	s_wait_loadcnt_dscnt 0x201
	v_mul_f64_e32 v[64:65], v[2:3], v[10:11]
	v_mul_f64_e32 v[10:11], v[4:5], v[10:11]
	v_add_f64_e32 v[6:7], v[6:7], v[62:63]
	v_add_f64_e32 v[54:55], v[54:55], v[60:61]
	s_wait_loadcnt_dscnt 0x100
	v_mul_f64_e32 v[56:57], v[46:47], v[80:81]
	v_mul_f64_e32 v[58:59], v[48:49], v[80:81]
	v_fma_f64 v[60:61], v[4:5], v[8:9], v[64:65]
	v_fma_f64 v[8:9], v[2:3], v[8:9], -v[10:11]
	ds_load_b128 v[2:5], v1 offset:432
	v_add_f64_e32 v[6:7], v[6:7], v[50:51]
	v_add_f64_e32 v[10:11], v[54:55], v[52:53]
	s_wait_loadcnt_dscnt 0x0
	v_mul_f64_e32 v[50:51], v[2:3], v[44:45]
	v_mul_f64_e32 v[44:45], v[4:5], v[44:45]
	v_fma_f64 v[48:49], v[48:49], v[78:79], v[56:57]
	v_fma_f64 v[46:47], v[46:47], v[78:79], -v[58:59]
	v_add_f64_e32 v[6:7], v[6:7], v[8:9]
	v_add_f64_e32 v[8:9], v[10:11], v[60:61]
	v_fma_f64 v[4:5], v[4:5], v[42:43], v[50:51]
	v_fma_f64 v[2:3], v[2:3], v[42:43], -v[44:45]
	s_delay_alu instid0(VALU_DEP_4) | instskip(NEXT) | instid1(VALU_DEP_4)
	v_add_f64_e32 v[6:7], v[6:7], v[46:47]
	v_add_f64_e32 v[8:9], v[8:9], v[48:49]
	s_delay_alu instid0(VALU_DEP_2) | instskip(NEXT) | instid1(VALU_DEP_2)
	v_add_f64_e32 v[2:3], v[6:7], v[2:3]
	v_add_f64_e32 v[4:5], v[8:9], v[4:5]
	s_delay_alu instid0(VALU_DEP_2) | instskip(NEXT) | instid1(VALU_DEP_2)
	v_add_f64_e64 v[2:3], v[74:75], -v[2:3]
	v_add_f64_e64 v[4:5], v[76:77], -v[4:5]
	scratch_store_b128 off, v[2:5], off
	s_wait_alu 0xfffe
	s_cbranch_vccz .LBB77_124
; %bb.98:
	global_load_b32 v1, v1, s[8:9] offset:48
	s_load_b64 s[0:1], s[0:1], 0x4
	v_bfe_u32 v2, v0, 10, 10
	v_bfe_u32 v0, v0, 20, 10
	s_wait_kmcnt 0x0
	s_lshr_b32 s0, s0, 16
	s_delay_alu instid0(VALU_DEP_2) | instskip(SKIP_3) | instid1(VALU_DEP_1)
	v_mul_u32_u24_e32 v2, s1, v2
	s_mul_i32 s0, s0, s1
	s_wait_alu 0xfffe
	v_mul_u32_u24_e32 v3, s0, v41
	v_add3_u32 v0, v3, v2, v0
	s_delay_alu instid0(VALU_DEP_1)
	v_lshl_add_u32 v0, v0, 4, 0x1c8
	s_wait_loadcnt 0x0
	v_cmp_ne_u32_e32 vcc_lo, 13, v1
	s_cbranch_vccz .LBB77_100
; %bb.99:
	v_lshlrev_b32_e32 v1, 4, v1
	s_delay_alu instid0(VALU_DEP_1)
	v_mov_b32_e32 v9, v1
	s_clause 0x1
	scratch_load_b128 v[1:4], off, s20
	scratch_load_b128 v[5:8], v9, off offset:-16
	s_wait_loadcnt 0x1
	ds_store_2addr_b64 v0, v[1:2], v[3:4] offset1:1
	s_wait_loadcnt 0x0
	s_clause 0x1
	scratch_store_b128 off, v[5:8], s20
	scratch_store_b128 v9, v[1:4], off offset:-16
.LBB77_100:
	v_mov_b32_e32 v1, 0
	global_load_b32 v2, v1, s[8:9] offset:44
	s_wait_loadcnt 0x0
	v_cmp_eq_u32_e32 vcc_lo, 12, v2
	s_cbranch_vccnz .LBB77_102
; %bb.101:
	v_lshlrev_b32_e32 v2, 4, v2
	s_delay_alu instid0(VALU_DEP_1)
	v_mov_b32_e32 v10, v2
	s_clause 0x1
	scratch_load_b128 v[2:5], off, s13
	scratch_load_b128 v[6:9], v10, off offset:-16
	s_wait_loadcnt 0x1
	ds_store_2addr_b64 v0, v[2:3], v[4:5] offset1:1
	s_wait_loadcnt 0x0
	s_clause 0x1
	scratch_store_b128 off, v[6:9], s13
	scratch_store_b128 v10, v[2:5], off offset:-16
.LBB77_102:
	global_load_b32 v1, v1, s[8:9] offset:40
	s_wait_loadcnt 0x0
	v_cmp_eq_u32_e32 vcc_lo, 11, v1
	s_cbranch_vccnz .LBB77_104
; %bb.103:
	v_lshlrev_b32_e32 v1, 4, v1
	s_delay_alu instid0(VALU_DEP_1)
	v_mov_b32_e32 v9, v1
	s_clause 0x1
	scratch_load_b128 v[1:4], off, s19
	scratch_load_b128 v[5:8], v9, off offset:-16
	s_wait_loadcnt 0x1
	ds_store_2addr_b64 v0, v[1:2], v[3:4] offset1:1
	s_wait_loadcnt 0x0
	s_clause 0x1
	scratch_store_b128 off, v[5:8], s19
	scratch_store_b128 v9, v[1:4], off offset:-16
.LBB77_104:
	v_mov_b32_e32 v1, 0
	global_load_b32 v2, v1, s[8:9] offset:36
	s_wait_loadcnt 0x0
	v_cmp_eq_u32_e32 vcc_lo, 10, v2
	s_cbranch_vccnz .LBB77_106
; %bb.105:
	v_lshlrev_b32_e32 v2, 4, v2
	s_delay_alu instid0(VALU_DEP_1)
	v_mov_b32_e32 v10, v2
	s_clause 0x1
	scratch_load_b128 v[2:5], off, s12
	scratch_load_b128 v[6:9], v10, off offset:-16
	s_wait_loadcnt 0x1
	ds_store_2addr_b64 v0, v[2:3], v[4:5] offset1:1
	s_wait_loadcnt 0x0
	s_clause 0x1
	scratch_store_b128 off, v[6:9], s12
	scratch_store_b128 v10, v[2:5], off offset:-16
.LBB77_106:
	global_load_b32 v1, v1, s[8:9] offset:32
	s_wait_loadcnt 0x0
	v_cmp_eq_u32_e32 vcc_lo, 9, v1
	s_cbranch_vccnz .LBB77_108
; %bb.107:
	v_lshlrev_b32_e32 v1, 4, v1
	s_delay_alu instid0(VALU_DEP_1)
	v_mov_b32_e32 v9, v1
	s_clause 0x1
	scratch_load_b128 v[1:4], off, s18
	scratch_load_b128 v[5:8], v9, off offset:-16
	s_wait_loadcnt 0x1
	ds_store_2addr_b64 v0, v[1:2], v[3:4] offset1:1
	s_wait_loadcnt 0x0
	s_clause 0x1
	scratch_store_b128 off, v[5:8], s18
	scratch_store_b128 v9, v[1:4], off offset:-16
.LBB77_108:
	v_mov_b32_e32 v1, 0
	global_load_b32 v2, v1, s[8:9] offset:28
	s_wait_loadcnt 0x0
	v_cmp_eq_u32_e32 vcc_lo, 8, v2
	s_cbranch_vccnz .LBB77_110
; %bb.109:
	v_lshlrev_b32_e32 v2, 4, v2
	s_delay_alu instid0(VALU_DEP_1)
	v_mov_b32_e32 v10, v2
	s_clause 0x1
	scratch_load_b128 v[2:5], off, s5
	scratch_load_b128 v[6:9], v10, off offset:-16
	s_wait_loadcnt 0x1
	ds_store_2addr_b64 v0, v[2:3], v[4:5] offset1:1
	s_wait_loadcnt 0x0
	s_clause 0x1
	scratch_store_b128 off, v[6:9], s5
	scratch_store_b128 v10, v[2:5], off offset:-16
.LBB77_110:
	global_load_b32 v1, v1, s[8:9] offset:24
	s_wait_loadcnt 0x0
	v_cmp_eq_u32_e32 vcc_lo, 7, v1
	s_cbranch_vccnz .LBB77_112
; %bb.111:
	v_lshlrev_b32_e32 v1, 4, v1
	s_delay_alu instid0(VALU_DEP_1)
	v_mov_b32_e32 v9, v1
	s_clause 0x1
	scratch_load_b128 v[1:4], off, s17
	scratch_load_b128 v[5:8], v9, off offset:-16
	s_wait_loadcnt 0x1
	ds_store_2addr_b64 v0, v[1:2], v[3:4] offset1:1
	s_wait_loadcnt 0x0
	s_clause 0x1
	scratch_store_b128 off, v[5:8], s17
	scratch_store_b128 v9, v[1:4], off offset:-16
.LBB77_112:
	v_mov_b32_e32 v1, 0
	global_load_b32 v2, v1, s[8:9] offset:20
	s_wait_loadcnt 0x0
	v_cmp_eq_u32_e32 vcc_lo, 6, v2
	s_cbranch_vccnz .LBB77_114
; %bb.113:
	v_lshlrev_b32_e32 v2, 4, v2
	s_delay_alu instid0(VALU_DEP_1)
	v_mov_b32_e32 v10, v2
	s_clause 0x1
	scratch_load_b128 v[2:5], off, s4
	scratch_load_b128 v[6:9], v10, off offset:-16
	s_wait_loadcnt 0x1
	ds_store_2addr_b64 v0, v[2:3], v[4:5] offset1:1
	s_wait_loadcnt 0x0
	s_clause 0x1
	scratch_store_b128 off, v[6:9], s4
	scratch_store_b128 v10, v[2:5], off offset:-16
.LBB77_114:
	global_load_b32 v1, v1, s[8:9] offset:16
	s_wait_loadcnt 0x0
	v_cmp_eq_u32_e32 vcc_lo, 5, v1
	s_cbranch_vccnz .LBB77_116
; %bb.115:
	v_lshlrev_b32_e32 v1, 4, v1
	s_delay_alu instid0(VALU_DEP_1)
	v_mov_b32_e32 v9, v1
	s_clause 0x1
	scratch_load_b128 v[1:4], off, s16
	scratch_load_b128 v[5:8], v9, off offset:-16
	s_wait_loadcnt 0x1
	ds_store_2addr_b64 v0, v[1:2], v[3:4] offset1:1
	s_wait_loadcnt 0x0
	s_clause 0x1
	scratch_store_b128 off, v[5:8], s16
	scratch_store_b128 v9, v[1:4], off offset:-16
.LBB77_116:
	v_mov_b32_e32 v1, 0
	global_load_b32 v2, v1, s[8:9] offset:12
	s_wait_loadcnt 0x0
	v_cmp_eq_u32_e32 vcc_lo, 4, v2
	s_cbranch_vccnz .LBB77_118
; %bb.117:
	v_lshlrev_b32_e32 v2, 4, v2
	s_delay_alu instid0(VALU_DEP_1)
	v_mov_b32_e32 v10, v2
	s_clause 0x1
	scratch_load_b128 v[2:5], off, s15
	scratch_load_b128 v[6:9], v10, off offset:-16
	s_wait_loadcnt 0x1
	ds_store_2addr_b64 v0, v[2:3], v[4:5] offset1:1
	s_wait_loadcnt 0x0
	s_clause 0x1
	scratch_store_b128 off, v[6:9], s15
	scratch_store_b128 v10, v[2:5], off offset:-16
.LBB77_118:
	global_load_b32 v1, v1, s[8:9] offset:8
	s_wait_loadcnt 0x0
	v_cmp_eq_u32_e32 vcc_lo, 3, v1
	s_cbranch_vccnz .LBB77_120
; %bb.119:
	v_lshlrev_b32_e32 v1, 4, v1
	s_delay_alu instid0(VALU_DEP_1)
	v_mov_b32_e32 v9, v1
	s_clause 0x1
	scratch_load_b128 v[1:4], off, s21
	scratch_load_b128 v[5:8], v9, off offset:-16
	s_wait_loadcnt 0x1
	ds_store_2addr_b64 v0, v[1:2], v[3:4] offset1:1
	s_wait_loadcnt 0x0
	s_clause 0x1
	scratch_store_b128 off, v[5:8], s21
	scratch_store_b128 v9, v[1:4], off offset:-16
.LBB77_120:
	v_mov_b32_e32 v1, 0
	global_load_b32 v2, v1, s[8:9] offset:4
	s_wait_loadcnt 0x0
	v_cmp_eq_u32_e32 vcc_lo, 2, v2
	s_cbranch_vccnz .LBB77_122
; %bb.121:
	v_lshlrev_b32_e32 v2, 4, v2
	s_delay_alu instid0(VALU_DEP_1)
	v_mov_b32_e32 v10, v2
	s_clause 0x1
	scratch_load_b128 v[2:5], off, s22
	scratch_load_b128 v[6:9], v10, off offset:-16
	s_wait_loadcnt 0x1
	ds_store_2addr_b64 v0, v[2:3], v[4:5] offset1:1
	s_wait_loadcnt 0x0
	s_clause 0x1
	scratch_store_b128 off, v[6:9], s22
	scratch_store_b128 v10, v[2:5], off offset:-16
.LBB77_122:
	global_load_b32 v1, v1, s[8:9]
	s_wait_loadcnt 0x0
	v_cmp_eq_u32_e32 vcc_lo, 1, v1
	s_cbranch_vccnz .LBB77_124
; %bb.123:
	v_lshlrev_b32_e32 v1, 4, v1
	s_delay_alu instid0(VALU_DEP_1)
	v_mov_b32_e32 v9, v1
	scratch_load_b128 v[1:4], off, off
	scratch_load_b128 v[5:8], v9, off offset:-16
	s_wait_loadcnt 0x1
	ds_store_2addr_b64 v0, v[1:2], v[3:4] offset1:1
	s_wait_loadcnt 0x0
	scratch_store_b128 off, v[5:8], off
	scratch_store_b128 v9, v[1:4], off offset:-16
.LBB77_124:
	scratch_load_b128 v[0:3], off, off
	s_wait_loadcnt 0x0
	flat_store_b128 v[13:14], v[0:3]
	scratch_load_b128 v[0:3], off, s22
	s_wait_loadcnt 0x0
	flat_store_b128 v[15:16], v[0:3]
	scratch_load_b128 v[0:3], off, s21
	;; [unrolled: 3-line block ×13, first 2 shown]
	s_wait_loadcnt 0x0
	flat_store_b128 v[39:40], v[0:3]
	s_nop 0
	s_sendmsg sendmsg(MSG_DEALLOC_VGPRS)
	s_endpgm
	.section	.rodata,"a",@progbits
	.p2align	6, 0x0
	.amdhsa_kernel _ZN9rocsolver6v33100L18getri_kernel_smallILi14E19rocblas_complex_numIdEPKPS3_EEvT1_iilPiilS8_bb
		.amdhsa_group_segment_fixed_size 1480
		.amdhsa_private_segment_fixed_size 240
		.amdhsa_kernarg_size 60
		.amdhsa_user_sgpr_count 4
		.amdhsa_user_sgpr_dispatch_ptr 1
		.amdhsa_user_sgpr_queue_ptr 0
		.amdhsa_user_sgpr_kernarg_segment_ptr 1
		.amdhsa_user_sgpr_dispatch_id 0
		.amdhsa_user_sgpr_private_segment_size 0
		.amdhsa_wavefront_size32 1
		.amdhsa_uses_dynamic_stack 0
		.amdhsa_enable_private_segment 1
		.amdhsa_system_sgpr_workgroup_id_x 1
		.amdhsa_system_sgpr_workgroup_id_y 0
		.amdhsa_system_sgpr_workgroup_id_z 0
		.amdhsa_system_sgpr_workgroup_info 0
		.amdhsa_system_vgpr_workitem_id 2
		.amdhsa_next_free_vgpr 100
		.amdhsa_next_free_sgpr 27
		.amdhsa_reserve_vcc 1
		.amdhsa_float_round_mode_32 0
		.amdhsa_float_round_mode_16_64 0
		.amdhsa_float_denorm_mode_32 3
		.amdhsa_float_denorm_mode_16_64 3
		.amdhsa_fp16_overflow 0
		.amdhsa_workgroup_processor_mode 1
		.amdhsa_memory_ordered 1
		.amdhsa_forward_progress 1
		.amdhsa_inst_pref_size 118
		.amdhsa_round_robin_scheduling 0
		.amdhsa_exception_fp_ieee_invalid_op 0
		.amdhsa_exception_fp_denorm_src 0
		.amdhsa_exception_fp_ieee_div_zero 0
		.amdhsa_exception_fp_ieee_overflow 0
		.amdhsa_exception_fp_ieee_underflow 0
		.amdhsa_exception_fp_ieee_inexact 0
		.amdhsa_exception_int_div_zero 0
	.end_amdhsa_kernel
	.section	.text._ZN9rocsolver6v33100L18getri_kernel_smallILi14E19rocblas_complex_numIdEPKPS3_EEvT1_iilPiilS8_bb,"axG",@progbits,_ZN9rocsolver6v33100L18getri_kernel_smallILi14E19rocblas_complex_numIdEPKPS3_EEvT1_iilPiilS8_bb,comdat
.Lfunc_end77:
	.size	_ZN9rocsolver6v33100L18getri_kernel_smallILi14E19rocblas_complex_numIdEPKPS3_EEvT1_iilPiilS8_bb, .Lfunc_end77-_ZN9rocsolver6v33100L18getri_kernel_smallILi14E19rocblas_complex_numIdEPKPS3_EEvT1_iilPiilS8_bb
                                        ; -- End function
	.set _ZN9rocsolver6v33100L18getri_kernel_smallILi14E19rocblas_complex_numIdEPKPS3_EEvT1_iilPiilS8_bb.num_vgpr, 100
	.set _ZN9rocsolver6v33100L18getri_kernel_smallILi14E19rocblas_complex_numIdEPKPS3_EEvT1_iilPiilS8_bb.num_agpr, 0
	.set _ZN9rocsolver6v33100L18getri_kernel_smallILi14E19rocblas_complex_numIdEPKPS3_EEvT1_iilPiilS8_bb.numbered_sgpr, 27
	.set _ZN9rocsolver6v33100L18getri_kernel_smallILi14E19rocblas_complex_numIdEPKPS3_EEvT1_iilPiilS8_bb.num_named_barrier, 0
	.set _ZN9rocsolver6v33100L18getri_kernel_smallILi14E19rocblas_complex_numIdEPKPS3_EEvT1_iilPiilS8_bb.private_seg_size, 240
	.set _ZN9rocsolver6v33100L18getri_kernel_smallILi14E19rocblas_complex_numIdEPKPS3_EEvT1_iilPiilS8_bb.uses_vcc, 1
	.set _ZN9rocsolver6v33100L18getri_kernel_smallILi14E19rocblas_complex_numIdEPKPS3_EEvT1_iilPiilS8_bb.uses_flat_scratch, 1
	.set _ZN9rocsolver6v33100L18getri_kernel_smallILi14E19rocblas_complex_numIdEPKPS3_EEvT1_iilPiilS8_bb.has_dyn_sized_stack, 0
	.set _ZN9rocsolver6v33100L18getri_kernel_smallILi14E19rocblas_complex_numIdEPKPS3_EEvT1_iilPiilS8_bb.has_recursion, 0
	.set _ZN9rocsolver6v33100L18getri_kernel_smallILi14E19rocblas_complex_numIdEPKPS3_EEvT1_iilPiilS8_bb.has_indirect_call, 0
	.section	.AMDGPU.csdata,"",@progbits
; Kernel info:
; codeLenInByte = 15084
; TotalNumSgprs: 29
; NumVgprs: 100
; ScratchSize: 240
; MemoryBound: 0
; FloatMode: 240
; IeeeMode: 1
; LDSByteSize: 1480 bytes/workgroup (compile time only)
; SGPRBlocks: 0
; VGPRBlocks: 12
; NumSGPRsForWavesPerEU: 29
; NumVGPRsForWavesPerEU: 100
; Occupancy: 12
; WaveLimiterHint : 1
; COMPUTE_PGM_RSRC2:SCRATCH_EN: 1
; COMPUTE_PGM_RSRC2:USER_SGPR: 4
; COMPUTE_PGM_RSRC2:TRAP_HANDLER: 0
; COMPUTE_PGM_RSRC2:TGID_X_EN: 1
; COMPUTE_PGM_RSRC2:TGID_Y_EN: 0
; COMPUTE_PGM_RSRC2:TGID_Z_EN: 0
; COMPUTE_PGM_RSRC2:TIDIG_COMP_CNT: 2
	.section	.text._ZN9rocsolver6v33100L18getri_kernel_smallILi15E19rocblas_complex_numIdEPKPS3_EEvT1_iilPiilS8_bb,"axG",@progbits,_ZN9rocsolver6v33100L18getri_kernel_smallILi15E19rocblas_complex_numIdEPKPS3_EEvT1_iilPiilS8_bb,comdat
	.globl	_ZN9rocsolver6v33100L18getri_kernel_smallILi15E19rocblas_complex_numIdEPKPS3_EEvT1_iilPiilS8_bb ; -- Begin function _ZN9rocsolver6v33100L18getri_kernel_smallILi15E19rocblas_complex_numIdEPKPS3_EEvT1_iilPiilS8_bb
	.p2align	8
	.type	_ZN9rocsolver6v33100L18getri_kernel_smallILi15E19rocblas_complex_numIdEPKPS3_EEvT1_iilPiilS8_bb,@function
_ZN9rocsolver6v33100L18getri_kernel_smallILi15E19rocblas_complex_numIdEPKPS3_EEvT1_iilPiilS8_bb: ; @_ZN9rocsolver6v33100L18getri_kernel_smallILi15E19rocblas_complex_numIdEPKPS3_EEvT1_iilPiilS8_bb
; %bb.0:
	v_and_b32_e32 v43, 0x3ff, v0
	s_mov_b32 s4, exec_lo
	s_delay_alu instid0(VALU_DEP_1)
	v_cmpx_gt_u32_e32 15, v43
	s_cbranch_execz .LBB78_74
; %bb.1:
	s_clause 0x1
	s_load_b32 s14, s[2:3], 0x38
	s_load_b64 s[8:9], s[2:3], 0x0
	s_mov_b32 s10, ttmp9
	s_load_b128 s[4:7], s[2:3], 0x28
	s_wait_kmcnt 0x0
	s_bitcmp1_b32 s14, 8
	s_cselect_b32 s24, -1, 0
	s_ashr_i32 s11, ttmp9, 31
	s_delay_alu instid0(SALU_CYCLE_1) | instskip(NEXT) | instid1(SALU_CYCLE_1)
	s_lshl_b64 s[12:13], s[10:11], 3
	s_add_nc_u64 s[8:9], s[8:9], s[12:13]
	s_load_b64 s[12:13], s[8:9], 0x0
	s_bfe_u32 s8, s14, 0x10008
	s_delay_alu instid0(SALU_CYCLE_1)
	s_cmp_eq_u32 s8, 0
                                        ; implicit-def: $sgpr8_sgpr9
	s_cbranch_scc1 .LBB78_3
; %bb.2:
	s_load_b96 s[16:18], s[2:3], 0x18
	s_mul_u64 s[4:5], s[4:5], s[10:11]
	s_delay_alu instid0(SALU_CYCLE_1)
	s_lshl_b64 s[4:5], s[4:5], 2
	s_wait_kmcnt 0x0
	s_ashr_i32 s9, s18, 31
	s_mov_b32 s8, s18
	s_add_nc_u64 s[4:5], s[16:17], s[4:5]
	s_lshl_b64 s[8:9], s[8:9], 2
	s_delay_alu instid0(SALU_CYCLE_1)
	s_add_nc_u64 s[8:9], s[4:5], s[8:9]
.LBB78_3:
	s_clause 0x1
	s_load_b64 s[4:5], s[2:3], 0x8
	s_load_b32 s25, s[2:3], 0x38
	v_lshlrev_b32_e32 v44, 4, v43
	s_mov_b32 s23, 16
	s_mov_b32 s22, 32
	;; [unrolled: 1-line block ×3, first 2 shown]
	s_movk_i32 s17, 0x50
	s_movk_i32 s18, 0x70
	;; [unrolled: 1-line block ×7, first 2 shown]
	s_wait_kmcnt 0x0
	s_ashr_i32 s3, s4, 31
	s_mov_b32 s2, s4
	v_add3_u32 v5, s5, s5, v43
	s_lshl_b64 s[2:3], s[2:3], 4
	s_delay_alu instid0(SALU_CYCLE_1)
	s_add_nc_u64 s[2:3], s[12:13], s[2:3]
	s_ashr_i32 s13, s5, 31
	v_add_co_u32 v13, s4, s2, v44
	s_wait_alu 0xf1ff
	v_add_co_ci_u32_e64 v14, null, s3, 0, s4
	s_mov_b32 s12, s5
	v_ashrrev_i32_e32 v6, 31, v5
	s_lshl_b64 s[12:13], s[12:13], 4
	flat_load_b128 v[1:4], v[13:14]
	v_add_co_u32 v15, vcc_lo, v13, s12
	s_delay_alu instid0(VALU_DEP_1)
	v_add_co_ci_u32_e64 v16, null, s13, v14, vcc_lo
	v_lshlrev_b64_e32 v[6:7], 4, v[5:6]
	v_add_nc_u32_e32 v5, s5, v5
	s_mov_b32 s4, 64
	s_movk_i32 s12, 0x80
	s_movk_i32 s13, 0xa0
	s_bitcmp0_b32 s25, 0
	v_add_co_u32 v17, vcc_lo, s2, v6
	s_wait_alu 0xfffd
	v_add_co_ci_u32_e64 v18, null, s3, v7, vcc_lo
	v_ashrrev_i32_e32 v6, 31, v5
	s_delay_alu instid0(VALU_DEP_1) | instskip(SKIP_1) | instid1(VALU_DEP_2)
	v_lshlrev_b64_e32 v[6:7], 4, v[5:6]
	v_add_nc_u32_e32 v5, s5, v5
	v_add_co_u32 v19, vcc_lo, s2, v6
	s_wait_alu 0xfffd
	s_delay_alu instid0(VALU_DEP_3) | instskip(NEXT) | instid1(VALU_DEP_3)
	v_add_co_ci_u32_e64 v20, null, s3, v7, vcc_lo
	v_ashrrev_i32_e32 v6, 31, v5
	s_delay_alu instid0(VALU_DEP_1) | instskip(SKIP_1) | instid1(VALU_DEP_2)
	v_lshlrev_b64_e32 v[6:7], 4, v[5:6]
	v_add_nc_u32_e32 v5, s5, v5
	v_add_co_u32 v21, vcc_lo, s2, v6
	s_wait_alu 0xfffd
	s_delay_alu instid0(VALU_DEP_3) | instskip(NEXT) | instid1(VALU_DEP_3)
	;; [unrolled: 8-line block ×10, first 2 shown]
	v_add_co_ci_u32_e64 v38, null, s3, v7, vcc_lo
	v_ashrrev_i32_e32 v6, 31, v5
	s_delay_alu instid0(VALU_DEP_1) | instskip(SKIP_2) | instid1(VALU_DEP_2)
	v_lshlrev_b64_e32 v[6:7], 4, v[5:6]
	v_add_nc_u32_e32 v5, s5, v5
	s_movk_i32 s5, 0x60
	v_add_co_u32 v39, vcc_lo, s2, v6
	s_wait_alu 0xfffd
	s_delay_alu instid0(VALU_DEP_3) | instskip(SKIP_1) | instid1(VALU_DEP_1)
	v_add_co_ci_u32_e64 v40, null, s3, v7, vcc_lo
	v_ashrrev_i32_e32 v6, 31, v5
	v_lshlrev_b64_e32 v[5:6], 4, v[5:6]
	s_delay_alu instid0(VALU_DEP_1) | instskip(SKIP_1) | instid1(VALU_DEP_2)
	v_add_co_u32 v41, vcc_lo, s2, v5
	s_wait_alu 0xfffd
	v_add_co_ci_u32_e64 v42, null, s3, v6, vcc_lo
	s_mov_b32 s3, -1
	s_wait_loadcnt_dscnt 0x0
	scratch_store_b128 off, v[1:4], off
	flat_load_b128 v[1:4], v[15:16]
	s_wait_loadcnt_dscnt 0x0
	scratch_store_b128 off, v[1:4], off offset:16
	flat_load_b128 v[1:4], v[17:18]
	s_wait_loadcnt_dscnt 0x0
	scratch_store_b128 off, v[1:4], off offset:32
	;; [unrolled: 3-line block ×14, first 2 shown]
	s_cbranch_scc1 .LBB78_72
; %bb.4:
	v_cmp_eq_u32_e64 s2, 0, v43
	s_and_saveexec_b32 s3, s2
; %bb.5:
	v_mov_b32_e32 v1, 0
	ds_store_b32 v1, v1 offset:480
; %bb.6:
	s_wait_alu 0xfffe
	s_or_b32 exec_lo, exec_lo, s3
	s_wait_storecnt_dscnt 0x0
	s_barrier_signal -1
	s_barrier_wait -1
	global_inv scope:SCOPE_SE
	scratch_load_b128 v[1:4], v44, off
	s_wait_loadcnt 0x0
	v_cmp_eq_f64_e32 vcc_lo, 0, v[1:2]
	v_cmp_eq_f64_e64 s3, 0, v[3:4]
	s_and_b32 s3, vcc_lo, s3
	s_wait_alu 0xfffe
	s_and_saveexec_b32 s25, s3
	s_cbranch_execz .LBB78_10
; %bb.7:
	v_mov_b32_e32 v1, 0
	s_mov_b32 s26, 0
	ds_load_b32 v2, v1 offset:480
	s_wait_dscnt 0x0
	v_readfirstlane_b32 s3, v2
	v_add_nc_u32_e32 v2, 1, v43
	s_cmp_eq_u32 s3, 0
	s_delay_alu instid0(VALU_DEP_1) | instskip(SKIP_1) | instid1(SALU_CYCLE_1)
	v_cmp_gt_i32_e32 vcc_lo, s3, v2
	s_cselect_b32 s27, -1, 0
	s_or_b32 s27, s27, vcc_lo
	s_delay_alu instid0(SALU_CYCLE_1)
	s_and_b32 exec_lo, exec_lo, s27
	s_cbranch_execz .LBB78_10
; %bb.8:
	v_mov_b32_e32 v3, s3
.LBB78_9:                               ; =>This Inner Loop Header: Depth=1
	ds_cmpstore_rtn_b32 v3, v1, v2, v3 offset:480
	s_wait_dscnt 0x0
	v_cmp_ne_u32_e32 vcc_lo, 0, v3
	v_cmp_le_i32_e64 s3, v3, v2
	s_and_b32 s3, vcc_lo, s3
	s_wait_alu 0xfffe
	s_and_b32 s3, exec_lo, s3
	s_wait_alu 0xfffe
	s_or_b32 s26, s3, s26
	s_delay_alu instid0(SALU_CYCLE_1)
	s_and_not1_b32 exec_lo, exec_lo, s26
	s_cbranch_execnz .LBB78_9
.LBB78_10:
	s_or_b32 exec_lo, exec_lo, s25
	v_mov_b32_e32 v1, 0
	s_barrier_signal -1
	s_barrier_wait -1
	global_inv scope:SCOPE_SE
	ds_load_b32 v2, v1 offset:480
	s_and_saveexec_b32 s3, s2
	s_cbranch_execz .LBB78_12
; %bb.11:
	s_lshl_b64 s[26:27], s[10:11], 2
	s_delay_alu instid0(SALU_CYCLE_1)
	s_add_nc_u64 s[26:27], s[6:7], s[26:27]
	s_wait_dscnt 0x0
	global_store_b32 v1, v2, s[26:27]
.LBB78_12:
	s_wait_alu 0xfffe
	s_or_b32 exec_lo, exec_lo, s3
	s_wait_dscnt 0x0
	v_cmp_ne_u32_e32 vcc_lo, 0, v2
	s_mov_b32 s3, 0
	s_cbranch_vccnz .LBB78_72
; %bb.13:
	v_mov_b32_e32 v45, v44
                                        ; implicit-def: $vgpr1_vgpr2
                                        ; implicit-def: $vgpr9_vgpr10
	scratch_load_b128 v[5:8], v45, off
	s_wait_loadcnt 0x0
	v_cmp_ngt_f64_e64 s3, |v[5:6]|, |v[7:8]|
	s_wait_alu 0xfffe
	s_and_saveexec_b32 s25, s3
	s_delay_alu instid0(SALU_CYCLE_1)
	s_xor_b32 s3, exec_lo, s25
	s_cbranch_execz .LBB78_15
; %bb.14:
	v_div_scale_f64 v[1:2], null, v[7:8], v[7:8], v[5:6]
	v_div_scale_f64 v[11:12], vcc_lo, v[5:6], v[7:8], v[5:6]
	s_delay_alu instid0(VALU_DEP_2) | instskip(NEXT) | instid1(TRANS32_DEP_1)
	v_rcp_f64_e32 v[3:4], v[1:2]
	v_fma_f64 v[9:10], -v[1:2], v[3:4], 1.0
	s_delay_alu instid0(VALU_DEP_1) | instskip(NEXT) | instid1(VALU_DEP_1)
	v_fma_f64 v[3:4], v[3:4], v[9:10], v[3:4]
	v_fma_f64 v[9:10], -v[1:2], v[3:4], 1.0
	s_delay_alu instid0(VALU_DEP_1) | instskip(NEXT) | instid1(VALU_DEP_1)
	v_fma_f64 v[3:4], v[3:4], v[9:10], v[3:4]
	v_mul_f64_e32 v[9:10], v[11:12], v[3:4]
	s_delay_alu instid0(VALU_DEP_1) | instskip(SKIP_1) | instid1(VALU_DEP_1)
	v_fma_f64 v[1:2], -v[1:2], v[9:10], v[11:12]
	s_wait_alu 0xfffd
	v_div_fmas_f64 v[1:2], v[1:2], v[3:4], v[9:10]
	s_delay_alu instid0(VALU_DEP_1) | instskip(NEXT) | instid1(VALU_DEP_1)
	v_div_fixup_f64 v[1:2], v[1:2], v[7:8], v[5:6]
	v_fma_f64 v[3:4], v[5:6], v[1:2], v[7:8]
	s_delay_alu instid0(VALU_DEP_1) | instskip(SKIP_1) | instid1(VALU_DEP_2)
	v_div_scale_f64 v[5:6], null, v[3:4], v[3:4], 1.0
	v_div_scale_f64 v[11:12], vcc_lo, 1.0, v[3:4], 1.0
	v_rcp_f64_e32 v[7:8], v[5:6]
	s_delay_alu instid0(TRANS32_DEP_1) | instskip(NEXT) | instid1(VALU_DEP_1)
	v_fma_f64 v[9:10], -v[5:6], v[7:8], 1.0
	v_fma_f64 v[7:8], v[7:8], v[9:10], v[7:8]
	s_delay_alu instid0(VALU_DEP_1) | instskip(NEXT) | instid1(VALU_DEP_1)
	v_fma_f64 v[9:10], -v[5:6], v[7:8], 1.0
	v_fma_f64 v[7:8], v[7:8], v[9:10], v[7:8]
	s_delay_alu instid0(VALU_DEP_1) | instskip(NEXT) | instid1(VALU_DEP_1)
	v_mul_f64_e32 v[9:10], v[11:12], v[7:8]
	v_fma_f64 v[5:6], -v[5:6], v[9:10], v[11:12]
	s_wait_alu 0xfffd
	s_delay_alu instid0(VALU_DEP_1) | instskip(NEXT) | instid1(VALU_DEP_1)
	v_div_fmas_f64 v[5:6], v[5:6], v[7:8], v[9:10]
	v_div_fixup_f64 v[3:4], v[5:6], v[3:4], 1.0
                                        ; implicit-def: $vgpr5_vgpr6
	s_delay_alu instid0(VALU_DEP_1) | instskip(SKIP_1) | instid1(VALU_DEP_2)
	v_mul_f64_e32 v[1:2], v[1:2], v[3:4]
	v_xor_b32_e32 v4, 0x80000000, v4
	v_xor_b32_e32 v10, 0x80000000, v2
	s_delay_alu instid0(VALU_DEP_3)
	v_mov_b32_e32 v9, v1
.LBB78_15:
	s_wait_alu 0xfffe
	s_and_not1_saveexec_b32 s3, s3
	s_cbranch_execz .LBB78_17
; %bb.16:
	v_div_scale_f64 v[1:2], null, v[5:6], v[5:6], v[7:8]
	v_div_scale_f64 v[11:12], vcc_lo, v[7:8], v[5:6], v[7:8]
	s_delay_alu instid0(VALU_DEP_2) | instskip(NEXT) | instid1(TRANS32_DEP_1)
	v_rcp_f64_e32 v[3:4], v[1:2]
	v_fma_f64 v[9:10], -v[1:2], v[3:4], 1.0
	s_delay_alu instid0(VALU_DEP_1) | instskip(NEXT) | instid1(VALU_DEP_1)
	v_fma_f64 v[3:4], v[3:4], v[9:10], v[3:4]
	v_fma_f64 v[9:10], -v[1:2], v[3:4], 1.0
	s_delay_alu instid0(VALU_DEP_1) | instskip(NEXT) | instid1(VALU_DEP_1)
	v_fma_f64 v[3:4], v[3:4], v[9:10], v[3:4]
	v_mul_f64_e32 v[9:10], v[11:12], v[3:4]
	s_delay_alu instid0(VALU_DEP_1) | instskip(SKIP_1) | instid1(VALU_DEP_1)
	v_fma_f64 v[1:2], -v[1:2], v[9:10], v[11:12]
	s_wait_alu 0xfffd
	v_div_fmas_f64 v[1:2], v[1:2], v[3:4], v[9:10]
	s_delay_alu instid0(VALU_DEP_1) | instskip(NEXT) | instid1(VALU_DEP_1)
	v_div_fixup_f64 v[3:4], v[1:2], v[5:6], v[7:8]
	v_fma_f64 v[1:2], v[7:8], v[3:4], v[5:6]
	s_delay_alu instid0(VALU_DEP_1) | instskip(NEXT) | instid1(VALU_DEP_1)
	v_div_scale_f64 v[5:6], null, v[1:2], v[1:2], 1.0
	v_rcp_f64_e32 v[7:8], v[5:6]
	s_delay_alu instid0(TRANS32_DEP_1) | instskip(NEXT) | instid1(VALU_DEP_1)
	v_fma_f64 v[9:10], -v[5:6], v[7:8], 1.0
	v_fma_f64 v[7:8], v[7:8], v[9:10], v[7:8]
	s_delay_alu instid0(VALU_DEP_1) | instskip(NEXT) | instid1(VALU_DEP_1)
	v_fma_f64 v[9:10], -v[5:6], v[7:8], 1.0
	v_fma_f64 v[7:8], v[7:8], v[9:10], v[7:8]
	v_div_scale_f64 v[9:10], vcc_lo, 1.0, v[1:2], 1.0
	s_delay_alu instid0(VALU_DEP_1) | instskip(NEXT) | instid1(VALU_DEP_1)
	v_mul_f64_e32 v[11:12], v[9:10], v[7:8]
	v_fma_f64 v[5:6], -v[5:6], v[11:12], v[9:10]
	s_wait_alu 0xfffd
	s_delay_alu instid0(VALU_DEP_1) | instskip(NEXT) | instid1(VALU_DEP_1)
	v_div_fmas_f64 v[5:6], v[5:6], v[7:8], v[11:12]
	v_div_fixup_f64 v[1:2], v[5:6], v[1:2], 1.0
	s_delay_alu instid0(VALU_DEP_1)
	v_mul_f64_e64 v[3:4], v[3:4], -v[1:2]
	v_xor_b32_e32 v10, 0x80000000, v2
	v_mov_b32_e32 v9, v1
.LBB78_17:
	s_wait_alu 0xfffe
	s_or_b32 exec_lo, exec_lo, s3
	scratch_store_b128 v45, v[1:4], off
	scratch_load_b128 v[46:49], off, s23
	v_xor_b32_e32 v12, 0x80000000, v4
	v_mov_b32_e32 v11, v3
	v_add_nc_u32_e32 v5, 0xf0, v44
	ds_store_b128 v44, v[9:12]
	s_wait_loadcnt 0x0
	ds_store_b128 v44, v[46:49] offset:240
	s_wait_storecnt_dscnt 0x0
	s_barrier_signal -1
	s_barrier_wait -1
	global_inv scope:SCOPE_SE
	s_and_saveexec_b32 s3, s2
	s_cbranch_execz .LBB78_19
; %bb.18:
	scratch_load_b128 v[1:4], v45, off
	ds_load_b128 v[6:9], v5
	v_mov_b32_e32 v10, 0
	ds_load_b128 v[46:49], v10 offset:16
	s_wait_loadcnt_dscnt 0x1
	v_mul_f64_e32 v[10:11], v[6:7], v[3:4]
	v_mul_f64_e32 v[3:4], v[8:9], v[3:4]
	s_delay_alu instid0(VALU_DEP_2) | instskip(NEXT) | instid1(VALU_DEP_2)
	v_fma_f64 v[8:9], v[8:9], v[1:2], v[10:11]
	v_fma_f64 v[1:2], v[6:7], v[1:2], -v[3:4]
	s_delay_alu instid0(VALU_DEP_2) | instskip(NEXT) | instid1(VALU_DEP_2)
	v_add_f64_e32 v[3:4], 0, v[8:9]
	v_add_f64_e32 v[1:2], 0, v[1:2]
	s_wait_dscnt 0x0
	s_delay_alu instid0(VALU_DEP_2) | instskip(NEXT) | instid1(VALU_DEP_2)
	v_mul_f64_e32 v[6:7], v[3:4], v[48:49]
	v_mul_f64_e32 v[8:9], v[1:2], v[48:49]
	s_delay_alu instid0(VALU_DEP_2) | instskip(NEXT) | instid1(VALU_DEP_2)
	v_fma_f64 v[1:2], v[1:2], v[46:47], -v[6:7]
	v_fma_f64 v[3:4], v[3:4], v[46:47], v[8:9]
	scratch_store_b128 off, v[1:4], off offset:16
.LBB78_19:
	s_wait_alu 0xfffe
	s_or_b32 exec_lo, exec_lo, s3
	s_wait_loadcnt 0x0
	s_wait_storecnt 0x0
	s_barrier_signal -1
	s_barrier_wait -1
	global_inv scope:SCOPE_SE
	scratch_load_b128 v[1:4], off, s22
	s_mov_b32 s3, exec_lo
	s_wait_loadcnt 0x0
	ds_store_b128 v5, v[1:4]
	s_wait_dscnt 0x0
	s_barrier_signal -1
	s_barrier_wait -1
	global_inv scope:SCOPE_SE
	v_cmpx_gt_u32_e32 2, v43
	s_cbranch_execz .LBB78_23
; %bb.20:
	scratch_load_b128 v[1:4], v45, off
	ds_load_b128 v[6:9], v5
	s_wait_loadcnt_dscnt 0x0
	v_mul_f64_e32 v[10:11], v[8:9], v[3:4]
	v_mul_f64_e32 v[3:4], v[6:7], v[3:4]
	s_delay_alu instid0(VALU_DEP_2) | instskip(NEXT) | instid1(VALU_DEP_2)
	v_fma_f64 v[6:7], v[6:7], v[1:2], -v[10:11]
	v_fma_f64 v[3:4], v[8:9], v[1:2], v[3:4]
	s_delay_alu instid0(VALU_DEP_2) | instskip(NEXT) | instid1(VALU_DEP_2)
	v_add_f64_e32 v[1:2], 0, v[6:7]
	v_add_f64_e32 v[3:4], 0, v[3:4]
	s_and_saveexec_b32 s25, s2
	s_cbranch_execz .LBB78_22
; %bb.21:
	scratch_load_b128 v[6:9], off, off offset:16
	v_mov_b32_e32 v10, 0
	ds_load_b128 v[46:49], v10 offset:256
	s_wait_loadcnt_dscnt 0x0
	v_mul_f64_e32 v[10:11], v[46:47], v[8:9]
	v_mul_f64_e32 v[8:9], v[48:49], v[8:9]
	s_delay_alu instid0(VALU_DEP_2) | instskip(NEXT) | instid1(VALU_DEP_2)
	v_fma_f64 v[10:11], v[48:49], v[6:7], v[10:11]
	v_fma_f64 v[6:7], v[46:47], v[6:7], -v[8:9]
	s_delay_alu instid0(VALU_DEP_2) | instskip(NEXT) | instid1(VALU_DEP_2)
	v_add_f64_e32 v[3:4], v[3:4], v[10:11]
	v_add_f64_e32 v[1:2], v[1:2], v[6:7]
.LBB78_22:
	s_or_b32 exec_lo, exec_lo, s25
	v_mov_b32_e32 v6, 0
	ds_load_b128 v[6:9], v6 offset:32
	s_wait_dscnt 0x0
	v_mul_f64_e32 v[10:11], v[3:4], v[8:9]
	v_mul_f64_e32 v[8:9], v[1:2], v[8:9]
	s_delay_alu instid0(VALU_DEP_2) | instskip(NEXT) | instid1(VALU_DEP_2)
	v_fma_f64 v[1:2], v[1:2], v[6:7], -v[10:11]
	v_fma_f64 v[3:4], v[3:4], v[6:7], v[8:9]
	scratch_store_b128 off, v[1:4], off offset:32
.LBB78_23:
	s_wait_alu 0xfffe
	s_or_b32 exec_lo, exec_lo, s3
	s_wait_loadcnt 0x0
	s_wait_storecnt 0x0
	s_barrier_signal -1
	s_barrier_wait -1
	global_inv scope:SCOPE_SE
	scratch_load_b128 v[1:4], off, s16
	v_add_nc_u32_e32 v6, -1, v43
	s_mov_b32 s2, exec_lo
	s_wait_loadcnt 0x0
	ds_store_b128 v5, v[1:4]
	s_wait_dscnt 0x0
	s_barrier_signal -1
	s_barrier_wait -1
	global_inv scope:SCOPE_SE
	v_cmpx_gt_u32_e32 3, v43
	s_cbranch_execz .LBB78_27
; %bb.24:
	v_dual_mov_b32 v1, 0 :: v_dual_add_nc_u32 v8, 0xf0, v44
	v_mov_b32_e32 v3, 0
	v_dual_mov_b32 v2, 0 :: v_dual_add_nc_u32 v7, -1, v43
	v_mov_b32_e32 v4, 0
	v_or_b32_e32 v9, 8, v45
	s_mov_b32 s3, 0
.LBB78_25:                              ; =>This Inner Loop Header: Depth=1
	scratch_load_b128 v[46:49], v9, off offset:-8
	ds_load_b128 v[50:53], v8
	v_add_nc_u32_e32 v7, 1, v7
	v_add_nc_u32_e32 v8, 16, v8
	v_add_nc_u32_e32 v9, 16, v9
	s_delay_alu instid0(VALU_DEP_3)
	v_cmp_lt_u32_e32 vcc_lo, 1, v7
	s_wait_alu 0xfffe
	s_or_b32 s3, vcc_lo, s3
	s_wait_loadcnt_dscnt 0x0
	v_mul_f64_e32 v[10:11], v[52:53], v[48:49]
	v_mul_f64_e32 v[48:49], v[50:51], v[48:49]
	s_delay_alu instid0(VALU_DEP_2) | instskip(NEXT) | instid1(VALU_DEP_2)
	v_fma_f64 v[10:11], v[50:51], v[46:47], -v[10:11]
	v_fma_f64 v[46:47], v[52:53], v[46:47], v[48:49]
	s_delay_alu instid0(VALU_DEP_2) | instskip(NEXT) | instid1(VALU_DEP_2)
	v_add_f64_e32 v[3:4], v[3:4], v[10:11]
	v_add_f64_e32 v[1:2], v[1:2], v[46:47]
	s_wait_alu 0xfffe
	s_and_not1_b32 exec_lo, exec_lo, s3
	s_cbranch_execnz .LBB78_25
; %bb.26:
	s_or_b32 exec_lo, exec_lo, s3
	v_mov_b32_e32 v7, 0
	ds_load_b128 v[7:10], v7 offset:48
	s_wait_dscnt 0x0
	v_mul_f64_e32 v[11:12], v[1:2], v[9:10]
	v_mul_f64_e32 v[46:47], v[3:4], v[9:10]
	s_delay_alu instid0(VALU_DEP_2) | instskip(NEXT) | instid1(VALU_DEP_2)
	v_fma_f64 v[9:10], v[3:4], v[7:8], -v[11:12]
	v_fma_f64 v[11:12], v[1:2], v[7:8], v[46:47]
	scratch_store_b128 off, v[9:12], off offset:48
.LBB78_27:
	s_wait_alu 0xfffe
	s_or_b32 exec_lo, exec_lo, s2
	s_wait_loadcnt 0x0
	s_wait_storecnt 0x0
	s_barrier_signal -1
	s_barrier_wait -1
	global_inv scope:SCOPE_SE
	scratch_load_b128 v[1:4], off, s4
	s_mov_b32 s2, exec_lo
	s_wait_loadcnt 0x0
	ds_store_b128 v5, v[1:4]
	s_wait_dscnt 0x0
	s_barrier_signal -1
	s_barrier_wait -1
	global_inv scope:SCOPE_SE
	v_cmpx_gt_u32_e32 4, v43
	s_cbranch_execz .LBB78_31
; %bb.28:
	v_dual_mov_b32 v1, 0 :: v_dual_add_nc_u32 v8, 0xf0, v44
	v_mov_b32_e32 v3, 0
	v_dual_mov_b32 v2, 0 :: v_dual_add_nc_u32 v7, -1, v43
	v_mov_b32_e32 v4, 0
	v_or_b32_e32 v9, 8, v45
	s_mov_b32 s3, 0
.LBB78_29:                              ; =>This Inner Loop Header: Depth=1
	scratch_load_b128 v[46:49], v9, off offset:-8
	ds_load_b128 v[50:53], v8
	v_add_nc_u32_e32 v7, 1, v7
	v_add_nc_u32_e32 v8, 16, v8
	v_add_nc_u32_e32 v9, 16, v9
	s_delay_alu instid0(VALU_DEP_3)
	v_cmp_lt_u32_e32 vcc_lo, 2, v7
	s_wait_alu 0xfffe
	s_or_b32 s3, vcc_lo, s3
	s_wait_loadcnt_dscnt 0x0
	v_mul_f64_e32 v[10:11], v[52:53], v[48:49]
	v_mul_f64_e32 v[48:49], v[50:51], v[48:49]
	s_delay_alu instid0(VALU_DEP_2) | instskip(NEXT) | instid1(VALU_DEP_2)
	v_fma_f64 v[10:11], v[50:51], v[46:47], -v[10:11]
	v_fma_f64 v[46:47], v[52:53], v[46:47], v[48:49]
	s_delay_alu instid0(VALU_DEP_2) | instskip(NEXT) | instid1(VALU_DEP_2)
	v_add_f64_e32 v[3:4], v[3:4], v[10:11]
	v_add_f64_e32 v[1:2], v[1:2], v[46:47]
	s_wait_alu 0xfffe
	s_and_not1_b32 exec_lo, exec_lo, s3
	s_cbranch_execnz .LBB78_29
; %bb.30:
	s_or_b32 exec_lo, exec_lo, s3
	v_mov_b32_e32 v7, 0
	ds_load_b128 v[7:10], v7 offset:64
	s_wait_dscnt 0x0
	v_mul_f64_e32 v[11:12], v[1:2], v[9:10]
	v_mul_f64_e32 v[46:47], v[3:4], v[9:10]
	s_delay_alu instid0(VALU_DEP_2) | instskip(NEXT) | instid1(VALU_DEP_2)
	v_fma_f64 v[9:10], v[3:4], v[7:8], -v[11:12]
	v_fma_f64 v[11:12], v[1:2], v[7:8], v[46:47]
	scratch_store_b128 off, v[9:12], off offset:64
.LBB78_31:
	s_wait_alu 0xfffe
	s_or_b32 exec_lo, exec_lo, s2
	s_wait_loadcnt 0x0
	s_wait_storecnt 0x0
	s_barrier_signal -1
	s_barrier_wait -1
	global_inv scope:SCOPE_SE
	scratch_load_b128 v[1:4], off, s17
	;; [unrolled: 58-line block ×11, first 2 shown]
	s_mov_b32 s2, exec_lo
	s_wait_loadcnt 0x0
	ds_store_b128 v5, v[1:4]
	s_wait_dscnt 0x0
	s_barrier_signal -1
	s_barrier_wait -1
	global_inv scope:SCOPE_SE
	v_cmpx_ne_u32_e32 14, v43
	s_cbranch_execz .LBB78_71
; %bb.68:
	v_mov_b32_e32 v1, 0
	v_dual_mov_b32 v2, 0 :: v_dual_mov_b32 v3, 0
	v_mov_b32_e32 v4, 0
	v_or_b32_e32 v7, 8, v45
	s_mov_b32 s3, 0
.LBB78_69:                              ; =>This Inner Loop Header: Depth=1
	scratch_load_b128 v[8:11], v7, off offset:-8
	ds_load_b128 v[44:47], v5
	v_add_nc_u32_e32 v6, 1, v6
	v_add_nc_u32_e32 v5, 16, v5
	;; [unrolled: 1-line block ×3, first 2 shown]
	s_delay_alu instid0(VALU_DEP_3)
	v_cmp_lt_u32_e32 vcc_lo, 12, v6
	s_wait_alu 0xfffe
	s_or_b32 s3, vcc_lo, s3
	s_wait_loadcnt_dscnt 0x0
	v_mul_f64_e32 v[48:49], v[46:47], v[10:11]
	v_mul_f64_e32 v[10:11], v[44:45], v[10:11]
	s_delay_alu instid0(VALU_DEP_2) | instskip(NEXT) | instid1(VALU_DEP_2)
	v_fma_f64 v[44:45], v[44:45], v[8:9], -v[48:49]
	v_fma_f64 v[8:9], v[46:47], v[8:9], v[10:11]
	s_delay_alu instid0(VALU_DEP_2) | instskip(NEXT) | instid1(VALU_DEP_2)
	v_add_f64_e32 v[3:4], v[3:4], v[44:45]
	v_add_f64_e32 v[1:2], v[1:2], v[8:9]
	s_wait_alu 0xfffe
	s_and_not1_b32 exec_lo, exec_lo, s3
	s_cbranch_execnz .LBB78_69
; %bb.70:
	s_or_b32 exec_lo, exec_lo, s3
	v_mov_b32_e32 v5, 0
	ds_load_b128 v[5:8], v5 offset:224
	s_wait_dscnt 0x0
	v_mul_f64_e32 v[9:10], v[1:2], v[7:8]
	v_mul_f64_e32 v[7:8], v[3:4], v[7:8]
	s_delay_alu instid0(VALU_DEP_2) | instskip(NEXT) | instid1(VALU_DEP_2)
	v_fma_f64 v[3:4], v[3:4], v[5:6], -v[9:10]
	v_fma_f64 v[5:6], v[1:2], v[5:6], v[7:8]
	scratch_store_b128 off, v[3:6], off offset:224
.LBB78_71:
	s_wait_alu 0xfffe
	s_or_b32 exec_lo, exec_lo, s2
	s_mov_b32 s3, -1
	s_wait_loadcnt 0x0
	s_wait_storecnt 0x0
	s_barrier_signal -1
	s_barrier_wait -1
	global_inv scope:SCOPE_SE
.LBB78_72:
	s_wait_alu 0xfffe
	s_and_b32 vcc_lo, exec_lo, s3
	s_wait_alu 0xfffe
	s_cbranch_vccz .LBB78_74
; %bb.73:
	v_mov_b32_e32 v1, 0
	s_lshl_b64 s[2:3], s[10:11], 2
	s_wait_alu 0xfffe
	s_add_nc_u64 s[2:3], s[6:7], s[2:3]
	global_load_b32 v1, v1, s[2:3]
	s_wait_loadcnt 0x0
	v_cmp_ne_u32_e32 vcc_lo, 0, v1
	s_cbranch_vccz .LBB78_75
.LBB78_74:
	s_nop 0
	s_sendmsg sendmsg(MSG_DEALLOC_VGPRS)
	s_endpgm
.LBB78_75:
	v_lshl_add_u32 v5, v43, 4, 0xf0
	s_mov_b32 s2, exec_lo
	v_cmpx_eq_u32_e32 14, v43
	s_cbranch_execz .LBB78_77
; %bb.76:
	scratch_load_b128 v[1:4], off, s21
	v_mov_b32_e32 v6, 0
	s_delay_alu instid0(VALU_DEP_1)
	v_dual_mov_b32 v7, v6 :: v_dual_mov_b32 v8, v6
	v_mov_b32_e32 v9, v6
	scratch_store_b128 off, v[6:9], off offset:208
	s_wait_loadcnt 0x0
	ds_store_b128 v5, v[1:4]
.LBB78_77:
	s_wait_alu 0xfffe
	s_or_b32 exec_lo, exec_lo, s2
	s_wait_storecnt_dscnt 0x0
	s_barrier_signal -1
	s_barrier_wait -1
	global_inv scope:SCOPE_SE
	s_clause 0x1
	scratch_load_b128 v[6:9], off, off offset:224
	scratch_load_b128 v[44:47], off, off offset:208
	v_mov_b32_e32 v1, 0
	s_mov_b32 s2, exec_lo
	ds_load_b128 v[48:51], v1 offset:464
	s_wait_loadcnt_dscnt 0x100
	v_mul_f64_e32 v[2:3], v[50:51], v[8:9]
	v_mul_f64_e32 v[8:9], v[48:49], v[8:9]
	s_delay_alu instid0(VALU_DEP_2) | instskip(NEXT) | instid1(VALU_DEP_2)
	v_fma_f64 v[2:3], v[48:49], v[6:7], -v[2:3]
	v_fma_f64 v[6:7], v[50:51], v[6:7], v[8:9]
	s_delay_alu instid0(VALU_DEP_2) | instskip(NEXT) | instid1(VALU_DEP_2)
	v_add_f64_e32 v[2:3], 0, v[2:3]
	v_add_f64_e32 v[8:9], 0, v[6:7]
	s_wait_loadcnt 0x0
	s_delay_alu instid0(VALU_DEP_2) | instskip(NEXT) | instid1(VALU_DEP_2)
	v_add_f64_e64 v[6:7], v[44:45], -v[2:3]
	v_add_f64_e64 v[8:9], v[46:47], -v[8:9]
	scratch_store_b128 off, v[6:9], off offset:208
	v_cmpx_lt_u32_e32 12, v43
	s_cbranch_execz .LBB78_79
; %bb.78:
	scratch_load_b128 v[6:9], off, s14
	v_dual_mov_b32 v2, v1 :: v_dual_mov_b32 v3, v1
	v_mov_b32_e32 v4, v1
	scratch_store_b128 off, v[1:4], off offset:192
	s_wait_loadcnt 0x0
	ds_store_b128 v5, v[6:9]
.LBB78_79:
	s_wait_alu 0xfffe
	s_or_b32 exec_lo, exec_lo, s2
	s_wait_storecnt_dscnt 0x0
	s_barrier_signal -1
	s_barrier_wait -1
	global_inv scope:SCOPE_SE
	s_clause 0x2
	scratch_load_b128 v[6:9], off, off offset:208
	scratch_load_b128 v[44:47], off, off offset:224
	;; [unrolled: 1-line block ×3, first 2 shown]
	ds_load_b128 v[52:55], v1 offset:448
	ds_load_b128 v[1:4], v1 offset:464
	s_mov_b32 s2, exec_lo
	s_wait_loadcnt_dscnt 0x201
	v_mul_f64_e32 v[10:11], v[54:55], v[8:9]
	v_mul_f64_e32 v[8:9], v[52:53], v[8:9]
	s_wait_loadcnt_dscnt 0x100
	v_mul_f64_e32 v[56:57], v[1:2], v[46:47]
	v_mul_f64_e32 v[46:47], v[3:4], v[46:47]
	s_delay_alu instid0(VALU_DEP_4) | instskip(NEXT) | instid1(VALU_DEP_4)
	v_fma_f64 v[10:11], v[52:53], v[6:7], -v[10:11]
	v_fma_f64 v[6:7], v[54:55], v[6:7], v[8:9]
	s_delay_alu instid0(VALU_DEP_4) | instskip(NEXT) | instid1(VALU_DEP_4)
	v_fma_f64 v[3:4], v[3:4], v[44:45], v[56:57]
	v_fma_f64 v[1:2], v[1:2], v[44:45], -v[46:47]
	s_delay_alu instid0(VALU_DEP_4) | instskip(NEXT) | instid1(VALU_DEP_4)
	v_add_f64_e32 v[8:9], 0, v[10:11]
	v_add_f64_e32 v[6:7], 0, v[6:7]
	s_delay_alu instid0(VALU_DEP_2) | instskip(NEXT) | instid1(VALU_DEP_2)
	v_add_f64_e32 v[1:2], v[8:9], v[1:2]
	v_add_f64_e32 v[3:4], v[6:7], v[3:4]
	s_wait_loadcnt 0x0
	s_delay_alu instid0(VALU_DEP_2) | instskip(NEXT) | instid1(VALU_DEP_2)
	v_add_f64_e64 v[1:2], v[48:49], -v[1:2]
	v_add_f64_e64 v[3:4], v[50:51], -v[3:4]
	scratch_store_b128 off, v[1:4], off offset:192
	v_cmpx_lt_u32_e32 11, v43
	s_cbranch_execz .LBB78_81
; %bb.80:
	scratch_load_b128 v[1:4], off, s20
	v_mov_b32_e32 v6, 0
	s_delay_alu instid0(VALU_DEP_1)
	v_dual_mov_b32 v7, v6 :: v_dual_mov_b32 v8, v6
	v_mov_b32_e32 v9, v6
	scratch_store_b128 off, v[6:9], off offset:176
	s_wait_loadcnt 0x0
	ds_store_b128 v5, v[1:4]
.LBB78_81:
	s_wait_alu 0xfffe
	s_or_b32 exec_lo, exec_lo, s2
	s_wait_storecnt_dscnt 0x0
	s_barrier_signal -1
	s_barrier_wait -1
	global_inv scope:SCOPE_SE
	s_clause 0x3
	scratch_load_b128 v[6:9], off, off offset:192
	scratch_load_b128 v[44:47], off, off offset:208
	;; [unrolled: 1-line block ×4, first 2 shown]
	v_mov_b32_e32 v1, 0
	ds_load_b128 v[56:59], v1 offset:432
	ds_load_b128 v[60:63], v1 offset:448
	s_mov_b32 s2, exec_lo
	s_wait_loadcnt_dscnt 0x301
	v_mul_f64_e32 v[2:3], v[58:59], v[8:9]
	v_mul_f64_e32 v[8:9], v[56:57], v[8:9]
	s_wait_loadcnt_dscnt 0x200
	v_mul_f64_e32 v[10:11], v[60:61], v[46:47]
	v_mul_f64_e32 v[46:47], v[62:63], v[46:47]
	s_delay_alu instid0(VALU_DEP_4) | instskip(NEXT) | instid1(VALU_DEP_4)
	v_fma_f64 v[2:3], v[56:57], v[6:7], -v[2:3]
	v_fma_f64 v[56:57], v[58:59], v[6:7], v[8:9]
	ds_load_b128 v[6:9], v1 offset:464
	v_fma_f64 v[10:11], v[62:63], v[44:45], v[10:11]
	v_fma_f64 v[44:45], v[60:61], v[44:45], -v[46:47]
	s_wait_loadcnt_dscnt 0x100
	v_mul_f64_e32 v[58:59], v[6:7], v[50:51]
	v_mul_f64_e32 v[50:51], v[8:9], v[50:51]
	v_add_f64_e32 v[2:3], 0, v[2:3]
	v_add_f64_e32 v[46:47], 0, v[56:57]
	s_delay_alu instid0(VALU_DEP_4) | instskip(NEXT) | instid1(VALU_DEP_4)
	v_fma_f64 v[8:9], v[8:9], v[48:49], v[58:59]
	v_fma_f64 v[6:7], v[6:7], v[48:49], -v[50:51]
	s_delay_alu instid0(VALU_DEP_4) | instskip(NEXT) | instid1(VALU_DEP_4)
	v_add_f64_e32 v[2:3], v[2:3], v[44:45]
	v_add_f64_e32 v[10:11], v[46:47], v[10:11]
	s_delay_alu instid0(VALU_DEP_2) | instskip(NEXT) | instid1(VALU_DEP_2)
	v_add_f64_e32 v[2:3], v[2:3], v[6:7]
	v_add_f64_e32 v[8:9], v[10:11], v[8:9]
	s_wait_loadcnt 0x0
	s_delay_alu instid0(VALU_DEP_2) | instskip(NEXT) | instid1(VALU_DEP_2)
	v_add_f64_e64 v[6:7], v[52:53], -v[2:3]
	v_add_f64_e64 v[8:9], v[54:55], -v[8:9]
	scratch_store_b128 off, v[6:9], off offset:176
	v_cmpx_lt_u32_e32 10, v43
	s_cbranch_execz .LBB78_83
; %bb.82:
	scratch_load_b128 v[6:9], off, s13
	v_dual_mov_b32 v2, v1 :: v_dual_mov_b32 v3, v1
	v_mov_b32_e32 v4, v1
	scratch_store_b128 off, v[1:4], off offset:160
	s_wait_loadcnt 0x0
	ds_store_b128 v5, v[6:9]
.LBB78_83:
	s_wait_alu 0xfffe
	s_or_b32 exec_lo, exec_lo, s2
	s_wait_storecnt_dscnt 0x0
	s_barrier_signal -1
	s_barrier_wait -1
	global_inv scope:SCOPE_SE
	s_clause 0x4
	scratch_load_b128 v[6:9], off, off offset:176
	scratch_load_b128 v[44:47], off, off offset:192
	;; [unrolled: 1-line block ×5, first 2 shown]
	ds_load_b128 v[60:63], v1 offset:416
	ds_load_b128 v[64:67], v1 offset:432
	s_mov_b32 s2, exec_lo
	s_wait_loadcnt_dscnt 0x401
	v_mul_f64_e32 v[2:3], v[62:63], v[8:9]
	v_mul_f64_e32 v[8:9], v[60:61], v[8:9]
	s_wait_loadcnt_dscnt 0x300
	v_mul_f64_e32 v[10:11], v[64:65], v[46:47]
	v_mul_f64_e32 v[46:47], v[66:67], v[46:47]
	s_delay_alu instid0(VALU_DEP_4) | instskip(NEXT) | instid1(VALU_DEP_4)
	v_fma_f64 v[60:61], v[60:61], v[6:7], -v[2:3]
	v_fma_f64 v[62:63], v[62:63], v[6:7], v[8:9]
	ds_load_b128 v[6:9], v1 offset:448
	ds_load_b128 v[1:4], v1 offset:464
	v_fma_f64 v[10:11], v[66:67], v[44:45], v[10:11]
	v_fma_f64 v[44:45], v[64:65], v[44:45], -v[46:47]
	s_wait_loadcnt_dscnt 0x201
	v_mul_f64_e32 v[68:69], v[6:7], v[50:51]
	v_mul_f64_e32 v[50:51], v[8:9], v[50:51]
	v_add_f64_e32 v[46:47], 0, v[60:61]
	v_add_f64_e32 v[60:61], 0, v[62:63]
	s_wait_loadcnt_dscnt 0x100
	v_mul_f64_e32 v[62:63], v[1:2], v[54:55]
	v_mul_f64_e32 v[54:55], v[3:4], v[54:55]
	v_fma_f64 v[8:9], v[8:9], v[48:49], v[68:69]
	v_fma_f64 v[6:7], v[6:7], v[48:49], -v[50:51]
	v_add_f64_e32 v[44:45], v[46:47], v[44:45]
	v_add_f64_e32 v[10:11], v[60:61], v[10:11]
	v_fma_f64 v[3:4], v[3:4], v[52:53], v[62:63]
	v_fma_f64 v[1:2], v[1:2], v[52:53], -v[54:55]
	s_delay_alu instid0(VALU_DEP_4) | instskip(NEXT) | instid1(VALU_DEP_4)
	v_add_f64_e32 v[6:7], v[44:45], v[6:7]
	v_add_f64_e32 v[8:9], v[10:11], v[8:9]
	s_delay_alu instid0(VALU_DEP_2) | instskip(NEXT) | instid1(VALU_DEP_2)
	v_add_f64_e32 v[1:2], v[6:7], v[1:2]
	v_add_f64_e32 v[3:4], v[8:9], v[3:4]
	s_wait_loadcnt 0x0
	s_delay_alu instid0(VALU_DEP_2) | instskip(NEXT) | instid1(VALU_DEP_2)
	v_add_f64_e64 v[1:2], v[56:57], -v[1:2]
	v_add_f64_e64 v[3:4], v[58:59], -v[3:4]
	scratch_store_b128 off, v[1:4], off offset:160
	v_cmpx_lt_u32_e32 9, v43
	s_cbranch_execz .LBB78_85
; %bb.84:
	scratch_load_b128 v[1:4], off, s19
	v_mov_b32_e32 v6, 0
	s_delay_alu instid0(VALU_DEP_1)
	v_dual_mov_b32 v7, v6 :: v_dual_mov_b32 v8, v6
	v_mov_b32_e32 v9, v6
	scratch_store_b128 off, v[6:9], off offset:144
	s_wait_loadcnt 0x0
	ds_store_b128 v5, v[1:4]
.LBB78_85:
	s_wait_alu 0xfffe
	s_or_b32 exec_lo, exec_lo, s2
	s_wait_storecnt_dscnt 0x0
	s_barrier_signal -1
	s_barrier_wait -1
	global_inv scope:SCOPE_SE
	s_clause 0x5
	scratch_load_b128 v[6:9], off, off offset:160
	scratch_load_b128 v[44:47], off, off offset:176
	scratch_load_b128 v[48:51], off, off offset:192
	scratch_load_b128 v[52:55], off, off offset:208
	scratch_load_b128 v[56:59], off, off offset:224
	scratch_load_b128 v[60:63], off, off offset:144
	v_mov_b32_e32 v1, 0
	ds_load_b128 v[64:67], v1 offset:400
	ds_load_b128 v[68:71], v1 offset:416
	s_mov_b32 s2, exec_lo
	s_wait_loadcnt_dscnt 0x501
	v_mul_f64_e32 v[2:3], v[66:67], v[8:9]
	v_mul_f64_e32 v[8:9], v[64:65], v[8:9]
	s_wait_loadcnt_dscnt 0x400
	v_mul_f64_e32 v[10:11], v[68:69], v[46:47]
	v_mul_f64_e32 v[46:47], v[70:71], v[46:47]
	s_delay_alu instid0(VALU_DEP_4) | instskip(NEXT) | instid1(VALU_DEP_4)
	v_fma_f64 v[2:3], v[64:65], v[6:7], -v[2:3]
	v_fma_f64 v[72:73], v[66:67], v[6:7], v[8:9]
	ds_load_b128 v[6:9], v1 offset:432
	ds_load_b128 v[64:67], v1 offset:448
	v_fma_f64 v[10:11], v[70:71], v[44:45], v[10:11]
	v_fma_f64 v[44:45], v[68:69], v[44:45], -v[46:47]
	s_wait_loadcnt_dscnt 0x301
	v_mul_f64_e32 v[74:75], v[6:7], v[50:51]
	v_mul_f64_e32 v[50:51], v[8:9], v[50:51]
	s_wait_loadcnt_dscnt 0x200
	v_mul_f64_e32 v[68:69], v[64:65], v[54:55]
	v_mul_f64_e32 v[54:55], v[66:67], v[54:55]
	v_add_f64_e32 v[2:3], 0, v[2:3]
	v_add_f64_e32 v[46:47], 0, v[72:73]
	v_fma_f64 v[70:71], v[8:9], v[48:49], v[74:75]
	v_fma_f64 v[48:49], v[6:7], v[48:49], -v[50:51]
	ds_load_b128 v[6:9], v1 offset:464
	v_fma_f64 v[50:51], v[66:67], v[52:53], v[68:69]
	v_fma_f64 v[52:53], v[64:65], v[52:53], -v[54:55]
	v_add_f64_e32 v[2:3], v[2:3], v[44:45]
	v_add_f64_e32 v[10:11], v[46:47], v[10:11]
	s_wait_loadcnt_dscnt 0x100
	v_mul_f64_e32 v[44:45], v[6:7], v[58:59]
	v_mul_f64_e32 v[46:47], v[8:9], v[58:59]
	s_delay_alu instid0(VALU_DEP_4) | instskip(NEXT) | instid1(VALU_DEP_4)
	v_add_f64_e32 v[2:3], v[2:3], v[48:49]
	v_add_f64_e32 v[10:11], v[10:11], v[70:71]
	s_delay_alu instid0(VALU_DEP_4) | instskip(NEXT) | instid1(VALU_DEP_4)
	v_fma_f64 v[8:9], v[8:9], v[56:57], v[44:45]
	v_fma_f64 v[6:7], v[6:7], v[56:57], -v[46:47]
	s_delay_alu instid0(VALU_DEP_4) | instskip(NEXT) | instid1(VALU_DEP_4)
	v_add_f64_e32 v[2:3], v[2:3], v[52:53]
	v_add_f64_e32 v[10:11], v[10:11], v[50:51]
	s_delay_alu instid0(VALU_DEP_2) | instskip(NEXT) | instid1(VALU_DEP_2)
	v_add_f64_e32 v[2:3], v[2:3], v[6:7]
	v_add_f64_e32 v[8:9], v[10:11], v[8:9]
	s_wait_loadcnt 0x0
	s_delay_alu instid0(VALU_DEP_2) | instskip(NEXT) | instid1(VALU_DEP_2)
	v_add_f64_e64 v[6:7], v[60:61], -v[2:3]
	v_add_f64_e64 v[8:9], v[62:63], -v[8:9]
	scratch_store_b128 off, v[6:9], off offset:144
	v_cmpx_lt_u32_e32 8, v43
	s_cbranch_execz .LBB78_87
; %bb.86:
	scratch_load_b128 v[6:9], off, s12
	v_dual_mov_b32 v2, v1 :: v_dual_mov_b32 v3, v1
	v_mov_b32_e32 v4, v1
	scratch_store_b128 off, v[1:4], off offset:128
	s_wait_loadcnt 0x0
	ds_store_b128 v5, v[6:9]
.LBB78_87:
	s_wait_alu 0xfffe
	s_or_b32 exec_lo, exec_lo, s2
	s_wait_storecnt_dscnt 0x0
	s_barrier_signal -1
	s_barrier_wait -1
	global_inv scope:SCOPE_SE
	s_clause 0x5
	scratch_load_b128 v[6:9], off, off offset:144
	scratch_load_b128 v[44:47], off, off offset:160
	;; [unrolled: 1-line block ×6, first 2 shown]
	ds_load_b128 v[64:67], v1 offset:384
	ds_load_b128 v[72:75], v1 offset:400
	scratch_load_b128 v[68:71], off, off offset:128
	s_mov_b32 s2, exec_lo
	s_wait_loadcnt_dscnt 0x601
	v_mul_f64_e32 v[2:3], v[66:67], v[8:9]
	v_mul_f64_e32 v[8:9], v[64:65], v[8:9]
	s_wait_loadcnt_dscnt 0x500
	v_mul_f64_e32 v[10:11], v[72:73], v[46:47]
	v_mul_f64_e32 v[46:47], v[74:75], v[46:47]
	s_delay_alu instid0(VALU_DEP_4) | instskip(NEXT) | instid1(VALU_DEP_4)
	v_fma_f64 v[2:3], v[64:65], v[6:7], -v[2:3]
	v_fma_f64 v[76:77], v[66:67], v[6:7], v[8:9]
	ds_load_b128 v[6:9], v1 offset:416
	ds_load_b128 v[64:67], v1 offset:432
	v_fma_f64 v[10:11], v[74:75], v[44:45], v[10:11]
	v_fma_f64 v[44:45], v[72:73], v[44:45], -v[46:47]
	s_wait_loadcnt_dscnt 0x401
	v_mul_f64_e32 v[78:79], v[6:7], v[50:51]
	v_mul_f64_e32 v[50:51], v[8:9], v[50:51]
	s_wait_loadcnt_dscnt 0x300
	v_mul_f64_e32 v[72:73], v[64:65], v[54:55]
	v_mul_f64_e32 v[54:55], v[66:67], v[54:55]
	v_add_f64_e32 v[2:3], 0, v[2:3]
	v_add_f64_e32 v[46:47], 0, v[76:77]
	v_fma_f64 v[74:75], v[8:9], v[48:49], v[78:79]
	v_fma_f64 v[48:49], v[6:7], v[48:49], -v[50:51]
	s_delay_alu instid0(VALU_DEP_4) | instskip(NEXT) | instid1(VALU_DEP_4)
	v_add_f64_e32 v[44:45], v[2:3], v[44:45]
	v_add_f64_e32 v[10:11], v[46:47], v[10:11]
	ds_load_b128 v[6:9], v1 offset:448
	ds_load_b128 v[1:4], v1 offset:464
	s_wait_loadcnt_dscnt 0x201
	v_mul_f64_e32 v[46:47], v[6:7], v[58:59]
	v_mul_f64_e32 v[50:51], v[8:9], v[58:59]
	v_fma_f64 v[58:59], v[66:67], v[52:53], v[72:73]
	v_fma_f64 v[52:53], v[64:65], v[52:53], -v[54:55]
	s_wait_loadcnt_dscnt 0x100
	v_mul_f64_e32 v[54:55], v[3:4], v[62:63]
	v_add_f64_e32 v[44:45], v[44:45], v[48:49]
	v_add_f64_e32 v[10:11], v[10:11], v[74:75]
	v_mul_f64_e32 v[48:49], v[1:2], v[62:63]
	v_fma_f64 v[8:9], v[8:9], v[56:57], v[46:47]
	v_fma_f64 v[6:7], v[6:7], v[56:57], -v[50:51]
	v_fma_f64 v[1:2], v[1:2], v[60:61], -v[54:55]
	v_add_f64_e32 v[44:45], v[44:45], v[52:53]
	v_add_f64_e32 v[10:11], v[10:11], v[58:59]
	v_fma_f64 v[3:4], v[3:4], v[60:61], v[48:49]
	s_delay_alu instid0(VALU_DEP_3) | instskip(NEXT) | instid1(VALU_DEP_3)
	v_add_f64_e32 v[6:7], v[44:45], v[6:7]
	v_add_f64_e32 v[8:9], v[10:11], v[8:9]
	s_delay_alu instid0(VALU_DEP_2) | instskip(NEXT) | instid1(VALU_DEP_2)
	v_add_f64_e32 v[1:2], v[6:7], v[1:2]
	v_add_f64_e32 v[3:4], v[8:9], v[3:4]
	s_wait_loadcnt 0x0
	s_delay_alu instid0(VALU_DEP_2) | instskip(NEXT) | instid1(VALU_DEP_2)
	v_add_f64_e64 v[1:2], v[68:69], -v[1:2]
	v_add_f64_e64 v[3:4], v[70:71], -v[3:4]
	scratch_store_b128 off, v[1:4], off offset:128
	v_cmpx_lt_u32_e32 7, v43
	s_cbranch_execz .LBB78_89
; %bb.88:
	scratch_load_b128 v[1:4], off, s18
	v_mov_b32_e32 v6, 0
	s_delay_alu instid0(VALU_DEP_1)
	v_dual_mov_b32 v7, v6 :: v_dual_mov_b32 v8, v6
	v_mov_b32_e32 v9, v6
	scratch_store_b128 off, v[6:9], off offset:112
	s_wait_loadcnt 0x0
	ds_store_b128 v5, v[1:4]
.LBB78_89:
	s_wait_alu 0xfffe
	s_or_b32 exec_lo, exec_lo, s2
	s_wait_storecnt_dscnt 0x0
	s_barrier_signal -1
	s_barrier_wait -1
	global_inv scope:SCOPE_SE
	s_clause 0x6
	scratch_load_b128 v[6:9], off, off offset:128
	scratch_load_b128 v[44:47], off, off offset:144
	;; [unrolled: 1-line block ×7, first 2 shown]
	v_mov_b32_e32 v1, 0
	scratch_load_b128 v[72:75], off, off offset:112
	s_mov_b32 s2, exec_lo
	ds_load_b128 v[68:71], v1 offset:368
	ds_load_b128 v[76:79], v1 offset:384
	s_wait_loadcnt_dscnt 0x701
	v_mul_f64_e32 v[2:3], v[70:71], v[8:9]
	v_mul_f64_e32 v[8:9], v[68:69], v[8:9]
	s_wait_loadcnt_dscnt 0x600
	v_mul_f64_e32 v[10:11], v[76:77], v[46:47]
	v_mul_f64_e32 v[46:47], v[78:79], v[46:47]
	s_delay_alu instid0(VALU_DEP_4) | instskip(NEXT) | instid1(VALU_DEP_4)
	v_fma_f64 v[2:3], v[68:69], v[6:7], -v[2:3]
	v_fma_f64 v[80:81], v[70:71], v[6:7], v[8:9]
	ds_load_b128 v[6:9], v1 offset:400
	ds_load_b128 v[68:71], v1 offset:416
	v_fma_f64 v[10:11], v[78:79], v[44:45], v[10:11]
	v_fma_f64 v[44:45], v[76:77], v[44:45], -v[46:47]
	s_wait_loadcnt_dscnt 0x501
	v_mul_f64_e32 v[82:83], v[6:7], v[50:51]
	v_mul_f64_e32 v[50:51], v[8:9], v[50:51]
	s_wait_loadcnt_dscnt 0x400
	v_mul_f64_e32 v[76:77], v[68:69], v[54:55]
	v_mul_f64_e32 v[54:55], v[70:71], v[54:55]
	v_add_f64_e32 v[2:3], 0, v[2:3]
	v_add_f64_e32 v[46:47], 0, v[80:81]
	v_fma_f64 v[78:79], v[8:9], v[48:49], v[82:83]
	v_fma_f64 v[48:49], v[6:7], v[48:49], -v[50:51]
	v_fma_f64 v[70:71], v[70:71], v[52:53], v[76:77]
	v_fma_f64 v[52:53], v[68:69], v[52:53], -v[54:55]
	v_add_f64_e32 v[2:3], v[2:3], v[44:45]
	v_add_f64_e32 v[10:11], v[46:47], v[10:11]
	ds_load_b128 v[6:9], v1 offset:432
	ds_load_b128 v[44:47], v1 offset:448
	s_wait_loadcnt_dscnt 0x301
	v_mul_f64_e32 v[50:51], v[6:7], v[58:59]
	v_mul_f64_e32 v[58:59], v[8:9], v[58:59]
	s_wait_loadcnt_dscnt 0x200
	v_mul_f64_e32 v[54:55], v[46:47], v[62:63]
	v_add_f64_e32 v[2:3], v[2:3], v[48:49]
	v_add_f64_e32 v[10:11], v[10:11], v[78:79]
	v_mul_f64_e32 v[48:49], v[44:45], v[62:63]
	v_fma_f64 v[50:51], v[8:9], v[56:57], v[50:51]
	v_fma_f64 v[56:57], v[6:7], v[56:57], -v[58:59]
	ds_load_b128 v[6:9], v1 offset:464
	v_fma_f64 v[44:45], v[44:45], v[60:61], -v[54:55]
	v_add_f64_e32 v[2:3], v[2:3], v[52:53]
	v_add_f64_e32 v[10:11], v[10:11], v[70:71]
	v_fma_f64 v[46:47], v[46:47], v[60:61], v[48:49]
	s_wait_loadcnt_dscnt 0x100
	v_mul_f64_e32 v[52:53], v[6:7], v[66:67]
	v_mul_f64_e32 v[58:59], v[8:9], v[66:67]
	v_add_f64_e32 v[2:3], v[2:3], v[56:57]
	v_add_f64_e32 v[10:11], v[10:11], v[50:51]
	s_delay_alu instid0(VALU_DEP_4) | instskip(NEXT) | instid1(VALU_DEP_4)
	v_fma_f64 v[8:9], v[8:9], v[64:65], v[52:53]
	v_fma_f64 v[6:7], v[6:7], v[64:65], -v[58:59]
	s_delay_alu instid0(VALU_DEP_4) | instskip(NEXT) | instid1(VALU_DEP_4)
	v_add_f64_e32 v[2:3], v[2:3], v[44:45]
	v_add_f64_e32 v[10:11], v[10:11], v[46:47]
	s_delay_alu instid0(VALU_DEP_2) | instskip(NEXT) | instid1(VALU_DEP_2)
	v_add_f64_e32 v[2:3], v[2:3], v[6:7]
	v_add_f64_e32 v[8:9], v[10:11], v[8:9]
	s_wait_loadcnt 0x0
	s_delay_alu instid0(VALU_DEP_2) | instskip(NEXT) | instid1(VALU_DEP_2)
	v_add_f64_e64 v[6:7], v[72:73], -v[2:3]
	v_add_f64_e64 v[8:9], v[74:75], -v[8:9]
	scratch_store_b128 off, v[6:9], off offset:112
	v_cmpx_lt_u32_e32 6, v43
	s_cbranch_execz .LBB78_91
; %bb.90:
	scratch_load_b128 v[6:9], off, s5
	v_dual_mov_b32 v2, v1 :: v_dual_mov_b32 v3, v1
	v_mov_b32_e32 v4, v1
	scratch_store_b128 off, v[1:4], off offset:96
	s_wait_loadcnt 0x0
	ds_store_b128 v5, v[6:9]
.LBB78_91:
	s_wait_alu 0xfffe
	s_or_b32 exec_lo, exec_lo, s2
	s_wait_storecnt_dscnt 0x0
	s_barrier_signal -1
	s_barrier_wait -1
	global_inv scope:SCOPE_SE
	s_clause 0x7
	scratch_load_b128 v[6:9], off, off offset:112
	scratch_load_b128 v[44:47], off, off offset:128
	;; [unrolled: 1-line block ×8, first 2 shown]
	ds_load_b128 v[72:75], v1 offset:352
	ds_load_b128 v[76:79], v1 offset:368
	scratch_load_b128 v[80:83], off, off offset:96
	s_mov_b32 s2, exec_lo
	s_wait_loadcnt_dscnt 0x801
	v_mul_f64_e32 v[2:3], v[74:75], v[8:9]
	v_mul_f64_e32 v[8:9], v[72:73], v[8:9]
	s_wait_loadcnt_dscnt 0x700
	v_mul_f64_e32 v[10:11], v[76:77], v[46:47]
	v_mul_f64_e32 v[46:47], v[78:79], v[46:47]
	s_delay_alu instid0(VALU_DEP_4) | instskip(NEXT) | instid1(VALU_DEP_4)
	v_fma_f64 v[2:3], v[72:73], v[6:7], -v[2:3]
	v_fma_f64 v[84:85], v[74:75], v[6:7], v[8:9]
	ds_load_b128 v[6:9], v1 offset:384
	ds_load_b128 v[72:75], v1 offset:400
	v_fma_f64 v[10:11], v[78:79], v[44:45], v[10:11]
	v_fma_f64 v[44:45], v[76:77], v[44:45], -v[46:47]
	s_wait_loadcnt_dscnt 0x601
	v_mul_f64_e32 v[86:87], v[6:7], v[50:51]
	v_mul_f64_e32 v[50:51], v[8:9], v[50:51]
	s_wait_loadcnt_dscnt 0x500
	v_mul_f64_e32 v[76:77], v[72:73], v[54:55]
	v_mul_f64_e32 v[54:55], v[74:75], v[54:55]
	v_add_f64_e32 v[2:3], 0, v[2:3]
	v_add_f64_e32 v[46:47], 0, v[84:85]
	v_fma_f64 v[78:79], v[8:9], v[48:49], v[86:87]
	v_fma_f64 v[48:49], v[6:7], v[48:49], -v[50:51]
	v_fma_f64 v[74:75], v[74:75], v[52:53], v[76:77]
	v_fma_f64 v[52:53], v[72:73], v[52:53], -v[54:55]
	v_add_f64_e32 v[2:3], v[2:3], v[44:45]
	v_add_f64_e32 v[10:11], v[46:47], v[10:11]
	ds_load_b128 v[6:9], v1 offset:416
	ds_load_b128 v[44:47], v1 offset:432
	s_wait_loadcnt_dscnt 0x401
	v_mul_f64_e32 v[50:51], v[6:7], v[58:59]
	v_mul_f64_e32 v[58:59], v[8:9], v[58:59]
	s_wait_loadcnt_dscnt 0x300
	v_mul_f64_e32 v[54:55], v[46:47], v[62:63]
	v_add_f64_e32 v[2:3], v[2:3], v[48:49]
	v_add_f64_e32 v[10:11], v[10:11], v[78:79]
	v_mul_f64_e32 v[48:49], v[44:45], v[62:63]
	v_fma_f64 v[50:51], v[8:9], v[56:57], v[50:51]
	v_fma_f64 v[56:57], v[6:7], v[56:57], -v[58:59]
	v_fma_f64 v[44:45], v[44:45], v[60:61], -v[54:55]
	v_add_f64_e32 v[52:53], v[2:3], v[52:53]
	v_add_f64_e32 v[10:11], v[10:11], v[74:75]
	ds_load_b128 v[6:9], v1 offset:448
	ds_load_b128 v[1:4], v1 offset:464
	v_fma_f64 v[46:47], v[46:47], v[60:61], v[48:49]
	s_wait_loadcnt_dscnt 0x201
	v_mul_f64_e32 v[58:59], v[6:7], v[66:67]
	v_mul_f64_e32 v[62:63], v[8:9], v[66:67]
	v_add_f64_e32 v[48:49], v[52:53], v[56:57]
	v_add_f64_e32 v[10:11], v[10:11], v[50:51]
	s_wait_loadcnt_dscnt 0x100
	v_mul_f64_e32 v[50:51], v[1:2], v[70:71]
	v_mul_f64_e32 v[52:53], v[3:4], v[70:71]
	v_fma_f64 v[8:9], v[8:9], v[64:65], v[58:59]
	v_fma_f64 v[6:7], v[6:7], v[64:65], -v[62:63]
	v_add_f64_e32 v[44:45], v[48:49], v[44:45]
	v_add_f64_e32 v[10:11], v[10:11], v[46:47]
	v_fma_f64 v[3:4], v[3:4], v[68:69], v[50:51]
	v_fma_f64 v[1:2], v[1:2], v[68:69], -v[52:53]
	s_delay_alu instid0(VALU_DEP_4) | instskip(NEXT) | instid1(VALU_DEP_4)
	v_add_f64_e32 v[6:7], v[44:45], v[6:7]
	v_add_f64_e32 v[8:9], v[10:11], v[8:9]
	s_delay_alu instid0(VALU_DEP_2) | instskip(NEXT) | instid1(VALU_DEP_2)
	v_add_f64_e32 v[1:2], v[6:7], v[1:2]
	v_add_f64_e32 v[3:4], v[8:9], v[3:4]
	s_wait_loadcnt 0x0
	s_delay_alu instid0(VALU_DEP_2) | instskip(NEXT) | instid1(VALU_DEP_2)
	v_add_f64_e64 v[1:2], v[80:81], -v[1:2]
	v_add_f64_e64 v[3:4], v[82:83], -v[3:4]
	scratch_store_b128 off, v[1:4], off offset:96
	v_cmpx_lt_u32_e32 5, v43
	s_cbranch_execz .LBB78_93
; %bb.92:
	scratch_load_b128 v[1:4], off, s17
	v_mov_b32_e32 v6, 0
	s_delay_alu instid0(VALU_DEP_1)
	v_dual_mov_b32 v7, v6 :: v_dual_mov_b32 v8, v6
	v_mov_b32_e32 v9, v6
	scratch_store_b128 off, v[6:9], off offset:80
	s_wait_loadcnt 0x0
	ds_store_b128 v5, v[1:4]
.LBB78_93:
	s_wait_alu 0xfffe
	s_or_b32 exec_lo, exec_lo, s2
	s_wait_storecnt_dscnt 0x0
	s_barrier_signal -1
	s_barrier_wait -1
	global_inv scope:SCOPE_SE
	s_clause 0x7
	scratch_load_b128 v[6:9], off, off offset:96
	scratch_load_b128 v[44:47], off, off offset:112
	;; [unrolled: 1-line block ×8, first 2 shown]
	v_mov_b32_e32 v1, 0
	s_mov_b32 s2, exec_lo
	ds_load_b128 v[72:75], v1 offset:336
	s_clause 0x1
	scratch_load_b128 v[76:79], off, off offset:224
	scratch_load_b128 v[80:83], off, off offset:80
	ds_load_b128 v[84:87], v1 offset:352
	s_wait_loadcnt_dscnt 0x901
	v_mul_f64_e32 v[2:3], v[74:75], v[8:9]
	v_mul_f64_e32 v[8:9], v[72:73], v[8:9]
	s_wait_loadcnt_dscnt 0x800
	v_mul_f64_e32 v[10:11], v[84:85], v[46:47]
	v_mul_f64_e32 v[46:47], v[86:87], v[46:47]
	s_delay_alu instid0(VALU_DEP_4) | instskip(NEXT) | instid1(VALU_DEP_4)
	v_fma_f64 v[2:3], v[72:73], v[6:7], -v[2:3]
	v_fma_f64 v[88:89], v[74:75], v[6:7], v[8:9]
	ds_load_b128 v[6:9], v1 offset:368
	ds_load_b128 v[72:75], v1 offset:384
	v_fma_f64 v[10:11], v[86:87], v[44:45], v[10:11]
	v_fma_f64 v[44:45], v[84:85], v[44:45], -v[46:47]
	s_wait_loadcnt_dscnt 0x701
	v_mul_f64_e32 v[90:91], v[6:7], v[50:51]
	v_mul_f64_e32 v[50:51], v[8:9], v[50:51]
	s_wait_loadcnt_dscnt 0x600
	v_mul_f64_e32 v[84:85], v[72:73], v[54:55]
	v_mul_f64_e32 v[54:55], v[74:75], v[54:55]
	v_add_f64_e32 v[2:3], 0, v[2:3]
	v_add_f64_e32 v[46:47], 0, v[88:89]
	v_fma_f64 v[86:87], v[8:9], v[48:49], v[90:91]
	v_fma_f64 v[48:49], v[6:7], v[48:49], -v[50:51]
	v_fma_f64 v[74:75], v[74:75], v[52:53], v[84:85]
	v_fma_f64 v[52:53], v[72:73], v[52:53], -v[54:55]
	v_add_f64_e32 v[2:3], v[2:3], v[44:45]
	v_add_f64_e32 v[10:11], v[46:47], v[10:11]
	ds_load_b128 v[6:9], v1 offset:400
	ds_load_b128 v[44:47], v1 offset:416
	s_wait_loadcnt_dscnt 0x501
	v_mul_f64_e32 v[50:51], v[6:7], v[58:59]
	v_mul_f64_e32 v[58:59], v[8:9], v[58:59]
	s_wait_loadcnt_dscnt 0x400
	v_mul_f64_e32 v[54:55], v[44:45], v[62:63]
	v_mul_f64_e32 v[62:63], v[46:47], v[62:63]
	v_add_f64_e32 v[2:3], v[2:3], v[48:49]
	v_add_f64_e32 v[10:11], v[10:11], v[86:87]
	v_fma_f64 v[72:73], v[8:9], v[56:57], v[50:51]
	v_fma_f64 v[56:57], v[6:7], v[56:57], -v[58:59]
	ds_load_b128 v[6:9], v1 offset:432
	ds_load_b128 v[48:51], v1 offset:448
	v_fma_f64 v[46:47], v[46:47], v[60:61], v[54:55]
	v_fma_f64 v[44:45], v[44:45], v[60:61], -v[62:63]
	v_add_f64_e32 v[2:3], v[2:3], v[52:53]
	v_add_f64_e32 v[10:11], v[10:11], v[74:75]
	s_wait_loadcnt_dscnt 0x301
	v_mul_f64_e32 v[52:53], v[6:7], v[66:67]
	v_mul_f64_e32 v[58:59], v[8:9], v[66:67]
	s_wait_loadcnt_dscnt 0x200
	v_mul_f64_e32 v[54:55], v[48:49], v[70:71]
	v_add_f64_e32 v[2:3], v[2:3], v[56:57]
	v_add_f64_e32 v[10:11], v[10:11], v[72:73]
	v_mul_f64_e32 v[56:57], v[50:51], v[70:71]
	v_fma_f64 v[52:53], v[8:9], v[64:65], v[52:53]
	v_fma_f64 v[58:59], v[6:7], v[64:65], -v[58:59]
	ds_load_b128 v[6:9], v1 offset:464
	v_fma_f64 v[50:51], v[50:51], v[68:69], v[54:55]
	v_add_f64_e32 v[2:3], v[2:3], v[44:45]
	v_add_f64_e32 v[10:11], v[10:11], v[46:47]
	s_wait_loadcnt_dscnt 0x100
	v_mul_f64_e32 v[44:45], v[6:7], v[78:79]
	v_mul_f64_e32 v[46:47], v[8:9], v[78:79]
	v_fma_f64 v[48:49], v[48:49], v[68:69], -v[56:57]
	v_add_f64_e32 v[2:3], v[2:3], v[58:59]
	v_add_f64_e32 v[10:11], v[10:11], v[52:53]
	v_fma_f64 v[8:9], v[8:9], v[76:77], v[44:45]
	v_fma_f64 v[6:7], v[6:7], v[76:77], -v[46:47]
	s_delay_alu instid0(VALU_DEP_4) | instskip(NEXT) | instid1(VALU_DEP_4)
	v_add_f64_e32 v[2:3], v[2:3], v[48:49]
	v_add_f64_e32 v[10:11], v[10:11], v[50:51]
	s_delay_alu instid0(VALU_DEP_2) | instskip(NEXT) | instid1(VALU_DEP_2)
	v_add_f64_e32 v[2:3], v[2:3], v[6:7]
	v_add_f64_e32 v[8:9], v[10:11], v[8:9]
	s_wait_loadcnt 0x0
	s_delay_alu instid0(VALU_DEP_2) | instskip(NEXT) | instid1(VALU_DEP_2)
	v_add_f64_e64 v[6:7], v[80:81], -v[2:3]
	v_add_f64_e64 v[8:9], v[82:83], -v[8:9]
	scratch_store_b128 off, v[6:9], off offset:80
	v_cmpx_lt_u32_e32 4, v43
	s_cbranch_execz .LBB78_95
; %bb.94:
	scratch_load_b128 v[6:9], off, s4
	v_dual_mov_b32 v2, v1 :: v_dual_mov_b32 v3, v1
	v_mov_b32_e32 v4, v1
	scratch_store_b128 off, v[1:4], off offset:64
	s_wait_loadcnt 0x0
	ds_store_b128 v5, v[6:9]
.LBB78_95:
	s_wait_alu 0xfffe
	s_or_b32 exec_lo, exec_lo, s2
	s_wait_storecnt_dscnt 0x0
	s_barrier_signal -1
	s_barrier_wait -1
	global_inv scope:SCOPE_SE
	s_clause 0x8
	scratch_load_b128 v[6:9], off, off offset:80
	scratch_load_b128 v[44:47], off, off offset:96
	;; [unrolled: 1-line block ×9, first 2 shown]
	ds_load_b128 v[76:79], v1 offset:320
	ds_load_b128 v[80:83], v1 offset:336
	scratch_load_b128 v[84:87], off, off offset:64
	s_mov_b32 s2, exec_lo
	s_wait_loadcnt_dscnt 0x901
	v_mul_f64_e32 v[2:3], v[78:79], v[8:9]
	v_mul_f64_e32 v[88:89], v[76:77], v[8:9]
	scratch_load_b128 v[8:11], off, off offset:224
	s_wait_loadcnt_dscnt 0x900
	v_mul_f64_e32 v[92:93], v[80:81], v[46:47]
	v_mul_f64_e32 v[46:47], v[82:83], v[46:47]
	v_fma_f64 v[2:3], v[76:77], v[6:7], -v[2:3]
	v_fma_f64 v[6:7], v[78:79], v[6:7], v[88:89]
	ds_load_b128 v[76:79], v1 offset:352
	ds_load_b128 v[88:91], v1 offset:368
	v_fma_f64 v[82:83], v[82:83], v[44:45], v[92:93]
	v_fma_f64 v[44:45], v[80:81], v[44:45], -v[46:47]
	s_wait_loadcnt_dscnt 0x801
	v_mul_f64_e32 v[94:95], v[76:77], v[50:51]
	v_mul_f64_e32 v[50:51], v[78:79], v[50:51]
	s_wait_loadcnt_dscnt 0x700
	v_mul_f64_e32 v[80:81], v[88:89], v[54:55]
	v_mul_f64_e32 v[54:55], v[90:91], v[54:55]
	v_add_f64_e32 v[2:3], 0, v[2:3]
	v_add_f64_e32 v[6:7], 0, v[6:7]
	v_fma_f64 v[78:79], v[78:79], v[48:49], v[94:95]
	v_fma_f64 v[76:77], v[76:77], v[48:49], -v[50:51]
	v_fma_f64 v[80:81], v[90:91], v[52:53], v[80:81]
	v_fma_f64 v[52:53], v[88:89], v[52:53], -v[54:55]
	v_add_f64_e32 v[2:3], v[2:3], v[44:45]
	v_add_f64_e32 v[6:7], v[6:7], v[82:83]
	ds_load_b128 v[44:47], v1 offset:384
	ds_load_b128 v[48:51], v1 offset:400
	s_wait_loadcnt_dscnt 0x601
	v_mul_f64_e32 v[82:83], v[44:45], v[58:59]
	v_mul_f64_e32 v[58:59], v[46:47], v[58:59]
	v_add_f64_e32 v[2:3], v[2:3], v[76:77]
	v_add_f64_e32 v[6:7], v[6:7], v[78:79]
	s_wait_loadcnt_dscnt 0x500
	v_mul_f64_e32 v[76:77], v[48:49], v[62:63]
	v_mul_f64_e32 v[62:63], v[50:51], v[62:63]
	v_fma_f64 v[78:79], v[46:47], v[56:57], v[82:83]
	v_fma_f64 v[56:57], v[44:45], v[56:57], -v[58:59]
	v_add_f64_e32 v[2:3], v[2:3], v[52:53]
	v_add_f64_e32 v[6:7], v[6:7], v[80:81]
	ds_load_b128 v[44:47], v1 offset:416
	ds_load_b128 v[52:55], v1 offset:432
	v_fma_f64 v[50:51], v[50:51], v[60:61], v[76:77]
	v_fma_f64 v[48:49], v[48:49], v[60:61], -v[62:63]
	s_wait_loadcnt_dscnt 0x401
	v_mul_f64_e32 v[58:59], v[44:45], v[66:67]
	v_mul_f64_e32 v[66:67], v[46:47], v[66:67]
	s_wait_loadcnt_dscnt 0x300
	v_mul_f64_e32 v[60:61], v[54:55], v[70:71]
	v_add_f64_e32 v[2:3], v[2:3], v[56:57]
	v_add_f64_e32 v[6:7], v[6:7], v[78:79]
	v_mul_f64_e32 v[56:57], v[52:53], v[70:71]
	v_fma_f64 v[58:59], v[46:47], v[64:65], v[58:59]
	v_fma_f64 v[62:63], v[44:45], v[64:65], -v[66:67]
	v_fma_f64 v[52:53], v[52:53], v[68:69], -v[60:61]
	v_add_f64_e32 v[48:49], v[2:3], v[48:49]
	v_add_f64_e32 v[6:7], v[6:7], v[50:51]
	ds_load_b128 v[44:47], v1 offset:448
	ds_load_b128 v[1:4], v1 offset:464
	v_fma_f64 v[54:55], v[54:55], v[68:69], v[56:57]
	s_wait_loadcnt_dscnt 0x201
	v_mul_f64_e32 v[50:51], v[44:45], v[74:75]
	v_mul_f64_e32 v[64:65], v[46:47], v[74:75]
	v_add_f64_e32 v[48:49], v[48:49], v[62:63]
	v_add_f64_e32 v[6:7], v[6:7], v[58:59]
	s_wait_loadcnt_dscnt 0x0
	v_mul_f64_e32 v[56:57], v[1:2], v[10:11]
	v_mul_f64_e32 v[10:11], v[3:4], v[10:11]
	v_fma_f64 v[46:47], v[46:47], v[72:73], v[50:51]
	v_fma_f64 v[44:45], v[44:45], v[72:73], -v[64:65]
	v_add_f64_e32 v[48:49], v[48:49], v[52:53]
	v_add_f64_e32 v[6:7], v[6:7], v[54:55]
	v_fma_f64 v[3:4], v[3:4], v[8:9], v[56:57]
	v_fma_f64 v[1:2], v[1:2], v[8:9], -v[10:11]
	s_delay_alu instid0(VALU_DEP_4) | instskip(NEXT) | instid1(VALU_DEP_4)
	v_add_f64_e32 v[8:9], v[48:49], v[44:45]
	v_add_f64_e32 v[6:7], v[6:7], v[46:47]
	s_delay_alu instid0(VALU_DEP_2) | instskip(NEXT) | instid1(VALU_DEP_2)
	v_add_f64_e32 v[1:2], v[8:9], v[1:2]
	v_add_f64_e32 v[3:4], v[6:7], v[3:4]
	s_delay_alu instid0(VALU_DEP_2) | instskip(NEXT) | instid1(VALU_DEP_2)
	v_add_f64_e64 v[1:2], v[84:85], -v[1:2]
	v_add_f64_e64 v[3:4], v[86:87], -v[3:4]
	scratch_store_b128 off, v[1:4], off offset:64
	v_cmpx_lt_u32_e32 3, v43
	s_cbranch_execz .LBB78_97
; %bb.96:
	scratch_load_b128 v[1:4], off, s16
	v_mov_b32_e32 v6, 0
	s_delay_alu instid0(VALU_DEP_1)
	v_dual_mov_b32 v7, v6 :: v_dual_mov_b32 v8, v6
	v_mov_b32_e32 v9, v6
	scratch_store_b128 off, v[6:9], off offset:48
	s_wait_loadcnt 0x0
	ds_store_b128 v5, v[1:4]
.LBB78_97:
	s_wait_alu 0xfffe
	s_or_b32 exec_lo, exec_lo, s2
	s_wait_storecnt_dscnt 0x0
	s_barrier_signal -1
	s_barrier_wait -1
	global_inv scope:SCOPE_SE
	s_clause 0x7
	scratch_load_b128 v[6:9], off, off offset:64
	scratch_load_b128 v[44:47], off, off offset:80
	;; [unrolled: 1-line block ×8, first 2 shown]
	v_mov_b32_e32 v1, 0
	s_mov_b32 s2, exec_lo
	ds_load_b128 v[72:75], v1 offset:304
	s_clause 0x1
	scratch_load_b128 v[76:79], off, off offset:192
	scratch_load_b128 v[80:83], off, off offset:48
	ds_load_b128 v[84:87], v1 offset:320
	ds_load_b128 v[92:95], v1 offset:352
	s_wait_loadcnt_dscnt 0x902
	v_mul_f64_e32 v[2:3], v[74:75], v[8:9]
	v_mul_f64_e32 v[88:89], v[72:73], v[8:9]
	scratch_load_b128 v[8:11], off, off offset:208
	v_fma_f64 v[2:3], v[72:73], v[6:7], -v[2:3]
	v_fma_f64 v[6:7], v[74:75], v[6:7], v[88:89]
	ds_load_b128 v[72:75], v1 offset:336
	s_wait_loadcnt_dscnt 0x902
	v_mul_f64_e32 v[96:97], v[84:85], v[46:47]
	v_mul_f64_e32 v[46:47], v[86:87], v[46:47]
	scratch_load_b128 v[88:91], off, off offset:224
	s_wait_loadcnt_dscnt 0x900
	v_mul_f64_e32 v[98:99], v[72:73], v[50:51]
	v_mul_f64_e32 v[50:51], v[74:75], v[50:51]
	v_add_f64_e32 v[2:3], 0, v[2:3]
	v_add_f64_e32 v[6:7], 0, v[6:7]
	v_fma_f64 v[86:87], v[86:87], v[44:45], v[96:97]
	v_fma_f64 v[44:45], v[84:85], v[44:45], -v[46:47]
	s_wait_loadcnt 0x8
	v_mul_f64_e32 v[84:85], v[92:93], v[54:55]
	v_mul_f64_e32 v[54:55], v[94:95], v[54:55]
	v_fma_f64 v[74:75], v[74:75], v[48:49], v[98:99]
	v_fma_f64 v[72:73], v[72:73], v[48:49], -v[50:51]
	v_add_f64_e32 v[6:7], v[6:7], v[86:87]
	v_add_f64_e32 v[2:3], v[2:3], v[44:45]
	ds_load_b128 v[44:47], v1 offset:368
	ds_load_b128 v[48:51], v1 offset:384
	v_fma_f64 v[84:85], v[94:95], v[52:53], v[84:85]
	v_fma_f64 v[52:53], v[92:93], v[52:53], -v[54:55]
	s_wait_loadcnt_dscnt 0x701
	v_mul_f64_e32 v[86:87], v[44:45], v[58:59]
	v_mul_f64_e32 v[58:59], v[46:47], v[58:59]
	v_add_f64_e32 v[6:7], v[6:7], v[74:75]
	v_add_f64_e32 v[2:3], v[2:3], v[72:73]
	s_wait_loadcnt_dscnt 0x600
	v_mul_f64_e32 v[72:73], v[48:49], v[62:63]
	v_mul_f64_e32 v[62:63], v[50:51], v[62:63]
	v_fma_f64 v[74:75], v[46:47], v[56:57], v[86:87]
	v_fma_f64 v[56:57], v[44:45], v[56:57], -v[58:59]
	v_add_f64_e32 v[6:7], v[6:7], v[84:85]
	v_add_f64_e32 v[2:3], v[2:3], v[52:53]
	ds_load_b128 v[44:47], v1 offset:400
	ds_load_b128 v[52:55], v1 offset:416
	v_fma_f64 v[50:51], v[50:51], v[60:61], v[72:73]
	v_fma_f64 v[48:49], v[48:49], v[60:61], -v[62:63]
	s_wait_loadcnt_dscnt 0x501
	v_mul_f64_e32 v[58:59], v[44:45], v[66:67]
	v_mul_f64_e32 v[66:67], v[46:47], v[66:67]
	s_wait_loadcnt_dscnt 0x400
	v_mul_f64_e32 v[60:61], v[54:55], v[70:71]
	v_add_f64_e32 v[6:7], v[6:7], v[74:75]
	v_add_f64_e32 v[2:3], v[2:3], v[56:57]
	v_mul_f64_e32 v[56:57], v[52:53], v[70:71]
	v_fma_f64 v[58:59], v[46:47], v[64:65], v[58:59]
	v_fma_f64 v[62:63], v[44:45], v[64:65], -v[66:67]
	v_fma_f64 v[52:53], v[52:53], v[68:69], -v[60:61]
	v_add_f64_e32 v[6:7], v[6:7], v[50:51]
	v_add_f64_e32 v[2:3], v[2:3], v[48:49]
	ds_load_b128 v[44:47], v1 offset:432
	ds_load_b128 v[48:51], v1 offset:448
	v_fma_f64 v[54:55], v[54:55], v[68:69], v[56:57]
	s_wait_loadcnt_dscnt 0x301
	v_mul_f64_e32 v[64:65], v[44:45], v[78:79]
	v_mul_f64_e32 v[66:67], v[46:47], v[78:79]
	v_add_f64_e32 v[6:7], v[6:7], v[58:59]
	v_add_f64_e32 v[2:3], v[2:3], v[62:63]
	s_wait_loadcnt_dscnt 0x100
	v_mul_f64_e32 v[56:57], v[48:49], v[10:11]
	v_mul_f64_e32 v[10:11], v[50:51], v[10:11]
	v_fma_f64 v[58:59], v[46:47], v[76:77], v[64:65]
	v_fma_f64 v[60:61], v[44:45], v[76:77], -v[66:67]
	ds_load_b128 v[44:47], v1 offset:464
	v_add_f64_e32 v[6:7], v[6:7], v[54:55]
	v_add_f64_e32 v[2:3], v[2:3], v[52:53]
	v_fma_f64 v[50:51], v[50:51], v[8:9], v[56:57]
	v_fma_f64 v[8:9], v[48:49], v[8:9], -v[10:11]
	s_wait_loadcnt_dscnt 0x0
	v_mul_f64_e32 v[52:53], v[44:45], v[90:91]
	v_mul_f64_e32 v[54:55], v[46:47], v[90:91]
	v_add_f64_e32 v[6:7], v[6:7], v[58:59]
	v_add_f64_e32 v[2:3], v[2:3], v[60:61]
	s_delay_alu instid0(VALU_DEP_4) | instskip(NEXT) | instid1(VALU_DEP_4)
	v_fma_f64 v[10:11], v[46:47], v[88:89], v[52:53]
	v_fma_f64 v[44:45], v[44:45], v[88:89], -v[54:55]
	s_delay_alu instid0(VALU_DEP_4) | instskip(NEXT) | instid1(VALU_DEP_4)
	v_add_f64_e32 v[6:7], v[6:7], v[50:51]
	v_add_f64_e32 v[2:3], v[2:3], v[8:9]
	s_delay_alu instid0(VALU_DEP_2) | instskip(NEXT) | instid1(VALU_DEP_2)
	v_add_f64_e32 v[8:9], v[6:7], v[10:11]
	v_add_f64_e32 v[2:3], v[2:3], v[44:45]
	s_delay_alu instid0(VALU_DEP_2) | instskip(NEXT) | instid1(VALU_DEP_2)
	v_add_f64_e64 v[8:9], v[82:83], -v[8:9]
	v_add_f64_e64 v[6:7], v[80:81], -v[2:3]
	scratch_store_b128 off, v[6:9], off offset:48
	v_cmpx_lt_u32_e32 2, v43
	s_cbranch_execz .LBB78_99
; %bb.98:
	scratch_load_b128 v[6:9], off, s22
	v_dual_mov_b32 v2, v1 :: v_dual_mov_b32 v3, v1
	v_mov_b32_e32 v4, v1
	scratch_store_b128 off, v[1:4], off offset:32
	s_wait_loadcnt 0x0
	ds_store_b128 v5, v[6:9]
.LBB78_99:
	s_wait_alu 0xfffe
	s_or_b32 exec_lo, exec_lo, s2
	s_wait_storecnt_dscnt 0x0
	s_barrier_signal -1
	s_barrier_wait -1
	global_inv scope:SCOPE_SE
	s_clause 0x8
	scratch_load_b128 v[6:9], off, off offset:48
	scratch_load_b128 v[44:47], off, off offset:64
	;; [unrolled: 1-line block ×9, first 2 shown]
	ds_load_b128 v[76:79], v1 offset:288
	ds_load_b128 v[80:83], v1 offset:304
	scratch_load_b128 v[84:87], off, off offset:32
	s_mov_b32 s2, exec_lo
	ds_load_b128 v[92:95], v1 offset:336
	s_wait_loadcnt_dscnt 0x902
	v_mul_f64_e32 v[2:3], v[78:79], v[8:9]
	v_mul_f64_e32 v[88:89], v[76:77], v[8:9]
	scratch_load_b128 v[8:11], off, off offset:192
	s_wait_loadcnt_dscnt 0x901
	v_mul_f64_e32 v[96:97], v[80:81], v[46:47]
	v_mul_f64_e32 v[46:47], v[82:83], v[46:47]
	v_fma_f64 v[2:3], v[76:77], v[6:7], -v[2:3]
	v_fma_f64 v[6:7], v[78:79], v[6:7], v[88:89]
	ds_load_b128 v[76:79], v1 offset:320
	scratch_load_b128 v[88:91], off, off offset:208
	v_fma_f64 v[82:83], v[82:83], v[44:45], v[96:97]
	v_fma_f64 v[80:81], v[80:81], v[44:45], -v[46:47]
	scratch_load_b128 v[44:47], off, off offset:224
	s_wait_loadcnt_dscnt 0x901
	v_mul_f64_e32 v[96:97], v[92:93], v[54:55]
	v_mul_f64_e32 v[54:55], v[94:95], v[54:55]
	s_wait_dscnt 0x0
	v_mul_f64_e32 v[98:99], v[76:77], v[50:51]
	v_mul_f64_e32 v[50:51], v[78:79], v[50:51]
	v_add_f64_e32 v[2:3], 0, v[2:3]
	v_add_f64_e32 v[6:7], 0, v[6:7]
	s_delay_alu instid0(VALU_DEP_4) | instskip(NEXT) | instid1(VALU_DEP_4)
	v_fma_f64 v[98:99], v[78:79], v[48:49], v[98:99]
	v_fma_f64 v[100:101], v[76:77], v[48:49], -v[50:51]
	ds_load_b128 v[48:51], v1 offset:352
	ds_load_b128 v[76:79], v1 offset:368
	v_add_f64_e32 v[2:3], v[2:3], v[80:81]
	v_add_f64_e32 v[6:7], v[6:7], v[82:83]
	v_fma_f64 v[82:83], v[94:95], v[52:53], v[96:97]
	v_fma_f64 v[52:53], v[92:93], v[52:53], -v[54:55]
	s_wait_loadcnt_dscnt 0x801
	v_mul_f64_e32 v[80:81], v[48:49], v[58:59]
	v_mul_f64_e32 v[58:59], v[50:51], v[58:59]
	s_wait_loadcnt_dscnt 0x700
	v_mul_f64_e32 v[92:93], v[76:77], v[62:63]
	v_mul_f64_e32 v[62:63], v[78:79], v[62:63]
	v_add_f64_e32 v[2:3], v[2:3], v[100:101]
	v_add_f64_e32 v[6:7], v[6:7], v[98:99]
	v_fma_f64 v[80:81], v[50:51], v[56:57], v[80:81]
	v_fma_f64 v[56:57], v[48:49], v[56:57], -v[58:59]
	v_fma_f64 v[78:79], v[78:79], v[60:61], v[92:93]
	v_fma_f64 v[60:61], v[76:77], v[60:61], -v[62:63]
	v_add_f64_e32 v[2:3], v[2:3], v[52:53]
	v_add_f64_e32 v[6:7], v[6:7], v[82:83]
	ds_load_b128 v[48:51], v1 offset:384
	ds_load_b128 v[52:55], v1 offset:400
	s_wait_loadcnt_dscnt 0x601
	v_mul_f64_e32 v[58:59], v[48:49], v[66:67]
	v_mul_f64_e32 v[66:67], v[50:51], v[66:67]
	s_wait_loadcnt_dscnt 0x500
	v_mul_f64_e32 v[62:63], v[52:53], v[70:71]
	v_mul_f64_e32 v[70:71], v[54:55], v[70:71]
	v_add_f64_e32 v[2:3], v[2:3], v[56:57]
	v_add_f64_e32 v[6:7], v[6:7], v[80:81]
	v_fma_f64 v[76:77], v[50:51], v[64:65], v[58:59]
	v_fma_f64 v[64:65], v[48:49], v[64:65], -v[66:67]
	ds_load_b128 v[48:51], v1 offset:416
	ds_load_b128 v[56:59], v1 offset:432
	v_fma_f64 v[54:55], v[54:55], v[68:69], v[62:63]
	v_fma_f64 v[52:53], v[52:53], v[68:69], -v[70:71]
	v_add_f64_e32 v[2:3], v[2:3], v[60:61]
	v_add_f64_e32 v[6:7], v[6:7], v[78:79]
	s_wait_loadcnt_dscnt 0x401
	v_mul_f64_e32 v[60:61], v[48:49], v[74:75]
	v_mul_f64_e32 v[66:67], v[50:51], v[74:75]
	s_delay_alu instid0(VALU_DEP_4) | instskip(NEXT) | instid1(VALU_DEP_4)
	v_add_f64_e32 v[2:3], v[2:3], v[64:65]
	v_add_f64_e32 v[6:7], v[6:7], v[76:77]
	s_delay_alu instid0(VALU_DEP_4) | instskip(NEXT) | instid1(VALU_DEP_4)
	v_fma_f64 v[60:61], v[50:51], v[72:73], v[60:61]
	v_fma_f64 v[64:65], v[48:49], v[72:73], -v[66:67]
	s_wait_loadcnt_dscnt 0x200
	v_mul_f64_e32 v[62:63], v[56:57], v[10:11]
	v_mul_f64_e32 v[10:11], v[58:59], v[10:11]
	v_add_f64_e32 v[52:53], v[2:3], v[52:53]
	v_add_f64_e32 v[6:7], v[6:7], v[54:55]
	ds_load_b128 v[48:51], v1 offset:448
	ds_load_b128 v[1:4], v1 offset:464
	v_fma_f64 v[58:59], v[58:59], v[8:9], v[62:63]
	v_fma_f64 v[8:9], v[56:57], v[8:9], -v[10:11]
	s_wait_loadcnt_dscnt 0x101
	v_mul_f64_e32 v[54:55], v[48:49], v[90:91]
	v_mul_f64_e32 v[66:67], v[50:51], v[90:91]
	v_add_f64_e32 v[10:11], v[52:53], v[64:65]
	v_add_f64_e32 v[6:7], v[6:7], v[60:61]
	s_wait_loadcnt_dscnt 0x0
	v_mul_f64_e32 v[52:53], v[1:2], v[46:47]
	v_mul_f64_e32 v[46:47], v[3:4], v[46:47]
	v_fma_f64 v[50:51], v[50:51], v[88:89], v[54:55]
	v_fma_f64 v[48:49], v[48:49], v[88:89], -v[66:67]
	v_add_f64_e32 v[8:9], v[10:11], v[8:9]
	v_add_f64_e32 v[6:7], v[6:7], v[58:59]
	v_fma_f64 v[3:4], v[3:4], v[44:45], v[52:53]
	v_fma_f64 v[1:2], v[1:2], v[44:45], -v[46:47]
	s_delay_alu instid0(VALU_DEP_4) | instskip(NEXT) | instid1(VALU_DEP_4)
	v_add_f64_e32 v[8:9], v[8:9], v[48:49]
	v_add_f64_e32 v[6:7], v[6:7], v[50:51]
	s_delay_alu instid0(VALU_DEP_2) | instskip(NEXT) | instid1(VALU_DEP_2)
	v_add_f64_e32 v[1:2], v[8:9], v[1:2]
	v_add_f64_e32 v[3:4], v[6:7], v[3:4]
	s_delay_alu instid0(VALU_DEP_2) | instskip(NEXT) | instid1(VALU_DEP_2)
	v_add_f64_e64 v[1:2], v[84:85], -v[1:2]
	v_add_f64_e64 v[3:4], v[86:87], -v[3:4]
	scratch_store_b128 off, v[1:4], off offset:32
	v_cmpx_lt_u32_e32 1, v43
	s_cbranch_execz .LBB78_101
; %bb.100:
	scratch_load_b128 v[1:4], off, s23
	v_mov_b32_e32 v6, 0
	s_delay_alu instid0(VALU_DEP_1)
	v_dual_mov_b32 v7, v6 :: v_dual_mov_b32 v8, v6
	v_mov_b32_e32 v9, v6
	scratch_store_b128 off, v[6:9], off offset:16
	s_wait_loadcnt 0x0
	ds_store_b128 v5, v[1:4]
.LBB78_101:
	s_wait_alu 0xfffe
	s_or_b32 exec_lo, exec_lo, s2
	s_wait_storecnt_dscnt 0x0
	s_barrier_signal -1
	s_barrier_wait -1
	global_inv scope:SCOPE_SE
	s_clause 0x7
	scratch_load_b128 v[6:9], off, off offset:32
	scratch_load_b128 v[44:47], off, off offset:48
	;; [unrolled: 1-line block ×8, first 2 shown]
	v_mov_b32_e32 v1, 0
	s_mov_b32 s2, exec_lo
	ds_load_b128 v[72:75], v1 offset:272
	s_clause 0x1
	scratch_load_b128 v[76:79], off, off offset:160
	scratch_load_b128 v[80:83], off, off offset:16
	ds_load_b128 v[84:87], v1 offset:288
	ds_load_b128 v[92:95], v1 offset:320
	s_wait_loadcnt_dscnt 0x902
	v_mul_f64_e32 v[2:3], v[74:75], v[8:9]
	v_mul_f64_e32 v[88:89], v[72:73], v[8:9]
	scratch_load_b128 v[8:11], off, off offset:176
	v_fma_f64 v[2:3], v[72:73], v[6:7], -v[2:3]
	v_fma_f64 v[6:7], v[74:75], v[6:7], v[88:89]
	ds_load_b128 v[72:75], v1 offset:304
	s_wait_loadcnt_dscnt 0x902
	v_mul_f64_e32 v[96:97], v[84:85], v[46:47]
	v_mul_f64_e32 v[46:47], v[86:87], v[46:47]
	scratch_load_b128 v[88:91], off, off offset:192
	s_wait_loadcnt_dscnt 0x900
	v_mul_f64_e32 v[98:99], v[72:73], v[50:51]
	v_mul_f64_e32 v[50:51], v[74:75], v[50:51]
	v_add_f64_e32 v[2:3], 0, v[2:3]
	v_add_f64_e32 v[6:7], 0, v[6:7]
	v_fma_f64 v[86:87], v[86:87], v[44:45], v[96:97]
	v_fma_f64 v[84:85], v[84:85], v[44:45], -v[46:47]
	scratch_load_b128 v[44:47], off, off offset:208
	v_fma_f64 v[98:99], v[74:75], v[48:49], v[98:99]
	v_fma_f64 v[100:101], v[72:73], v[48:49], -v[50:51]
	ds_load_b128 v[48:51], v1 offset:336
	s_wait_loadcnt 0x9
	v_mul_f64_e32 v[96:97], v[92:93], v[54:55]
	v_mul_f64_e32 v[54:55], v[94:95], v[54:55]
	scratch_load_b128 v[72:75], off, off offset:224
	v_add_f64_e32 v[6:7], v[6:7], v[86:87]
	v_add_f64_e32 v[2:3], v[2:3], v[84:85]
	ds_load_b128 v[84:87], v1 offset:352
	s_wait_loadcnt_dscnt 0x901
	v_mul_f64_e32 v[102:103], v[48:49], v[58:59]
	v_mul_f64_e32 v[58:59], v[50:51], v[58:59]
	v_fma_f64 v[94:95], v[94:95], v[52:53], v[96:97]
	v_fma_f64 v[52:53], v[92:93], v[52:53], -v[54:55]
	s_wait_loadcnt_dscnt 0x800
	v_mul_f64_e32 v[92:93], v[84:85], v[62:63]
	v_mul_f64_e32 v[62:63], v[86:87], v[62:63]
	v_add_f64_e32 v[6:7], v[6:7], v[98:99]
	v_add_f64_e32 v[2:3], v[2:3], v[100:101]
	v_fma_f64 v[96:97], v[50:51], v[56:57], v[102:103]
	v_fma_f64 v[56:57], v[48:49], v[56:57], -v[58:59]
	v_fma_f64 v[86:87], v[86:87], v[60:61], v[92:93]
	v_fma_f64 v[60:61], v[84:85], v[60:61], -v[62:63]
	v_add_f64_e32 v[6:7], v[6:7], v[94:95]
	v_add_f64_e32 v[2:3], v[2:3], v[52:53]
	ds_load_b128 v[48:51], v1 offset:368
	ds_load_b128 v[52:55], v1 offset:384
	s_wait_loadcnt_dscnt 0x701
	v_mul_f64_e32 v[58:59], v[48:49], v[66:67]
	v_mul_f64_e32 v[66:67], v[50:51], v[66:67]
	s_wait_loadcnt_dscnt 0x600
	v_mul_f64_e32 v[62:63], v[52:53], v[70:71]
	v_mul_f64_e32 v[70:71], v[54:55], v[70:71]
	v_add_f64_e32 v[6:7], v[6:7], v[96:97]
	v_add_f64_e32 v[2:3], v[2:3], v[56:57]
	v_fma_f64 v[84:85], v[50:51], v[64:65], v[58:59]
	v_fma_f64 v[64:65], v[48:49], v[64:65], -v[66:67]
	ds_load_b128 v[48:51], v1 offset:400
	ds_load_b128 v[56:59], v1 offset:416
	v_fma_f64 v[54:55], v[54:55], v[68:69], v[62:63]
	v_fma_f64 v[52:53], v[52:53], v[68:69], -v[70:71]
	v_add_f64_e32 v[6:7], v[6:7], v[86:87]
	v_add_f64_e32 v[2:3], v[2:3], v[60:61]
	s_wait_loadcnt_dscnt 0x501
	v_mul_f64_e32 v[60:61], v[48:49], v[78:79]
	v_mul_f64_e32 v[66:67], v[50:51], v[78:79]
	s_delay_alu instid0(VALU_DEP_4) | instskip(NEXT) | instid1(VALU_DEP_4)
	v_add_f64_e32 v[6:7], v[6:7], v[84:85]
	v_add_f64_e32 v[2:3], v[2:3], v[64:65]
	s_delay_alu instid0(VALU_DEP_4) | instskip(NEXT) | instid1(VALU_DEP_4)
	v_fma_f64 v[60:61], v[50:51], v[76:77], v[60:61]
	v_fma_f64 v[64:65], v[48:49], v[76:77], -v[66:67]
	s_wait_loadcnt_dscnt 0x300
	v_mul_f64_e32 v[62:63], v[56:57], v[10:11]
	v_mul_f64_e32 v[10:11], v[58:59], v[10:11]
	v_add_f64_e32 v[6:7], v[6:7], v[54:55]
	v_add_f64_e32 v[2:3], v[2:3], v[52:53]
	ds_load_b128 v[48:51], v1 offset:432
	ds_load_b128 v[52:55], v1 offset:448
	v_fma_f64 v[58:59], v[58:59], v[8:9], v[62:63]
	v_fma_f64 v[8:9], v[56:57], v[8:9], -v[10:11]
	s_wait_loadcnt_dscnt 0x201
	v_mul_f64_e32 v[66:67], v[48:49], v[90:91]
	v_mul_f64_e32 v[68:69], v[50:51], v[90:91]
	v_add_f64_e32 v[6:7], v[6:7], v[60:61]
	v_add_f64_e32 v[2:3], v[2:3], v[64:65]
	s_wait_loadcnt_dscnt 0x100
	v_mul_f64_e32 v[10:11], v[52:53], v[46:47]
	v_mul_f64_e32 v[46:47], v[54:55], v[46:47]
	v_fma_f64 v[50:51], v[50:51], v[88:89], v[66:67]
	v_fma_f64 v[48:49], v[48:49], v[88:89], -v[68:69]
	v_add_f64_e32 v[56:57], v[6:7], v[58:59]
	v_add_f64_e32 v[2:3], v[2:3], v[8:9]
	ds_load_b128 v[6:9], v1 offset:464
	v_fma_f64 v[10:11], v[54:55], v[44:45], v[10:11]
	v_fma_f64 v[44:45], v[52:53], v[44:45], -v[46:47]
	s_wait_loadcnt_dscnt 0x0
	v_mul_f64_e32 v[58:59], v[6:7], v[74:75]
	v_mul_f64_e32 v[60:61], v[8:9], v[74:75]
	v_add_f64_e32 v[46:47], v[56:57], v[50:51]
	v_add_f64_e32 v[2:3], v[2:3], v[48:49]
	s_delay_alu instid0(VALU_DEP_4) | instskip(NEXT) | instid1(VALU_DEP_4)
	v_fma_f64 v[8:9], v[8:9], v[72:73], v[58:59]
	v_fma_f64 v[6:7], v[6:7], v[72:73], -v[60:61]
	s_delay_alu instid0(VALU_DEP_4) | instskip(NEXT) | instid1(VALU_DEP_4)
	v_add_f64_e32 v[10:11], v[46:47], v[10:11]
	v_add_f64_e32 v[2:3], v[2:3], v[44:45]
	s_delay_alu instid0(VALU_DEP_2) | instskip(NEXT) | instid1(VALU_DEP_2)
	v_add_f64_e32 v[8:9], v[10:11], v[8:9]
	v_add_f64_e32 v[2:3], v[2:3], v[6:7]
	s_delay_alu instid0(VALU_DEP_2) | instskip(NEXT) | instid1(VALU_DEP_2)
	v_add_f64_e64 v[8:9], v[82:83], -v[8:9]
	v_add_f64_e64 v[6:7], v[80:81], -v[2:3]
	scratch_store_b128 off, v[6:9], off offset:16
	v_cmpx_ne_u32_e32 0, v43
	s_cbranch_execz .LBB78_103
; %bb.102:
	scratch_load_b128 v[6:9], off, off
	v_dual_mov_b32 v2, v1 :: v_dual_mov_b32 v3, v1
	v_mov_b32_e32 v4, v1
	scratch_store_b128 off, v[1:4], off
	s_wait_loadcnt 0x0
	ds_store_b128 v5, v[6:9]
.LBB78_103:
	s_wait_alu 0xfffe
	s_or_b32 exec_lo, exec_lo, s2
	s_wait_storecnt_dscnt 0x0
	s_barrier_signal -1
	s_barrier_wait -1
	global_inv scope:SCOPE_SE
	s_clause 0x8
	scratch_load_b128 v[2:5], off, off offset:16
	scratch_load_b128 v[6:9], off, off offset:32
	;; [unrolled: 1-line block ×9, first 2 shown]
	ds_load_b128 v[72:75], v1 offset:256
	ds_load_b128 v[76:79], v1 offset:272
	s_clause 0x1
	scratch_load_b128 v[80:83], off, off
	scratch_load_b128 v[84:87], off, off offset:160
	s_and_b32 vcc_lo, exec_lo, s24
	s_wait_loadcnt_dscnt 0xa01
	v_mul_f64_e32 v[10:11], v[74:75], v[4:5]
	v_mul_f64_e32 v[4:5], v[72:73], v[4:5]
	s_wait_loadcnt_dscnt 0x900
	v_mul_f64_e32 v[88:89], v[76:77], v[8:9]
	v_mul_f64_e32 v[90:91], v[78:79], v[8:9]
	s_delay_alu instid0(VALU_DEP_4) | instskip(NEXT) | instid1(VALU_DEP_4)
	v_fma_f64 v[92:93], v[72:73], v[2:3], -v[10:11]
	v_fma_f64 v[94:95], v[74:75], v[2:3], v[4:5]
	ds_load_b128 v[2:5], v1 offset:288
	ds_load_b128 v[72:75], v1 offset:304
	scratch_load_b128 v[8:11], off, off offset:176
	v_fma_f64 v[88:89], v[78:79], v[6:7], v[88:89]
	v_fma_f64 v[6:7], v[76:77], v[6:7], -v[90:91]
	scratch_load_b128 v[76:79], off, off offset:192
	s_wait_loadcnt_dscnt 0xa01
	v_mul_f64_e32 v[96:97], v[2:3], v[46:47]
	v_mul_f64_e32 v[46:47], v[4:5], v[46:47]
	v_add_f64_e32 v[90:91], 0, v[92:93]
	v_add_f64_e32 v[92:93], 0, v[94:95]
	s_wait_loadcnt_dscnt 0x900
	v_mul_f64_e32 v[94:95], v[72:73], v[50:51]
	v_mul_f64_e32 v[50:51], v[74:75], v[50:51]
	v_fma_f64 v[96:97], v[4:5], v[44:45], v[96:97]
	v_fma_f64 v[98:99], v[2:3], v[44:45], -v[46:47]
	ds_load_b128 v[2:5], v1 offset:320
	scratch_load_b128 v[44:47], off, off offset:208
	v_add_f64_e32 v[6:7], v[90:91], v[6:7]
	v_add_f64_e32 v[92:93], v[92:93], v[88:89]
	ds_load_b128 v[88:91], v1 offset:336
	v_fma_f64 v[74:75], v[74:75], v[48:49], v[94:95]
	v_fma_f64 v[72:73], v[72:73], v[48:49], -v[50:51]
	scratch_load_b128 v[48:51], off, off offset:224
	s_wait_loadcnt_dscnt 0xa01
	v_mul_f64_e32 v[100:101], v[2:3], v[54:55]
	v_mul_f64_e32 v[54:55], v[4:5], v[54:55]
	s_wait_loadcnt_dscnt 0x900
	v_mul_f64_e32 v[94:95], v[88:89], v[58:59]
	v_mul_f64_e32 v[58:59], v[90:91], v[58:59]
	v_add_f64_e32 v[6:7], v[6:7], v[98:99]
	v_add_f64_e32 v[92:93], v[92:93], v[96:97]
	v_fma_f64 v[96:97], v[4:5], v[52:53], v[100:101]
	v_fma_f64 v[98:99], v[2:3], v[52:53], -v[54:55]
	ds_load_b128 v[2:5], v1 offset:352
	ds_load_b128 v[52:55], v1 offset:368
	v_fma_f64 v[90:91], v[90:91], v[56:57], v[94:95]
	v_fma_f64 v[56:57], v[88:89], v[56:57], -v[58:59]
	v_add_f64_e32 v[6:7], v[6:7], v[72:73]
	v_add_f64_e32 v[72:73], v[92:93], v[74:75]
	s_wait_loadcnt_dscnt 0x801
	v_mul_f64_e32 v[74:75], v[2:3], v[62:63]
	v_mul_f64_e32 v[62:63], v[4:5], v[62:63]
	s_delay_alu instid0(VALU_DEP_4) | instskip(NEXT) | instid1(VALU_DEP_4)
	v_add_f64_e32 v[6:7], v[6:7], v[98:99]
	v_add_f64_e32 v[58:59], v[72:73], v[96:97]
	s_wait_loadcnt_dscnt 0x700
	v_mul_f64_e32 v[72:73], v[52:53], v[66:67]
	v_mul_f64_e32 v[66:67], v[54:55], v[66:67]
	v_fma_f64 v[74:75], v[4:5], v[60:61], v[74:75]
	v_fma_f64 v[60:61], v[2:3], v[60:61], -v[62:63]
	v_add_f64_e32 v[6:7], v[6:7], v[56:57]
	v_add_f64_e32 v[62:63], v[58:59], v[90:91]
	ds_load_b128 v[2:5], v1 offset:384
	ds_load_b128 v[56:59], v1 offset:400
	v_fma_f64 v[54:55], v[54:55], v[64:65], v[72:73]
	v_fma_f64 v[52:53], v[52:53], v[64:65], -v[66:67]
	s_wait_loadcnt_dscnt 0x601
	v_mul_f64_e32 v[88:89], v[2:3], v[70:71]
	v_mul_f64_e32 v[70:71], v[4:5], v[70:71]
	s_wait_loadcnt_dscnt 0x400
	v_mul_f64_e32 v[64:65], v[58:59], v[86:87]
	v_add_f64_e32 v[6:7], v[6:7], v[60:61]
	v_add_f64_e32 v[60:61], v[62:63], v[74:75]
	v_mul_f64_e32 v[62:63], v[56:57], v[86:87]
	v_fma_f64 v[66:67], v[4:5], v[68:69], v[88:89]
	v_fma_f64 v[68:69], v[2:3], v[68:69], -v[70:71]
	v_fma_f64 v[56:57], v[56:57], v[84:85], -v[64:65]
	v_add_f64_e32 v[6:7], v[6:7], v[52:53]
	v_add_f64_e32 v[60:61], v[60:61], v[54:55]
	ds_load_b128 v[2:5], v1 offset:416
	ds_load_b128 v[52:55], v1 offset:432
	v_fma_f64 v[58:59], v[58:59], v[84:85], v[62:63]
	s_wait_loadcnt_dscnt 0x301
	v_mul_f64_e32 v[70:71], v[2:3], v[10:11]
	v_mul_f64_e32 v[10:11], v[4:5], v[10:11]
	s_wait_loadcnt_dscnt 0x200
	v_mul_f64_e32 v[62:63], v[52:53], v[78:79]
	v_mul_f64_e32 v[64:65], v[54:55], v[78:79]
	v_add_f64_e32 v[6:7], v[6:7], v[68:69]
	v_add_f64_e32 v[60:61], v[60:61], v[66:67]
	v_fma_f64 v[66:67], v[4:5], v[8:9], v[70:71]
	v_fma_f64 v[10:11], v[2:3], v[8:9], -v[10:11]
	v_fma_f64 v[54:55], v[54:55], v[76:77], v[62:63]
	v_fma_f64 v[52:53], v[52:53], v[76:77], -v[64:65]
	v_add_f64_e32 v[56:57], v[6:7], v[56:57]
	v_add_f64_e32 v[58:59], v[60:61], v[58:59]
	ds_load_b128 v[2:5], v1 offset:448
	ds_load_b128 v[6:9], v1 offset:464
	s_wait_loadcnt_dscnt 0x101
	v_mul_f64_e32 v[60:61], v[2:3], v[46:47]
	v_mul_f64_e32 v[46:47], v[4:5], v[46:47]
	v_add_f64_e32 v[10:11], v[56:57], v[10:11]
	v_add_f64_e32 v[56:57], v[58:59], v[66:67]
	s_wait_loadcnt_dscnt 0x0
	v_mul_f64_e32 v[58:59], v[6:7], v[50:51]
	v_mul_f64_e32 v[50:51], v[8:9], v[50:51]
	v_fma_f64 v[4:5], v[4:5], v[44:45], v[60:61]
	v_fma_f64 v[1:2], v[2:3], v[44:45], -v[46:47]
	v_add_f64_e32 v[10:11], v[10:11], v[52:53]
	v_add_f64_e32 v[44:45], v[56:57], v[54:55]
	v_fma_f64 v[8:9], v[8:9], v[48:49], v[58:59]
	v_fma_f64 v[6:7], v[6:7], v[48:49], -v[50:51]
	s_delay_alu instid0(VALU_DEP_4) | instskip(NEXT) | instid1(VALU_DEP_4)
	v_add_f64_e32 v[1:2], v[10:11], v[1:2]
	v_add_f64_e32 v[3:4], v[44:45], v[4:5]
	s_delay_alu instid0(VALU_DEP_2) | instskip(NEXT) | instid1(VALU_DEP_2)
	v_add_f64_e32 v[1:2], v[1:2], v[6:7]
	v_add_f64_e32 v[3:4], v[3:4], v[8:9]
	s_delay_alu instid0(VALU_DEP_2) | instskip(NEXT) | instid1(VALU_DEP_2)
	v_add_f64_e64 v[1:2], v[80:81], -v[1:2]
	v_add_f64_e64 v[3:4], v[82:83], -v[3:4]
	scratch_store_b128 off, v[1:4], off
	s_wait_alu 0xfffe
	s_cbranch_vccz .LBB78_132
; %bb.104:
	v_mov_b32_e32 v1, 0
	s_load_b64 s[0:1], s[0:1], 0x4
	v_bfe_u32 v3, v0, 10, 10
	v_bfe_u32 v0, v0, 20, 10
	global_load_b32 v2, v1, s[8:9] offset:52
	s_wait_kmcnt 0x0
	s_lshr_b32 s0, s0, 16
	v_mul_u32_u24_e32 v3, s1, v3
	s_mul_i32 s0, s0, s1
	s_wait_alu 0xfffe
	v_mul_u32_u24_e32 v4, s0, v43
	s_delay_alu instid0(VALU_DEP_1) | instskip(NEXT) | instid1(VALU_DEP_1)
	v_add3_u32 v0, v4, v3, v0
	v_lshl_add_u32 v0, v0, 4, 0x1e8
	s_wait_loadcnt 0x0
	v_cmp_ne_u32_e32 vcc_lo, 14, v2
	s_cbranch_vccz .LBB78_106
; %bb.105:
	v_lshlrev_b32_e32 v2, 4, v2
	s_delay_alu instid0(VALU_DEP_1)
	v_mov_b32_e32 v10, v2
	s_clause 0x1
	scratch_load_b128 v[2:5], off, s21
	scratch_load_b128 v[6:9], v10, off offset:-16
	s_wait_loadcnt 0x1
	ds_store_2addr_b64 v0, v[2:3], v[4:5] offset1:1
	s_wait_loadcnt 0x0
	s_clause 0x1
	scratch_store_b128 off, v[6:9], s21
	scratch_store_b128 v10, v[2:5], off offset:-16
.LBB78_106:
	global_load_b32 v1, v1, s[8:9] offset:48
	s_wait_loadcnt 0x0
	v_cmp_eq_u32_e32 vcc_lo, 13, v1
	s_cbranch_vccnz .LBB78_108
; %bb.107:
	v_lshlrev_b32_e32 v1, 4, v1
	s_delay_alu instid0(VALU_DEP_1)
	v_mov_b32_e32 v9, v1
	s_clause 0x1
	scratch_load_b128 v[1:4], off, s14
	scratch_load_b128 v[5:8], v9, off offset:-16
	s_wait_loadcnt 0x1
	ds_store_2addr_b64 v0, v[1:2], v[3:4] offset1:1
	s_wait_loadcnt 0x0
	s_clause 0x1
	scratch_store_b128 off, v[5:8], s14
	scratch_store_b128 v9, v[1:4], off offset:-16
.LBB78_108:
	v_mov_b32_e32 v1, 0
	global_load_b32 v2, v1, s[8:9] offset:44
	s_wait_loadcnt 0x0
	v_cmp_eq_u32_e32 vcc_lo, 12, v2
	s_cbranch_vccnz .LBB78_110
; %bb.109:
	v_lshlrev_b32_e32 v2, 4, v2
	s_delay_alu instid0(VALU_DEP_1)
	v_mov_b32_e32 v10, v2
	s_clause 0x1
	scratch_load_b128 v[2:5], off, s20
	scratch_load_b128 v[6:9], v10, off offset:-16
	s_wait_loadcnt 0x1
	ds_store_2addr_b64 v0, v[2:3], v[4:5] offset1:1
	s_wait_loadcnt 0x0
	s_clause 0x1
	scratch_store_b128 off, v[6:9], s20
	scratch_store_b128 v10, v[2:5], off offset:-16
.LBB78_110:
	global_load_b32 v1, v1, s[8:9] offset:40
	s_wait_loadcnt 0x0
	v_cmp_eq_u32_e32 vcc_lo, 11, v1
	s_cbranch_vccnz .LBB78_112
; %bb.111:
	v_lshlrev_b32_e32 v1, 4, v1
	s_delay_alu instid0(VALU_DEP_1)
	v_mov_b32_e32 v9, v1
	s_clause 0x1
	scratch_load_b128 v[1:4], off, s13
	scratch_load_b128 v[5:8], v9, off offset:-16
	s_wait_loadcnt 0x1
	ds_store_2addr_b64 v0, v[1:2], v[3:4] offset1:1
	s_wait_loadcnt 0x0
	s_clause 0x1
	scratch_store_b128 off, v[5:8], s13
	scratch_store_b128 v9, v[1:4], off offset:-16
.LBB78_112:
	v_mov_b32_e32 v1, 0
	global_load_b32 v2, v1, s[8:9] offset:36
	s_wait_loadcnt 0x0
	v_cmp_eq_u32_e32 vcc_lo, 10, v2
	s_cbranch_vccnz .LBB78_114
; %bb.113:
	v_lshlrev_b32_e32 v2, 4, v2
	s_delay_alu instid0(VALU_DEP_1)
	v_mov_b32_e32 v10, v2
	s_clause 0x1
	scratch_load_b128 v[2:5], off, s19
	scratch_load_b128 v[6:9], v10, off offset:-16
	s_wait_loadcnt 0x1
	ds_store_2addr_b64 v0, v[2:3], v[4:5] offset1:1
	s_wait_loadcnt 0x0
	s_clause 0x1
	scratch_store_b128 off, v[6:9], s19
	scratch_store_b128 v10, v[2:5], off offset:-16
.LBB78_114:
	;; [unrolled: 37-line block ×6, first 2 shown]
	global_load_b32 v1, v1, s[8:9]
	s_wait_loadcnt 0x0
	v_cmp_eq_u32_e32 vcc_lo, 1, v1
	s_cbranch_vccnz .LBB78_132
; %bb.131:
	v_lshlrev_b32_e32 v1, 4, v1
	s_delay_alu instid0(VALU_DEP_1)
	v_mov_b32_e32 v9, v1
	scratch_load_b128 v[1:4], off, off
	scratch_load_b128 v[5:8], v9, off offset:-16
	s_wait_loadcnt 0x1
	ds_store_2addr_b64 v0, v[1:2], v[3:4] offset1:1
	s_wait_loadcnt 0x0
	scratch_store_b128 off, v[5:8], off
	scratch_store_b128 v9, v[1:4], off offset:-16
.LBB78_132:
	scratch_load_b128 v[0:3], off, off
	s_wait_loadcnt 0x0
	flat_store_b128 v[13:14], v[0:3]
	scratch_load_b128 v[0:3], off, s23
	s_wait_loadcnt 0x0
	flat_store_b128 v[15:16], v[0:3]
	scratch_load_b128 v[0:3], off, s22
	;; [unrolled: 3-line block ×14, first 2 shown]
	s_wait_loadcnt 0x0
	flat_store_b128 v[41:42], v[0:3]
	s_nop 0
	s_sendmsg sendmsg(MSG_DEALLOC_VGPRS)
	s_endpgm
	.section	.rodata,"a",@progbits
	.p2align	6, 0x0
	.amdhsa_kernel _ZN9rocsolver6v33100L18getri_kernel_smallILi15E19rocblas_complex_numIdEPKPS3_EEvT1_iilPiilS8_bb
		.amdhsa_group_segment_fixed_size 1512
		.amdhsa_private_segment_fixed_size 256
		.amdhsa_kernarg_size 60
		.amdhsa_user_sgpr_count 4
		.amdhsa_user_sgpr_dispatch_ptr 1
		.amdhsa_user_sgpr_queue_ptr 0
		.amdhsa_user_sgpr_kernarg_segment_ptr 1
		.amdhsa_user_sgpr_dispatch_id 0
		.amdhsa_user_sgpr_private_segment_size 0
		.amdhsa_wavefront_size32 1
		.amdhsa_uses_dynamic_stack 0
		.amdhsa_enable_private_segment 1
		.amdhsa_system_sgpr_workgroup_id_x 1
		.amdhsa_system_sgpr_workgroup_id_y 0
		.amdhsa_system_sgpr_workgroup_id_z 0
		.amdhsa_system_sgpr_workgroup_info 0
		.amdhsa_system_vgpr_workitem_id 2
		.amdhsa_next_free_vgpr 104
		.amdhsa_next_free_sgpr 28
		.amdhsa_reserve_vcc 1
		.amdhsa_float_round_mode_32 0
		.amdhsa_float_round_mode_16_64 0
		.amdhsa_float_denorm_mode_32 3
		.amdhsa_float_denorm_mode_16_64 3
		.amdhsa_fp16_overflow 0
		.amdhsa_workgroup_processor_mode 1
		.amdhsa_memory_ordered 1
		.amdhsa_forward_progress 1
		.amdhsa_inst_pref_size 130
		.amdhsa_round_robin_scheduling 0
		.amdhsa_exception_fp_ieee_invalid_op 0
		.amdhsa_exception_fp_denorm_src 0
		.amdhsa_exception_fp_ieee_div_zero 0
		.amdhsa_exception_fp_ieee_overflow 0
		.amdhsa_exception_fp_ieee_underflow 0
		.amdhsa_exception_fp_ieee_inexact 0
		.amdhsa_exception_int_div_zero 0
	.end_amdhsa_kernel
	.section	.text._ZN9rocsolver6v33100L18getri_kernel_smallILi15E19rocblas_complex_numIdEPKPS3_EEvT1_iilPiilS8_bb,"axG",@progbits,_ZN9rocsolver6v33100L18getri_kernel_smallILi15E19rocblas_complex_numIdEPKPS3_EEvT1_iilPiilS8_bb,comdat
.Lfunc_end78:
	.size	_ZN9rocsolver6v33100L18getri_kernel_smallILi15E19rocblas_complex_numIdEPKPS3_EEvT1_iilPiilS8_bb, .Lfunc_end78-_ZN9rocsolver6v33100L18getri_kernel_smallILi15E19rocblas_complex_numIdEPKPS3_EEvT1_iilPiilS8_bb
                                        ; -- End function
	.set _ZN9rocsolver6v33100L18getri_kernel_smallILi15E19rocblas_complex_numIdEPKPS3_EEvT1_iilPiilS8_bb.num_vgpr, 104
	.set _ZN9rocsolver6v33100L18getri_kernel_smallILi15E19rocblas_complex_numIdEPKPS3_EEvT1_iilPiilS8_bb.num_agpr, 0
	.set _ZN9rocsolver6v33100L18getri_kernel_smallILi15E19rocblas_complex_numIdEPKPS3_EEvT1_iilPiilS8_bb.numbered_sgpr, 28
	.set _ZN9rocsolver6v33100L18getri_kernel_smallILi15E19rocblas_complex_numIdEPKPS3_EEvT1_iilPiilS8_bb.num_named_barrier, 0
	.set _ZN9rocsolver6v33100L18getri_kernel_smallILi15E19rocblas_complex_numIdEPKPS3_EEvT1_iilPiilS8_bb.private_seg_size, 256
	.set _ZN9rocsolver6v33100L18getri_kernel_smallILi15E19rocblas_complex_numIdEPKPS3_EEvT1_iilPiilS8_bb.uses_vcc, 1
	.set _ZN9rocsolver6v33100L18getri_kernel_smallILi15E19rocblas_complex_numIdEPKPS3_EEvT1_iilPiilS8_bb.uses_flat_scratch, 1
	.set _ZN9rocsolver6v33100L18getri_kernel_smallILi15E19rocblas_complex_numIdEPKPS3_EEvT1_iilPiilS8_bb.has_dyn_sized_stack, 0
	.set _ZN9rocsolver6v33100L18getri_kernel_smallILi15E19rocblas_complex_numIdEPKPS3_EEvT1_iilPiilS8_bb.has_recursion, 0
	.set _ZN9rocsolver6v33100L18getri_kernel_smallILi15E19rocblas_complex_numIdEPKPS3_EEvT1_iilPiilS8_bb.has_indirect_call, 0
	.section	.AMDGPU.csdata,"",@progbits
; Kernel info:
; codeLenInByte = 16540
; TotalNumSgprs: 30
; NumVgprs: 104
; ScratchSize: 256
; MemoryBound: 0
; FloatMode: 240
; IeeeMode: 1
; LDSByteSize: 1512 bytes/workgroup (compile time only)
; SGPRBlocks: 0
; VGPRBlocks: 12
; NumSGPRsForWavesPerEU: 30
; NumVGPRsForWavesPerEU: 104
; Occupancy: 12
; WaveLimiterHint : 1
; COMPUTE_PGM_RSRC2:SCRATCH_EN: 1
; COMPUTE_PGM_RSRC2:USER_SGPR: 4
; COMPUTE_PGM_RSRC2:TRAP_HANDLER: 0
; COMPUTE_PGM_RSRC2:TGID_X_EN: 1
; COMPUTE_PGM_RSRC2:TGID_Y_EN: 0
; COMPUTE_PGM_RSRC2:TGID_Z_EN: 0
; COMPUTE_PGM_RSRC2:TIDIG_COMP_CNT: 2
	.section	.text._ZN9rocsolver6v33100L18getri_kernel_smallILi16E19rocblas_complex_numIdEPKPS3_EEvT1_iilPiilS8_bb,"axG",@progbits,_ZN9rocsolver6v33100L18getri_kernel_smallILi16E19rocblas_complex_numIdEPKPS3_EEvT1_iilPiilS8_bb,comdat
	.globl	_ZN9rocsolver6v33100L18getri_kernel_smallILi16E19rocblas_complex_numIdEPKPS3_EEvT1_iilPiilS8_bb ; -- Begin function _ZN9rocsolver6v33100L18getri_kernel_smallILi16E19rocblas_complex_numIdEPKPS3_EEvT1_iilPiilS8_bb
	.p2align	8
	.type	_ZN9rocsolver6v33100L18getri_kernel_smallILi16E19rocblas_complex_numIdEPKPS3_EEvT1_iilPiilS8_bb,@function
_ZN9rocsolver6v33100L18getri_kernel_smallILi16E19rocblas_complex_numIdEPKPS3_EEvT1_iilPiilS8_bb: ; @_ZN9rocsolver6v33100L18getri_kernel_smallILi16E19rocblas_complex_numIdEPKPS3_EEvT1_iilPiilS8_bb
; %bb.0:
	v_and_b32_e32 v45, 0x3ff, v0
	s_mov_b32 s4, exec_lo
	s_delay_alu instid0(VALU_DEP_1)
	v_cmpx_gt_u32_e32 16, v45
	s_cbranch_execz .LBB79_78
; %bb.1:
	s_clause 0x1
	s_load_b32 s14, s[2:3], 0x38
	s_load_b64 s[8:9], s[2:3], 0x0
	s_mov_b32 s10, ttmp9
	s_load_b128 s[4:7], s[2:3], 0x28
	s_wait_kmcnt 0x0
	s_bitcmp1_b32 s14, 8
	s_cselect_b32 s25, -1, 0
	s_ashr_i32 s11, ttmp9, 31
	s_delay_alu instid0(SALU_CYCLE_1) | instskip(NEXT) | instid1(SALU_CYCLE_1)
	s_lshl_b64 s[12:13], s[10:11], 3
	s_add_nc_u64 s[8:9], s[8:9], s[12:13]
	s_load_b64 s[12:13], s[8:9], 0x0
	s_bfe_u32 s8, s14, 0x10008
	s_delay_alu instid0(SALU_CYCLE_1)
	s_cmp_eq_u32 s8, 0
                                        ; implicit-def: $sgpr8_sgpr9
	s_cbranch_scc1 .LBB79_3
; %bb.2:
	s_load_b96 s[16:18], s[2:3], 0x18
	s_mul_u64 s[4:5], s[4:5], s[10:11]
	s_delay_alu instid0(SALU_CYCLE_1)
	s_lshl_b64 s[4:5], s[4:5], 2
	s_wait_kmcnt 0x0
	s_ashr_i32 s9, s18, 31
	s_mov_b32 s8, s18
	s_add_nc_u64 s[4:5], s[16:17], s[4:5]
	s_lshl_b64 s[8:9], s[8:9], 2
	s_delay_alu instid0(SALU_CYCLE_1)
	s_add_nc_u64 s[8:9], s[4:5], s[8:9]
.LBB79_3:
	s_clause 0x1
	s_load_b64 s[4:5], s[2:3], 0x8
	s_load_b32 s26, s[2:3], 0x38
	v_lshlrev_b32_e32 v46, 4, v45
	s_mov_b32 s24, 16
	s_mov_b32 s23, 32
	;; [unrolled: 1-line block ×4, first 2 shown]
	s_movk_i32 s18, 0x60
	s_movk_i32 s19, 0x80
	;; [unrolled: 1-line block ×7, first 2 shown]
	s_wait_kmcnt 0x0
	s_ashr_i32 s3, s4, 31
	s_mov_b32 s2, s4
	v_add3_u32 v5, s5, s5, v45
	s_lshl_b64 s[2:3], s[2:3], 4
	s_delay_alu instid0(SALU_CYCLE_1)
	s_add_nc_u64 s[2:3], s[12:13], s[2:3]
	s_ashr_i32 s13, s5, 31
	v_add_co_u32 v13, s4, s2, v46
	s_wait_alu 0xf1ff
	v_add_co_ci_u32_e64 v14, null, s3, 0, s4
	s_mov_b32 s12, s5
	v_ashrrev_i32_e32 v6, 31, v5
	s_lshl_b64 s[12:13], s[12:13], 4
	flat_load_b128 v[1:4], v[13:14]
	v_add_co_u32 v15, vcc_lo, v13, s12
	s_delay_alu instid0(VALU_DEP_1)
	v_add_co_ci_u32_e64 v16, null, s13, v14, vcc_lo
	v_lshlrev_b64_e32 v[6:7], 4, v[5:6]
	v_add_nc_u32_e32 v5, s5, v5
	s_movk_i32 s4, 0x50
	s_movk_i32 s12, 0x90
	;; [unrolled: 1-line block ×3, first 2 shown]
	s_bitcmp0_b32 s26, 0
	v_add_co_u32 v17, vcc_lo, s2, v6
	s_wait_alu 0xfffd
	v_add_co_ci_u32_e64 v18, null, s3, v7, vcc_lo
	v_ashrrev_i32_e32 v6, 31, v5
	s_delay_alu instid0(VALU_DEP_1) | instskip(SKIP_1) | instid1(VALU_DEP_2)
	v_lshlrev_b64_e32 v[6:7], 4, v[5:6]
	v_add_nc_u32_e32 v5, s5, v5
	v_add_co_u32 v19, vcc_lo, s2, v6
	s_wait_alu 0xfffd
	s_delay_alu instid0(VALU_DEP_3) | instskip(NEXT) | instid1(VALU_DEP_3)
	v_add_co_ci_u32_e64 v20, null, s3, v7, vcc_lo
	v_ashrrev_i32_e32 v6, 31, v5
	s_delay_alu instid0(VALU_DEP_1) | instskip(SKIP_1) | instid1(VALU_DEP_2)
	v_lshlrev_b64_e32 v[6:7], 4, v[5:6]
	v_add_nc_u32_e32 v5, s5, v5
	v_add_co_u32 v21, vcc_lo, s2, v6
	s_wait_alu 0xfffd
	s_delay_alu instid0(VALU_DEP_3) | instskip(NEXT) | instid1(VALU_DEP_3)
	;; [unrolled: 8-line block ×11, first 2 shown]
	v_add_co_ci_u32_e64 v40, null, s3, v7, vcc_lo
	v_ashrrev_i32_e32 v6, 31, v5
	s_delay_alu instid0(VALU_DEP_1) | instskip(SKIP_2) | instid1(VALU_DEP_2)
	v_lshlrev_b64_e32 v[6:7], 4, v[5:6]
	v_add_nc_u32_e32 v5, s5, v5
	s_movk_i32 s5, 0x70
	v_add_co_u32 v41, vcc_lo, s2, v6
	s_wait_alu 0xfffd
	s_delay_alu instid0(VALU_DEP_3) | instskip(SKIP_1) | instid1(VALU_DEP_1)
	v_add_co_ci_u32_e64 v42, null, s3, v7, vcc_lo
	v_ashrrev_i32_e32 v6, 31, v5
	v_lshlrev_b64_e32 v[5:6], 4, v[5:6]
	s_delay_alu instid0(VALU_DEP_1) | instskip(SKIP_1) | instid1(VALU_DEP_2)
	v_add_co_u32 v43, vcc_lo, s2, v5
	s_wait_alu 0xfffd
	v_add_co_ci_u32_e64 v44, null, s3, v6, vcc_lo
	s_mov_b32 s3, -1
	s_wait_loadcnt_dscnt 0x0
	scratch_store_b128 off, v[1:4], off
	flat_load_b128 v[1:4], v[15:16]
	s_wait_loadcnt_dscnt 0x0
	scratch_store_b128 off, v[1:4], off offset:16
	flat_load_b128 v[1:4], v[17:18]
	s_wait_loadcnt_dscnt 0x0
	scratch_store_b128 off, v[1:4], off offset:32
	;; [unrolled: 3-line block ×15, first 2 shown]
	s_cbranch_scc1 .LBB79_76
; %bb.4:
	v_cmp_eq_u32_e64 s2, 0, v45
	s_and_saveexec_b32 s3, s2
; %bb.5:
	v_mov_b32_e32 v1, 0
	ds_store_b32 v1, v1 offset:512
; %bb.6:
	s_wait_alu 0xfffe
	s_or_b32 exec_lo, exec_lo, s3
	s_wait_storecnt_dscnt 0x0
	s_barrier_signal -1
	s_barrier_wait -1
	global_inv scope:SCOPE_SE
	scratch_load_b128 v[1:4], v46, off
	s_wait_loadcnt 0x0
	v_cmp_eq_f64_e32 vcc_lo, 0, v[1:2]
	v_cmp_eq_f64_e64 s3, 0, v[3:4]
	s_and_b32 s3, vcc_lo, s3
	s_wait_alu 0xfffe
	s_and_saveexec_b32 s26, s3
	s_cbranch_execz .LBB79_10
; %bb.7:
	v_mov_b32_e32 v1, 0
	s_mov_b32 s27, 0
	ds_load_b32 v2, v1 offset:512
	s_wait_dscnt 0x0
	v_readfirstlane_b32 s3, v2
	v_add_nc_u32_e32 v2, 1, v45
	s_cmp_eq_u32 s3, 0
	s_delay_alu instid0(VALU_DEP_1) | instskip(SKIP_1) | instid1(SALU_CYCLE_1)
	v_cmp_gt_i32_e32 vcc_lo, s3, v2
	s_cselect_b32 s28, -1, 0
	s_or_b32 s28, s28, vcc_lo
	s_delay_alu instid0(SALU_CYCLE_1)
	s_and_b32 exec_lo, exec_lo, s28
	s_cbranch_execz .LBB79_10
; %bb.8:
	v_mov_b32_e32 v3, s3
.LBB79_9:                               ; =>This Inner Loop Header: Depth=1
	ds_cmpstore_rtn_b32 v3, v1, v2, v3 offset:512
	s_wait_dscnt 0x0
	v_cmp_ne_u32_e32 vcc_lo, 0, v3
	v_cmp_le_i32_e64 s3, v3, v2
	s_and_b32 s3, vcc_lo, s3
	s_wait_alu 0xfffe
	s_and_b32 s3, exec_lo, s3
	s_wait_alu 0xfffe
	s_or_b32 s27, s3, s27
	s_delay_alu instid0(SALU_CYCLE_1)
	s_and_not1_b32 exec_lo, exec_lo, s27
	s_cbranch_execnz .LBB79_9
.LBB79_10:
	s_or_b32 exec_lo, exec_lo, s26
	v_mov_b32_e32 v1, 0
	s_barrier_signal -1
	s_barrier_wait -1
	global_inv scope:SCOPE_SE
	ds_load_b32 v2, v1 offset:512
	s_and_saveexec_b32 s3, s2
	s_cbranch_execz .LBB79_12
; %bb.11:
	s_lshl_b64 s[26:27], s[10:11], 2
	s_delay_alu instid0(SALU_CYCLE_1)
	s_add_nc_u64 s[26:27], s[6:7], s[26:27]
	s_wait_dscnt 0x0
	global_store_b32 v1, v2, s[26:27]
.LBB79_12:
	s_wait_alu 0xfffe
	s_or_b32 exec_lo, exec_lo, s3
	s_wait_dscnt 0x0
	v_cmp_ne_u32_e32 vcc_lo, 0, v2
	s_mov_b32 s3, 0
	s_cbranch_vccnz .LBB79_76
; %bb.13:
	v_mov_b32_e32 v47, v46
                                        ; implicit-def: $vgpr1_vgpr2
                                        ; implicit-def: $vgpr9_vgpr10
	scratch_load_b128 v[5:8], v47, off
	s_wait_loadcnt 0x0
	v_cmp_ngt_f64_e64 s3, |v[5:6]|, |v[7:8]|
	s_wait_alu 0xfffe
	s_and_saveexec_b32 s26, s3
	s_delay_alu instid0(SALU_CYCLE_1)
	s_xor_b32 s3, exec_lo, s26
	s_cbranch_execz .LBB79_15
; %bb.14:
	v_div_scale_f64 v[1:2], null, v[7:8], v[7:8], v[5:6]
	v_div_scale_f64 v[11:12], vcc_lo, v[5:6], v[7:8], v[5:6]
	s_delay_alu instid0(VALU_DEP_2) | instskip(NEXT) | instid1(TRANS32_DEP_1)
	v_rcp_f64_e32 v[3:4], v[1:2]
	v_fma_f64 v[9:10], -v[1:2], v[3:4], 1.0
	s_delay_alu instid0(VALU_DEP_1) | instskip(NEXT) | instid1(VALU_DEP_1)
	v_fma_f64 v[3:4], v[3:4], v[9:10], v[3:4]
	v_fma_f64 v[9:10], -v[1:2], v[3:4], 1.0
	s_delay_alu instid0(VALU_DEP_1) | instskip(NEXT) | instid1(VALU_DEP_1)
	v_fma_f64 v[3:4], v[3:4], v[9:10], v[3:4]
	v_mul_f64_e32 v[9:10], v[11:12], v[3:4]
	s_delay_alu instid0(VALU_DEP_1) | instskip(SKIP_1) | instid1(VALU_DEP_1)
	v_fma_f64 v[1:2], -v[1:2], v[9:10], v[11:12]
	s_wait_alu 0xfffd
	v_div_fmas_f64 v[1:2], v[1:2], v[3:4], v[9:10]
	s_delay_alu instid0(VALU_DEP_1) | instskip(NEXT) | instid1(VALU_DEP_1)
	v_div_fixup_f64 v[1:2], v[1:2], v[7:8], v[5:6]
	v_fma_f64 v[3:4], v[5:6], v[1:2], v[7:8]
	s_delay_alu instid0(VALU_DEP_1) | instskip(SKIP_1) | instid1(VALU_DEP_2)
	v_div_scale_f64 v[5:6], null, v[3:4], v[3:4], 1.0
	v_div_scale_f64 v[11:12], vcc_lo, 1.0, v[3:4], 1.0
	v_rcp_f64_e32 v[7:8], v[5:6]
	s_delay_alu instid0(TRANS32_DEP_1) | instskip(NEXT) | instid1(VALU_DEP_1)
	v_fma_f64 v[9:10], -v[5:6], v[7:8], 1.0
	v_fma_f64 v[7:8], v[7:8], v[9:10], v[7:8]
	s_delay_alu instid0(VALU_DEP_1) | instskip(NEXT) | instid1(VALU_DEP_1)
	v_fma_f64 v[9:10], -v[5:6], v[7:8], 1.0
	v_fma_f64 v[7:8], v[7:8], v[9:10], v[7:8]
	s_delay_alu instid0(VALU_DEP_1) | instskip(NEXT) | instid1(VALU_DEP_1)
	v_mul_f64_e32 v[9:10], v[11:12], v[7:8]
	v_fma_f64 v[5:6], -v[5:6], v[9:10], v[11:12]
	s_wait_alu 0xfffd
	s_delay_alu instid0(VALU_DEP_1) | instskip(NEXT) | instid1(VALU_DEP_1)
	v_div_fmas_f64 v[5:6], v[5:6], v[7:8], v[9:10]
	v_div_fixup_f64 v[3:4], v[5:6], v[3:4], 1.0
                                        ; implicit-def: $vgpr5_vgpr6
	s_delay_alu instid0(VALU_DEP_1) | instskip(SKIP_1) | instid1(VALU_DEP_2)
	v_mul_f64_e32 v[1:2], v[1:2], v[3:4]
	v_xor_b32_e32 v4, 0x80000000, v4
	v_xor_b32_e32 v10, 0x80000000, v2
	s_delay_alu instid0(VALU_DEP_3)
	v_mov_b32_e32 v9, v1
.LBB79_15:
	s_wait_alu 0xfffe
	s_and_not1_saveexec_b32 s3, s3
	s_cbranch_execz .LBB79_17
; %bb.16:
	v_div_scale_f64 v[1:2], null, v[5:6], v[5:6], v[7:8]
	v_div_scale_f64 v[11:12], vcc_lo, v[7:8], v[5:6], v[7:8]
	s_delay_alu instid0(VALU_DEP_2) | instskip(NEXT) | instid1(TRANS32_DEP_1)
	v_rcp_f64_e32 v[3:4], v[1:2]
	v_fma_f64 v[9:10], -v[1:2], v[3:4], 1.0
	s_delay_alu instid0(VALU_DEP_1) | instskip(NEXT) | instid1(VALU_DEP_1)
	v_fma_f64 v[3:4], v[3:4], v[9:10], v[3:4]
	v_fma_f64 v[9:10], -v[1:2], v[3:4], 1.0
	s_delay_alu instid0(VALU_DEP_1) | instskip(NEXT) | instid1(VALU_DEP_1)
	v_fma_f64 v[3:4], v[3:4], v[9:10], v[3:4]
	v_mul_f64_e32 v[9:10], v[11:12], v[3:4]
	s_delay_alu instid0(VALU_DEP_1) | instskip(SKIP_1) | instid1(VALU_DEP_1)
	v_fma_f64 v[1:2], -v[1:2], v[9:10], v[11:12]
	s_wait_alu 0xfffd
	v_div_fmas_f64 v[1:2], v[1:2], v[3:4], v[9:10]
	s_delay_alu instid0(VALU_DEP_1) | instskip(NEXT) | instid1(VALU_DEP_1)
	v_div_fixup_f64 v[3:4], v[1:2], v[5:6], v[7:8]
	v_fma_f64 v[1:2], v[7:8], v[3:4], v[5:6]
	s_delay_alu instid0(VALU_DEP_1) | instskip(NEXT) | instid1(VALU_DEP_1)
	v_div_scale_f64 v[5:6], null, v[1:2], v[1:2], 1.0
	v_rcp_f64_e32 v[7:8], v[5:6]
	s_delay_alu instid0(TRANS32_DEP_1) | instskip(NEXT) | instid1(VALU_DEP_1)
	v_fma_f64 v[9:10], -v[5:6], v[7:8], 1.0
	v_fma_f64 v[7:8], v[7:8], v[9:10], v[7:8]
	s_delay_alu instid0(VALU_DEP_1) | instskip(NEXT) | instid1(VALU_DEP_1)
	v_fma_f64 v[9:10], -v[5:6], v[7:8], 1.0
	v_fma_f64 v[7:8], v[7:8], v[9:10], v[7:8]
	v_div_scale_f64 v[9:10], vcc_lo, 1.0, v[1:2], 1.0
	s_delay_alu instid0(VALU_DEP_1) | instskip(NEXT) | instid1(VALU_DEP_1)
	v_mul_f64_e32 v[11:12], v[9:10], v[7:8]
	v_fma_f64 v[5:6], -v[5:6], v[11:12], v[9:10]
	s_wait_alu 0xfffd
	s_delay_alu instid0(VALU_DEP_1) | instskip(NEXT) | instid1(VALU_DEP_1)
	v_div_fmas_f64 v[5:6], v[5:6], v[7:8], v[11:12]
	v_div_fixup_f64 v[1:2], v[5:6], v[1:2], 1.0
	s_delay_alu instid0(VALU_DEP_1)
	v_mul_f64_e64 v[3:4], v[3:4], -v[1:2]
	v_xor_b32_e32 v10, 0x80000000, v2
	v_mov_b32_e32 v9, v1
.LBB79_17:
	s_wait_alu 0xfffe
	s_or_b32 exec_lo, exec_lo, s3
	scratch_store_b128 v47, v[1:4], off
	scratch_load_b128 v[48:51], off, s24
	v_xor_b32_e32 v12, 0x80000000, v4
	v_mov_b32_e32 v11, v3
	v_add_nc_u32_e32 v5, 0x100, v46
	ds_store_b128 v46, v[9:12]
	s_wait_loadcnt 0x0
	ds_store_b128 v46, v[48:51] offset:256
	s_wait_storecnt_dscnt 0x0
	s_barrier_signal -1
	s_barrier_wait -1
	global_inv scope:SCOPE_SE
	s_and_saveexec_b32 s3, s2
	s_cbranch_execz .LBB79_19
; %bb.18:
	scratch_load_b128 v[1:4], v47, off
	ds_load_b128 v[6:9], v5
	v_mov_b32_e32 v10, 0
	ds_load_b128 v[48:51], v10 offset:16
	s_wait_loadcnt_dscnt 0x1
	v_mul_f64_e32 v[10:11], v[6:7], v[3:4]
	v_mul_f64_e32 v[3:4], v[8:9], v[3:4]
	s_delay_alu instid0(VALU_DEP_2) | instskip(NEXT) | instid1(VALU_DEP_2)
	v_fma_f64 v[8:9], v[8:9], v[1:2], v[10:11]
	v_fma_f64 v[1:2], v[6:7], v[1:2], -v[3:4]
	s_delay_alu instid0(VALU_DEP_2) | instskip(NEXT) | instid1(VALU_DEP_2)
	v_add_f64_e32 v[3:4], 0, v[8:9]
	v_add_f64_e32 v[1:2], 0, v[1:2]
	s_wait_dscnt 0x0
	s_delay_alu instid0(VALU_DEP_2) | instskip(NEXT) | instid1(VALU_DEP_2)
	v_mul_f64_e32 v[6:7], v[3:4], v[50:51]
	v_mul_f64_e32 v[8:9], v[1:2], v[50:51]
	s_delay_alu instid0(VALU_DEP_2) | instskip(NEXT) | instid1(VALU_DEP_2)
	v_fma_f64 v[1:2], v[1:2], v[48:49], -v[6:7]
	v_fma_f64 v[3:4], v[3:4], v[48:49], v[8:9]
	scratch_store_b128 off, v[1:4], off offset:16
.LBB79_19:
	s_wait_alu 0xfffe
	s_or_b32 exec_lo, exec_lo, s3
	s_wait_loadcnt 0x0
	s_wait_storecnt 0x0
	s_barrier_signal -1
	s_barrier_wait -1
	global_inv scope:SCOPE_SE
	scratch_load_b128 v[1:4], off, s23
	s_mov_b32 s3, exec_lo
	s_wait_loadcnt 0x0
	ds_store_b128 v5, v[1:4]
	s_wait_dscnt 0x0
	s_barrier_signal -1
	s_barrier_wait -1
	global_inv scope:SCOPE_SE
	v_cmpx_gt_u32_e32 2, v45
	s_cbranch_execz .LBB79_23
; %bb.20:
	scratch_load_b128 v[1:4], v47, off
	ds_load_b128 v[6:9], v5
	s_wait_loadcnt_dscnt 0x0
	v_mul_f64_e32 v[10:11], v[8:9], v[3:4]
	v_mul_f64_e32 v[3:4], v[6:7], v[3:4]
	s_delay_alu instid0(VALU_DEP_2) | instskip(NEXT) | instid1(VALU_DEP_2)
	v_fma_f64 v[6:7], v[6:7], v[1:2], -v[10:11]
	v_fma_f64 v[3:4], v[8:9], v[1:2], v[3:4]
	s_delay_alu instid0(VALU_DEP_2) | instskip(NEXT) | instid1(VALU_DEP_2)
	v_add_f64_e32 v[1:2], 0, v[6:7]
	v_add_f64_e32 v[3:4], 0, v[3:4]
	s_and_saveexec_b32 s26, s2
	s_cbranch_execz .LBB79_22
; %bb.21:
	scratch_load_b128 v[6:9], off, off offset:16
	v_mov_b32_e32 v10, 0
	ds_load_b128 v[48:51], v10 offset:272
	s_wait_loadcnt_dscnt 0x0
	v_mul_f64_e32 v[10:11], v[48:49], v[8:9]
	v_mul_f64_e32 v[8:9], v[50:51], v[8:9]
	s_delay_alu instid0(VALU_DEP_2) | instskip(NEXT) | instid1(VALU_DEP_2)
	v_fma_f64 v[10:11], v[50:51], v[6:7], v[10:11]
	v_fma_f64 v[6:7], v[48:49], v[6:7], -v[8:9]
	s_delay_alu instid0(VALU_DEP_2) | instskip(NEXT) | instid1(VALU_DEP_2)
	v_add_f64_e32 v[3:4], v[3:4], v[10:11]
	v_add_f64_e32 v[1:2], v[1:2], v[6:7]
.LBB79_22:
	s_or_b32 exec_lo, exec_lo, s26
	v_mov_b32_e32 v6, 0
	ds_load_b128 v[6:9], v6 offset:32
	s_wait_dscnt 0x0
	v_mul_f64_e32 v[10:11], v[3:4], v[8:9]
	v_mul_f64_e32 v[8:9], v[1:2], v[8:9]
	s_delay_alu instid0(VALU_DEP_2) | instskip(NEXT) | instid1(VALU_DEP_2)
	v_fma_f64 v[1:2], v[1:2], v[6:7], -v[10:11]
	v_fma_f64 v[3:4], v[3:4], v[6:7], v[8:9]
	scratch_store_b128 off, v[1:4], off offset:32
.LBB79_23:
	s_wait_alu 0xfffe
	s_or_b32 exec_lo, exec_lo, s3
	s_wait_loadcnt 0x0
	s_wait_storecnt 0x0
	s_barrier_signal -1
	s_barrier_wait -1
	global_inv scope:SCOPE_SE
	scratch_load_b128 v[1:4], off, s16
	v_add_nc_u32_e32 v6, -1, v45
	s_mov_b32 s2, exec_lo
	s_wait_loadcnt 0x0
	ds_store_b128 v5, v[1:4]
	s_wait_dscnt 0x0
	s_barrier_signal -1
	s_barrier_wait -1
	global_inv scope:SCOPE_SE
	v_cmpx_gt_u32_e32 3, v45
	s_cbranch_execz .LBB79_27
; %bb.24:
	v_dual_mov_b32 v1, 0 :: v_dual_add_nc_u32 v8, 0x100, v46
	v_mov_b32_e32 v3, 0
	v_dual_mov_b32 v2, 0 :: v_dual_add_nc_u32 v7, -1, v45
	v_mov_b32_e32 v4, 0
	v_or_b32_e32 v9, 8, v47
	s_mov_b32 s3, 0
.LBB79_25:                              ; =>This Inner Loop Header: Depth=1
	scratch_load_b128 v[48:51], v9, off offset:-8
	ds_load_b128 v[52:55], v8
	v_add_nc_u32_e32 v7, 1, v7
	v_add_nc_u32_e32 v8, 16, v8
	v_add_nc_u32_e32 v9, 16, v9
	s_delay_alu instid0(VALU_DEP_3)
	v_cmp_lt_u32_e32 vcc_lo, 1, v7
	s_wait_alu 0xfffe
	s_or_b32 s3, vcc_lo, s3
	s_wait_loadcnt_dscnt 0x0
	v_mul_f64_e32 v[10:11], v[54:55], v[50:51]
	v_mul_f64_e32 v[50:51], v[52:53], v[50:51]
	s_delay_alu instid0(VALU_DEP_2) | instskip(NEXT) | instid1(VALU_DEP_2)
	v_fma_f64 v[10:11], v[52:53], v[48:49], -v[10:11]
	v_fma_f64 v[48:49], v[54:55], v[48:49], v[50:51]
	s_delay_alu instid0(VALU_DEP_2) | instskip(NEXT) | instid1(VALU_DEP_2)
	v_add_f64_e32 v[3:4], v[3:4], v[10:11]
	v_add_f64_e32 v[1:2], v[1:2], v[48:49]
	s_wait_alu 0xfffe
	s_and_not1_b32 exec_lo, exec_lo, s3
	s_cbranch_execnz .LBB79_25
; %bb.26:
	s_or_b32 exec_lo, exec_lo, s3
	v_mov_b32_e32 v7, 0
	ds_load_b128 v[7:10], v7 offset:48
	s_wait_dscnt 0x0
	v_mul_f64_e32 v[11:12], v[1:2], v[9:10]
	v_mul_f64_e32 v[48:49], v[3:4], v[9:10]
	s_delay_alu instid0(VALU_DEP_2) | instskip(NEXT) | instid1(VALU_DEP_2)
	v_fma_f64 v[9:10], v[3:4], v[7:8], -v[11:12]
	v_fma_f64 v[11:12], v[1:2], v[7:8], v[48:49]
	scratch_store_b128 off, v[9:12], off offset:48
.LBB79_27:
	s_wait_alu 0xfffe
	s_or_b32 exec_lo, exec_lo, s2
	s_wait_loadcnt 0x0
	s_wait_storecnt 0x0
	s_barrier_signal -1
	s_barrier_wait -1
	global_inv scope:SCOPE_SE
	scratch_load_b128 v[1:4], off, s17
	s_mov_b32 s2, exec_lo
	s_wait_loadcnt 0x0
	ds_store_b128 v5, v[1:4]
	s_wait_dscnt 0x0
	s_barrier_signal -1
	s_barrier_wait -1
	global_inv scope:SCOPE_SE
	v_cmpx_gt_u32_e32 4, v45
	s_cbranch_execz .LBB79_31
; %bb.28:
	v_dual_mov_b32 v1, 0 :: v_dual_add_nc_u32 v8, 0x100, v46
	v_mov_b32_e32 v3, 0
	v_dual_mov_b32 v2, 0 :: v_dual_add_nc_u32 v7, -1, v45
	v_mov_b32_e32 v4, 0
	v_or_b32_e32 v9, 8, v47
	s_mov_b32 s3, 0
.LBB79_29:                              ; =>This Inner Loop Header: Depth=1
	scratch_load_b128 v[48:51], v9, off offset:-8
	ds_load_b128 v[52:55], v8
	v_add_nc_u32_e32 v7, 1, v7
	v_add_nc_u32_e32 v8, 16, v8
	v_add_nc_u32_e32 v9, 16, v9
	s_delay_alu instid0(VALU_DEP_3)
	v_cmp_lt_u32_e32 vcc_lo, 2, v7
	s_wait_alu 0xfffe
	s_or_b32 s3, vcc_lo, s3
	s_wait_loadcnt_dscnt 0x0
	v_mul_f64_e32 v[10:11], v[54:55], v[50:51]
	v_mul_f64_e32 v[50:51], v[52:53], v[50:51]
	s_delay_alu instid0(VALU_DEP_2) | instskip(NEXT) | instid1(VALU_DEP_2)
	v_fma_f64 v[10:11], v[52:53], v[48:49], -v[10:11]
	v_fma_f64 v[48:49], v[54:55], v[48:49], v[50:51]
	s_delay_alu instid0(VALU_DEP_2) | instskip(NEXT) | instid1(VALU_DEP_2)
	v_add_f64_e32 v[3:4], v[3:4], v[10:11]
	v_add_f64_e32 v[1:2], v[1:2], v[48:49]
	s_wait_alu 0xfffe
	s_and_not1_b32 exec_lo, exec_lo, s3
	s_cbranch_execnz .LBB79_29
; %bb.30:
	s_or_b32 exec_lo, exec_lo, s3
	v_mov_b32_e32 v7, 0
	ds_load_b128 v[7:10], v7 offset:64
	s_wait_dscnt 0x0
	v_mul_f64_e32 v[11:12], v[1:2], v[9:10]
	v_mul_f64_e32 v[48:49], v[3:4], v[9:10]
	s_delay_alu instid0(VALU_DEP_2) | instskip(NEXT) | instid1(VALU_DEP_2)
	v_fma_f64 v[9:10], v[3:4], v[7:8], -v[11:12]
	v_fma_f64 v[11:12], v[1:2], v[7:8], v[48:49]
	scratch_store_b128 off, v[9:12], off offset:64
.LBB79_31:
	s_wait_alu 0xfffe
	s_or_b32 exec_lo, exec_lo, s2
	s_wait_loadcnt 0x0
	s_wait_storecnt 0x0
	s_barrier_signal -1
	s_barrier_wait -1
	global_inv scope:SCOPE_SE
	scratch_load_b128 v[1:4], off, s4
	;; [unrolled: 58-line block ×12, first 2 shown]
	s_mov_b32 s2, exec_lo
	s_wait_loadcnt 0x0
	ds_store_b128 v5, v[1:4]
	s_wait_dscnt 0x0
	s_barrier_signal -1
	s_barrier_wait -1
	global_inv scope:SCOPE_SE
	v_cmpx_ne_u32_e32 15, v45
	s_cbranch_execz .LBB79_75
; %bb.72:
	v_mov_b32_e32 v1, 0
	v_dual_mov_b32 v2, 0 :: v_dual_mov_b32 v3, 0
	v_mov_b32_e32 v4, 0
	v_or_b32_e32 v7, 8, v47
	s_mov_b32 s3, 0
.LBB79_73:                              ; =>This Inner Loop Header: Depth=1
	scratch_load_b128 v[8:11], v7, off offset:-8
	ds_load_b128 v[46:49], v5
	v_add_nc_u32_e32 v6, 1, v6
	v_add_nc_u32_e32 v5, 16, v5
	;; [unrolled: 1-line block ×3, first 2 shown]
	s_delay_alu instid0(VALU_DEP_3)
	v_cmp_lt_u32_e32 vcc_lo, 13, v6
	s_wait_alu 0xfffe
	s_or_b32 s3, vcc_lo, s3
	s_wait_loadcnt_dscnt 0x0
	v_mul_f64_e32 v[50:51], v[48:49], v[10:11]
	v_mul_f64_e32 v[10:11], v[46:47], v[10:11]
	s_delay_alu instid0(VALU_DEP_2) | instskip(NEXT) | instid1(VALU_DEP_2)
	v_fma_f64 v[46:47], v[46:47], v[8:9], -v[50:51]
	v_fma_f64 v[8:9], v[48:49], v[8:9], v[10:11]
	s_delay_alu instid0(VALU_DEP_2) | instskip(NEXT) | instid1(VALU_DEP_2)
	v_add_f64_e32 v[3:4], v[3:4], v[46:47]
	v_add_f64_e32 v[1:2], v[1:2], v[8:9]
	s_wait_alu 0xfffe
	s_and_not1_b32 exec_lo, exec_lo, s3
	s_cbranch_execnz .LBB79_73
; %bb.74:
	s_or_b32 exec_lo, exec_lo, s3
	v_mov_b32_e32 v5, 0
	ds_load_b128 v[5:8], v5 offset:240
	s_wait_dscnt 0x0
	v_mul_f64_e32 v[9:10], v[1:2], v[7:8]
	v_mul_f64_e32 v[7:8], v[3:4], v[7:8]
	s_delay_alu instid0(VALU_DEP_2) | instskip(NEXT) | instid1(VALU_DEP_2)
	v_fma_f64 v[3:4], v[3:4], v[5:6], -v[9:10]
	v_fma_f64 v[5:6], v[1:2], v[5:6], v[7:8]
	scratch_store_b128 off, v[3:6], off offset:240
.LBB79_75:
	s_wait_alu 0xfffe
	s_or_b32 exec_lo, exec_lo, s2
	s_mov_b32 s3, -1
	s_wait_loadcnt 0x0
	s_wait_storecnt 0x0
	s_barrier_signal -1
	s_barrier_wait -1
	global_inv scope:SCOPE_SE
.LBB79_76:
	s_wait_alu 0xfffe
	s_and_b32 vcc_lo, exec_lo, s3
	s_wait_alu 0xfffe
	s_cbranch_vccz .LBB79_78
; %bb.77:
	v_mov_b32_e32 v1, 0
	s_lshl_b64 s[2:3], s[10:11], 2
	s_wait_alu 0xfffe
	s_add_nc_u64 s[2:3], s[6:7], s[2:3]
	global_load_b32 v1, v1, s[2:3]
	s_wait_loadcnt 0x0
	v_cmp_ne_u32_e32 vcc_lo, 0, v1
	s_cbranch_vccz .LBB79_79
.LBB79_78:
	s_nop 0
	s_sendmsg sendmsg(MSG_DEALLOC_VGPRS)
	s_endpgm
.LBB79_79:
	v_lshl_add_u32 v5, v45, 4, 0x100
	s_mov_b32 s2, exec_lo
	v_cmpx_eq_u32_e32 15, v45
	s_cbranch_execz .LBB79_81
; %bb.80:
	scratch_load_b128 v[1:4], off, s22
	v_mov_b32_e32 v6, 0
	s_delay_alu instid0(VALU_DEP_1)
	v_dual_mov_b32 v7, v6 :: v_dual_mov_b32 v8, v6
	v_mov_b32_e32 v9, v6
	scratch_store_b128 off, v[6:9], off offset:224
	s_wait_loadcnt 0x0
	ds_store_b128 v5, v[1:4]
.LBB79_81:
	s_wait_alu 0xfffe
	s_or_b32 exec_lo, exec_lo, s2
	s_wait_storecnt_dscnt 0x0
	s_barrier_signal -1
	s_barrier_wait -1
	global_inv scope:SCOPE_SE
	s_clause 0x1
	scratch_load_b128 v[6:9], off, off offset:240
	scratch_load_b128 v[46:49], off, off offset:224
	v_mov_b32_e32 v1, 0
	s_mov_b32 s2, exec_lo
	ds_load_b128 v[50:53], v1 offset:496
	s_wait_loadcnt_dscnt 0x100
	v_mul_f64_e32 v[2:3], v[52:53], v[8:9]
	v_mul_f64_e32 v[8:9], v[50:51], v[8:9]
	s_delay_alu instid0(VALU_DEP_2) | instskip(NEXT) | instid1(VALU_DEP_2)
	v_fma_f64 v[2:3], v[50:51], v[6:7], -v[2:3]
	v_fma_f64 v[6:7], v[52:53], v[6:7], v[8:9]
	s_delay_alu instid0(VALU_DEP_2) | instskip(NEXT) | instid1(VALU_DEP_2)
	v_add_f64_e32 v[2:3], 0, v[2:3]
	v_add_f64_e32 v[8:9], 0, v[6:7]
	s_wait_loadcnt 0x0
	s_delay_alu instid0(VALU_DEP_2) | instskip(NEXT) | instid1(VALU_DEP_2)
	v_add_f64_e64 v[6:7], v[46:47], -v[2:3]
	v_add_f64_e64 v[8:9], v[48:49], -v[8:9]
	scratch_store_b128 off, v[6:9], off offset:224
	v_cmpx_lt_u32_e32 13, v45
	s_cbranch_execz .LBB79_83
; %bb.82:
	scratch_load_b128 v[6:9], off, s14
	v_dual_mov_b32 v2, v1 :: v_dual_mov_b32 v3, v1
	v_mov_b32_e32 v4, v1
	scratch_store_b128 off, v[1:4], off offset:208
	s_wait_loadcnt 0x0
	ds_store_b128 v5, v[6:9]
.LBB79_83:
	s_wait_alu 0xfffe
	s_or_b32 exec_lo, exec_lo, s2
	s_wait_storecnt_dscnt 0x0
	s_barrier_signal -1
	s_barrier_wait -1
	global_inv scope:SCOPE_SE
	s_clause 0x2
	scratch_load_b128 v[6:9], off, off offset:224
	scratch_load_b128 v[46:49], off, off offset:240
	scratch_load_b128 v[50:53], off, off offset:208
	ds_load_b128 v[54:57], v1 offset:480
	ds_load_b128 v[1:4], v1 offset:496
	s_mov_b32 s2, exec_lo
	s_wait_loadcnt_dscnt 0x201
	v_mul_f64_e32 v[10:11], v[56:57], v[8:9]
	v_mul_f64_e32 v[8:9], v[54:55], v[8:9]
	s_wait_loadcnt_dscnt 0x100
	v_mul_f64_e32 v[58:59], v[1:2], v[48:49]
	v_mul_f64_e32 v[48:49], v[3:4], v[48:49]
	s_delay_alu instid0(VALU_DEP_4) | instskip(NEXT) | instid1(VALU_DEP_4)
	v_fma_f64 v[10:11], v[54:55], v[6:7], -v[10:11]
	v_fma_f64 v[6:7], v[56:57], v[6:7], v[8:9]
	s_delay_alu instid0(VALU_DEP_4) | instskip(NEXT) | instid1(VALU_DEP_4)
	v_fma_f64 v[3:4], v[3:4], v[46:47], v[58:59]
	v_fma_f64 v[1:2], v[1:2], v[46:47], -v[48:49]
	s_delay_alu instid0(VALU_DEP_4) | instskip(NEXT) | instid1(VALU_DEP_4)
	v_add_f64_e32 v[8:9], 0, v[10:11]
	v_add_f64_e32 v[6:7], 0, v[6:7]
	s_delay_alu instid0(VALU_DEP_2) | instskip(NEXT) | instid1(VALU_DEP_2)
	v_add_f64_e32 v[1:2], v[8:9], v[1:2]
	v_add_f64_e32 v[3:4], v[6:7], v[3:4]
	s_wait_loadcnt 0x0
	s_delay_alu instid0(VALU_DEP_2) | instskip(NEXT) | instid1(VALU_DEP_2)
	v_add_f64_e64 v[1:2], v[50:51], -v[1:2]
	v_add_f64_e64 v[3:4], v[52:53], -v[3:4]
	scratch_store_b128 off, v[1:4], off offset:208
	v_cmpx_lt_u32_e32 12, v45
	s_cbranch_execz .LBB79_85
; %bb.84:
	scratch_load_b128 v[1:4], off, s21
	v_mov_b32_e32 v6, 0
	s_delay_alu instid0(VALU_DEP_1)
	v_dual_mov_b32 v7, v6 :: v_dual_mov_b32 v8, v6
	v_mov_b32_e32 v9, v6
	scratch_store_b128 off, v[6:9], off offset:192
	s_wait_loadcnt 0x0
	ds_store_b128 v5, v[1:4]
.LBB79_85:
	s_wait_alu 0xfffe
	s_or_b32 exec_lo, exec_lo, s2
	s_wait_storecnt_dscnt 0x0
	s_barrier_signal -1
	s_barrier_wait -1
	global_inv scope:SCOPE_SE
	s_clause 0x3
	scratch_load_b128 v[6:9], off, off offset:208
	scratch_load_b128 v[46:49], off, off offset:224
	scratch_load_b128 v[50:53], off, off offset:240
	scratch_load_b128 v[54:57], off, off offset:192
	v_mov_b32_e32 v1, 0
	ds_load_b128 v[58:61], v1 offset:464
	ds_load_b128 v[62:65], v1 offset:480
	s_mov_b32 s2, exec_lo
	s_wait_loadcnt_dscnt 0x301
	v_mul_f64_e32 v[2:3], v[60:61], v[8:9]
	v_mul_f64_e32 v[8:9], v[58:59], v[8:9]
	s_wait_loadcnt_dscnt 0x200
	v_mul_f64_e32 v[10:11], v[62:63], v[48:49]
	v_mul_f64_e32 v[48:49], v[64:65], v[48:49]
	s_delay_alu instid0(VALU_DEP_4) | instskip(NEXT) | instid1(VALU_DEP_4)
	v_fma_f64 v[2:3], v[58:59], v[6:7], -v[2:3]
	v_fma_f64 v[58:59], v[60:61], v[6:7], v[8:9]
	ds_load_b128 v[6:9], v1 offset:496
	v_fma_f64 v[10:11], v[64:65], v[46:47], v[10:11]
	v_fma_f64 v[46:47], v[62:63], v[46:47], -v[48:49]
	s_wait_loadcnt_dscnt 0x100
	v_mul_f64_e32 v[60:61], v[6:7], v[52:53]
	v_mul_f64_e32 v[52:53], v[8:9], v[52:53]
	v_add_f64_e32 v[2:3], 0, v[2:3]
	v_add_f64_e32 v[48:49], 0, v[58:59]
	s_delay_alu instid0(VALU_DEP_4) | instskip(NEXT) | instid1(VALU_DEP_4)
	v_fma_f64 v[8:9], v[8:9], v[50:51], v[60:61]
	v_fma_f64 v[6:7], v[6:7], v[50:51], -v[52:53]
	s_delay_alu instid0(VALU_DEP_4) | instskip(NEXT) | instid1(VALU_DEP_4)
	v_add_f64_e32 v[2:3], v[2:3], v[46:47]
	v_add_f64_e32 v[10:11], v[48:49], v[10:11]
	s_delay_alu instid0(VALU_DEP_2) | instskip(NEXT) | instid1(VALU_DEP_2)
	v_add_f64_e32 v[2:3], v[2:3], v[6:7]
	v_add_f64_e32 v[8:9], v[10:11], v[8:9]
	s_wait_loadcnt 0x0
	s_delay_alu instid0(VALU_DEP_2) | instskip(NEXT) | instid1(VALU_DEP_2)
	v_add_f64_e64 v[6:7], v[54:55], -v[2:3]
	v_add_f64_e64 v[8:9], v[56:57], -v[8:9]
	scratch_store_b128 off, v[6:9], off offset:192
	v_cmpx_lt_u32_e32 11, v45
	s_cbranch_execz .LBB79_87
; %bb.86:
	scratch_load_b128 v[6:9], off, s13
	v_dual_mov_b32 v2, v1 :: v_dual_mov_b32 v3, v1
	v_mov_b32_e32 v4, v1
	scratch_store_b128 off, v[1:4], off offset:176
	s_wait_loadcnt 0x0
	ds_store_b128 v5, v[6:9]
.LBB79_87:
	s_wait_alu 0xfffe
	s_or_b32 exec_lo, exec_lo, s2
	s_wait_storecnt_dscnt 0x0
	s_barrier_signal -1
	s_barrier_wait -1
	global_inv scope:SCOPE_SE
	s_clause 0x4
	scratch_load_b128 v[6:9], off, off offset:192
	scratch_load_b128 v[46:49], off, off offset:208
	;; [unrolled: 1-line block ×5, first 2 shown]
	ds_load_b128 v[62:65], v1 offset:448
	ds_load_b128 v[66:69], v1 offset:464
	s_mov_b32 s2, exec_lo
	s_wait_loadcnt_dscnt 0x401
	v_mul_f64_e32 v[2:3], v[64:65], v[8:9]
	v_mul_f64_e32 v[8:9], v[62:63], v[8:9]
	s_wait_loadcnt_dscnt 0x300
	v_mul_f64_e32 v[10:11], v[66:67], v[48:49]
	v_mul_f64_e32 v[48:49], v[68:69], v[48:49]
	s_delay_alu instid0(VALU_DEP_4) | instskip(NEXT) | instid1(VALU_DEP_4)
	v_fma_f64 v[62:63], v[62:63], v[6:7], -v[2:3]
	v_fma_f64 v[64:65], v[64:65], v[6:7], v[8:9]
	ds_load_b128 v[6:9], v1 offset:480
	ds_load_b128 v[1:4], v1 offset:496
	v_fma_f64 v[10:11], v[68:69], v[46:47], v[10:11]
	v_fma_f64 v[46:47], v[66:67], v[46:47], -v[48:49]
	s_wait_loadcnt_dscnt 0x201
	v_mul_f64_e32 v[70:71], v[6:7], v[52:53]
	v_mul_f64_e32 v[52:53], v[8:9], v[52:53]
	v_add_f64_e32 v[48:49], 0, v[62:63]
	v_add_f64_e32 v[62:63], 0, v[64:65]
	s_wait_loadcnt_dscnt 0x100
	v_mul_f64_e32 v[64:65], v[1:2], v[56:57]
	v_mul_f64_e32 v[56:57], v[3:4], v[56:57]
	v_fma_f64 v[8:9], v[8:9], v[50:51], v[70:71]
	v_fma_f64 v[6:7], v[6:7], v[50:51], -v[52:53]
	v_add_f64_e32 v[46:47], v[48:49], v[46:47]
	v_add_f64_e32 v[10:11], v[62:63], v[10:11]
	v_fma_f64 v[3:4], v[3:4], v[54:55], v[64:65]
	v_fma_f64 v[1:2], v[1:2], v[54:55], -v[56:57]
	s_delay_alu instid0(VALU_DEP_4) | instskip(NEXT) | instid1(VALU_DEP_4)
	v_add_f64_e32 v[6:7], v[46:47], v[6:7]
	v_add_f64_e32 v[8:9], v[10:11], v[8:9]
	s_delay_alu instid0(VALU_DEP_2) | instskip(NEXT) | instid1(VALU_DEP_2)
	v_add_f64_e32 v[1:2], v[6:7], v[1:2]
	v_add_f64_e32 v[3:4], v[8:9], v[3:4]
	s_wait_loadcnt 0x0
	s_delay_alu instid0(VALU_DEP_2) | instskip(NEXT) | instid1(VALU_DEP_2)
	v_add_f64_e64 v[1:2], v[58:59], -v[1:2]
	v_add_f64_e64 v[3:4], v[60:61], -v[3:4]
	scratch_store_b128 off, v[1:4], off offset:176
	v_cmpx_lt_u32_e32 10, v45
	s_cbranch_execz .LBB79_89
; %bb.88:
	scratch_load_b128 v[1:4], off, s20
	v_mov_b32_e32 v6, 0
	s_delay_alu instid0(VALU_DEP_1)
	v_dual_mov_b32 v7, v6 :: v_dual_mov_b32 v8, v6
	v_mov_b32_e32 v9, v6
	scratch_store_b128 off, v[6:9], off offset:160
	s_wait_loadcnt 0x0
	ds_store_b128 v5, v[1:4]
.LBB79_89:
	s_wait_alu 0xfffe
	s_or_b32 exec_lo, exec_lo, s2
	s_wait_storecnt_dscnt 0x0
	s_barrier_signal -1
	s_barrier_wait -1
	global_inv scope:SCOPE_SE
	s_clause 0x5
	scratch_load_b128 v[6:9], off, off offset:176
	scratch_load_b128 v[46:49], off, off offset:192
	;; [unrolled: 1-line block ×6, first 2 shown]
	v_mov_b32_e32 v1, 0
	ds_load_b128 v[66:69], v1 offset:432
	ds_load_b128 v[70:73], v1 offset:448
	s_mov_b32 s2, exec_lo
	s_wait_loadcnt_dscnt 0x501
	v_mul_f64_e32 v[2:3], v[68:69], v[8:9]
	v_mul_f64_e32 v[8:9], v[66:67], v[8:9]
	s_wait_loadcnt_dscnt 0x400
	v_mul_f64_e32 v[10:11], v[70:71], v[48:49]
	v_mul_f64_e32 v[48:49], v[72:73], v[48:49]
	s_delay_alu instid0(VALU_DEP_4) | instskip(NEXT) | instid1(VALU_DEP_4)
	v_fma_f64 v[2:3], v[66:67], v[6:7], -v[2:3]
	v_fma_f64 v[74:75], v[68:69], v[6:7], v[8:9]
	ds_load_b128 v[6:9], v1 offset:464
	ds_load_b128 v[66:69], v1 offset:480
	v_fma_f64 v[10:11], v[72:73], v[46:47], v[10:11]
	v_fma_f64 v[46:47], v[70:71], v[46:47], -v[48:49]
	s_wait_loadcnt_dscnt 0x301
	v_mul_f64_e32 v[76:77], v[6:7], v[52:53]
	v_mul_f64_e32 v[52:53], v[8:9], v[52:53]
	s_wait_loadcnt_dscnt 0x200
	v_mul_f64_e32 v[70:71], v[66:67], v[56:57]
	v_mul_f64_e32 v[56:57], v[68:69], v[56:57]
	v_add_f64_e32 v[2:3], 0, v[2:3]
	v_add_f64_e32 v[48:49], 0, v[74:75]
	v_fma_f64 v[72:73], v[8:9], v[50:51], v[76:77]
	v_fma_f64 v[50:51], v[6:7], v[50:51], -v[52:53]
	ds_load_b128 v[6:9], v1 offset:496
	v_fma_f64 v[52:53], v[68:69], v[54:55], v[70:71]
	v_fma_f64 v[54:55], v[66:67], v[54:55], -v[56:57]
	v_add_f64_e32 v[2:3], v[2:3], v[46:47]
	v_add_f64_e32 v[10:11], v[48:49], v[10:11]
	s_wait_loadcnt_dscnt 0x100
	v_mul_f64_e32 v[46:47], v[6:7], v[60:61]
	v_mul_f64_e32 v[48:49], v[8:9], v[60:61]
	s_delay_alu instid0(VALU_DEP_4) | instskip(NEXT) | instid1(VALU_DEP_4)
	v_add_f64_e32 v[2:3], v[2:3], v[50:51]
	v_add_f64_e32 v[10:11], v[10:11], v[72:73]
	s_delay_alu instid0(VALU_DEP_4) | instskip(NEXT) | instid1(VALU_DEP_4)
	v_fma_f64 v[8:9], v[8:9], v[58:59], v[46:47]
	v_fma_f64 v[6:7], v[6:7], v[58:59], -v[48:49]
	s_delay_alu instid0(VALU_DEP_4) | instskip(NEXT) | instid1(VALU_DEP_4)
	v_add_f64_e32 v[2:3], v[2:3], v[54:55]
	v_add_f64_e32 v[10:11], v[10:11], v[52:53]
	s_delay_alu instid0(VALU_DEP_2) | instskip(NEXT) | instid1(VALU_DEP_2)
	v_add_f64_e32 v[2:3], v[2:3], v[6:7]
	v_add_f64_e32 v[8:9], v[10:11], v[8:9]
	s_wait_loadcnt 0x0
	s_delay_alu instid0(VALU_DEP_2) | instskip(NEXT) | instid1(VALU_DEP_2)
	v_add_f64_e64 v[6:7], v[62:63], -v[2:3]
	v_add_f64_e64 v[8:9], v[64:65], -v[8:9]
	scratch_store_b128 off, v[6:9], off offset:160
	v_cmpx_lt_u32_e32 9, v45
	s_cbranch_execz .LBB79_91
; %bb.90:
	scratch_load_b128 v[6:9], off, s12
	v_dual_mov_b32 v2, v1 :: v_dual_mov_b32 v3, v1
	v_mov_b32_e32 v4, v1
	scratch_store_b128 off, v[1:4], off offset:144
	s_wait_loadcnt 0x0
	ds_store_b128 v5, v[6:9]
.LBB79_91:
	s_wait_alu 0xfffe
	s_or_b32 exec_lo, exec_lo, s2
	s_wait_storecnt_dscnt 0x0
	s_barrier_signal -1
	s_barrier_wait -1
	global_inv scope:SCOPE_SE
	s_clause 0x5
	scratch_load_b128 v[6:9], off, off offset:160
	scratch_load_b128 v[46:49], off, off offset:176
	;; [unrolled: 1-line block ×6, first 2 shown]
	ds_load_b128 v[66:69], v1 offset:416
	ds_load_b128 v[74:77], v1 offset:432
	scratch_load_b128 v[70:73], off, off offset:144
	s_mov_b32 s2, exec_lo
	s_wait_loadcnt_dscnt 0x601
	v_mul_f64_e32 v[2:3], v[68:69], v[8:9]
	v_mul_f64_e32 v[8:9], v[66:67], v[8:9]
	s_wait_loadcnt_dscnt 0x500
	v_mul_f64_e32 v[10:11], v[74:75], v[48:49]
	v_mul_f64_e32 v[48:49], v[76:77], v[48:49]
	s_delay_alu instid0(VALU_DEP_4) | instskip(NEXT) | instid1(VALU_DEP_4)
	v_fma_f64 v[2:3], v[66:67], v[6:7], -v[2:3]
	v_fma_f64 v[78:79], v[68:69], v[6:7], v[8:9]
	ds_load_b128 v[6:9], v1 offset:448
	ds_load_b128 v[66:69], v1 offset:464
	v_fma_f64 v[10:11], v[76:77], v[46:47], v[10:11]
	v_fma_f64 v[46:47], v[74:75], v[46:47], -v[48:49]
	s_wait_loadcnt_dscnt 0x401
	v_mul_f64_e32 v[80:81], v[6:7], v[52:53]
	v_mul_f64_e32 v[52:53], v[8:9], v[52:53]
	s_wait_loadcnt_dscnt 0x300
	v_mul_f64_e32 v[74:75], v[66:67], v[56:57]
	v_mul_f64_e32 v[56:57], v[68:69], v[56:57]
	v_add_f64_e32 v[2:3], 0, v[2:3]
	v_add_f64_e32 v[48:49], 0, v[78:79]
	v_fma_f64 v[76:77], v[8:9], v[50:51], v[80:81]
	v_fma_f64 v[50:51], v[6:7], v[50:51], -v[52:53]
	s_delay_alu instid0(VALU_DEP_4) | instskip(NEXT) | instid1(VALU_DEP_4)
	v_add_f64_e32 v[46:47], v[2:3], v[46:47]
	v_add_f64_e32 v[10:11], v[48:49], v[10:11]
	ds_load_b128 v[6:9], v1 offset:480
	ds_load_b128 v[1:4], v1 offset:496
	s_wait_loadcnt_dscnt 0x201
	v_mul_f64_e32 v[48:49], v[6:7], v[60:61]
	v_mul_f64_e32 v[52:53], v[8:9], v[60:61]
	v_fma_f64 v[60:61], v[68:69], v[54:55], v[74:75]
	v_fma_f64 v[54:55], v[66:67], v[54:55], -v[56:57]
	s_wait_loadcnt_dscnt 0x100
	v_mul_f64_e32 v[56:57], v[3:4], v[64:65]
	v_add_f64_e32 v[46:47], v[46:47], v[50:51]
	v_add_f64_e32 v[10:11], v[10:11], v[76:77]
	v_mul_f64_e32 v[50:51], v[1:2], v[64:65]
	v_fma_f64 v[8:9], v[8:9], v[58:59], v[48:49]
	v_fma_f64 v[6:7], v[6:7], v[58:59], -v[52:53]
	v_fma_f64 v[1:2], v[1:2], v[62:63], -v[56:57]
	v_add_f64_e32 v[46:47], v[46:47], v[54:55]
	v_add_f64_e32 v[10:11], v[10:11], v[60:61]
	v_fma_f64 v[3:4], v[3:4], v[62:63], v[50:51]
	s_delay_alu instid0(VALU_DEP_3) | instskip(NEXT) | instid1(VALU_DEP_3)
	v_add_f64_e32 v[6:7], v[46:47], v[6:7]
	v_add_f64_e32 v[8:9], v[10:11], v[8:9]
	s_delay_alu instid0(VALU_DEP_2) | instskip(NEXT) | instid1(VALU_DEP_2)
	v_add_f64_e32 v[1:2], v[6:7], v[1:2]
	v_add_f64_e32 v[3:4], v[8:9], v[3:4]
	s_wait_loadcnt 0x0
	s_delay_alu instid0(VALU_DEP_2) | instskip(NEXT) | instid1(VALU_DEP_2)
	v_add_f64_e64 v[1:2], v[70:71], -v[1:2]
	v_add_f64_e64 v[3:4], v[72:73], -v[3:4]
	scratch_store_b128 off, v[1:4], off offset:144
	v_cmpx_lt_u32_e32 8, v45
	s_cbranch_execz .LBB79_93
; %bb.92:
	scratch_load_b128 v[1:4], off, s19
	v_mov_b32_e32 v6, 0
	s_delay_alu instid0(VALU_DEP_1)
	v_dual_mov_b32 v7, v6 :: v_dual_mov_b32 v8, v6
	v_mov_b32_e32 v9, v6
	scratch_store_b128 off, v[6:9], off offset:128
	s_wait_loadcnt 0x0
	ds_store_b128 v5, v[1:4]
.LBB79_93:
	s_wait_alu 0xfffe
	s_or_b32 exec_lo, exec_lo, s2
	s_wait_storecnt_dscnt 0x0
	s_barrier_signal -1
	s_barrier_wait -1
	global_inv scope:SCOPE_SE
	s_clause 0x6
	scratch_load_b128 v[6:9], off, off offset:144
	scratch_load_b128 v[46:49], off, off offset:160
	;; [unrolled: 1-line block ×7, first 2 shown]
	v_mov_b32_e32 v1, 0
	scratch_load_b128 v[74:77], off, off offset:128
	s_mov_b32 s2, exec_lo
	ds_load_b128 v[70:73], v1 offset:400
	ds_load_b128 v[78:81], v1 offset:416
	s_wait_loadcnt_dscnt 0x701
	v_mul_f64_e32 v[2:3], v[72:73], v[8:9]
	v_mul_f64_e32 v[8:9], v[70:71], v[8:9]
	s_wait_loadcnt_dscnt 0x600
	v_mul_f64_e32 v[10:11], v[78:79], v[48:49]
	v_mul_f64_e32 v[48:49], v[80:81], v[48:49]
	s_delay_alu instid0(VALU_DEP_4) | instskip(NEXT) | instid1(VALU_DEP_4)
	v_fma_f64 v[2:3], v[70:71], v[6:7], -v[2:3]
	v_fma_f64 v[82:83], v[72:73], v[6:7], v[8:9]
	ds_load_b128 v[6:9], v1 offset:432
	ds_load_b128 v[70:73], v1 offset:448
	v_fma_f64 v[10:11], v[80:81], v[46:47], v[10:11]
	v_fma_f64 v[46:47], v[78:79], v[46:47], -v[48:49]
	s_wait_loadcnt_dscnt 0x501
	v_mul_f64_e32 v[84:85], v[6:7], v[52:53]
	v_mul_f64_e32 v[52:53], v[8:9], v[52:53]
	s_wait_loadcnt_dscnt 0x400
	v_mul_f64_e32 v[78:79], v[70:71], v[56:57]
	v_mul_f64_e32 v[56:57], v[72:73], v[56:57]
	v_add_f64_e32 v[2:3], 0, v[2:3]
	v_add_f64_e32 v[48:49], 0, v[82:83]
	v_fma_f64 v[80:81], v[8:9], v[50:51], v[84:85]
	v_fma_f64 v[50:51], v[6:7], v[50:51], -v[52:53]
	v_fma_f64 v[72:73], v[72:73], v[54:55], v[78:79]
	v_fma_f64 v[54:55], v[70:71], v[54:55], -v[56:57]
	v_add_f64_e32 v[2:3], v[2:3], v[46:47]
	v_add_f64_e32 v[10:11], v[48:49], v[10:11]
	ds_load_b128 v[6:9], v1 offset:464
	ds_load_b128 v[46:49], v1 offset:480
	s_wait_loadcnt_dscnt 0x301
	v_mul_f64_e32 v[52:53], v[6:7], v[60:61]
	v_mul_f64_e32 v[60:61], v[8:9], v[60:61]
	s_wait_loadcnt_dscnt 0x200
	v_mul_f64_e32 v[56:57], v[48:49], v[64:65]
	v_add_f64_e32 v[2:3], v[2:3], v[50:51]
	v_add_f64_e32 v[10:11], v[10:11], v[80:81]
	v_mul_f64_e32 v[50:51], v[46:47], v[64:65]
	v_fma_f64 v[52:53], v[8:9], v[58:59], v[52:53]
	v_fma_f64 v[58:59], v[6:7], v[58:59], -v[60:61]
	ds_load_b128 v[6:9], v1 offset:496
	v_fma_f64 v[46:47], v[46:47], v[62:63], -v[56:57]
	v_add_f64_e32 v[2:3], v[2:3], v[54:55]
	v_add_f64_e32 v[10:11], v[10:11], v[72:73]
	v_fma_f64 v[48:49], v[48:49], v[62:63], v[50:51]
	s_wait_loadcnt_dscnt 0x100
	v_mul_f64_e32 v[54:55], v[6:7], v[68:69]
	v_mul_f64_e32 v[60:61], v[8:9], v[68:69]
	v_add_f64_e32 v[2:3], v[2:3], v[58:59]
	v_add_f64_e32 v[10:11], v[10:11], v[52:53]
	s_delay_alu instid0(VALU_DEP_4) | instskip(NEXT) | instid1(VALU_DEP_4)
	v_fma_f64 v[8:9], v[8:9], v[66:67], v[54:55]
	v_fma_f64 v[6:7], v[6:7], v[66:67], -v[60:61]
	s_delay_alu instid0(VALU_DEP_4) | instskip(NEXT) | instid1(VALU_DEP_4)
	v_add_f64_e32 v[2:3], v[2:3], v[46:47]
	v_add_f64_e32 v[10:11], v[10:11], v[48:49]
	s_delay_alu instid0(VALU_DEP_2) | instskip(NEXT) | instid1(VALU_DEP_2)
	v_add_f64_e32 v[2:3], v[2:3], v[6:7]
	v_add_f64_e32 v[8:9], v[10:11], v[8:9]
	s_wait_loadcnt 0x0
	s_delay_alu instid0(VALU_DEP_2) | instskip(NEXT) | instid1(VALU_DEP_2)
	v_add_f64_e64 v[6:7], v[74:75], -v[2:3]
	v_add_f64_e64 v[8:9], v[76:77], -v[8:9]
	scratch_store_b128 off, v[6:9], off offset:128
	v_cmpx_lt_u32_e32 7, v45
	s_cbranch_execz .LBB79_95
; %bb.94:
	scratch_load_b128 v[6:9], off, s5
	v_dual_mov_b32 v2, v1 :: v_dual_mov_b32 v3, v1
	v_mov_b32_e32 v4, v1
	scratch_store_b128 off, v[1:4], off offset:112
	s_wait_loadcnt 0x0
	ds_store_b128 v5, v[6:9]
.LBB79_95:
	s_wait_alu 0xfffe
	s_or_b32 exec_lo, exec_lo, s2
	s_wait_storecnt_dscnt 0x0
	s_barrier_signal -1
	s_barrier_wait -1
	global_inv scope:SCOPE_SE
	s_clause 0x7
	scratch_load_b128 v[6:9], off, off offset:128
	scratch_load_b128 v[46:49], off, off offset:144
	;; [unrolled: 1-line block ×8, first 2 shown]
	ds_load_b128 v[74:77], v1 offset:384
	ds_load_b128 v[78:81], v1 offset:400
	scratch_load_b128 v[82:85], off, off offset:112
	s_mov_b32 s2, exec_lo
	s_wait_loadcnt_dscnt 0x801
	v_mul_f64_e32 v[2:3], v[76:77], v[8:9]
	v_mul_f64_e32 v[8:9], v[74:75], v[8:9]
	s_wait_loadcnt_dscnt 0x700
	v_mul_f64_e32 v[10:11], v[78:79], v[48:49]
	v_mul_f64_e32 v[48:49], v[80:81], v[48:49]
	s_delay_alu instid0(VALU_DEP_4) | instskip(NEXT) | instid1(VALU_DEP_4)
	v_fma_f64 v[2:3], v[74:75], v[6:7], -v[2:3]
	v_fma_f64 v[86:87], v[76:77], v[6:7], v[8:9]
	ds_load_b128 v[6:9], v1 offset:416
	ds_load_b128 v[74:77], v1 offset:432
	v_fma_f64 v[10:11], v[80:81], v[46:47], v[10:11]
	v_fma_f64 v[46:47], v[78:79], v[46:47], -v[48:49]
	s_wait_loadcnt_dscnt 0x601
	v_mul_f64_e32 v[88:89], v[6:7], v[52:53]
	v_mul_f64_e32 v[52:53], v[8:9], v[52:53]
	s_wait_loadcnt_dscnt 0x500
	v_mul_f64_e32 v[78:79], v[74:75], v[56:57]
	v_mul_f64_e32 v[56:57], v[76:77], v[56:57]
	v_add_f64_e32 v[2:3], 0, v[2:3]
	v_add_f64_e32 v[48:49], 0, v[86:87]
	v_fma_f64 v[80:81], v[8:9], v[50:51], v[88:89]
	v_fma_f64 v[50:51], v[6:7], v[50:51], -v[52:53]
	v_fma_f64 v[76:77], v[76:77], v[54:55], v[78:79]
	v_fma_f64 v[54:55], v[74:75], v[54:55], -v[56:57]
	v_add_f64_e32 v[2:3], v[2:3], v[46:47]
	v_add_f64_e32 v[10:11], v[48:49], v[10:11]
	ds_load_b128 v[6:9], v1 offset:448
	ds_load_b128 v[46:49], v1 offset:464
	s_wait_loadcnt_dscnt 0x401
	v_mul_f64_e32 v[52:53], v[6:7], v[60:61]
	v_mul_f64_e32 v[60:61], v[8:9], v[60:61]
	s_wait_loadcnt_dscnt 0x300
	v_mul_f64_e32 v[56:57], v[48:49], v[64:65]
	v_add_f64_e32 v[2:3], v[2:3], v[50:51]
	v_add_f64_e32 v[10:11], v[10:11], v[80:81]
	v_mul_f64_e32 v[50:51], v[46:47], v[64:65]
	v_fma_f64 v[52:53], v[8:9], v[58:59], v[52:53]
	v_fma_f64 v[58:59], v[6:7], v[58:59], -v[60:61]
	v_fma_f64 v[46:47], v[46:47], v[62:63], -v[56:57]
	v_add_f64_e32 v[54:55], v[2:3], v[54:55]
	v_add_f64_e32 v[10:11], v[10:11], v[76:77]
	ds_load_b128 v[6:9], v1 offset:480
	ds_load_b128 v[1:4], v1 offset:496
	v_fma_f64 v[48:49], v[48:49], v[62:63], v[50:51]
	s_wait_loadcnt_dscnt 0x201
	v_mul_f64_e32 v[60:61], v[6:7], v[68:69]
	v_mul_f64_e32 v[64:65], v[8:9], v[68:69]
	v_add_f64_e32 v[50:51], v[54:55], v[58:59]
	v_add_f64_e32 v[10:11], v[10:11], v[52:53]
	s_wait_loadcnt_dscnt 0x100
	v_mul_f64_e32 v[52:53], v[1:2], v[72:73]
	v_mul_f64_e32 v[54:55], v[3:4], v[72:73]
	v_fma_f64 v[8:9], v[8:9], v[66:67], v[60:61]
	v_fma_f64 v[6:7], v[6:7], v[66:67], -v[64:65]
	v_add_f64_e32 v[46:47], v[50:51], v[46:47]
	v_add_f64_e32 v[10:11], v[10:11], v[48:49]
	v_fma_f64 v[3:4], v[3:4], v[70:71], v[52:53]
	v_fma_f64 v[1:2], v[1:2], v[70:71], -v[54:55]
	s_delay_alu instid0(VALU_DEP_4) | instskip(NEXT) | instid1(VALU_DEP_4)
	v_add_f64_e32 v[6:7], v[46:47], v[6:7]
	v_add_f64_e32 v[8:9], v[10:11], v[8:9]
	s_delay_alu instid0(VALU_DEP_2) | instskip(NEXT) | instid1(VALU_DEP_2)
	v_add_f64_e32 v[1:2], v[6:7], v[1:2]
	v_add_f64_e32 v[3:4], v[8:9], v[3:4]
	s_wait_loadcnt 0x0
	s_delay_alu instid0(VALU_DEP_2) | instskip(NEXT) | instid1(VALU_DEP_2)
	v_add_f64_e64 v[1:2], v[82:83], -v[1:2]
	v_add_f64_e64 v[3:4], v[84:85], -v[3:4]
	scratch_store_b128 off, v[1:4], off offset:112
	v_cmpx_lt_u32_e32 6, v45
	s_cbranch_execz .LBB79_97
; %bb.96:
	scratch_load_b128 v[1:4], off, s18
	v_mov_b32_e32 v6, 0
	s_delay_alu instid0(VALU_DEP_1)
	v_dual_mov_b32 v7, v6 :: v_dual_mov_b32 v8, v6
	v_mov_b32_e32 v9, v6
	scratch_store_b128 off, v[6:9], off offset:96
	s_wait_loadcnt 0x0
	ds_store_b128 v5, v[1:4]
.LBB79_97:
	s_wait_alu 0xfffe
	s_or_b32 exec_lo, exec_lo, s2
	s_wait_storecnt_dscnt 0x0
	s_barrier_signal -1
	s_barrier_wait -1
	global_inv scope:SCOPE_SE
	s_clause 0x7
	scratch_load_b128 v[6:9], off, off offset:112
	scratch_load_b128 v[46:49], off, off offset:128
	;; [unrolled: 1-line block ×8, first 2 shown]
	v_mov_b32_e32 v1, 0
	s_mov_b32 s2, exec_lo
	ds_load_b128 v[74:77], v1 offset:368
	s_clause 0x1
	scratch_load_b128 v[78:81], off, off offset:240
	scratch_load_b128 v[82:85], off, off offset:96
	ds_load_b128 v[86:89], v1 offset:384
	s_wait_loadcnt_dscnt 0x901
	v_mul_f64_e32 v[2:3], v[76:77], v[8:9]
	v_mul_f64_e32 v[8:9], v[74:75], v[8:9]
	s_wait_loadcnt_dscnt 0x800
	v_mul_f64_e32 v[10:11], v[86:87], v[48:49]
	v_mul_f64_e32 v[48:49], v[88:89], v[48:49]
	s_delay_alu instid0(VALU_DEP_4) | instskip(NEXT) | instid1(VALU_DEP_4)
	v_fma_f64 v[2:3], v[74:75], v[6:7], -v[2:3]
	v_fma_f64 v[90:91], v[76:77], v[6:7], v[8:9]
	ds_load_b128 v[6:9], v1 offset:400
	ds_load_b128 v[74:77], v1 offset:416
	v_fma_f64 v[10:11], v[88:89], v[46:47], v[10:11]
	v_fma_f64 v[46:47], v[86:87], v[46:47], -v[48:49]
	s_wait_loadcnt_dscnt 0x701
	v_mul_f64_e32 v[92:93], v[6:7], v[52:53]
	v_mul_f64_e32 v[52:53], v[8:9], v[52:53]
	s_wait_loadcnt_dscnt 0x600
	v_mul_f64_e32 v[86:87], v[74:75], v[56:57]
	v_mul_f64_e32 v[56:57], v[76:77], v[56:57]
	v_add_f64_e32 v[2:3], 0, v[2:3]
	v_add_f64_e32 v[48:49], 0, v[90:91]
	v_fma_f64 v[88:89], v[8:9], v[50:51], v[92:93]
	v_fma_f64 v[50:51], v[6:7], v[50:51], -v[52:53]
	v_fma_f64 v[76:77], v[76:77], v[54:55], v[86:87]
	v_fma_f64 v[54:55], v[74:75], v[54:55], -v[56:57]
	v_add_f64_e32 v[2:3], v[2:3], v[46:47]
	v_add_f64_e32 v[10:11], v[48:49], v[10:11]
	ds_load_b128 v[6:9], v1 offset:432
	ds_load_b128 v[46:49], v1 offset:448
	s_wait_loadcnt_dscnt 0x501
	v_mul_f64_e32 v[52:53], v[6:7], v[60:61]
	v_mul_f64_e32 v[60:61], v[8:9], v[60:61]
	s_wait_loadcnt_dscnt 0x400
	v_mul_f64_e32 v[56:57], v[46:47], v[64:65]
	v_mul_f64_e32 v[64:65], v[48:49], v[64:65]
	v_add_f64_e32 v[2:3], v[2:3], v[50:51]
	v_add_f64_e32 v[10:11], v[10:11], v[88:89]
	v_fma_f64 v[74:75], v[8:9], v[58:59], v[52:53]
	v_fma_f64 v[58:59], v[6:7], v[58:59], -v[60:61]
	ds_load_b128 v[6:9], v1 offset:464
	ds_load_b128 v[50:53], v1 offset:480
	v_fma_f64 v[48:49], v[48:49], v[62:63], v[56:57]
	v_fma_f64 v[46:47], v[46:47], v[62:63], -v[64:65]
	v_add_f64_e32 v[2:3], v[2:3], v[54:55]
	v_add_f64_e32 v[10:11], v[10:11], v[76:77]
	s_wait_loadcnt_dscnt 0x301
	v_mul_f64_e32 v[54:55], v[6:7], v[68:69]
	v_mul_f64_e32 v[60:61], v[8:9], v[68:69]
	s_wait_loadcnt_dscnt 0x200
	v_mul_f64_e32 v[56:57], v[50:51], v[72:73]
	v_add_f64_e32 v[2:3], v[2:3], v[58:59]
	v_add_f64_e32 v[10:11], v[10:11], v[74:75]
	v_mul_f64_e32 v[58:59], v[52:53], v[72:73]
	v_fma_f64 v[54:55], v[8:9], v[66:67], v[54:55]
	v_fma_f64 v[60:61], v[6:7], v[66:67], -v[60:61]
	ds_load_b128 v[6:9], v1 offset:496
	v_fma_f64 v[52:53], v[52:53], v[70:71], v[56:57]
	v_add_f64_e32 v[2:3], v[2:3], v[46:47]
	v_add_f64_e32 v[10:11], v[10:11], v[48:49]
	s_wait_loadcnt_dscnt 0x100
	v_mul_f64_e32 v[46:47], v[6:7], v[80:81]
	v_mul_f64_e32 v[48:49], v[8:9], v[80:81]
	v_fma_f64 v[50:51], v[50:51], v[70:71], -v[58:59]
	v_add_f64_e32 v[2:3], v[2:3], v[60:61]
	v_add_f64_e32 v[10:11], v[10:11], v[54:55]
	v_fma_f64 v[8:9], v[8:9], v[78:79], v[46:47]
	v_fma_f64 v[6:7], v[6:7], v[78:79], -v[48:49]
	s_delay_alu instid0(VALU_DEP_4) | instskip(NEXT) | instid1(VALU_DEP_4)
	v_add_f64_e32 v[2:3], v[2:3], v[50:51]
	v_add_f64_e32 v[10:11], v[10:11], v[52:53]
	s_delay_alu instid0(VALU_DEP_2) | instskip(NEXT) | instid1(VALU_DEP_2)
	v_add_f64_e32 v[2:3], v[2:3], v[6:7]
	v_add_f64_e32 v[8:9], v[10:11], v[8:9]
	s_wait_loadcnt 0x0
	s_delay_alu instid0(VALU_DEP_2) | instskip(NEXT) | instid1(VALU_DEP_2)
	v_add_f64_e64 v[6:7], v[82:83], -v[2:3]
	v_add_f64_e64 v[8:9], v[84:85], -v[8:9]
	scratch_store_b128 off, v[6:9], off offset:96
	v_cmpx_lt_u32_e32 5, v45
	s_cbranch_execz .LBB79_99
; %bb.98:
	scratch_load_b128 v[6:9], off, s4
	v_dual_mov_b32 v2, v1 :: v_dual_mov_b32 v3, v1
	v_mov_b32_e32 v4, v1
	scratch_store_b128 off, v[1:4], off offset:80
	s_wait_loadcnt 0x0
	ds_store_b128 v5, v[6:9]
.LBB79_99:
	s_wait_alu 0xfffe
	s_or_b32 exec_lo, exec_lo, s2
	s_wait_storecnt_dscnt 0x0
	s_barrier_signal -1
	s_barrier_wait -1
	global_inv scope:SCOPE_SE
	s_clause 0x8
	scratch_load_b128 v[6:9], off, off offset:96
	scratch_load_b128 v[46:49], off, off offset:112
	;; [unrolled: 1-line block ×9, first 2 shown]
	ds_load_b128 v[78:81], v1 offset:352
	ds_load_b128 v[82:85], v1 offset:368
	scratch_load_b128 v[86:89], off, off offset:80
	s_mov_b32 s2, exec_lo
	s_wait_loadcnt_dscnt 0x901
	v_mul_f64_e32 v[2:3], v[80:81], v[8:9]
	v_mul_f64_e32 v[90:91], v[78:79], v[8:9]
	scratch_load_b128 v[8:11], off, off offset:240
	s_wait_loadcnt_dscnt 0x900
	v_mul_f64_e32 v[94:95], v[82:83], v[48:49]
	v_mul_f64_e32 v[48:49], v[84:85], v[48:49]
	v_fma_f64 v[2:3], v[78:79], v[6:7], -v[2:3]
	v_fma_f64 v[6:7], v[80:81], v[6:7], v[90:91]
	ds_load_b128 v[78:81], v1 offset:384
	ds_load_b128 v[90:93], v1 offset:400
	v_fma_f64 v[84:85], v[84:85], v[46:47], v[94:95]
	v_fma_f64 v[46:47], v[82:83], v[46:47], -v[48:49]
	s_wait_loadcnt_dscnt 0x801
	v_mul_f64_e32 v[96:97], v[78:79], v[52:53]
	v_mul_f64_e32 v[52:53], v[80:81], v[52:53]
	s_wait_loadcnt_dscnt 0x700
	v_mul_f64_e32 v[82:83], v[90:91], v[56:57]
	v_mul_f64_e32 v[56:57], v[92:93], v[56:57]
	v_add_f64_e32 v[2:3], 0, v[2:3]
	v_add_f64_e32 v[6:7], 0, v[6:7]
	v_fma_f64 v[80:81], v[80:81], v[50:51], v[96:97]
	v_fma_f64 v[78:79], v[78:79], v[50:51], -v[52:53]
	v_fma_f64 v[82:83], v[92:93], v[54:55], v[82:83]
	v_fma_f64 v[54:55], v[90:91], v[54:55], -v[56:57]
	v_add_f64_e32 v[2:3], v[2:3], v[46:47]
	v_add_f64_e32 v[6:7], v[6:7], v[84:85]
	ds_load_b128 v[46:49], v1 offset:416
	ds_load_b128 v[50:53], v1 offset:432
	s_wait_loadcnt_dscnt 0x601
	v_mul_f64_e32 v[84:85], v[46:47], v[60:61]
	v_mul_f64_e32 v[60:61], v[48:49], v[60:61]
	v_add_f64_e32 v[2:3], v[2:3], v[78:79]
	v_add_f64_e32 v[6:7], v[6:7], v[80:81]
	s_wait_loadcnt_dscnt 0x500
	v_mul_f64_e32 v[78:79], v[50:51], v[64:65]
	v_mul_f64_e32 v[64:65], v[52:53], v[64:65]
	v_fma_f64 v[80:81], v[48:49], v[58:59], v[84:85]
	v_fma_f64 v[58:59], v[46:47], v[58:59], -v[60:61]
	v_add_f64_e32 v[2:3], v[2:3], v[54:55]
	v_add_f64_e32 v[6:7], v[6:7], v[82:83]
	ds_load_b128 v[46:49], v1 offset:448
	ds_load_b128 v[54:57], v1 offset:464
	v_fma_f64 v[52:53], v[52:53], v[62:63], v[78:79]
	v_fma_f64 v[50:51], v[50:51], v[62:63], -v[64:65]
	s_wait_loadcnt_dscnt 0x401
	v_mul_f64_e32 v[60:61], v[46:47], v[68:69]
	v_mul_f64_e32 v[68:69], v[48:49], v[68:69]
	s_wait_loadcnt_dscnt 0x300
	v_mul_f64_e32 v[62:63], v[56:57], v[72:73]
	v_add_f64_e32 v[2:3], v[2:3], v[58:59]
	v_add_f64_e32 v[6:7], v[6:7], v[80:81]
	v_mul_f64_e32 v[58:59], v[54:55], v[72:73]
	v_fma_f64 v[60:61], v[48:49], v[66:67], v[60:61]
	v_fma_f64 v[64:65], v[46:47], v[66:67], -v[68:69]
	v_fma_f64 v[54:55], v[54:55], v[70:71], -v[62:63]
	v_add_f64_e32 v[50:51], v[2:3], v[50:51]
	v_add_f64_e32 v[6:7], v[6:7], v[52:53]
	ds_load_b128 v[46:49], v1 offset:480
	ds_load_b128 v[1:4], v1 offset:496
	v_fma_f64 v[56:57], v[56:57], v[70:71], v[58:59]
	s_wait_loadcnt_dscnt 0x201
	v_mul_f64_e32 v[52:53], v[46:47], v[76:77]
	v_mul_f64_e32 v[66:67], v[48:49], v[76:77]
	v_add_f64_e32 v[50:51], v[50:51], v[64:65]
	v_add_f64_e32 v[6:7], v[6:7], v[60:61]
	s_wait_loadcnt_dscnt 0x0
	v_mul_f64_e32 v[58:59], v[1:2], v[10:11]
	v_mul_f64_e32 v[10:11], v[3:4], v[10:11]
	v_fma_f64 v[48:49], v[48:49], v[74:75], v[52:53]
	v_fma_f64 v[46:47], v[46:47], v[74:75], -v[66:67]
	v_add_f64_e32 v[50:51], v[50:51], v[54:55]
	v_add_f64_e32 v[6:7], v[6:7], v[56:57]
	v_fma_f64 v[3:4], v[3:4], v[8:9], v[58:59]
	v_fma_f64 v[1:2], v[1:2], v[8:9], -v[10:11]
	s_delay_alu instid0(VALU_DEP_4) | instskip(NEXT) | instid1(VALU_DEP_4)
	v_add_f64_e32 v[8:9], v[50:51], v[46:47]
	v_add_f64_e32 v[6:7], v[6:7], v[48:49]
	s_delay_alu instid0(VALU_DEP_2) | instskip(NEXT) | instid1(VALU_DEP_2)
	v_add_f64_e32 v[1:2], v[8:9], v[1:2]
	v_add_f64_e32 v[3:4], v[6:7], v[3:4]
	s_delay_alu instid0(VALU_DEP_2) | instskip(NEXT) | instid1(VALU_DEP_2)
	v_add_f64_e64 v[1:2], v[86:87], -v[1:2]
	v_add_f64_e64 v[3:4], v[88:89], -v[3:4]
	scratch_store_b128 off, v[1:4], off offset:80
	v_cmpx_lt_u32_e32 4, v45
	s_cbranch_execz .LBB79_101
; %bb.100:
	scratch_load_b128 v[1:4], off, s17
	v_mov_b32_e32 v6, 0
	s_delay_alu instid0(VALU_DEP_1)
	v_dual_mov_b32 v7, v6 :: v_dual_mov_b32 v8, v6
	v_mov_b32_e32 v9, v6
	scratch_store_b128 off, v[6:9], off offset:64
	s_wait_loadcnt 0x0
	ds_store_b128 v5, v[1:4]
.LBB79_101:
	s_wait_alu 0xfffe
	s_or_b32 exec_lo, exec_lo, s2
	s_wait_storecnt_dscnt 0x0
	s_barrier_signal -1
	s_barrier_wait -1
	global_inv scope:SCOPE_SE
	s_clause 0x7
	scratch_load_b128 v[6:9], off, off offset:80
	scratch_load_b128 v[46:49], off, off offset:96
	;; [unrolled: 1-line block ×8, first 2 shown]
	v_mov_b32_e32 v1, 0
	s_mov_b32 s2, exec_lo
	ds_load_b128 v[74:77], v1 offset:336
	s_clause 0x1
	scratch_load_b128 v[78:81], off, off offset:208
	scratch_load_b128 v[82:85], off, off offset:64
	ds_load_b128 v[86:89], v1 offset:352
	ds_load_b128 v[94:97], v1 offset:384
	s_wait_loadcnt_dscnt 0x902
	v_mul_f64_e32 v[2:3], v[76:77], v[8:9]
	v_mul_f64_e32 v[90:91], v[74:75], v[8:9]
	scratch_load_b128 v[8:11], off, off offset:224
	v_fma_f64 v[2:3], v[74:75], v[6:7], -v[2:3]
	v_fma_f64 v[6:7], v[76:77], v[6:7], v[90:91]
	ds_load_b128 v[74:77], v1 offset:368
	s_wait_loadcnt_dscnt 0x902
	v_mul_f64_e32 v[98:99], v[86:87], v[48:49]
	v_mul_f64_e32 v[48:49], v[88:89], v[48:49]
	scratch_load_b128 v[90:93], off, off offset:240
	s_wait_loadcnt_dscnt 0x900
	v_mul_f64_e32 v[100:101], v[74:75], v[52:53]
	v_mul_f64_e32 v[52:53], v[76:77], v[52:53]
	v_add_f64_e32 v[2:3], 0, v[2:3]
	v_add_f64_e32 v[6:7], 0, v[6:7]
	v_fma_f64 v[88:89], v[88:89], v[46:47], v[98:99]
	v_fma_f64 v[46:47], v[86:87], v[46:47], -v[48:49]
	s_wait_loadcnt 0x8
	v_mul_f64_e32 v[86:87], v[94:95], v[56:57]
	v_mul_f64_e32 v[56:57], v[96:97], v[56:57]
	v_fma_f64 v[76:77], v[76:77], v[50:51], v[100:101]
	v_fma_f64 v[74:75], v[74:75], v[50:51], -v[52:53]
	v_add_f64_e32 v[6:7], v[6:7], v[88:89]
	v_add_f64_e32 v[2:3], v[2:3], v[46:47]
	ds_load_b128 v[46:49], v1 offset:400
	ds_load_b128 v[50:53], v1 offset:416
	v_fma_f64 v[86:87], v[96:97], v[54:55], v[86:87]
	v_fma_f64 v[54:55], v[94:95], v[54:55], -v[56:57]
	s_wait_loadcnt_dscnt 0x701
	v_mul_f64_e32 v[88:89], v[46:47], v[60:61]
	v_mul_f64_e32 v[60:61], v[48:49], v[60:61]
	v_add_f64_e32 v[6:7], v[6:7], v[76:77]
	v_add_f64_e32 v[2:3], v[2:3], v[74:75]
	s_wait_loadcnt_dscnt 0x600
	v_mul_f64_e32 v[74:75], v[50:51], v[64:65]
	v_mul_f64_e32 v[64:65], v[52:53], v[64:65]
	v_fma_f64 v[76:77], v[48:49], v[58:59], v[88:89]
	v_fma_f64 v[58:59], v[46:47], v[58:59], -v[60:61]
	v_add_f64_e32 v[6:7], v[6:7], v[86:87]
	v_add_f64_e32 v[2:3], v[2:3], v[54:55]
	ds_load_b128 v[46:49], v1 offset:432
	ds_load_b128 v[54:57], v1 offset:448
	v_fma_f64 v[52:53], v[52:53], v[62:63], v[74:75]
	v_fma_f64 v[50:51], v[50:51], v[62:63], -v[64:65]
	s_wait_loadcnt_dscnt 0x501
	v_mul_f64_e32 v[60:61], v[46:47], v[68:69]
	v_mul_f64_e32 v[68:69], v[48:49], v[68:69]
	s_wait_loadcnt_dscnt 0x400
	v_mul_f64_e32 v[62:63], v[56:57], v[72:73]
	v_add_f64_e32 v[6:7], v[6:7], v[76:77]
	v_add_f64_e32 v[2:3], v[2:3], v[58:59]
	v_mul_f64_e32 v[58:59], v[54:55], v[72:73]
	v_fma_f64 v[60:61], v[48:49], v[66:67], v[60:61]
	v_fma_f64 v[64:65], v[46:47], v[66:67], -v[68:69]
	v_fma_f64 v[54:55], v[54:55], v[70:71], -v[62:63]
	v_add_f64_e32 v[6:7], v[6:7], v[52:53]
	v_add_f64_e32 v[2:3], v[2:3], v[50:51]
	ds_load_b128 v[46:49], v1 offset:464
	ds_load_b128 v[50:53], v1 offset:480
	v_fma_f64 v[56:57], v[56:57], v[70:71], v[58:59]
	s_wait_loadcnt_dscnt 0x301
	v_mul_f64_e32 v[66:67], v[46:47], v[80:81]
	v_mul_f64_e32 v[68:69], v[48:49], v[80:81]
	v_add_f64_e32 v[6:7], v[6:7], v[60:61]
	v_add_f64_e32 v[2:3], v[2:3], v[64:65]
	s_wait_loadcnt_dscnt 0x100
	v_mul_f64_e32 v[58:59], v[50:51], v[10:11]
	v_mul_f64_e32 v[10:11], v[52:53], v[10:11]
	v_fma_f64 v[60:61], v[48:49], v[78:79], v[66:67]
	v_fma_f64 v[62:63], v[46:47], v[78:79], -v[68:69]
	ds_load_b128 v[46:49], v1 offset:496
	v_add_f64_e32 v[6:7], v[6:7], v[56:57]
	v_add_f64_e32 v[2:3], v[2:3], v[54:55]
	v_fma_f64 v[52:53], v[52:53], v[8:9], v[58:59]
	v_fma_f64 v[8:9], v[50:51], v[8:9], -v[10:11]
	s_wait_loadcnt_dscnt 0x0
	v_mul_f64_e32 v[54:55], v[46:47], v[92:93]
	v_mul_f64_e32 v[56:57], v[48:49], v[92:93]
	v_add_f64_e32 v[6:7], v[6:7], v[60:61]
	v_add_f64_e32 v[2:3], v[2:3], v[62:63]
	s_delay_alu instid0(VALU_DEP_4) | instskip(NEXT) | instid1(VALU_DEP_4)
	v_fma_f64 v[10:11], v[48:49], v[90:91], v[54:55]
	v_fma_f64 v[46:47], v[46:47], v[90:91], -v[56:57]
	s_delay_alu instid0(VALU_DEP_4) | instskip(NEXT) | instid1(VALU_DEP_4)
	v_add_f64_e32 v[6:7], v[6:7], v[52:53]
	v_add_f64_e32 v[2:3], v[2:3], v[8:9]
	s_delay_alu instid0(VALU_DEP_2) | instskip(NEXT) | instid1(VALU_DEP_2)
	v_add_f64_e32 v[8:9], v[6:7], v[10:11]
	v_add_f64_e32 v[2:3], v[2:3], v[46:47]
	s_delay_alu instid0(VALU_DEP_2) | instskip(NEXT) | instid1(VALU_DEP_2)
	v_add_f64_e64 v[8:9], v[84:85], -v[8:9]
	v_add_f64_e64 v[6:7], v[82:83], -v[2:3]
	scratch_store_b128 off, v[6:9], off offset:64
	v_cmpx_lt_u32_e32 3, v45
	s_cbranch_execz .LBB79_103
; %bb.102:
	scratch_load_b128 v[6:9], off, s16
	v_dual_mov_b32 v2, v1 :: v_dual_mov_b32 v3, v1
	v_mov_b32_e32 v4, v1
	scratch_store_b128 off, v[1:4], off offset:48
	s_wait_loadcnt 0x0
	ds_store_b128 v5, v[6:9]
.LBB79_103:
	s_wait_alu 0xfffe
	s_or_b32 exec_lo, exec_lo, s2
	s_wait_storecnt_dscnt 0x0
	s_barrier_signal -1
	s_barrier_wait -1
	global_inv scope:SCOPE_SE
	s_clause 0x8
	scratch_load_b128 v[6:9], off, off offset:64
	scratch_load_b128 v[46:49], off, off offset:80
	;; [unrolled: 1-line block ×9, first 2 shown]
	ds_load_b128 v[78:81], v1 offset:320
	ds_load_b128 v[82:85], v1 offset:336
	scratch_load_b128 v[86:89], off, off offset:48
	s_mov_b32 s2, exec_lo
	ds_load_b128 v[94:97], v1 offset:368
	s_wait_loadcnt_dscnt 0x902
	v_mul_f64_e32 v[2:3], v[80:81], v[8:9]
	v_mul_f64_e32 v[90:91], v[78:79], v[8:9]
	scratch_load_b128 v[8:11], off, off offset:208
	s_wait_loadcnt_dscnt 0x901
	v_mul_f64_e32 v[98:99], v[82:83], v[48:49]
	v_mul_f64_e32 v[48:49], v[84:85], v[48:49]
	v_fma_f64 v[2:3], v[78:79], v[6:7], -v[2:3]
	v_fma_f64 v[6:7], v[80:81], v[6:7], v[90:91]
	ds_load_b128 v[78:81], v1 offset:352
	scratch_load_b128 v[90:93], off, off offset:224
	v_fma_f64 v[84:85], v[84:85], v[46:47], v[98:99]
	v_fma_f64 v[82:83], v[82:83], v[46:47], -v[48:49]
	scratch_load_b128 v[46:49], off, off offset:240
	s_wait_loadcnt_dscnt 0x901
	v_mul_f64_e32 v[98:99], v[94:95], v[56:57]
	v_mul_f64_e32 v[56:57], v[96:97], v[56:57]
	s_wait_dscnt 0x0
	v_mul_f64_e32 v[100:101], v[78:79], v[52:53]
	v_mul_f64_e32 v[52:53], v[80:81], v[52:53]
	v_add_f64_e32 v[2:3], 0, v[2:3]
	v_add_f64_e32 v[6:7], 0, v[6:7]
	s_delay_alu instid0(VALU_DEP_4) | instskip(NEXT) | instid1(VALU_DEP_4)
	v_fma_f64 v[100:101], v[80:81], v[50:51], v[100:101]
	v_fma_f64 v[102:103], v[78:79], v[50:51], -v[52:53]
	ds_load_b128 v[50:53], v1 offset:384
	ds_load_b128 v[78:81], v1 offset:400
	v_add_f64_e32 v[2:3], v[2:3], v[82:83]
	v_add_f64_e32 v[6:7], v[6:7], v[84:85]
	v_fma_f64 v[84:85], v[96:97], v[54:55], v[98:99]
	v_fma_f64 v[54:55], v[94:95], v[54:55], -v[56:57]
	s_wait_loadcnt_dscnt 0x801
	v_mul_f64_e32 v[82:83], v[50:51], v[60:61]
	v_mul_f64_e32 v[60:61], v[52:53], v[60:61]
	s_wait_loadcnt_dscnt 0x700
	v_mul_f64_e32 v[94:95], v[78:79], v[64:65]
	v_mul_f64_e32 v[64:65], v[80:81], v[64:65]
	v_add_f64_e32 v[2:3], v[2:3], v[102:103]
	v_add_f64_e32 v[6:7], v[6:7], v[100:101]
	v_fma_f64 v[82:83], v[52:53], v[58:59], v[82:83]
	v_fma_f64 v[58:59], v[50:51], v[58:59], -v[60:61]
	v_fma_f64 v[80:81], v[80:81], v[62:63], v[94:95]
	v_fma_f64 v[62:63], v[78:79], v[62:63], -v[64:65]
	v_add_f64_e32 v[2:3], v[2:3], v[54:55]
	v_add_f64_e32 v[6:7], v[6:7], v[84:85]
	ds_load_b128 v[50:53], v1 offset:416
	ds_load_b128 v[54:57], v1 offset:432
	s_wait_loadcnt_dscnt 0x601
	v_mul_f64_e32 v[60:61], v[50:51], v[68:69]
	v_mul_f64_e32 v[68:69], v[52:53], v[68:69]
	s_wait_loadcnt_dscnt 0x500
	v_mul_f64_e32 v[64:65], v[54:55], v[72:73]
	v_mul_f64_e32 v[72:73], v[56:57], v[72:73]
	v_add_f64_e32 v[2:3], v[2:3], v[58:59]
	v_add_f64_e32 v[6:7], v[6:7], v[82:83]
	v_fma_f64 v[78:79], v[52:53], v[66:67], v[60:61]
	v_fma_f64 v[66:67], v[50:51], v[66:67], -v[68:69]
	ds_load_b128 v[50:53], v1 offset:448
	ds_load_b128 v[58:61], v1 offset:464
	v_fma_f64 v[56:57], v[56:57], v[70:71], v[64:65]
	v_fma_f64 v[54:55], v[54:55], v[70:71], -v[72:73]
	v_add_f64_e32 v[2:3], v[2:3], v[62:63]
	v_add_f64_e32 v[6:7], v[6:7], v[80:81]
	s_wait_loadcnt_dscnt 0x401
	v_mul_f64_e32 v[62:63], v[50:51], v[76:77]
	v_mul_f64_e32 v[68:69], v[52:53], v[76:77]
	s_delay_alu instid0(VALU_DEP_4) | instskip(NEXT) | instid1(VALU_DEP_4)
	v_add_f64_e32 v[2:3], v[2:3], v[66:67]
	v_add_f64_e32 v[6:7], v[6:7], v[78:79]
	s_delay_alu instid0(VALU_DEP_4) | instskip(NEXT) | instid1(VALU_DEP_4)
	v_fma_f64 v[62:63], v[52:53], v[74:75], v[62:63]
	v_fma_f64 v[66:67], v[50:51], v[74:75], -v[68:69]
	s_wait_loadcnt_dscnt 0x200
	v_mul_f64_e32 v[64:65], v[58:59], v[10:11]
	v_mul_f64_e32 v[10:11], v[60:61], v[10:11]
	v_add_f64_e32 v[54:55], v[2:3], v[54:55]
	v_add_f64_e32 v[6:7], v[6:7], v[56:57]
	ds_load_b128 v[50:53], v1 offset:480
	ds_load_b128 v[1:4], v1 offset:496
	v_fma_f64 v[60:61], v[60:61], v[8:9], v[64:65]
	v_fma_f64 v[8:9], v[58:59], v[8:9], -v[10:11]
	s_wait_loadcnt_dscnt 0x101
	v_mul_f64_e32 v[56:57], v[50:51], v[92:93]
	v_mul_f64_e32 v[68:69], v[52:53], v[92:93]
	v_add_f64_e32 v[10:11], v[54:55], v[66:67]
	v_add_f64_e32 v[6:7], v[6:7], v[62:63]
	s_wait_loadcnt_dscnt 0x0
	v_mul_f64_e32 v[54:55], v[1:2], v[48:49]
	v_mul_f64_e32 v[48:49], v[3:4], v[48:49]
	v_fma_f64 v[52:53], v[52:53], v[90:91], v[56:57]
	v_fma_f64 v[50:51], v[50:51], v[90:91], -v[68:69]
	v_add_f64_e32 v[8:9], v[10:11], v[8:9]
	v_add_f64_e32 v[6:7], v[6:7], v[60:61]
	v_fma_f64 v[3:4], v[3:4], v[46:47], v[54:55]
	v_fma_f64 v[1:2], v[1:2], v[46:47], -v[48:49]
	s_delay_alu instid0(VALU_DEP_4) | instskip(NEXT) | instid1(VALU_DEP_4)
	v_add_f64_e32 v[8:9], v[8:9], v[50:51]
	v_add_f64_e32 v[6:7], v[6:7], v[52:53]
	s_delay_alu instid0(VALU_DEP_2) | instskip(NEXT) | instid1(VALU_DEP_2)
	v_add_f64_e32 v[1:2], v[8:9], v[1:2]
	v_add_f64_e32 v[3:4], v[6:7], v[3:4]
	s_delay_alu instid0(VALU_DEP_2) | instskip(NEXT) | instid1(VALU_DEP_2)
	v_add_f64_e64 v[1:2], v[86:87], -v[1:2]
	v_add_f64_e64 v[3:4], v[88:89], -v[3:4]
	scratch_store_b128 off, v[1:4], off offset:48
	v_cmpx_lt_u32_e32 2, v45
	s_cbranch_execz .LBB79_105
; %bb.104:
	scratch_load_b128 v[1:4], off, s23
	v_mov_b32_e32 v6, 0
	s_delay_alu instid0(VALU_DEP_1)
	v_dual_mov_b32 v7, v6 :: v_dual_mov_b32 v8, v6
	v_mov_b32_e32 v9, v6
	scratch_store_b128 off, v[6:9], off offset:32
	s_wait_loadcnt 0x0
	ds_store_b128 v5, v[1:4]
.LBB79_105:
	s_wait_alu 0xfffe
	s_or_b32 exec_lo, exec_lo, s2
	s_wait_storecnt_dscnt 0x0
	s_barrier_signal -1
	s_barrier_wait -1
	global_inv scope:SCOPE_SE
	s_clause 0x7
	scratch_load_b128 v[6:9], off, off offset:48
	scratch_load_b128 v[46:49], off, off offset:64
	scratch_load_b128 v[50:53], off, off offset:80
	scratch_load_b128 v[54:57], off, off offset:96
	scratch_load_b128 v[58:61], off, off offset:112
	scratch_load_b128 v[62:65], off, off offset:128
	scratch_load_b128 v[66:69], off, off offset:144
	scratch_load_b128 v[70:73], off, off offset:160
	v_mov_b32_e32 v1, 0
	s_mov_b32 s2, exec_lo
	ds_load_b128 v[74:77], v1 offset:304
	s_clause 0x1
	scratch_load_b128 v[78:81], off, off offset:176
	scratch_load_b128 v[82:85], off, off offset:32
	ds_load_b128 v[86:89], v1 offset:320
	ds_load_b128 v[94:97], v1 offset:352
	s_wait_loadcnt_dscnt 0x902
	v_mul_f64_e32 v[2:3], v[76:77], v[8:9]
	v_mul_f64_e32 v[90:91], v[74:75], v[8:9]
	scratch_load_b128 v[8:11], off, off offset:192
	v_fma_f64 v[2:3], v[74:75], v[6:7], -v[2:3]
	v_fma_f64 v[6:7], v[76:77], v[6:7], v[90:91]
	ds_load_b128 v[74:77], v1 offset:336
	s_wait_loadcnt_dscnt 0x902
	v_mul_f64_e32 v[98:99], v[86:87], v[48:49]
	v_mul_f64_e32 v[48:49], v[88:89], v[48:49]
	scratch_load_b128 v[90:93], off, off offset:208
	s_wait_loadcnt_dscnt 0x900
	v_mul_f64_e32 v[100:101], v[74:75], v[52:53]
	v_mul_f64_e32 v[52:53], v[76:77], v[52:53]
	v_add_f64_e32 v[2:3], 0, v[2:3]
	v_add_f64_e32 v[6:7], 0, v[6:7]
	v_fma_f64 v[88:89], v[88:89], v[46:47], v[98:99]
	v_fma_f64 v[86:87], v[86:87], v[46:47], -v[48:49]
	scratch_load_b128 v[46:49], off, off offset:224
	v_fma_f64 v[100:101], v[76:77], v[50:51], v[100:101]
	v_fma_f64 v[102:103], v[74:75], v[50:51], -v[52:53]
	ds_load_b128 v[50:53], v1 offset:368
	s_wait_loadcnt 0x9
	v_mul_f64_e32 v[98:99], v[94:95], v[56:57]
	v_mul_f64_e32 v[56:57], v[96:97], v[56:57]
	scratch_load_b128 v[74:77], off, off offset:240
	v_add_f64_e32 v[6:7], v[6:7], v[88:89]
	v_add_f64_e32 v[2:3], v[2:3], v[86:87]
	ds_load_b128 v[86:89], v1 offset:384
	s_wait_loadcnt_dscnt 0x901
	v_mul_f64_e32 v[104:105], v[50:51], v[60:61]
	v_mul_f64_e32 v[60:61], v[52:53], v[60:61]
	v_fma_f64 v[96:97], v[96:97], v[54:55], v[98:99]
	v_fma_f64 v[54:55], v[94:95], v[54:55], -v[56:57]
	s_wait_loadcnt_dscnt 0x800
	v_mul_f64_e32 v[94:95], v[86:87], v[64:65]
	v_mul_f64_e32 v[64:65], v[88:89], v[64:65]
	v_add_f64_e32 v[6:7], v[6:7], v[100:101]
	v_add_f64_e32 v[2:3], v[2:3], v[102:103]
	v_fma_f64 v[98:99], v[52:53], v[58:59], v[104:105]
	v_fma_f64 v[58:59], v[50:51], v[58:59], -v[60:61]
	v_fma_f64 v[88:89], v[88:89], v[62:63], v[94:95]
	v_fma_f64 v[62:63], v[86:87], v[62:63], -v[64:65]
	v_add_f64_e32 v[6:7], v[6:7], v[96:97]
	v_add_f64_e32 v[2:3], v[2:3], v[54:55]
	ds_load_b128 v[50:53], v1 offset:400
	ds_load_b128 v[54:57], v1 offset:416
	s_wait_loadcnt_dscnt 0x701
	v_mul_f64_e32 v[60:61], v[50:51], v[68:69]
	v_mul_f64_e32 v[68:69], v[52:53], v[68:69]
	s_wait_loadcnt_dscnt 0x600
	v_mul_f64_e32 v[64:65], v[54:55], v[72:73]
	v_mul_f64_e32 v[72:73], v[56:57], v[72:73]
	v_add_f64_e32 v[6:7], v[6:7], v[98:99]
	v_add_f64_e32 v[2:3], v[2:3], v[58:59]
	v_fma_f64 v[86:87], v[52:53], v[66:67], v[60:61]
	v_fma_f64 v[66:67], v[50:51], v[66:67], -v[68:69]
	ds_load_b128 v[50:53], v1 offset:432
	ds_load_b128 v[58:61], v1 offset:448
	v_fma_f64 v[56:57], v[56:57], v[70:71], v[64:65]
	v_fma_f64 v[54:55], v[54:55], v[70:71], -v[72:73]
	v_add_f64_e32 v[6:7], v[6:7], v[88:89]
	v_add_f64_e32 v[2:3], v[2:3], v[62:63]
	s_wait_loadcnt_dscnt 0x501
	v_mul_f64_e32 v[62:63], v[50:51], v[80:81]
	v_mul_f64_e32 v[68:69], v[52:53], v[80:81]
	s_delay_alu instid0(VALU_DEP_4) | instskip(NEXT) | instid1(VALU_DEP_4)
	v_add_f64_e32 v[6:7], v[6:7], v[86:87]
	v_add_f64_e32 v[2:3], v[2:3], v[66:67]
	s_delay_alu instid0(VALU_DEP_4) | instskip(NEXT) | instid1(VALU_DEP_4)
	v_fma_f64 v[62:63], v[52:53], v[78:79], v[62:63]
	v_fma_f64 v[66:67], v[50:51], v[78:79], -v[68:69]
	s_wait_loadcnt_dscnt 0x300
	v_mul_f64_e32 v[64:65], v[58:59], v[10:11]
	v_mul_f64_e32 v[10:11], v[60:61], v[10:11]
	v_add_f64_e32 v[6:7], v[6:7], v[56:57]
	v_add_f64_e32 v[2:3], v[2:3], v[54:55]
	ds_load_b128 v[50:53], v1 offset:464
	ds_load_b128 v[54:57], v1 offset:480
	v_fma_f64 v[60:61], v[60:61], v[8:9], v[64:65]
	v_fma_f64 v[8:9], v[58:59], v[8:9], -v[10:11]
	s_wait_loadcnt_dscnt 0x201
	v_mul_f64_e32 v[68:69], v[50:51], v[92:93]
	v_mul_f64_e32 v[70:71], v[52:53], v[92:93]
	v_add_f64_e32 v[6:7], v[6:7], v[62:63]
	v_add_f64_e32 v[2:3], v[2:3], v[66:67]
	s_wait_loadcnt_dscnt 0x100
	v_mul_f64_e32 v[10:11], v[54:55], v[48:49]
	v_mul_f64_e32 v[48:49], v[56:57], v[48:49]
	v_fma_f64 v[52:53], v[52:53], v[90:91], v[68:69]
	v_fma_f64 v[50:51], v[50:51], v[90:91], -v[70:71]
	v_add_f64_e32 v[58:59], v[6:7], v[60:61]
	v_add_f64_e32 v[2:3], v[2:3], v[8:9]
	ds_load_b128 v[6:9], v1 offset:496
	v_fma_f64 v[10:11], v[56:57], v[46:47], v[10:11]
	v_fma_f64 v[46:47], v[54:55], v[46:47], -v[48:49]
	s_wait_loadcnt_dscnt 0x0
	v_mul_f64_e32 v[60:61], v[6:7], v[76:77]
	v_mul_f64_e32 v[62:63], v[8:9], v[76:77]
	v_add_f64_e32 v[48:49], v[58:59], v[52:53]
	v_add_f64_e32 v[2:3], v[2:3], v[50:51]
	s_delay_alu instid0(VALU_DEP_4) | instskip(NEXT) | instid1(VALU_DEP_4)
	v_fma_f64 v[8:9], v[8:9], v[74:75], v[60:61]
	v_fma_f64 v[6:7], v[6:7], v[74:75], -v[62:63]
	s_delay_alu instid0(VALU_DEP_4) | instskip(NEXT) | instid1(VALU_DEP_4)
	v_add_f64_e32 v[10:11], v[48:49], v[10:11]
	v_add_f64_e32 v[2:3], v[2:3], v[46:47]
	s_delay_alu instid0(VALU_DEP_2) | instskip(NEXT) | instid1(VALU_DEP_2)
	v_add_f64_e32 v[8:9], v[10:11], v[8:9]
	v_add_f64_e32 v[2:3], v[2:3], v[6:7]
	s_delay_alu instid0(VALU_DEP_2) | instskip(NEXT) | instid1(VALU_DEP_2)
	v_add_f64_e64 v[8:9], v[84:85], -v[8:9]
	v_add_f64_e64 v[6:7], v[82:83], -v[2:3]
	scratch_store_b128 off, v[6:9], off offset:32
	v_cmpx_lt_u32_e32 1, v45
	s_cbranch_execz .LBB79_107
; %bb.106:
	scratch_load_b128 v[6:9], off, s24
	v_dual_mov_b32 v2, v1 :: v_dual_mov_b32 v3, v1
	v_mov_b32_e32 v4, v1
	scratch_store_b128 off, v[1:4], off offset:16
	s_wait_loadcnt 0x0
	ds_store_b128 v5, v[6:9]
.LBB79_107:
	s_wait_alu 0xfffe
	s_or_b32 exec_lo, exec_lo, s2
	s_wait_storecnt_dscnt 0x0
	s_barrier_signal -1
	s_barrier_wait -1
	global_inv scope:SCOPE_SE
	s_clause 0x8
	scratch_load_b128 v[6:9], off, off offset:32
	scratch_load_b128 v[46:49], off, off offset:48
	;; [unrolled: 1-line block ×9, first 2 shown]
	ds_load_b128 v[78:81], v1 offset:288
	ds_load_b128 v[82:85], v1 offset:304
	scratch_load_b128 v[86:89], off, off offset:16
	s_mov_b32 s2, exec_lo
	ds_load_b128 v[94:97], v1 offset:336
	s_wait_loadcnt_dscnt 0x902
	v_mul_f64_e32 v[2:3], v[80:81], v[8:9]
	v_mul_f64_e32 v[90:91], v[78:79], v[8:9]
	scratch_load_b128 v[8:11], off, off offset:176
	s_wait_loadcnt_dscnt 0x901
	v_mul_f64_e32 v[98:99], v[82:83], v[48:49]
	v_mul_f64_e32 v[48:49], v[84:85], v[48:49]
	v_fma_f64 v[2:3], v[78:79], v[6:7], -v[2:3]
	v_fma_f64 v[6:7], v[80:81], v[6:7], v[90:91]
	ds_load_b128 v[78:81], v1 offset:320
	scratch_load_b128 v[90:93], off, off offset:192
	v_fma_f64 v[84:85], v[84:85], v[46:47], v[98:99]
	v_fma_f64 v[82:83], v[82:83], v[46:47], -v[48:49]
	scratch_load_b128 v[46:49], off, off offset:208
	s_wait_loadcnt_dscnt 0x901
	v_mul_f64_e32 v[98:99], v[94:95], v[56:57]
	v_mul_f64_e32 v[56:57], v[96:97], v[56:57]
	s_wait_dscnt 0x0
	v_mul_f64_e32 v[100:101], v[78:79], v[52:53]
	v_mul_f64_e32 v[52:53], v[80:81], v[52:53]
	v_add_f64_e32 v[2:3], 0, v[2:3]
	v_add_f64_e32 v[6:7], 0, v[6:7]
	v_fma_f64 v[96:97], v[96:97], v[54:55], v[98:99]
	v_fma_f64 v[94:95], v[94:95], v[54:55], -v[56:57]
	scratch_load_b128 v[54:57], off, off offset:240
	v_fma_f64 v[100:101], v[80:81], v[50:51], v[100:101]
	v_fma_f64 v[102:103], v[78:79], v[50:51], -v[52:53]
	ds_load_b128 v[50:53], v1 offset:352
	scratch_load_b128 v[78:81], off, off offset:224
	v_add_f64_e32 v[2:3], v[2:3], v[82:83]
	v_add_f64_e32 v[6:7], v[6:7], v[84:85]
	ds_load_b128 v[82:85], v1 offset:368
	s_wait_loadcnt_dscnt 0xa01
	v_mul_f64_e32 v[104:105], v[50:51], v[60:61]
	v_mul_f64_e32 v[60:61], v[52:53], v[60:61]
	s_wait_loadcnt_dscnt 0x900
	v_mul_f64_e32 v[98:99], v[82:83], v[64:65]
	v_mul_f64_e32 v[64:65], v[84:85], v[64:65]
	v_add_f64_e32 v[2:3], v[2:3], v[102:103]
	v_add_f64_e32 v[6:7], v[6:7], v[100:101]
	v_fma_f64 v[100:101], v[52:53], v[58:59], v[104:105]
	v_fma_f64 v[102:103], v[50:51], v[58:59], -v[60:61]
	ds_load_b128 v[50:53], v1 offset:384
	ds_load_b128 v[58:61], v1 offset:400
	v_fma_f64 v[84:85], v[84:85], v[62:63], v[98:99]
	v_fma_f64 v[62:63], v[82:83], v[62:63], -v[64:65]
	s_wait_loadcnt_dscnt 0x700
	v_mul_f64_e32 v[82:83], v[58:59], v[72:73]
	v_mul_f64_e32 v[72:73], v[60:61], v[72:73]
	v_add_f64_e32 v[2:3], v[2:3], v[94:95]
	v_add_f64_e32 v[6:7], v[6:7], v[96:97]
	v_mul_f64_e32 v[94:95], v[50:51], v[68:69]
	v_mul_f64_e32 v[68:69], v[52:53], v[68:69]
	v_fma_f64 v[60:61], v[60:61], v[70:71], v[82:83]
	v_fma_f64 v[58:59], v[58:59], v[70:71], -v[72:73]
	v_add_f64_e32 v[2:3], v[2:3], v[102:103]
	v_add_f64_e32 v[6:7], v[6:7], v[100:101]
	v_fma_f64 v[94:95], v[52:53], v[66:67], v[94:95]
	v_fma_f64 v[66:67], v[50:51], v[66:67], -v[68:69]
	s_delay_alu instid0(VALU_DEP_4) | instskip(NEXT) | instid1(VALU_DEP_4)
	v_add_f64_e32 v[2:3], v[2:3], v[62:63]
	v_add_f64_e32 v[6:7], v[6:7], v[84:85]
	ds_load_b128 v[50:53], v1 offset:416
	ds_load_b128 v[62:65], v1 offset:432
	s_wait_loadcnt_dscnt 0x601
	v_mul_f64_e32 v[68:69], v[50:51], v[76:77]
	v_mul_f64_e32 v[76:77], v[52:53], v[76:77]
	v_add_f64_e32 v[2:3], v[2:3], v[66:67]
	v_add_f64_e32 v[6:7], v[6:7], v[94:95]
	s_wait_loadcnt_dscnt 0x400
	v_mul_f64_e32 v[66:67], v[62:63], v[10:11]
	v_mul_f64_e32 v[10:11], v[64:65], v[10:11]
	v_fma_f64 v[68:69], v[52:53], v[74:75], v[68:69]
	v_fma_f64 v[70:71], v[50:51], v[74:75], -v[76:77]
	v_add_f64_e32 v[2:3], v[2:3], v[58:59]
	v_add_f64_e32 v[6:7], v[6:7], v[60:61]
	ds_load_b128 v[50:53], v1 offset:448
	ds_load_b128 v[58:61], v1 offset:464
	v_fma_f64 v[64:65], v[64:65], v[8:9], v[66:67]
	v_fma_f64 v[8:9], v[62:63], v[8:9], -v[10:11]
	s_wait_loadcnt_dscnt 0x301
	v_mul_f64_e32 v[72:73], v[50:51], v[92:93]
	v_mul_f64_e32 v[74:75], v[52:53], v[92:93]
	s_wait_loadcnt_dscnt 0x200
	v_mul_f64_e32 v[10:11], v[58:59], v[48:49]
	v_mul_f64_e32 v[48:49], v[60:61], v[48:49]
	v_add_f64_e32 v[2:3], v[2:3], v[70:71]
	v_add_f64_e32 v[6:7], v[6:7], v[68:69]
	v_fma_f64 v[52:53], v[52:53], v[90:91], v[72:73]
	v_fma_f64 v[50:51], v[50:51], v[90:91], -v[74:75]
	v_fma_f64 v[10:11], v[60:61], v[46:47], v[10:11]
	v_fma_f64 v[46:47], v[58:59], v[46:47], -v[48:49]
	v_add_f64_e32 v[62:63], v[2:3], v[8:9]
	v_add_f64_e32 v[64:65], v[6:7], v[64:65]
	ds_load_b128 v[6:9], v1 offset:480
	ds_load_b128 v[1:4], v1 offset:496
	s_wait_loadcnt_dscnt 0x1
	v_mul_f64_e32 v[66:67], v[6:7], v[80:81]
	v_mul_f64_e32 v[68:69], v[8:9], v[80:81]
	v_add_f64_e32 v[48:49], v[62:63], v[50:51]
	v_add_f64_e32 v[50:51], v[64:65], v[52:53]
	s_wait_dscnt 0x0
	v_mul_f64_e32 v[52:53], v[1:2], v[56:57]
	v_mul_f64_e32 v[56:57], v[3:4], v[56:57]
	v_fma_f64 v[8:9], v[8:9], v[78:79], v[66:67]
	v_fma_f64 v[6:7], v[6:7], v[78:79], -v[68:69]
	v_add_f64_e32 v[46:47], v[48:49], v[46:47]
	v_add_f64_e32 v[10:11], v[50:51], v[10:11]
	v_fma_f64 v[3:4], v[3:4], v[54:55], v[52:53]
	v_fma_f64 v[1:2], v[1:2], v[54:55], -v[56:57]
	s_delay_alu instid0(VALU_DEP_4) | instskip(NEXT) | instid1(VALU_DEP_4)
	v_add_f64_e32 v[6:7], v[46:47], v[6:7]
	v_add_f64_e32 v[8:9], v[10:11], v[8:9]
	s_delay_alu instid0(VALU_DEP_2) | instskip(NEXT) | instid1(VALU_DEP_2)
	v_add_f64_e32 v[1:2], v[6:7], v[1:2]
	v_add_f64_e32 v[3:4], v[8:9], v[3:4]
	s_delay_alu instid0(VALU_DEP_2) | instskip(NEXT) | instid1(VALU_DEP_2)
	v_add_f64_e64 v[1:2], v[86:87], -v[1:2]
	v_add_f64_e64 v[3:4], v[88:89], -v[3:4]
	scratch_store_b128 off, v[1:4], off offset:16
	v_cmpx_ne_u32_e32 0, v45
	s_cbranch_execz .LBB79_109
; %bb.108:
	scratch_load_b128 v[1:4], off, off
	v_mov_b32_e32 v6, 0
	s_delay_alu instid0(VALU_DEP_1)
	v_dual_mov_b32 v7, v6 :: v_dual_mov_b32 v8, v6
	v_mov_b32_e32 v9, v6
	scratch_store_b128 off, v[6:9], off
	s_wait_loadcnt 0x0
	ds_store_b128 v5, v[1:4]
.LBB79_109:
	s_wait_alu 0xfffe
	s_or_b32 exec_lo, exec_lo, s2
	s_wait_storecnt_dscnt 0x0
	s_barrier_signal -1
	s_barrier_wait -1
	global_inv scope:SCOPE_SE
	s_clause 0x7
	scratch_load_b128 v[2:5], off, off offset:16
	scratch_load_b128 v[6:9], off, off offset:32
	scratch_load_b128 v[46:49], off, off offset:48
	scratch_load_b128 v[50:53], off, off offset:64
	scratch_load_b128 v[54:57], off, off offset:80
	scratch_load_b128 v[58:61], off, off offset:96
	scratch_load_b128 v[62:65], off, off offset:112
	scratch_load_b128 v[66:69], off, off offset:128
	v_mov_b32_e32 v1, 0
	s_and_b32 vcc_lo, exec_lo, s25
	ds_load_b128 v[70:73], v1 offset:272
	s_clause 0x1
	scratch_load_b128 v[74:77], off, off offset:144
	scratch_load_b128 v[78:81], off, off
	ds_load_b128 v[82:85], v1 offset:288
	scratch_load_b128 v[86:89], off, off offset:160
	s_wait_loadcnt_dscnt 0xa01
	v_mul_f64_e32 v[10:11], v[72:73], v[4:5]
	v_mul_f64_e32 v[4:5], v[70:71], v[4:5]
	s_delay_alu instid0(VALU_DEP_2) | instskip(NEXT) | instid1(VALU_DEP_2)
	v_fma_f64 v[94:95], v[70:71], v[2:3], -v[10:11]
	v_fma_f64 v[96:97], v[72:73], v[2:3], v[4:5]
	ds_load_b128 v[2:5], v1 offset:304
	s_wait_loadcnt_dscnt 0x901
	v_mul_f64_e32 v[90:91], v[82:83], v[8:9]
	v_mul_f64_e32 v[92:93], v[84:85], v[8:9]
	scratch_load_b128 v[8:11], off, off offset:176
	ds_load_b128 v[70:73], v1 offset:320
	s_wait_loadcnt_dscnt 0x901
	v_mul_f64_e32 v[98:99], v[2:3], v[48:49]
	v_mul_f64_e32 v[48:49], v[4:5], v[48:49]
	v_fma_f64 v[90:91], v[84:85], v[6:7], v[90:91]
	v_fma_f64 v[6:7], v[82:83], v[6:7], -v[92:93]
	v_add_f64_e32 v[92:93], 0, v[94:95]
	v_add_f64_e32 v[94:95], 0, v[96:97]
	scratch_load_b128 v[82:85], off, off offset:192
	v_fma_f64 v[98:99], v[4:5], v[46:47], v[98:99]
	v_fma_f64 v[100:101], v[2:3], v[46:47], -v[48:49]
	ds_load_b128 v[2:5], v1 offset:336
	s_wait_loadcnt_dscnt 0x901
	v_mul_f64_e32 v[96:97], v[70:71], v[52:53]
	v_mul_f64_e32 v[52:53], v[72:73], v[52:53]
	scratch_load_b128 v[46:49], off, off offset:208
	v_add_f64_e32 v[6:7], v[92:93], v[6:7]
	v_add_f64_e32 v[94:95], v[94:95], v[90:91]
	s_wait_loadcnt_dscnt 0x900
	v_mul_f64_e32 v[102:103], v[2:3], v[56:57]
	v_mul_f64_e32 v[56:57], v[4:5], v[56:57]
	ds_load_b128 v[90:93], v1 offset:352
	v_fma_f64 v[72:73], v[72:73], v[50:51], v[96:97]
	v_fma_f64 v[70:71], v[70:71], v[50:51], -v[52:53]
	scratch_load_b128 v[50:53], off, off offset:224
	v_add_f64_e32 v[6:7], v[6:7], v[100:101]
	v_add_f64_e32 v[94:95], v[94:95], v[98:99]
	v_fma_f64 v[98:99], v[4:5], v[54:55], v[102:103]
	v_fma_f64 v[100:101], v[2:3], v[54:55], -v[56:57]
	ds_load_b128 v[2:5], v1 offset:368
	s_wait_loadcnt_dscnt 0x901
	v_mul_f64_e32 v[96:97], v[90:91], v[60:61]
	v_mul_f64_e32 v[60:61], v[92:93], v[60:61]
	scratch_load_b128 v[54:57], off, off offset:240
	s_wait_loadcnt_dscnt 0x900
	v_mul_f64_e32 v[102:103], v[2:3], v[64:65]
	v_mul_f64_e32 v[64:65], v[4:5], v[64:65]
	v_add_f64_e32 v[6:7], v[6:7], v[70:71]
	v_add_f64_e32 v[94:95], v[94:95], v[72:73]
	ds_load_b128 v[70:73], v1 offset:384
	v_fma_f64 v[92:93], v[92:93], v[58:59], v[96:97]
	v_fma_f64 v[58:59], v[90:91], v[58:59], -v[60:61]
	s_wait_loadcnt_dscnt 0x800
	v_mul_f64_e32 v[90:91], v[70:71], v[68:69]
	v_mul_f64_e32 v[68:69], v[72:73], v[68:69]
	v_add_f64_e32 v[6:7], v[6:7], v[100:101]
	v_add_f64_e32 v[60:61], v[94:95], v[98:99]
	v_fma_f64 v[94:95], v[4:5], v[62:63], v[102:103]
	v_fma_f64 v[62:63], v[2:3], v[62:63], -v[64:65]
	v_fma_f64 v[72:73], v[72:73], v[66:67], v[90:91]
	v_fma_f64 v[66:67], v[70:71], v[66:67], -v[68:69]
	v_add_f64_e32 v[6:7], v[6:7], v[58:59]
	v_add_f64_e32 v[64:65], v[60:61], v[92:93]
	ds_load_b128 v[2:5], v1 offset:400
	ds_load_b128 v[58:61], v1 offset:416
	s_wait_loadcnt_dscnt 0x701
	v_mul_f64_e32 v[92:93], v[2:3], v[76:77]
	v_mul_f64_e32 v[76:77], v[4:5], v[76:77]
	s_wait_loadcnt_dscnt 0x500
	v_mul_f64_e32 v[68:69], v[58:59], v[88:89]
	v_mul_f64_e32 v[70:71], v[60:61], v[88:89]
	v_add_f64_e32 v[6:7], v[6:7], v[62:63]
	v_add_f64_e32 v[62:63], v[64:65], v[94:95]
	v_fma_f64 v[88:89], v[4:5], v[74:75], v[92:93]
	v_fma_f64 v[74:75], v[2:3], v[74:75], -v[76:77]
	v_fma_f64 v[60:61], v[60:61], v[86:87], v[68:69]
	v_fma_f64 v[58:59], v[58:59], v[86:87], -v[70:71]
	v_add_f64_e32 v[6:7], v[6:7], v[66:67]
	v_add_f64_e32 v[66:67], v[62:63], v[72:73]
	ds_load_b128 v[2:5], v1 offset:432
	ds_load_b128 v[62:65], v1 offset:448
	s_wait_loadcnt_dscnt 0x401
	v_mul_f64_e32 v[72:73], v[2:3], v[10:11]
	v_mul_f64_e32 v[10:11], v[4:5], v[10:11]
	v_add_f64_e32 v[6:7], v[6:7], v[74:75]
	v_add_f64_e32 v[66:67], v[66:67], v[88:89]
	s_wait_loadcnt_dscnt 0x300
	v_mul_f64_e32 v[68:69], v[62:63], v[84:85]
	v_mul_f64_e32 v[70:71], v[64:65], v[84:85]
	v_fma_f64 v[72:73], v[4:5], v[8:9], v[72:73]
	v_fma_f64 v[10:11], v[2:3], v[8:9], -v[10:11]
	v_add_f64_e32 v[58:59], v[6:7], v[58:59]
	v_add_f64_e32 v[60:61], v[66:67], v[60:61]
	ds_load_b128 v[2:5], v1 offset:464
	ds_load_b128 v[6:9], v1 offset:480
	v_fma_f64 v[64:65], v[64:65], v[82:83], v[68:69]
	v_fma_f64 v[62:63], v[62:63], v[82:83], -v[70:71]
	s_wait_loadcnt_dscnt 0x201
	v_mul_f64_e32 v[66:67], v[2:3], v[48:49]
	v_mul_f64_e32 v[48:49], v[4:5], v[48:49]
	v_add_f64_e32 v[10:11], v[58:59], v[10:11]
	v_add_f64_e32 v[58:59], v[60:61], v[72:73]
	s_wait_loadcnt_dscnt 0x100
	v_mul_f64_e32 v[60:61], v[6:7], v[52:53]
	v_mul_f64_e32 v[52:53], v[8:9], v[52:53]
	v_fma_f64 v[66:67], v[4:5], v[46:47], v[66:67]
	v_fma_f64 v[46:47], v[2:3], v[46:47], -v[48:49]
	ds_load_b128 v[2:5], v1 offset:496
	v_add_f64_e32 v[10:11], v[10:11], v[62:63]
	v_add_f64_e32 v[48:49], v[58:59], v[64:65]
	v_fma_f64 v[8:9], v[8:9], v[50:51], v[60:61]
	v_fma_f64 v[6:7], v[6:7], v[50:51], -v[52:53]
	s_wait_loadcnt_dscnt 0x0
	v_mul_f64_e32 v[58:59], v[2:3], v[56:57]
	v_mul_f64_e32 v[56:57], v[4:5], v[56:57]
	v_add_f64_e32 v[10:11], v[10:11], v[46:47]
	v_add_f64_e32 v[46:47], v[48:49], v[66:67]
	s_delay_alu instid0(VALU_DEP_4) | instskip(NEXT) | instid1(VALU_DEP_4)
	v_fma_f64 v[4:5], v[4:5], v[54:55], v[58:59]
	v_fma_f64 v[2:3], v[2:3], v[54:55], -v[56:57]
	s_delay_alu instid0(VALU_DEP_4) | instskip(NEXT) | instid1(VALU_DEP_4)
	v_add_f64_e32 v[6:7], v[10:11], v[6:7]
	v_add_f64_e32 v[8:9], v[46:47], v[8:9]
	s_delay_alu instid0(VALU_DEP_2) | instskip(NEXT) | instid1(VALU_DEP_2)
	v_add_f64_e32 v[2:3], v[6:7], v[2:3]
	v_add_f64_e32 v[4:5], v[8:9], v[4:5]
	s_delay_alu instid0(VALU_DEP_2) | instskip(NEXT) | instid1(VALU_DEP_2)
	v_add_f64_e64 v[2:3], v[78:79], -v[2:3]
	v_add_f64_e64 v[4:5], v[80:81], -v[4:5]
	scratch_store_b128 off, v[2:5], off
	s_wait_alu 0xfffe
	s_cbranch_vccz .LBB79_140
; %bb.110:
	global_load_b32 v1, v1, s[8:9] offset:56
	s_load_b64 s[0:1], s[0:1], 0x4
	v_bfe_u32 v2, v0, 10, 10
	v_bfe_u32 v0, v0, 20, 10
	s_wait_kmcnt 0x0
	s_lshr_b32 s0, s0, 16
	s_delay_alu instid0(VALU_DEP_2) | instskip(SKIP_3) | instid1(VALU_DEP_1)
	v_mul_u32_u24_e32 v2, s1, v2
	s_mul_i32 s0, s0, s1
	s_wait_alu 0xfffe
	v_mul_u32_u24_e32 v3, s0, v45
	v_add3_u32 v0, v3, v2, v0
	s_delay_alu instid0(VALU_DEP_1)
	v_lshl_add_u32 v0, v0, 4, 0x208
	s_wait_loadcnt 0x0
	v_cmp_ne_u32_e32 vcc_lo, 15, v1
	s_cbranch_vccz .LBB79_112
; %bb.111:
	v_lshlrev_b32_e32 v1, 4, v1
	s_delay_alu instid0(VALU_DEP_1)
	v_mov_b32_e32 v9, v1
	s_clause 0x1
	scratch_load_b128 v[1:4], off, s22
	scratch_load_b128 v[5:8], v9, off offset:-16
	s_wait_loadcnt 0x1
	ds_store_2addr_b64 v0, v[1:2], v[3:4] offset1:1
	s_wait_loadcnt 0x0
	s_clause 0x1
	scratch_store_b128 off, v[5:8], s22
	scratch_store_b128 v9, v[1:4], off offset:-16
.LBB79_112:
	v_mov_b32_e32 v1, 0
	global_load_b32 v2, v1, s[8:9] offset:52
	s_wait_loadcnt 0x0
	v_cmp_eq_u32_e32 vcc_lo, 14, v2
	s_cbranch_vccnz .LBB79_114
; %bb.113:
	v_lshlrev_b32_e32 v2, 4, v2
	s_delay_alu instid0(VALU_DEP_1)
	v_mov_b32_e32 v10, v2
	s_clause 0x1
	scratch_load_b128 v[2:5], off, s14
	scratch_load_b128 v[6:9], v10, off offset:-16
	s_wait_loadcnt 0x1
	ds_store_2addr_b64 v0, v[2:3], v[4:5] offset1:1
	s_wait_loadcnt 0x0
	s_clause 0x1
	scratch_store_b128 off, v[6:9], s14
	scratch_store_b128 v10, v[2:5], off offset:-16
.LBB79_114:
	global_load_b32 v1, v1, s[8:9] offset:48
	s_wait_loadcnt 0x0
	v_cmp_eq_u32_e32 vcc_lo, 13, v1
	s_cbranch_vccnz .LBB79_116
; %bb.115:
	v_lshlrev_b32_e32 v1, 4, v1
	s_delay_alu instid0(VALU_DEP_1)
	v_mov_b32_e32 v9, v1
	s_clause 0x1
	scratch_load_b128 v[1:4], off, s21
	scratch_load_b128 v[5:8], v9, off offset:-16
	s_wait_loadcnt 0x1
	ds_store_2addr_b64 v0, v[1:2], v[3:4] offset1:1
	s_wait_loadcnt 0x0
	s_clause 0x1
	scratch_store_b128 off, v[5:8], s21
	scratch_store_b128 v9, v[1:4], off offset:-16
.LBB79_116:
	v_mov_b32_e32 v1, 0
	global_load_b32 v2, v1, s[8:9] offset:44
	s_wait_loadcnt 0x0
	v_cmp_eq_u32_e32 vcc_lo, 12, v2
	s_cbranch_vccnz .LBB79_118
; %bb.117:
	v_lshlrev_b32_e32 v2, 4, v2
	s_delay_alu instid0(VALU_DEP_1)
	v_mov_b32_e32 v10, v2
	s_clause 0x1
	scratch_load_b128 v[2:5], off, s13
	scratch_load_b128 v[6:9], v10, off offset:-16
	s_wait_loadcnt 0x1
	ds_store_2addr_b64 v0, v[2:3], v[4:5] offset1:1
	s_wait_loadcnt 0x0
	s_clause 0x1
	scratch_store_b128 off, v[6:9], s13
	scratch_store_b128 v10, v[2:5], off offset:-16
.LBB79_118:
	global_load_b32 v1, v1, s[8:9] offset:40
	s_wait_loadcnt 0x0
	v_cmp_eq_u32_e32 vcc_lo, 11, v1
	s_cbranch_vccnz .LBB79_120
; %bb.119:
	v_lshlrev_b32_e32 v1, 4, v1
	s_delay_alu instid0(VALU_DEP_1)
	v_mov_b32_e32 v9, v1
	s_clause 0x1
	scratch_load_b128 v[1:4], off, s20
	scratch_load_b128 v[5:8], v9, off offset:-16
	s_wait_loadcnt 0x1
	ds_store_2addr_b64 v0, v[1:2], v[3:4] offset1:1
	s_wait_loadcnt 0x0
	s_clause 0x1
	scratch_store_b128 off, v[5:8], s20
	scratch_store_b128 v9, v[1:4], off offset:-16
.LBB79_120:
	;; [unrolled: 37-line block ×6, first 2 shown]
	v_mov_b32_e32 v1, 0
	global_load_b32 v2, v1, s[8:9] offset:4
	s_wait_loadcnt 0x0
	v_cmp_eq_u32_e32 vcc_lo, 2, v2
	s_cbranch_vccnz .LBB79_138
; %bb.137:
	v_lshlrev_b32_e32 v2, 4, v2
	s_delay_alu instid0(VALU_DEP_1)
	v_mov_b32_e32 v10, v2
	s_clause 0x1
	scratch_load_b128 v[2:5], off, s24
	scratch_load_b128 v[6:9], v10, off offset:-16
	s_wait_loadcnt 0x1
	ds_store_2addr_b64 v0, v[2:3], v[4:5] offset1:1
	s_wait_loadcnt 0x0
	s_clause 0x1
	scratch_store_b128 off, v[6:9], s24
	scratch_store_b128 v10, v[2:5], off offset:-16
.LBB79_138:
	global_load_b32 v1, v1, s[8:9]
	s_wait_loadcnt 0x0
	v_cmp_eq_u32_e32 vcc_lo, 1, v1
	s_cbranch_vccnz .LBB79_140
; %bb.139:
	v_lshlrev_b32_e32 v1, 4, v1
	s_delay_alu instid0(VALU_DEP_1)
	v_mov_b32_e32 v9, v1
	scratch_load_b128 v[1:4], off, off
	scratch_load_b128 v[5:8], v9, off offset:-16
	s_wait_loadcnt 0x1
	ds_store_2addr_b64 v0, v[1:2], v[3:4] offset1:1
	s_wait_loadcnt 0x0
	scratch_store_b128 off, v[5:8], off
	scratch_store_b128 v9, v[1:4], off offset:-16
.LBB79_140:
	scratch_load_b128 v[0:3], off, off
	s_wait_loadcnt 0x0
	flat_store_b128 v[13:14], v[0:3]
	scratch_load_b128 v[0:3], off, s24
	s_wait_loadcnt 0x0
	flat_store_b128 v[15:16], v[0:3]
	scratch_load_b128 v[0:3], off, s23
	s_wait_loadcnt 0x0
	flat_store_b128 v[17:18], v[0:3]
	scratch_load_b128 v[0:3], off, s16
	s_wait_loadcnt 0x0
	flat_store_b128 v[19:20], v[0:3]
	scratch_load_b128 v[0:3], off, s17
	s_wait_loadcnt 0x0
	flat_store_b128 v[21:22], v[0:3]
	scratch_load_b128 v[0:3], off, s4
	s_wait_loadcnt 0x0
	flat_store_b128 v[23:24], v[0:3]
	scratch_load_b128 v[0:3], off, s18
	s_wait_loadcnt 0x0
	flat_store_b128 v[25:26], v[0:3]
	scratch_load_b128 v[0:3], off, s5
	s_wait_loadcnt 0x0
	flat_store_b128 v[27:28], v[0:3]
	scratch_load_b128 v[0:3], off, s19
	s_wait_loadcnt 0x0
	flat_store_b128 v[29:30], v[0:3]
	scratch_load_b128 v[0:3], off, s12
	s_wait_loadcnt 0x0
	flat_store_b128 v[31:32], v[0:3]
	scratch_load_b128 v[0:3], off, s20
	s_wait_loadcnt 0x0
	flat_store_b128 v[33:34], v[0:3]
	scratch_load_b128 v[0:3], off, s13
	s_wait_loadcnt 0x0
	flat_store_b128 v[35:36], v[0:3]
	scratch_load_b128 v[0:3], off, s21
	s_wait_loadcnt 0x0
	flat_store_b128 v[37:38], v[0:3]
	scratch_load_b128 v[0:3], off, s14
	s_wait_loadcnt 0x0
	flat_store_b128 v[39:40], v[0:3]
	scratch_load_b128 v[0:3], off, s22
	s_wait_loadcnt 0x0
	flat_store_b128 v[41:42], v[0:3]
	scratch_load_b128 v[0:3], off, s15
	s_wait_loadcnt 0x0
	flat_store_b128 v[43:44], v[0:3]
	s_nop 0
	s_sendmsg sendmsg(MSG_DEALLOC_VGPRS)
	s_endpgm
	.section	.rodata,"a",@progbits
	.p2align	6, 0x0
	.amdhsa_kernel _ZN9rocsolver6v33100L18getri_kernel_smallILi16E19rocblas_complex_numIdEPKPS3_EEvT1_iilPiilS8_bb
		.amdhsa_group_segment_fixed_size 1544
		.amdhsa_private_segment_fixed_size 272
		.amdhsa_kernarg_size 60
		.amdhsa_user_sgpr_count 4
		.amdhsa_user_sgpr_dispatch_ptr 1
		.amdhsa_user_sgpr_queue_ptr 0
		.amdhsa_user_sgpr_kernarg_segment_ptr 1
		.amdhsa_user_sgpr_dispatch_id 0
		.amdhsa_user_sgpr_private_segment_size 0
		.amdhsa_wavefront_size32 1
		.amdhsa_uses_dynamic_stack 0
		.amdhsa_enable_private_segment 1
		.amdhsa_system_sgpr_workgroup_id_x 1
		.amdhsa_system_sgpr_workgroup_id_y 0
		.amdhsa_system_sgpr_workgroup_id_z 0
		.amdhsa_system_sgpr_workgroup_info 0
		.amdhsa_system_vgpr_workitem_id 2
		.amdhsa_next_free_vgpr 106
		.amdhsa_next_free_sgpr 29
		.amdhsa_reserve_vcc 1
		.amdhsa_float_round_mode_32 0
		.amdhsa_float_round_mode_16_64 0
		.amdhsa_float_denorm_mode_32 3
		.amdhsa_float_denorm_mode_16_64 3
		.amdhsa_fp16_overflow 0
		.amdhsa_workgroup_processor_mode 1
		.amdhsa_memory_ordered 1
		.amdhsa_forward_progress 1
		.amdhsa_inst_pref_size 141
		.amdhsa_round_robin_scheduling 0
		.amdhsa_exception_fp_ieee_invalid_op 0
		.amdhsa_exception_fp_denorm_src 0
		.amdhsa_exception_fp_ieee_div_zero 0
		.amdhsa_exception_fp_ieee_overflow 0
		.amdhsa_exception_fp_ieee_underflow 0
		.amdhsa_exception_fp_ieee_inexact 0
		.amdhsa_exception_int_div_zero 0
	.end_amdhsa_kernel
	.section	.text._ZN9rocsolver6v33100L18getri_kernel_smallILi16E19rocblas_complex_numIdEPKPS3_EEvT1_iilPiilS8_bb,"axG",@progbits,_ZN9rocsolver6v33100L18getri_kernel_smallILi16E19rocblas_complex_numIdEPKPS3_EEvT1_iilPiilS8_bb,comdat
.Lfunc_end79:
	.size	_ZN9rocsolver6v33100L18getri_kernel_smallILi16E19rocblas_complex_numIdEPKPS3_EEvT1_iilPiilS8_bb, .Lfunc_end79-_ZN9rocsolver6v33100L18getri_kernel_smallILi16E19rocblas_complex_numIdEPKPS3_EEvT1_iilPiilS8_bb
                                        ; -- End function
	.set _ZN9rocsolver6v33100L18getri_kernel_smallILi16E19rocblas_complex_numIdEPKPS3_EEvT1_iilPiilS8_bb.num_vgpr, 106
	.set _ZN9rocsolver6v33100L18getri_kernel_smallILi16E19rocblas_complex_numIdEPKPS3_EEvT1_iilPiilS8_bb.num_agpr, 0
	.set _ZN9rocsolver6v33100L18getri_kernel_smallILi16E19rocblas_complex_numIdEPKPS3_EEvT1_iilPiilS8_bb.numbered_sgpr, 29
	.set _ZN9rocsolver6v33100L18getri_kernel_smallILi16E19rocblas_complex_numIdEPKPS3_EEvT1_iilPiilS8_bb.num_named_barrier, 0
	.set _ZN9rocsolver6v33100L18getri_kernel_smallILi16E19rocblas_complex_numIdEPKPS3_EEvT1_iilPiilS8_bb.private_seg_size, 272
	.set _ZN9rocsolver6v33100L18getri_kernel_smallILi16E19rocblas_complex_numIdEPKPS3_EEvT1_iilPiilS8_bb.uses_vcc, 1
	.set _ZN9rocsolver6v33100L18getri_kernel_smallILi16E19rocblas_complex_numIdEPKPS3_EEvT1_iilPiilS8_bb.uses_flat_scratch, 1
	.set _ZN9rocsolver6v33100L18getri_kernel_smallILi16E19rocblas_complex_numIdEPKPS3_EEvT1_iilPiilS8_bb.has_dyn_sized_stack, 0
	.set _ZN9rocsolver6v33100L18getri_kernel_smallILi16E19rocblas_complex_numIdEPKPS3_EEvT1_iilPiilS8_bb.has_recursion, 0
	.set _ZN9rocsolver6v33100L18getri_kernel_smallILi16E19rocblas_complex_numIdEPKPS3_EEvT1_iilPiilS8_bb.has_indirect_call, 0
	.section	.AMDGPU.csdata,"",@progbits
; Kernel info:
; codeLenInByte = 18048
; TotalNumSgprs: 31
; NumVgprs: 106
; ScratchSize: 272
; MemoryBound: 0
; FloatMode: 240
; IeeeMode: 1
; LDSByteSize: 1544 bytes/workgroup (compile time only)
; SGPRBlocks: 0
; VGPRBlocks: 13
; NumSGPRsForWavesPerEU: 31
; NumVGPRsForWavesPerEU: 106
; Occupancy: 12
; WaveLimiterHint : 1
; COMPUTE_PGM_RSRC2:SCRATCH_EN: 1
; COMPUTE_PGM_RSRC2:USER_SGPR: 4
; COMPUTE_PGM_RSRC2:TRAP_HANDLER: 0
; COMPUTE_PGM_RSRC2:TGID_X_EN: 1
; COMPUTE_PGM_RSRC2:TGID_Y_EN: 0
; COMPUTE_PGM_RSRC2:TGID_Z_EN: 0
; COMPUTE_PGM_RSRC2:TIDIG_COMP_CNT: 2
	.section	.text._ZN9rocsolver6v33100L18getri_kernel_smallILi17E19rocblas_complex_numIdEPKPS3_EEvT1_iilPiilS8_bb,"axG",@progbits,_ZN9rocsolver6v33100L18getri_kernel_smallILi17E19rocblas_complex_numIdEPKPS3_EEvT1_iilPiilS8_bb,comdat
	.globl	_ZN9rocsolver6v33100L18getri_kernel_smallILi17E19rocblas_complex_numIdEPKPS3_EEvT1_iilPiilS8_bb ; -- Begin function _ZN9rocsolver6v33100L18getri_kernel_smallILi17E19rocblas_complex_numIdEPKPS3_EEvT1_iilPiilS8_bb
	.p2align	8
	.type	_ZN9rocsolver6v33100L18getri_kernel_smallILi17E19rocblas_complex_numIdEPKPS3_EEvT1_iilPiilS8_bb,@function
_ZN9rocsolver6v33100L18getri_kernel_smallILi17E19rocblas_complex_numIdEPKPS3_EEvT1_iilPiilS8_bb: ; @_ZN9rocsolver6v33100L18getri_kernel_smallILi17E19rocblas_complex_numIdEPKPS3_EEvT1_iilPiilS8_bb
; %bb.0:
	s_mov_b32 s2, exec_lo
	v_cmpx_gt_u32_e32 17, v0
	s_cbranch_execz .LBB80_82
; %bb.1:
	s_clause 0x1
	s_load_b32 s13, s[0:1], 0x38
	s_load_b64 s[2:3], s[0:1], 0x0
	s_mov_b32 s8, ttmp9
	s_load_b128 s[4:7], s[0:1], 0x28
	s_wait_kmcnt 0x0
	s_bitcmp1_b32 s13, 8
	s_cselect_b32 s12, -1, 0
	s_ashr_i32 s9, ttmp9, 31
	s_delay_alu instid0(SALU_CYCLE_1) | instskip(NEXT) | instid1(SALU_CYCLE_1)
	s_lshl_b64 s[10:11], s[8:9], 3
	s_add_nc_u64 s[2:3], s[2:3], s[10:11]
	s_load_b64 s[10:11], s[2:3], 0x0
	s_bfe_u32 s2, s13, 0x10008
	s_delay_alu instid0(SALU_CYCLE_1)
	s_cmp_eq_u32 s2, 0
                                        ; implicit-def: $sgpr2_sgpr3
	s_cbranch_scc1 .LBB80_3
; %bb.2:
	s_load_b96 s[16:18], s[0:1], 0x18
	s_mul_u64 s[2:3], s[4:5], s[8:9]
	s_delay_alu instid0(SALU_CYCLE_1)
	s_lshl_b64 s[2:3], s[2:3], 2
	s_wait_kmcnt 0x0
	s_ashr_i32 s5, s18, 31
	s_mov_b32 s4, s18
	s_add_nc_u64 s[2:3], s[16:17], s[2:3]
	s_lshl_b64 s[4:5], s[4:5], 2
	s_delay_alu instid0(SALU_CYCLE_1)
	s_add_nc_u64 s[2:3], s[2:3], s[4:5]
.LBB80_3:
	s_clause 0x1
	s_load_b64 s[4:5], s[0:1], 0x8
	s_load_b32 s25, s[0:1], 0x38
	v_lshlrev_b32_e32 v47, 4, v0
	s_mov_b32 s24, 32
	s_mov_b32 s23, 48
	;; [unrolled: 1-line block ×3, first 2 shown]
	s_wait_kmcnt 0x0
	s_ashr_i32 s1, s4, 31
	s_mov_b32 s0, s4
	v_add3_u32 v5, s5, s5, v0
	s_lshl_b64 s[0:1], s[0:1], 4
	s_delay_alu instid0(SALU_CYCLE_1)
	s_add_nc_u64 s[0:1], s[10:11], s[0:1]
	s_ashr_i32 s11, s5, 31
	v_add_co_u32 v13, s4, s0, v47
	s_wait_alu 0xf1ff
	v_add_co_ci_u32_e64 v14, null, s1, 0, s4
	s_mov_b32 s10, s5
	v_ashrrev_i32_e32 v6, 31, v5
	s_lshl_b64 s[10:11], s[10:11], 4
	flat_load_b128 v[1:4], v[13:14]
	v_add_co_u32 v15, vcc_lo, v13, s10
	s_delay_alu instid0(VALU_DEP_1) | instskip(SKIP_3) | instid1(VALU_DEP_2)
	v_add_co_ci_u32_e64 v16, null, s11, v14, vcc_lo
	v_lshlrev_b64_e32 v[6:7], 4, v[5:6]
	v_add_nc_u32_e32 v5, s5, v5
	s_movk_i32 s4, 0x50
	v_add_co_u32 v17, vcc_lo, s0, v6
	s_wait_alu 0xfffd
	s_delay_alu instid0(VALU_DEP_3) | instskip(SKIP_1) | instid1(VALU_DEP_1)
	v_add_co_ci_u32_e64 v18, null, s1, v7, vcc_lo
	v_ashrrev_i32_e32 v6, 31, v5
	v_lshlrev_b64_e32 v[6:7], 4, v[5:6]
	v_add_nc_u32_e32 v5, s5, v5
	s_delay_alu instid0(VALU_DEP_2) | instskip(SKIP_1) | instid1(VALU_DEP_3)
	v_add_co_u32 v19, vcc_lo, s0, v6
	s_wait_alu 0xfffd
	v_add_co_ci_u32_e64 v20, null, s1, v7, vcc_lo
	s_delay_alu instid0(VALU_DEP_3) | instskip(NEXT) | instid1(VALU_DEP_1)
	v_ashrrev_i32_e32 v6, 31, v5
	v_lshlrev_b64_e32 v[6:7], 4, v[5:6]
	v_add_nc_u32_e32 v5, s5, v5
	s_delay_alu instid0(VALU_DEP_2) | instskip(SKIP_1) | instid1(VALU_DEP_3)
	v_add_co_u32 v21, vcc_lo, s0, v6
	s_wait_alu 0xfffd
	v_add_co_ci_u32_e64 v22, null, s1, v7, vcc_lo
	s_delay_alu instid0(VALU_DEP_3) | instskip(NEXT) | instid1(VALU_DEP_1)
	;; [unrolled: 8-line block ×13, first 2 shown]
	v_ashrrev_i32_e32 v6, 31, v5
	v_lshlrev_b64_e32 v[5:6], 4, v[5:6]
	s_delay_alu instid0(VALU_DEP_1) | instskip(SKIP_1) | instid1(VALU_DEP_2)
	v_add_co_u32 v45, vcc_lo, s0, v5
	s_wait_alu 0xfffd
	v_add_co_ci_u32_e64 v46, null, s1, v6, vcc_lo
	s_movk_i32 s0, 0x50
	s_movk_i32 s1, 0x60
	s_wait_alu 0xfffe
	s_add_co_i32 s17, s0, 16
	s_add_co_i32 s5, s1, 16
	s_movk_i32 s0, 0x70
	s_movk_i32 s1, 0x80
	s_wait_alu 0xfffe
	s_add_co_i32 s18, s0, 16
	s_add_co_i32 s10, s1, 16
	s_movk_i32 s0, 0x90
	s_movk_i32 s1, 0xa0
	s_wait_alu 0xfffe
	s_add_co_i32 s19, s0, 16
	s_add_co_i32 s11, s1, 16
	s_movk_i32 s0, 0xb0
	s_movk_i32 s1, 0xc0
	s_wait_alu 0xfffe
	s_add_co_i32 s20, s0, 16
	s_add_co_i32 s13, s1, 16
	s_movk_i32 s0, 0xd0
	s_movk_i32 s1, 0xe0
	s_wait_alu 0xfffe
	s_add_co_i32 s21, s0, 16
	s_add_co_i32 s14, s1, 16
	s_movk_i32 s0, 0xf0
	s_movk_i32 s1, 0x100
	s_wait_alu 0xfffe
	s_add_co_i32 s22, s0, 16
	s_add_co_i32 s15, s1, 16
	s_bitcmp0_b32 s25, 0
	s_mov_b32 s1, -1
	s_wait_loadcnt_dscnt 0x0
	scratch_store_b128 off, v[1:4], off offset:16
	flat_load_b128 v[1:4], v[15:16]
	s_wait_loadcnt_dscnt 0x0
	scratch_store_b128 off, v[1:4], off offset:32
	flat_load_b128 v[1:4], v[17:18]
	;; [unrolled: 3-line block ×16, first 2 shown]
	s_wait_loadcnt_dscnt 0x0
	scratch_store_b128 off, v[1:4], off offset:272
	s_cbranch_scc1 .LBB80_80
; %bb.4:
	v_cmp_eq_u32_e64 s0, 0, v0
	s_and_saveexec_b32 s1, s0
; %bb.5:
	v_mov_b32_e32 v1, 0
	ds_store_b32 v1, v1 offset:544
; %bb.6:
	s_wait_alu 0xfffe
	s_or_b32 exec_lo, exec_lo, s1
	s_wait_storecnt_dscnt 0x0
	s_barrier_signal -1
	s_barrier_wait -1
	global_inv scope:SCOPE_SE
	scratch_load_b128 v[1:4], v47, off offset:16
	s_wait_loadcnt 0x0
	v_cmp_eq_f64_e32 vcc_lo, 0, v[1:2]
	v_cmp_eq_f64_e64 s1, 0, v[3:4]
	s_and_b32 s1, vcc_lo, s1
	s_wait_alu 0xfffe
	s_and_saveexec_b32 s25, s1
	s_cbranch_execz .LBB80_10
; %bb.7:
	v_mov_b32_e32 v1, 0
	s_mov_b32 s26, 0
	ds_load_b32 v2, v1 offset:544
	s_wait_dscnt 0x0
	v_readfirstlane_b32 s1, v2
	v_add_nc_u32_e32 v2, 1, v0
	s_cmp_eq_u32 s1, 0
	s_delay_alu instid0(VALU_DEP_1) | instskip(SKIP_1) | instid1(SALU_CYCLE_1)
	v_cmp_gt_i32_e32 vcc_lo, s1, v2
	s_cselect_b32 s27, -1, 0
	s_or_b32 s27, s27, vcc_lo
	s_delay_alu instid0(SALU_CYCLE_1)
	s_and_b32 exec_lo, exec_lo, s27
	s_cbranch_execz .LBB80_10
; %bb.8:
	v_mov_b32_e32 v3, s1
.LBB80_9:                               ; =>This Inner Loop Header: Depth=1
	ds_cmpstore_rtn_b32 v3, v1, v2, v3 offset:544
	s_wait_dscnt 0x0
	v_cmp_ne_u32_e32 vcc_lo, 0, v3
	v_cmp_le_i32_e64 s1, v3, v2
	s_and_b32 s1, vcc_lo, s1
	s_wait_alu 0xfffe
	s_and_b32 s1, exec_lo, s1
	s_wait_alu 0xfffe
	s_or_b32 s26, s1, s26
	s_delay_alu instid0(SALU_CYCLE_1)
	s_and_not1_b32 exec_lo, exec_lo, s26
	s_cbranch_execnz .LBB80_9
.LBB80_10:
	s_or_b32 exec_lo, exec_lo, s25
	v_mov_b32_e32 v1, 0
	s_barrier_signal -1
	s_barrier_wait -1
	global_inv scope:SCOPE_SE
	ds_load_b32 v2, v1 offset:544
	s_and_saveexec_b32 s1, s0
	s_cbranch_execz .LBB80_12
; %bb.11:
	s_lshl_b64 s[26:27], s[8:9], 2
	s_delay_alu instid0(SALU_CYCLE_1)
	s_add_nc_u64 s[26:27], s[6:7], s[26:27]
	s_wait_dscnt 0x0
	global_store_b32 v1, v2, s[26:27]
.LBB80_12:
	s_wait_alu 0xfffe
	s_or_b32 exec_lo, exec_lo, s1
	s_wait_dscnt 0x0
	v_cmp_ne_u32_e32 vcc_lo, 0, v2
	s_mov_b32 s1, 0
	s_cbranch_vccnz .LBB80_80
; %bb.13:
	v_add_nc_u32_e32 v48, 16, v47
                                        ; implicit-def: $vgpr1_vgpr2
                                        ; implicit-def: $vgpr9_vgpr10
	scratch_load_b128 v[5:8], v48, off
	s_wait_loadcnt 0x0
	v_cmp_ngt_f64_e64 s1, |v[5:6]|, |v[7:8]|
	s_wait_alu 0xfffe
	s_and_saveexec_b32 s25, s1
	s_delay_alu instid0(SALU_CYCLE_1)
	s_xor_b32 s1, exec_lo, s25
	s_cbranch_execz .LBB80_15
; %bb.14:
	v_div_scale_f64 v[1:2], null, v[7:8], v[7:8], v[5:6]
	v_div_scale_f64 v[11:12], vcc_lo, v[5:6], v[7:8], v[5:6]
	s_delay_alu instid0(VALU_DEP_2) | instskip(NEXT) | instid1(TRANS32_DEP_1)
	v_rcp_f64_e32 v[3:4], v[1:2]
	v_fma_f64 v[9:10], -v[1:2], v[3:4], 1.0
	s_delay_alu instid0(VALU_DEP_1) | instskip(NEXT) | instid1(VALU_DEP_1)
	v_fma_f64 v[3:4], v[3:4], v[9:10], v[3:4]
	v_fma_f64 v[9:10], -v[1:2], v[3:4], 1.0
	s_delay_alu instid0(VALU_DEP_1) | instskip(NEXT) | instid1(VALU_DEP_1)
	v_fma_f64 v[3:4], v[3:4], v[9:10], v[3:4]
	v_mul_f64_e32 v[9:10], v[11:12], v[3:4]
	s_delay_alu instid0(VALU_DEP_1) | instskip(SKIP_1) | instid1(VALU_DEP_1)
	v_fma_f64 v[1:2], -v[1:2], v[9:10], v[11:12]
	s_wait_alu 0xfffd
	v_div_fmas_f64 v[1:2], v[1:2], v[3:4], v[9:10]
	s_delay_alu instid0(VALU_DEP_1) | instskip(NEXT) | instid1(VALU_DEP_1)
	v_div_fixup_f64 v[1:2], v[1:2], v[7:8], v[5:6]
	v_fma_f64 v[3:4], v[5:6], v[1:2], v[7:8]
	s_delay_alu instid0(VALU_DEP_1) | instskip(SKIP_1) | instid1(VALU_DEP_2)
	v_div_scale_f64 v[5:6], null, v[3:4], v[3:4], 1.0
	v_div_scale_f64 v[11:12], vcc_lo, 1.0, v[3:4], 1.0
	v_rcp_f64_e32 v[7:8], v[5:6]
	s_delay_alu instid0(TRANS32_DEP_1) | instskip(NEXT) | instid1(VALU_DEP_1)
	v_fma_f64 v[9:10], -v[5:6], v[7:8], 1.0
	v_fma_f64 v[7:8], v[7:8], v[9:10], v[7:8]
	s_delay_alu instid0(VALU_DEP_1) | instskip(NEXT) | instid1(VALU_DEP_1)
	v_fma_f64 v[9:10], -v[5:6], v[7:8], 1.0
	v_fma_f64 v[7:8], v[7:8], v[9:10], v[7:8]
	s_delay_alu instid0(VALU_DEP_1) | instskip(NEXT) | instid1(VALU_DEP_1)
	v_mul_f64_e32 v[9:10], v[11:12], v[7:8]
	v_fma_f64 v[5:6], -v[5:6], v[9:10], v[11:12]
	s_wait_alu 0xfffd
	s_delay_alu instid0(VALU_DEP_1) | instskip(NEXT) | instid1(VALU_DEP_1)
	v_div_fmas_f64 v[5:6], v[5:6], v[7:8], v[9:10]
	v_div_fixup_f64 v[3:4], v[5:6], v[3:4], 1.0
                                        ; implicit-def: $vgpr5_vgpr6
	s_delay_alu instid0(VALU_DEP_1) | instskip(SKIP_1) | instid1(VALU_DEP_2)
	v_mul_f64_e32 v[1:2], v[1:2], v[3:4]
	v_xor_b32_e32 v4, 0x80000000, v4
	v_xor_b32_e32 v10, 0x80000000, v2
	s_delay_alu instid0(VALU_DEP_3)
	v_mov_b32_e32 v9, v1
.LBB80_15:
	s_wait_alu 0xfffe
	s_and_not1_saveexec_b32 s1, s1
	s_cbranch_execz .LBB80_17
; %bb.16:
	v_div_scale_f64 v[1:2], null, v[5:6], v[5:6], v[7:8]
	v_div_scale_f64 v[11:12], vcc_lo, v[7:8], v[5:6], v[7:8]
	s_delay_alu instid0(VALU_DEP_2) | instskip(NEXT) | instid1(TRANS32_DEP_1)
	v_rcp_f64_e32 v[3:4], v[1:2]
	v_fma_f64 v[9:10], -v[1:2], v[3:4], 1.0
	s_delay_alu instid0(VALU_DEP_1) | instskip(NEXT) | instid1(VALU_DEP_1)
	v_fma_f64 v[3:4], v[3:4], v[9:10], v[3:4]
	v_fma_f64 v[9:10], -v[1:2], v[3:4], 1.0
	s_delay_alu instid0(VALU_DEP_1) | instskip(NEXT) | instid1(VALU_DEP_1)
	v_fma_f64 v[3:4], v[3:4], v[9:10], v[3:4]
	v_mul_f64_e32 v[9:10], v[11:12], v[3:4]
	s_delay_alu instid0(VALU_DEP_1) | instskip(SKIP_1) | instid1(VALU_DEP_1)
	v_fma_f64 v[1:2], -v[1:2], v[9:10], v[11:12]
	s_wait_alu 0xfffd
	v_div_fmas_f64 v[1:2], v[1:2], v[3:4], v[9:10]
	s_delay_alu instid0(VALU_DEP_1) | instskip(NEXT) | instid1(VALU_DEP_1)
	v_div_fixup_f64 v[3:4], v[1:2], v[5:6], v[7:8]
	v_fma_f64 v[1:2], v[7:8], v[3:4], v[5:6]
	s_delay_alu instid0(VALU_DEP_1) | instskip(NEXT) | instid1(VALU_DEP_1)
	v_div_scale_f64 v[5:6], null, v[1:2], v[1:2], 1.0
	v_rcp_f64_e32 v[7:8], v[5:6]
	s_delay_alu instid0(TRANS32_DEP_1) | instskip(NEXT) | instid1(VALU_DEP_1)
	v_fma_f64 v[9:10], -v[5:6], v[7:8], 1.0
	v_fma_f64 v[7:8], v[7:8], v[9:10], v[7:8]
	s_delay_alu instid0(VALU_DEP_1) | instskip(NEXT) | instid1(VALU_DEP_1)
	v_fma_f64 v[9:10], -v[5:6], v[7:8], 1.0
	v_fma_f64 v[7:8], v[7:8], v[9:10], v[7:8]
	v_div_scale_f64 v[9:10], vcc_lo, 1.0, v[1:2], 1.0
	s_delay_alu instid0(VALU_DEP_1) | instskip(NEXT) | instid1(VALU_DEP_1)
	v_mul_f64_e32 v[11:12], v[9:10], v[7:8]
	v_fma_f64 v[5:6], -v[5:6], v[11:12], v[9:10]
	s_wait_alu 0xfffd
	s_delay_alu instid0(VALU_DEP_1) | instskip(NEXT) | instid1(VALU_DEP_1)
	v_div_fmas_f64 v[5:6], v[5:6], v[7:8], v[11:12]
	v_div_fixup_f64 v[1:2], v[5:6], v[1:2], 1.0
	s_delay_alu instid0(VALU_DEP_1)
	v_mul_f64_e64 v[3:4], v[3:4], -v[1:2]
	v_xor_b32_e32 v10, 0x80000000, v2
	v_mov_b32_e32 v9, v1
.LBB80_17:
	s_wait_alu 0xfffe
	s_or_b32 exec_lo, exec_lo, s1
	scratch_store_b128 v48, v[1:4], off
	scratch_load_b128 v[49:52], off, s24
	v_xor_b32_e32 v12, 0x80000000, v4
	v_mov_b32_e32 v11, v3
	v_add_nc_u32_e32 v5, 0x110, v47
	ds_store_b128 v47, v[9:12]
	s_wait_loadcnt 0x0
	ds_store_b128 v47, v[49:52] offset:272
	s_wait_storecnt_dscnt 0x0
	s_barrier_signal -1
	s_barrier_wait -1
	global_inv scope:SCOPE_SE
	s_and_saveexec_b32 s1, s0
	s_cbranch_execz .LBB80_19
; %bb.18:
	scratch_load_b128 v[1:4], v48, off
	ds_load_b128 v[6:9], v5
	v_mov_b32_e32 v10, 0
	ds_load_b128 v[49:52], v10 offset:16
	s_wait_loadcnt_dscnt 0x1
	v_mul_f64_e32 v[10:11], v[6:7], v[3:4]
	v_mul_f64_e32 v[3:4], v[8:9], v[3:4]
	s_delay_alu instid0(VALU_DEP_2) | instskip(NEXT) | instid1(VALU_DEP_2)
	v_fma_f64 v[8:9], v[8:9], v[1:2], v[10:11]
	v_fma_f64 v[1:2], v[6:7], v[1:2], -v[3:4]
	s_delay_alu instid0(VALU_DEP_2) | instskip(NEXT) | instid1(VALU_DEP_2)
	v_add_f64_e32 v[3:4], 0, v[8:9]
	v_add_f64_e32 v[1:2], 0, v[1:2]
	s_wait_dscnt 0x0
	s_delay_alu instid0(VALU_DEP_2) | instskip(NEXT) | instid1(VALU_DEP_2)
	v_mul_f64_e32 v[6:7], v[3:4], v[51:52]
	v_mul_f64_e32 v[8:9], v[1:2], v[51:52]
	s_delay_alu instid0(VALU_DEP_2) | instskip(NEXT) | instid1(VALU_DEP_2)
	v_fma_f64 v[1:2], v[1:2], v[49:50], -v[6:7]
	v_fma_f64 v[3:4], v[3:4], v[49:50], v[8:9]
	scratch_store_b128 off, v[1:4], off offset:32
.LBB80_19:
	s_wait_alu 0xfffe
	s_or_b32 exec_lo, exec_lo, s1
	s_wait_loadcnt 0x0
	s_wait_storecnt 0x0
	s_barrier_signal -1
	s_barrier_wait -1
	global_inv scope:SCOPE_SE
	scratch_load_b128 v[1:4], off, s23
	s_mov_b32 s1, exec_lo
	s_wait_loadcnt 0x0
	ds_store_b128 v5, v[1:4]
	s_wait_dscnt 0x0
	s_barrier_signal -1
	s_barrier_wait -1
	global_inv scope:SCOPE_SE
	v_cmpx_gt_u32_e32 2, v0
	s_cbranch_execz .LBB80_23
; %bb.20:
	scratch_load_b128 v[1:4], v48, off
	ds_load_b128 v[6:9], v5
	s_wait_loadcnt_dscnt 0x0
	v_mul_f64_e32 v[10:11], v[8:9], v[3:4]
	v_mul_f64_e32 v[3:4], v[6:7], v[3:4]
	s_delay_alu instid0(VALU_DEP_2) | instskip(NEXT) | instid1(VALU_DEP_2)
	v_fma_f64 v[6:7], v[6:7], v[1:2], -v[10:11]
	v_fma_f64 v[3:4], v[8:9], v[1:2], v[3:4]
	s_delay_alu instid0(VALU_DEP_2) | instskip(NEXT) | instid1(VALU_DEP_2)
	v_add_f64_e32 v[1:2], 0, v[6:7]
	v_add_f64_e32 v[3:4], 0, v[3:4]
	s_and_saveexec_b32 s25, s0
	s_cbranch_execz .LBB80_22
; %bb.21:
	scratch_load_b128 v[6:9], off, off offset:32
	v_mov_b32_e32 v10, 0
	ds_load_b128 v[49:52], v10 offset:288
	s_wait_loadcnt_dscnt 0x0
	v_mul_f64_e32 v[10:11], v[49:50], v[8:9]
	v_mul_f64_e32 v[8:9], v[51:52], v[8:9]
	s_delay_alu instid0(VALU_DEP_2) | instskip(NEXT) | instid1(VALU_DEP_2)
	v_fma_f64 v[10:11], v[51:52], v[6:7], v[10:11]
	v_fma_f64 v[6:7], v[49:50], v[6:7], -v[8:9]
	s_delay_alu instid0(VALU_DEP_2) | instskip(NEXT) | instid1(VALU_DEP_2)
	v_add_f64_e32 v[3:4], v[3:4], v[10:11]
	v_add_f64_e32 v[1:2], v[1:2], v[6:7]
.LBB80_22:
	s_or_b32 exec_lo, exec_lo, s25
	v_mov_b32_e32 v6, 0
	ds_load_b128 v[6:9], v6 offset:32
	s_wait_dscnt 0x0
	v_mul_f64_e32 v[10:11], v[3:4], v[8:9]
	v_mul_f64_e32 v[8:9], v[1:2], v[8:9]
	s_delay_alu instid0(VALU_DEP_2) | instskip(NEXT) | instid1(VALU_DEP_2)
	v_fma_f64 v[1:2], v[1:2], v[6:7], -v[10:11]
	v_fma_f64 v[3:4], v[3:4], v[6:7], v[8:9]
	scratch_store_b128 off, v[1:4], off offset:48
.LBB80_23:
	s_wait_alu 0xfffe
	s_or_b32 exec_lo, exec_lo, s1
	s_wait_loadcnt 0x0
	s_wait_storecnt 0x0
	s_barrier_signal -1
	s_barrier_wait -1
	global_inv scope:SCOPE_SE
	scratch_load_b128 v[1:4], off, s16
	v_add_nc_u32_e32 v6, -1, v0
	s_mov_b32 s0, exec_lo
	s_wait_loadcnt 0x0
	ds_store_b128 v5, v[1:4]
	s_wait_dscnt 0x0
	s_barrier_signal -1
	s_barrier_wait -1
	global_inv scope:SCOPE_SE
	v_cmpx_gt_u32_e32 3, v0
	s_cbranch_execz .LBB80_27
; %bb.24:
	v_dual_mov_b32 v1, 0 :: v_dual_add_nc_u32 v8, 0x110, v47
	v_mov_b32_e32 v3, 0
	v_dual_mov_b32 v2, 0 :: v_dual_add_nc_u32 v7, -1, v0
	v_mov_b32_e32 v4, 0
	v_or_b32_e32 v9, 8, v48
	s_mov_b32 s1, 0
.LBB80_25:                              ; =>This Inner Loop Header: Depth=1
	scratch_load_b128 v[49:52], v9, off offset:-8
	ds_load_b128 v[53:56], v8
	v_add_nc_u32_e32 v7, 1, v7
	v_add_nc_u32_e32 v8, 16, v8
	v_add_nc_u32_e32 v9, 16, v9
	s_delay_alu instid0(VALU_DEP_3)
	v_cmp_lt_u32_e32 vcc_lo, 1, v7
	s_wait_alu 0xfffe
	s_or_b32 s1, vcc_lo, s1
	s_wait_loadcnt_dscnt 0x0
	v_mul_f64_e32 v[10:11], v[55:56], v[51:52]
	v_mul_f64_e32 v[51:52], v[53:54], v[51:52]
	s_delay_alu instid0(VALU_DEP_2) | instskip(NEXT) | instid1(VALU_DEP_2)
	v_fma_f64 v[10:11], v[53:54], v[49:50], -v[10:11]
	v_fma_f64 v[49:50], v[55:56], v[49:50], v[51:52]
	s_delay_alu instid0(VALU_DEP_2) | instskip(NEXT) | instid1(VALU_DEP_2)
	v_add_f64_e32 v[3:4], v[3:4], v[10:11]
	v_add_f64_e32 v[1:2], v[1:2], v[49:50]
	s_wait_alu 0xfffe
	s_and_not1_b32 exec_lo, exec_lo, s1
	s_cbranch_execnz .LBB80_25
; %bb.26:
	s_or_b32 exec_lo, exec_lo, s1
	v_mov_b32_e32 v7, 0
	ds_load_b128 v[7:10], v7 offset:48
	s_wait_dscnt 0x0
	v_mul_f64_e32 v[11:12], v[1:2], v[9:10]
	v_mul_f64_e32 v[49:50], v[3:4], v[9:10]
	s_delay_alu instid0(VALU_DEP_2) | instskip(NEXT) | instid1(VALU_DEP_2)
	v_fma_f64 v[9:10], v[3:4], v[7:8], -v[11:12]
	v_fma_f64 v[11:12], v[1:2], v[7:8], v[49:50]
	scratch_store_b128 off, v[9:12], off offset:64
.LBB80_27:
	s_wait_alu 0xfffe
	s_or_b32 exec_lo, exec_lo, s0
	s_wait_loadcnt 0x0
	s_wait_storecnt 0x0
	s_barrier_signal -1
	s_barrier_wait -1
	global_inv scope:SCOPE_SE
	scratch_load_b128 v[1:4], off, s4
	s_mov_b32 s0, exec_lo
	s_wait_loadcnt 0x0
	ds_store_b128 v5, v[1:4]
	s_wait_dscnt 0x0
	s_barrier_signal -1
	s_barrier_wait -1
	global_inv scope:SCOPE_SE
	v_cmpx_gt_u32_e32 4, v0
	s_cbranch_execz .LBB80_31
; %bb.28:
	v_dual_mov_b32 v1, 0 :: v_dual_add_nc_u32 v8, 0x110, v47
	v_mov_b32_e32 v3, 0
	v_dual_mov_b32 v2, 0 :: v_dual_add_nc_u32 v7, -1, v0
	v_mov_b32_e32 v4, 0
	v_or_b32_e32 v9, 8, v48
	s_mov_b32 s1, 0
.LBB80_29:                              ; =>This Inner Loop Header: Depth=1
	scratch_load_b128 v[49:52], v9, off offset:-8
	ds_load_b128 v[53:56], v8
	v_add_nc_u32_e32 v7, 1, v7
	v_add_nc_u32_e32 v8, 16, v8
	v_add_nc_u32_e32 v9, 16, v9
	s_delay_alu instid0(VALU_DEP_3)
	v_cmp_lt_u32_e32 vcc_lo, 2, v7
	s_wait_alu 0xfffe
	s_or_b32 s1, vcc_lo, s1
	s_wait_loadcnt_dscnt 0x0
	v_mul_f64_e32 v[10:11], v[55:56], v[51:52]
	v_mul_f64_e32 v[51:52], v[53:54], v[51:52]
	s_delay_alu instid0(VALU_DEP_2) | instskip(NEXT) | instid1(VALU_DEP_2)
	v_fma_f64 v[10:11], v[53:54], v[49:50], -v[10:11]
	v_fma_f64 v[49:50], v[55:56], v[49:50], v[51:52]
	s_delay_alu instid0(VALU_DEP_2) | instskip(NEXT) | instid1(VALU_DEP_2)
	v_add_f64_e32 v[3:4], v[3:4], v[10:11]
	v_add_f64_e32 v[1:2], v[1:2], v[49:50]
	s_wait_alu 0xfffe
	s_and_not1_b32 exec_lo, exec_lo, s1
	s_cbranch_execnz .LBB80_29
; %bb.30:
	s_or_b32 exec_lo, exec_lo, s1
	v_mov_b32_e32 v7, 0
	ds_load_b128 v[7:10], v7 offset:64
	s_wait_dscnt 0x0
	v_mul_f64_e32 v[11:12], v[1:2], v[9:10]
	v_mul_f64_e32 v[49:50], v[3:4], v[9:10]
	s_delay_alu instid0(VALU_DEP_2) | instskip(NEXT) | instid1(VALU_DEP_2)
	v_fma_f64 v[9:10], v[3:4], v[7:8], -v[11:12]
	v_fma_f64 v[11:12], v[1:2], v[7:8], v[49:50]
	scratch_store_b128 off, v[9:12], off offset:80
.LBB80_31:
	s_wait_alu 0xfffe
	s_or_b32 exec_lo, exec_lo, s0
	s_wait_loadcnt 0x0
	s_wait_storecnt 0x0
	s_barrier_signal -1
	s_barrier_wait -1
	global_inv scope:SCOPE_SE
	scratch_load_b128 v[1:4], off, s17
	;; [unrolled: 58-line block ×13, first 2 shown]
	s_mov_b32 s0, exec_lo
	s_wait_loadcnt 0x0
	ds_store_b128 v5, v[1:4]
	s_wait_dscnt 0x0
	s_barrier_signal -1
	s_barrier_wait -1
	global_inv scope:SCOPE_SE
	v_cmpx_ne_u32_e32 16, v0
	s_cbranch_execz .LBB80_79
; %bb.76:
	v_mov_b32_e32 v1, 0
	v_dual_mov_b32 v2, 0 :: v_dual_mov_b32 v3, 0
	v_mov_b32_e32 v4, 0
	v_or_b32_e32 v7, 8, v48
	s_mov_b32 s1, 0
.LBB80_77:                              ; =>This Inner Loop Header: Depth=1
	scratch_load_b128 v[8:11], v7, off offset:-8
	ds_load_b128 v[47:50], v5
	v_add_nc_u32_e32 v6, 1, v6
	v_add_nc_u32_e32 v5, 16, v5
	;; [unrolled: 1-line block ×3, first 2 shown]
	s_delay_alu instid0(VALU_DEP_3)
	v_cmp_lt_u32_e32 vcc_lo, 14, v6
	s_wait_alu 0xfffe
	s_or_b32 s1, vcc_lo, s1
	s_wait_loadcnt_dscnt 0x0
	v_mul_f64_e32 v[51:52], v[49:50], v[10:11]
	v_mul_f64_e32 v[10:11], v[47:48], v[10:11]
	s_delay_alu instid0(VALU_DEP_2) | instskip(NEXT) | instid1(VALU_DEP_2)
	v_fma_f64 v[47:48], v[47:48], v[8:9], -v[51:52]
	v_fma_f64 v[8:9], v[49:50], v[8:9], v[10:11]
	s_delay_alu instid0(VALU_DEP_2) | instskip(NEXT) | instid1(VALU_DEP_2)
	v_add_f64_e32 v[3:4], v[3:4], v[47:48]
	v_add_f64_e32 v[1:2], v[1:2], v[8:9]
	s_wait_alu 0xfffe
	s_and_not1_b32 exec_lo, exec_lo, s1
	s_cbranch_execnz .LBB80_77
; %bb.78:
	s_or_b32 exec_lo, exec_lo, s1
	v_mov_b32_e32 v5, 0
	ds_load_b128 v[5:8], v5 offset:256
	s_wait_dscnt 0x0
	v_mul_f64_e32 v[9:10], v[1:2], v[7:8]
	v_mul_f64_e32 v[7:8], v[3:4], v[7:8]
	s_delay_alu instid0(VALU_DEP_2) | instskip(NEXT) | instid1(VALU_DEP_2)
	v_fma_f64 v[3:4], v[3:4], v[5:6], -v[9:10]
	v_fma_f64 v[5:6], v[1:2], v[5:6], v[7:8]
	scratch_store_b128 off, v[3:6], off offset:272
.LBB80_79:
	s_wait_alu 0xfffe
	s_or_b32 exec_lo, exec_lo, s0
	s_mov_b32 s1, -1
	s_wait_loadcnt 0x0
	s_wait_storecnt 0x0
	s_barrier_signal -1
	s_barrier_wait -1
	global_inv scope:SCOPE_SE
.LBB80_80:
	s_wait_alu 0xfffe
	s_and_b32 vcc_lo, exec_lo, s1
	s_wait_alu 0xfffe
	s_cbranch_vccz .LBB80_82
; %bb.81:
	v_mov_b32_e32 v1, 0
	s_lshl_b64 s[0:1], s[8:9], 2
	s_wait_alu 0xfffe
	s_add_nc_u64 s[0:1], s[6:7], s[0:1]
	global_load_b32 v1, v1, s[0:1]
	s_wait_loadcnt 0x0
	v_cmp_ne_u32_e32 vcc_lo, 0, v1
	s_cbranch_vccz .LBB80_83
.LBB80_82:
	s_nop 0
	s_sendmsg sendmsg(MSG_DEALLOC_VGPRS)
	s_endpgm
.LBB80_83:
	v_lshl_add_u32 v5, v0, 4, 0x110
	s_mov_b32 s0, exec_lo
	v_cmpx_eq_u32_e32 16, v0
	s_cbranch_execz .LBB80_85
; %bb.84:
	scratch_load_b128 v[1:4], off, s22
	v_mov_b32_e32 v6, 0
	s_delay_alu instid0(VALU_DEP_1)
	v_dual_mov_b32 v7, v6 :: v_dual_mov_b32 v8, v6
	v_mov_b32_e32 v9, v6
	scratch_store_b128 off, v[6:9], off offset:256
	s_wait_loadcnt 0x0
	ds_store_b128 v5, v[1:4]
.LBB80_85:
	s_wait_alu 0xfffe
	s_or_b32 exec_lo, exec_lo, s0
	s_wait_storecnt_dscnt 0x0
	s_barrier_signal -1
	s_barrier_wait -1
	global_inv scope:SCOPE_SE
	s_clause 0x1
	scratch_load_b128 v[6:9], off, off offset:272
	scratch_load_b128 v[47:50], off, off offset:256
	v_mov_b32_e32 v1, 0
	s_mov_b32 s0, exec_lo
	ds_load_b128 v[51:54], v1 offset:528
	s_wait_loadcnt_dscnt 0x100
	v_mul_f64_e32 v[2:3], v[53:54], v[8:9]
	v_mul_f64_e32 v[8:9], v[51:52], v[8:9]
	s_delay_alu instid0(VALU_DEP_2) | instskip(NEXT) | instid1(VALU_DEP_2)
	v_fma_f64 v[2:3], v[51:52], v[6:7], -v[2:3]
	v_fma_f64 v[6:7], v[53:54], v[6:7], v[8:9]
	s_delay_alu instid0(VALU_DEP_2) | instskip(NEXT) | instid1(VALU_DEP_2)
	v_add_f64_e32 v[2:3], 0, v[2:3]
	v_add_f64_e32 v[8:9], 0, v[6:7]
	s_wait_loadcnt 0x0
	s_delay_alu instid0(VALU_DEP_2) | instskip(NEXT) | instid1(VALU_DEP_2)
	v_add_f64_e64 v[6:7], v[47:48], -v[2:3]
	v_add_f64_e64 v[8:9], v[49:50], -v[8:9]
	scratch_store_b128 off, v[6:9], off offset:256
	v_cmpx_lt_u32_e32 14, v0
	s_cbranch_execz .LBB80_87
; %bb.86:
	scratch_load_b128 v[6:9], off, s14
	v_dual_mov_b32 v2, v1 :: v_dual_mov_b32 v3, v1
	v_mov_b32_e32 v4, v1
	scratch_store_b128 off, v[1:4], off offset:240
	s_wait_loadcnt 0x0
	ds_store_b128 v5, v[6:9]
.LBB80_87:
	s_wait_alu 0xfffe
	s_or_b32 exec_lo, exec_lo, s0
	s_wait_storecnt_dscnt 0x0
	s_barrier_signal -1
	s_barrier_wait -1
	global_inv scope:SCOPE_SE
	s_clause 0x2
	scratch_load_b128 v[6:9], off, off offset:256
	scratch_load_b128 v[47:50], off, off offset:272
	;; [unrolled: 1-line block ×3, first 2 shown]
	ds_load_b128 v[55:58], v1 offset:512
	ds_load_b128 v[1:4], v1 offset:528
	s_mov_b32 s0, exec_lo
	s_wait_loadcnt_dscnt 0x201
	v_mul_f64_e32 v[10:11], v[57:58], v[8:9]
	v_mul_f64_e32 v[8:9], v[55:56], v[8:9]
	s_wait_loadcnt_dscnt 0x100
	v_mul_f64_e32 v[59:60], v[1:2], v[49:50]
	v_mul_f64_e32 v[49:50], v[3:4], v[49:50]
	s_delay_alu instid0(VALU_DEP_4) | instskip(NEXT) | instid1(VALU_DEP_4)
	v_fma_f64 v[10:11], v[55:56], v[6:7], -v[10:11]
	v_fma_f64 v[6:7], v[57:58], v[6:7], v[8:9]
	s_delay_alu instid0(VALU_DEP_4) | instskip(NEXT) | instid1(VALU_DEP_4)
	v_fma_f64 v[3:4], v[3:4], v[47:48], v[59:60]
	v_fma_f64 v[1:2], v[1:2], v[47:48], -v[49:50]
	s_delay_alu instid0(VALU_DEP_4) | instskip(NEXT) | instid1(VALU_DEP_4)
	v_add_f64_e32 v[8:9], 0, v[10:11]
	v_add_f64_e32 v[6:7], 0, v[6:7]
	s_delay_alu instid0(VALU_DEP_2) | instskip(NEXT) | instid1(VALU_DEP_2)
	v_add_f64_e32 v[1:2], v[8:9], v[1:2]
	v_add_f64_e32 v[3:4], v[6:7], v[3:4]
	s_wait_loadcnt 0x0
	s_delay_alu instid0(VALU_DEP_2) | instskip(NEXT) | instid1(VALU_DEP_2)
	v_add_f64_e64 v[1:2], v[51:52], -v[1:2]
	v_add_f64_e64 v[3:4], v[53:54], -v[3:4]
	scratch_store_b128 off, v[1:4], off offset:240
	v_cmpx_lt_u32_e32 13, v0
	s_cbranch_execz .LBB80_89
; %bb.88:
	scratch_load_b128 v[1:4], off, s21
	v_mov_b32_e32 v6, 0
	s_delay_alu instid0(VALU_DEP_1)
	v_dual_mov_b32 v7, v6 :: v_dual_mov_b32 v8, v6
	v_mov_b32_e32 v9, v6
	scratch_store_b128 off, v[6:9], off offset:224
	s_wait_loadcnt 0x0
	ds_store_b128 v5, v[1:4]
.LBB80_89:
	s_wait_alu 0xfffe
	s_or_b32 exec_lo, exec_lo, s0
	s_wait_storecnt_dscnt 0x0
	s_barrier_signal -1
	s_barrier_wait -1
	global_inv scope:SCOPE_SE
	s_clause 0x3
	scratch_load_b128 v[6:9], off, off offset:240
	scratch_load_b128 v[47:50], off, off offset:256
	;; [unrolled: 1-line block ×4, first 2 shown]
	v_mov_b32_e32 v1, 0
	ds_load_b128 v[59:62], v1 offset:496
	ds_load_b128 v[63:66], v1 offset:512
	s_mov_b32 s0, exec_lo
	s_wait_loadcnt_dscnt 0x301
	v_mul_f64_e32 v[2:3], v[61:62], v[8:9]
	v_mul_f64_e32 v[8:9], v[59:60], v[8:9]
	s_wait_loadcnt_dscnt 0x200
	v_mul_f64_e32 v[10:11], v[63:64], v[49:50]
	v_mul_f64_e32 v[49:50], v[65:66], v[49:50]
	s_delay_alu instid0(VALU_DEP_4) | instskip(NEXT) | instid1(VALU_DEP_4)
	v_fma_f64 v[2:3], v[59:60], v[6:7], -v[2:3]
	v_fma_f64 v[59:60], v[61:62], v[6:7], v[8:9]
	ds_load_b128 v[6:9], v1 offset:528
	v_fma_f64 v[10:11], v[65:66], v[47:48], v[10:11]
	v_fma_f64 v[47:48], v[63:64], v[47:48], -v[49:50]
	s_wait_loadcnt_dscnt 0x100
	v_mul_f64_e32 v[61:62], v[6:7], v[53:54]
	v_mul_f64_e32 v[53:54], v[8:9], v[53:54]
	v_add_f64_e32 v[2:3], 0, v[2:3]
	v_add_f64_e32 v[49:50], 0, v[59:60]
	s_delay_alu instid0(VALU_DEP_4) | instskip(NEXT) | instid1(VALU_DEP_4)
	v_fma_f64 v[8:9], v[8:9], v[51:52], v[61:62]
	v_fma_f64 v[6:7], v[6:7], v[51:52], -v[53:54]
	s_delay_alu instid0(VALU_DEP_4) | instskip(NEXT) | instid1(VALU_DEP_4)
	v_add_f64_e32 v[2:3], v[2:3], v[47:48]
	v_add_f64_e32 v[10:11], v[49:50], v[10:11]
	s_delay_alu instid0(VALU_DEP_2) | instskip(NEXT) | instid1(VALU_DEP_2)
	v_add_f64_e32 v[2:3], v[2:3], v[6:7]
	v_add_f64_e32 v[8:9], v[10:11], v[8:9]
	s_wait_loadcnt 0x0
	s_delay_alu instid0(VALU_DEP_2) | instskip(NEXT) | instid1(VALU_DEP_2)
	v_add_f64_e64 v[6:7], v[55:56], -v[2:3]
	v_add_f64_e64 v[8:9], v[57:58], -v[8:9]
	scratch_store_b128 off, v[6:9], off offset:224
	v_cmpx_lt_u32_e32 12, v0
	s_cbranch_execz .LBB80_91
; %bb.90:
	scratch_load_b128 v[6:9], off, s13
	v_dual_mov_b32 v2, v1 :: v_dual_mov_b32 v3, v1
	v_mov_b32_e32 v4, v1
	scratch_store_b128 off, v[1:4], off offset:208
	s_wait_loadcnt 0x0
	ds_store_b128 v5, v[6:9]
.LBB80_91:
	s_wait_alu 0xfffe
	s_or_b32 exec_lo, exec_lo, s0
	s_wait_storecnt_dscnt 0x0
	s_barrier_signal -1
	s_barrier_wait -1
	global_inv scope:SCOPE_SE
	s_clause 0x4
	scratch_load_b128 v[6:9], off, off offset:224
	scratch_load_b128 v[47:50], off, off offset:240
	;; [unrolled: 1-line block ×5, first 2 shown]
	ds_load_b128 v[63:66], v1 offset:480
	ds_load_b128 v[67:70], v1 offset:496
	s_mov_b32 s0, exec_lo
	s_wait_loadcnt_dscnt 0x401
	v_mul_f64_e32 v[2:3], v[65:66], v[8:9]
	v_mul_f64_e32 v[8:9], v[63:64], v[8:9]
	s_wait_loadcnt_dscnt 0x300
	v_mul_f64_e32 v[10:11], v[67:68], v[49:50]
	v_mul_f64_e32 v[49:50], v[69:70], v[49:50]
	s_delay_alu instid0(VALU_DEP_4) | instskip(NEXT) | instid1(VALU_DEP_4)
	v_fma_f64 v[63:64], v[63:64], v[6:7], -v[2:3]
	v_fma_f64 v[65:66], v[65:66], v[6:7], v[8:9]
	ds_load_b128 v[6:9], v1 offset:512
	ds_load_b128 v[1:4], v1 offset:528
	v_fma_f64 v[10:11], v[69:70], v[47:48], v[10:11]
	v_fma_f64 v[47:48], v[67:68], v[47:48], -v[49:50]
	s_wait_loadcnt_dscnt 0x201
	v_mul_f64_e32 v[71:72], v[6:7], v[53:54]
	v_mul_f64_e32 v[53:54], v[8:9], v[53:54]
	v_add_f64_e32 v[49:50], 0, v[63:64]
	v_add_f64_e32 v[63:64], 0, v[65:66]
	s_wait_loadcnt_dscnt 0x100
	v_mul_f64_e32 v[65:66], v[1:2], v[57:58]
	v_mul_f64_e32 v[57:58], v[3:4], v[57:58]
	v_fma_f64 v[8:9], v[8:9], v[51:52], v[71:72]
	v_fma_f64 v[6:7], v[6:7], v[51:52], -v[53:54]
	v_add_f64_e32 v[47:48], v[49:50], v[47:48]
	v_add_f64_e32 v[10:11], v[63:64], v[10:11]
	v_fma_f64 v[3:4], v[3:4], v[55:56], v[65:66]
	v_fma_f64 v[1:2], v[1:2], v[55:56], -v[57:58]
	s_delay_alu instid0(VALU_DEP_4) | instskip(NEXT) | instid1(VALU_DEP_4)
	v_add_f64_e32 v[6:7], v[47:48], v[6:7]
	v_add_f64_e32 v[8:9], v[10:11], v[8:9]
	s_delay_alu instid0(VALU_DEP_2) | instskip(NEXT) | instid1(VALU_DEP_2)
	v_add_f64_e32 v[1:2], v[6:7], v[1:2]
	v_add_f64_e32 v[3:4], v[8:9], v[3:4]
	s_wait_loadcnt 0x0
	s_delay_alu instid0(VALU_DEP_2) | instskip(NEXT) | instid1(VALU_DEP_2)
	v_add_f64_e64 v[1:2], v[59:60], -v[1:2]
	v_add_f64_e64 v[3:4], v[61:62], -v[3:4]
	scratch_store_b128 off, v[1:4], off offset:208
	v_cmpx_lt_u32_e32 11, v0
	s_cbranch_execz .LBB80_93
; %bb.92:
	scratch_load_b128 v[1:4], off, s20
	v_mov_b32_e32 v6, 0
	s_delay_alu instid0(VALU_DEP_1)
	v_dual_mov_b32 v7, v6 :: v_dual_mov_b32 v8, v6
	v_mov_b32_e32 v9, v6
	scratch_store_b128 off, v[6:9], off offset:192
	s_wait_loadcnt 0x0
	ds_store_b128 v5, v[1:4]
.LBB80_93:
	s_wait_alu 0xfffe
	s_or_b32 exec_lo, exec_lo, s0
	s_wait_storecnt_dscnt 0x0
	s_barrier_signal -1
	s_barrier_wait -1
	global_inv scope:SCOPE_SE
	s_clause 0x5
	scratch_load_b128 v[6:9], off, off offset:208
	scratch_load_b128 v[47:50], off, off offset:224
	;; [unrolled: 1-line block ×6, first 2 shown]
	v_mov_b32_e32 v1, 0
	ds_load_b128 v[67:70], v1 offset:464
	ds_load_b128 v[71:74], v1 offset:480
	s_mov_b32 s0, exec_lo
	s_wait_loadcnt_dscnt 0x501
	v_mul_f64_e32 v[2:3], v[69:70], v[8:9]
	v_mul_f64_e32 v[8:9], v[67:68], v[8:9]
	s_wait_loadcnt_dscnt 0x400
	v_mul_f64_e32 v[10:11], v[71:72], v[49:50]
	v_mul_f64_e32 v[49:50], v[73:74], v[49:50]
	s_delay_alu instid0(VALU_DEP_4) | instskip(NEXT) | instid1(VALU_DEP_4)
	v_fma_f64 v[2:3], v[67:68], v[6:7], -v[2:3]
	v_fma_f64 v[75:76], v[69:70], v[6:7], v[8:9]
	ds_load_b128 v[6:9], v1 offset:496
	ds_load_b128 v[67:70], v1 offset:512
	v_fma_f64 v[10:11], v[73:74], v[47:48], v[10:11]
	v_fma_f64 v[47:48], v[71:72], v[47:48], -v[49:50]
	s_wait_loadcnt_dscnt 0x301
	v_mul_f64_e32 v[77:78], v[6:7], v[53:54]
	v_mul_f64_e32 v[53:54], v[8:9], v[53:54]
	s_wait_loadcnt_dscnt 0x200
	v_mul_f64_e32 v[71:72], v[67:68], v[57:58]
	v_mul_f64_e32 v[57:58], v[69:70], v[57:58]
	v_add_f64_e32 v[2:3], 0, v[2:3]
	v_add_f64_e32 v[49:50], 0, v[75:76]
	v_fma_f64 v[73:74], v[8:9], v[51:52], v[77:78]
	v_fma_f64 v[51:52], v[6:7], v[51:52], -v[53:54]
	ds_load_b128 v[6:9], v1 offset:528
	v_fma_f64 v[53:54], v[69:70], v[55:56], v[71:72]
	v_fma_f64 v[55:56], v[67:68], v[55:56], -v[57:58]
	v_add_f64_e32 v[2:3], v[2:3], v[47:48]
	v_add_f64_e32 v[10:11], v[49:50], v[10:11]
	s_wait_loadcnt_dscnt 0x100
	v_mul_f64_e32 v[47:48], v[6:7], v[61:62]
	v_mul_f64_e32 v[49:50], v[8:9], v[61:62]
	s_delay_alu instid0(VALU_DEP_4) | instskip(NEXT) | instid1(VALU_DEP_4)
	v_add_f64_e32 v[2:3], v[2:3], v[51:52]
	v_add_f64_e32 v[10:11], v[10:11], v[73:74]
	s_delay_alu instid0(VALU_DEP_4) | instskip(NEXT) | instid1(VALU_DEP_4)
	v_fma_f64 v[8:9], v[8:9], v[59:60], v[47:48]
	v_fma_f64 v[6:7], v[6:7], v[59:60], -v[49:50]
	s_delay_alu instid0(VALU_DEP_4) | instskip(NEXT) | instid1(VALU_DEP_4)
	v_add_f64_e32 v[2:3], v[2:3], v[55:56]
	v_add_f64_e32 v[10:11], v[10:11], v[53:54]
	s_delay_alu instid0(VALU_DEP_2) | instskip(NEXT) | instid1(VALU_DEP_2)
	v_add_f64_e32 v[2:3], v[2:3], v[6:7]
	v_add_f64_e32 v[8:9], v[10:11], v[8:9]
	s_wait_loadcnt 0x0
	s_delay_alu instid0(VALU_DEP_2) | instskip(NEXT) | instid1(VALU_DEP_2)
	v_add_f64_e64 v[6:7], v[63:64], -v[2:3]
	v_add_f64_e64 v[8:9], v[65:66], -v[8:9]
	scratch_store_b128 off, v[6:9], off offset:192
	v_cmpx_lt_u32_e32 10, v0
	s_cbranch_execz .LBB80_95
; %bb.94:
	scratch_load_b128 v[6:9], off, s11
	v_dual_mov_b32 v2, v1 :: v_dual_mov_b32 v3, v1
	v_mov_b32_e32 v4, v1
	scratch_store_b128 off, v[1:4], off offset:176
	s_wait_loadcnt 0x0
	ds_store_b128 v5, v[6:9]
.LBB80_95:
	s_wait_alu 0xfffe
	s_or_b32 exec_lo, exec_lo, s0
	s_wait_storecnt_dscnt 0x0
	s_barrier_signal -1
	s_barrier_wait -1
	global_inv scope:SCOPE_SE
	s_clause 0x5
	scratch_load_b128 v[6:9], off, off offset:192
	scratch_load_b128 v[47:50], off, off offset:208
	;; [unrolled: 1-line block ×6, first 2 shown]
	ds_load_b128 v[67:70], v1 offset:448
	ds_load_b128 v[75:78], v1 offset:464
	scratch_load_b128 v[71:74], off, off offset:176
	s_mov_b32 s0, exec_lo
	s_wait_loadcnt_dscnt 0x601
	v_mul_f64_e32 v[2:3], v[69:70], v[8:9]
	v_mul_f64_e32 v[8:9], v[67:68], v[8:9]
	s_wait_loadcnt_dscnt 0x500
	v_mul_f64_e32 v[10:11], v[75:76], v[49:50]
	v_mul_f64_e32 v[49:50], v[77:78], v[49:50]
	s_delay_alu instid0(VALU_DEP_4) | instskip(NEXT) | instid1(VALU_DEP_4)
	v_fma_f64 v[2:3], v[67:68], v[6:7], -v[2:3]
	v_fma_f64 v[79:80], v[69:70], v[6:7], v[8:9]
	ds_load_b128 v[6:9], v1 offset:480
	ds_load_b128 v[67:70], v1 offset:496
	v_fma_f64 v[10:11], v[77:78], v[47:48], v[10:11]
	v_fma_f64 v[47:48], v[75:76], v[47:48], -v[49:50]
	s_wait_loadcnt_dscnt 0x401
	v_mul_f64_e32 v[81:82], v[6:7], v[53:54]
	v_mul_f64_e32 v[53:54], v[8:9], v[53:54]
	s_wait_loadcnt_dscnt 0x300
	v_mul_f64_e32 v[75:76], v[67:68], v[57:58]
	v_mul_f64_e32 v[57:58], v[69:70], v[57:58]
	v_add_f64_e32 v[2:3], 0, v[2:3]
	v_add_f64_e32 v[49:50], 0, v[79:80]
	v_fma_f64 v[77:78], v[8:9], v[51:52], v[81:82]
	v_fma_f64 v[51:52], v[6:7], v[51:52], -v[53:54]
	s_delay_alu instid0(VALU_DEP_4) | instskip(NEXT) | instid1(VALU_DEP_4)
	v_add_f64_e32 v[47:48], v[2:3], v[47:48]
	v_add_f64_e32 v[10:11], v[49:50], v[10:11]
	ds_load_b128 v[6:9], v1 offset:512
	ds_load_b128 v[1:4], v1 offset:528
	s_wait_loadcnt_dscnt 0x201
	v_mul_f64_e32 v[49:50], v[6:7], v[61:62]
	v_mul_f64_e32 v[53:54], v[8:9], v[61:62]
	v_fma_f64 v[61:62], v[69:70], v[55:56], v[75:76]
	v_fma_f64 v[55:56], v[67:68], v[55:56], -v[57:58]
	s_wait_loadcnt_dscnt 0x100
	v_mul_f64_e32 v[57:58], v[3:4], v[65:66]
	v_add_f64_e32 v[47:48], v[47:48], v[51:52]
	v_add_f64_e32 v[10:11], v[10:11], v[77:78]
	v_mul_f64_e32 v[51:52], v[1:2], v[65:66]
	v_fma_f64 v[8:9], v[8:9], v[59:60], v[49:50]
	v_fma_f64 v[6:7], v[6:7], v[59:60], -v[53:54]
	v_fma_f64 v[1:2], v[1:2], v[63:64], -v[57:58]
	v_add_f64_e32 v[47:48], v[47:48], v[55:56]
	v_add_f64_e32 v[10:11], v[10:11], v[61:62]
	v_fma_f64 v[3:4], v[3:4], v[63:64], v[51:52]
	s_delay_alu instid0(VALU_DEP_3) | instskip(NEXT) | instid1(VALU_DEP_3)
	v_add_f64_e32 v[6:7], v[47:48], v[6:7]
	v_add_f64_e32 v[8:9], v[10:11], v[8:9]
	s_delay_alu instid0(VALU_DEP_2) | instskip(NEXT) | instid1(VALU_DEP_2)
	v_add_f64_e32 v[1:2], v[6:7], v[1:2]
	v_add_f64_e32 v[3:4], v[8:9], v[3:4]
	s_wait_loadcnt 0x0
	s_delay_alu instid0(VALU_DEP_2) | instskip(NEXT) | instid1(VALU_DEP_2)
	v_add_f64_e64 v[1:2], v[71:72], -v[1:2]
	v_add_f64_e64 v[3:4], v[73:74], -v[3:4]
	scratch_store_b128 off, v[1:4], off offset:176
	v_cmpx_lt_u32_e32 9, v0
	s_cbranch_execz .LBB80_97
; %bb.96:
	scratch_load_b128 v[1:4], off, s19
	v_mov_b32_e32 v6, 0
	s_delay_alu instid0(VALU_DEP_1)
	v_dual_mov_b32 v7, v6 :: v_dual_mov_b32 v8, v6
	v_mov_b32_e32 v9, v6
	scratch_store_b128 off, v[6:9], off offset:160
	s_wait_loadcnt 0x0
	ds_store_b128 v5, v[1:4]
.LBB80_97:
	s_wait_alu 0xfffe
	s_or_b32 exec_lo, exec_lo, s0
	s_wait_storecnt_dscnt 0x0
	s_barrier_signal -1
	s_barrier_wait -1
	global_inv scope:SCOPE_SE
	s_clause 0x6
	scratch_load_b128 v[6:9], off, off offset:176
	scratch_load_b128 v[47:50], off, off offset:192
	;; [unrolled: 1-line block ×7, first 2 shown]
	v_mov_b32_e32 v1, 0
	scratch_load_b128 v[75:78], off, off offset:160
	s_mov_b32 s0, exec_lo
	ds_load_b128 v[71:74], v1 offset:432
	ds_load_b128 v[79:82], v1 offset:448
	s_wait_loadcnt_dscnt 0x701
	v_mul_f64_e32 v[2:3], v[73:74], v[8:9]
	v_mul_f64_e32 v[8:9], v[71:72], v[8:9]
	s_wait_loadcnt_dscnt 0x600
	v_mul_f64_e32 v[10:11], v[79:80], v[49:50]
	v_mul_f64_e32 v[49:50], v[81:82], v[49:50]
	s_delay_alu instid0(VALU_DEP_4) | instskip(NEXT) | instid1(VALU_DEP_4)
	v_fma_f64 v[2:3], v[71:72], v[6:7], -v[2:3]
	v_fma_f64 v[83:84], v[73:74], v[6:7], v[8:9]
	ds_load_b128 v[6:9], v1 offset:464
	ds_load_b128 v[71:74], v1 offset:480
	v_fma_f64 v[10:11], v[81:82], v[47:48], v[10:11]
	v_fma_f64 v[47:48], v[79:80], v[47:48], -v[49:50]
	s_wait_loadcnt_dscnt 0x501
	v_mul_f64_e32 v[85:86], v[6:7], v[53:54]
	v_mul_f64_e32 v[53:54], v[8:9], v[53:54]
	s_wait_loadcnt_dscnt 0x400
	v_mul_f64_e32 v[79:80], v[71:72], v[57:58]
	v_mul_f64_e32 v[57:58], v[73:74], v[57:58]
	v_add_f64_e32 v[2:3], 0, v[2:3]
	v_add_f64_e32 v[49:50], 0, v[83:84]
	v_fma_f64 v[81:82], v[8:9], v[51:52], v[85:86]
	v_fma_f64 v[51:52], v[6:7], v[51:52], -v[53:54]
	v_fma_f64 v[73:74], v[73:74], v[55:56], v[79:80]
	v_fma_f64 v[55:56], v[71:72], v[55:56], -v[57:58]
	v_add_f64_e32 v[2:3], v[2:3], v[47:48]
	v_add_f64_e32 v[10:11], v[49:50], v[10:11]
	ds_load_b128 v[6:9], v1 offset:496
	ds_load_b128 v[47:50], v1 offset:512
	s_wait_loadcnt_dscnt 0x301
	v_mul_f64_e32 v[53:54], v[6:7], v[61:62]
	v_mul_f64_e32 v[61:62], v[8:9], v[61:62]
	s_wait_loadcnt_dscnt 0x200
	v_mul_f64_e32 v[57:58], v[49:50], v[65:66]
	v_add_f64_e32 v[2:3], v[2:3], v[51:52]
	v_add_f64_e32 v[10:11], v[10:11], v[81:82]
	v_mul_f64_e32 v[51:52], v[47:48], v[65:66]
	v_fma_f64 v[53:54], v[8:9], v[59:60], v[53:54]
	v_fma_f64 v[59:60], v[6:7], v[59:60], -v[61:62]
	ds_load_b128 v[6:9], v1 offset:528
	v_fma_f64 v[47:48], v[47:48], v[63:64], -v[57:58]
	v_add_f64_e32 v[2:3], v[2:3], v[55:56]
	v_add_f64_e32 v[10:11], v[10:11], v[73:74]
	v_fma_f64 v[49:50], v[49:50], v[63:64], v[51:52]
	s_wait_loadcnt_dscnt 0x100
	v_mul_f64_e32 v[55:56], v[6:7], v[69:70]
	v_mul_f64_e32 v[61:62], v[8:9], v[69:70]
	v_add_f64_e32 v[2:3], v[2:3], v[59:60]
	v_add_f64_e32 v[10:11], v[10:11], v[53:54]
	s_delay_alu instid0(VALU_DEP_4) | instskip(NEXT) | instid1(VALU_DEP_4)
	v_fma_f64 v[8:9], v[8:9], v[67:68], v[55:56]
	v_fma_f64 v[6:7], v[6:7], v[67:68], -v[61:62]
	s_delay_alu instid0(VALU_DEP_4) | instskip(NEXT) | instid1(VALU_DEP_4)
	v_add_f64_e32 v[2:3], v[2:3], v[47:48]
	v_add_f64_e32 v[10:11], v[10:11], v[49:50]
	s_delay_alu instid0(VALU_DEP_2) | instskip(NEXT) | instid1(VALU_DEP_2)
	v_add_f64_e32 v[2:3], v[2:3], v[6:7]
	v_add_f64_e32 v[8:9], v[10:11], v[8:9]
	s_wait_loadcnt 0x0
	s_delay_alu instid0(VALU_DEP_2) | instskip(NEXT) | instid1(VALU_DEP_2)
	v_add_f64_e64 v[6:7], v[75:76], -v[2:3]
	v_add_f64_e64 v[8:9], v[77:78], -v[8:9]
	scratch_store_b128 off, v[6:9], off offset:160
	v_cmpx_lt_u32_e32 8, v0
	s_cbranch_execz .LBB80_99
; %bb.98:
	scratch_load_b128 v[6:9], off, s10
	v_dual_mov_b32 v2, v1 :: v_dual_mov_b32 v3, v1
	v_mov_b32_e32 v4, v1
	scratch_store_b128 off, v[1:4], off offset:144
	s_wait_loadcnt 0x0
	ds_store_b128 v5, v[6:9]
.LBB80_99:
	s_wait_alu 0xfffe
	s_or_b32 exec_lo, exec_lo, s0
	s_wait_storecnt_dscnt 0x0
	s_barrier_signal -1
	s_barrier_wait -1
	global_inv scope:SCOPE_SE
	s_clause 0x7
	scratch_load_b128 v[6:9], off, off offset:160
	scratch_load_b128 v[47:50], off, off offset:176
	;; [unrolled: 1-line block ×8, first 2 shown]
	ds_load_b128 v[75:78], v1 offset:416
	ds_load_b128 v[79:82], v1 offset:432
	scratch_load_b128 v[83:86], off, off offset:144
	s_mov_b32 s0, exec_lo
	s_wait_loadcnt_dscnt 0x801
	v_mul_f64_e32 v[2:3], v[77:78], v[8:9]
	v_mul_f64_e32 v[8:9], v[75:76], v[8:9]
	s_wait_loadcnt_dscnt 0x700
	v_mul_f64_e32 v[10:11], v[79:80], v[49:50]
	v_mul_f64_e32 v[49:50], v[81:82], v[49:50]
	s_delay_alu instid0(VALU_DEP_4) | instskip(NEXT) | instid1(VALU_DEP_4)
	v_fma_f64 v[2:3], v[75:76], v[6:7], -v[2:3]
	v_fma_f64 v[87:88], v[77:78], v[6:7], v[8:9]
	ds_load_b128 v[6:9], v1 offset:448
	ds_load_b128 v[75:78], v1 offset:464
	v_fma_f64 v[10:11], v[81:82], v[47:48], v[10:11]
	v_fma_f64 v[47:48], v[79:80], v[47:48], -v[49:50]
	s_wait_loadcnt_dscnt 0x601
	v_mul_f64_e32 v[89:90], v[6:7], v[53:54]
	v_mul_f64_e32 v[53:54], v[8:9], v[53:54]
	s_wait_loadcnt_dscnt 0x500
	v_mul_f64_e32 v[79:80], v[75:76], v[57:58]
	v_mul_f64_e32 v[57:58], v[77:78], v[57:58]
	v_add_f64_e32 v[2:3], 0, v[2:3]
	v_add_f64_e32 v[49:50], 0, v[87:88]
	v_fma_f64 v[81:82], v[8:9], v[51:52], v[89:90]
	v_fma_f64 v[51:52], v[6:7], v[51:52], -v[53:54]
	v_fma_f64 v[77:78], v[77:78], v[55:56], v[79:80]
	v_fma_f64 v[55:56], v[75:76], v[55:56], -v[57:58]
	v_add_f64_e32 v[2:3], v[2:3], v[47:48]
	v_add_f64_e32 v[10:11], v[49:50], v[10:11]
	ds_load_b128 v[6:9], v1 offset:480
	ds_load_b128 v[47:50], v1 offset:496
	s_wait_loadcnt_dscnt 0x401
	v_mul_f64_e32 v[53:54], v[6:7], v[61:62]
	v_mul_f64_e32 v[61:62], v[8:9], v[61:62]
	s_wait_loadcnt_dscnt 0x300
	v_mul_f64_e32 v[57:58], v[49:50], v[65:66]
	v_add_f64_e32 v[2:3], v[2:3], v[51:52]
	v_add_f64_e32 v[10:11], v[10:11], v[81:82]
	v_mul_f64_e32 v[51:52], v[47:48], v[65:66]
	v_fma_f64 v[53:54], v[8:9], v[59:60], v[53:54]
	v_fma_f64 v[59:60], v[6:7], v[59:60], -v[61:62]
	v_fma_f64 v[47:48], v[47:48], v[63:64], -v[57:58]
	v_add_f64_e32 v[55:56], v[2:3], v[55:56]
	v_add_f64_e32 v[10:11], v[10:11], v[77:78]
	ds_load_b128 v[6:9], v1 offset:512
	ds_load_b128 v[1:4], v1 offset:528
	v_fma_f64 v[49:50], v[49:50], v[63:64], v[51:52]
	s_wait_loadcnt_dscnt 0x201
	v_mul_f64_e32 v[61:62], v[6:7], v[69:70]
	v_mul_f64_e32 v[65:66], v[8:9], v[69:70]
	v_add_f64_e32 v[51:52], v[55:56], v[59:60]
	v_add_f64_e32 v[10:11], v[10:11], v[53:54]
	s_wait_loadcnt_dscnt 0x100
	v_mul_f64_e32 v[53:54], v[1:2], v[73:74]
	v_mul_f64_e32 v[55:56], v[3:4], v[73:74]
	v_fma_f64 v[8:9], v[8:9], v[67:68], v[61:62]
	v_fma_f64 v[6:7], v[6:7], v[67:68], -v[65:66]
	v_add_f64_e32 v[47:48], v[51:52], v[47:48]
	v_add_f64_e32 v[10:11], v[10:11], v[49:50]
	v_fma_f64 v[3:4], v[3:4], v[71:72], v[53:54]
	v_fma_f64 v[1:2], v[1:2], v[71:72], -v[55:56]
	s_delay_alu instid0(VALU_DEP_4) | instskip(NEXT) | instid1(VALU_DEP_4)
	v_add_f64_e32 v[6:7], v[47:48], v[6:7]
	v_add_f64_e32 v[8:9], v[10:11], v[8:9]
	s_delay_alu instid0(VALU_DEP_2) | instskip(NEXT) | instid1(VALU_DEP_2)
	v_add_f64_e32 v[1:2], v[6:7], v[1:2]
	v_add_f64_e32 v[3:4], v[8:9], v[3:4]
	s_wait_loadcnt 0x0
	s_delay_alu instid0(VALU_DEP_2) | instskip(NEXT) | instid1(VALU_DEP_2)
	v_add_f64_e64 v[1:2], v[83:84], -v[1:2]
	v_add_f64_e64 v[3:4], v[85:86], -v[3:4]
	scratch_store_b128 off, v[1:4], off offset:144
	v_cmpx_lt_u32_e32 7, v0
	s_cbranch_execz .LBB80_101
; %bb.100:
	scratch_load_b128 v[1:4], off, s18
	v_mov_b32_e32 v6, 0
	s_delay_alu instid0(VALU_DEP_1)
	v_dual_mov_b32 v7, v6 :: v_dual_mov_b32 v8, v6
	v_mov_b32_e32 v9, v6
	scratch_store_b128 off, v[6:9], off offset:128
	s_wait_loadcnt 0x0
	ds_store_b128 v5, v[1:4]
.LBB80_101:
	s_wait_alu 0xfffe
	s_or_b32 exec_lo, exec_lo, s0
	s_wait_storecnt_dscnt 0x0
	s_barrier_signal -1
	s_barrier_wait -1
	global_inv scope:SCOPE_SE
	s_clause 0x7
	scratch_load_b128 v[6:9], off, off offset:144
	scratch_load_b128 v[47:50], off, off offset:160
	;; [unrolled: 1-line block ×8, first 2 shown]
	v_mov_b32_e32 v1, 0
	s_mov_b32 s0, exec_lo
	ds_load_b128 v[75:78], v1 offset:400
	s_clause 0x1
	scratch_load_b128 v[79:82], off, off offset:272
	scratch_load_b128 v[83:86], off, off offset:128
	ds_load_b128 v[87:90], v1 offset:416
	s_wait_loadcnt_dscnt 0x901
	v_mul_f64_e32 v[2:3], v[77:78], v[8:9]
	v_mul_f64_e32 v[8:9], v[75:76], v[8:9]
	s_wait_loadcnt_dscnt 0x800
	v_mul_f64_e32 v[10:11], v[87:88], v[49:50]
	v_mul_f64_e32 v[49:50], v[89:90], v[49:50]
	s_delay_alu instid0(VALU_DEP_4) | instskip(NEXT) | instid1(VALU_DEP_4)
	v_fma_f64 v[2:3], v[75:76], v[6:7], -v[2:3]
	v_fma_f64 v[91:92], v[77:78], v[6:7], v[8:9]
	ds_load_b128 v[6:9], v1 offset:432
	ds_load_b128 v[75:78], v1 offset:448
	v_fma_f64 v[10:11], v[89:90], v[47:48], v[10:11]
	v_fma_f64 v[47:48], v[87:88], v[47:48], -v[49:50]
	s_wait_loadcnt_dscnt 0x701
	v_mul_f64_e32 v[93:94], v[6:7], v[53:54]
	v_mul_f64_e32 v[53:54], v[8:9], v[53:54]
	s_wait_loadcnt_dscnt 0x600
	v_mul_f64_e32 v[87:88], v[75:76], v[57:58]
	v_mul_f64_e32 v[57:58], v[77:78], v[57:58]
	v_add_f64_e32 v[2:3], 0, v[2:3]
	v_add_f64_e32 v[49:50], 0, v[91:92]
	v_fma_f64 v[89:90], v[8:9], v[51:52], v[93:94]
	v_fma_f64 v[51:52], v[6:7], v[51:52], -v[53:54]
	v_fma_f64 v[77:78], v[77:78], v[55:56], v[87:88]
	v_fma_f64 v[55:56], v[75:76], v[55:56], -v[57:58]
	v_add_f64_e32 v[2:3], v[2:3], v[47:48]
	v_add_f64_e32 v[10:11], v[49:50], v[10:11]
	ds_load_b128 v[6:9], v1 offset:464
	ds_load_b128 v[47:50], v1 offset:480
	s_wait_loadcnt_dscnt 0x501
	v_mul_f64_e32 v[53:54], v[6:7], v[61:62]
	v_mul_f64_e32 v[61:62], v[8:9], v[61:62]
	s_wait_loadcnt_dscnt 0x400
	v_mul_f64_e32 v[57:58], v[47:48], v[65:66]
	v_mul_f64_e32 v[65:66], v[49:50], v[65:66]
	v_add_f64_e32 v[2:3], v[2:3], v[51:52]
	v_add_f64_e32 v[10:11], v[10:11], v[89:90]
	v_fma_f64 v[75:76], v[8:9], v[59:60], v[53:54]
	v_fma_f64 v[59:60], v[6:7], v[59:60], -v[61:62]
	ds_load_b128 v[6:9], v1 offset:496
	ds_load_b128 v[51:54], v1 offset:512
	v_fma_f64 v[49:50], v[49:50], v[63:64], v[57:58]
	v_fma_f64 v[47:48], v[47:48], v[63:64], -v[65:66]
	v_add_f64_e32 v[2:3], v[2:3], v[55:56]
	v_add_f64_e32 v[10:11], v[10:11], v[77:78]
	s_wait_loadcnt_dscnt 0x301
	v_mul_f64_e32 v[55:56], v[6:7], v[69:70]
	v_mul_f64_e32 v[61:62], v[8:9], v[69:70]
	s_wait_loadcnt_dscnt 0x200
	v_mul_f64_e32 v[57:58], v[51:52], v[73:74]
	v_add_f64_e32 v[2:3], v[2:3], v[59:60]
	v_add_f64_e32 v[10:11], v[10:11], v[75:76]
	v_mul_f64_e32 v[59:60], v[53:54], v[73:74]
	v_fma_f64 v[55:56], v[8:9], v[67:68], v[55:56]
	v_fma_f64 v[61:62], v[6:7], v[67:68], -v[61:62]
	ds_load_b128 v[6:9], v1 offset:528
	v_fma_f64 v[53:54], v[53:54], v[71:72], v[57:58]
	v_add_f64_e32 v[2:3], v[2:3], v[47:48]
	v_add_f64_e32 v[10:11], v[10:11], v[49:50]
	s_wait_loadcnt_dscnt 0x100
	v_mul_f64_e32 v[47:48], v[6:7], v[81:82]
	v_mul_f64_e32 v[49:50], v[8:9], v[81:82]
	v_fma_f64 v[51:52], v[51:52], v[71:72], -v[59:60]
	v_add_f64_e32 v[2:3], v[2:3], v[61:62]
	v_add_f64_e32 v[10:11], v[10:11], v[55:56]
	v_fma_f64 v[8:9], v[8:9], v[79:80], v[47:48]
	v_fma_f64 v[6:7], v[6:7], v[79:80], -v[49:50]
	s_delay_alu instid0(VALU_DEP_4) | instskip(NEXT) | instid1(VALU_DEP_4)
	v_add_f64_e32 v[2:3], v[2:3], v[51:52]
	v_add_f64_e32 v[10:11], v[10:11], v[53:54]
	s_delay_alu instid0(VALU_DEP_2) | instskip(NEXT) | instid1(VALU_DEP_2)
	v_add_f64_e32 v[2:3], v[2:3], v[6:7]
	v_add_f64_e32 v[8:9], v[10:11], v[8:9]
	s_wait_loadcnt 0x0
	s_delay_alu instid0(VALU_DEP_2) | instskip(NEXT) | instid1(VALU_DEP_2)
	v_add_f64_e64 v[6:7], v[83:84], -v[2:3]
	v_add_f64_e64 v[8:9], v[85:86], -v[8:9]
	scratch_store_b128 off, v[6:9], off offset:128
	v_cmpx_lt_u32_e32 6, v0
	s_cbranch_execz .LBB80_103
; %bb.102:
	scratch_load_b128 v[6:9], off, s5
	v_dual_mov_b32 v2, v1 :: v_dual_mov_b32 v3, v1
	v_mov_b32_e32 v4, v1
	scratch_store_b128 off, v[1:4], off offset:112
	s_wait_loadcnt 0x0
	ds_store_b128 v5, v[6:9]
.LBB80_103:
	s_wait_alu 0xfffe
	s_or_b32 exec_lo, exec_lo, s0
	s_wait_storecnt_dscnt 0x0
	s_barrier_signal -1
	s_barrier_wait -1
	global_inv scope:SCOPE_SE
	s_clause 0x8
	scratch_load_b128 v[6:9], off, off offset:128
	scratch_load_b128 v[47:50], off, off offset:144
	;; [unrolled: 1-line block ×9, first 2 shown]
	ds_load_b128 v[79:82], v1 offset:384
	ds_load_b128 v[83:86], v1 offset:400
	scratch_load_b128 v[87:90], off, off offset:112
	s_mov_b32 s0, exec_lo
	s_wait_loadcnt_dscnt 0x901
	v_mul_f64_e32 v[2:3], v[81:82], v[8:9]
	v_mul_f64_e32 v[91:92], v[79:80], v[8:9]
	scratch_load_b128 v[8:11], off, off offset:272
	s_wait_loadcnt_dscnt 0x900
	v_mul_f64_e32 v[95:96], v[83:84], v[49:50]
	v_mul_f64_e32 v[49:50], v[85:86], v[49:50]
	v_fma_f64 v[2:3], v[79:80], v[6:7], -v[2:3]
	v_fma_f64 v[6:7], v[81:82], v[6:7], v[91:92]
	ds_load_b128 v[79:82], v1 offset:416
	ds_load_b128 v[91:94], v1 offset:432
	v_fma_f64 v[85:86], v[85:86], v[47:48], v[95:96]
	v_fma_f64 v[47:48], v[83:84], v[47:48], -v[49:50]
	s_wait_loadcnt_dscnt 0x801
	v_mul_f64_e32 v[97:98], v[79:80], v[53:54]
	v_mul_f64_e32 v[53:54], v[81:82], v[53:54]
	s_wait_loadcnt_dscnt 0x700
	v_mul_f64_e32 v[83:84], v[91:92], v[57:58]
	v_mul_f64_e32 v[57:58], v[93:94], v[57:58]
	v_add_f64_e32 v[2:3], 0, v[2:3]
	v_add_f64_e32 v[6:7], 0, v[6:7]
	v_fma_f64 v[81:82], v[81:82], v[51:52], v[97:98]
	v_fma_f64 v[79:80], v[79:80], v[51:52], -v[53:54]
	v_fma_f64 v[83:84], v[93:94], v[55:56], v[83:84]
	v_fma_f64 v[55:56], v[91:92], v[55:56], -v[57:58]
	v_add_f64_e32 v[2:3], v[2:3], v[47:48]
	v_add_f64_e32 v[6:7], v[6:7], v[85:86]
	ds_load_b128 v[47:50], v1 offset:448
	ds_load_b128 v[51:54], v1 offset:464
	s_wait_loadcnt_dscnt 0x601
	v_mul_f64_e32 v[85:86], v[47:48], v[61:62]
	v_mul_f64_e32 v[61:62], v[49:50], v[61:62]
	v_add_f64_e32 v[2:3], v[2:3], v[79:80]
	v_add_f64_e32 v[6:7], v[6:7], v[81:82]
	s_wait_loadcnt_dscnt 0x500
	v_mul_f64_e32 v[79:80], v[51:52], v[65:66]
	v_mul_f64_e32 v[65:66], v[53:54], v[65:66]
	v_fma_f64 v[81:82], v[49:50], v[59:60], v[85:86]
	v_fma_f64 v[59:60], v[47:48], v[59:60], -v[61:62]
	v_add_f64_e32 v[2:3], v[2:3], v[55:56]
	v_add_f64_e32 v[6:7], v[6:7], v[83:84]
	ds_load_b128 v[47:50], v1 offset:480
	ds_load_b128 v[55:58], v1 offset:496
	v_fma_f64 v[53:54], v[53:54], v[63:64], v[79:80]
	v_fma_f64 v[51:52], v[51:52], v[63:64], -v[65:66]
	s_wait_loadcnt_dscnt 0x401
	v_mul_f64_e32 v[61:62], v[47:48], v[69:70]
	v_mul_f64_e32 v[69:70], v[49:50], v[69:70]
	s_wait_loadcnt_dscnt 0x300
	v_mul_f64_e32 v[63:64], v[57:58], v[73:74]
	v_add_f64_e32 v[2:3], v[2:3], v[59:60]
	v_add_f64_e32 v[6:7], v[6:7], v[81:82]
	v_mul_f64_e32 v[59:60], v[55:56], v[73:74]
	v_fma_f64 v[61:62], v[49:50], v[67:68], v[61:62]
	v_fma_f64 v[65:66], v[47:48], v[67:68], -v[69:70]
	v_fma_f64 v[55:56], v[55:56], v[71:72], -v[63:64]
	v_add_f64_e32 v[51:52], v[2:3], v[51:52]
	v_add_f64_e32 v[6:7], v[6:7], v[53:54]
	ds_load_b128 v[47:50], v1 offset:512
	ds_load_b128 v[1:4], v1 offset:528
	v_fma_f64 v[57:58], v[57:58], v[71:72], v[59:60]
	s_wait_loadcnt_dscnt 0x201
	v_mul_f64_e32 v[53:54], v[47:48], v[77:78]
	v_mul_f64_e32 v[67:68], v[49:50], v[77:78]
	v_add_f64_e32 v[51:52], v[51:52], v[65:66]
	v_add_f64_e32 v[6:7], v[6:7], v[61:62]
	s_wait_loadcnt_dscnt 0x0
	v_mul_f64_e32 v[59:60], v[1:2], v[10:11]
	v_mul_f64_e32 v[10:11], v[3:4], v[10:11]
	v_fma_f64 v[49:50], v[49:50], v[75:76], v[53:54]
	v_fma_f64 v[47:48], v[47:48], v[75:76], -v[67:68]
	v_add_f64_e32 v[51:52], v[51:52], v[55:56]
	v_add_f64_e32 v[6:7], v[6:7], v[57:58]
	v_fma_f64 v[3:4], v[3:4], v[8:9], v[59:60]
	v_fma_f64 v[1:2], v[1:2], v[8:9], -v[10:11]
	s_delay_alu instid0(VALU_DEP_4) | instskip(NEXT) | instid1(VALU_DEP_4)
	v_add_f64_e32 v[8:9], v[51:52], v[47:48]
	v_add_f64_e32 v[6:7], v[6:7], v[49:50]
	s_delay_alu instid0(VALU_DEP_2) | instskip(NEXT) | instid1(VALU_DEP_2)
	v_add_f64_e32 v[1:2], v[8:9], v[1:2]
	v_add_f64_e32 v[3:4], v[6:7], v[3:4]
	s_delay_alu instid0(VALU_DEP_2) | instskip(NEXT) | instid1(VALU_DEP_2)
	v_add_f64_e64 v[1:2], v[87:88], -v[1:2]
	v_add_f64_e64 v[3:4], v[89:90], -v[3:4]
	scratch_store_b128 off, v[1:4], off offset:112
	v_cmpx_lt_u32_e32 5, v0
	s_cbranch_execz .LBB80_105
; %bb.104:
	scratch_load_b128 v[1:4], off, s17
	v_mov_b32_e32 v6, 0
	s_delay_alu instid0(VALU_DEP_1)
	v_dual_mov_b32 v7, v6 :: v_dual_mov_b32 v8, v6
	v_mov_b32_e32 v9, v6
	scratch_store_b128 off, v[6:9], off offset:96
	s_wait_loadcnt 0x0
	ds_store_b128 v5, v[1:4]
.LBB80_105:
	s_wait_alu 0xfffe
	s_or_b32 exec_lo, exec_lo, s0
	s_wait_storecnt_dscnt 0x0
	s_barrier_signal -1
	s_barrier_wait -1
	global_inv scope:SCOPE_SE
	s_clause 0x7
	scratch_load_b128 v[6:9], off, off offset:112
	scratch_load_b128 v[47:50], off, off offset:128
	;; [unrolled: 1-line block ×8, first 2 shown]
	v_mov_b32_e32 v1, 0
	s_mov_b32 s0, exec_lo
	ds_load_b128 v[75:78], v1 offset:368
	s_clause 0x1
	scratch_load_b128 v[79:82], off, off offset:240
	scratch_load_b128 v[83:86], off, off offset:96
	ds_load_b128 v[87:90], v1 offset:384
	ds_load_b128 v[95:98], v1 offset:416
	s_wait_loadcnt_dscnt 0x902
	v_mul_f64_e32 v[2:3], v[77:78], v[8:9]
	v_mul_f64_e32 v[91:92], v[75:76], v[8:9]
	scratch_load_b128 v[8:11], off, off offset:256
	v_fma_f64 v[2:3], v[75:76], v[6:7], -v[2:3]
	v_fma_f64 v[6:7], v[77:78], v[6:7], v[91:92]
	ds_load_b128 v[75:78], v1 offset:400
	s_wait_loadcnt_dscnt 0x902
	v_mul_f64_e32 v[99:100], v[87:88], v[49:50]
	v_mul_f64_e32 v[49:50], v[89:90], v[49:50]
	scratch_load_b128 v[91:94], off, off offset:272
	s_wait_loadcnt_dscnt 0x900
	v_mul_f64_e32 v[101:102], v[75:76], v[53:54]
	v_mul_f64_e32 v[53:54], v[77:78], v[53:54]
	v_add_f64_e32 v[2:3], 0, v[2:3]
	v_add_f64_e32 v[6:7], 0, v[6:7]
	v_fma_f64 v[89:90], v[89:90], v[47:48], v[99:100]
	v_fma_f64 v[47:48], v[87:88], v[47:48], -v[49:50]
	s_wait_loadcnt 0x8
	v_mul_f64_e32 v[87:88], v[95:96], v[57:58]
	v_mul_f64_e32 v[57:58], v[97:98], v[57:58]
	v_fma_f64 v[77:78], v[77:78], v[51:52], v[101:102]
	v_fma_f64 v[75:76], v[75:76], v[51:52], -v[53:54]
	v_add_f64_e32 v[6:7], v[6:7], v[89:90]
	v_add_f64_e32 v[2:3], v[2:3], v[47:48]
	ds_load_b128 v[47:50], v1 offset:432
	ds_load_b128 v[51:54], v1 offset:448
	v_fma_f64 v[87:88], v[97:98], v[55:56], v[87:88]
	v_fma_f64 v[55:56], v[95:96], v[55:56], -v[57:58]
	s_wait_loadcnt_dscnt 0x701
	v_mul_f64_e32 v[89:90], v[47:48], v[61:62]
	v_mul_f64_e32 v[61:62], v[49:50], v[61:62]
	v_add_f64_e32 v[6:7], v[6:7], v[77:78]
	v_add_f64_e32 v[2:3], v[2:3], v[75:76]
	s_wait_loadcnt_dscnt 0x600
	v_mul_f64_e32 v[75:76], v[51:52], v[65:66]
	v_mul_f64_e32 v[65:66], v[53:54], v[65:66]
	v_fma_f64 v[77:78], v[49:50], v[59:60], v[89:90]
	v_fma_f64 v[59:60], v[47:48], v[59:60], -v[61:62]
	v_add_f64_e32 v[6:7], v[6:7], v[87:88]
	v_add_f64_e32 v[2:3], v[2:3], v[55:56]
	ds_load_b128 v[47:50], v1 offset:464
	ds_load_b128 v[55:58], v1 offset:480
	v_fma_f64 v[53:54], v[53:54], v[63:64], v[75:76]
	v_fma_f64 v[51:52], v[51:52], v[63:64], -v[65:66]
	s_wait_loadcnt_dscnt 0x501
	v_mul_f64_e32 v[61:62], v[47:48], v[69:70]
	v_mul_f64_e32 v[69:70], v[49:50], v[69:70]
	s_wait_loadcnt_dscnt 0x400
	v_mul_f64_e32 v[63:64], v[57:58], v[73:74]
	v_add_f64_e32 v[6:7], v[6:7], v[77:78]
	v_add_f64_e32 v[2:3], v[2:3], v[59:60]
	v_mul_f64_e32 v[59:60], v[55:56], v[73:74]
	v_fma_f64 v[61:62], v[49:50], v[67:68], v[61:62]
	v_fma_f64 v[65:66], v[47:48], v[67:68], -v[69:70]
	v_fma_f64 v[55:56], v[55:56], v[71:72], -v[63:64]
	v_add_f64_e32 v[6:7], v[6:7], v[53:54]
	v_add_f64_e32 v[2:3], v[2:3], v[51:52]
	ds_load_b128 v[47:50], v1 offset:496
	ds_load_b128 v[51:54], v1 offset:512
	v_fma_f64 v[57:58], v[57:58], v[71:72], v[59:60]
	s_wait_loadcnt_dscnt 0x301
	v_mul_f64_e32 v[67:68], v[47:48], v[81:82]
	v_mul_f64_e32 v[69:70], v[49:50], v[81:82]
	v_add_f64_e32 v[6:7], v[6:7], v[61:62]
	v_add_f64_e32 v[2:3], v[2:3], v[65:66]
	s_wait_loadcnt_dscnt 0x100
	v_mul_f64_e32 v[59:60], v[51:52], v[10:11]
	v_mul_f64_e32 v[10:11], v[53:54], v[10:11]
	v_fma_f64 v[61:62], v[49:50], v[79:80], v[67:68]
	v_fma_f64 v[63:64], v[47:48], v[79:80], -v[69:70]
	ds_load_b128 v[47:50], v1 offset:528
	v_add_f64_e32 v[6:7], v[6:7], v[57:58]
	v_add_f64_e32 v[2:3], v[2:3], v[55:56]
	v_fma_f64 v[53:54], v[53:54], v[8:9], v[59:60]
	v_fma_f64 v[8:9], v[51:52], v[8:9], -v[10:11]
	s_wait_loadcnt_dscnt 0x0
	v_mul_f64_e32 v[55:56], v[47:48], v[93:94]
	v_mul_f64_e32 v[57:58], v[49:50], v[93:94]
	v_add_f64_e32 v[6:7], v[6:7], v[61:62]
	v_add_f64_e32 v[2:3], v[2:3], v[63:64]
	s_delay_alu instid0(VALU_DEP_4) | instskip(NEXT) | instid1(VALU_DEP_4)
	v_fma_f64 v[10:11], v[49:50], v[91:92], v[55:56]
	v_fma_f64 v[47:48], v[47:48], v[91:92], -v[57:58]
	s_delay_alu instid0(VALU_DEP_4) | instskip(NEXT) | instid1(VALU_DEP_4)
	v_add_f64_e32 v[6:7], v[6:7], v[53:54]
	v_add_f64_e32 v[2:3], v[2:3], v[8:9]
	s_delay_alu instid0(VALU_DEP_2) | instskip(NEXT) | instid1(VALU_DEP_2)
	v_add_f64_e32 v[8:9], v[6:7], v[10:11]
	v_add_f64_e32 v[2:3], v[2:3], v[47:48]
	s_delay_alu instid0(VALU_DEP_2) | instskip(NEXT) | instid1(VALU_DEP_2)
	v_add_f64_e64 v[8:9], v[85:86], -v[8:9]
	v_add_f64_e64 v[6:7], v[83:84], -v[2:3]
	scratch_store_b128 off, v[6:9], off offset:96
	v_cmpx_lt_u32_e32 4, v0
	s_cbranch_execz .LBB80_107
; %bb.106:
	scratch_load_b128 v[6:9], off, s4
	v_dual_mov_b32 v2, v1 :: v_dual_mov_b32 v3, v1
	v_mov_b32_e32 v4, v1
	scratch_store_b128 off, v[1:4], off offset:80
	s_wait_loadcnt 0x0
	ds_store_b128 v5, v[6:9]
.LBB80_107:
	s_wait_alu 0xfffe
	s_or_b32 exec_lo, exec_lo, s0
	s_wait_storecnt_dscnt 0x0
	s_barrier_signal -1
	s_barrier_wait -1
	global_inv scope:SCOPE_SE
	s_clause 0x8
	scratch_load_b128 v[6:9], off, off offset:96
	scratch_load_b128 v[47:50], off, off offset:112
	;; [unrolled: 1-line block ×9, first 2 shown]
	ds_load_b128 v[79:82], v1 offset:352
	ds_load_b128 v[83:86], v1 offset:368
	scratch_load_b128 v[87:90], off, off offset:80
	s_mov_b32 s0, exec_lo
	ds_load_b128 v[95:98], v1 offset:400
	s_wait_loadcnt_dscnt 0x902
	v_mul_f64_e32 v[2:3], v[81:82], v[8:9]
	v_mul_f64_e32 v[91:92], v[79:80], v[8:9]
	scratch_load_b128 v[8:11], off, off offset:240
	s_wait_loadcnt_dscnt 0x901
	v_mul_f64_e32 v[99:100], v[83:84], v[49:50]
	v_mul_f64_e32 v[49:50], v[85:86], v[49:50]
	v_fma_f64 v[2:3], v[79:80], v[6:7], -v[2:3]
	v_fma_f64 v[6:7], v[81:82], v[6:7], v[91:92]
	ds_load_b128 v[79:82], v1 offset:384
	scratch_load_b128 v[91:94], off, off offset:256
	v_fma_f64 v[85:86], v[85:86], v[47:48], v[99:100]
	v_fma_f64 v[83:84], v[83:84], v[47:48], -v[49:50]
	scratch_load_b128 v[47:50], off, off offset:272
	s_wait_loadcnt_dscnt 0x901
	v_mul_f64_e32 v[99:100], v[95:96], v[57:58]
	v_mul_f64_e32 v[57:58], v[97:98], v[57:58]
	s_wait_dscnt 0x0
	v_mul_f64_e32 v[101:102], v[79:80], v[53:54]
	v_mul_f64_e32 v[53:54], v[81:82], v[53:54]
	v_add_f64_e32 v[2:3], 0, v[2:3]
	v_add_f64_e32 v[6:7], 0, v[6:7]
	s_delay_alu instid0(VALU_DEP_4) | instskip(NEXT) | instid1(VALU_DEP_4)
	v_fma_f64 v[101:102], v[81:82], v[51:52], v[101:102]
	v_fma_f64 v[103:104], v[79:80], v[51:52], -v[53:54]
	ds_load_b128 v[51:54], v1 offset:416
	ds_load_b128 v[79:82], v1 offset:432
	v_add_f64_e32 v[2:3], v[2:3], v[83:84]
	v_add_f64_e32 v[6:7], v[6:7], v[85:86]
	v_fma_f64 v[85:86], v[97:98], v[55:56], v[99:100]
	v_fma_f64 v[55:56], v[95:96], v[55:56], -v[57:58]
	s_wait_loadcnt_dscnt 0x801
	v_mul_f64_e32 v[83:84], v[51:52], v[61:62]
	v_mul_f64_e32 v[61:62], v[53:54], v[61:62]
	s_wait_loadcnt_dscnt 0x700
	v_mul_f64_e32 v[95:96], v[79:80], v[65:66]
	v_mul_f64_e32 v[65:66], v[81:82], v[65:66]
	v_add_f64_e32 v[2:3], v[2:3], v[103:104]
	v_add_f64_e32 v[6:7], v[6:7], v[101:102]
	v_fma_f64 v[83:84], v[53:54], v[59:60], v[83:84]
	v_fma_f64 v[59:60], v[51:52], v[59:60], -v[61:62]
	v_fma_f64 v[81:82], v[81:82], v[63:64], v[95:96]
	v_fma_f64 v[63:64], v[79:80], v[63:64], -v[65:66]
	v_add_f64_e32 v[2:3], v[2:3], v[55:56]
	v_add_f64_e32 v[6:7], v[6:7], v[85:86]
	ds_load_b128 v[51:54], v1 offset:448
	ds_load_b128 v[55:58], v1 offset:464
	s_wait_loadcnt_dscnt 0x601
	v_mul_f64_e32 v[61:62], v[51:52], v[69:70]
	v_mul_f64_e32 v[69:70], v[53:54], v[69:70]
	s_wait_loadcnt_dscnt 0x500
	v_mul_f64_e32 v[65:66], v[55:56], v[73:74]
	v_mul_f64_e32 v[73:74], v[57:58], v[73:74]
	v_add_f64_e32 v[2:3], v[2:3], v[59:60]
	v_add_f64_e32 v[6:7], v[6:7], v[83:84]
	v_fma_f64 v[79:80], v[53:54], v[67:68], v[61:62]
	v_fma_f64 v[67:68], v[51:52], v[67:68], -v[69:70]
	ds_load_b128 v[51:54], v1 offset:480
	ds_load_b128 v[59:62], v1 offset:496
	v_fma_f64 v[57:58], v[57:58], v[71:72], v[65:66]
	v_fma_f64 v[55:56], v[55:56], v[71:72], -v[73:74]
	v_add_f64_e32 v[2:3], v[2:3], v[63:64]
	v_add_f64_e32 v[6:7], v[6:7], v[81:82]
	s_wait_loadcnt_dscnt 0x401
	v_mul_f64_e32 v[63:64], v[51:52], v[77:78]
	v_mul_f64_e32 v[69:70], v[53:54], v[77:78]
	s_delay_alu instid0(VALU_DEP_4) | instskip(NEXT) | instid1(VALU_DEP_4)
	v_add_f64_e32 v[2:3], v[2:3], v[67:68]
	v_add_f64_e32 v[6:7], v[6:7], v[79:80]
	s_delay_alu instid0(VALU_DEP_4) | instskip(NEXT) | instid1(VALU_DEP_4)
	v_fma_f64 v[63:64], v[53:54], v[75:76], v[63:64]
	v_fma_f64 v[67:68], v[51:52], v[75:76], -v[69:70]
	s_wait_loadcnt_dscnt 0x200
	v_mul_f64_e32 v[65:66], v[59:60], v[10:11]
	v_mul_f64_e32 v[10:11], v[61:62], v[10:11]
	v_add_f64_e32 v[55:56], v[2:3], v[55:56]
	v_add_f64_e32 v[6:7], v[6:7], v[57:58]
	ds_load_b128 v[51:54], v1 offset:512
	ds_load_b128 v[1:4], v1 offset:528
	v_fma_f64 v[61:62], v[61:62], v[8:9], v[65:66]
	v_fma_f64 v[8:9], v[59:60], v[8:9], -v[10:11]
	s_wait_loadcnt_dscnt 0x101
	v_mul_f64_e32 v[57:58], v[51:52], v[93:94]
	v_mul_f64_e32 v[69:70], v[53:54], v[93:94]
	v_add_f64_e32 v[10:11], v[55:56], v[67:68]
	v_add_f64_e32 v[6:7], v[6:7], v[63:64]
	s_wait_loadcnt_dscnt 0x0
	v_mul_f64_e32 v[55:56], v[1:2], v[49:50]
	v_mul_f64_e32 v[49:50], v[3:4], v[49:50]
	v_fma_f64 v[53:54], v[53:54], v[91:92], v[57:58]
	v_fma_f64 v[51:52], v[51:52], v[91:92], -v[69:70]
	v_add_f64_e32 v[8:9], v[10:11], v[8:9]
	v_add_f64_e32 v[6:7], v[6:7], v[61:62]
	v_fma_f64 v[3:4], v[3:4], v[47:48], v[55:56]
	v_fma_f64 v[1:2], v[1:2], v[47:48], -v[49:50]
	s_delay_alu instid0(VALU_DEP_4) | instskip(NEXT) | instid1(VALU_DEP_4)
	v_add_f64_e32 v[8:9], v[8:9], v[51:52]
	v_add_f64_e32 v[6:7], v[6:7], v[53:54]
	s_delay_alu instid0(VALU_DEP_2) | instskip(NEXT) | instid1(VALU_DEP_2)
	v_add_f64_e32 v[1:2], v[8:9], v[1:2]
	v_add_f64_e32 v[3:4], v[6:7], v[3:4]
	s_delay_alu instid0(VALU_DEP_2) | instskip(NEXT) | instid1(VALU_DEP_2)
	v_add_f64_e64 v[1:2], v[87:88], -v[1:2]
	v_add_f64_e64 v[3:4], v[89:90], -v[3:4]
	scratch_store_b128 off, v[1:4], off offset:80
	v_cmpx_lt_u32_e32 3, v0
	s_cbranch_execz .LBB80_109
; %bb.108:
	scratch_load_b128 v[1:4], off, s16
	v_mov_b32_e32 v6, 0
	s_delay_alu instid0(VALU_DEP_1)
	v_dual_mov_b32 v7, v6 :: v_dual_mov_b32 v8, v6
	v_mov_b32_e32 v9, v6
	scratch_store_b128 off, v[6:9], off offset:64
	s_wait_loadcnt 0x0
	ds_store_b128 v5, v[1:4]
.LBB80_109:
	s_wait_alu 0xfffe
	s_or_b32 exec_lo, exec_lo, s0
	s_wait_storecnt_dscnt 0x0
	s_barrier_signal -1
	s_barrier_wait -1
	global_inv scope:SCOPE_SE
	s_clause 0x7
	scratch_load_b128 v[6:9], off, off offset:80
	scratch_load_b128 v[47:50], off, off offset:96
	scratch_load_b128 v[51:54], off, off offset:112
	scratch_load_b128 v[55:58], off, off offset:128
	scratch_load_b128 v[59:62], off, off offset:144
	scratch_load_b128 v[63:66], off, off offset:160
	scratch_load_b128 v[67:70], off, off offset:176
	scratch_load_b128 v[71:74], off, off offset:192
	v_mov_b32_e32 v1, 0
	s_mov_b32 s0, exec_lo
	ds_load_b128 v[75:78], v1 offset:336
	s_clause 0x1
	scratch_load_b128 v[79:82], off, off offset:208
	scratch_load_b128 v[83:86], off, off offset:64
	ds_load_b128 v[87:90], v1 offset:352
	ds_load_b128 v[95:98], v1 offset:384
	s_wait_loadcnt_dscnt 0x902
	v_mul_f64_e32 v[2:3], v[77:78], v[8:9]
	v_mul_f64_e32 v[91:92], v[75:76], v[8:9]
	scratch_load_b128 v[8:11], off, off offset:224
	v_fma_f64 v[2:3], v[75:76], v[6:7], -v[2:3]
	v_fma_f64 v[6:7], v[77:78], v[6:7], v[91:92]
	ds_load_b128 v[75:78], v1 offset:368
	s_wait_loadcnt_dscnt 0x902
	v_mul_f64_e32 v[99:100], v[87:88], v[49:50]
	v_mul_f64_e32 v[49:50], v[89:90], v[49:50]
	scratch_load_b128 v[91:94], off, off offset:240
	s_wait_loadcnt_dscnt 0x900
	v_mul_f64_e32 v[101:102], v[75:76], v[53:54]
	v_mul_f64_e32 v[53:54], v[77:78], v[53:54]
	v_add_f64_e32 v[2:3], 0, v[2:3]
	v_add_f64_e32 v[6:7], 0, v[6:7]
	v_fma_f64 v[89:90], v[89:90], v[47:48], v[99:100]
	v_fma_f64 v[87:88], v[87:88], v[47:48], -v[49:50]
	scratch_load_b128 v[47:50], off, off offset:256
	v_fma_f64 v[101:102], v[77:78], v[51:52], v[101:102]
	v_fma_f64 v[103:104], v[75:76], v[51:52], -v[53:54]
	ds_load_b128 v[51:54], v1 offset:400
	s_wait_loadcnt 0x9
	v_mul_f64_e32 v[99:100], v[95:96], v[57:58]
	v_mul_f64_e32 v[57:58], v[97:98], v[57:58]
	scratch_load_b128 v[75:78], off, off offset:272
	v_add_f64_e32 v[6:7], v[6:7], v[89:90]
	v_add_f64_e32 v[2:3], v[2:3], v[87:88]
	ds_load_b128 v[87:90], v1 offset:416
	s_wait_loadcnt_dscnt 0x901
	v_mul_f64_e32 v[105:106], v[51:52], v[61:62]
	v_mul_f64_e32 v[61:62], v[53:54], v[61:62]
	v_fma_f64 v[97:98], v[97:98], v[55:56], v[99:100]
	v_fma_f64 v[55:56], v[95:96], v[55:56], -v[57:58]
	s_wait_loadcnt_dscnt 0x800
	v_mul_f64_e32 v[95:96], v[87:88], v[65:66]
	v_mul_f64_e32 v[65:66], v[89:90], v[65:66]
	v_add_f64_e32 v[6:7], v[6:7], v[101:102]
	v_add_f64_e32 v[2:3], v[2:3], v[103:104]
	v_fma_f64 v[99:100], v[53:54], v[59:60], v[105:106]
	v_fma_f64 v[59:60], v[51:52], v[59:60], -v[61:62]
	v_fma_f64 v[89:90], v[89:90], v[63:64], v[95:96]
	v_fma_f64 v[63:64], v[87:88], v[63:64], -v[65:66]
	v_add_f64_e32 v[6:7], v[6:7], v[97:98]
	v_add_f64_e32 v[2:3], v[2:3], v[55:56]
	ds_load_b128 v[51:54], v1 offset:432
	ds_load_b128 v[55:58], v1 offset:448
	s_wait_loadcnt_dscnt 0x701
	v_mul_f64_e32 v[61:62], v[51:52], v[69:70]
	v_mul_f64_e32 v[69:70], v[53:54], v[69:70]
	s_wait_loadcnt_dscnt 0x600
	v_mul_f64_e32 v[65:66], v[55:56], v[73:74]
	v_mul_f64_e32 v[73:74], v[57:58], v[73:74]
	v_add_f64_e32 v[6:7], v[6:7], v[99:100]
	v_add_f64_e32 v[2:3], v[2:3], v[59:60]
	v_fma_f64 v[87:88], v[53:54], v[67:68], v[61:62]
	v_fma_f64 v[67:68], v[51:52], v[67:68], -v[69:70]
	ds_load_b128 v[51:54], v1 offset:464
	ds_load_b128 v[59:62], v1 offset:480
	v_fma_f64 v[57:58], v[57:58], v[71:72], v[65:66]
	v_fma_f64 v[55:56], v[55:56], v[71:72], -v[73:74]
	v_add_f64_e32 v[6:7], v[6:7], v[89:90]
	v_add_f64_e32 v[2:3], v[2:3], v[63:64]
	s_wait_loadcnt_dscnt 0x501
	v_mul_f64_e32 v[63:64], v[51:52], v[81:82]
	v_mul_f64_e32 v[69:70], v[53:54], v[81:82]
	s_delay_alu instid0(VALU_DEP_4) | instskip(NEXT) | instid1(VALU_DEP_4)
	v_add_f64_e32 v[6:7], v[6:7], v[87:88]
	v_add_f64_e32 v[2:3], v[2:3], v[67:68]
	s_delay_alu instid0(VALU_DEP_4) | instskip(NEXT) | instid1(VALU_DEP_4)
	v_fma_f64 v[63:64], v[53:54], v[79:80], v[63:64]
	v_fma_f64 v[67:68], v[51:52], v[79:80], -v[69:70]
	s_wait_loadcnt_dscnt 0x300
	v_mul_f64_e32 v[65:66], v[59:60], v[10:11]
	v_mul_f64_e32 v[10:11], v[61:62], v[10:11]
	v_add_f64_e32 v[6:7], v[6:7], v[57:58]
	v_add_f64_e32 v[2:3], v[2:3], v[55:56]
	ds_load_b128 v[51:54], v1 offset:496
	ds_load_b128 v[55:58], v1 offset:512
	v_fma_f64 v[61:62], v[61:62], v[8:9], v[65:66]
	v_fma_f64 v[8:9], v[59:60], v[8:9], -v[10:11]
	s_wait_loadcnt_dscnt 0x201
	v_mul_f64_e32 v[69:70], v[51:52], v[93:94]
	v_mul_f64_e32 v[71:72], v[53:54], v[93:94]
	v_add_f64_e32 v[6:7], v[6:7], v[63:64]
	v_add_f64_e32 v[2:3], v[2:3], v[67:68]
	s_wait_loadcnt_dscnt 0x100
	v_mul_f64_e32 v[10:11], v[55:56], v[49:50]
	v_mul_f64_e32 v[49:50], v[57:58], v[49:50]
	v_fma_f64 v[53:54], v[53:54], v[91:92], v[69:70]
	v_fma_f64 v[51:52], v[51:52], v[91:92], -v[71:72]
	v_add_f64_e32 v[59:60], v[6:7], v[61:62]
	v_add_f64_e32 v[2:3], v[2:3], v[8:9]
	ds_load_b128 v[6:9], v1 offset:528
	v_fma_f64 v[10:11], v[57:58], v[47:48], v[10:11]
	v_fma_f64 v[47:48], v[55:56], v[47:48], -v[49:50]
	s_wait_loadcnt_dscnt 0x0
	v_mul_f64_e32 v[61:62], v[6:7], v[77:78]
	v_mul_f64_e32 v[63:64], v[8:9], v[77:78]
	v_add_f64_e32 v[49:50], v[59:60], v[53:54]
	v_add_f64_e32 v[2:3], v[2:3], v[51:52]
	s_delay_alu instid0(VALU_DEP_4) | instskip(NEXT) | instid1(VALU_DEP_4)
	v_fma_f64 v[8:9], v[8:9], v[75:76], v[61:62]
	v_fma_f64 v[6:7], v[6:7], v[75:76], -v[63:64]
	s_delay_alu instid0(VALU_DEP_4) | instskip(NEXT) | instid1(VALU_DEP_4)
	v_add_f64_e32 v[10:11], v[49:50], v[10:11]
	v_add_f64_e32 v[2:3], v[2:3], v[47:48]
	s_delay_alu instid0(VALU_DEP_2) | instskip(NEXT) | instid1(VALU_DEP_2)
	v_add_f64_e32 v[8:9], v[10:11], v[8:9]
	v_add_f64_e32 v[2:3], v[2:3], v[6:7]
	s_delay_alu instid0(VALU_DEP_2) | instskip(NEXT) | instid1(VALU_DEP_2)
	v_add_f64_e64 v[8:9], v[85:86], -v[8:9]
	v_add_f64_e64 v[6:7], v[83:84], -v[2:3]
	scratch_store_b128 off, v[6:9], off offset:64
	v_cmpx_lt_u32_e32 2, v0
	s_cbranch_execz .LBB80_111
; %bb.110:
	scratch_load_b128 v[6:9], off, s23
	v_dual_mov_b32 v2, v1 :: v_dual_mov_b32 v3, v1
	v_mov_b32_e32 v4, v1
	scratch_store_b128 off, v[1:4], off offset:48
	s_wait_loadcnt 0x0
	ds_store_b128 v5, v[6:9]
.LBB80_111:
	s_wait_alu 0xfffe
	s_or_b32 exec_lo, exec_lo, s0
	s_wait_storecnt_dscnt 0x0
	s_barrier_signal -1
	s_barrier_wait -1
	global_inv scope:SCOPE_SE
	s_clause 0x8
	scratch_load_b128 v[6:9], off, off offset:64
	scratch_load_b128 v[47:50], off, off offset:80
	;; [unrolled: 1-line block ×9, first 2 shown]
	ds_load_b128 v[79:82], v1 offset:320
	ds_load_b128 v[83:86], v1 offset:336
	scratch_load_b128 v[87:90], off, off offset:48
	s_mov_b32 s0, exec_lo
	ds_load_b128 v[95:98], v1 offset:368
	s_wait_loadcnt_dscnt 0x902
	v_mul_f64_e32 v[2:3], v[81:82], v[8:9]
	v_mul_f64_e32 v[91:92], v[79:80], v[8:9]
	scratch_load_b128 v[8:11], off, off offset:208
	s_wait_loadcnt_dscnt 0x901
	v_mul_f64_e32 v[99:100], v[83:84], v[49:50]
	v_mul_f64_e32 v[49:50], v[85:86], v[49:50]
	v_fma_f64 v[2:3], v[79:80], v[6:7], -v[2:3]
	v_fma_f64 v[6:7], v[81:82], v[6:7], v[91:92]
	ds_load_b128 v[79:82], v1 offset:352
	scratch_load_b128 v[91:94], off, off offset:224
	v_fma_f64 v[85:86], v[85:86], v[47:48], v[99:100]
	v_fma_f64 v[83:84], v[83:84], v[47:48], -v[49:50]
	scratch_load_b128 v[47:50], off, off offset:240
	s_wait_loadcnt_dscnt 0x901
	v_mul_f64_e32 v[99:100], v[95:96], v[57:58]
	v_mul_f64_e32 v[57:58], v[97:98], v[57:58]
	s_wait_dscnt 0x0
	v_mul_f64_e32 v[101:102], v[79:80], v[53:54]
	v_mul_f64_e32 v[53:54], v[81:82], v[53:54]
	v_add_f64_e32 v[2:3], 0, v[2:3]
	v_add_f64_e32 v[6:7], 0, v[6:7]
	v_fma_f64 v[97:98], v[97:98], v[55:56], v[99:100]
	v_fma_f64 v[95:96], v[95:96], v[55:56], -v[57:58]
	scratch_load_b128 v[55:58], off, off offset:272
	v_fma_f64 v[101:102], v[81:82], v[51:52], v[101:102]
	v_fma_f64 v[103:104], v[79:80], v[51:52], -v[53:54]
	ds_load_b128 v[51:54], v1 offset:384
	scratch_load_b128 v[79:82], off, off offset:256
	v_add_f64_e32 v[2:3], v[2:3], v[83:84]
	v_add_f64_e32 v[6:7], v[6:7], v[85:86]
	ds_load_b128 v[83:86], v1 offset:400
	s_wait_loadcnt_dscnt 0xa01
	v_mul_f64_e32 v[105:106], v[51:52], v[61:62]
	v_mul_f64_e32 v[61:62], v[53:54], v[61:62]
	s_wait_loadcnt_dscnt 0x900
	v_mul_f64_e32 v[99:100], v[83:84], v[65:66]
	v_mul_f64_e32 v[65:66], v[85:86], v[65:66]
	v_add_f64_e32 v[2:3], v[2:3], v[103:104]
	v_add_f64_e32 v[6:7], v[6:7], v[101:102]
	v_fma_f64 v[101:102], v[53:54], v[59:60], v[105:106]
	v_fma_f64 v[103:104], v[51:52], v[59:60], -v[61:62]
	ds_load_b128 v[51:54], v1 offset:416
	ds_load_b128 v[59:62], v1 offset:432
	v_fma_f64 v[85:86], v[85:86], v[63:64], v[99:100]
	v_fma_f64 v[63:64], v[83:84], v[63:64], -v[65:66]
	s_wait_loadcnt_dscnt 0x700
	v_mul_f64_e32 v[83:84], v[59:60], v[73:74]
	v_mul_f64_e32 v[73:74], v[61:62], v[73:74]
	v_add_f64_e32 v[2:3], v[2:3], v[95:96]
	v_add_f64_e32 v[6:7], v[6:7], v[97:98]
	v_mul_f64_e32 v[95:96], v[51:52], v[69:70]
	v_mul_f64_e32 v[69:70], v[53:54], v[69:70]
	v_fma_f64 v[61:62], v[61:62], v[71:72], v[83:84]
	v_fma_f64 v[59:60], v[59:60], v[71:72], -v[73:74]
	v_add_f64_e32 v[2:3], v[2:3], v[103:104]
	v_add_f64_e32 v[6:7], v[6:7], v[101:102]
	v_fma_f64 v[95:96], v[53:54], v[67:68], v[95:96]
	v_fma_f64 v[67:68], v[51:52], v[67:68], -v[69:70]
	s_delay_alu instid0(VALU_DEP_4) | instskip(NEXT) | instid1(VALU_DEP_4)
	v_add_f64_e32 v[2:3], v[2:3], v[63:64]
	v_add_f64_e32 v[6:7], v[6:7], v[85:86]
	ds_load_b128 v[51:54], v1 offset:448
	ds_load_b128 v[63:66], v1 offset:464
	s_wait_loadcnt_dscnt 0x601
	v_mul_f64_e32 v[69:70], v[51:52], v[77:78]
	v_mul_f64_e32 v[77:78], v[53:54], v[77:78]
	v_add_f64_e32 v[2:3], v[2:3], v[67:68]
	v_add_f64_e32 v[6:7], v[6:7], v[95:96]
	s_wait_loadcnt_dscnt 0x400
	v_mul_f64_e32 v[67:68], v[63:64], v[10:11]
	v_mul_f64_e32 v[10:11], v[65:66], v[10:11]
	v_fma_f64 v[69:70], v[53:54], v[75:76], v[69:70]
	v_fma_f64 v[71:72], v[51:52], v[75:76], -v[77:78]
	v_add_f64_e32 v[2:3], v[2:3], v[59:60]
	v_add_f64_e32 v[6:7], v[6:7], v[61:62]
	ds_load_b128 v[51:54], v1 offset:480
	ds_load_b128 v[59:62], v1 offset:496
	v_fma_f64 v[65:66], v[65:66], v[8:9], v[67:68]
	v_fma_f64 v[8:9], v[63:64], v[8:9], -v[10:11]
	s_wait_loadcnt_dscnt 0x301
	v_mul_f64_e32 v[73:74], v[51:52], v[93:94]
	v_mul_f64_e32 v[75:76], v[53:54], v[93:94]
	s_wait_loadcnt_dscnt 0x200
	v_mul_f64_e32 v[10:11], v[59:60], v[49:50]
	v_mul_f64_e32 v[49:50], v[61:62], v[49:50]
	v_add_f64_e32 v[2:3], v[2:3], v[71:72]
	v_add_f64_e32 v[6:7], v[6:7], v[69:70]
	v_fma_f64 v[53:54], v[53:54], v[91:92], v[73:74]
	v_fma_f64 v[51:52], v[51:52], v[91:92], -v[75:76]
	v_fma_f64 v[10:11], v[61:62], v[47:48], v[10:11]
	v_fma_f64 v[47:48], v[59:60], v[47:48], -v[49:50]
	v_add_f64_e32 v[63:64], v[2:3], v[8:9]
	v_add_f64_e32 v[65:66], v[6:7], v[65:66]
	ds_load_b128 v[6:9], v1 offset:512
	ds_load_b128 v[1:4], v1 offset:528
	s_wait_loadcnt_dscnt 0x1
	v_mul_f64_e32 v[67:68], v[6:7], v[81:82]
	v_mul_f64_e32 v[69:70], v[8:9], v[81:82]
	v_add_f64_e32 v[49:50], v[63:64], v[51:52]
	v_add_f64_e32 v[51:52], v[65:66], v[53:54]
	s_wait_dscnt 0x0
	v_mul_f64_e32 v[53:54], v[1:2], v[57:58]
	v_mul_f64_e32 v[57:58], v[3:4], v[57:58]
	v_fma_f64 v[8:9], v[8:9], v[79:80], v[67:68]
	v_fma_f64 v[6:7], v[6:7], v[79:80], -v[69:70]
	v_add_f64_e32 v[47:48], v[49:50], v[47:48]
	v_add_f64_e32 v[10:11], v[51:52], v[10:11]
	v_fma_f64 v[3:4], v[3:4], v[55:56], v[53:54]
	v_fma_f64 v[1:2], v[1:2], v[55:56], -v[57:58]
	s_delay_alu instid0(VALU_DEP_4) | instskip(NEXT) | instid1(VALU_DEP_4)
	v_add_f64_e32 v[6:7], v[47:48], v[6:7]
	v_add_f64_e32 v[8:9], v[10:11], v[8:9]
	s_delay_alu instid0(VALU_DEP_2) | instskip(NEXT) | instid1(VALU_DEP_2)
	v_add_f64_e32 v[1:2], v[6:7], v[1:2]
	v_add_f64_e32 v[3:4], v[8:9], v[3:4]
	s_delay_alu instid0(VALU_DEP_2) | instskip(NEXT) | instid1(VALU_DEP_2)
	v_add_f64_e64 v[1:2], v[87:88], -v[1:2]
	v_add_f64_e64 v[3:4], v[89:90], -v[3:4]
	scratch_store_b128 off, v[1:4], off offset:48
	v_cmpx_lt_u32_e32 1, v0
	s_cbranch_execz .LBB80_113
; %bb.112:
	scratch_load_b128 v[1:4], off, s24
	v_mov_b32_e32 v6, 0
	s_delay_alu instid0(VALU_DEP_1)
	v_dual_mov_b32 v7, v6 :: v_dual_mov_b32 v8, v6
	v_mov_b32_e32 v9, v6
	scratch_store_b128 off, v[6:9], off offset:32
	s_wait_loadcnt 0x0
	ds_store_b128 v5, v[1:4]
.LBB80_113:
	s_wait_alu 0xfffe
	s_or_b32 exec_lo, exec_lo, s0
	s_wait_storecnt_dscnt 0x0
	s_barrier_signal -1
	s_barrier_wait -1
	global_inv scope:SCOPE_SE
	s_clause 0x7
	scratch_load_b128 v[6:9], off, off offset:48
	scratch_load_b128 v[47:50], off, off offset:64
	;; [unrolled: 1-line block ×8, first 2 shown]
	v_mov_b32_e32 v1, 0
	s_mov_b32 s0, exec_lo
	ds_load_b128 v[75:78], v1 offset:304
	s_clause 0x1
	scratch_load_b128 v[79:82], off, off offset:176
	scratch_load_b128 v[83:86], off, off offset:32
	ds_load_b128 v[87:90], v1 offset:320
	ds_load_b128 v[95:98], v1 offset:352
	s_wait_loadcnt_dscnt 0x902
	v_mul_f64_e32 v[2:3], v[77:78], v[8:9]
	v_mul_f64_e32 v[91:92], v[75:76], v[8:9]
	scratch_load_b128 v[8:11], off, off offset:192
	v_fma_f64 v[2:3], v[75:76], v[6:7], -v[2:3]
	v_fma_f64 v[6:7], v[77:78], v[6:7], v[91:92]
	ds_load_b128 v[75:78], v1 offset:336
	s_wait_loadcnt_dscnt 0x902
	v_mul_f64_e32 v[99:100], v[87:88], v[49:50]
	v_mul_f64_e32 v[49:50], v[89:90], v[49:50]
	scratch_load_b128 v[91:94], off, off offset:208
	s_wait_loadcnt_dscnt 0x900
	v_mul_f64_e32 v[101:102], v[75:76], v[53:54]
	v_mul_f64_e32 v[53:54], v[77:78], v[53:54]
	v_add_f64_e32 v[2:3], 0, v[2:3]
	v_add_f64_e32 v[6:7], 0, v[6:7]
	v_fma_f64 v[89:90], v[89:90], v[47:48], v[99:100]
	v_fma_f64 v[87:88], v[87:88], v[47:48], -v[49:50]
	scratch_load_b128 v[47:50], off, off offset:224
	v_fma_f64 v[101:102], v[77:78], v[51:52], v[101:102]
	v_fma_f64 v[103:104], v[75:76], v[51:52], -v[53:54]
	ds_load_b128 v[51:54], v1 offset:368
	s_wait_loadcnt 0x9
	v_mul_f64_e32 v[99:100], v[95:96], v[57:58]
	v_mul_f64_e32 v[57:58], v[97:98], v[57:58]
	scratch_load_b128 v[75:78], off, off offset:240
	v_add_f64_e32 v[6:7], v[6:7], v[89:90]
	v_add_f64_e32 v[2:3], v[2:3], v[87:88]
	ds_load_b128 v[87:90], v1 offset:384
	s_wait_loadcnt_dscnt 0x901
	v_mul_f64_e32 v[105:106], v[51:52], v[61:62]
	v_mul_f64_e32 v[61:62], v[53:54], v[61:62]
	v_fma_f64 v[97:98], v[97:98], v[55:56], v[99:100]
	v_fma_f64 v[95:96], v[95:96], v[55:56], -v[57:58]
	scratch_load_b128 v[55:58], off, off offset:256
	v_add_f64_e32 v[6:7], v[6:7], v[101:102]
	v_add_f64_e32 v[2:3], v[2:3], v[103:104]
	v_fma_f64 v[101:102], v[53:54], v[59:60], v[105:106]
	v_fma_f64 v[103:104], v[51:52], v[59:60], -v[61:62]
	ds_load_b128 v[51:54], v1 offset:400
	s_wait_loadcnt_dscnt 0x901
	v_mul_f64_e32 v[99:100], v[87:88], v[65:66]
	v_mul_f64_e32 v[65:66], v[89:90], v[65:66]
	scratch_load_b128 v[59:62], off, off offset:272
	s_wait_loadcnt_dscnt 0x900
	v_mul_f64_e32 v[105:106], v[51:52], v[69:70]
	v_mul_f64_e32 v[69:70], v[53:54], v[69:70]
	v_add_f64_e32 v[6:7], v[6:7], v[97:98]
	v_add_f64_e32 v[2:3], v[2:3], v[95:96]
	ds_load_b128 v[95:98], v1 offset:416
	v_fma_f64 v[89:90], v[89:90], v[63:64], v[99:100]
	v_fma_f64 v[63:64], v[87:88], v[63:64], -v[65:66]
	s_wait_loadcnt_dscnt 0x800
	v_mul_f64_e32 v[87:88], v[95:96], v[73:74]
	v_mul_f64_e32 v[73:74], v[97:98], v[73:74]
	v_fma_f64 v[99:100], v[53:54], v[67:68], v[105:106]
	v_fma_f64 v[67:68], v[51:52], v[67:68], -v[69:70]
	v_add_f64_e32 v[6:7], v[6:7], v[101:102]
	v_add_f64_e32 v[2:3], v[2:3], v[103:104]
	v_fma_f64 v[87:88], v[97:98], v[71:72], v[87:88]
	v_fma_f64 v[71:72], v[95:96], v[71:72], -v[73:74]
	s_delay_alu instid0(VALU_DEP_4) | instskip(NEXT) | instid1(VALU_DEP_4)
	v_add_f64_e32 v[6:7], v[6:7], v[89:90]
	v_add_f64_e32 v[2:3], v[2:3], v[63:64]
	ds_load_b128 v[51:54], v1 offset:432
	ds_load_b128 v[63:66], v1 offset:448
	s_wait_loadcnt_dscnt 0x701
	v_mul_f64_e32 v[69:70], v[51:52], v[81:82]
	v_mul_f64_e32 v[81:82], v[53:54], v[81:82]
	v_add_f64_e32 v[6:7], v[6:7], v[99:100]
	v_add_f64_e32 v[2:3], v[2:3], v[67:68]
	s_wait_loadcnt_dscnt 0x500
	v_mul_f64_e32 v[73:74], v[63:64], v[10:11]
	v_mul_f64_e32 v[10:11], v[65:66], v[10:11]
	v_fma_f64 v[89:90], v[53:54], v[79:80], v[69:70]
	v_fma_f64 v[79:80], v[51:52], v[79:80], -v[81:82]
	ds_load_b128 v[51:54], v1 offset:464
	ds_load_b128 v[67:70], v1 offset:480
	v_add_f64_e32 v[6:7], v[6:7], v[87:88]
	v_add_f64_e32 v[2:3], v[2:3], v[71:72]
	v_fma_f64 v[65:66], v[65:66], v[8:9], v[73:74]
	v_fma_f64 v[8:9], v[63:64], v[8:9], -v[10:11]
	s_wait_loadcnt_dscnt 0x401
	v_mul_f64_e32 v[71:72], v[51:52], v[93:94]
	v_mul_f64_e32 v[81:82], v[53:54], v[93:94]
	v_add_f64_e32 v[6:7], v[6:7], v[89:90]
	v_add_f64_e32 v[2:3], v[2:3], v[79:80]
	s_wait_loadcnt_dscnt 0x300
	v_mul_f64_e32 v[10:11], v[67:68], v[49:50]
	v_mul_f64_e32 v[63:64], v[69:70], v[49:50]
	v_fma_f64 v[53:54], v[53:54], v[91:92], v[71:72]
	v_fma_f64 v[71:72], v[51:52], v[91:92], -v[81:82]
	v_add_f64_e32 v[65:66], v[6:7], v[65:66]
	v_add_f64_e32 v[2:3], v[2:3], v[8:9]
	ds_load_b128 v[6:9], v1 offset:496
	ds_load_b128 v[49:52], v1 offset:512
	v_fma_f64 v[10:11], v[69:70], v[47:48], v[10:11]
	v_fma_f64 v[47:48], v[67:68], v[47:48], -v[63:64]
	s_wait_loadcnt_dscnt 0x201
	v_mul_f64_e32 v[73:74], v[6:7], v[77:78]
	v_mul_f64_e32 v[77:78], v[8:9], v[77:78]
	v_add_f64_e32 v[53:54], v[65:66], v[53:54]
	v_add_f64_e32 v[2:3], v[2:3], v[71:72]
	s_wait_loadcnt_dscnt 0x100
	v_mul_f64_e32 v[63:64], v[49:50], v[57:58]
	v_mul_f64_e32 v[57:58], v[51:52], v[57:58]
	v_fma_f64 v[65:66], v[8:9], v[75:76], v[73:74]
	v_fma_f64 v[67:68], v[6:7], v[75:76], -v[77:78]
	ds_load_b128 v[6:9], v1 offset:528
	v_add_f64_e32 v[10:11], v[53:54], v[10:11]
	v_add_f64_e32 v[2:3], v[2:3], v[47:48]
	v_fma_f64 v[51:52], v[51:52], v[55:56], v[63:64]
	v_fma_f64 v[49:50], v[49:50], v[55:56], -v[57:58]
	s_wait_loadcnt_dscnt 0x0
	v_mul_f64_e32 v[47:48], v[6:7], v[61:62]
	v_mul_f64_e32 v[53:54], v[8:9], v[61:62]
	v_add_f64_e32 v[10:11], v[10:11], v[65:66]
	v_add_f64_e32 v[2:3], v[2:3], v[67:68]
	s_delay_alu instid0(VALU_DEP_4) | instskip(NEXT) | instid1(VALU_DEP_4)
	v_fma_f64 v[8:9], v[8:9], v[59:60], v[47:48]
	v_fma_f64 v[6:7], v[6:7], v[59:60], -v[53:54]
	s_delay_alu instid0(VALU_DEP_4) | instskip(NEXT) | instid1(VALU_DEP_4)
	v_add_f64_e32 v[10:11], v[10:11], v[51:52]
	v_add_f64_e32 v[2:3], v[2:3], v[49:50]
	s_delay_alu instid0(VALU_DEP_2) | instskip(NEXT) | instid1(VALU_DEP_2)
	v_add_f64_e32 v[8:9], v[10:11], v[8:9]
	v_add_f64_e32 v[2:3], v[2:3], v[6:7]
	s_delay_alu instid0(VALU_DEP_2) | instskip(NEXT) | instid1(VALU_DEP_2)
	v_add_f64_e64 v[8:9], v[85:86], -v[8:9]
	v_add_f64_e64 v[6:7], v[83:84], -v[2:3]
	scratch_store_b128 off, v[6:9], off offset:32
	v_cmpx_ne_u32_e32 0, v0
	s_cbranch_execz .LBB80_115
; %bb.114:
	scratch_load_b128 v[6:9], off, off offset:16
	v_dual_mov_b32 v2, v1 :: v_dual_mov_b32 v3, v1
	v_mov_b32_e32 v4, v1
	scratch_store_b128 off, v[1:4], off offset:16
	s_wait_loadcnt 0x0
	ds_store_b128 v5, v[6:9]
.LBB80_115:
	s_wait_alu 0xfffe
	s_or_b32 exec_lo, exec_lo, s0
	s_wait_storecnt_dscnt 0x0
	s_barrier_signal -1
	s_barrier_wait -1
	global_inv scope:SCOPE_SE
	s_clause 0x8
	scratch_load_b128 v[2:5], off, off offset:32
	scratch_load_b128 v[6:9], off, off offset:48
	scratch_load_b128 v[47:50], off, off offset:64
	scratch_load_b128 v[51:54], off, off offset:80
	scratch_load_b128 v[55:58], off, off offset:96
	scratch_load_b128 v[59:62], off, off offset:112
	scratch_load_b128 v[63:66], off, off offset:128
	scratch_load_b128 v[67:70], off, off offset:144
	scratch_load_b128 v[71:74], off, off offset:160
	ds_load_b128 v[75:78], v1 offset:288
	ds_load_b128 v[79:82], v1 offset:304
	s_clause 0x1
	scratch_load_b128 v[83:86], off, off offset:16
	scratch_load_b128 v[87:90], off, off offset:176
	s_and_b32 vcc_lo, exec_lo, s12
	s_wait_loadcnt_dscnt 0xa01
	v_mul_f64_e32 v[10:11], v[77:78], v[4:5]
	v_mul_f64_e32 v[4:5], v[75:76], v[4:5]
	s_wait_loadcnt_dscnt 0x900
	v_mul_f64_e32 v[91:92], v[79:80], v[8:9]
	v_mul_f64_e32 v[93:94], v[81:82], v[8:9]
	s_delay_alu instid0(VALU_DEP_4) | instskip(NEXT) | instid1(VALU_DEP_4)
	v_fma_f64 v[95:96], v[75:76], v[2:3], -v[10:11]
	v_fma_f64 v[97:98], v[77:78], v[2:3], v[4:5]
	ds_load_b128 v[2:5], v1 offset:320
	ds_load_b128 v[75:78], v1 offset:336
	scratch_load_b128 v[8:11], off, off offset:192
	v_fma_f64 v[91:92], v[81:82], v[6:7], v[91:92]
	v_fma_f64 v[6:7], v[79:80], v[6:7], -v[93:94]
	scratch_load_b128 v[79:82], off, off offset:208
	s_wait_loadcnt_dscnt 0xa01
	v_mul_f64_e32 v[99:100], v[2:3], v[49:50]
	v_mul_f64_e32 v[49:50], v[4:5], v[49:50]
	v_add_f64_e32 v[93:94], 0, v[95:96]
	v_add_f64_e32 v[95:96], 0, v[97:98]
	s_wait_loadcnt_dscnt 0x900
	v_mul_f64_e32 v[97:98], v[75:76], v[53:54]
	v_mul_f64_e32 v[53:54], v[77:78], v[53:54]
	v_fma_f64 v[99:100], v[4:5], v[47:48], v[99:100]
	v_fma_f64 v[101:102], v[2:3], v[47:48], -v[49:50]
	ds_load_b128 v[2:5], v1 offset:352
	scratch_load_b128 v[47:50], off, off offset:224
	v_add_f64_e32 v[6:7], v[93:94], v[6:7]
	v_add_f64_e32 v[95:96], v[95:96], v[91:92]
	ds_load_b128 v[91:94], v1 offset:368
	v_fma_f64 v[77:78], v[77:78], v[51:52], v[97:98]
	v_fma_f64 v[75:76], v[75:76], v[51:52], -v[53:54]
	scratch_load_b128 v[51:54], off, off offset:240
	s_wait_loadcnt_dscnt 0xa01
	v_mul_f64_e32 v[103:104], v[2:3], v[57:58]
	v_mul_f64_e32 v[57:58], v[4:5], v[57:58]
	s_wait_loadcnt_dscnt 0x900
	v_mul_f64_e32 v[97:98], v[91:92], v[61:62]
	v_mul_f64_e32 v[61:62], v[93:94], v[61:62]
	v_add_f64_e32 v[6:7], v[6:7], v[101:102]
	v_add_f64_e32 v[95:96], v[95:96], v[99:100]
	v_fma_f64 v[99:100], v[4:5], v[55:56], v[103:104]
	v_fma_f64 v[101:102], v[2:3], v[55:56], -v[57:58]
	ds_load_b128 v[2:5], v1 offset:384
	scratch_load_b128 v[55:58], off, off offset:256
	v_fma_f64 v[93:94], v[93:94], v[59:60], v[97:98]
	v_fma_f64 v[91:92], v[91:92], v[59:60], -v[61:62]
	scratch_load_b128 v[59:62], off, off offset:272
	v_add_f64_e32 v[6:7], v[6:7], v[75:76]
	v_add_f64_e32 v[95:96], v[95:96], v[77:78]
	ds_load_b128 v[75:78], v1 offset:400
	s_wait_loadcnt_dscnt 0xa01
	v_mul_f64_e32 v[103:104], v[2:3], v[65:66]
	v_mul_f64_e32 v[65:66], v[4:5], v[65:66]
	s_wait_loadcnt_dscnt 0x900
	v_mul_f64_e32 v[97:98], v[75:76], v[69:70]
	v_mul_f64_e32 v[69:70], v[77:78], v[69:70]
	v_add_f64_e32 v[6:7], v[6:7], v[101:102]
	v_add_f64_e32 v[95:96], v[95:96], v[99:100]
	v_fma_f64 v[99:100], v[4:5], v[63:64], v[103:104]
	v_fma_f64 v[101:102], v[2:3], v[63:64], -v[65:66]
	ds_load_b128 v[2:5], v1 offset:416
	ds_load_b128 v[63:66], v1 offset:432
	v_fma_f64 v[77:78], v[77:78], v[67:68], v[97:98]
	v_fma_f64 v[67:68], v[75:76], v[67:68], -v[69:70]
	s_wait_loadcnt_dscnt 0x600
	v_mul_f64_e32 v[75:76], v[63:64], v[89:90]
	v_mul_f64_e32 v[89:90], v[65:66], v[89:90]
	v_add_f64_e32 v[6:7], v[6:7], v[91:92]
	v_add_f64_e32 v[91:92], v[95:96], v[93:94]
	v_mul_f64_e32 v[93:94], v[2:3], v[73:74]
	v_mul_f64_e32 v[73:74], v[4:5], v[73:74]
	v_fma_f64 v[65:66], v[65:66], v[87:88], v[75:76]
	v_fma_f64 v[63:64], v[63:64], v[87:88], -v[89:90]
	v_add_f64_e32 v[6:7], v[6:7], v[101:102]
	v_add_f64_e32 v[69:70], v[91:92], v[99:100]
	v_fma_f64 v[91:92], v[4:5], v[71:72], v[93:94]
	v_fma_f64 v[71:72], v[2:3], v[71:72], -v[73:74]
	s_delay_alu instid0(VALU_DEP_4) | instskip(NEXT) | instid1(VALU_DEP_4)
	v_add_f64_e32 v[6:7], v[6:7], v[67:68]
	v_add_f64_e32 v[73:74], v[69:70], v[77:78]
	ds_load_b128 v[2:5], v1 offset:448
	ds_load_b128 v[67:70], v1 offset:464
	s_wait_loadcnt_dscnt 0x501
	v_mul_f64_e32 v[77:78], v[2:3], v[10:11]
	v_mul_f64_e32 v[10:11], v[4:5], v[10:11]
	s_wait_loadcnt_dscnt 0x400
	v_mul_f64_e32 v[75:76], v[69:70], v[81:82]
	v_add_f64_e32 v[6:7], v[6:7], v[71:72]
	v_add_f64_e32 v[71:72], v[73:74], v[91:92]
	v_mul_f64_e32 v[73:74], v[67:68], v[81:82]
	v_fma_f64 v[77:78], v[4:5], v[8:9], v[77:78]
	v_fma_f64 v[10:11], v[2:3], v[8:9], -v[10:11]
	v_fma_f64 v[67:68], v[67:68], v[79:80], -v[75:76]
	v_add_f64_e32 v[63:64], v[6:7], v[63:64]
	v_add_f64_e32 v[65:66], v[71:72], v[65:66]
	ds_load_b128 v[2:5], v1 offset:480
	ds_load_b128 v[6:9], v1 offset:496
	v_fma_f64 v[69:70], v[69:70], v[79:80], v[73:74]
	s_wait_loadcnt_dscnt 0x301
	v_mul_f64_e32 v[71:72], v[2:3], v[49:50]
	v_mul_f64_e32 v[49:50], v[4:5], v[49:50]
	v_add_f64_e32 v[10:11], v[63:64], v[10:11]
	v_add_f64_e32 v[63:64], v[65:66], v[77:78]
	s_wait_loadcnt_dscnt 0x200
	v_mul_f64_e32 v[65:66], v[6:7], v[53:54]
	v_mul_f64_e32 v[53:54], v[8:9], v[53:54]
	v_fma_f64 v[71:72], v[4:5], v[47:48], v[71:72]
	v_fma_f64 v[73:74], v[2:3], v[47:48], -v[49:50]
	ds_load_b128 v[2:5], v1 offset:512
	ds_load_b128 v[47:50], v1 offset:528
	v_add_f64_e32 v[10:11], v[10:11], v[67:68]
	v_add_f64_e32 v[63:64], v[63:64], v[69:70]
	v_fma_f64 v[8:9], v[8:9], v[51:52], v[65:66]
	v_fma_f64 v[6:7], v[6:7], v[51:52], -v[53:54]
	s_wait_loadcnt_dscnt 0x101
	v_mul_f64_e32 v[0:1], v[2:3], v[57:58]
	v_mul_f64_e32 v[57:58], v[4:5], v[57:58]
	s_wait_loadcnt_dscnt 0x0
	v_mul_f64_e32 v[53:54], v[47:48], v[61:62]
	v_mul_f64_e32 v[61:62], v[49:50], v[61:62]
	v_add_f64_e32 v[10:11], v[10:11], v[73:74]
	v_add_f64_e32 v[51:52], v[63:64], v[71:72]
	v_fma_f64 v[0:1], v[4:5], v[55:56], v[0:1]
	v_fma_f64 v[2:3], v[2:3], v[55:56], -v[57:58]
	s_delay_alu instid0(VALU_DEP_4) | instskip(NEXT) | instid1(VALU_DEP_4)
	v_add_f64_e32 v[4:5], v[10:11], v[6:7]
	v_add_f64_e32 v[6:7], v[51:52], v[8:9]
	v_fma_f64 v[8:9], v[49:50], v[59:60], v[53:54]
	v_fma_f64 v[10:11], v[47:48], v[59:60], -v[61:62]
	s_delay_alu instid0(VALU_DEP_4) | instskip(NEXT) | instid1(VALU_DEP_4)
	v_add_f64_e32 v[2:3], v[4:5], v[2:3]
	v_add_f64_e32 v[0:1], v[6:7], v[0:1]
	s_delay_alu instid0(VALU_DEP_2) | instskip(NEXT) | instid1(VALU_DEP_2)
	v_add_f64_e32 v[2:3], v[2:3], v[10:11]
	v_add_f64_e32 v[4:5], v[0:1], v[8:9]
	s_delay_alu instid0(VALU_DEP_2) | instskip(NEXT) | instid1(VALU_DEP_2)
	v_add_f64_e64 v[0:1], v[83:84], -v[2:3]
	v_add_f64_e64 v[2:3], v[85:86], -v[4:5]
	scratch_store_b128 off, v[0:3], off offset:16
	s_wait_alu 0xfffe
	s_cbranch_vccz .LBB80_148
; %bb.116:
	v_mov_b32_e32 v0, 0
	global_load_b32 v1, v0, s[2:3] offset:60
	s_wait_loadcnt 0x0
	v_cmp_ne_u32_e32 vcc_lo, 16, v1
	s_cbranch_vccz .LBB80_118
; %bb.117:
	v_lshlrev_b32_e32 v1, 4, v1
	s_delay_alu instid0(VALU_DEP_1)
	v_add_nc_u32_e32 v9, 16, v1
	s_clause 0x1
	scratch_load_b128 v[1:4], v9, off offset:-16
	scratch_load_b128 v[5:8], off, s22
	s_wait_loadcnt 0x1
	scratch_store_b128 off, v[1:4], s22
	s_wait_loadcnt 0x0
	scratch_store_b128 v9, v[5:8], off offset:-16
.LBB80_118:
	global_load_b32 v0, v0, s[2:3] offset:56
	s_wait_loadcnt 0x0
	v_cmp_eq_u32_e32 vcc_lo, 15, v0
	s_cbranch_vccnz .LBB80_120
; %bb.119:
	v_lshlrev_b32_e32 v0, 4, v0
	s_delay_alu instid0(VALU_DEP_1)
	v_add_nc_u32_e32 v8, 16, v0
	s_clause 0x1
	scratch_load_b128 v[0:3], v8, off offset:-16
	scratch_load_b128 v[4:7], off, s14
	s_wait_loadcnt 0x1
	scratch_store_b128 off, v[0:3], s14
	s_wait_loadcnt 0x0
	scratch_store_b128 v8, v[4:7], off offset:-16
.LBB80_120:
	v_mov_b32_e32 v0, 0
	global_load_b32 v1, v0, s[2:3] offset:52
	s_wait_loadcnt 0x0
	v_cmp_eq_u32_e32 vcc_lo, 14, v1
	s_cbranch_vccnz .LBB80_122
; %bb.121:
	v_lshlrev_b32_e32 v1, 4, v1
	s_delay_alu instid0(VALU_DEP_1)
	v_add_nc_u32_e32 v9, 16, v1
	s_clause 0x1
	scratch_load_b128 v[1:4], v9, off offset:-16
	scratch_load_b128 v[5:8], off, s21
	s_wait_loadcnt 0x1
	scratch_store_b128 off, v[1:4], s21
	s_wait_loadcnt 0x0
	scratch_store_b128 v9, v[5:8], off offset:-16
.LBB80_122:
	global_load_b32 v0, v0, s[2:3] offset:48
	s_wait_loadcnt 0x0
	v_cmp_eq_u32_e32 vcc_lo, 13, v0
	s_cbranch_vccnz .LBB80_124
; %bb.123:
	v_lshlrev_b32_e32 v0, 4, v0
	s_delay_alu instid0(VALU_DEP_1)
	v_add_nc_u32_e32 v8, 16, v0
	s_clause 0x1
	scratch_load_b128 v[0:3], v8, off offset:-16
	scratch_load_b128 v[4:7], off, s13
	s_wait_loadcnt 0x1
	scratch_store_b128 off, v[0:3], s13
	s_wait_loadcnt 0x0
	scratch_store_b128 v8, v[4:7], off offset:-16
.LBB80_124:
	v_mov_b32_e32 v0, 0
	global_load_b32 v1, v0, s[2:3] offset:44
	s_wait_loadcnt 0x0
	v_cmp_eq_u32_e32 vcc_lo, 12, v1
	s_cbranch_vccnz .LBB80_126
; %bb.125:
	v_lshlrev_b32_e32 v1, 4, v1
	s_delay_alu instid0(VALU_DEP_1)
	v_add_nc_u32_e32 v9, 16, v1
	s_clause 0x1
	scratch_load_b128 v[1:4], v9, off offset:-16
	scratch_load_b128 v[5:8], off, s20
	s_wait_loadcnt 0x1
	scratch_store_b128 off, v[1:4], s20
	s_wait_loadcnt 0x0
	scratch_store_b128 v9, v[5:8], off offset:-16
.LBB80_126:
	;; [unrolled: 33-line block ×7, first 2 shown]
	global_load_b32 v0, v0, s[2:3]
	s_wait_loadcnt 0x0
	v_cmp_eq_u32_e32 vcc_lo, 1, v0
	s_cbranch_vccnz .LBB80_148
; %bb.147:
	v_lshlrev_b32_e32 v0, 4, v0
	s_delay_alu instid0(VALU_DEP_1)
	v_add_nc_u32_e32 v8, 16, v0
	scratch_load_b128 v[0:3], v8, off offset:-16
	scratch_load_b128 v[4:7], off, off offset:16
	s_wait_loadcnt 0x1
	scratch_store_b128 off, v[0:3], off offset:16
	s_wait_loadcnt 0x0
	scratch_store_b128 v8, v[4:7], off offset:-16
.LBB80_148:
	scratch_load_b128 v[0:3], off, off offset:16
	s_wait_loadcnt 0x0
	flat_store_b128 v[13:14], v[0:3]
	scratch_load_b128 v[0:3], off, s24
	s_wait_loadcnt 0x0
	flat_store_b128 v[15:16], v[0:3]
	scratch_load_b128 v[0:3], off, s23
	;; [unrolled: 3-line block ×16, first 2 shown]
	s_wait_loadcnt 0x0
	flat_store_b128 v[45:46], v[0:3]
	s_nop 0
	s_sendmsg sendmsg(MSG_DEALLOC_VGPRS)
	s_endpgm
	.section	.rodata,"a",@progbits
	.p2align	6, 0x0
	.amdhsa_kernel _ZN9rocsolver6v33100L18getri_kernel_smallILi17E19rocblas_complex_numIdEPKPS3_EEvT1_iilPiilS8_bb
		.amdhsa_group_segment_fixed_size 552
		.amdhsa_private_segment_fixed_size 304
		.amdhsa_kernarg_size 60
		.amdhsa_user_sgpr_count 2
		.amdhsa_user_sgpr_dispatch_ptr 0
		.amdhsa_user_sgpr_queue_ptr 0
		.amdhsa_user_sgpr_kernarg_segment_ptr 1
		.amdhsa_user_sgpr_dispatch_id 0
		.amdhsa_user_sgpr_private_segment_size 0
		.amdhsa_wavefront_size32 1
		.amdhsa_uses_dynamic_stack 0
		.amdhsa_enable_private_segment 1
		.amdhsa_system_sgpr_workgroup_id_x 1
		.amdhsa_system_sgpr_workgroup_id_y 0
		.amdhsa_system_sgpr_workgroup_id_z 0
		.amdhsa_system_sgpr_workgroup_info 0
		.amdhsa_system_vgpr_workitem_id 0
		.amdhsa_next_free_vgpr 107
		.amdhsa_next_free_sgpr 28
		.amdhsa_reserve_vcc 1
		.amdhsa_float_round_mode_32 0
		.amdhsa_float_round_mode_16_64 0
		.amdhsa_float_denorm_mode_32 3
		.amdhsa_float_denorm_mode_16_64 3
		.amdhsa_fp16_overflow 0
		.amdhsa_workgroup_processor_mode 1
		.amdhsa_memory_ordered 1
		.amdhsa_forward_progress 1
		.amdhsa_inst_pref_size 152
		.amdhsa_round_robin_scheduling 0
		.amdhsa_exception_fp_ieee_invalid_op 0
		.amdhsa_exception_fp_denorm_src 0
		.amdhsa_exception_fp_ieee_div_zero 0
		.amdhsa_exception_fp_ieee_overflow 0
		.amdhsa_exception_fp_ieee_underflow 0
		.amdhsa_exception_fp_ieee_inexact 0
		.amdhsa_exception_int_div_zero 0
	.end_amdhsa_kernel
	.section	.text._ZN9rocsolver6v33100L18getri_kernel_smallILi17E19rocblas_complex_numIdEPKPS3_EEvT1_iilPiilS8_bb,"axG",@progbits,_ZN9rocsolver6v33100L18getri_kernel_smallILi17E19rocblas_complex_numIdEPKPS3_EEvT1_iilPiilS8_bb,comdat
.Lfunc_end80:
	.size	_ZN9rocsolver6v33100L18getri_kernel_smallILi17E19rocblas_complex_numIdEPKPS3_EEvT1_iilPiilS8_bb, .Lfunc_end80-_ZN9rocsolver6v33100L18getri_kernel_smallILi17E19rocblas_complex_numIdEPKPS3_EEvT1_iilPiilS8_bb
                                        ; -- End function
	.set _ZN9rocsolver6v33100L18getri_kernel_smallILi17E19rocblas_complex_numIdEPKPS3_EEvT1_iilPiilS8_bb.num_vgpr, 107
	.set _ZN9rocsolver6v33100L18getri_kernel_smallILi17E19rocblas_complex_numIdEPKPS3_EEvT1_iilPiilS8_bb.num_agpr, 0
	.set _ZN9rocsolver6v33100L18getri_kernel_smallILi17E19rocblas_complex_numIdEPKPS3_EEvT1_iilPiilS8_bb.numbered_sgpr, 28
	.set _ZN9rocsolver6v33100L18getri_kernel_smallILi17E19rocblas_complex_numIdEPKPS3_EEvT1_iilPiilS8_bb.num_named_barrier, 0
	.set _ZN9rocsolver6v33100L18getri_kernel_smallILi17E19rocblas_complex_numIdEPKPS3_EEvT1_iilPiilS8_bb.private_seg_size, 304
	.set _ZN9rocsolver6v33100L18getri_kernel_smallILi17E19rocblas_complex_numIdEPKPS3_EEvT1_iilPiilS8_bb.uses_vcc, 1
	.set _ZN9rocsolver6v33100L18getri_kernel_smallILi17E19rocblas_complex_numIdEPKPS3_EEvT1_iilPiilS8_bb.uses_flat_scratch, 1
	.set _ZN9rocsolver6v33100L18getri_kernel_smallILi17E19rocblas_complex_numIdEPKPS3_EEvT1_iilPiilS8_bb.has_dyn_sized_stack, 0
	.set _ZN9rocsolver6v33100L18getri_kernel_smallILi17E19rocblas_complex_numIdEPKPS3_EEvT1_iilPiilS8_bb.has_recursion, 0
	.set _ZN9rocsolver6v33100L18getri_kernel_smallILi17E19rocblas_complex_numIdEPKPS3_EEvT1_iilPiilS8_bb.has_indirect_call, 0
	.section	.AMDGPU.csdata,"",@progbits
; Kernel info:
; codeLenInByte = 19412
; TotalNumSgprs: 30
; NumVgprs: 107
; ScratchSize: 304
; MemoryBound: 0
; FloatMode: 240
; IeeeMode: 1
; LDSByteSize: 552 bytes/workgroup (compile time only)
; SGPRBlocks: 0
; VGPRBlocks: 13
; NumSGPRsForWavesPerEU: 30
; NumVGPRsForWavesPerEU: 107
; Occupancy: 12
; WaveLimiterHint : 1
; COMPUTE_PGM_RSRC2:SCRATCH_EN: 1
; COMPUTE_PGM_RSRC2:USER_SGPR: 2
; COMPUTE_PGM_RSRC2:TRAP_HANDLER: 0
; COMPUTE_PGM_RSRC2:TGID_X_EN: 1
; COMPUTE_PGM_RSRC2:TGID_Y_EN: 0
; COMPUTE_PGM_RSRC2:TGID_Z_EN: 0
; COMPUTE_PGM_RSRC2:TIDIG_COMP_CNT: 0
	.section	.text._ZN9rocsolver6v33100L18getri_kernel_smallILi18E19rocblas_complex_numIdEPKPS3_EEvT1_iilPiilS8_bb,"axG",@progbits,_ZN9rocsolver6v33100L18getri_kernel_smallILi18E19rocblas_complex_numIdEPKPS3_EEvT1_iilPiilS8_bb,comdat
	.globl	_ZN9rocsolver6v33100L18getri_kernel_smallILi18E19rocblas_complex_numIdEPKPS3_EEvT1_iilPiilS8_bb ; -- Begin function _ZN9rocsolver6v33100L18getri_kernel_smallILi18E19rocblas_complex_numIdEPKPS3_EEvT1_iilPiilS8_bb
	.p2align	8
	.type	_ZN9rocsolver6v33100L18getri_kernel_smallILi18E19rocblas_complex_numIdEPKPS3_EEvT1_iilPiilS8_bb,@function
_ZN9rocsolver6v33100L18getri_kernel_smallILi18E19rocblas_complex_numIdEPKPS3_EEvT1_iilPiilS8_bb: ; @_ZN9rocsolver6v33100L18getri_kernel_smallILi18E19rocblas_complex_numIdEPKPS3_EEvT1_iilPiilS8_bb
; %bb.0:
	s_mov_b32 s2, exec_lo
	v_cmpx_gt_u32_e32 18, v0
	s_cbranch_execz .LBB81_86
; %bb.1:
	s_clause 0x1
	s_load_b32 s13, s[0:1], 0x38
	s_load_b64 s[2:3], s[0:1], 0x0
	s_mov_b32 s8, ttmp9
	s_load_b128 s[4:7], s[0:1], 0x28
	s_wait_kmcnt 0x0
	s_bitcmp1_b32 s13, 8
	s_cselect_b32 s12, -1, 0
	s_ashr_i32 s9, ttmp9, 31
	s_delay_alu instid0(SALU_CYCLE_1) | instskip(NEXT) | instid1(SALU_CYCLE_1)
	s_lshl_b64 s[10:11], s[8:9], 3
	s_add_nc_u64 s[2:3], s[2:3], s[10:11]
	s_load_b64 s[10:11], s[2:3], 0x0
	s_bfe_u32 s2, s13, 0x10008
	s_delay_alu instid0(SALU_CYCLE_1)
	s_cmp_eq_u32 s2, 0
                                        ; implicit-def: $sgpr2_sgpr3
	s_cbranch_scc1 .LBB81_3
; %bb.2:
	s_load_b96 s[16:18], s[0:1], 0x18
	s_mul_u64 s[2:3], s[4:5], s[8:9]
	s_delay_alu instid0(SALU_CYCLE_1)
	s_lshl_b64 s[2:3], s[2:3], 2
	s_wait_kmcnt 0x0
	s_ashr_i32 s5, s18, 31
	s_mov_b32 s4, s18
	s_add_nc_u64 s[2:3], s[16:17], s[2:3]
	s_lshl_b64 s[4:5], s[4:5], 2
	s_delay_alu instid0(SALU_CYCLE_1)
	s_add_nc_u64 s[2:3], s[2:3], s[4:5]
.LBB81_3:
	s_clause 0x1
	s_load_b64 s[4:5], s[0:1], 0x8
	s_load_b32 s26, s[0:1], 0x38
	v_lshlrev_b32_e32 v49, 4, v0
	s_mov_b32 s25, 32
	s_mov_b32 s24, 48
	s_mov_b32 s16, 64
	s_movk_i32 s17, 0x50
	s_wait_kmcnt 0x0
	s_ashr_i32 s1, s4, 31
	s_mov_b32 s0, s4
	v_add3_u32 v5, s5, s5, v0
	s_lshl_b64 s[0:1], s[0:1], 4
	s_delay_alu instid0(SALU_CYCLE_1)
	s_add_nc_u64 s[0:1], s[10:11], s[0:1]
	s_ashr_i32 s11, s5, 31
	v_add_co_u32 v13, s4, s0, v49
	s_wait_alu 0xf1ff
	v_add_co_ci_u32_e64 v14, null, s1, 0, s4
	s_mov_b32 s10, s5
	v_ashrrev_i32_e32 v6, 31, v5
	s_lshl_b64 s[10:11], s[10:11], 4
	flat_load_b128 v[1:4], v[13:14]
	v_add_co_u32 v15, vcc_lo, v13, s10
	s_delay_alu instid0(VALU_DEP_1) | instskip(SKIP_2) | instid1(VALU_DEP_2)
	v_add_co_ci_u32_e64 v16, null, s11, v14, vcc_lo
	v_lshlrev_b64_e32 v[6:7], 4, v[5:6]
	v_add_nc_u32_e32 v5, s5, v5
	v_add_co_u32 v17, vcc_lo, s0, v6
	s_wait_alu 0xfffd
	s_delay_alu instid0(VALU_DEP_3) | instskip(NEXT) | instid1(VALU_DEP_3)
	v_add_co_ci_u32_e64 v18, null, s1, v7, vcc_lo
	v_ashrrev_i32_e32 v6, 31, v5
	s_delay_alu instid0(VALU_DEP_1) | instskip(SKIP_1) | instid1(VALU_DEP_2)
	v_lshlrev_b64_e32 v[6:7], 4, v[5:6]
	v_add_nc_u32_e32 v5, s5, v5
	v_add_co_u32 v19, vcc_lo, s0, v6
	s_wait_alu 0xfffd
	s_delay_alu instid0(VALU_DEP_3) | instskip(NEXT) | instid1(VALU_DEP_3)
	v_add_co_ci_u32_e64 v20, null, s1, v7, vcc_lo
	v_ashrrev_i32_e32 v6, 31, v5
	s_delay_alu instid0(VALU_DEP_1) | instskip(SKIP_1) | instid1(VALU_DEP_2)
	v_lshlrev_b64_e32 v[6:7], 4, v[5:6]
	v_add_nc_u32_e32 v5, s5, v5
	v_add_co_u32 v21, vcc_lo, s0, v6
	s_wait_alu 0xfffd
	s_delay_alu instid0(VALU_DEP_3) | instskip(NEXT) | instid1(VALU_DEP_3)
	v_add_co_ci_u32_e64 v22, null, s1, v7, vcc_lo
	v_ashrrev_i32_e32 v6, 31, v5
	s_delay_alu instid0(VALU_DEP_1) | instskip(SKIP_1) | instid1(VALU_DEP_2)
	v_lshlrev_b64_e32 v[6:7], 4, v[5:6]
	v_add_nc_u32_e32 v5, s5, v5
	v_add_co_u32 v23, vcc_lo, s0, v6
	s_wait_alu 0xfffd
	s_delay_alu instid0(VALU_DEP_3) | instskip(NEXT) | instid1(VALU_DEP_3)
	v_add_co_ci_u32_e64 v24, null, s1, v7, vcc_lo
	v_ashrrev_i32_e32 v6, 31, v5
	s_delay_alu instid0(VALU_DEP_1) | instskip(SKIP_1) | instid1(VALU_DEP_2)
	v_lshlrev_b64_e32 v[6:7], 4, v[5:6]
	v_add_nc_u32_e32 v5, s5, v5
	v_add_co_u32 v25, vcc_lo, s0, v6
	s_wait_alu 0xfffd
	s_delay_alu instid0(VALU_DEP_3) | instskip(NEXT) | instid1(VALU_DEP_3)
	v_add_co_ci_u32_e64 v26, null, s1, v7, vcc_lo
	v_ashrrev_i32_e32 v6, 31, v5
	s_delay_alu instid0(VALU_DEP_1) | instskip(SKIP_1) | instid1(VALU_DEP_2)
	v_lshlrev_b64_e32 v[6:7], 4, v[5:6]
	v_add_nc_u32_e32 v5, s5, v5
	v_add_co_u32 v27, vcc_lo, s0, v6
	s_wait_alu 0xfffd
	s_delay_alu instid0(VALU_DEP_3) | instskip(NEXT) | instid1(VALU_DEP_3)
	v_add_co_ci_u32_e64 v28, null, s1, v7, vcc_lo
	v_ashrrev_i32_e32 v6, 31, v5
	s_delay_alu instid0(VALU_DEP_1) | instskip(SKIP_1) | instid1(VALU_DEP_2)
	v_lshlrev_b64_e32 v[6:7], 4, v[5:6]
	v_add_nc_u32_e32 v5, s5, v5
	v_add_co_u32 v29, vcc_lo, s0, v6
	s_wait_alu 0xfffd
	s_delay_alu instid0(VALU_DEP_3) | instskip(NEXT) | instid1(VALU_DEP_3)
	v_add_co_ci_u32_e64 v30, null, s1, v7, vcc_lo
	v_ashrrev_i32_e32 v6, 31, v5
	s_delay_alu instid0(VALU_DEP_1) | instskip(SKIP_1) | instid1(VALU_DEP_2)
	v_lshlrev_b64_e32 v[6:7], 4, v[5:6]
	v_add_nc_u32_e32 v5, s5, v5
	v_add_co_u32 v31, vcc_lo, s0, v6
	s_wait_alu 0xfffd
	s_delay_alu instid0(VALU_DEP_3) | instskip(NEXT) | instid1(VALU_DEP_3)
	v_add_co_ci_u32_e64 v32, null, s1, v7, vcc_lo
	v_ashrrev_i32_e32 v6, 31, v5
	s_delay_alu instid0(VALU_DEP_1) | instskip(SKIP_1) | instid1(VALU_DEP_2)
	v_lshlrev_b64_e32 v[6:7], 4, v[5:6]
	v_add_nc_u32_e32 v5, s5, v5
	v_add_co_u32 v33, vcc_lo, s0, v6
	s_wait_alu 0xfffd
	s_delay_alu instid0(VALU_DEP_3) | instskip(NEXT) | instid1(VALU_DEP_3)
	v_add_co_ci_u32_e64 v34, null, s1, v7, vcc_lo
	v_ashrrev_i32_e32 v6, 31, v5
	s_delay_alu instid0(VALU_DEP_1) | instskip(SKIP_1) | instid1(VALU_DEP_2)
	v_lshlrev_b64_e32 v[6:7], 4, v[5:6]
	v_add_nc_u32_e32 v5, s5, v5
	v_add_co_u32 v35, vcc_lo, s0, v6
	s_wait_alu 0xfffd
	s_delay_alu instid0(VALU_DEP_3) | instskip(NEXT) | instid1(VALU_DEP_3)
	v_add_co_ci_u32_e64 v36, null, s1, v7, vcc_lo
	v_ashrrev_i32_e32 v6, 31, v5
	s_delay_alu instid0(VALU_DEP_1) | instskip(SKIP_1) | instid1(VALU_DEP_2)
	v_lshlrev_b64_e32 v[6:7], 4, v[5:6]
	v_add_nc_u32_e32 v5, s5, v5
	v_add_co_u32 v37, vcc_lo, s0, v6
	s_wait_alu 0xfffd
	s_delay_alu instid0(VALU_DEP_3) | instskip(NEXT) | instid1(VALU_DEP_3)
	v_add_co_ci_u32_e64 v38, null, s1, v7, vcc_lo
	v_ashrrev_i32_e32 v6, 31, v5
	s_delay_alu instid0(VALU_DEP_1) | instskip(SKIP_1) | instid1(VALU_DEP_2)
	v_lshlrev_b64_e32 v[6:7], 4, v[5:6]
	v_add_nc_u32_e32 v5, s5, v5
	v_add_co_u32 v39, vcc_lo, s0, v6
	s_wait_alu 0xfffd
	s_delay_alu instid0(VALU_DEP_3) | instskip(NEXT) | instid1(VALU_DEP_3)
	v_add_co_ci_u32_e64 v40, null, s1, v7, vcc_lo
	v_ashrrev_i32_e32 v6, 31, v5
	s_delay_alu instid0(VALU_DEP_1) | instskip(SKIP_1) | instid1(VALU_DEP_2)
	v_lshlrev_b64_e32 v[6:7], 4, v[5:6]
	v_add_nc_u32_e32 v5, s5, v5
	v_add_co_u32 v41, vcc_lo, s0, v6
	s_wait_alu 0xfffd
	s_delay_alu instid0(VALU_DEP_3) | instskip(NEXT) | instid1(VALU_DEP_3)
	v_add_co_ci_u32_e64 v42, null, s1, v7, vcc_lo
	v_ashrrev_i32_e32 v6, 31, v5
	s_delay_alu instid0(VALU_DEP_1) | instskip(SKIP_1) | instid1(VALU_DEP_2)
	v_lshlrev_b64_e32 v[6:7], 4, v[5:6]
	v_add_nc_u32_e32 v5, s5, v5
	v_add_co_u32 v43, vcc_lo, s0, v6
	s_wait_alu 0xfffd
	s_delay_alu instid0(VALU_DEP_3) | instskip(NEXT) | instid1(VALU_DEP_3)
	v_add_co_ci_u32_e64 v44, null, s1, v7, vcc_lo
	v_ashrrev_i32_e32 v6, 31, v5
	s_delay_alu instid0(VALU_DEP_1) | instskip(SKIP_1) | instid1(VALU_DEP_2)
	v_lshlrev_b64_e32 v[6:7], 4, v[5:6]
	v_add_nc_u32_e32 v5, s5, v5
	v_add_co_u32 v45, vcc_lo, s0, v6
	s_wait_alu 0xfffd
	s_delay_alu instid0(VALU_DEP_3) | instskip(NEXT) | instid1(VALU_DEP_3)
	v_add_co_ci_u32_e64 v46, null, s1, v7, vcc_lo
	v_ashrrev_i32_e32 v6, 31, v5
	s_delay_alu instid0(VALU_DEP_1) | instskip(NEXT) | instid1(VALU_DEP_1)
	v_lshlrev_b64_e32 v[5:6], 4, v[5:6]
	v_add_co_u32 v47, vcc_lo, s0, v5
	s_wait_alu 0xfffd
	s_delay_alu instid0(VALU_DEP_2)
	v_add_co_ci_u32_e64 v48, null, s1, v6, vcc_lo
	s_movk_i32 s0, 0x50
	s_movk_i32 s1, 0x70
	s_wait_alu 0xfffe
	s_add_co_i32 s4, s0, 16
	s_movk_i32 s0, 0x60
	s_add_co_i32 s5, s1, 16
	s_wait_alu 0xfffe
	s_add_co_i32 s18, s0, 16
	s_movk_i32 s0, 0x80
	s_movk_i32 s1, 0x90
	s_wait_alu 0xfffe
	s_add_co_i32 s19, s0, 16
	s_add_co_i32 s10, s1, 16
	s_movk_i32 s0, 0xa0
	s_movk_i32 s1, 0xb0
	s_wait_alu 0xfffe
	s_add_co_i32 s20, s0, 16
	;; [unrolled: 5-line block ×5, first 2 shown]
	s_add_co_i32 s15, s1, 16
	s_bitcmp0_b32 s26, 0
	s_mov_b32 s1, -1
	s_wait_loadcnt_dscnt 0x0
	scratch_store_b128 off, v[1:4], off offset:16
	flat_load_b128 v[1:4], v[15:16]
	s_wait_loadcnt_dscnt 0x0
	scratch_store_b128 off, v[1:4], off offset:32
	flat_load_b128 v[1:4], v[17:18]
	;; [unrolled: 3-line block ×17, first 2 shown]
	s_wait_loadcnt_dscnt 0x0
	scratch_store_b128 off, v[1:4], off offset:288
	s_cbranch_scc1 .LBB81_84
; %bb.4:
	v_cmp_eq_u32_e64 s0, 0, v0
	s_and_saveexec_b32 s1, s0
; %bb.5:
	v_mov_b32_e32 v1, 0
	ds_store_b32 v1, v1 offset:576
; %bb.6:
	s_wait_alu 0xfffe
	s_or_b32 exec_lo, exec_lo, s1
	s_wait_storecnt_dscnt 0x0
	s_barrier_signal -1
	s_barrier_wait -1
	global_inv scope:SCOPE_SE
	scratch_load_b128 v[1:4], v49, off offset:16
	s_wait_loadcnt 0x0
	v_cmp_eq_f64_e32 vcc_lo, 0, v[1:2]
	v_cmp_eq_f64_e64 s1, 0, v[3:4]
	s_and_b32 s1, vcc_lo, s1
	s_wait_alu 0xfffe
	s_and_saveexec_b32 s26, s1
	s_cbranch_execz .LBB81_10
; %bb.7:
	v_mov_b32_e32 v1, 0
	s_mov_b32 s27, 0
	ds_load_b32 v2, v1 offset:576
	s_wait_dscnt 0x0
	v_readfirstlane_b32 s1, v2
	v_add_nc_u32_e32 v2, 1, v0
	s_cmp_eq_u32 s1, 0
	s_delay_alu instid0(VALU_DEP_1) | instskip(SKIP_1) | instid1(SALU_CYCLE_1)
	v_cmp_gt_i32_e32 vcc_lo, s1, v2
	s_cselect_b32 s28, -1, 0
	s_or_b32 s28, s28, vcc_lo
	s_delay_alu instid0(SALU_CYCLE_1)
	s_and_b32 exec_lo, exec_lo, s28
	s_cbranch_execz .LBB81_10
; %bb.8:
	v_mov_b32_e32 v3, s1
.LBB81_9:                               ; =>This Inner Loop Header: Depth=1
	ds_cmpstore_rtn_b32 v3, v1, v2, v3 offset:576
	s_wait_dscnt 0x0
	v_cmp_ne_u32_e32 vcc_lo, 0, v3
	v_cmp_le_i32_e64 s1, v3, v2
	s_and_b32 s1, vcc_lo, s1
	s_wait_alu 0xfffe
	s_and_b32 s1, exec_lo, s1
	s_wait_alu 0xfffe
	s_or_b32 s27, s1, s27
	s_delay_alu instid0(SALU_CYCLE_1)
	s_and_not1_b32 exec_lo, exec_lo, s27
	s_cbranch_execnz .LBB81_9
.LBB81_10:
	s_or_b32 exec_lo, exec_lo, s26
	v_mov_b32_e32 v1, 0
	s_barrier_signal -1
	s_barrier_wait -1
	global_inv scope:SCOPE_SE
	ds_load_b32 v2, v1 offset:576
	s_and_saveexec_b32 s1, s0
	s_cbranch_execz .LBB81_12
; %bb.11:
	s_lshl_b64 s[26:27], s[8:9], 2
	s_delay_alu instid0(SALU_CYCLE_1)
	s_add_nc_u64 s[26:27], s[6:7], s[26:27]
	s_wait_dscnt 0x0
	global_store_b32 v1, v2, s[26:27]
.LBB81_12:
	s_wait_alu 0xfffe
	s_or_b32 exec_lo, exec_lo, s1
	s_wait_dscnt 0x0
	v_cmp_ne_u32_e32 vcc_lo, 0, v2
	s_mov_b32 s1, 0
	s_cbranch_vccnz .LBB81_84
; %bb.13:
	v_add_nc_u32_e32 v50, 16, v49
                                        ; implicit-def: $vgpr1_vgpr2
                                        ; implicit-def: $vgpr9_vgpr10
	scratch_load_b128 v[5:8], v50, off
	s_wait_loadcnt 0x0
	v_cmp_ngt_f64_e64 s1, |v[5:6]|, |v[7:8]|
	s_wait_alu 0xfffe
	s_and_saveexec_b32 s26, s1
	s_delay_alu instid0(SALU_CYCLE_1)
	s_xor_b32 s1, exec_lo, s26
	s_cbranch_execz .LBB81_15
; %bb.14:
	v_div_scale_f64 v[1:2], null, v[7:8], v[7:8], v[5:6]
	v_div_scale_f64 v[11:12], vcc_lo, v[5:6], v[7:8], v[5:6]
	s_delay_alu instid0(VALU_DEP_2) | instskip(NEXT) | instid1(TRANS32_DEP_1)
	v_rcp_f64_e32 v[3:4], v[1:2]
	v_fma_f64 v[9:10], -v[1:2], v[3:4], 1.0
	s_delay_alu instid0(VALU_DEP_1) | instskip(NEXT) | instid1(VALU_DEP_1)
	v_fma_f64 v[3:4], v[3:4], v[9:10], v[3:4]
	v_fma_f64 v[9:10], -v[1:2], v[3:4], 1.0
	s_delay_alu instid0(VALU_DEP_1) | instskip(NEXT) | instid1(VALU_DEP_1)
	v_fma_f64 v[3:4], v[3:4], v[9:10], v[3:4]
	v_mul_f64_e32 v[9:10], v[11:12], v[3:4]
	s_delay_alu instid0(VALU_DEP_1) | instskip(SKIP_1) | instid1(VALU_DEP_1)
	v_fma_f64 v[1:2], -v[1:2], v[9:10], v[11:12]
	s_wait_alu 0xfffd
	v_div_fmas_f64 v[1:2], v[1:2], v[3:4], v[9:10]
	s_delay_alu instid0(VALU_DEP_1) | instskip(NEXT) | instid1(VALU_DEP_1)
	v_div_fixup_f64 v[1:2], v[1:2], v[7:8], v[5:6]
	v_fma_f64 v[3:4], v[5:6], v[1:2], v[7:8]
	s_delay_alu instid0(VALU_DEP_1) | instskip(SKIP_1) | instid1(VALU_DEP_2)
	v_div_scale_f64 v[5:6], null, v[3:4], v[3:4], 1.0
	v_div_scale_f64 v[11:12], vcc_lo, 1.0, v[3:4], 1.0
	v_rcp_f64_e32 v[7:8], v[5:6]
	s_delay_alu instid0(TRANS32_DEP_1) | instskip(NEXT) | instid1(VALU_DEP_1)
	v_fma_f64 v[9:10], -v[5:6], v[7:8], 1.0
	v_fma_f64 v[7:8], v[7:8], v[9:10], v[7:8]
	s_delay_alu instid0(VALU_DEP_1) | instskip(NEXT) | instid1(VALU_DEP_1)
	v_fma_f64 v[9:10], -v[5:6], v[7:8], 1.0
	v_fma_f64 v[7:8], v[7:8], v[9:10], v[7:8]
	s_delay_alu instid0(VALU_DEP_1) | instskip(NEXT) | instid1(VALU_DEP_1)
	v_mul_f64_e32 v[9:10], v[11:12], v[7:8]
	v_fma_f64 v[5:6], -v[5:6], v[9:10], v[11:12]
	s_wait_alu 0xfffd
	s_delay_alu instid0(VALU_DEP_1) | instskip(NEXT) | instid1(VALU_DEP_1)
	v_div_fmas_f64 v[5:6], v[5:6], v[7:8], v[9:10]
	v_div_fixup_f64 v[3:4], v[5:6], v[3:4], 1.0
                                        ; implicit-def: $vgpr5_vgpr6
	s_delay_alu instid0(VALU_DEP_1) | instskip(SKIP_1) | instid1(VALU_DEP_2)
	v_mul_f64_e32 v[1:2], v[1:2], v[3:4]
	v_xor_b32_e32 v4, 0x80000000, v4
	v_xor_b32_e32 v10, 0x80000000, v2
	s_delay_alu instid0(VALU_DEP_3)
	v_mov_b32_e32 v9, v1
.LBB81_15:
	s_wait_alu 0xfffe
	s_and_not1_saveexec_b32 s1, s1
	s_cbranch_execz .LBB81_17
; %bb.16:
	v_div_scale_f64 v[1:2], null, v[5:6], v[5:6], v[7:8]
	v_div_scale_f64 v[11:12], vcc_lo, v[7:8], v[5:6], v[7:8]
	s_delay_alu instid0(VALU_DEP_2) | instskip(NEXT) | instid1(TRANS32_DEP_1)
	v_rcp_f64_e32 v[3:4], v[1:2]
	v_fma_f64 v[9:10], -v[1:2], v[3:4], 1.0
	s_delay_alu instid0(VALU_DEP_1) | instskip(NEXT) | instid1(VALU_DEP_1)
	v_fma_f64 v[3:4], v[3:4], v[9:10], v[3:4]
	v_fma_f64 v[9:10], -v[1:2], v[3:4], 1.0
	s_delay_alu instid0(VALU_DEP_1) | instskip(NEXT) | instid1(VALU_DEP_1)
	v_fma_f64 v[3:4], v[3:4], v[9:10], v[3:4]
	v_mul_f64_e32 v[9:10], v[11:12], v[3:4]
	s_delay_alu instid0(VALU_DEP_1) | instskip(SKIP_1) | instid1(VALU_DEP_1)
	v_fma_f64 v[1:2], -v[1:2], v[9:10], v[11:12]
	s_wait_alu 0xfffd
	v_div_fmas_f64 v[1:2], v[1:2], v[3:4], v[9:10]
	s_delay_alu instid0(VALU_DEP_1) | instskip(NEXT) | instid1(VALU_DEP_1)
	v_div_fixup_f64 v[3:4], v[1:2], v[5:6], v[7:8]
	v_fma_f64 v[1:2], v[7:8], v[3:4], v[5:6]
	s_delay_alu instid0(VALU_DEP_1) | instskip(NEXT) | instid1(VALU_DEP_1)
	v_div_scale_f64 v[5:6], null, v[1:2], v[1:2], 1.0
	v_rcp_f64_e32 v[7:8], v[5:6]
	s_delay_alu instid0(TRANS32_DEP_1) | instskip(NEXT) | instid1(VALU_DEP_1)
	v_fma_f64 v[9:10], -v[5:6], v[7:8], 1.0
	v_fma_f64 v[7:8], v[7:8], v[9:10], v[7:8]
	s_delay_alu instid0(VALU_DEP_1) | instskip(NEXT) | instid1(VALU_DEP_1)
	v_fma_f64 v[9:10], -v[5:6], v[7:8], 1.0
	v_fma_f64 v[7:8], v[7:8], v[9:10], v[7:8]
	v_div_scale_f64 v[9:10], vcc_lo, 1.0, v[1:2], 1.0
	s_delay_alu instid0(VALU_DEP_1) | instskip(NEXT) | instid1(VALU_DEP_1)
	v_mul_f64_e32 v[11:12], v[9:10], v[7:8]
	v_fma_f64 v[5:6], -v[5:6], v[11:12], v[9:10]
	s_wait_alu 0xfffd
	s_delay_alu instid0(VALU_DEP_1) | instskip(NEXT) | instid1(VALU_DEP_1)
	v_div_fmas_f64 v[5:6], v[5:6], v[7:8], v[11:12]
	v_div_fixup_f64 v[1:2], v[5:6], v[1:2], 1.0
	s_delay_alu instid0(VALU_DEP_1)
	v_mul_f64_e64 v[3:4], v[3:4], -v[1:2]
	v_xor_b32_e32 v10, 0x80000000, v2
	v_mov_b32_e32 v9, v1
.LBB81_17:
	s_wait_alu 0xfffe
	s_or_b32 exec_lo, exec_lo, s1
	scratch_store_b128 v50, v[1:4], off
	scratch_load_b128 v[51:54], off, s25
	v_xor_b32_e32 v12, 0x80000000, v4
	v_mov_b32_e32 v11, v3
	v_add_nc_u32_e32 v5, 0x120, v49
	ds_store_b128 v49, v[9:12]
	s_wait_loadcnt 0x0
	ds_store_b128 v49, v[51:54] offset:288
	s_wait_storecnt_dscnt 0x0
	s_barrier_signal -1
	s_barrier_wait -1
	global_inv scope:SCOPE_SE
	s_and_saveexec_b32 s1, s0
	s_cbranch_execz .LBB81_19
; %bb.18:
	scratch_load_b128 v[1:4], v50, off
	ds_load_b128 v[6:9], v5
	v_mov_b32_e32 v10, 0
	ds_load_b128 v[51:54], v10 offset:16
	s_wait_loadcnt_dscnt 0x1
	v_mul_f64_e32 v[10:11], v[6:7], v[3:4]
	v_mul_f64_e32 v[3:4], v[8:9], v[3:4]
	s_delay_alu instid0(VALU_DEP_2) | instskip(NEXT) | instid1(VALU_DEP_2)
	v_fma_f64 v[8:9], v[8:9], v[1:2], v[10:11]
	v_fma_f64 v[1:2], v[6:7], v[1:2], -v[3:4]
	s_delay_alu instid0(VALU_DEP_2) | instskip(NEXT) | instid1(VALU_DEP_2)
	v_add_f64_e32 v[3:4], 0, v[8:9]
	v_add_f64_e32 v[1:2], 0, v[1:2]
	s_wait_dscnt 0x0
	s_delay_alu instid0(VALU_DEP_2) | instskip(NEXT) | instid1(VALU_DEP_2)
	v_mul_f64_e32 v[6:7], v[3:4], v[53:54]
	v_mul_f64_e32 v[8:9], v[1:2], v[53:54]
	s_delay_alu instid0(VALU_DEP_2) | instskip(NEXT) | instid1(VALU_DEP_2)
	v_fma_f64 v[1:2], v[1:2], v[51:52], -v[6:7]
	v_fma_f64 v[3:4], v[3:4], v[51:52], v[8:9]
	scratch_store_b128 off, v[1:4], off offset:32
.LBB81_19:
	s_wait_alu 0xfffe
	s_or_b32 exec_lo, exec_lo, s1
	s_wait_loadcnt 0x0
	s_wait_storecnt 0x0
	s_barrier_signal -1
	s_barrier_wait -1
	global_inv scope:SCOPE_SE
	scratch_load_b128 v[1:4], off, s24
	s_mov_b32 s1, exec_lo
	s_wait_loadcnt 0x0
	ds_store_b128 v5, v[1:4]
	s_wait_dscnt 0x0
	s_barrier_signal -1
	s_barrier_wait -1
	global_inv scope:SCOPE_SE
	v_cmpx_gt_u32_e32 2, v0
	s_cbranch_execz .LBB81_23
; %bb.20:
	scratch_load_b128 v[1:4], v50, off
	ds_load_b128 v[6:9], v5
	s_wait_loadcnt_dscnt 0x0
	v_mul_f64_e32 v[10:11], v[8:9], v[3:4]
	v_mul_f64_e32 v[3:4], v[6:7], v[3:4]
	s_delay_alu instid0(VALU_DEP_2) | instskip(NEXT) | instid1(VALU_DEP_2)
	v_fma_f64 v[6:7], v[6:7], v[1:2], -v[10:11]
	v_fma_f64 v[3:4], v[8:9], v[1:2], v[3:4]
	s_delay_alu instid0(VALU_DEP_2) | instskip(NEXT) | instid1(VALU_DEP_2)
	v_add_f64_e32 v[1:2], 0, v[6:7]
	v_add_f64_e32 v[3:4], 0, v[3:4]
	s_and_saveexec_b32 s26, s0
	s_cbranch_execz .LBB81_22
; %bb.21:
	scratch_load_b128 v[6:9], off, off offset:32
	v_mov_b32_e32 v10, 0
	ds_load_b128 v[51:54], v10 offset:304
	s_wait_loadcnt_dscnt 0x0
	v_mul_f64_e32 v[10:11], v[51:52], v[8:9]
	v_mul_f64_e32 v[8:9], v[53:54], v[8:9]
	s_delay_alu instid0(VALU_DEP_2) | instskip(NEXT) | instid1(VALU_DEP_2)
	v_fma_f64 v[10:11], v[53:54], v[6:7], v[10:11]
	v_fma_f64 v[6:7], v[51:52], v[6:7], -v[8:9]
	s_delay_alu instid0(VALU_DEP_2) | instskip(NEXT) | instid1(VALU_DEP_2)
	v_add_f64_e32 v[3:4], v[3:4], v[10:11]
	v_add_f64_e32 v[1:2], v[1:2], v[6:7]
.LBB81_22:
	s_or_b32 exec_lo, exec_lo, s26
	v_mov_b32_e32 v6, 0
	ds_load_b128 v[6:9], v6 offset:32
	s_wait_dscnt 0x0
	v_mul_f64_e32 v[10:11], v[3:4], v[8:9]
	v_mul_f64_e32 v[8:9], v[1:2], v[8:9]
	s_delay_alu instid0(VALU_DEP_2) | instskip(NEXT) | instid1(VALU_DEP_2)
	v_fma_f64 v[1:2], v[1:2], v[6:7], -v[10:11]
	v_fma_f64 v[3:4], v[3:4], v[6:7], v[8:9]
	scratch_store_b128 off, v[1:4], off offset:48
.LBB81_23:
	s_wait_alu 0xfffe
	s_or_b32 exec_lo, exec_lo, s1
	s_wait_loadcnt 0x0
	s_wait_storecnt 0x0
	s_barrier_signal -1
	s_barrier_wait -1
	global_inv scope:SCOPE_SE
	scratch_load_b128 v[1:4], off, s16
	v_add_nc_u32_e32 v6, -1, v0
	s_mov_b32 s0, exec_lo
	s_wait_loadcnt 0x0
	ds_store_b128 v5, v[1:4]
	s_wait_dscnt 0x0
	s_barrier_signal -1
	s_barrier_wait -1
	global_inv scope:SCOPE_SE
	v_cmpx_gt_u32_e32 3, v0
	s_cbranch_execz .LBB81_27
; %bb.24:
	v_dual_mov_b32 v1, 0 :: v_dual_add_nc_u32 v8, 0x120, v49
	v_mov_b32_e32 v3, 0
	v_dual_mov_b32 v2, 0 :: v_dual_add_nc_u32 v7, -1, v0
	v_mov_b32_e32 v4, 0
	v_or_b32_e32 v9, 8, v50
	s_mov_b32 s1, 0
.LBB81_25:                              ; =>This Inner Loop Header: Depth=1
	scratch_load_b128 v[51:54], v9, off offset:-8
	ds_load_b128 v[55:58], v8
	v_add_nc_u32_e32 v7, 1, v7
	v_add_nc_u32_e32 v8, 16, v8
	v_add_nc_u32_e32 v9, 16, v9
	s_delay_alu instid0(VALU_DEP_3)
	v_cmp_lt_u32_e32 vcc_lo, 1, v7
	s_wait_alu 0xfffe
	s_or_b32 s1, vcc_lo, s1
	s_wait_loadcnt_dscnt 0x0
	v_mul_f64_e32 v[10:11], v[57:58], v[53:54]
	v_mul_f64_e32 v[53:54], v[55:56], v[53:54]
	s_delay_alu instid0(VALU_DEP_2) | instskip(NEXT) | instid1(VALU_DEP_2)
	v_fma_f64 v[10:11], v[55:56], v[51:52], -v[10:11]
	v_fma_f64 v[51:52], v[57:58], v[51:52], v[53:54]
	s_delay_alu instid0(VALU_DEP_2) | instskip(NEXT) | instid1(VALU_DEP_2)
	v_add_f64_e32 v[3:4], v[3:4], v[10:11]
	v_add_f64_e32 v[1:2], v[1:2], v[51:52]
	s_wait_alu 0xfffe
	s_and_not1_b32 exec_lo, exec_lo, s1
	s_cbranch_execnz .LBB81_25
; %bb.26:
	s_or_b32 exec_lo, exec_lo, s1
	v_mov_b32_e32 v7, 0
	ds_load_b128 v[7:10], v7 offset:48
	s_wait_dscnt 0x0
	v_mul_f64_e32 v[11:12], v[1:2], v[9:10]
	v_mul_f64_e32 v[51:52], v[3:4], v[9:10]
	s_delay_alu instid0(VALU_DEP_2) | instskip(NEXT) | instid1(VALU_DEP_2)
	v_fma_f64 v[9:10], v[3:4], v[7:8], -v[11:12]
	v_fma_f64 v[11:12], v[1:2], v[7:8], v[51:52]
	scratch_store_b128 off, v[9:12], off offset:64
.LBB81_27:
	s_wait_alu 0xfffe
	s_or_b32 exec_lo, exec_lo, s0
	s_wait_loadcnt 0x0
	s_wait_storecnt 0x0
	s_barrier_signal -1
	s_barrier_wait -1
	global_inv scope:SCOPE_SE
	scratch_load_b128 v[1:4], off, s17
	s_mov_b32 s0, exec_lo
	s_wait_loadcnt 0x0
	ds_store_b128 v5, v[1:4]
	s_wait_dscnt 0x0
	s_barrier_signal -1
	s_barrier_wait -1
	global_inv scope:SCOPE_SE
	v_cmpx_gt_u32_e32 4, v0
	s_cbranch_execz .LBB81_31
; %bb.28:
	v_dual_mov_b32 v1, 0 :: v_dual_add_nc_u32 v8, 0x120, v49
	v_mov_b32_e32 v3, 0
	v_dual_mov_b32 v2, 0 :: v_dual_add_nc_u32 v7, -1, v0
	v_mov_b32_e32 v4, 0
	v_or_b32_e32 v9, 8, v50
	s_mov_b32 s1, 0
.LBB81_29:                              ; =>This Inner Loop Header: Depth=1
	scratch_load_b128 v[51:54], v9, off offset:-8
	ds_load_b128 v[55:58], v8
	v_add_nc_u32_e32 v7, 1, v7
	v_add_nc_u32_e32 v8, 16, v8
	v_add_nc_u32_e32 v9, 16, v9
	s_delay_alu instid0(VALU_DEP_3)
	v_cmp_lt_u32_e32 vcc_lo, 2, v7
	s_wait_alu 0xfffe
	s_or_b32 s1, vcc_lo, s1
	s_wait_loadcnt_dscnt 0x0
	v_mul_f64_e32 v[10:11], v[57:58], v[53:54]
	v_mul_f64_e32 v[53:54], v[55:56], v[53:54]
	s_delay_alu instid0(VALU_DEP_2) | instskip(NEXT) | instid1(VALU_DEP_2)
	v_fma_f64 v[10:11], v[55:56], v[51:52], -v[10:11]
	v_fma_f64 v[51:52], v[57:58], v[51:52], v[53:54]
	s_delay_alu instid0(VALU_DEP_2) | instskip(NEXT) | instid1(VALU_DEP_2)
	v_add_f64_e32 v[3:4], v[3:4], v[10:11]
	v_add_f64_e32 v[1:2], v[1:2], v[51:52]
	s_wait_alu 0xfffe
	s_and_not1_b32 exec_lo, exec_lo, s1
	s_cbranch_execnz .LBB81_29
; %bb.30:
	s_or_b32 exec_lo, exec_lo, s1
	v_mov_b32_e32 v7, 0
	ds_load_b128 v[7:10], v7 offset:64
	s_wait_dscnt 0x0
	v_mul_f64_e32 v[11:12], v[1:2], v[9:10]
	v_mul_f64_e32 v[51:52], v[3:4], v[9:10]
	s_delay_alu instid0(VALU_DEP_2) | instskip(NEXT) | instid1(VALU_DEP_2)
	v_fma_f64 v[9:10], v[3:4], v[7:8], -v[11:12]
	v_fma_f64 v[11:12], v[1:2], v[7:8], v[51:52]
	scratch_store_b128 off, v[9:12], off offset:80
.LBB81_31:
	s_wait_alu 0xfffe
	s_or_b32 exec_lo, exec_lo, s0
	s_wait_loadcnt 0x0
	s_wait_storecnt 0x0
	s_barrier_signal -1
	s_barrier_wait -1
	global_inv scope:SCOPE_SE
	scratch_load_b128 v[1:4], off, s4
	;; [unrolled: 58-line block ×14, first 2 shown]
	s_mov_b32 s0, exec_lo
	s_wait_loadcnt 0x0
	ds_store_b128 v5, v[1:4]
	s_wait_dscnt 0x0
	s_barrier_signal -1
	s_barrier_wait -1
	global_inv scope:SCOPE_SE
	v_cmpx_ne_u32_e32 17, v0
	s_cbranch_execz .LBB81_83
; %bb.80:
	v_mov_b32_e32 v1, 0
	v_dual_mov_b32 v2, 0 :: v_dual_mov_b32 v3, 0
	v_mov_b32_e32 v4, 0
	v_or_b32_e32 v7, 8, v50
	s_mov_b32 s1, 0
.LBB81_81:                              ; =>This Inner Loop Header: Depth=1
	scratch_load_b128 v[8:11], v7, off offset:-8
	ds_load_b128 v[49:52], v5
	v_add_nc_u32_e32 v6, 1, v6
	v_add_nc_u32_e32 v5, 16, v5
	;; [unrolled: 1-line block ×3, first 2 shown]
	s_delay_alu instid0(VALU_DEP_3)
	v_cmp_lt_u32_e32 vcc_lo, 15, v6
	s_wait_alu 0xfffe
	s_or_b32 s1, vcc_lo, s1
	s_wait_loadcnt_dscnt 0x0
	v_mul_f64_e32 v[53:54], v[51:52], v[10:11]
	v_mul_f64_e32 v[10:11], v[49:50], v[10:11]
	s_delay_alu instid0(VALU_DEP_2) | instskip(NEXT) | instid1(VALU_DEP_2)
	v_fma_f64 v[49:50], v[49:50], v[8:9], -v[53:54]
	v_fma_f64 v[8:9], v[51:52], v[8:9], v[10:11]
	s_delay_alu instid0(VALU_DEP_2) | instskip(NEXT) | instid1(VALU_DEP_2)
	v_add_f64_e32 v[3:4], v[3:4], v[49:50]
	v_add_f64_e32 v[1:2], v[1:2], v[8:9]
	s_wait_alu 0xfffe
	s_and_not1_b32 exec_lo, exec_lo, s1
	s_cbranch_execnz .LBB81_81
; %bb.82:
	s_or_b32 exec_lo, exec_lo, s1
	v_mov_b32_e32 v5, 0
	ds_load_b128 v[5:8], v5 offset:272
	s_wait_dscnt 0x0
	v_mul_f64_e32 v[9:10], v[1:2], v[7:8]
	v_mul_f64_e32 v[7:8], v[3:4], v[7:8]
	s_delay_alu instid0(VALU_DEP_2) | instskip(NEXT) | instid1(VALU_DEP_2)
	v_fma_f64 v[3:4], v[3:4], v[5:6], -v[9:10]
	v_fma_f64 v[5:6], v[1:2], v[5:6], v[7:8]
	scratch_store_b128 off, v[3:6], off offset:288
.LBB81_83:
	s_wait_alu 0xfffe
	s_or_b32 exec_lo, exec_lo, s0
	s_mov_b32 s1, -1
	s_wait_loadcnt 0x0
	s_wait_storecnt 0x0
	s_barrier_signal -1
	s_barrier_wait -1
	global_inv scope:SCOPE_SE
.LBB81_84:
	s_wait_alu 0xfffe
	s_and_b32 vcc_lo, exec_lo, s1
	s_wait_alu 0xfffe
	s_cbranch_vccz .LBB81_86
; %bb.85:
	v_mov_b32_e32 v1, 0
	s_lshl_b64 s[0:1], s[8:9], 2
	s_wait_alu 0xfffe
	s_add_nc_u64 s[0:1], s[6:7], s[0:1]
	global_load_b32 v1, v1, s[0:1]
	s_wait_loadcnt 0x0
	v_cmp_ne_u32_e32 vcc_lo, 0, v1
	s_cbranch_vccz .LBB81_87
.LBB81_86:
	s_nop 0
	s_sendmsg sendmsg(MSG_DEALLOC_VGPRS)
	s_endpgm
.LBB81_87:
	v_lshl_add_u32 v5, v0, 4, 0x120
	s_mov_b32 s0, exec_lo
	v_cmpx_eq_u32_e32 17, v0
	s_cbranch_execz .LBB81_89
; %bb.88:
	scratch_load_b128 v[1:4], off, s23
	v_mov_b32_e32 v6, 0
	s_delay_alu instid0(VALU_DEP_1)
	v_dual_mov_b32 v7, v6 :: v_dual_mov_b32 v8, v6
	v_mov_b32_e32 v9, v6
	scratch_store_b128 off, v[6:9], off offset:272
	s_wait_loadcnt 0x0
	ds_store_b128 v5, v[1:4]
.LBB81_89:
	s_wait_alu 0xfffe
	s_or_b32 exec_lo, exec_lo, s0
	s_wait_storecnt_dscnt 0x0
	s_barrier_signal -1
	s_barrier_wait -1
	global_inv scope:SCOPE_SE
	s_clause 0x1
	scratch_load_b128 v[6:9], off, off offset:288
	scratch_load_b128 v[49:52], off, off offset:272
	v_mov_b32_e32 v1, 0
	s_mov_b32 s0, exec_lo
	ds_load_b128 v[53:56], v1 offset:560
	s_wait_loadcnt_dscnt 0x100
	v_mul_f64_e32 v[2:3], v[55:56], v[8:9]
	v_mul_f64_e32 v[8:9], v[53:54], v[8:9]
	s_delay_alu instid0(VALU_DEP_2) | instskip(NEXT) | instid1(VALU_DEP_2)
	v_fma_f64 v[2:3], v[53:54], v[6:7], -v[2:3]
	v_fma_f64 v[6:7], v[55:56], v[6:7], v[8:9]
	s_delay_alu instid0(VALU_DEP_2) | instskip(NEXT) | instid1(VALU_DEP_2)
	v_add_f64_e32 v[2:3], 0, v[2:3]
	v_add_f64_e32 v[8:9], 0, v[6:7]
	s_wait_loadcnt 0x0
	s_delay_alu instid0(VALU_DEP_2) | instskip(NEXT) | instid1(VALU_DEP_2)
	v_add_f64_e64 v[6:7], v[49:50], -v[2:3]
	v_add_f64_e64 v[8:9], v[51:52], -v[8:9]
	scratch_store_b128 off, v[6:9], off offset:272
	v_cmpx_lt_u32_e32 15, v0
	s_cbranch_execz .LBB81_91
; %bb.90:
	scratch_load_b128 v[6:9], off, s14
	v_dual_mov_b32 v2, v1 :: v_dual_mov_b32 v3, v1
	v_mov_b32_e32 v4, v1
	scratch_store_b128 off, v[1:4], off offset:256
	s_wait_loadcnt 0x0
	ds_store_b128 v5, v[6:9]
.LBB81_91:
	s_wait_alu 0xfffe
	s_or_b32 exec_lo, exec_lo, s0
	s_wait_storecnt_dscnt 0x0
	s_barrier_signal -1
	s_barrier_wait -1
	global_inv scope:SCOPE_SE
	s_clause 0x2
	scratch_load_b128 v[6:9], off, off offset:272
	scratch_load_b128 v[49:52], off, off offset:288
	scratch_load_b128 v[53:56], off, off offset:256
	ds_load_b128 v[57:60], v1 offset:544
	ds_load_b128 v[1:4], v1 offset:560
	s_mov_b32 s0, exec_lo
	s_wait_loadcnt_dscnt 0x201
	v_mul_f64_e32 v[10:11], v[59:60], v[8:9]
	v_mul_f64_e32 v[8:9], v[57:58], v[8:9]
	s_wait_loadcnt_dscnt 0x100
	v_mul_f64_e32 v[61:62], v[1:2], v[51:52]
	v_mul_f64_e32 v[51:52], v[3:4], v[51:52]
	s_delay_alu instid0(VALU_DEP_4) | instskip(NEXT) | instid1(VALU_DEP_4)
	v_fma_f64 v[10:11], v[57:58], v[6:7], -v[10:11]
	v_fma_f64 v[6:7], v[59:60], v[6:7], v[8:9]
	s_delay_alu instid0(VALU_DEP_4) | instskip(NEXT) | instid1(VALU_DEP_4)
	v_fma_f64 v[3:4], v[3:4], v[49:50], v[61:62]
	v_fma_f64 v[1:2], v[1:2], v[49:50], -v[51:52]
	s_delay_alu instid0(VALU_DEP_4) | instskip(NEXT) | instid1(VALU_DEP_4)
	v_add_f64_e32 v[8:9], 0, v[10:11]
	v_add_f64_e32 v[6:7], 0, v[6:7]
	s_delay_alu instid0(VALU_DEP_2) | instskip(NEXT) | instid1(VALU_DEP_2)
	v_add_f64_e32 v[1:2], v[8:9], v[1:2]
	v_add_f64_e32 v[3:4], v[6:7], v[3:4]
	s_wait_loadcnt 0x0
	s_delay_alu instid0(VALU_DEP_2) | instskip(NEXT) | instid1(VALU_DEP_2)
	v_add_f64_e64 v[1:2], v[53:54], -v[1:2]
	v_add_f64_e64 v[3:4], v[55:56], -v[3:4]
	scratch_store_b128 off, v[1:4], off offset:256
	v_cmpx_lt_u32_e32 14, v0
	s_cbranch_execz .LBB81_93
; %bb.92:
	scratch_load_b128 v[1:4], off, s22
	v_mov_b32_e32 v6, 0
	s_delay_alu instid0(VALU_DEP_1)
	v_dual_mov_b32 v7, v6 :: v_dual_mov_b32 v8, v6
	v_mov_b32_e32 v9, v6
	scratch_store_b128 off, v[6:9], off offset:240
	s_wait_loadcnt 0x0
	ds_store_b128 v5, v[1:4]
.LBB81_93:
	s_wait_alu 0xfffe
	s_or_b32 exec_lo, exec_lo, s0
	s_wait_storecnt_dscnt 0x0
	s_barrier_signal -1
	s_barrier_wait -1
	global_inv scope:SCOPE_SE
	s_clause 0x3
	scratch_load_b128 v[6:9], off, off offset:256
	scratch_load_b128 v[49:52], off, off offset:272
	;; [unrolled: 1-line block ×4, first 2 shown]
	v_mov_b32_e32 v1, 0
	ds_load_b128 v[61:64], v1 offset:528
	ds_load_b128 v[65:68], v1 offset:544
	s_mov_b32 s0, exec_lo
	s_wait_loadcnt_dscnt 0x301
	v_mul_f64_e32 v[2:3], v[63:64], v[8:9]
	v_mul_f64_e32 v[8:9], v[61:62], v[8:9]
	s_wait_loadcnt_dscnt 0x200
	v_mul_f64_e32 v[10:11], v[65:66], v[51:52]
	v_mul_f64_e32 v[51:52], v[67:68], v[51:52]
	s_delay_alu instid0(VALU_DEP_4) | instskip(NEXT) | instid1(VALU_DEP_4)
	v_fma_f64 v[2:3], v[61:62], v[6:7], -v[2:3]
	v_fma_f64 v[61:62], v[63:64], v[6:7], v[8:9]
	ds_load_b128 v[6:9], v1 offset:560
	v_fma_f64 v[10:11], v[67:68], v[49:50], v[10:11]
	v_fma_f64 v[49:50], v[65:66], v[49:50], -v[51:52]
	s_wait_loadcnt_dscnt 0x100
	v_mul_f64_e32 v[63:64], v[6:7], v[55:56]
	v_mul_f64_e32 v[55:56], v[8:9], v[55:56]
	v_add_f64_e32 v[2:3], 0, v[2:3]
	v_add_f64_e32 v[51:52], 0, v[61:62]
	s_delay_alu instid0(VALU_DEP_4) | instskip(NEXT) | instid1(VALU_DEP_4)
	v_fma_f64 v[8:9], v[8:9], v[53:54], v[63:64]
	v_fma_f64 v[6:7], v[6:7], v[53:54], -v[55:56]
	s_delay_alu instid0(VALU_DEP_4) | instskip(NEXT) | instid1(VALU_DEP_4)
	v_add_f64_e32 v[2:3], v[2:3], v[49:50]
	v_add_f64_e32 v[10:11], v[51:52], v[10:11]
	s_delay_alu instid0(VALU_DEP_2) | instskip(NEXT) | instid1(VALU_DEP_2)
	v_add_f64_e32 v[2:3], v[2:3], v[6:7]
	v_add_f64_e32 v[8:9], v[10:11], v[8:9]
	s_wait_loadcnt 0x0
	s_delay_alu instid0(VALU_DEP_2) | instskip(NEXT) | instid1(VALU_DEP_2)
	v_add_f64_e64 v[6:7], v[57:58], -v[2:3]
	v_add_f64_e64 v[8:9], v[59:60], -v[8:9]
	scratch_store_b128 off, v[6:9], off offset:240
	v_cmpx_lt_u32_e32 13, v0
	s_cbranch_execz .LBB81_95
; %bb.94:
	scratch_load_b128 v[6:9], off, s13
	v_dual_mov_b32 v2, v1 :: v_dual_mov_b32 v3, v1
	v_mov_b32_e32 v4, v1
	scratch_store_b128 off, v[1:4], off offset:224
	s_wait_loadcnt 0x0
	ds_store_b128 v5, v[6:9]
.LBB81_95:
	s_wait_alu 0xfffe
	s_or_b32 exec_lo, exec_lo, s0
	s_wait_storecnt_dscnt 0x0
	s_barrier_signal -1
	s_barrier_wait -1
	global_inv scope:SCOPE_SE
	s_clause 0x4
	scratch_load_b128 v[6:9], off, off offset:240
	scratch_load_b128 v[49:52], off, off offset:256
	;; [unrolled: 1-line block ×5, first 2 shown]
	ds_load_b128 v[65:68], v1 offset:512
	ds_load_b128 v[69:72], v1 offset:528
	s_mov_b32 s0, exec_lo
	s_wait_loadcnt_dscnt 0x401
	v_mul_f64_e32 v[2:3], v[67:68], v[8:9]
	v_mul_f64_e32 v[8:9], v[65:66], v[8:9]
	s_wait_loadcnt_dscnt 0x300
	v_mul_f64_e32 v[10:11], v[69:70], v[51:52]
	v_mul_f64_e32 v[51:52], v[71:72], v[51:52]
	s_delay_alu instid0(VALU_DEP_4) | instskip(NEXT) | instid1(VALU_DEP_4)
	v_fma_f64 v[65:66], v[65:66], v[6:7], -v[2:3]
	v_fma_f64 v[67:68], v[67:68], v[6:7], v[8:9]
	ds_load_b128 v[6:9], v1 offset:544
	ds_load_b128 v[1:4], v1 offset:560
	v_fma_f64 v[10:11], v[71:72], v[49:50], v[10:11]
	v_fma_f64 v[49:50], v[69:70], v[49:50], -v[51:52]
	s_wait_loadcnt_dscnt 0x201
	v_mul_f64_e32 v[73:74], v[6:7], v[55:56]
	v_mul_f64_e32 v[55:56], v[8:9], v[55:56]
	v_add_f64_e32 v[51:52], 0, v[65:66]
	v_add_f64_e32 v[65:66], 0, v[67:68]
	s_wait_loadcnt_dscnt 0x100
	v_mul_f64_e32 v[67:68], v[1:2], v[59:60]
	v_mul_f64_e32 v[59:60], v[3:4], v[59:60]
	v_fma_f64 v[8:9], v[8:9], v[53:54], v[73:74]
	v_fma_f64 v[6:7], v[6:7], v[53:54], -v[55:56]
	v_add_f64_e32 v[49:50], v[51:52], v[49:50]
	v_add_f64_e32 v[10:11], v[65:66], v[10:11]
	v_fma_f64 v[3:4], v[3:4], v[57:58], v[67:68]
	v_fma_f64 v[1:2], v[1:2], v[57:58], -v[59:60]
	s_delay_alu instid0(VALU_DEP_4) | instskip(NEXT) | instid1(VALU_DEP_4)
	v_add_f64_e32 v[6:7], v[49:50], v[6:7]
	v_add_f64_e32 v[8:9], v[10:11], v[8:9]
	s_delay_alu instid0(VALU_DEP_2) | instskip(NEXT) | instid1(VALU_DEP_2)
	v_add_f64_e32 v[1:2], v[6:7], v[1:2]
	v_add_f64_e32 v[3:4], v[8:9], v[3:4]
	s_wait_loadcnt 0x0
	s_delay_alu instid0(VALU_DEP_2) | instskip(NEXT) | instid1(VALU_DEP_2)
	v_add_f64_e64 v[1:2], v[61:62], -v[1:2]
	v_add_f64_e64 v[3:4], v[63:64], -v[3:4]
	scratch_store_b128 off, v[1:4], off offset:224
	v_cmpx_lt_u32_e32 12, v0
	s_cbranch_execz .LBB81_97
; %bb.96:
	scratch_load_b128 v[1:4], off, s21
	v_mov_b32_e32 v6, 0
	s_delay_alu instid0(VALU_DEP_1)
	v_dual_mov_b32 v7, v6 :: v_dual_mov_b32 v8, v6
	v_mov_b32_e32 v9, v6
	scratch_store_b128 off, v[6:9], off offset:208
	s_wait_loadcnt 0x0
	ds_store_b128 v5, v[1:4]
.LBB81_97:
	s_wait_alu 0xfffe
	s_or_b32 exec_lo, exec_lo, s0
	s_wait_storecnt_dscnt 0x0
	s_barrier_signal -1
	s_barrier_wait -1
	global_inv scope:SCOPE_SE
	s_clause 0x5
	scratch_load_b128 v[6:9], off, off offset:224
	scratch_load_b128 v[49:52], off, off offset:240
	;; [unrolled: 1-line block ×6, first 2 shown]
	v_mov_b32_e32 v1, 0
	ds_load_b128 v[69:72], v1 offset:496
	ds_load_b128 v[73:76], v1 offset:512
	s_mov_b32 s0, exec_lo
	s_wait_loadcnt_dscnt 0x501
	v_mul_f64_e32 v[2:3], v[71:72], v[8:9]
	v_mul_f64_e32 v[8:9], v[69:70], v[8:9]
	s_wait_loadcnt_dscnt 0x400
	v_mul_f64_e32 v[10:11], v[73:74], v[51:52]
	v_mul_f64_e32 v[51:52], v[75:76], v[51:52]
	s_delay_alu instid0(VALU_DEP_4) | instskip(NEXT) | instid1(VALU_DEP_4)
	v_fma_f64 v[2:3], v[69:70], v[6:7], -v[2:3]
	v_fma_f64 v[77:78], v[71:72], v[6:7], v[8:9]
	ds_load_b128 v[6:9], v1 offset:528
	ds_load_b128 v[69:72], v1 offset:544
	v_fma_f64 v[10:11], v[75:76], v[49:50], v[10:11]
	v_fma_f64 v[49:50], v[73:74], v[49:50], -v[51:52]
	s_wait_loadcnt_dscnt 0x301
	v_mul_f64_e32 v[79:80], v[6:7], v[55:56]
	v_mul_f64_e32 v[55:56], v[8:9], v[55:56]
	s_wait_loadcnt_dscnt 0x200
	v_mul_f64_e32 v[73:74], v[69:70], v[59:60]
	v_mul_f64_e32 v[59:60], v[71:72], v[59:60]
	v_add_f64_e32 v[2:3], 0, v[2:3]
	v_add_f64_e32 v[51:52], 0, v[77:78]
	v_fma_f64 v[75:76], v[8:9], v[53:54], v[79:80]
	v_fma_f64 v[53:54], v[6:7], v[53:54], -v[55:56]
	ds_load_b128 v[6:9], v1 offset:560
	v_fma_f64 v[55:56], v[71:72], v[57:58], v[73:74]
	v_fma_f64 v[57:58], v[69:70], v[57:58], -v[59:60]
	v_add_f64_e32 v[2:3], v[2:3], v[49:50]
	v_add_f64_e32 v[10:11], v[51:52], v[10:11]
	s_wait_loadcnt_dscnt 0x100
	v_mul_f64_e32 v[49:50], v[6:7], v[63:64]
	v_mul_f64_e32 v[51:52], v[8:9], v[63:64]
	s_delay_alu instid0(VALU_DEP_4) | instskip(NEXT) | instid1(VALU_DEP_4)
	v_add_f64_e32 v[2:3], v[2:3], v[53:54]
	v_add_f64_e32 v[10:11], v[10:11], v[75:76]
	s_delay_alu instid0(VALU_DEP_4) | instskip(NEXT) | instid1(VALU_DEP_4)
	v_fma_f64 v[8:9], v[8:9], v[61:62], v[49:50]
	v_fma_f64 v[6:7], v[6:7], v[61:62], -v[51:52]
	s_delay_alu instid0(VALU_DEP_4) | instskip(NEXT) | instid1(VALU_DEP_4)
	v_add_f64_e32 v[2:3], v[2:3], v[57:58]
	v_add_f64_e32 v[10:11], v[10:11], v[55:56]
	s_delay_alu instid0(VALU_DEP_2) | instskip(NEXT) | instid1(VALU_DEP_2)
	v_add_f64_e32 v[2:3], v[2:3], v[6:7]
	v_add_f64_e32 v[8:9], v[10:11], v[8:9]
	s_wait_loadcnt 0x0
	s_delay_alu instid0(VALU_DEP_2) | instskip(NEXT) | instid1(VALU_DEP_2)
	v_add_f64_e64 v[6:7], v[65:66], -v[2:3]
	v_add_f64_e64 v[8:9], v[67:68], -v[8:9]
	scratch_store_b128 off, v[6:9], off offset:208
	v_cmpx_lt_u32_e32 11, v0
	s_cbranch_execz .LBB81_99
; %bb.98:
	scratch_load_b128 v[6:9], off, s11
	v_dual_mov_b32 v2, v1 :: v_dual_mov_b32 v3, v1
	v_mov_b32_e32 v4, v1
	scratch_store_b128 off, v[1:4], off offset:192
	s_wait_loadcnt 0x0
	ds_store_b128 v5, v[6:9]
.LBB81_99:
	s_wait_alu 0xfffe
	s_or_b32 exec_lo, exec_lo, s0
	s_wait_storecnt_dscnt 0x0
	s_barrier_signal -1
	s_barrier_wait -1
	global_inv scope:SCOPE_SE
	s_clause 0x5
	scratch_load_b128 v[6:9], off, off offset:208
	scratch_load_b128 v[49:52], off, off offset:224
	scratch_load_b128 v[53:56], off, off offset:240
	scratch_load_b128 v[57:60], off, off offset:256
	scratch_load_b128 v[61:64], off, off offset:272
	scratch_load_b128 v[65:68], off, off offset:288
	ds_load_b128 v[69:72], v1 offset:480
	ds_load_b128 v[77:80], v1 offset:496
	scratch_load_b128 v[73:76], off, off offset:192
	s_mov_b32 s0, exec_lo
	s_wait_loadcnt_dscnt 0x601
	v_mul_f64_e32 v[2:3], v[71:72], v[8:9]
	v_mul_f64_e32 v[8:9], v[69:70], v[8:9]
	s_wait_loadcnt_dscnt 0x500
	v_mul_f64_e32 v[10:11], v[77:78], v[51:52]
	v_mul_f64_e32 v[51:52], v[79:80], v[51:52]
	s_delay_alu instid0(VALU_DEP_4) | instskip(NEXT) | instid1(VALU_DEP_4)
	v_fma_f64 v[2:3], v[69:70], v[6:7], -v[2:3]
	v_fma_f64 v[81:82], v[71:72], v[6:7], v[8:9]
	ds_load_b128 v[6:9], v1 offset:512
	ds_load_b128 v[69:72], v1 offset:528
	v_fma_f64 v[10:11], v[79:80], v[49:50], v[10:11]
	v_fma_f64 v[49:50], v[77:78], v[49:50], -v[51:52]
	s_wait_loadcnt_dscnt 0x401
	v_mul_f64_e32 v[83:84], v[6:7], v[55:56]
	v_mul_f64_e32 v[55:56], v[8:9], v[55:56]
	s_wait_loadcnt_dscnt 0x300
	v_mul_f64_e32 v[77:78], v[69:70], v[59:60]
	v_mul_f64_e32 v[59:60], v[71:72], v[59:60]
	v_add_f64_e32 v[2:3], 0, v[2:3]
	v_add_f64_e32 v[51:52], 0, v[81:82]
	v_fma_f64 v[79:80], v[8:9], v[53:54], v[83:84]
	v_fma_f64 v[53:54], v[6:7], v[53:54], -v[55:56]
	s_delay_alu instid0(VALU_DEP_4) | instskip(NEXT) | instid1(VALU_DEP_4)
	v_add_f64_e32 v[49:50], v[2:3], v[49:50]
	v_add_f64_e32 v[10:11], v[51:52], v[10:11]
	ds_load_b128 v[6:9], v1 offset:544
	ds_load_b128 v[1:4], v1 offset:560
	s_wait_loadcnt_dscnt 0x201
	v_mul_f64_e32 v[51:52], v[6:7], v[63:64]
	v_mul_f64_e32 v[55:56], v[8:9], v[63:64]
	v_fma_f64 v[63:64], v[71:72], v[57:58], v[77:78]
	v_fma_f64 v[57:58], v[69:70], v[57:58], -v[59:60]
	s_wait_loadcnt_dscnt 0x100
	v_mul_f64_e32 v[59:60], v[3:4], v[67:68]
	v_add_f64_e32 v[49:50], v[49:50], v[53:54]
	v_add_f64_e32 v[10:11], v[10:11], v[79:80]
	v_mul_f64_e32 v[53:54], v[1:2], v[67:68]
	v_fma_f64 v[8:9], v[8:9], v[61:62], v[51:52]
	v_fma_f64 v[6:7], v[6:7], v[61:62], -v[55:56]
	v_fma_f64 v[1:2], v[1:2], v[65:66], -v[59:60]
	v_add_f64_e32 v[49:50], v[49:50], v[57:58]
	v_add_f64_e32 v[10:11], v[10:11], v[63:64]
	v_fma_f64 v[3:4], v[3:4], v[65:66], v[53:54]
	s_delay_alu instid0(VALU_DEP_3) | instskip(NEXT) | instid1(VALU_DEP_3)
	v_add_f64_e32 v[6:7], v[49:50], v[6:7]
	v_add_f64_e32 v[8:9], v[10:11], v[8:9]
	s_delay_alu instid0(VALU_DEP_2) | instskip(NEXT) | instid1(VALU_DEP_2)
	v_add_f64_e32 v[1:2], v[6:7], v[1:2]
	v_add_f64_e32 v[3:4], v[8:9], v[3:4]
	s_wait_loadcnt 0x0
	s_delay_alu instid0(VALU_DEP_2) | instskip(NEXT) | instid1(VALU_DEP_2)
	v_add_f64_e64 v[1:2], v[73:74], -v[1:2]
	v_add_f64_e64 v[3:4], v[75:76], -v[3:4]
	scratch_store_b128 off, v[1:4], off offset:192
	v_cmpx_lt_u32_e32 10, v0
	s_cbranch_execz .LBB81_101
; %bb.100:
	scratch_load_b128 v[1:4], off, s20
	v_mov_b32_e32 v6, 0
	s_delay_alu instid0(VALU_DEP_1)
	v_dual_mov_b32 v7, v6 :: v_dual_mov_b32 v8, v6
	v_mov_b32_e32 v9, v6
	scratch_store_b128 off, v[6:9], off offset:176
	s_wait_loadcnt 0x0
	ds_store_b128 v5, v[1:4]
.LBB81_101:
	s_wait_alu 0xfffe
	s_or_b32 exec_lo, exec_lo, s0
	s_wait_storecnt_dscnt 0x0
	s_barrier_signal -1
	s_barrier_wait -1
	global_inv scope:SCOPE_SE
	s_clause 0x6
	scratch_load_b128 v[6:9], off, off offset:192
	scratch_load_b128 v[49:52], off, off offset:208
	;; [unrolled: 1-line block ×7, first 2 shown]
	v_mov_b32_e32 v1, 0
	scratch_load_b128 v[77:80], off, off offset:176
	s_mov_b32 s0, exec_lo
	ds_load_b128 v[73:76], v1 offset:464
	ds_load_b128 v[81:84], v1 offset:480
	s_wait_loadcnt_dscnt 0x701
	v_mul_f64_e32 v[2:3], v[75:76], v[8:9]
	v_mul_f64_e32 v[8:9], v[73:74], v[8:9]
	s_wait_loadcnt_dscnt 0x600
	v_mul_f64_e32 v[10:11], v[81:82], v[51:52]
	v_mul_f64_e32 v[51:52], v[83:84], v[51:52]
	s_delay_alu instid0(VALU_DEP_4) | instskip(NEXT) | instid1(VALU_DEP_4)
	v_fma_f64 v[2:3], v[73:74], v[6:7], -v[2:3]
	v_fma_f64 v[85:86], v[75:76], v[6:7], v[8:9]
	ds_load_b128 v[6:9], v1 offset:496
	ds_load_b128 v[73:76], v1 offset:512
	v_fma_f64 v[10:11], v[83:84], v[49:50], v[10:11]
	v_fma_f64 v[49:50], v[81:82], v[49:50], -v[51:52]
	s_wait_loadcnt_dscnt 0x501
	v_mul_f64_e32 v[87:88], v[6:7], v[55:56]
	v_mul_f64_e32 v[55:56], v[8:9], v[55:56]
	s_wait_loadcnt_dscnt 0x400
	v_mul_f64_e32 v[81:82], v[73:74], v[59:60]
	v_mul_f64_e32 v[59:60], v[75:76], v[59:60]
	v_add_f64_e32 v[2:3], 0, v[2:3]
	v_add_f64_e32 v[51:52], 0, v[85:86]
	v_fma_f64 v[83:84], v[8:9], v[53:54], v[87:88]
	v_fma_f64 v[53:54], v[6:7], v[53:54], -v[55:56]
	v_fma_f64 v[75:76], v[75:76], v[57:58], v[81:82]
	v_fma_f64 v[57:58], v[73:74], v[57:58], -v[59:60]
	v_add_f64_e32 v[2:3], v[2:3], v[49:50]
	v_add_f64_e32 v[10:11], v[51:52], v[10:11]
	ds_load_b128 v[6:9], v1 offset:528
	ds_load_b128 v[49:52], v1 offset:544
	s_wait_loadcnt_dscnt 0x301
	v_mul_f64_e32 v[55:56], v[6:7], v[63:64]
	v_mul_f64_e32 v[63:64], v[8:9], v[63:64]
	s_wait_loadcnt_dscnt 0x200
	v_mul_f64_e32 v[59:60], v[51:52], v[67:68]
	v_add_f64_e32 v[2:3], v[2:3], v[53:54]
	v_add_f64_e32 v[10:11], v[10:11], v[83:84]
	v_mul_f64_e32 v[53:54], v[49:50], v[67:68]
	v_fma_f64 v[55:56], v[8:9], v[61:62], v[55:56]
	v_fma_f64 v[61:62], v[6:7], v[61:62], -v[63:64]
	ds_load_b128 v[6:9], v1 offset:560
	v_fma_f64 v[49:50], v[49:50], v[65:66], -v[59:60]
	v_add_f64_e32 v[2:3], v[2:3], v[57:58]
	v_add_f64_e32 v[10:11], v[10:11], v[75:76]
	v_fma_f64 v[51:52], v[51:52], v[65:66], v[53:54]
	s_wait_loadcnt_dscnt 0x100
	v_mul_f64_e32 v[57:58], v[6:7], v[71:72]
	v_mul_f64_e32 v[63:64], v[8:9], v[71:72]
	v_add_f64_e32 v[2:3], v[2:3], v[61:62]
	v_add_f64_e32 v[10:11], v[10:11], v[55:56]
	s_delay_alu instid0(VALU_DEP_4) | instskip(NEXT) | instid1(VALU_DEP_4)
	v_fma_f64 v[8:9], v[8:9], v[69:70], v[57:58]
	v_fma_f64 v[6:7], v[6:7], v[69:70], -v[63:64]
	s_delay_alu instid0(VALU_DEP_4) | instskip(NEXT) | instid1(VALU_DEP_4)
	v_add_f64_e32 v[2:3], v[2:3], v[49:50]
	v_add_f64_e32 v[10:11], v[10:11], v[51:52]
	s_delay_alu instid0(VALU_DEP_2) | instskip(NEXT) | instid1(VALU_DEP_2)
	v_add_f64_e32 v[2:3], v[2:3], v[6:7]
	v_add_f64_e32 v[8:9], v[10:11], v[8:9]
	s_wait_loadcnt 0x0
	s_delay_alu instid0(VALU_DEP_2) | instskip(NEXT) | instid1(VALU_DEP_2)
	v_add_f64_e64 v[6:7], v[77:78], -v[2:3]
	v_add_f64_e64 v[8:9], v[79:80], -v[8:9]
	scratch_store_b128 off, v[6:9], off offset:176
	v_cmpx_lt_u32_e32 9, v0
	s_cbranch_execz .LBB81_103
; %bb.102:
	scratch_load_b128 v[6:9], off, s10
	v_dual_mov_b32 v2, v1 :: v_dual_mov_b32 v3, v1
	v_mov_b32_e32 v4, v1
	scratch_store_b128 off, v[1:4], off offset:160
	s_wait_loadcnt 0x0
	ds_store_b128 v5, v[6:9]
.LBB81_103:
	s_wait_alu 0xfffe
	s_or_b32 exec_lo, exec_lo, s0
	s_wait_storecnt_dscnt 0x0
	s_barrier_signal -1
	s_barrier_wait -1
	global_inv scope:SCOPE_SE
	s_clause 0x7
	scratch_load_b128 v[6:9], off, off offset:176
	scratch_load_b128 v[49:52], off, off offset:192
	;; [unrolled: 1-line block ×8, first 2 shown]
	ds_load_b128 v[77:80], v1 offset:448
	ds_load_b128 v[81:84], v1 offset:464
	scratch_load_b128 v[85:88], off, off offset:160
	s_mov_b32 s0, exec_lo
	s_wait_loadcnt_dscnt 0x801
	v_mul_f64_e32 v[2:3], v[79:80], v[8:9]
	v_mul_f64_e32 v[8:9], v[77:78], v[8:9]
	s_wait_loadcnt_dscnt 0x700
	v_mul_f64_e32 v[10:11], v[81:82], v[51:52]
	v_mul_f64_e32 v[51:52], v[83:84], v[51:52]
	s_delay_alu instid0(VALU_DEP_4) | instskip(NEXT) | instid1(VALU_DEP_4)
	v_fma_f64 v[2:3], v[77:78], v[6:7], -v[2:3]
	v_fma_f64 v[89:90], v[79:80], v[6:7], v[8:9]
	ds_load_b128 v[6:9], v1 offset:480
	ds_load_b128 v[77:80], v1 offset:496
	v_fma_f64 v[10:11], v[83:84], v[49:50], v[10:11]
	v_fma_f64 v[49:50], v[81:82], v[49:50], -v[51:52]
	s_wait_loadcnt_dscnt 0x601
	v_mul_f64_e32 v[91:92], v[6:7], v[55:56]
	v_mul_f64_e32 v[55:56], v[8:9], v[55:56]
	s_wait_loadcnt_dscnt 0x500
	v_mul_f64_e32 v[81:82], v[77:78], v[59:60]
	v_mul_f64_e32 v[59:60], v[79:80], v[59:60]
	v_add_f64_e32 v[2:3], 0, v[2:3]
	v_add_f64_e32 v[51:52], 0, v[89:90]
	v_fma_f64 v[83:84], v[8:9], v[53:54], v[91:92]
	v_fma_f64 v[53:54], v[6:7], v[53:54], -v[55:56]
	v_fma_f64 v[79:80], v[79:80], v[57:58], v[81:82]
	v_fma_f64 v[57:58], v[77:78], v[57:58], -v[59:60]
	v_add_f64_e32 v[2:3], v[2:3], v[49:50]
	v_add_f64_e32 v[10:11], v[51:52], v[10:11]
	ds_load_b128 v[6:9], v1 offset:512
	ds_load_b128 v[49:52], v1 offset:528
	s_wait_loadcnt_dscnt 0x401
	v_mul_f64_e32 v[55:56], v[6:7], v[63:64]
	v_mul_f64_e32 v[63:64], v[8:9], v[63:64]
	s_wait_loadcnt_dscnt 0x300
	v_mul_f64_e32 v[59:60], v[51:52], v[67:68]
	v_add_f64_e32 v[2:3], v[2:3], v[53:54]
	v_add_f64_e32 v[10:11], v[10:11], v[83:84]
	v_mul_f64_e32 v[53:54], v[49:50], v[67:68]
	v_fma_f64 v[55:56], v[8:9], v[61:62], v[55:56]
	v_fma_f64 v[61:62], v[6:7], v[61:62], -v[63:64]
	v_fma_f64 v[49:50], v[49:50], v[65:66], -v[59:60]
	v_add_f64_e32 v[57:58], v[2:3], v[57:58]
	v_add_f64_e32 v[10:11], v[10:11], v[79:80]
	ds_load_b128 v[6:9], v1 offset:544
	ds_load_b128 v[1:4], v1 offset:560
	v_fma_f64 v[51:52], v[51:52], v[65:66], v[53:54]
	s_wait_loadcnt_dscnt 0x201
	v_mul_f64_e32 v[63:64], v[6:7], v[71:72]
	v_mul_f64_e32 v[67:68], v[8:9], v[71:72]
	v_add_f64_e32 v[53:54], v[57:58], v[61:62]
	v_add_f64_e32 v[10:11], v[10:11], v[55:56]
	s_wait_loadcnt_dscnt 0x100
	v_mul_f64_e32 v[55:56], v[1:2], v[75:76]
	v_mul_f64_e32 v[57:58], v[3:4], v[75:76]
	v_fma_f64 v[8:9], v[8:9], v[69:70], v[63:64]
	v_fma_f64 v[6:7], v[6:7], v[69:70], -v[67:68]
	v_add_f64_e32 v[49:50], v[53:54], v[49:50]
	v_add_f64_e32 v[10:11], v[10:11], v[51:52]
	v_fma_f64 v[3:4], v[3:4], v[73:74], v[55:56]
	v_fma_f64 v[1:2], v[1:2], v[73:74], -v[57:58]
	s_delay_alu instid0(VALU_DEP_4) | instskip(NEXT) | instid1(VALU_DEP_4)
	v_add_f64_e32 v[6:7], v[49:50], v[6:7]
	v_add_f64_e32 v[8:9], v[10:11], v[8:9]
	s_delay_alu instid0(VALU_DEP_2) | instskip(NEXT) | instid1(VALU_DEP_2)
	v_add_f64_e32 v[1:2], v[6:7], v[1:2]
	v_add_f64_e32 v[3:4], v[8:9], v[3:4]
	s_wait_loadcnt 0x0
	s_delay_alu instid0(VALU_DEP_2) | instskip(NEXT) | instid1(VALU_DEP_2)
	v_add_f64_e64 v[1:2], v[85:86], -v[1:2]
	v_add_f64_e64 v[3:4], v[87:88], -v[3:4]
	scratch_store_b128 off, v[1:4], off offset:160
	v_cmpx_lt_u32_e32 8, v0
	s_cbranch_execz .LBB81_105
; %bb.104:
	scratch_load_b128 v[1:4], off, s19
	v_mov_b32_e32 v6, 0
	s_delay_alu instid0(VALU_DEP_1)
	v_dual_mov_b32 v7, v6 :: v_dual_mov_b32 v8, v6
	v_mov_b32_e32 v9, v6
	scratch_store_b128 off, v[6:9], off offset:144
	s_wait_loadcnt 0x0
	ds_store_b128 v5, v[1:4]
.LBB81_105:
	s_wait_alu 0xfffe
	s_or_b32 exec_lo, exec_lo, s0
	s_wait_storecnt_dscnt 0x0
	s_barrier_signal -1
	s_barrier_wait -1
	global_inv scope:SCOPE_SE
	s_clause 0x7
	scratch_load_b128 v[6:9], off, off offset:160
	scratch_load_b128 v[49:52], off, off offset:176
	;; [unrolled: 1-line block ×8, first 2 shown]
	v_mov_b32_e32 v1, 0
	s_mov_b32 s0, exec_lo
	ds_load_b128 v[77:80], v1 offset:432
	s_clause 0x1
	scratch_load_b128 v[81:84], off, off offset:288
	scratch_load_b128 v[85:88], off, off offset:144
	ds_load_b128 v[89:92], v1 offset:448
	s_wait_loadcnt_dscnt 0x901
	v_mul_f64_e32 v[2:3], v[79:80], v[8:9]
	v_mul_f64_e32 v[8:9], v[77:78], v[8:9]
	s_wait_loadcnt_dscnt 0x800
	v_mul_f64_e32 v[10:11], v[89:90], v[51:52]
	v_mul_f64_e32 v[51:52], v[91:92], v[51:52]
	s_delay_alu instid0(VALU_DEP_4) | instskip(NEXT) | instid1(VALU_DEP_4)
	v_fma_f64 v[2:3], v[77:78], v[6:7], -v[2:3]
	v_fma_f64 v[93:94], v[79:80], v[6:7], v[8:9]
	ds_load_b128 v[6:9], v1 offset:464
	ds_load_b128 v[77:80], v1 offset:480
	v_fma_f64 v[10:11], v[91:92], v[49:50], v[10:11]
	v_fma_f64 v[49:50], v[89:90], v[49:50], -v[51:52]
	s_wait_loadcnt_dscnt 0x701
	v_mul_f64_e32 v[95:96], v[6:7], v[55:56]
	v_mul_f64_e32 v[55:56], v[8:9], v[55:56]
	s_wait_loadcnt_dscnt 0x600
	v_mul_f64_e32 v[89:90], v[77:78], v[59:60]
	v_mul_f64_e32 v[59:60], v[79:80], v[59:60]
	v_add_f64_e32 v[2:3], 0, v[2:3]
	v_add_f64_e32 v[51:52], 0, v[93:94]
	v_fma_f64 v[91:92], v[8:9], v[53:54], v[95:96]
	v_fma_f64 v[53:54], v[6:7], v[53:54], -v[55:56]
	v_fma_f64 v[79:80], v[79:80], v[57:58], v[89:90]
	v_fma_f64 v[57:58], v[77:78], v[57:58], -v[59:60]
	v_add_f64_e32 v[2:3], v[2:3], v[49:50]
	v_add_f64_e32 v[10:11], v[51:52], v[10:11]
	ds_load_b128 v[6:9], v1 offset:496
	ds_load_b128 v[49:52], v1 offset:512
	s_wait_loadcnt_dscnt 0x501
	v_mul_f64_e32 v[55:56], v[6:7], v[63:64]
	v_mul_f64_e32 v[63:64], v[8:9], v[63:64]
	s_wait_loadcnt_dscnt 0x400
	v_mul_f64_e32 v[59:60], v[49:50], v[67:68]
	v_mul_f64_e32 v[67:68], v[51:52], v[67:68]
	v_add_f64_e32 v[2:3], v[2:3], v[53:54]
	v_add_f64_e32 v[10:11], v[10:11], v[91:92]
	v_fma_f64 v[77:78], v[8:9], v[61:62], v[55:56]
	v_fma_f64 v[61:62], v[6:7], v[61:62], -v[63:64]
	ds_load_b128 v[6:9], v1 offset:528
	ds_load_b128 v[53:56], v1 offset:544
	v_fma_f64 v[51:52], v[51:52], v[65:66], v[59:60]
	v_fma_f64 v[49:50], v[49:50], v[65:66], -v[67:68]
	v_add_f64_e32 v[2:3], v[2:3], v[57:58]
	v_add_f64_e32 v[10:11], v[10:11], v[79:80]
	s_wait_loadcnt_dscnt 0x301
	v_mul_f64_e32 v[57:58], v[6:7], v[71:72]
	v_mul_f64_e32 v[63:64], v[8:9], v[71:72]
	s_wait_loadcnt_dscnt 0x200
	v_mul_f64_e32 v[59:60], v[53:54], v[75:76]
	v_add_f64_e32 v[2:3], v[2:3], v[61:62]
	v_add_f64_e32 v[10:11], v[10:11], v[77:78]
	v_mul_f64_e32 v[61:62], v[55:56], v[75:76]
	v_fma_f64 v[57:58], v[8:9], v[69:70], v[57:58]
	v_fma_f64 v[63:64], v[6:7], v[69:70], -v[63:64]
	ds_load_b128 v[6:9], v1 offset:560
	v_fma_f64 v[55:56], v[55:56], v[73:74], v[59:60]
	v_add_f64_e32 v[2:3], v[2:3], v[49:50]
	v_add_f64_e32 v[10:11], v[10:11], v[51:52]
	s_wait_loadcnt_dscnt 0x100
	v_mul_f64_e32 v[49:50], v[6:7], v[83:84]
	v_mul_f64_e32 v[51:52], v[8:9], v[83:84]
	v_fma_f64 v[53:54], v[53:54], v[73:74], -v[61:62]
	v_add_f64_e32 v[2:3], v[2:3], v[63:64]
	v_add_f64_e32 v[10:11], v[10:11], v[57:58]
	v_fma_f64 v[8:9], v[8:9], v[81:82], v[49:50]
	v_fma_f64 v[6:7], v[6:7], v[81:82], -v[51:52]
	s_delay_alu instid0(VALU_DEP_4) | instskip(NEXT) | instid1(VALU_DEP_4)
	v_add_f64_e32 v[2:3], v[2:3], v[53:54]
	v_add_f64_e32 v[10:11], v[10:11], v[55:56]
	s_delay_alu instid0(VALU_DEP_2) | instskip(NEXT) | instid1(VALU_DEP_2)
	v_add_f64_e32 v[2:3], v[2:3], v[6:7]
	v_add_f64_e32 v[8:9], v[10:11], v[8:9]
	s_wait_loadcnt 0x0
	s_delay_alu instid0(VALU_DEP_2) | instskip(NEXT) | instid1(VALU_DEP_2)
	v_add_f64_e64 v[6:7], v[85:86], -v[2:3]
	v_add_f64_e64 v[8:9], v[87:88], -v[8:9]
	scratch_store_b128 off, v[6:9], off offset:144
	v_cmpx_lt_u32_e32 7, v0
	s_cbranch_execz .LBB81_107
; %bb.106:
	scratch_load_b128 v[6:9], off, s5
	v_dual_mov_b32 v2, v1 :: v_dual_mov_b32 v3, v1
	v_mov_b32_e32 v4, v1
	scratch_store_b128 off, v[1:4], off offset:128
	s_wait_loadcnt 0x0
	ds_store_b128 v5, v[6:9]
.LBB81_107:
	s_wait_alu 0xfffe
	s_or_b32 exec_lo, exec_lo, s0
	s_wait_storecnt_dscnt 0x0
	s_barrier_signal -1
	s_barrier_wait -1
	global_inv scope:SCOPE_SE
	s_clause 0x8
	scratch_load_b128 v[6:9], off, off offset:144
	scratch_load_b128 v[49:52], off, off offset:160
	;; [unrolled: 1-line block ×9, first 2 shown]
	ds_load_b128 v[81:84], v1 offset:416
	ds_load_b128 v[85:88], v1 offset:432
	scratch_load_b128 v[89:92], off, off offset:128
	s_mov_b32 s0, exec_lo
	s_wait_loadcnt_dscnt 0x901
	v_mul_f64_e32 v[2:3], v[83:84], v[8:9]
	v_mul_f64_e32 v[93:94], v[81:82], v[8:9]
	scratch_load_b128 v[8:11], off, off offset:288
	s_wait_loadcnt_dscnt 0x900
	v_mul_f64_e32 v[97:98], v[85:86], v[51:52]
	v_mul_f64_e32 v[51:52], v[87:88], v[51:52]
	v_fma_f64 v[2:3], v[81:82], v[6:7], -v[2:3]
	v_fma_f64 v[6:7], v[83:84], v[6:7], v[93:94]
	ds_load_b128 v[81:84], v1 offset:448
	ds_load_b128 v[93:96], v1 offset:464
	v_fma_f64 v[87:88], v[87:88], v[49:50], v[97:98]
	v_fma_f64 v[49:50], v[85:86], v[49:50], -v[51:52]
	s_wait_loadcnt_dscnt 0x801
	v_mul_f64_e32 v[99:100], v[81:82], v[55:56]
	v_mul_f64_e32 v[55:56], v[83:84], v[55:56]
	s_wait_loadcnt_dscnt 0x700
	v_mul_f64_e32 v[85:86], v[93:94], v[59:60]
	v_mul_f64_e32 v[59:60], v[95:96], v[59:60]
	v_add_f64_e32 v[2:3], 0, v[2:3]
	v_add_f64_e32 v[6:7], 0, v[6:7]
	v_fma_f64 v[83:84], v[83:84], v[53:54], v[99:100]
	v_fma_f64 v[81:82], v[81:82], v[53:54], -v[55:56]
	v_fma_f64 v[85:86], v[95:96], v[57:58], v[85:86]
	v_fma_f64 v[57:58], v[93:94], v[57:58], -v[59:60]
	v_add_f64_e32 v[2:3], v[2:3], v[49:50]
	v_add_f64_e32 v[6:7], v[6:7], v[87:88]
	ds_load_b128 v[49:52], v1 offset:480
	ds_load_b128 v[53:56], v1 offset:496
	s_wait_loadcnt_dscnt 0x601
	v_mul_f64_e32 v[87:88], v[49:50], v[63:64]
	v_mul_f64_e32 v[63:64], v[51:52], v[63:64]
	v_add_f64_e32 v[2:3], v[2:3], v[81:82]
	v_add_f64_e32 v[6:7], v[6:7], v[83:84]
	s_wait_loadcnt_dscnt 0x500
	v_mul_f64_e32 v[81:82], v[53:54], v[67:68]
	v_mul_f64_e32 v[67:68], v[55:56], v[67:68]
	v_fma_f64 v[83:84], v[51:52], v[61:62], v[87:88]
	v_fma_f64 v[61:62], v[49:50], v[61:62], -v[63:64]
	v_add_f64_e32 v[2:3], v[2:3], v[57:58]
	v_add_f64_e32 v[6:7], v[6:7], v[85:86]
	ds_load_b128 v[49:52], v1 offset:512
	ds_load_b128 v[57:60], v1 offset:528
	v_fma_f64 v[55:56], v[55:56], v[65:66], v[81:82]
	v_fma_f64 v[53:54], v[53:54], v[65:66], -v[67:68]
	s_wait_loadcnt_dscnt 0x401
	v_mul_f64_e32 v[63:64], v[49:50], v[71:72]
	v_mul_f64_e32 v[71:72], v[51:52], v[71:72]
	s_wait_loadcnt_dscnt 0x300
	v_mul_f64_e32 v[65:66], v[59:60], v[75:76]
	v_add_f64_e32 v[2:3], v[2:3], v[61:62]
	v_add_f64_e32 v[6:7], v[6:7], v[83:84]
	v_mul_f64_e32 v[61:62], v[57:58], v[75:76]
	v_fma_f64 v[63:64], v[51:52], v[69:70], v[63:64]
	v_fma_f64 v[67:68], v[49:50], v[69:70], -v[71:72]
	v_fma_f64 v[57:58], v[57:58], v[73:74], -v[65:66]
	v_add_f64_e32 v[53:54], v[2:3], v[53:54]
	v_add_f64_e32 v[6:7], v[6:7], v[55:56]
	ds_load_b128 v[49:52], v1 offset:544
	ds_load_b128 v[1:4], v1 offset:560
	v_fma_f64 v[59:60], v[59:60], v[73:74], v[61:62]
	s_wait_loadcnt_dscnt 0x201
	v_mul_f64_e32 v[55:56], v[49:50], v[79:80]
	v_mul_f64_e32 v[69:70], v[51:52], v[79:80]
	v_add_f64_e32 v[53:54], v[53:54], v[67:68]
	v_add_f64_e32 v[6:7], v[6:7], v[63:64]
	s_wait_loadcnt_dscnt 0x0
	v_mul_f64_e32 v[61:62], v[1:2], v[10:11]
	v_mul_f64_e32 v[10:11], v[3:4], v[10:11]
	v_fma_f64 v[51:52], v[51:52], v[77:78], v[55:56]
	v_fma_f64 v[49:50], v[49:50], v[77:78], -v[69:70]
	v_add_f64_e32 v[53:54], v[53:54], v[57:58]
	v_add_f64_e32 v[6:7], v[6:7], v[59:60]
	v_fma_f64 v[3:4], v[3:4], v[8:9], v[61:62]
	v_fma_f64 v[1:2], v[1:2], v[8:9], -v[10:11]
	s_delay_alu instid0(VALU_DEP_4) | instskip(NEXT) | instid1(VALU_DEP_4)
	v_add_f64_e32 v[8:9], v[53:54], v[49:50]
	v_add_f64_e32 v[6:7], v[6:7], v[51:52]
	s_delay_alu instid0(VALU_DEP_2) | instskip(NEXT) | instid1(VALU_DEP_2)
	v_add_f64_e32 v[1:2], v[8:9], v[1:2]
	v_add_f64_e32 v[3:4], v[6:7], v[3:4]
	s_delay_alu instid0(VALU_DEP_2) | instskip(NEXT) | instid1(VALU_DEP_2)
	v_add_f64_e64 v[1:2], v[89:90], -v[1:2]
	v_add_f64_e64 v[3:4], v[91:92], -v[3:4]
	scratch_store_b128 off, v[1:4], off offset:128
	v_cmpx_lt_u32_e32 6, v0
	s_cbranch_execz .LBB81_109
; %bb.108:
	scratch_load_b128 v[1:4], off, s18
	v_mov_b32_e32 v6, 0
	s_delay_alu instid0(VALU_DEP_1)
	v_dual_mov_b32 v7, v6 :: v_dual_mov_b32 v8, v6
	v_mov_b32_e32 v9, v6
	scratch_store_b128 off, v[6:9], off offset:112
	s_wait_loadcnt 0x0
	ds_store_b128 v5, v[1:4]
.LBB81_109:
	s_wait_alu 0xfffe
	s_or_b32 exec_lo, exec_lo, s0
	s_wait_storecnt_dscnt 0x0
	s_barrier_signal -1
	s_barrier_wait -1
	global_inv scope:SCOPE_SE
	s_clause 0x7
	scratch_load_b128 v[6:9], off, off offset:128
	scratch_load_b128 v[49:52], off, off offset:144
	;; [unrolled: 1-line block ×8, first 2 shown]
	v_mov_b32_e32 v1, 0
	s_mov_b32 s0, exec_lo
	ds_load_b128 v[77:80], v1 offset:400
	s_clause 0x1
	scratch_load_b128 v[81:84], off, off offset:256
	scratch_load_b128 v[85:88], off, off offset:112
	ds_load_b128 v[89:92], v1 offset:416
	ds_load_b128 v[97:100], v1 offset:448
	s_wait_loadcnt_dscnt 0x902
	v_mul_f64_e32 v[2:3], v[79:80], v[8:9]
	v_mul_f64_e32 v[93:94], v[77:78], v[8:9]
	scratch_load_b128 v[8:11], off, off offset:272
	v_fma_f64 v[2:3], v[77:78], v[6:7], -v[2:3]
	v_fma_f64 v[6:7], v[79:80], v[6:7], v[93:94]
	ds_load_b128 v[77:80], v1 offset:432
	s_wait_loadcnt_dscnt 0x902
	v_mul_f64_e32 v[101:102], v[89:90], v[51:52]
	v_mul_f64_e32 v[51:52], v[91:92], v[51:52]
	scratch_load_b128 v[93:96], off, off offset:288
	s_wait_loadcnt_dscnt 0x900
	v_mul_f64_e32 v[103:104], v[77:78], v[55:56]
	v_mul_f64_e32 v[55:56], v[79:80], v[55:56]
	v_add_f64_e32 v[2:3], 0, v[2:3]
	v_add_f64_e32 v[6:7], 0, v[6:7]
	v_fma_f64 v[91:92], v[91:92], v[49:50], v[101:102]
	v_fma_f64 v[49:50], v[89:90], v[49:50], -v[51:52]
	s_wait_loadcnt 0x8
	v_mul_f64_e32 v[89:90], v[97:98], v[59:60]
	v_mul_f64_e32 v[59:60], v[99:100], v[59:60]
	v_fma_f64 v[79:80], v[79:80], v[53:54], v[103:104]
	v_fma_f64 v[77:78], v[77:78], v[53:54], -v[55:56]
	v_add_f64_e32 v[6:7], v[6:7], v[91:92]
	v_add_f64_e32 v[2:3], v[2:3], v[49:50]
	ds_load_b128 v[49:52], v1 offset:464
	ds_load_b128 v[53:56], v1 offset:480
	v_fma_f64 v[89:90], v[99:100], v[57:58], v[89:90]
	v_fma_f64 v[57:58], v[97:98], v[57:58], -v[59:60]
	s_wait_loadcnt_dscnt 0x701
	v_mul_f64_e32 v[91:92], v[49:50], v[63:64]
	v_mul_f64_e32 v[63:64], v[51:52], v[63:64]
	v_add_f64_e32 v[6:7], v[6:7], v[79:80]
	v_add_f64_e32 v[2:3], v[2:3], v[77:78]
	s_wait_loadcnt_dscnt 0x600
	v_mul_f64_e32 v[77:78], v[53:54], v[67:68]
	v_mul_f64_e32 v[67:68], v[55:56], v[67:68]
	v_fma_f64 v[79:80], v[51:52], v[61:62], v[91:92]
	v_fma_f64 v[61:62], v[49:50], v[61:62], -v[63:64]
	v_add_f64_e32 v[6:7], v[6:7], v[89:90]
	v_add_f64_e32 v[2:3], v[2:3], v[57:58]
	ds_load_b128 v[49:52], v1 offset:496
	ds_load_b128 v[57:60], v1 offset:512
	v_fma_f64 v[55:56], v[55:56], v[65:66], v[77:78]
	v_fma_f64 v[53:54], v[53:54], v[65:66], -v[67:68]
	s_wait_loadcnt_dscnt 0x501
	v_mul_f64_e32 v[63:64], v[49:50], v[71:72]
	v_mul_f64_e32 v[71:72], v[51:52], v[71:72]
	s_wait_loadcnt_dscnt 0x400
	v_mul_f64_e32 v[65:66], v[59:60], v[75:76]
	v_add_f64_e32 v[6:7], v[6:7], v[79:80]
	v_add_f64_e32 v[2:3], v[2:3], v[61:62]
	v_mul_f64_e32 v[61:62], v[57:58], v[75:76]
	v_fma_f64 v[63:64], v[51:52], v[69:70], v[63:64]
	v_fma_f64 v[67:68], v[49:50], v[69:70], -v[71:72]
	v_fma_f64 v[57:58], v[57:58], v[73:74], -v[65:66]
	v_add_f64_e32 v[6:7], v[6:7], v[55:56]
	v_add_f64_e32 v[2:3], v[2:3], v[53:54]
	ds_load_b128 v[49:52], v1 offset:528
	ds_load_b128 v[53:56], v1 offset:544
	v_fma_f64 v[59:60], v[59:60], v[73:74], v[61:62]
	s_wait_loadcnt_dscnt 0x301
	v_mul_f64_e32 v[69:70], v[49:50], v[83:84]
	v_mul_f64_e32 v[71:72], v[51:52], v[83:84]
	v_add_f64_e32 v[6:7], v[6:7], v[63:64]
	v_add_f64_e32 v[2:3], v[2:3], v[67:68]
	s_wait_loadcnt_dscnt 0x100
	v_mul_f64_e32 v[61:62], v[53:54], v[10:11]
	v_mul_f64_e32 v[10:11], v[55:56], v[10:11]
	v_fma_f64 v[63:64], v[51:52], v[81:82], v[69:70]
	v_fma_f64 v[65:66], v[49:50], v[81:82], -v[71:72]
	ds_load_b128 v[49:52], v1 offset:560
	v_add_f64_e32 v[6:7], v[6:7], v[59:60]
	v_add_f64_e32 v[2:3], v[2:3], v[57:58]
	v_fma_f64 v[55:56], v[55:56], v[8:9], v[61:62]
	v_fma_f64 v[8:9], v[53:54], v[8:9], -v[10:11]
	s_wait_loadcnt_dscnt 0x0
	v_mul_f64_e32 v[57:58], v[49:50], v[95:96]
	v_mul_f64_e32 v[59:60], v[51:52], v[95:96]
	v_add_f64_e32 v[6:7], v[6:7], v[63:64]
	v_add_f64_e32 v[2:3], v[2:3], v[65:66]
	s_delay_alu instid0(VALU_DEP_4) | instskip(NEXT) | instid1(VALU_DEP_4)
	v_fma_f64 v[10:11], v[51:52], v[93:94], v[57:58]
	v_fma_f64 v[49:50], v[49:50], v[93:94], -v[59:60]
	s_delay_alu instid0(VALU_DEP_4) | instskip(NEXT) | instid1(VALU_DEP_4)
	v_add_f64_e32 v[6:7], v[6:7], v[55:56]
	v_add_f64_e32 v[2:3], v[2:3], v[8:9]
	s_delay_alu instid0(VALU_DEP_2) | instskip(NEXT) | instid1(VALU_DEP_2)
	v_add_f64_e32 v[8:9], v[6:7], v[10:11]
	v_add_f64_e32 v[2:3], v[2:3], v[49:50]
	s_delay_alu instid0(VALU_DEP_2) | instskip(NEXT) | instid1(VALU_DEP_2)
	v_add_f64_e64 v[8:9], v[87:88], -v[8:9]
	v_add_f64_e64 v[6:7], v[85:86], -v[2:3]
	scratch_store_b128 off, v[6:9], off offset:112
	v_cmpx_lt_u32_e32 5, v0
	s_cbranch_execz .LBB81_111
; %bb.110:
	scratch_load_b128 v[6:9], off, s4
	v_dual_mov_b32 v2, v1 :: v_dual_mov_b32 v3, v1
	v_mov_b32_e32 v4, v1
	scratch_store_b128 off, v[1:4], off offset:96
	s_wait_loadcnt 0x0
	ds_store_b128 v5, v[6:9]
.LBB81_111:
	s_wait_alu 0xfffe
	s_or_b32 exec_lo, exec_lo, s0
	s_wait_storecnt_dscnt 0x0
	s_barrier_signal -1
	s_barrier_wait -1
	global_inv scope:SCOPE_SE
	s_clause 0x8
	scratch_load_b128 v[6:9], off, off offset:112
	scratch_load_b128 v[49:52], off, off offset:128
	;; [unrolled: 1-line block ×9, first 2 shown]
	ds_load_b128 v[81:84], v1 offset:384
	ds_load_b128 v[85:88], v1 offset:400
	scratch_load_b128 v[89:92], off, off offset:96
	s_mov_b32 s0, exec_lo
	ds_load_b128 v[97:100], v1 offset:432
	s_wait_loadcnt_dscnt 0x902
	v_mul_f64_e32 v[2:3], v[83:84], v[8:9]
	v_mul_f64_e32 v[93:94], v[81:82], v[8:9]
	scratch_load_b128 v[8:11], off, off offset:256
	s_wait_loadcnt_dscnt 0x901
	v_mul_f64_e32 v[101:102], v[85:86], v[51:52]
	v_mul_f64_e32 v[51:52], v[87:88], v[51:52]
	v_fma_f64 v[2:3], v[81:82], v[6:7], -v[2:3]
	v_fma_f64 v[6:7], v[83:84], v[6:7], v[93:94]
	ds_load_b128 v[81:84], v1 offset:416
	scratch_load_b128 v[93:96], off, off offset:272
	v_fma_f64 v[87:88], v[87:88], v[49:50], v[101:102]
	v_fma_f64 v[85:86], v[85:86], v[49:50], -v[51:52]
	scratch_load_b128 v[49:52], off, off offset:288
	s_wait_loadcnt_dscnt 0x901
	v_mul_f64_e32 v[101:102], v[97:98], v[59:60]
	v_mul_f64_e32 v[59:60], v[99:100], v[59:60]
	s_wait_dscnt 0x0
	v_mul_f64_e32 v[103:104], v[81:82], v[55:56]
	v_mul_f64_e32 v[55:56], v[83:84], v[55:56]
	v_add_f64_e32 v[2:3], 0, v[2:3]
	v_add_f64_e32 v[6:7], 0, v[6:7]
	s_delay_alu instid0(VALU_DEP_4) | instskip(NEXT) | instid1(VALU_DEP_4)
	v_fma_f64 v[103:104], v[83:84], v[53:54], v[103:104]
	v_fma_f64 v[105:106], v[81:82], v[53:54], -v[55:56]
	ds_load_b128 v[53:56], v1 offset:448
	ds_load_b128 v[81:84], v1 offset:464
	v_add_f64_e32 v[2:3], v[2:3], v[85:86]
	v_add_f64_e32 v[6:7], v[6:7], v[87:88]
	v_fma_f64 v[87:88], v[99:100], v[57:58], v[101:102]
	v_fma_f64 v[57:58], v[97:98], v[57:58], -v[59:60]
	s_wait_loadcnt_dscnt 0x801
	v_mul_f64_e32 v[85:86], v[53:54], v[63:64]
	v_mul_f64_e32 v[63:64], v[55:56], v[63:64]
	s_wait_loadcnt_dscnt 0x700
	v_mul_f64_e32 v[97:98], v[81:82], v[67:68]
	v_mul_f64_e32 v[67:68], v[83:84], v[67:68]
	v_add_f64_e32 v[2:3], v[2:3], v[105:106]
	v_add_f64_e32 v[6:7], v[6:7], v[103:104]
	v_fma_f64 v[85:86], v[55:56], v[61:62], v[85:86]
	v_fma_f64 v[61:62], v[53:54], v[61:62], -v[63:64]
	v_fma_f64 v[83:84], v[83:84], v[65:66], v[97:98]
	v_fma_f64 v[65:66], v[81:82], v[65:66], -v[67:68]
	v_add_f64_e32 v[2:3], v[2:3], v[57:58]
	v_add_f64_e32 v[6:7], v[6:7], v[87:88]
	ds_load_b128 v[53:56], v1 offset:480
	ds_load_b128 v[57:60], v1 offset:496
	s_wait_loadcnt_dscnt 0x601
	v_mul_f64_e32 v[63:64], v[53:54], v[71:72]
	v_mul_f64_e32 v[71:72], v[55:56], v[71:72]
	s_wait_loadcnt_dscnt 0x500
	v_mul_f64_e32 v[67:68], v[57:58], v[75:76]
	v_mul_f64_e32 v[75:76], v[59:60], v[75:76]
	v_add_f64_e32 v[2:3], v[2:3], v[61:62]
	v_add_f64_e32 v[6:7], v[6:7], v[85:86]
	v_fma_f64 v[81:82], v[55:56], v[69:70], v[63:64]
	v_fma_f64 v[69:70], v[53:54], v[69:70], -v[71:72]
	ds_load_b128 v[53:56], v1 offset:512
	ds_load_b128 v[61:64], v1 offset:528
	v_fma_f64 v[59:60], v[59:60], v[73:74], v[67:68]
	v_fma_f64 v[57:58], v[57:58], v[73:74], -v[75:76]
	v_add_f64_e32 v[2:3], v[2:3], v[65:66]
	v_add_f64_e32 v[6:7], v[6:7], v[83:84]
	s_wait_loadcnt_dscnt 0x401
	v_mul_f64_e32 v[65:66], v[53:54], v[79:80]
	v_mul_f64_e32 v[71:72], v[55:56], v[79:80]
	s_delay_alu instid0(VALU_DEP_4) | instskip(NEXT) | instid1(VALU_DEP_4)
	v_add_f64_e32 v[2:3], v[2:3], v[69:70]
	v_add_f64_e32 v[6:7], v[6:7], v[81:82]
	s_delay_alu instid0(VALU_DEP_4) | instskip(NEXT) | instid1(VALU_DEP_4)
	v_fma_f64 v[65:66], v[55:56], v[77:78], v[65:66]
	v_fma_f64 v[69:70], v[53:54], v[77:78], -v[71:72]
	s_wait_loadcnt_dscnt 0x200
	v_mul_f64_e32 v[67:68], v[61:62], v[10:11]
	v_mul_f64_e32 v[10:11], v[63:64], v[10:11]
	v_add_f64_e32 v[57:58], v[2:3], v[57:58]
	v_add_f64_e32 v[6:7], v[6:7], v[59:60]
	ds_load_b128 v[53:56], v1 offset:544
	ds_load_b128 v[1:4], v1 offset:560
	v_fma_f64 v[63:64], v[63:64], v[8:9], v[67:68]
	v_fma_f64 v[8:9], v[61:62], v[8:9], -v[10:11]
	s_wait_loadcnt_dscnt 0x101
	v_mul_f64_e32 v[59:60], v[53:54], v[95:96]
	v_mul_f64_e32 v[71:72], v[55:56], v[95:96]
	v_add_f64_e32 v[10:11], v[57:58], v[69:70]
	v_add_f64_e32 v[6:7], v[6:7], v[65:66]
	s_wait_loadcnt_dscnt 0x0
	v_mul_f64_e32 v[57:58], v[1:2], v[51:52]
	v_mul_f64_e32 v[51:52], v[3:4], v[51:52]
	v_fma_f64 v[55:56], v[55:56], v[93:94], v[59:60]
	v_fma_f64 v[53:54], v[53:54], v[93:94], -v[71:72]
	v_add_f64_e32 v[8:9], v[10:11], v[8:9]
	v_add_f64_e32 v[6:7], v[6:7], v[63:64]
	v_fma_f64 v[3:4], v[3:4], v[49:50], v[57:58]
	v_fma_f64 v[1:2], v[1:2], v[49:50], -v[51:52]
	s_delay_alu instid0(VALU_DEP_4) | instskip(NEXT) | instid1(VALU_DEP_4)
	v_add_f64_e32 v[8:9], v[8:9], v[53:54]
	v_add_f64_e32 v[6:7], v[6:7], v[55:56]
	s_delay_alu instid0(VALU_DEP_2) | instskip(NEXT) | instid1(VALU_DEP_2)
	v_add_f64_e32 v[1:2], v[8:9], v[1:2]
	v_add_f64_e32 v[3:4], v[6:7], v[3:4]
	s_delay_alu instid0(VALU_DEP_2) | instskip(NEXT) | instid1(VALU_DEP_2)
	v_add_f64_e64 v[1:2], v[89:90], -v[1:2]
	v_add_f64_e64 v[3:4], v[91:92], -v[3:4]
	scratch_store_b128 off, v[1:4], off offset:96
	v_cmpx_lt_u32_e32 4, v0
	s_cbranch_execz .LBB81_113
; %bb.112:
	scratch_load_b128 v[1:4], off, s17
	v_mov_b32_e32 v6, 0
	s_delay_alu instid0(VALU_DEP_1)
	v_dual_mov_b32 v7, v6 :: v_dual_mov_b32 v8, v6
	v_mov_b32_e32 v9, v6
	scratch_store_b128 off, v[6:9], off offset:80
	s_wait_loadcnt 0x0
	ds_store_b128 v5, v[1:4]
.LBB81_113:
	s_wait_alu 0xfffe
	s_or_b32 exec_lo, exec_lo, s0
	s_wait_storecnt_dscnt 0x0
	s_barrier_signal -1
	s_barrier_wait -1
	global_inv scope:SCOPE_SE
	s_clause 0x7
	scratch_load_b128 v[6:9], off, off offset:96
	scratch_load_b128 v[49:52], off, off offset:112
	;; [unrolled: 1-line block ×8, first 2 shown]
	v_mov_b32_e32 v1, 0
	s_mov_b32 s0, exec_lo
	ds_load_b128 v[77:80], v1 offset:368
	s_clause 0x1
	scratch_load_b128 v[81:84], off, off offset:224
	scratch_load_b128 v[85:88], off, off offset:80
	ds_load_b128 v[89:92], v1 offset:384
	ds_load_b128 v[97:100], v1 offset:416
	s_wait_loadcnt_dscnt 0x902
	v_mul_f64_e32 v[2:3], v[79:80], v[8:9]
	v_mul_f64_e32 v[93:94], v[77:78], v[8:9]
	scratch_load_b128 v[8:11], off, off offset:240
	v_fma_f64 v[2:3], v[77:78], v[6:7], -v[2:3]
	v_fma_f64 v[6:7], v[79:80], v[6:7], v[93:94]
	ds_load_b128 v[77:80], v1 offset:400
	s_wait_loadcnt_dscnt 0x902
	v_mul_f64_e32 v[101:102], v[89:90], v[51:52]
	v_mul_f64_e32 v[51:52], v[91:92], v[51:52]
	scratch_load_b128 v[93:96], off, off offset:256
	s_wait_loadcnt_dscnt 0x900
	v_mul_f64_e32 v[103:104], v[77:78], v[55:56]
	v_mul_f64_e32 v[55:56], v[79:80], v[55:56]
	v_add_f64_e32 v[2:3], 0, v[2:3]
	v_add_f64_e32 v[6:7], 0, v[6:7]
	v_fma_f64 v[91:92], v[91:92], v[49:50], v[101:102]
	v_fma_f64 v[89:90], v[89:90], v[49:50], -v[51:52]
	scratch_load_b128 v[49:52], off, off offset:272
	v_fma_f64 v[103:104], v[79:80], v[53:54], v[103:104]
	v_fma_f64 v[105:106], v[77:78], v[53:54], -v[55:56]
	ds_load_b128 v[53:56], v1 offset:432
	s_wait_loadcnt 0x9
	v_mul_f64_e32 v[101:102], v[97:98], v[59:60]
	v_mul_f64_e32 v[59:60], v[99:100], v[59:60]
	scratch_load_b128 v[77:80], off, off offset:288
	v_add_f64_e32 v[6:7], v[6:7], v[91:92]
	v_add_f64_e32 v[2:3], v[2:3], v[89:90]
	ds_load_b128 v[89:92], v1 offset:448
	s_wait_loadcnt_dscnt 0x901
	v_mul_f64_e32 v[107:108], v[53:54], v[63:64]
	v_mul_f64_e32 v[63:64], v[55:56], v[63:64]
	v_fma_f64 v[99:100], v[99:100], v[57:58], v[101:102]
	v_fma_f64 v[57:58], v[97:98], v[57:58], -v[59:60]
	s_wait_loadcnt_dscnt 0x800
	v_mul_f64_e32 v[97:98], v[89:90], v[67:68]
	v_mul_f64_e32 v[67:68], v[91:92], v[67:68]
	v_add_f64_e32 v[6:7], v[6:7], v[103:104]
	v_add_f64_e32 v[2:3], v[2:3], v[105:106]
	v_fma_f64 v[101:102], v[55:56], v[61:62], v[107:108]
	v_fma_f64 v[61:62], v[53:54], v[61:62], -v[63:64]
	v_fma_f64 v[91:92], v[91:92], v[65:66], v[97:98]
	v_fma_f64 v[65:66], v[89:90], v[65:66], -v[67:68]
	v_add_f64_e32 v[6:7], v[6:7], v[99:100]
	v_add_f64_e32 v[2:3], v[2:3], v[57:58]
	ds_load_b128 v[53:56], v1 offset:464
	ds_load_b128 v[57:60], v1 offset:480
	s_wait_loadcnt_dscnt 0x701
	v_mul_f64_e32 v[63:64], v[53:54], v[71:72]
	v_mul_f64_e32 v[71:72], v[55:56], v[71:72]
	s_wait_loadcnt_dscnt 0x600
	v_mul_f64_e32 v[67:68], v[57:58], v[75:76]
	v_mul_f64_e32 v[75:76], v[59:60], v[75:76]
	v_add_f64_e32 v[6:7], v[6:7], v[101:102]
	v_add_f64_e32 v[2:3], v[2:3], v[61:62]
	v_fma_f64 v[89:90], v[55:56], v[69:70], v[63:64]
	v_fma_f64 v[69:70], v[53:54], v[69:70], -v[71:72]
	ds_load_b128 v[53:56], v1 offset:496
	ds_load_b128 v[61:64], v1 offset:512
	v_fma_f64 v[59:60], v[59:60], v[73:74], v[67:68]
	v_fma_f64 v[57:58], v[57:58], v[73:74], -v[75:76]
	v_add_f64_e32 v[6:7], v[6:7], v[91:92]
	v_add_f64_e32 v[2:3], v[2:3], v[65:66]
	s_wait_loadcnt_dscnt 0x501
	v_mul_f64_e32 v[65:66], v[53:54], v[83:84]
	v_mul_f64_e32 v[71:72], v[55:56], v[83:84]
	s_delay_alu instid0(VALU_DEP_4) | instskip(NEXT) | instid1(VALU_DEP_4)
	v_add_f64_e32 v[6:7], v[6:7], v[89:90]
	v_add_f64_e32 v[2:3], v[2:3], v[69:70]
	s_delay_alu instid0(VALU_DEP_4) | instskip(NEXT) | instid1(VALU_DEP_4)
	v_fma_f64 v[65:66], v[55:56], v[81:82], v[65:66]
	v_fma_f64 v[69:70], v[53:54], v[81:82], -v[71:72]
	s_wait_loadcnt_dscnt 0x300
	v_mul_f64_e32 v[67:68], v[61:62], v[10:11]
	v_mul_f64_e32 v[10:11], v[63:64], v[10:11]
	v_add_f64_e32 v[6:7], v[6:7], v[59:60]
	v_add_f64_e32 v[2:3], v[2:3], v[57:58]
	ds_load_b128 v[53:56], v1 offset:528
	ds_load_b128 v[57:60], v1 offset:544
	v_fma_f64 v[63:64], v[63:64], v[8:9], v[67:68]
	v_fma_f64 v[8:9], v[61:62], v[8:9], -v[10:11]
	s_wait_loadcnt_dscnt 0x201
	v_mul_f64_e32 v[71:72], v[53:54], v[95:96]
	v_mul_f64_e32 v[73:74], v[55:56], v[95:96]
	v_add_f64_e32 v[6:7], v[6:7], v[65:66]
	v_add_f64_e32 v[2:3], v[2:3], v[69:70]
	s_wait_loadcnt_dscnt 0x100
	v_mul_f64_e32 v[10:11], v[57:58], v[51:52]
	v_mul_f64_e32 v[51:52], v[59:60], v[51:52]
	v_fma_f64 v[55:56], v[55:56], v[93:94], v[71:72]
	v_fma_f64 v[53:54], v[53:54], v[93:94], -v[73:74]
	v_add_f64_e32 v[61:62], v[6:7], v[63:64]
	v_add_f64_e32 v[2:3], v[2:3], v[8:9]
	ds_load_b128 v[6:9], v1 offset:560
	v_fma_f64 v[10:11], v[59:60], v[49:50], v[10:11]
	v_fma_f64 v[49:50], v[57:58], v[49:50], -v[51:52]
	s_wait_loadcnt_dscnt 0x0
	v_mul_f64_e32 v[63:64], v[6:7], v[79:80]
	v_mul_f64_e32 v[65:66], v[8:9], v[79:80]
	v_add_f64_e32 v[51:52], v[61:62], v[55:56]
	v_add_f64_e32 v[2:3], v[2:3], v[53:54]
	s_delay_alu instid0(VALU_DEP_4) | instskip(NEXT) | instid1(VALU_DEP_4)
	v_fma_f64 v[8:9], v[8:9], v[77:78], v[63:64]
	v_fma_f64 v[6:7], v[6:7], v[77:78], -v[65:66]
	s_delay_alu instid0(VALU_DEP_4) | instskip(NEXT) | instid1(VALU_DEP_4)
	v_add_f64_e32 v[10:11], v[51:52], v[10:11]
	v_add_f64_e32 v[2:3], v[2:3], v[49:50]
	s_delay_alu instid0(VALU_DEP_2) | instskip(NEXT) | instid1(VALU_DEP_2)
	v_add_f64_e32 v[8:9], v[10:11], v[8:9]
	v_add_f64_e32 v[2:3], v[2:3], v[6:7]
	s_delay_alu instid0(VALU_DEP_2) | instskip(NEXT) | instid1(VALU_DEP_2)
	v_add_f64_e64 v[8:9], v[87:88], -v[8:9]
	v_add_f64_e64 v[6:7], v[85:86], -v[2:3]
	scratch_store_b128 off, v[6:9], off offset:80
	v_cmpx_lt_u32_e32 3, v0
	s_cbranch_execz .LBB81_115
; %bb.114:
	scratch_load_b128 v[6:9], off, s16
	v_dual_mov_b32 v2, v1 :: v_dual_mov_b32 v3, v1
	v_mov_b32_e32 v4, v1
	scratch_store_b128 off, v[1:4], off offset:64
	s_wait_loadcnt 0x0
	ds_store_b128 v5, v[6:9]
.LBB81_115:
	s_wait_alu 0xfffe
	s_or_b32 exec_lo, exec_lo, s0
	s_wait_storecnt_dscnt 0x0
	s_barrier_signal -1
	s_barrier_wait -1
	global_inv scope:SCOPE_SE
	s_clause 0x8
	scratch_load_b128 v[6:9], off, off offset:80
	scratch_load_b128 v[49:52], off, off offset:96
	;; [unrolled: 1-line block ×9, first 2 shown]
	ds_load_b128 v[81:84], v1 offset:352
	ds_load_b128 v[85:88], v1 offset:368
	scratch_load_b128 v[89:92], off, off offset:64
	s_mov_b32 s0, exec_lo
	ds_load_b128 v[97:100], v1 offset:400
	s_wait_loadcnt_dscnt 0x902
	v_mul_f64_e32 v[2:3], v[83:84], v[8:9]
	v_mul_f64_e32 v[93:94], v[81:82], v[8:9]
	scratch_load_b128 v[8:11], off, off offset:224
	s_wait_loadcnt_dscnt 0x901
	v_mul_f64_e32 v[101:102], v[85:86], v[51:52]
	v_mul_f64_e32 v[51:52], v[87:88], v[51:52]
	v_fma_f64 v[2:3], v[81:82], v[6:7], -v[2:3]
	v_fma_f64 v[6:7], v[83:84], v[6:7], v[93:94]
	ds_load_b128 v[81:84], v1 offset:384
	scratch_load_b128 v[93:96], off, off offset:240
	v_fma_f64 v[87:88], v[87:88], v[49:50], v[101:102]
	v_fma_f64 v[85:86], v[85:86], v[49:50], -v[51:52]
	scratch_load_b128 v[49:52], off, off offset:256
	s_wait_loadcnt_dscnt 0x901
	v_mul_f64_e32 v[101:102], v[97:98], v[59:60]
	v_mul_f64_e32 v[59:60], v[99:100], v[59:60]
	s_wait_dscnt 0x0
	v_mul_f64_e32 v[103:104], v[81:82], v[55:56]
	v_mul_f64_e32 v[55:56], v[83:84], v[55:56]
	v_add_f64_e32 v[2:3], 0, v[2:3]
	v_add_f64_e32 v[6:7], 0, v[6:7]
	v_fma_f64 v[99:100], v[99:100], v[57:58], v[101:102]
	v_fma_f64 v[97:98], v[97:98], v[57:58], -v[59:60]
	scratch_load_b128 v[57:60], off, off offset:288
	v_fma_f64 v[103:104], v[83:84], v[53:54], v[103:104]
	v_fma_f64 v[105:106], v[81:82], v[53:54], -v[55:56]
	ds_load_b128 v[53:56], v1 offset:416
	scratch_load_b128 v[81:84], off, off offset:272
	v_add_f64_e32 v[2:3], v[2:3], v[85:86]
	v_add_f64_e32 v[6:7], v[6:7], v[87:88]
	ds_load_b128 v[85:88], v1 offset:432
	s_wait_loadcnt_dscnt 0xa01
	v_mul_f64_e32 v[107:108], v[53:54], v[63:64]
	v_mul_f64_e32 v[63:64], v[55:56], v[63:64]
	s_wait_loadcnt_dscnt 0x900
	v_mul_f64_e32 v[101:102], v[85:86], v[67:68]
	v_mul_f64_e32 v[67:68], v[87:88], v[67:68]
	v_add_f64_e32 v[2:3], v[2:3], v[105:106]
	v_add_f64_e32 v[6:7], v[6:7], v[103:104]
	v_fma_f64 v[103:104], v[55:56], v[61:62], v[107:108]
	v_fma_f64 v[105:106], v[53:54], v[61:62], -v[63:64]
	ds_load_b128 v[53:56], v1 offset:448
	ds_load_b128 v[61:64], v1 offset:464
	v_fma_f64 v[87:88], v[87:88], v[65:66], v[101:102]
	v_fma_f64 v[65:66], v[85:86], v[65:66], -v[67:68]
	s_wait_loadcnt_dscnt 0x700
	v_mul_f64_e32 v[85:86], v[61:62], v[75:76]
	v_mul_f64_e32 v[75:76], v[63:64], v[75:76]
	v_add_f64_e32 v[2:3], v[2:3], v[97:98]
	v_add_f64_e32 v[6:7], v[6:7], v[99:100]
	v_mul_f64_e32 v[97:98], v[53:54], v[71:72]
	v_mul_f64_e32 v[71:72], v[55:56], v[71:72]
	v_fma_f64 v[63:64], v[63:64], v[73:74], v[85:86]
	v_fma_f64 v[61:62], v[61:62], v[73:74], -v[75:76]
	v_add_f64_e32 v[2:3], v[2:3], v[105:106]
	v_add_f64_e32 v[6:7], v[6:7], v[103:104]
	v_fma_f64 v[97:98], v[55:56], v[69:70], v[97:98]
	v_fma_f64 v[69:70], v[53:54], v[69:70], -v[71:72]
	s_delay_alu instid0(VALU_DEP_4) | instskip(NEXT) | instid1(VALU_DEP_4)
	v_add_f64_e32 v[2:3], v[2:3], v[65:66]
	v_add_f64_e32 v[6:7], v[6:7], v[87:88]
	ds_load_b128 v[53:56], v1 offset:480
	ds_load_b128 v[65:68], v1 offset:496
	s_wait_loadcnt_dscnt 0x601
	v_mul_f64_e32 v[71:72], v[53:54], v[79:80]
	v_mul_f64_e32 v[79:80], v[55:56], v[79:80]
	v_add_f64_e32 v[2:3], v[2:3], v[69:70]
	v_add_f64_e32 v[6:7], v[6:7], v[97:98]
	s_wait_loadcnt_dscnt 0x400
	v_mul_f64_e32 v[69:70], v[65:66], v[10:11]
	v_mul_f64_e32 v[10:11], v[67:68], v[10:11]
	v_fma_f64 v[71:72], v[55:56], v[77:78], v[71:72]
	v_fma_f64 v[73:74], v[53:54], v[77:78], -v[79:80]
	v_add_f64_e32 v[2:3], v[2:3], v[61:62]
	v_add_f64_e32 v[6:7], v[6:7], v[63:64]
	ds_load_b128 v[53:56], v1 offset:512
	ds_load_b128 v[61:64], v1 offset:528
	v_fma_f64 v[67:68], v[67:68], v[8:9], v[69:70]
	v_fma_f64 v[8:9], v[65:66], v[8:9], -v[10:11]
	s_wait_loadcnt_dscnt 0x301
	v_mul_f64_e32 v[75:76], v[53:54], v[95:96]
	v_mul_f64_e32 v[77:78], v[55:56], v[95:96]
	s_wait_loadcnt_dscnt 0x200
	v_mul_f64_e32 v[10:11], v[61:62], v[51:52]
	v_mul_f64_e32 v[51:52], v[63:64], v[51:52]
	v_add_f64_e32 v[2:3], v[2:3], v[73:74]
	v_add_f64_e32 v[6:7], v[6:7], v[71:72]
	v_fma_f64 v[55:56], v[55:56], v[93:94], v[75:76]
	v_fma_f64 v[53:54], v[53:54], v[93:94], -v[77:78]
	v_fma_f64 v[10:11], v[63:64], v[49:50], v[10:11]
	v_fma_f64 v[49:50], v[61:62], v[49:50], -v[51:52]
	v_add_f64_e32 v[65:66], v[2:3], v[8:9]
	v_add_f64_e32 v[67:68], v[6:7], v[67:68]
	ds_load_b128 v[6:9], v1 offset:544
	ds_load_b128 v[1:4], v1 offset:560
	s_wait_loadcnt_dscnt 0x1
	v_mul_f64_e32 v[69:70], v[6:7], v[83:84]
	v_mul_f64_e32 v[71:72], v[8:9], v[83:84]
	v_add_f64_e32 v[51:52], v[65:66], v[53:54]
	v_add_f64_e32 v[53:54], v[67:68], v[55:56]
	s_wait_dscnt 0x0
	v_mul_f64_e32 v[55:56], v[1:2], v[59:60]
	v_mul_f64_e32 v[59:60], v[3:4], v[59:60]
	v_fma_f64 v[8:9], v[8:9], v[81:82], v[69:70]
	v_fma_f64 v[6:7], v[6:7], v[81:82], -v[71:72]
	v_add_f64_e32 v[49:50], v[51:52], v[49:50]
	v_add_f64_e32 v[10:11], v[53:54], v[10:11]
	v_fma_f64 v[3:4], v[3:4], v[57:58], v[55:56]
	v_fma_f64 v[1:2], v[1:2], v[57:58], -v[59:60]
	s_delay_alu instid0(VALU_DEP_4) | instskip(NEXT) | instid1(VALU_DEP_4)
	v_add_f64_e32 v[6:7], v[49:50], v[6:7]
	v_add_f64_e32 v[8:9], v[10:11], v[8:9]
	s_delay_alu instid0(VALU_DEP_2) | instskip(NEXT) | instid1(VALU_DEP_2)
	v_add_f64_e32 v[1:2], v[6:7], v[1:2]
	v_add_f64_e32 v[3:4], v[8:9], v[3:4]
	s_delay_alu instid0(VALU_DEP_2) | instskip(NEXT) | instid1(VALU_DEP_2)
	v_add_f64_e64 v[1:2], v[89:90], -v[1:2]
	v_add_f64_e64 v[3:4], v[91:92], -v[3:4]
	scratch_store_b128 off, v[1:4], off offset:64
	v_cmpx_lt_u32_e32 2, v0
	s_cbranch_execz .LBB81_117
; %bb.116:
	scratch_load_b128 v[1:4], off, s24
	v_mov_b32_e32 v6, 0
	s_delay_alu instid0(VALU_DEP_1)
	v_dual_mov_b32 v7, v6 :: v_dual_mov_b32 v8, v6
	v_mov_b32_e32 v9, v6
	scratch_store_b128 off, v[6:9], off offset:48
	s_wait_loadcnt 0x0
	ds_store_b128 v5, v[1:4]
.LBB81_117:
	s_wait_alu 0xfffe
	s_or_b32 exec_lo, exec_lo, s0
	s_wait_storecnt_dscnt 0x0
	s_barrier_signal -1
	s_barrier_wait -1
	global_inv scope:SCOPE_SE
	s_clause 0x7
	scratch_load_b128 v[6:9], off, off offset:64
	scratch_load_b128 v[49:52], off, off offset:80
	scratch_load_b128 v[53:56], off, off offset:96
	scratch_load_b128 v[57:60], off, off offset:112
	scratch_load_b128 v[61:64], off, off offset:128
	scratch_load_b128 v[65:68], off, off offset:144
	scratch_load_b128 v[69:72], off, off offset:160
	scratch_load_b128 v[73:76], off, off offset:176
	v_mov_b32_e32 v1, 0
	s_mov_b32 s0, exec_lo
	ds_load_b128 v[77:80], v1 offset:336
	s_clause 0x1
	scratch_load_b128 v[81:84], off, off offset:192
	scratch_load_b128 v[85:88], off, off offset:48
	ds_load_b128 v[89:92], v1 offset:352
	ds_load_b128 v[97:100], v1 offset:384
	s_wait_loadcnt_dscnt 0x902
	v_mul_f64_e32 v[2:3], v[79:80], v[8:9]
	v_mul_f64_e32 v[93:94], v[77:78], v[8:9]
	scratch_load_b128 v[8:11], off, off offset:208
	v_fma_f64 v[2:3], v[77:78], v[6:7], -v[2:3]
	v_fma_f64 v[6:7], v[79:80], v[6:7], v[93:94]
	ds_load_b128 v[77:80], v1 offset:368
	s_wait_loadcnt_dscnt 0x902
	v_mul_f64_e32 v[101:102], v[89:90], v[51:52]
	v_mul_f64_e32 v[51:52], v[91:92], v[51:52]
	scratch_load_b128 v[93:96], off, off offset:224
	s_wait_loadcnt_dscnt 0x900
	v_mul_f64_e32 v[103:104], v[77:78], v[55:56]
	v_mul_f64_e32 v[55:56], v[79:80], v[55:56]
	v_add_f64_e32 v[2:3], 0, v[2:3]
	v_add_f64_e32 v[6:7], 0, v[6:7]
	v_fma_f64 v[91:92], v[91:92], v[49:50], v[101:102]
	v_fma_f64 v[89:90], v[89:90], v[49:50], -v[51:52]
	scratch_load_b128 v[49:52], off, off offset:240
	v_fma_f64 v[103:104], v[79:80], v[53:54], v[103:104]
	v_fma_f64 v[105:106], v[77:78], v[53:54], -v[55:56]
	ds_load_b128 v[53:56], v1 offset:400
	s_wait_loadcnt 0x9
	v_mul_f64_e32 v[101:102], v[97:98], v[59:60]
	v_mul_f64_e32 v[59:60], v[99:100], v[59:60]
	scratch_load_b128 v[77:80], off, off offset:256
	v_add_f64_e32 v[6:7], v[6:7], v[91:92]
	v_add_f64_e32 v[2:3], v[2:3], v[89:90]
	ds_load_b128 v[89:92], v1 offset:416
	s_wait_loadcnt_dscnt 0x901
	v_mul_f64_e32 v[107:108], v[53:54], v[63:64]
	v_mul_f64_e32 v[63:64], v[55:56], v[63:64]
	v_fma_f64 v[99:100], v[99:100], v[57:58], v[101:102]
	v_fma_f64 v[97:98], v[97:98], v[57:58], -v[59:60]
	scratch_load_b128 v[57:60], off, off offset:272
	v_add_f64_e32 v[6:7], v[6:7], v[103:104]
	v_add_f64_e32 v[2:3], v[2:3], v[105:106]
	v_fma_f64 v[103:104], v[55:56], v[61:62], v[107:108]
	v_fma_f64 v[105:106], v[53:54], v[61:62], -v[63:64]
	ds_load_b128 v[53:56], v1 offset:432
	s_wait_loadcnt_dscnt 0x901
	v_mul_f64_e32 v[101:102], v[89:90], v[67:68]
	v_mul_f64_e32 v[67:68], v[91:92], v[67:68]
	scratch_load_b128 v[61:64], off, off offset:288
	s_wait_loadcnt_dscnt 0x900
	v_mul_f64_e32 v[107:108], v[53:54], v[71:72]
	v_mul_f64_e32 v[71:72], v[55:56], v[71:72]
	v_add_f64_e32 v[6:7], v[6:7], v[99:100]
	v_add_f64_e32 v[2:3], v[2:3], v[97:98]
	ds_load_b128 v[97:100], v1 offset:448
	v_fma_f64 v[91:92], v[91:92], v[65:66], v[101:102]
	v_fma_f64 v[65:66], v[89:90], v[65:66], -v[67:68]
	s_wait_loadcnt_dscnt 0x800
	v_mul_f64_e32 v[89:90], v[97:98], v[75:76]
	v_mul_f64_e32 v[75:76], v[99:100], v[75:76]
	v_fma_f64 v[101:102], v[55:56], v[69:70], v[107:108]
	v_fma_f64 v[69:70], v[53:54], v[69:70], -v[71:72]
	v_add_f64_e32 v[6:7], v[6:7], v[103:104]
	v_add_f64_e32 v[2:3], v[2:3], v[105:106]
	v_fma_f64 v[89:90], v[99:100], v[73:74], v[89:90]
	v_fma_f64 v[73:74], v[97:98], v[73:74], -v[75:76]
	s_delay_alu instid0(VALU_DEP_4) | instskip(NEXT) | instid1(VALU_DEP_4)
	v_add_f64_e32 v[6:7], v[6:7], v[91:92]
	v_add_f64_e32 v[2:3], v[2:3], v[65:66]
	ds_load_b128 v[53:56], v1 offset:464
	ds_load_b128 v[65:68], v1 offset:480
	s_wait_loadcnt_dscnt 0x701
	v_mul_f64_e32 v[71:72], v[53:54], v[83:84]
	v_mul_f64_e32 v[83:84], v[55:56], v[83:84]
	v_add_f64_e32 v[6:7], v[6:7], v[101:102]
	v_add_f64_e32 v[2:3], v[2:3], v[69:70]
	s_wait_loadcnt_dscnt 0x500
	v_mul_f64_e32 v[75:76], v[65:66], v[10:11]
	v_mul_f64_e32 v[10:11], v[67:68], v[10:11]
	v_fma_f64 v[91:92], v[55:56], v[81:82], v[71:72]
	v_fma_f64 v[81:82], v[53:54], v[81:82], -v[83:84]
	ds_load_b128 v[53:56], v1 offset:496
	ds_load_b128 v[69:72], v1 offset:512
	v_add_f64_e32 v[6:7], v[6:7], v[89:90]
	v_add_f64_e32 v[2:3], v[2:3], v[73:74]
	v_fma_f64 v[67:68], v[67:68], v[8:9], v[75:76]
	v_fma_f64 v[8:9], v[65:66], v[8:9], -v[10:11]
	s_wait_loadcnt_dscnt 0x401
	v_mul_f64_e32 v[73:74], v[53:54], v[95:96]
	v_mul_f64_e32 v[83:84], v[55:56], v[95:96]
	v_add_f64_e32 v[6:7], v[6:7], v[91:92]
	v_add_f64_e32 v[2:3], v[2:3], v[81:82]
	s_wait_loadcnt_dscnt 0x300
	v_mul_f64_e32 v[10:11], v[69:70], v[51:52]
	v_mul_f64_e32 v[65:66], v[71:72], v[51:52]
	v_fma_f64 v[55:56], v[55:56], v[93:94], v[73:74]
	v_fma_f64 v[73:74], v[53:54], v[93:94], -v[83:84]
	v_add_f64_e32 v[67:68], v[6:7], v[67:68]
	v_add_f64_e32 v[2:3], v[2:3], v[8:9]
	ds_load_b128 v[6:9], v1 offset:528
	ds_load_b128 v[51:54], v1 offset:544
	v_fma_f64 v[10:11], v[71:72], v[49:50], v[10:11]
	v_fma_f64 v[49:50], v[69:70], v[49:50], -v[65:66]
	s_wait_loadcnt_dscnt 0x201
	v_mul_f64_e32 v[75:76], v[6:7], v[79:80]
	v_mul_f64_e32 v[79:80], v[8:9], v[79:80]
	v_add_f64_e32 v[55:56], v[67:68], v[55:56]
	v_add_f64_e32 v[2:3], v[2:3], v[73:74]
	s_wait_loadcnt_dscnt 0x100
	v_mul_f64_e32 v[65:66], v[51:52], v[59:60]
	v_mul_f64_e32 v[59:60], v[53:54], v[59:60]
	v_fma_f64 v[67:68], v[8:9], v[77:78], v[75:76]
	v_fma_f64 v[69:70], v[6:7], v[77:78], -v[79:80]
	ds_load_b128 v[6:9], v1 offset:560
	v_add_f64_e32 v[10:11], v[55:56], v[10:11]
	v_add_f64_e32 v[2:3], v[2:3], v[49:50]
	v_fma_f64 v[53:54], v[53:54], v[57:58], v[65:66]
	v_fma_f64 v[51:52], v[51:52], v[57:58], -v[59:60]
	s_wait_loadcnt_dscnt 0x0
	v_mul_f64_e32 v[49:50], v[6:7], v[63:64]
	v_mul_f64_e32 v[55:56], v[8:9], v[63:64]
	v_add_f64_e32 v[10:11], v[10:11], v[67:68]
	v_add_f64_e32 v[2:3], v[2:3], v[69:70]
	s_delay_alu instid0(VALU_DEP_4) | instskip(NEXT) | instid1(VALU_DEP_4)
	v_fma_f64 v[8:9], v[8:9], v[61:62], v[49:50]
	v_fma_f64 v[6:7], v[6:7], v[61:62], -v[55:56]
	s_delay_alu instid0(VALU_DEP_4) | instskip(NEXT) | instid1(VALU_DEP_4)
	v_add_f64_e32 v[10:11], v[10:11], v[53:54]
	v_add_f64_e32 v[2:3], v[2:3], v[51:52]
	s_delay_alu instid0(VALU_DEP_2) | instskip(NEXT) | instid1(VALU_DEP_2)
	v_add_f64_e32 v[8:9], v[10:11], v[8:9]
	v_add_f64_e32 v[2:3], v[2:3], v[6:7]
	s_delay_alu instid0(VALU_DEP_2) | instskip(NEXT) | instid1(VALU_DEP_2)
	v_add_f64_e64 v[8:9], v[87:88], -v[8:9]
	v_add_f64_e64 v[6:7], v[85:86], -v[2:3]
	scratch_store_b128 off, v[6:9], off offset:48
	v_cmpx_lt_u32_e32 1, v0
	s_cbranch_execz .LBB81_119
; %bb.118:
	scratch_load_b128 v[6:9], off, s25
	v_dual_mov_b32 v2, v1 :: v_dual_mov_b32 v3, v1
	v_mov_b32_e32 v4, v1
	scratch_store_b128 off, v[1:4], off offset:32
	s_wait_loadcnt 0x0
	ds_store_b128 v5, v[6:9]
.LBB81_119:
	s_wait_alu 0xfffe
	s_or_b32 exec_lo, exec_lo, s0
	s_wait_storecnt_dscnt 0x0
	s_barrier_signal -1
	s_barrier_wait -1
	global_inv scope:SCOPE_SE
	s_clause 0x8
	scratch_load_b128 v[6:9], off, off offset:48
	scratch_load_b128 v[49:52], off, off offset:64
	;; [unrolled: 1-line block ×9, first 2 shown]
	ds_load_b128 v[81:84], v1 offset:320
	ds_load_b128 v[85:88], v1 offset:336
	scratch_load_b128 v[89:92], off, off offset:32
	s_mov_b32 s0, exec_lo
	ds_load_b128 v[97:100], v1 offset:368
	s_wait_loadcnt_dscnt 0x902
	v_mul_f64_e32 v[2:3], v[83:84], v[8:9]
	v_mul_f64_e32 v[93:94], v[81:82], v[8:9]
	scratch_load_b128 v[8:11], off, off offset:192
	s_wait_loadcnt_dscnt 0x901
	v_mul_f64_e32 v[101:102], v[85:86], v[51:52]
	v_mul_f64_e32 v[51:52], v[87:88], v[51:52]
	v_fma_f64 v[2:3], v[81:82], v[6:7], -v[2:3]
	v_fma_f64 v[6:7], v[83:84], v[6:7], v[93:94]
	ds_load_b128 v[81:84], v1 offset:352
	scratch_load_b128 v[93:96], off, off offset:208
	v_fma_f64 v[87:88], v[87:88], v[49:50], v[101:102]
	v_fma_f64 v[85:86], v[85:86], v[49:50], -v[51:52]
	scratch_load_b128 v[49:52], off, off offset:224
	s_wait_loadcnt_dscnt 0x901
	v_mul_f64_e32 v[101:102], v[97:98], v[59:60]
	v_mul_f64_e32 v[59:60], v[99:100], v[59:60]
	s_wait_dscnt 0x0
	v_mul_f64_e32 v[103:104], v[81:82], v[55:56]
	v_mul_f64_e32 v[55:56], v[83:84], v[55:56]
	v_add_f64_e32 v[2:3], 0, v[2:3]
	v_add_f64_e32 v[6:7], 0, v[6:7]
	v_fma_f64 v[99:100], v[99:100], v[57:58], v[101:102]
	v_fma_f64 v[97:98], v[97:98], v[57:58], -v[59:60]
	scratch_load_b128 v[57:60], off, off offset:256
	v_fma_f64 v[103:104], v[83:84], v[53:54], v[103:104]
	v_fma_f64 v[105:106], v[81:82], v[53:54], -v[55:56]
	ds_load_b128 v[53:56], v1 offset:384
	scratch_load_b128 v[81:84], off, off offset:240
	v_add_f64_e32 v[2:3], v[2:3], v[85:86]
	v_add_f64_e32 v[6:7], v[6:7], v[87:88]
	ds_load_b128 v[85:88], v1 offset:400
	s_wait_loadcnt_dscnt 0xa01
	v_mul_f64_e32 v[107:108], v[53:54], v[63:64]
	v_mul_f64_e32 v[63:64], v[55:56], v[63:64]
	s_wait_loadcnt_dscnt 0x900
	v_mul_f64_e32 v[101:102], v[85:86], v[67:68]
	v_mul_f64_e32 v[67:68], v[87:88], v[67:68]
	v_add_f64_e32 v[2:3], v[2:3], v[105:106]
	v_add_f64_e32 v[6:7], v[6:7], v[103:104]
	v_fma_f64 v[103:104], v[55:56], v[61:62], v[107:108]
	v_fma_f64 v[105:106], v[53:54], v[61:62], -v[63:64]
	ds_load_b128 v[53:56], v1 offset:416
	scratch_load_b128 v[61:64], off, off offset:272
	v_fma_f64 v[87:88], v[87:88], v[65:66], v[101:102]
	v_fma_f64 v[85:86], v[85:86], v[65:66], -v[67:68]
	scratch_load_b128 v[65:68], off, off offset:288
	v_add_f64_e32 v[2:3], v[2:3], v[97:98]
	v_add_f64_e32 v[6:7], v[6:7], v[99:100]
	ds_load_b128 v[97:100], v1 offset:432
	s_wait_loadcnt_dscnt 0xa01
	v_mul_f64_e32 v[107:108], v[53:54], v[71:72]
	v_mul_f64_e32 v[71:72], v[55:56], v[71:72]
	s_wait_loadcnt_dscnt 0x900
	v_mul_f64_e32 v[101:102], v[97:98], v[75:76]
	v_mul_f64_e32 v[75:76], v[99:100], v[75:76]
	v_add_f64_e32 v[2:3], v[2:3], v[105:106]
	v_add_f64_e32 v[6:7], v[6:7], v[103:104]
	v_fma_f64 v[103:104], v[55:56], v[69:70], v[107:108]
	v_fma_f64 v[105:106], v[53:54], v[69:70], -v[71:72]
	ds_load_b128 v[53:56], v1 offset:448
	ds_load_b128 v[69:72], v1 offset:464
	v_add_f64_e32 v[2:3], v[2:3], v[85:86]
	v_add_f64_e32 v[6:7], v[6:7], v[87:88]
	s_wait_loadcnt_dscnt 0x801
	v_mul_f64_e32 v[85:86], v[53:54], v[79:80]
	v_mul_f64_e32 v[79:80], v[55:56], v[79:80]
	v_fma_f64 v[87:88], v[99:100], v[73:74], v[101:102]
	v_fma_f64 v[73:74], v[97:98], v[73:74], -v[75:76]
	v_add_f64_e32 v[2:3], v[2:3], v[105:106]
	v_add_f64_e32 v[6:7], v[6:7], v[103:104]
	v_fma_f64 v[85:86], v[55:56], v[77:78], v[85:86]
	v_fma_f64 v[77:78], v[53:54], v[77:78], -v[79:80]
	s_wait_loadcnt_dscnt 0x600
	v_mul_f64_e32 v[97:98], v[69:70], v[10:11]
	v_mul_f64_e32 v[10:11], v[71:72], v[10:11]
	v_add_f64_e32 v[2:3], v[2:3], v[73:74]
	v_add_f64_e32 v[6:7], v[6:7], v[87:88]
	ds_load_b128 v[53:56], v1 offset:480
	ds_load_b128 v[73:76], v1 offset:496
	v_fma_f64 v[71:72], v[71:72], v[8:9], v[97:98]
	v_fma_f64 v[8:9], v[69:70], v[8:9], -v[10:11]
	s_wait_loadcnt_dscnt 0x501
	v_mul_f64_e32 v[79:80], v[53:54], v[95:96]
	v_mul_f64_e32 v[87:88], v[55:56], v[95:96]
	s_wait_loadcnt_dscnt 0x400
	v_mul_f64_e32 v[10:11], v[73:74], v[51:52]
	v_mul_f64_e32 v[69:70], v[75:76], v[51:52]
	v_add_f64_e32 v[2:3], v[2:3], v[77:78]
	v_add_f64_e32 v[6:7], v[6:7], v[85:86]
	v_fma_f64 v[55:56], v[55:56], v[93:94], v[79:80]
	v_fma_f64 v[77:78], v[53:54], v[93:94], -v[87:88]
	v_fma_f64 v[10:11], v[75:76], v[49:50], v[10:11]
	v_fma_f64 v[49:50], v[73:74], v[49:50], -v[69:70]
	v_add_f64_e32 v[2:3], v[2:3], v[8:9]
	v_add_f64_e32 v[71:72], v[6:7], v[71:72]
	ds_load_b128 v[6:9], v1 offset:512
	ds_load_b128 v[51:54], v1 offset:528
	s_wait_loadcnt_dscnt 0x201
	v_mul_f64_e32 v[79:80], v[6:7], v[83:84]
	v_mul_f64_e32 v[83:84], v[8:9], v[83:84]
	s_wait_dscnt 0x0
	v_mul_f64_e32 v[69:70], v[51:52], v[59:60]
	v_mul_f64_e32 v[59:60], v[53:54], v[59:60]
	v_add_f64_e32 v[2:3], v[2:3], v[77:78]
	v_add_f64_e32 v[55:56], v[71:72], v[55:56]
	v_fma_f64 v[71:72], v[8:9], v[81:82], v[79:80]
	v_fma_f64 v[73:74], v[6:7], v[81:82], -v[83:84]
	v_fma_f64 v[53:54], v[53:54], v[57:58], v[69:70]
	v_fma_f64 v[51:52], v[51:52], v[57:58], -v[59:60]
	v_add_f64_e32 v[49:50], v[2:3], v[49:50]
	v_add_f64_e32 v[10:11], v[55:56], v[10:11]
	ds_load_b128 v[6:9], v1 offset:544
	ds_load_b128 v[1:4], v1 offset:560
	s_wait_loadcnt_dscnt 0x101
	v_mul_f64_e32 v[55:56], v[6:7], v[63:64]
	v_mul_f64_e32 v[63:64], v[8:9], v[63:64]
	s_wait_loadcnt_dscnt 0x0
	v_mul_f64_e32 v[57:58], v[1:2], v[67:68]
	v_mul_f64_e32 v[59:60], v[3:4], v[67:68]
	v_add_f64_e32 v[49:50], v[49:50], v[73:74]
	v_add_f64_e32 v[10:11], v[10:11], v[71:72]
	v_fma_f64 v[8:9], v[8:9], v[61:62], v[55:56]
	v_fma_f64 v[6:7], v[6:7], v[61:62], -v[63:64]
	v_fma_f64 v[3:4], v[3:4], v[65:66], v[57:58]
	v_fma_f64 v[1:2], v[1:2], v[65:66], -v[59:60]
	v_add_f64_e32 v[49:50], v[49:50], v[51:52]
	v_add_f64_e32 v[10:11], v[10:11], v[53:54]
	s_delay_alu instid0(VALU_DEP_2) | instskip(NEXT) | instid1(VALU_DEP_2)
	v_add_f64_e32 v[6:7], v[49:50], v[6:7]
	v_add_f64_e32 v[8:9], v[10:11], v[8:9]
	s_delay_alu instid0(VALU_DEP_2) | instskip(NEXT) | instid1(VALU_DEP_2)
	;; [unrolled: 3-line block ×3, first 2 shown]
	v_add_f64_e64 v[1:2], v[89:90], -v[1:2]
	v_add_f64_e64 v[3:4], v[91:92], -v[3:4]
	scratch_store_b128 off, v[1:4], off offset:32
	v_cmpx_ne_u32_e32 0, v0
	s_cbranch_execz .LBB81_121
; %bb.120:
	scratch_load_b128 v[0:3], off, off offset:16
	v_mov_b32_e32 v6, 0
	s_delay_alu instid0(VALU_DEP_1)
	v_dual_mov_b32 v7, v6 :: v_dual_mov_b32 v8, v6
	v_mov_b32_e32 v9, v6
	scratch_store_b128 off, v[6:9], off offset:16
	s_wait_loadcnt 0x0
	ds_store_b128 v5, v[0:3]
.LBB81_121:
	s_wait_alu 0xfffe
	s_or_b32 exec_lo, exec_lo, s0
	s_wait_storecnt_dscnt 0x0
	s_barrier_signal -1
	s_barrier_wait -1
	global_inv scope:SCOPE_SE
	s_clause 0x7
	scratch_load_b128 v[1:4], off, off offset:32
	scratch_load_b128 v[5:8], off, off offset:48
	;; [unrolled: 1-line block ×8, first 2 shown]
	v_mov_b32_e32 v0, 0
	s_and_b32 vcc_lo, exec_lo, s12
	ds_load_b128 v[69:72], v0 offset:304
	s_clause 0x1
	scratch_load_b128 v[73:76], off, off offset:160
	scratch_load_b128 v[77:80], off, off offset:16
	ds_load_b128 v[81:84], v0 offset:320
	scratch_load_b128 v[85:88], off, off offset:176
	s_wait_loadcnt_dscnt 0xa01
	v_mul_f64_e32 v[89:90], v[71:72], v[3:4]
	v_mul_f64_e32 v[3:4], v[69:70], v[3:4]
	s_delay_alu instid0(VALU_DEP_2) | instskip(NEXT) | instid1(VALU_DEP_2)
	v_fma_f64 v[95:96], v[69:70], v[1:2], -v[89:90]
	v_fma_f64 v[97:98], v[71:72], v[1:2], v[3:4]
	ds_load_b128 v[1:4], v0 offset:336
	s_wait_loadcnt_dscnt 0x901
	v_mul_f64_e32 v[93:94], v[81:82], v[7:8]
	v_mul_f64_e32 v[7:8], v[83:84], v[7:8]
	scratch_load_b128 v[69:72], off, off offset:192
	ds_load_b128 v[89:92], v0 offset:352
	s_wait_loadcnt_dscnt 0x901
	v_mul_f64_e32 v[99:100], v[1:2], v[11:12]
	v_mul_f64_e32 v[11:12], v[3:4], v[11:12]
	v_fma_f64 v[83:84], v[83:84], v[5:6], v[93:94]
	v_fma_f64 v[81:82], v[81:82], v[5:6], -v[7:8]
	v_add_f64_e32 v[93:94], 0, v[95:96]
	v_add_f64_e32 v[95:96], 0, v[97:98]
	scratch_load_b128 v[5:8], off, off offset:208
	v_fma_f64 v[99:100], v[3:4], v[9:10], v[99:100]
	v_fma_f64 v[101:102], v[1:2], v[9:10], -v[11:12]
	ds_load_b128 v[1:4], v0 offset:368
	s_wait_loadcnt_dscnt 0x901
	v_mul_f64_e32 v[97:98], v[89:90], v[51:52]
	v_mul_f64_e32 v[51:52], v[91:92], v[51:52]
	scratch_load_b128 v[9:12], off, off offset:224
	v_add_f64_e32 v[93:94], v[93:94], v[81:82]
	v_add_f64_e32 v[95:96], v[95:96], v[83:84]
	s_wait_loadcnt_dscnt 0x900
	v_mul_f64_e32 v[103:104], v[1:2], v[55:56]
	v_mul_f64_e32 v[55:56], v[3:4], v[55:56]
	ds_load_b128 v[81:84], v0 offset:384
	v_fma_f64 v[91:92], v[91:92], v[49:50], v[97:98]
	v_fma_f64 v[89:90], v[89:90], v[49:50], -v[51:52]
	scratch_load_b128 v[49:52], off, off offset:240
	v_add_f64_e32 v[93:94], v[93:94], v[101:102]
	v_add_f64_e32 v[95:96], v[95:96], v[99:100]
	v_fma_f64 v[99:100], v[3:4], v[53:54], v[103:104]
	v_fma_f64 v[101:102], v[1:2], v[53:54], -v[55:56]
	ds_load_b128 v[1:4], v0 offset:400
	s_wait_loadcnt_dscnt 0x901
	v_mul_f64_e32 v[97:98], v[81:82], v[59:60]
	v_mul_f64_e32 v[59:60], v[83:84], v[59:60]
	scratch_load_b128 v[53:56], off, off offset:256
	s_wait_loadcnt_dscnt 0x900
	v_mul_f64_e32 v[103:104], v[1:2], v[63:64]
	v_mul_f64_e32 v[63:64], v[3:4], v[63:64]
	v_add_f64_e32 v[93:94], v[93:94], v[89:90]
	v_add_f64_e32 v[95:96], v[95:96], v[91:92]
	ds_load_b128 v[89:92], v0 offset:416
	v_fma_f64 v[83:84], v[83:84], v[57:58], v[97:98]
	v_fma_f64 v[81:82], v[81:82], v[57:58], -v[59:60]
	scratch_load_b128 v[57:60], off, off offset:272
	v_add_f64_e32 v[93:94], v[93:94], v[101:102]
	v_add_f64_e32 v[95:96], v[95:96], v[99:100]
	v_fma_f64 v[99:100], v[3:4], v[61:62], v[103:104]
	v_fma_f64 v[101:102], v[1:2], v[61:62], -v[63:64]
	ds_load_b128 v[1:4], v0 offset:432
	s_wait_loadcnt_dscnt 0x901
	v_mul_f64_e32 v[97:98], v[89:90], v[67:68]
	v_mul_f64_e32 v[67:68], v[91:92], v[67:68]
	scratch_load_b128 v[61:64], off, off offset:288
	s_wait_loadcnt_dscnt 0x900
	v_mul_f64_e32 v[103:104], v[1:2], v[75:76]
	v_mul_f64_e32 v[75:76], v[3:4], v[75:76]
	v_add_f64_e32 v[93:94], v[93:94], v[81:82]
	v_add_f64_e32 v[95:96], v[95:96], v[83:84]
	ds_load_b128 v[81:84], v0 offset:448
	v_fma_f64 v[91:92], v[91:92], v[65:66], v[97:98]
	v_fma_f64 v[65:66], v[89:90], v[65:66], -v[67:68]
	v_add_f64_e32 v[67:68], v[93:94], v[101:102]
	v_add_f64_e32 v[89:90], v[95:96], v[99:100]
	s_wait_loadcnt_dscnt 0x700
	v_mul_f64_e32 v[93:94], v[81:82], v[87:88]
	v_mul_f64_e32 v[87:88], v[83:84], v[87:88]
	v_fma_f64 v[95:96], v[3:4], v[73:74], v[103:104]
	v_fma_f64 v[73:74], v[1:2], v[73:74], -v[75:76]
	v_add_f64_e32 v[75:76], v[67:68], v[65:66]
	v_add_f64_e32 v[89:90], v[89:90], v[91:92]
	ds_load_b128 v[1:4], v0 offset:464
	ds_load_b128 v[65:68], v0 offset:480
	v_fma_f64 v[83:84], v[83:84], v[85:86], v[93:94]
	v_fma_f64 v[81:82], v[81:82], v[85:86], -v[87:88]
	s_wait_loadcnt_dscnt 0x601
	v_mul_f64_e32 v[91:92], v[1:2], v[71:72]
	v_mul_f64_e32 v[71:72], v[3:4], v[71:72]
	v_add_f64_e32 v[73:74], v[75:76], v[73:74]
	v_add_f64_e32 v[75:76], v[89:90], v[95:96]
	s_wait_loadcnt_dscnt 0x500
	v_mul_f64_e32 v[85:86], v[65:66], v[7:8]
	v_mul_f64_e32 v[7:8], v[67:68], v[7:8]
	v_fma_f64 v[87:88], v[3:4], v[69:70], v[91:92]
	v_fma_f64 v[89:90], v[1:2], v[69:70], -v[71:72]
	ds_load_b128 v[1:4], v0 offset:496
	ds_load_b128 v[69:72], v0 offset:512
	v_add_f64_e32 v[73:74], v[73:74], v[81:82]
	v_add_f64_e32 v[75:76], v[75:76], v[83:84]
	s_wait_loadcnt_dscnt 0x401
	v_mul_f64_e32 v[81:82], v[1:2], v[11:12]
	v_mul_f64_e32 v[11:12], v[3:4], v[11:12]
	v_fma_f64 v[67:68], v[67:68], v[5:6], v[85:86]
	v_fma_f64 v[5:6], v[65:66], v[5:6], -v[7:8]
	v_add_f64_e32 v[7:8], v[73:74], v[89:90]
	v_add_f64_e32 v[65:66], v[75:76], v[87:88]
	s_wait_loadcnt_dscnt 0x300
	v_mul_f64_e32 v[73:74], v[69:70], v[51:52]
	v_mul_f64_e32 v[51:52], v[71:72], v[51:52]
	v_fma_f64 v[75:76], v[3:4], v[9:10], v[81:82]
	v_fma_f64 v[9:10], v[1:2], v[9:10], -v[11:12]
	v_add_f64_e32 v[11:12], v[7:8], v[5:6]
	v_add_f64_e32 v[65:66], v[65:66], v[67:68]
	ds_load_b128 v[1:4], v0 offset:528
	ds_load_b128 v[5:8], v0 offset:544
	v_fma_f64 v[71:72], v[71:72], v[49:50], v[73:74]
	v_fma_f64 v[49:50], v[69:70], v[49:50], -v[51:52]
	s_wait_loadcnt_dscnt 0x201
	v_mul_f64_e32 v[67:68], v[1:2], v[55:56]
	v_mul_f64_e32 v[55:56], v[3:4], v[55:56]
	s_wait_loadcnt_dscnt 0x100
	v_mul_f64_e32 v[51:52], v[5:6], v[59:60]
	v_mul_f64_e32 v[59:60], v[7:8], v[59:60]
	v_add_f64_e32 v[9:10], v[11:12], v[9:10]
	v_add_f64_e32 v[11:12], v[65:66], v[75:76]
	v_fma_f64 v[65:66], v[3:4], v[53:54], v[67:68]
	v_fma_f64 v[53:54], v[1:2], v[53:54], -v[55:56]
	ds_load_b128 v[1:4], v0 offset:560
	v_fma_f64 v[7:8], v[7:8], v[57:58], v[51:52]
	v_fma_f64 v[5:6], v[5:6], v[57:58], -v[59:60]
	v_add_f64_e32 v[9:10], v[9:10], v[49:50]
	v_add_f64_e32 v[11:12], v[11:12], v[71:72]
	s_wait_loadcnt_dscnt 0x0
	v_mul_f64_e32 v[49:50], v[1:2], v[63:64]
	v_mul_f64_e32 v[55:56], v[3:4], v[63:64]
	s_delay_alu instid0(VALU_DEP_4) | instskip(NEXT) | instid1(VALU_DEP_4)
	v_add_f64_e32 v[9:10], v[9:10], v[53:54]
	v_add_f64_e32 v[11:12], v[11:12], v[65:66]
	s_delay_alu instid0(VALU_DEP_4) | instskip(NEXT) | instid1(VALU_DEP_4)
	v_fma_f64 v[3:4], v[3:4], v[61:62], v[49:50]
	v_fma_f64 v[1:2], v[1:2], v[61:62], -v[55:56]
	s_delay_alu instid0(VALU_DEP_4) | instskip(NEXT) | instid1(VALU_DEP_4)
	v_add_f64_e32 v[5:6], v[9:10], v[5:6]
	v_add_f64_e32 v[7:8], v[11:12], v[7:8]
	s_delay_alu instid0(VALU_DEP_2) | instskip(NEXT) | instid1(VALU_DEP_2)
	v_add_f64_e32 v[1:2], v[5:6], v[1:2]
	v_add_f64_e32 v[3:4], v[7:8], v[3:4]
	s_delay_alu instid0(VALU_DEP_2) | instskip(NEXT) | instid1(VALU_DEP_2)
	v_add_f64_e64 v[1:2], v[77:78], -v[1:2]
	v_add_f64_e64 v[3:4], v[79:80], -v[3:4]
	scratch_store_b128 off, v[1:4], off offset:16
	s_wait_alu 0xfffe
	s_cbranch_vccz .LBB81_156
; %bb.122:
	global_load_b32 v0, v0, s[2:3] offset:64
	s_wait_loadcnt 0x0
	v_cmp_ne_u32_e32 vcc_lo, 17, v0
	s_cbranch_vccz .LBB81_124
; %bb.123:
	v_lshlrev_b32_e32 v0, 4, v0
	s_delay_alu instid0(VALU_DEP_1)
	v_add_nc_u32_e32 v8, 16, v0
	s_clause 0x1
	scratch_load_b128 v[0:3], v8, off offset:-16
	scratch_load_b128 v[4:7], off, s23
	s_wait_loadcnt 0x1
	scratch_store_b128 off, v[0:3], s23
	s_wait_loadcnt 0x0
	scratch_store_b128 v8, v[4:7], off offset:-16
.LBB81_124:
	v_mov_b32_e32 v0, 0
	global_load_b32 v1, v0, s[2:3] offset:60
	s_wait_loadcnt 0x0
	v_cmp_eq_u32_e32 vcc_lo, 16, v1
	s_cbranch_vccnz .LBB81_126
; %bb.125:
	v_lshlrev_b32_e32 v1, 4, v1
	s_delay_alu instid0(VALU_DEP_1)
	v_add_nc_u32_e32 v9, 16, v1
	s_clause 0x1
	scratch_load_b128 v[1:4], v9, off offset:-16
	scratch_load_b128 v[5:8], off, s14
	s_wait_loadcnt 0x1
	scratch_store_b128 off, v[1:4], s14
	s_wait_loadcnt 0x0
	scratch_store_b128 v9, v[5:8], off offset:-16
.LBB81_126:
	global_load_b32 v0, v0, s[2:3] offset:56
	s_wait_loadcnt 0x0
	v_cmp_eq_u32_e32 vcc_lo, 15, v0
	s_cbranch_vccnz .LBB81_128
; %bb.127:
	v_lshlrev_b32_e32 v0, 4, v0
	s_delay_alu instid0(VALU_DEP_1)
	v_add_nc_u32_e32 v8, 16, v0
	s_clause 0x1
	scratch_load_b128 v[0:3], v8, off offset:-16
	scratch_load_b128 v[4:7], off, s22
	s_wait_loadcnt 0x1
	scratch_store_b128 off, v[0:3], s22
	s_wait_loadcnt 0x0
	scratch_store_b128 v8, v[4:7], off offset:-16
.LBB81_128:
	v_mov_b32_e32 v0, 0
	global_load_b32 v1, v0, s[2:3] offset:52
	s_wait_loadcnt 0x0
	v_cmp_eq_u32_e32 vcc_lo, 14, v1
	s_cbranch_vccnz .LBB81_130
; %bb.129:
	v_lshlrev_b32_e32 v1, 4, v1
	s_delay_alu instid0(VALU_DEP_1)
	v_add_nc_u32_e32 v9, 16, v1
	s_clause 0x1
	scratch_load_b128 v[1:4], v9, off offset:-16
	scratch_load_b128 v[5:8], off, s13
	s_wait_loadcnt 0x1
	scratch_store_b128 off, v[1:4], s13
	s_wait_loadcnt 0x0
	scratch_store_b128 v9, v[5:8], off offset:-16
.LBB81_130:
	global_load_b32 v0, v0, s[2:3] offset:48
	s_wait_loadcnt 0x0
	v_cmp_eq_u32_e32 vcc_lo, 13, v0
	s_cbranch_vccnz .LBB81_132
; %bb.131:
	v_lshlrev_b32_e32 v0, 4, v0
	s_delay_alu instid0(VALU_DEP_1)
	v_add_nc_u32_e32 v8, 16, v0
	s_clause 0x1
	scratch_load_b128 v[0:3], v8, off offset:-16
	scratch_load_b128 v[4:7], off, s21
	s_wait_loadcnt 0x1
	scratch_store_b128 off, v[0:3], s21
	s_wait_loadcnt 0x0
	scratch_store_b128 v8, v[4:7], off offset:-16
.LBB81_132:
	;; [unrolled: 33-line block ×7, first 2 shown]
	v_mov_b32_e32 v0, 0
	global_load_b32 v1, v0, s[2:3] offset:4
	s_wait_loadcnt 0x0
	v_cmp_eq_u32_e32 vcc_lo, 2, v1
	s_cbranch_vccnz .LBB81_154
; %bb.153:
	v_lshlrev_b32_e32 v1, 4, v1
	s_delay_alu instid0(VALU_DEP_1)
	v_add_nc_u32_e32 v9, 16, v1
	s_clause 0x1
	scratch_load_b128 v[1:4], v9, off offset:-16
	scratch_load_b128 v[5:8], off, s25
	s_wait_loadcnt 0x1
	scratch_store_b128 off, v[1:4], s25
	s_wait_loadcnt 0x0
	scratch_store_b128 v9, v[5:8], off offset:-16
.LBB81_154:
	global_load_b32 v0, v0, s[2:3]
	s_wait_loadcnt 0x0
	v_cmp_eq_u32_e32 vcc_lo, 1, v0
	s_cbranch_vccnz .LBB81_156
; %bb.155:
	v_lshlrev_b32_e32 v0, 4, v0
	s_delay_alu instid0(VALU_DEP_1)
	v_add_nc_u32_e32 v8, 16, v0
	scratch_load_b128 v[0:3], v8, off offset:-16
	scratch_load_b128 v[4:7], off, off offset:16
	s_wait_loadcnt 0x1
	scratch_store_b128 off, v[0:3], off offset:16
	s_wait_loadcnt 0x0
	scratch_store_b128 v8, v[4:7], off offset:-16
.LBB81_156:
	scratch_load_b128 v[0:3], off, off offset:16
	s_wait_loadcnt 0x0
	flat_store_b128 v[13:14], v[0:3]
	scratch_load_b128 v[0:3], off, s25
	s_wait_loadcnt 0x0
	flat_store_b128 v[15:16], v[0:3]
	scratch_load_b128 v[0:3], off, s24
	;; [unrolled: 3-line block ×17, first 2 shown]
	s_wait_loadcnt 0x0
	flat_store_b128 v[47:48], v[0:3]
	s_nop 0
	s_sendmsg sendmsg(MSG_DEALLOC_VGPRS)
	s_endpgm
	.section	.rodata,"a",@progbits
	.p2align	6, 0x0
	.amdhsa_kernel _ZN9rocsolver6v33100L18getri_kernel_smallILi18E19rocblas_complex_numIdEPKPS3_EEvT1_iilPiilS8_bb
		.amdhsa_group_segment_fixed_size 584
		.amdhsa_private_segment_fixed_size 320
		.amdhsa_kernarg_size 60
		.amdhsa_user_sgpr_count 2
		.amdhsa_user_sgpr_dispatch_ptr 0
		.amdhsa_user_sgpr_queue_ptr 0
		.amdhsa_user_sgpr_kernarg_segment_ptr 1
		.amdhsa_user_sgpr_dispatch_id 0
		.amdhsa_user_sgpr_private_segment_size 0
		.amdhsa_wavefront_size32 1
		.amdhsa_uses_dynamic_stack 0
		.amdhsa_enable_private_segment 1
		.amdhsa_system_sgpr_workgroup_id_x 1
		.amdhsa_system_sgpr_workgroup_id_y 0
		.amdhsa_system_sgpr_workgroup_id_z 0
		.amdhsa_system_sgpr_workgroup_info 0
		.amdhsa_system_vgpr_workitem_id 0
		.amdhsa_next_free_vgpr 109
		.amdhsa_next_free_sgpr 29
		.amdhsa_reserve_vcc 1
		.amdhsa_float_round_mode_32 0
		.amdhsa_float_round_mode_16_64 0
		.amdhsa_float_denorm_mode_32 3
		.amdhsa_float_denorm_mode_16_64 3
		.amdhsa_fp16_overflow 0
		.amdhsa_workgroup_processor_mode 1
		.amdhsa_memory_ordered 1
		.amdhsa_forward_progress 1
		.amdhsa_inst_pref_size 165
		.amdhsa_round_robin_scheduling 0
		.amdhsa_exception_fp_ieee_invalid_op 0
		.amdhsa_exception_fp_denorm_src 0
		.amdhsa_exception_fp_ieee_div_zero 0
		.amdhsa_exception_fp_ieee_overflow 0
		.amdhsa_exception_fp_ieee_underflow 0
		.amdhsa_exception_fp_ieee_inexact 0
		.amdhsa_exception_int_div_zero 0
	.end_amdhsa_kernel
	.section	.text._ZN9rocsolver6v33100L18getri_kernel_smallILi18E19rocblas_complex_numIdEPKPS3_EEvT1_iilPiilS8_bb,"axG",@progbits,_ZN9rocsolver6v33100L18getri_kernel_smallILi18E19rocblas_complex_numIdEPKPS3_EEvT1_iilPiilS8_bb,comdat
.Lfunc_end81:
	.size	_ZN9rocsolver6v33100L18getri_kernel_smallILi18E19rocblas_complex_numIdEPKPS3_EEvT1_iilPiilS8_bb, .Lfunc_end81-_ZN9rocsolver6v33100L18getri_kernel_smallILi18E19rocblas_complex_numIdEPKPS3_EEvT1_iilPiilS8_bb
                                        ; -- End function
	.set _ZN9rocsolver6v33100L18getri_kernel_smallILi18E19rocblas_complex_numIdEPKPS3_EEvT1_iilPiilS8_bb.num_vgpr, 109
	.set _ZN9rocsolver6v33100L18getri_kernel_smallILi18E19rocblas_complex_numIdEPKPS3_EEvT1_iilPiilS8_bb.num_agpr, 0
	.set _ZN9rocsolver6v33100L18getri_kernel_smallILi18E19rocblas_complex_numIdEPKPS3_EEvT1_iilPiilS8_bb.numbered_sgpr, 29
	.set _ZN9rocsolver6v33100L18getri_kernel_smallILi18E19rocblas_complex_numIdEPKPS3_EEvT1_iilPiilS8_bb.num_named_barrier, 0
	.set _ZN9rocsolver6v33100L18getri_kernel_smallILi18E19rocblas_complex_numIdEPKPS3_EEvT1_iilPiilS8_bb.private_seg_size, 320
	.set _ZN9rocsolver6v33100L18getri_kernel_smallILi18E19rocblas_complex_numIdEPKPS3_EEvT1_iilPiilS8_bb.uses_vcc, 1
	.set _ZN9rocsolver6v33100L18getri_kernel_smallILi18E19rocblas_complex_numIdEPKPS3_EEvT1_iilPiilS8_bb.uses_flat_scratch, 1
	.set _ZN9rocsolver6v33100L18getri_kernel_smallILi18E19rocblas_complex_numIdEPKPS3_EEvT1_iilPiilS8_bb.has_dyn_sized_stack, 0
	.set _ZN9rocsolver6v33100L18getri_kernel_smallILi18E19rocblas_complex_numIdEPKPS3_EEvT1_iilPiilS8_bb.has_recursion, 0
	.set _ZN9rocsolver6v33100L18getri_kernel_smallILi18E19rocblas_complex_numIdEPKPS3_EEvT1_iilPiilS8_bb.has_indirect_call, 0
	.section	.AMDGPU.csdata,"",@progbits
; Kernel info:
; codeLenInByte = 21032
; TotalNumSgprs: 31
; NumVgprs: 109
; ScratchSize: 320
; MemoryBound: 0
; FloatMode: 240
; IeeeMode: 1
; LDSByteSize: 584 bytes/workgroup (compile time only)
; SGPRBlocks: 0
; VGPRBlocks: 13
; NumSGPRsForWavesPerEU: 31
; NumVGPRsForWavesPerEU: 109
; Occupancy: 12
; WaveLimiterHint : 1
; COMPUTE_PGM_RSRC2:SCRATCH_EN: 1
; COMPUTE_PGM_RSRC2:USER_SGPR: 2
; COMPUTE_PGM_RSRC2:TRAP_HANDLER: 0
; COMPUTE_PGM_RSRC2:TGID_X_EN: 1
; COMPUTE_PGM_RSRC2:TGID_Y_EN: 0
; COMPUTE_PGM_RSRC2:TGID_Z_EN: 0
; COMPUTE_PGM_RSRC2:TIDIG_COMP_CNT: 0
	.section	.text._ZN9rocsolver6v33100L18getri_kernel_smallILi19E19rocblas_complex_numIdEPKPS3_EEvT1_iilPiilS8_bb,"axG",@progbits,_ZN9rocsolver6v33100L18getri_kernel_smallILi19E19rocblas_complex_numIdEPKPS3_EEvT1_iilPiilS8_bb,comdat
	.globl	_ZN9rocsolver6v33100L18getri_kernel_smallILi19E19rocblas_complex_numIdEPKPS3_EEvT1_iilPiilS8_bb ; -- Begin function _ZN9rocsolver6v33100L18getri_kernel_smallILi19E19rocblas_complex_numIdEPKPS3_EEvT1_iilPiilS8_bb
	.p2align	8
	.type	_ZN9rocsolver6v33100L18getri_kernel_smallILi19E19rocblas_complex_numIdEPKPS3_EEvT1_iilPiilS8_bb,@function
_ZN9rocsolver6v33100L18getri_kernel_smallILi19E19rocblas_complex_numIdEPKPS3_EEvT1_iilPiilS8_bb: ; @_ZN9rocsolver6v33100L18getri_kernel_smallILi19E19rocblas_complex_numIdEPKPS3_EEvT1_iilPiilS8_bb
; %bb.0:
	s_mov_b32 s2, exec_lo
	v_cmpx_gt_u32_e32 19, v0
	s_cbranch_execz .LBB82_90
; %bb.1:
	s_clause 0x1
	s_load_b32 s13, s[0:1], 0x38
	s_load_b64 s[2:3], s[0:1], 0x0
	s_mov_b32 s8, ttmp9
	s_load_b128 s[4:7], s[0:1], 0x28
	s_wait_kmcnt 0x0
	s_bitcmp1_b32 s13, 8
	s_cselect_b32 s12, -1, 0
	s_ashr_i32 s9, ttmp9, 31
	s_delay_alu instid0(SALU_CYCLE_1) | instskip(NEXT) | instid1(SALU_CYCLE_1)
	s_lshl_b64 s[10:11], s[8:9], 3
	s_add_nc_u64 s[2:3], s[2:3], s[10:11]
	s_load_b64 s[10:11], s[2:3], 0x0
	s_bfe_u32 s2, s13, 0x10008
	s_delay_alu instid0(SALU_CYCLE_1)
	s_cmp_eq_u32 s2, 0
                                        ; implicit-def: $sgpr2_sgpr3
	s_cbranch_scc1 .LBB82_3
; %bb.2:
	s_load_b96 s[16:18], s[0:1], 0x18
	s_mul_u64 s[2:3], s[4:5], s[8:9]
	s_delay_alu instid0(SALU_CYCLE_1)
	s_lshl_b64 s[2:3], s[2:3], 2
	s_wait_kmcnt 0x0
	s_ashr_i32 s5, s18, 31
	s_mov_b32 s4, s18
	s_add_nc_u64 s[2:3], s[16:17], s[2:3]
	s_lshl_b64 s[4:5], s[4:5], 2
	s_delay_alu instid0(SALU_CYCLE_1)
	s_add_nc_u64 s[2:3], s[2:3], s[4:5]
.LBB82_3:
	s_clause 0x1
	s_load_b64 s[4:5], s[0:1], 0x8
	s_load_b32 s27, s[0:1], 0x38
	v_lshlrev_b32_e32 v51, 4, v0
	s_mov_b32 s26, 32
	s_mov_b32 s25, 48
	;; [unrolled: 1-line block ×3, first 2 shown]
	s_wait_kmcnt 0x0
	s_ashr_i32 s1, s4, 31
	s_mov_b32 s0, s4
	v_add3_u32 v5, s5, s5, v0
	s_lshl_b64 s[0:1], s[0:1], 4
	s_delay_alu instid0(SALU_CYCLE_1)
	s_add_nc_u64 s[0:1], s[10:11], s[0:1]
	s_ashr_i32 s11, s5, 31
	v_add_co_u32 v13, s4, s0, v51
	s_wait_alu 0xf1ff
	v_add_co_ci_u32_e64 v14, null, s1, 0, s4
	s_mov_b32 s10, s5
	v_ashrrev_i32_e32 v6, 31, v5
	s_lshl_b64 s[10:11], s[10:11], 4
	flat_load_b128 v[1:4], v[13:14]
	v_add_co_u32 v15, vcc_lo, v13, s10
	s_delay_alu instid0(VALU_DEP_1) | instskip(SKIP_3) | instid1(VALU_DEP_2)
	v_add_co_ci_u32_e64 v16, null, s11, v14, vcc_lo
	v_lshlrev_b64_e32 v[6:7], 4, v[5:6]
	v_add_nc_u32_e32 v5, s5, v5
	s_movk_i32 s4, 0x50
	v_add_co_u32 v17, vcc_lo, s0, v6
	s_wait_alu 0xfffd
	s_delay_alu instid0(VALU_DEP_3) | instskip(SKIP_1) | instid1(VALU_DEP_1)
	v_add_co_ci_u32_e64 v18, null, s1, v7, vcc_lo
	v_ashrrev_i32_e32 v6, 31, v5
	v_lshlrev_b64_e32 v[6:7], 4, v[5:6]
	v_add_nc_u32_e32 v5, s5, v5
	s_delay_alu instid0(VALU_DEP_2) | instskip(SKIP_1) | instid1(VALU_DEP_3)
	v_add_co_u32 v19, vcc_lo, s0, v6
	s_wait_alu 0xfffd
	v_add_co_ci_u32_e64 v20, null, s1, v7, vcc_lo
	s_delay_alu instid0(VALU_DEP_3) | instskip(NEXT) | instid1(VALU_DEP_1)
	v_ashrrev_i32_e32 v6, 31, v5
	v_lshlrev_b64_e32 v[6:7], 4, v[5:6]
	v_add_nc_u32_e32 v5, s5, v5
	s_delay_alu instid0(VALU_DEP_2) | instskip(SKIP_1) | instid1(VALU_DEP_3)
	v_add_co_u32 v21, vcc_lo, s0, v6
	s_wait_alu 0xfffd
	v_add_co_ci_u32_e64 v22, null, s1, v7, vcc_lo
	s_delay_alu instid0(VALU_DEP_3) | instskip(NEXT) | instid1(VALU_DEP_1)
	;; [unrolled: 8-line block ×15, first 2 shown]
	v_ashrrev_i32_e32 v6, 31, v5
	v_lshlrev_b64_e32 v[5:6], 4, v[5:6]
	s_delay_alu instid0(VALU_DEP_1) | instskip(SKIP_1) | instid1(VALU_DEP_2)
	v_add_co_u32 v49, vcc_lo, s0, v5
	s_wait_alu 0xfffd
	v_add_co_ci_u32_e64 v50, null, s1, v6, vcc_lo
	s_movk_i32 s0, 0x50
	s_movk_i32 s1, 0x60
	s_wait_alu 0xfffe
	s_add_co_i32 s18, s0, 16
	s_add_co_i32 s5, s1, 16
	s_movk_i32 s0, 0x70
	s_movk_i32 s1, 0x80
	s_wait_alu 0xfffe
	s_add_co_i32 s19, s0, 16
	s_add_co_i32 s10, s1, 16
	s_movk_i32 s0, 0x90
	s_movk_i32 s1, 0xa0
	s_wait_alu 0xfffe
	s_add_co_i32 s20, s0, 16
	s_add_co_i32 s11, s1, 16
	s_movk_i32 s0, 0xb0
	s_movk_i32 s1, 0xc0
	s_wait_alu 0xfffe
	s_add_co_i32 s21, s0, 16
	s_add_co_i32 s13, s1, 16
	s_movk_i32 s0, 0xd0
	s_movk_i32 s1, 0xe0
	s_wait_alu 0xfffe
	s_add_co_i32 s22, s0, 16
	s_add_co_i32 s14, s1, 16
	s_movk_i32 s0, 0xf0
	s_movk_i32 s1, 0x100
	s_wait_alu 0xfffe
	s_add_co_i32 s23, s0, 16
	s_add_co_i32 s15, s1, 16
	s_movk_i32 s0, 0x110
	s_movk_i32 s1, 0x120
	s_wait_alu 0xfffe
	s_add_co_i32 s24, s0, 16
	s_add_co_i32 s16, s1, 16
	s_bitcmp0_b32 s27, 0
	s_mov_b32 s1, -1
	s_wait_loadcnt_dscnt 0x0
	scratch_store_b128 off, v[1:4], off offset:16
	flat_load_b128 v[1:4], v[15:16]
	s_wait_loadcnt_dscnt 0x0
	scratch_store_b128 off, v[1:4], off offset:32
	flat_load_b128 v[1:4], v[17:18]
	;; [unrolled: 3-line block ×18, first 2 shown]
	s_wait_loadcnt_dscnt 0x0
	scratch_store_b128 off, v[1:4], off offset:304
	s_cbranch_scc1 .LBB82_88
; %bb.4:
	v_cmp_eq_u32_e64 s0, 0, v0
	s_and_saveexec_b32 s1, s0
; %bb.5:
	v_mov_b32_e32 v1, 0
	ds_store_b32 v1, v1 offset:608
; %bb.6:
	s_wait_alu 0xfffe
	s_or_b32 exec_lo, exec_lo, s1
	s_wait_storecnt_dscnt 0x0
	s_barrier_signal -1
	s_barrier_wait -1
	global_inv scope:SCOPE_SE
	scratch_load_b128 v[1:4], v51, off offset:16
	s_wait_loadcnt 0x0
	v_cmp_eq_f64_e32 vcc_lo, 0, v[1:2]
	v_cmp_eq_f64_e64 s1, 0, v[3:4]
	s_and_b32 s1, vcc_lo, s1
	s_wait_alu 0xfffe
	s_and_saveexec_b32 s27, s1
	s_cbranch_execz .LBB82_10
; %bb.7:
	v_mov_b32_e32 v1, 0
	s_mov_b32 s28, 0
	ds_load_b32 v2, v1 offset:608
	s_wait_dscnt 0x0
	v_readfirstlane_b32 s1, v2
	v_add_nc_u32_e32 v2, 1, v0
	s_cmp_eq_u32 s1, 0
	s_delay_alu instid0(VALU_DEP_1) | instskip(SKIP_1) | instid1(SALU_CYCLE_1)
	v_cmp_gt_i32_e32 vcc_lo, s1, v2
	s_cselect_b32 s29, -1, 0
	s_or_b32 s29, s29, vcc_lo
	s_delay_alu instid0(SALU_CYCLE_1)
	s_and_b32 exec_lo, exec_lo, s29
	s_cbranch_execz .LBB82_10
; %bb.8:
	v_mov_b32_e32 v3, s1
.LBB82_9:                               ; =>This Inner Loop Header: Depth=1
	ds_cmpstore_rtn_b32 v3, v1, v2, v3 offset:608
	s_wait_dscnt 0x0
	v_cmp_ne_u32_e32 vcc_lo, 0, v3
	v_cmp_le_i32_e64 s1, v3, v2
	s_and_b32 s1, vcc_lo, s1
	s_wait_alu 0xfffe
	s_and_b32 s1, exec_lo, s1
	s_wait_alu 0xfffe
	s_or_b32 s28, s1, s28
	s_delay_alu instid0(SALU_CYCLE_1)
	s_and_not1_b32 exec_lo, exec_lo, s28
	s_cbranch_execnz .LBB82_9
.LBB82_10:
	s_or_b32 exec_lo, exec_lo, s27
	v_mov_b32_e32 v1, 0
	s_barrier_signal -1
	s_barrier_wait -1
	global_inv scope:SCOPE_SE
	ds_load_b32 v2, v1 offset:608
	s_and_saveexec_b32 s1, s0
	s_cbranch_execz .LBB82_12
; %bb.11:
	s_lshl_b64 s[28:29], s[8:9], 2
	s_delay_alu instid0(SALU_CYCLE_1)
	s_add_nc_u64 s[28:29], s[6:7], s[28:29]
	s_wait_dscnt 0x0
	global_store_b32 v1, v2, s[28:29]
.LBB82_12:
	s_wait_alu 0xfffe
	s_or_b32 exec_lo, exec_lo, s1
	s_wait_dscnt 0x0
	v_cmp_ne_u32_e32 vcc_lo, 0, v2
	s_mov_b32 s1, 0
	s_cbranch_vccnz .LBB82_88
; %bb.13:
	v_add_nc_u32_e32 v52, 16, v51
                                        ; implicit-def: $vgpr1_vgpr2
                                        ; implicit-def: $vgpr9_vgpr10
	scratch_load_b128 v[5:8], v52, off
	s_wait_loadcnt 0x0
	v_cmp_ngt_f64_e64 s1, |v[5:6]|, |v[7:8]|
	s_wait_alu 0xfffe
	s_and_saveexec_b32 s27, s1
	s_delay_alu instid0(SALU_CYCLE_1)
	s_xor_b32 s1, exec_lo, s27
	s_cbranch_execz .LBB82_15
; %bb.14:
	v_div_scale_f64 v[1:2], null, v[7:8], v[7:8], v[5:6]
	v_div_scale_f64 v[11:12], vcc_lo, v[5:6], v[7:8], v[5:6]
	s_delay_alu instid0(VALU_DEP_2) | instskip(NEXT) | instid1(TRANS32_DEP_1)
	v_rcp_f64_e32 v[3:4], v[1:2]
	v_fma_f64 v[9:10], -v[1:2], v[3:4], 1.0
	s_delay_alu instid0(VALU_DEP_1) | instskip(NEXT) | instid1(VALU_DEP_1)
	v_fma_f64 v[3:4], v[3:4], v[9:10], v[3:4]
	v_fma_f64 v[9:10], -v[1:2], v[3:4], 1.0
	s_delay_alu instid0(VALU_DEP_1) | instskip(NEXT) | instid1(VALU_DEP_1)
	v_fma_f64 v[3:4], v[3:4], v[9:10], v[3:4]
	v_mul_f64_e32 v[9:10], v[11:12], v[3:4]
	s_delay_alu instid0(VALU_DEP_1) | instskip(SKIP_1) | instid1(VALU_DEP_1)
	v_fma_f64 v[1:2], -v[1:2], v[9:10], v[11:12]
	s_wait_alu 0xfffd
	v_div_fmas_f64 v[1:2], v[1:2], v[3:4], v[9:10]
	s_delay_alu instid0(VALU_DEP_1) | instskip(NEXT) | instid1(VALU_DEP_1)
	v_div_fixup_f64 v[1:2], v[1:2], v[7:8], v[5:6]
	v_fma_f64 v[3:4], v[5:6], v[1:2], v[7:8]
	s_delay_alu instid0(VALU_DEP_1) | instskip(SKIP_1) | instid1(VALU_DEP_2)
	v_div_scale_f64 v[5:6], null, v[3:4], v[3:4], 1.0
	v_div_scale_f64 v[11:12], vcc_lo, 1.0, v[3:4], 1.0
	v_rcp_f64_e32 v[7:8], v[5:6]
	s_delay_alu instid0(TRANS32_DEP_1) | instskip(NEXT) | instid1(VALU_DEP_1)
	v_fma_f64 v[9:10], -v[5:6], v[7:8], 1.0
	v_fma_f64 v[7:8], v[7:8], v[9:10], v[7:8]
	s_delay_alu instid0(VALU_DEP_1) | instskip(NEXT) | instid1(VALU_DEP_1)
	v_fma_f64 v[9:10], -v[5:6], v[7:8], 1.0
	v_fma_f64 v[7:8], v[7:8], v[9:10], v[7:8]
	s_delay_alu instid0(VALU_DEP_1) | instskip(NEXT) | instid1(VALU_DEP_1)
	v_mul_f64_e32 v[9:10], v[11:12], v[7:8]
	v_fma_f64 v[5:6], -v[5:6], v[9:10], v[11:12]
	s_wait_alu 0xfffd
	s_delay_alu instid0(VALU_DEP_1) | instskip(NEXT) | instid1(VALU_DEP_1)
	v_div_fmas_f64 v[5:6], v[5:6], v[7:8], v[9:10]
	v_div_fixup_f64 v[3:4], v[5:6], v[3:4], 1.0
                                        ; implicit-def: $vgpr5_vgpr6
	s_delay_alu instid0(VALU_DEP_1) | instskip(SKIP_1) | instid1(VALU_DEP_2)
	v_mul_f64_e32 v[1:2], v[1:2], v[3:4]
	v_xor_b32_e32 v4, 0x80000000, v4
	v_xor_b32_e32 v10, 0x80000000, v2
	s_delay_alu instid0(VALU_DEP_3)
	v_mov_b32_e32 v9, v1
.LBB82_15:
	s_wait_alu 0xfffe
	s_and_not1_saveexec_b32 s1, s1
	s_cbranch_execz .LBB82_17
; %bb.16:
	v_div_scale_f64 v[1:2], null, v[5:6], v[5:6], v[7:8]
	v_div_scale_f64 v[11:12], vcc_lo, v[7:8], v[5:6], v[7:8]
	s_delay_alu instid0(VALU_DEP_2) | instskip(NEXT) | instid1(TRANS32_DEP_1)
	v_rcp_f64_e32 v[3:4], v[1:2]
	v_fma_f64 v[9:10], -v[1:2], v[3:4], 1.0
	s_delay_alu instid0(VALU_DEP_1) | instskip(NEXT) | instid1(VALU_DEP_1)
	v_fma_f64 v[3:4], v[3:4], v[9:10], v[3:4]
	v_fma_f64 v[9:10], -v[1:2], v[3:4], 1.0
	s_delay_alu instid0(VALU_DEP_1) | instskip(NEXT) | instid1(VALU_DEP_1)
	v_fma_f64 v[3:4], v[3:4], v[9:10], v[3:4]
	v_mul_f64_e32 v[9:10], v[11:12], v[3:4]
	s_delay_alu instid0(VALU_DEP_1) | instskip(SKIP_1) | instid1(VALU_DEP_1)
	v_fma_f64 v[1:2], -v[1:2], v[9:10], v[11:12]
	s_wait_alu 0xfffd
	v_div_fmas_f64 v[1:2], v[1:2], v[3:4], v[9:10]
	s_delay_alu instid0(VALU_DEP_1) | instskip(NEXT) | instid1(VALU_DEP_1)
	v_div_fixup_f64 v[3:4], v[1:2], v[5:6], v[7:8]
	v_fma_f64 v[1:2], v[7:8], v[3:4], v[5:6]
	s_delay_alu instid0(VALU_DEP_1) | instskip(NEXT) | instid1(VALU_DEP_1)
	v_div_scale_f64 v[5:6], null, v[1:2], v[1:2], 1.0
	v_rcp_f64_e32 v[7:8], v[5:6]
	s_delay_alu instid0(TRANS32_DEP_1) | instskip(NEXT) | instid1(VALU_DEP_1)
	v_fma_f64 v[9:10], -v[5:6], v[7:8], 1.0
	v_fma_f64 v[7:8], v[7:8], v[9:10], v[7:8]
	s_delay_alu instid0(VALU_DEP_1) | instskip(NEXT) | instid1(VALU_DEP_1)
	v_fma_f64 v[9:10], -v[5:6], v[7:8], 1.0
	v_fma_f64 v[7:8], v[7:8], v[9:10], v[7:8]
	v_div_scale_f64 v[9:10], vcc_lo, 1.0, v[1:2], 1.0
	s_delay_alu instid0(VALU_DEP_1) | instskip(NEXT) | instid1(VALU_DEP_1)
	v_mul_f64_e32 v[11:12], v[9:10], v[7:8]
	v_fma_f64 v[5:6], -v[5:6], v[11:12], v[9:10]
	s_wait_alu 0xfffd
	s_delay_alu instid0(VALU_DEP_1) | instskip(NEXT) | instid1(VALU_DEP_1)
	v_div_fmas_f64 v[5:6], v[5:6], v[7:8], v[11:12]
	v_div_fixup_f64 v[1:2], v[5:6], v[1:2], 1.0
	s_delay_alu instid0(VALU_DEP_1)
	v_mul_f64_e64 v[3:4], v[3:4], -v[1:2]
	v_xor_b32_e32 v10, 0x80000000, v2
	v_mov_b32_e32 v9, v1
.LBB82_17:
	s_wait_alu 0xfffe
	s_or_b32 exec_lo, exec_lo, s1
	scratch_store_b128 v52, v[1:4], off
	scratch_load_b128 v[53:56], off, s26
	v_xor_b32_e32 v12, 0x80000000, v4
	v_mov_b32_e32 v11, v3
	v_add_nc_u32_e32 v5, 0x130, v51
	ds_store_b128 v51, v[9:12]
	s_wait_loadcnt 0x0
	ds_store_b128 v51, v[53:56] offset:304
	s_wait_storecnt_dscnt 0x0
	s_barrier_signal -1
	s_barrier_wait -1
	global_inv scope:SCOPE_SE
	s_and_saveexec_b32 s1, s0
	s_cbranch_execz .LBB82_19
; %bb.18:
	scratch_load_b128 v[1:4], v52, off
	ds_load_b128 v[6:9], v5
	v_mov_b32_e32 v10, 0
	ds_load_b128 v[53:56], v10 offset:16
	s_wait_loadcnt_dscnt 0x1
	v_mul_f64_e32 v[10:11], v[6:7], v[3:4]
	v_mul_f64_e32 v[3:4], v[8:9], v[3:4]
	s_delay_alu instid0(VALU_DEP_2) | instskip(NEXT) | instid1(VALU_DEP_2)
	v_fma_f64 v[8:9], v[8:9], v[1:2], v[10:11]
	v_fma_f64 v[1:2], v[6:7], v[1:2], -v[3:4]
	s_delay_alu instid0(VALU_DEP_2) | instskip(NEXT) | instid1(VALU_DEP_2)
	v_add_f64_e32 v[3:4], 0, v[8:9]
	v_add_f64_e32 v[1:2], 0, v[1:2]
	s_wait_dscnt 0x0
	s_delay_alu instid0(VALU_DEP_2) | instskip(NEXT) | instid1(VALU_DEP_2)
	v_mul_f64_e32 v[6:7], v[3:4], v[55:56]
	v_mul_f64_e32 v[8:9], v[1:2], v[55:56]
	s_delay_alu instid0(VALU_DEP_2) | instskip(NEXT) | instid1(VALU_DEP_2)
	v_fma_f64 v[1:2], v[1:2], v[53:54], -v[6:7]
	v_fma_f64 v[3:4], v[3:4], v[53:54], v[8:9]
	scratch_store_b128 off, v[1:4], off offset:32
.LBB82_19:
	s_wait_alu 0xfffe
	s_or_b32 exec_lo, exec_lo, s1
	s_wait_loadcnt 0x0
	s_wait_storecnt 0x0
	s_barrier_signal -1
	s_barrier_wait -1
	global_inv scope:SCOPE_SE
	scratch_load_b128 v[1:4], off, s25
	s_mov_b32 s1, exec_lo
	s_wait_loadcnt 0x0
	ds_store_b128 v5, v[1:4]
	s_wait_dscnt 0x0
	s_barrier_signal -1
	s_barrier_wait -1
	global_inv scope:SCOPE_SE
	v_cmpx_gt_u32_e32 2, v0
	s_cbranch_execz .LBB82_23
; %bb.20:
	scratch_load_b128 v[1:4], v52, off
	ds_load_b128 v[6:9], v5
	s_wait_loadcnt_dscnt 0x0
	v_mul_f64_e32 v[10:11], v[8:9], v[3:4]
	v_mul_f64_e32 v[3:4], v[6:7], v[3:4]
	s_delay_alu instid0(VALU_DEP_2) | instskip(NEXT) | instid1(VALU_DEP_2)
	v_fma_f64 v[6:7], v[6:7], v[1:2], -v[10:11]
	v_fma_f64 v[3:4], v[8:9], v[1:2], v[3:4]
	s_delay_alu instid0(VALU_DEP_2) | instskip(NEXT) | instid1(VALU_DEP_2)
	v_add_f64_e32 v[1:2], 0, v[6:7]
	v_add_f64_e32 v[3:4], 0, v[3:4]
	s_and_saveexec_b32 s27, s0
	s_cbranch_execz .LBB82_22
; %bb.21:
	scratch_load_b128 v[6:9], off, off offset:32
	v_mov_b32_e32 v10, 0
	ds_load_b128 v[53:56], v10 offset:320
	s_wait_loadcnt_dscnt 0x0
	v_mul_f64_e32 v[10:11], v[53:54], v[8:9]
	v_mul_f64_e32 v[8:9], v[55:56], v[8:9]
	s_delay_alu instid0(VALU_DEP_2) | instskip(NEXT) | instid1(VALU_DEP_2)
	v_fma_f64 v[10:11], v[55:56], v[6:7], v[10:11]
	v_fma_f64 v[6:7], v[53:54], v[6:7], -v[8:9]
	s_delay_alu instid0(VALU_DEP_2) | instskip(NEXT) | instid1(VALU_DEP_2)
	v_add_f64_e32 v[3:4], v[3:4], v[10:11]
	v_add_f64_e32 v[1:2], v[1:2], v[6:7]
.LBB82_22:
	s_or_b32 exec_lo, exec_lo, s27
	v_mov_b32_e32 v6, 0
	ds_load_b128 v[6:9], v6 offset:32
	s_wait_dscnt 0x0
	v_mul_f64_e32 v[10:11], v[3:4], v[8:9]
	v_mul_f64_e32 v[8:9], v[1:2], v[8:9]
	s_delay_alu instid0(VALU_DEP_2) | instskip(NEXT) | instid1(VALU_DEP_2)
	v_fma_f64 v[1:2], v[1:2], v[6:7], -v[10:11]
	v_fma_f64 v[3:4], v[3:4], v[6:7], v[8:9]
	scratch_store_b128 off, v[1:4], off offset:48
.LBB82_23:
	s_wait_alu 0xfffe
	s_or_b32 exec_lo, exec_lo, s1
	s_wait_loadcnt 0x0
	s_wait_storecnt 0x0
	s_barrier_signal -1
	s_barrier_wait -1
	global_inv scope:SCOPE_SE
	scratch_load_b128 v[1:4], off, s17
	v_add_nc_u32_e32 v6, -1, v0
	s_mov_b32 s0, exec_lo
	s_wait_loadcnt 0x0
	ds_store_b128 v5, v[1:4]
	s_wait_dscnt 0x0
	s_barrier_signal -1
	s_barrier_wait -1
	global_inv scope:SCOPE_SE
	v_cmpx_gt_u32_e32 3, v0
	s_cbranch_execz .LBB82_27
; %bb.24:
	v_dual_mov_b32 v1, 0 :: v_dual_add_nc_u32 v8, 0x130, v51
	v_mov_b32_e32 v3, 0
	v_dual_mov_b32 v2, 0 :: v_dual_add_nc_u32 v7, -1, v0
	v_mov_b32_e32 v4, 0
	v_or_b32_e32 v9, 8, v52
	s_mov_b32 s1, 0
.LBB82_25:                              ; =>This Inner Loop Header: Depth=1
	scratch_load_b128 v[53:56], v9, off offset:-8
	ds_load_b128 v[57:60], v8
	v_add_nc_u32_e32 v7, 1, v7
	v_add_nc_u32_e32 v8, 16, v8
	v_add_nc_u32_e32 v9, 16, v9
	s_delay_alu instid0(VALU_DEP_3)
	v_cmp_lt_u32_e32 vcc_lo, 1, v7
	s_wait_alu 0xfffe
	s_or_b32 s1, vcc_lo, s1
	s_wait_loadcnt_dscnt 0x0
	v_mul_f64_e32 v[10:11], v[59:60], v[55:56]
	v_mul_f64_e32 v[55:56], v[57:58], v[55:56]
	s_delay_alu instid0(VALU_DEP_2) | instskip(NEXT) | instid1(VALU_DEP_2)
	v_fma_f64 v[10:11], v[57:58], v[53:54], -v[10:11]
	v_fma_f64 v[53:54], v[59:60], v[53:54], v[55:56]
	s_delay_alu instid0(VALU_DEP_2) | instskip(NEXT) | instid1(VALU_DEP_2)
	v_add_f64_e32 v[3:4], v[3:4], v[10:11]
	v_add_f64_e32 v[1:2], v[1:2], v[53:54]
	s_wait_alu 0xfffe
	s_and_not1_b32 exec_lo, exec_lo, s1
	s_cbranch_execnz .LBB82_25
; %bb.26:
	s_or_b32 exec_lo, exec_lo, s1
	v_mov_b32_e32 v7, 0
	ds_load_b128 v[7:10], v7 offset:48
	s_wait_dscnt 0x0
	v_mul_f64_e32 v[11:12], v[1:2], v[9:10]
	v_mul_f64_e32 v[53:54], v[3:4], v[9:10]
	s_delay_alu instid0(VALU_DEP_2) | instskip(NEXT) | instid1(VALU_DEP_2)
	v_fma_f64 v[9:10], v[3:4], v[7:8], -v[11:12]
	v_fma_f64 v[11:12], v[1:2], v[7:8], v[53:54]
	scratch_store_b128 off, v[9:12], off offset:64
.LBB82_27:
	s_wait_alu 0xfffe
	s_or_b32 exec_lo, exec_lo, s0
	s_wait_loadcnt 0x0
	s_wait_storecnt 0x0
	s_barrier_signal -1
	s_barrier_wait -1
	global_inv scope:SCOPE_SE
	scratch_load_b128 v[1:4], off, s4
	s_mov_b32 s0, exec_lo
	s_wait_loadcnt 0x0
	ds_store_b128 v5, v[1:4]
	s_wait_dscnt 0x0
	s_barrier_signal -1
	s_barrier_wait -1
	global_inv scope:SCOPE_SE
	v_cmpx_gt_u32_e32 4, v0
	s_cbranch_execz .LBB82_31
; %bb.28:
	v_dual_mov_b32 v1, 0 :: v_dual_add_nc_u32 v8, 0x130, v51
	v_mov_b32_e32 v3, 0
	v_dual_mov_b32 v2, 0 :: v_dual_add_nc_u32 v7, -1, v0
	v_mov_b32_e32 v4, 0
	v_or_b32_e32 v9, 8, v52
	s_mov_b32 s1, 0
.LBB82_29:                              ; =>This Inner Loop Header: Depth=1
	scratch_load_b128 v[53:56], v9, off offset:-8
	ds_load_b128 v[57:60], v8
	v_add_nc_u32_e32 v7, 1, v7
	v_add_nc_u32_e32 v8, 16, v8
	v_add_nc_u32_e32 v9, 16, v9
	s_delay_alu instid0(VALU_DEP_3)
	v_cmp_lt_u32_e32 vcc_lo, 2, v7
	s_wait_alu 0xfffe
	s_or_b32 s1, vcc_lo, s1
	s_wait_loadcnt_dscnt 0x0
	v_mul_f64_e32 v[10:11], v[59:60], v[55:56]
	v_mul_f64_e32 v[55:56], v[57:58], v[55:56]
	s_delay_alu instid0(VALU_DEP_2) | instskip(NEXT) | instid1(VALU_DEP_2)
	v_fma_f64 v[10:11], v[57:58], v[53:54], -v[10:11]
	v_fma_f64 v[53:54], v[59:60], v[53:54], v[55:56]
	s_delay_alu instid0(VALU_DEP_2) | instskip(NEXT) | instid1(VALU_DEP_2)
	v_add_f64_e32 v[3:4], v[3:4], v[10:11]
	v_add_f64_e32 v[1:2], v[1:2], v[53:54]
	s_wait_alu 0xfffe
	s_and_not1_b32 exec_lo, exec_lo, s1
	s_cbranch_execnz .LBB82_29
; %bb.30:
	s_or_b32 exec_lo, exec_lo, s1
	v_mov_b32_e32 v7, 0
	ds_load_b128 v[7:10], v7 offset:64
	s_wait_dscnt 0x0
	v_mul_f64_e32 v[11:12], v[1:2], v[9:10]
	v_mul_f64_e32 v[53:54], v[3:4], v[9:10]
	s_delay_alu instid0(VALU_DEP_2) | instskip(NEXT) | instid1(VALU_DEP_2)
	v_fma_f64 v[9:10], v[3:4], v[7:8], -v[11:12]
	v_fma_f64 v[11:12], v[1:2], v[7:8], v[53:54]
	scratch_store_b128 off, v[9:12], off offset:80
.LBB82_31:
	s_wait_alu 0xfffe
	s_or_b32 exec_lo, exec_lo, s0
	s_wait_loadcnt 0x0
	s_wait_storecnt 0x0
	s_barrier_signal -1
	s_barrier_wait -1
	global_inv scope:SCOPE_SE
	scratch_load_b128 v[1:4], off, s18
	;; [unrolled: 58-line block ×15, first 2 shown]
	s_mov_b32 s0, exec_lo
	s_wait_loadcnt 0x0
	ds_store_b128 v5, v[1:4]
	s_wait_dscnt 0x0
	s_barrier_signal -1
	s_barrier_wait -1
	global_inv scope:SCOPE_SE
	v_cmpx_ne_u32_e32 18, v0
	s_cbranch_execz .LBB82_87
; %bb.84:
	v_mov_b32_e32 v1, 0
	v_dual_mov_b32 v2, 0 :: v_dual_mov_b32 v3, 0
	v_mov_b32_e32 v4, 0
	v_or_b32_e32 v7, 8, v52
	s_mov_b32 s1, 0
.LBB82_85:                              ; =>This Inner Loop Header: Depth=1
	scratch_load_b128 v[8:11], v7, off offset:-8
	ds_load_b128 v[51:54], v5
	v_add_nc_u32_e32 v6, 1, v6
	v_add_nc_u32_e32 v5, 16, v5
	;; [unrolled: 1-line block ×3, first 2 shown]
	s_delay_alu instid0(VALU_DEP_3)
	v_cmp_lt_u32_e32 vcc_lo, 16, v6
	s_wait_alu 0xfffe
	s_or_b32 s1, vcc_lo, s1
	s_wait_loadcnt_dscnt 0x0
	v_mul_f64_e32 v[55:56], v[53:54], v[10:11]
	v_mul_f64_e32 v[10:11], v[51:52], v[10:11]
	s_delay_alu instid0(VALU_DEP_2) | instskip(NEXT) | instid1(VALU_DEP_2)
	v_fma_f64 v[51:52], v[51:52], v[8:9], -v[55:56]
	v_fma_f64 v[8:9], v[53:54], v[8:9], v[10:11]
	s_delay_alu instid0(VALU_DEP_2) | instskip(NEXT) | instid1(VALU_DEP_2)
	v_add_f64_e32 v[3:4], v[3:4], v[51:52]
	v_add_f64_e32 v[1:2], v[1:2], v[8:9]
	s_wait_alu 0xfffe
	s_and_not1_b32 exec_lo, exec_lo, s1
	s_cbranch_execnz .LBB82_85
; %bb.86:
	s_or_b32 exec_lo, exec_lo, s1
	v_mov_b32_e32 v5, 0
	ds_load_b128 v[5:8], v5 offset:288
	s_wait_dscnt 0x0
	v_mul_f64_e32 v[9:10], v[1:2], v[7:8]
	v_mul_f64_e32 v[7:8], v[3:4], v[7:8]
	s_delay_alu instid0(VALU_DEP_2) | instskip(NEXT) | instid1(VALU_DEP_2)
	v_fma_f64 v[3:4], v[3:4], v[5:6], -v[9:10]
	v_fma_f64 v[5:6], v[1:2], v[5:6], v[7:8]
	scratch_store_b128 off, v[3:6], off offset:304
.LBB82_87:
	s_wait_alu 0xfffe
	s_or_b32 exec_lo, exec_lo, s0
	s_mov_b32 s1, -1
	s_wait_loadcnt 0x0
	s_wait_storecnt 0x0
	s_barrier_signal -1
	s_barrier_wait -1
	global_inv scope:SCOPE_SE
.LBB82_88:
	s_wait_alu 0xfffe
	s_and_b32 vcc_lo, exec_lo, s1
	s_wait_alu 0xfffe
	s_cbranch_vccz .LBB82_90
; %bb.89:
	v_mov_b32_e32 v1, 0
	s_lshl_b64 s[0:1], s[8:9], 2
	s_wait_alu 0xfffe
	s_add_nc_u64 s[0:1], s[6:7], s[0:1]
	global_load_b32 v1, v1, s[0:1]
	s_wait_loadcnt 0x0
	v_cmp_ne_u32_e32 vcc_lo, 0, v1
	s_cbranch_vccz .LBB82_91
.LBB82_90:
	s_nop 0
	s_sendmsg sendmsg(MSG_DEALLOC_VGPRS)
	s_endpgm
.LBB82_91:
	v_lshl_add_u32 v5, v0, 4, 0x130
	s_mov_b32 s0, exec_lo
	v_cmpx_eq_u32_e32 18, v0
	s_cbranch_execz .LBB82_93
; %bb.92:
	scratch_load_b128 v[1:4], off, s24
	v_mov_b32_e32 v6, 0
	s_delay_alu instid0(VALU_DEP_1)
	v_dual_mov_b32 v7, v6 :: v_dual_mov_b32 v8, v6
	v_mov_b32_e32 v9, v6
	scratch_store_b128 off, v[6:9], off offset:288
	s_wait_loadcnt 0x0
	ds_store_b128 v5, v[1:4]
.LBB82_93:
	s_wait_alu 0xfffe
	s_or_b32 exec_lo, exec_lo, s0
	s_wait_storecnt_dscnt 0x0
	s_barrier_signal -1
	s_barrier_wait -1
	global_inv scope:SCOPE_SE
	s_clause 0x1
	scratch_load_b128 v[6:9], off, off offset:304
	scratch_load_b128 v[51:54], off, off offset:288
	v_mov_b32_e32 v1, 0
	s_mov_b32 s0, exec_lo
	ds_load_b128 v[55:58], v1 offset:592
	s_wait_loadcnt_dscnt 0x100
	v_mul_f64_e32 v[2:3], v[57:58], v[8:9]
	v_mul_f64_e32 v[8:9], v[55:56], v[8:9]
	s_delay_alu instid0(VALU_DEP_2) | instskip(NEXT) | instid1(VALU_DEP_2)
	v_fma_f64 v[2:3], v[55:56], v[6:7], -v[2:3]
	v_fma_f64 v[6:7], v[57:58], v[6:7], v[8:9]
	s_delay_alu instid0(VALU_DEP_2) | instskip(NEXT) | instid1(VALU_DEP_2)
	v_add_f64_e32 v[2:3], 0, v[2:3]
	v_add_f64_e32 v[8:9], 0, v[6:7]
	s_wait_loadcnt 0x0
	s_delay_alu instid0(VALU_DEP_2) | instskip(NEXT) | instid1(VALU_DEP_2)
	v_add_f64_e64 v[6:7], v[51:52], -v[2:3]
	v_add_f64_e64 v[8:9], v[53:54], -v[8:9]
	scratch_store_b128 off, v[6:9], off offset:288
	v_cmpx_lt_u32_e32 16, v0
	s_cbranch_execz .LBB82_95
; %bb.94:
	scratch_load_b128 v[6:9], off, s15
	v_dual_mov_b32 v2, v1 :: v_dual_mov_b32 v3, v1
	v_mov_b32_e32 v4, v1
	scratch_store_b128 off, v[1:4], off offset:272
	s_wait_loadcnt 0x0
	ds_store_b128 v5, v[6:9]
.LBB82_95:
	s_wait_alu 0xfffe
	s_or_b32 exec_lo, exec_lo, s0
	s_wait_storecnt_dscnt 0x0
	s_barrier_signal -1
	s_barrier_wait -1
	global_inv scope:SCOPE_SE
	s_clause 0x2
	scratch_load_b128 v[6:9], off, off offset:288
	scratch_load_b128 v[51:54], off, off offset:304
	;; [unrolled: 1-line block ×3, first 2 shown]
	ds_load_b128 v[59:62], v1 offset:576
	ds_load_b128 v[1:4], v1 offset:592
	s_mov_b32 s0, exec_lo
	s_wait_loadcnt_dscnt 0x201
	v_mul_f64_e32 v[10:11], v[61:62], v[8:9]
	v_mul_f64_e32 v[8:9], v[59:60], v[8:9]
	s_wait_loadcnt_dscnt 0x100
	v_mul_f64_e32 v[63:64], v[1:2], v[53:54]
	v_mul_f64_e32 v[53:54], v[3:4], v[53:54]
	s_delay_alu instid0(VALU_DEP_4) | instskip(NEXT) | instid1(VALU_DEP_4)
	v_fma_f64 v[10:11], v[59:60], v[6:7], -v[10:11]
	v_fma_f64 v[6:7], v[61:62], v[6:7], v[8:9]
	s_delay_alu instid0(VALU_DEP_4) | instskip(NEXT) | instid1(VALU_DEP_4)
	v_fma_f64 v[3:4], v[3:4], v[51:52], v[63:64]
	v_fma_f64 v[1:2], v[1:2], v[51:52], -v[53:54]
	s_delay_alu instid0(VALU_DEP_4) | instskip(NEXT) | instid1(VALU_DEP_4)
	v_add_f64_e32 v[8:9], 0, v[10:11]
	v_add_f64_e32 v[6:7], 0, v[6:7]
	s_delay_alu instid0(VALU_DEP_2) | instskip(NEXT) | instid1(VALU_DEP_2)
	v_add_f64_e32 v[1:2], v[8:9], v[1:2]
	v_add_f64_e32 v[3:4], v[6:7], v[3:4]
	s_wait_loadcnt 0x0
	s_delay_alu instid0(VALU_DEP_2) | instskip(NEXT) | instid1(VALU_DEP_2)
	v_add_f64_e64 v[1:2], v[55:56], -v[1:2]
	v_add_f64_e64 v[3:4], v[57:58], -v[3:4]
	scratch_store_b128 off, v[1:4], off offset:272
	v_cmpx_lt_u32_e32 15, v0
	s_cbranch_execz .LBB82_97
; %bb.96:
	scratch_load_b128 v[1:4], off, s23
	v_mov_b32_e32 v6, 0
	s_delay_alu instid0(VALU_DEP_1)
	v_dual_mov_b32 v7, v6 :: v_dual_mov_b32 v8, v6
	v_mov_b32_e32 v9, v6
	scratch_store_b128 off, v[6:9], off offset:256
	s_wait_loadcnt 0x0
	ds_store_b128 v5, v[1:4]
.LBB82_97:
	s_wait_alu 0xfffe
	s_or_b32 exec_lo, exec_lo, s0
	s_wait_storecnt_dscnt 0x0
	s_barrier_signal -1
	s_barrier_wait -1
	global_inv scope:SCOPE_SE
	s_clause 0x3
	scratch_load_b128 v[6:9], off, off offset:272
	scratch_load_b128 v[51:54], off, off offset:288
	;; [unrolled: 1-line block ×4, first 2 shown]
	v_mov_b32_e32 v1, 0
	ds_load_b128 v[63:66], v1 offset:560
	ds_load_b128 v[67:70], v1 offset:576
	s_mov_b32 s0, exec_lo
	s_wait_loadcnt_dscnt 0x301
	v_mul_f64_e32 v[2:3], v[65:66], v[8:9]
	v_mul_f64_e32 v[8:9], v[63:64], v[8:9]
	s_wait_loadcnt_dscnt 0x200
	v_mul_f64_e32 v[10:11], v[67:68], v[53:54]
	v_mul_f64_e32 v[53:54], v[69:70], v[53:54]
	s_delay_alu instid0(VALU_DEP_4) | instskip(NEXT) | instid1(VALU_DEP_4)
	v_fma_f64 v[2:3], v[63:64], v[6:7], -v[2:3]
	v_fma_f64 v[63:64], v[65:66], v[6:7], v[8:9]
	ds_load_b128 v[6:9], v1 offset:592
	v_fma_f64 v[10:11], v[69:70], v[51:52], v[10:11]
	v_fma_f64 v[51:52], v[67:68], v[51:52], -v[53:54]
	s_wait_loadcnt_dscnt 0x100
	v_mul_f64_e32 v[65:66], v[6:7], v[57:58]
	v_mul_f64_e32 v[57:58], v[8:9], v[57:58]
	v_add_f64_e32 v[2:3], 0, v[2:3]
	v_add_f64_e32 v[53:54], 0, v[63:64]
	s_delay_alu instid0(VALU_DEP_4) | instskip(NEXT) | instid1(VALU_DEP_4)
	v_fma_f64 v[8:9], v[8:9], v[55:56], v[65:66]
	v_fma_f64 v[6:7], v[6:7], v[55:56], -v[57:58]
	s_delay_alu instid0(VALU_DEP_4) | instskip(NEXT) | instid1(VALU_DEP_4)
	v_add_f64_e32 v[2:3], v[2:3], v[51:52]
	v_add_f64_e32 v[10:11], v[53:54], v[10:11]
	s_delay_alu instid0(VALU_DEP_2) | instskip(NEXT) | instid1(VALU_DEP_2)
	v_add_f64_e32 v[2:3], v[2:3], v[6:7]
	v_add_f64_e32 v[8:9], v[10:11], v[8:9]
	s_wait_loadcnt 0x0
	s_delay_alu instid0(VALU_DEP_2) | instskip(NEXT) | instid1(VALU_DEP_2)
	v_add_f64_e64 v[6:7], v[59:60], -v[2:3]
	v_add_f64_e64 v[8:9], v[61:62], -v[8:9]
	scratch_store_b128 off, v[6:9], off offset:256
	v_cmpx_lt_u32_e32 14, v0
	s_cbranch_execz .LBB82_99
; %bb.98:
	scratch_load_b128 v[6:9], off, s14
	v_dual_mov_b32 v2, v1 :: v_dual_mov_b32 v3, v1
	v_mov_b32_e32 v4, v1
	scratch_store_b128 off, v[1:4], off offset:240
	s_wait_loadcnt 0x0
	ds_store_b128 v5, v[6:9]
.LBB82_99:
	s_wait_alu 0xfffe
	s_or_b32 exec_lo, exec_lo, s0
	s_wait_storecnt_dscnt 0x0
	s_barrier_signal -1
	s_barrier_wait -1
	global_inv scope:SCOPE_SE
	s_clause 0x4
	scratch_load_b128 v[6:9], off, off offset:256
	scratch_load_b128 v[51:54], off, off offset:272
	;; [unrolled: 1-line block ×5, first 2 shown]
	ds_load_b128 v[67:70], v1 offset:544
	ds_load_b128 v[71:74], v1 offset:560
	s_mov_b32 s0, exec_lo
	s_wait_loadcnt_dscnt 0x401
	v_mul_f64_e32 v[2:3], v[69:70], v[8:9]
	v_mul_f64_e32 v[8:9], v[67:68], v[8:9]
	s_wait_loadcnt_dscnt 0x300
	v_mul_f64_e32 v[10:11], v[71:72], v[53:54]
	v_mul_f64_e32 v[53:54], v[73:74], v[53:54]
	s_delay_alu instid0(VALU_DEP_4) | instskip(NEXT) | instid1(VALU_DEP_4)
	v_fma_f64 v[67:68], v[67:68], v[6:7], -v[2:3]
	v_fma_f64 v[69:70], v[69:70], v[6:7], v[8:9]
	ds_load_b128 v[6:9], v1 offset:576
	ds_load_b128 v[1:4], v1 offset:592
	v_fma_f64 v[10:11], v[73:74], v[51:52], v[10:11]
	v_fma_f64 v[51:52], v[71:72], v[51:52], -v[53:54]
	s_wait_loadcnt_dscnt 0x201
	v_mul_f64_e32 v[75:76], v[6:7], v[57:58]
	v_mul_f64_e32 v[57:58], v[8:9], v[57:58]
	v_add_f64_e32 v[53:54], 0, v[67:68]
	v_add_f64_e32 v[67:68], 0, v[69:70]
	s_wait_loadcnt_dscnt 0x100
	v_mul_f64_e32 v[69:70], v[1:2], v[61:62]
	v_mul_f64_e32 v[61:62], v[3:4], v[61:62]
	v_fma_f64 v[8:9], v[8:9], v[55:56], v[75:76]
	v_fma_f64 v[6:7], v[6:7], v[55:56], -v[57:58]
	v_add_f64_e32 v[51:52], v[53:54], v[51:52]
	v_add_f64_e32 v[10:11], v[67:68], v[10:11]
	v_fma_f64 v[3:4], v[3:4], v[59:60], v[69:70]
	v_fma_f64 v[1:2], v[1:2], v[59:60], -v[61:62]
	s_delay_alu instid0(VALU_DEP_4) | instskip(NEXT) | instid1(VALU_DEP_4)
	v_add_f64_e32 v[6:7], v[51:52], v[6:7]
	v_add_f64_e32 v[8:9], v[10:11], v[8:9]
	s_delay_alu instid0(VALU_DEP_2) | instskip(NEXT) | instid1(VALU_DEP_2)
	v_add_f64_e32 v[1:2], v[6:7], v[1:2]
	v_add_f64_e32 v[3:4], v[8:9], v[3:4]
	s_wait_loadcnt 0x0
	s_delay_alu instid0(VALU_DEP_2) | instskip(NEXT) | instid1(VALU_DEP_2)
	v_add_f64_e64 v[1:2], v[63:64], -v[1:2]
	v_add_f64_e64 v[3:4], v[65:66], -v[3:4]
	scratch_store_b128 off, v[1:4], off offset:240
	v_cmpx_lt_u32_e32 13, v0
	s_cbranch_execz .LBB82_101
; %bb.100:
	scratch_load_b128 v[1:4], off, s22
	v_mov_b32_e32 v6, 0
	s_delay_alu instid0(VALU_DEP_1)
	v_dual_mov_b32 v7, v6 :: v_dual_mov_b32 v8, v6
	v_mov_b32_e32 v9, v6
	scratch_store_b128 off, v[6:9], off offset:224
	s_wait_loadcnt 0x0
	ds_store_b128 v5, v[1:4]
.LBB82_101:
	s_wait_alu 0xfffe
	s_or_b32 exec_lo, exec_lo, s0
	s_wait_storecnt_dscnt 0x0
	s_barrier_signal -1
	s_barrier_wait -1
	global_inv scope:SCOPE_SE
	s_clause 0x5
	scratch_load_b128 v[6:9], off, off offset:240
	scratch_load_b128 v[51:54], off, off offset:256
	;; [unrolled: 1-line block ×6, first 2 shown]
	v_mov_b32_e32 v1, 0
	ds_load_b128 v[71:74], v1 offset:528
	ds_load_b128 v[75:78], v1 offset:544
	s_mov_b32 s0, exec_lo
	s_wait_loadcnt_dscnt 0x501
	v_mul_f64_e32 v[2:3], v[73:74], v[8:9]
	v_mul_f64_e32 v[8:9], v[71:72], v[8:9]
	s_wait_loadcnt_dscnt 0x400
	v_mul_f64_e32 v[10:11], v[75:76], v[53:54]
	v_mul_f64_e32 v[53:54], v[77:78], v[53:54]
	s_delay_alu instid0(VALU_DEP_4) | instskip(NEXT) | instid1(VALU_DEP_4)
	v_fma_f64 v[2:3], v[71:72], v[6:7], -v[2:3]
	v_fma_f64 v[79:80], v[73:74], v[6:7], v[8:9]
	ds_load_b128 v[6:9], v1 offset:560
	ds_load_b128 v[71:74], v1 offset:576
	v_fma_f64 v[10:11], v[77:78], v[51:52], v[10:11]
	v_fma_f64 v[51:52], v[75:76], v[51:52], -v[53:54]
	s_wait_loadcnt_dscnt 0x301
	v_mul_f64_e32 v[81:82], v[6:7], v[57:58]
	v_mul_f64_e32 v[57:58], v[8:9], v[57:58]
	s_wait_loadcnt_dscnt 0x200
	v_mul_f64_e32 v[75:76], v[71:72], v[61:62]
	v_mul_f64_e32 v[61:62], v[73:74], v[61:62]
	v_add_f64_e32 v[2:3], 0, v[2:3]
	v_add_f64_e32 v[53:54], 0, v[79:80]
	v_fma_f64 v[77:78], v[8:9], v[55:56], v[81:82]
	v_fma_f64 v[55:56], v[6:7], v[55:56], -v[57:58]
	ds_load_b128 v[6:9], v1 offset:592
	v_fma_f64 v[57:58], v[73:74], v[59:60], v[75:76]
	v_fma_f64 v[59:60], v[71:72], v[59:60], -v[61:62]
	v_add_f64_e32 v[2:3], v[2:3], v[51:52]
	v_add_f64_e32 v[10:11], v[53:54], v[10:11]
	s_wait_loadcnt_dscnt 0x100
	v_mul_f64_e32 v[51:52], v[6:7], v[65:66]
	v_mul_f64_e32 v[53:54], v[8:9], v[65:66]
	s_delay_alu instid0(VALU_DEP_4) | instskip(NEXT) | instid1(VALU_DEP_4)
	v_add_f64_e32 v[2:3], v[2:3], v[55:56]
	v_add_f64_e32 v[10:11], v[10:11], v[77:78]
	s_delay_alu instid0(VALU_DEP_4) | instskip(NEXT) | instid1(VALU_DEP_4)
	v_fma_f64 v[8:9], v[8:9], v[63:64], v[51:52]
	v_fma_f64 v[6:7], v[6:7], v[63:64], -v[53:54]
	s_delay_alu instid0(VALU_DEP_4) | instskip(NEXT) | instid1(VALU_DEP_4)
	v_add_f64_e32 v[2:3], v[2:3], v[59:60]
	v_add_f64_e32 v[10:11], v[10:11], v[57:58]
	s_delay_alu instid0(VALU_DEP_2) | instskip(NEXT) | instid1(VALU_DEP_2)
	v_add_f64_e32 v[2:3], v[2:3], v[6:7]
	v_add_f64_e32 v[8:9], v[10:11], v[8:9]
	s_wait_loadcnt 0x0
	s_delay_alu instid0(VALU_DEP_2) | instskip(NEXT) | instid1(VALU_DEP_2)
	v_add_f64_e64 v[6:7], v[67:68], -v[2:3]
	v_add_f64_e64 v[8:9], v[69:70], -v[8:9]
	scratch_store_b128 off, v[6:9], off offset:224
	v_cmpx_lt_u32_e32 12, v0
	s_cbranch_execz .LBB82_103
; %bb.102:
	scratch_load_b128 v[6:9], off, s13
	v_dual_mov_b32 v2, v1 :: v_dual_mov_b32 v3, v1
	v_mov_b32_e32 v4, v1
	scratch_store_b128 off, v[1:4], off offset:208
	s_wait_loadcnt 0x0
	ds_store_b128 v5, v[6:9]
.LBB82_103:
	s_wait_alu 0xfffe
	s_or_b32 exec_lo, exec_lo, s0
	s_wait_storecnt_dscnt 0x0
	s_barrier_signal -1
	s_barrier_wait -1
	global_inv scope:SCOPE_SE
	s_clause 0x5
	scratch_load_b128 v[6:9], off, off offset:224
	scratch_load_b128 v[51:54], off, off offset:240
	;; [unrolled: 1-line block ×6, first 2 shown]
	ds_load_b128 v[71:74], v1 offset:512
	ds_load_b128 v[79:82], v1 offset:528
	scratch_load_b128 v[75:78], off, off offset:208
	s_mov_b32 s0, exec_lo
	s_wait_loadcnt_dscnt 0x601
	v_mul_f64_e32 v[2:3], v[73:74], v[8:9]
	v_mul_f64_e32 v[8:9], v[71:72], v[8:9]
	s_wait_loadcnt_dscnt 0x500
	v_mul_f64_e32 v[10:11], v[79:80], v[53:54]
	v_mul_f64_e32 v[53:54], v[81:82], v[53:54]
	s_delay_alu instid0(VALU_DEP_4) | instskip(NEXT) | instid1(VALU_DEP_4)
	v_fma_f64 v[2:3], v[71:72], v[6:7], -v[2:3]
	v_fma_f64 v[83:84], v[73:74], v[6:7], v[8:9]
	ds_load_b128 v[6:9], v1 offset:544
	ds_load_b128 v[71:74], v1 offset:560
	v_fma_f64 v[10:11], v[81:82], v[51:52], v[10:11]
	v_fma_f64 v[51:52], v[79:80], v[51:52], -v[53:54]
	s_wait_loadcnt_dscnt 0x401
	v_mul_f64_e32 v[85:86], v[6:7], v[57:58]
	v_mul_f64_e32 v[57:58], v[8:9], v[57:58]
	s_wait_loadcnt_dscnt 0x300
	v_mul_f64_e32 v[79:80], v[71:72], v[61:62]
	v_mul_f64_e32 v[61:62], v[73:74], v[61:62]
	v_add_f64_e32 v[2:3], 0, v[2:3]
	v_add_f64_e32 v[53:54], 0, v[83:84]
	v_fma_f64 v[81:82], v[8:9], v[55:56], v[85:86]
	v_fma_f64 v[55:56], v[6:7], v[55:56], -v[57:58]
	s_delay_alu instid0(VALU_DEP_4) | instskip(NEXT) | instid1(VALU_DEP_4)
	v_add_f64_e32 v[51:52], v[2:3], v[51:52]
	v_add_f64_e32 v[10:11], v[53:54], v[10:11]
	ds_load_b128 v[6:9], v1 offset:576
	ds_load_b128 v[1:4], v1 offset:592
	s_wait_loadcnt_dscnt 0x201
	v_mul_f64_e32 v[53:54], v[6:7], v[65:66]
	v_mul_f64_e32 v[57:58], v[8:9], v[65:66]
	v_fma_f64 v[65:66], v[73:74], v[59:60], v[79:80]
	v_fma_f64 v[59:60], v[71:72], v[59:60], -v[61:62]
	s_wait_loadcnt_dscnt 0x100
	v_mul_f64_e32 v[61:62], v[3:4], v[69:70]
	v_add_f64_e32 v[51:52], v[51:52], v[55:56]
	v_add_f64_e32 v[10:11], v[10:11], v[81:82]
	v_mul_f64_e32 v[55:56], v[1:2], v[69:70]
	v_fma_f64 v[8:9], v[8:9], v[63:64], v[53:54]
	v_fma_f64 v[6:7], v[6:7], v[63:64], -v[57:58]
	v_fma_f64 v[1:2], v[1:2], v[67:68], -v[61:62]
	v_add_f64_e32 v[51:52], v[51:52], v[59:60]
	v_add_f64_e32 v[10:11], v[10:11], v[65:66]
	v_fma_f64 v[3:4], v[3:4], v[67:68], v[55:56]
	s_delay_alu instid0(VALU_DEP_3) | instskip(NEXT) | instid1(VALU_DEP_3)
	v_add_f64_e32 v[6:7], v[51:52], v[6:7]
	v_add_f64_e32 v[8:9], v[10:11], v[8:9]
	s_delay_alu instid0(VALU_DEP_2) | instskip(NEXT) | instid1(VALU_DEP_2)
	v_add_f64_e32 v[1:2], v[6:7], v[1:2]
	v_add_f64_e32 v[3:4], v[8:9], v[3:4]
	s_wait_loadcnt 0x0
	s_delay_alu instid0(VALU_DEP_2) | instskip(NEXT) | instid1(VALU_DEP_2)
	v_add_f64_e64 v[1:2], v[75:76], -v[1:2]
	v_add_f64_e64 v[3:4], v[77:78], -v[3:4]
	scratch_store_b128 off, v[1:4], off offset:208
	v_cmpx_lt_u32_e32 11, v0
	s_cbranch_execz .LBB82_105
; %bb.104:
	scratch_load_b128 v[1:4], off, s21
	v_mov_b32_e32 v6, 0
	s_delay_alu instid0(VALU_DEP_1)
	v_dual_mov_b32 v7, v6 :: v_dual_mov_b32 v8, v6
	v_mov_b32_e32 v9, v6
	scratch_store_b128 off, v[6:9], off offset:192
	s_wait_loadcnt 0x0
	ds_store_b128 v5, v[1:4]
.LBB82_105:
	s_wait_alu 0xfffe
	s_or_b32 exec_lo, exec_lo, s0
	s_wait_storecnt_dscnt 0x0
	s_barrier_signal -1
	s_barrier_wait -1
	global_inv scope:SCOPE_SE
	s_clause 0x6
	scratch_load_b128 v[6:9], off, off offset:208
	scratch_load_b128 v[51:54], off, off offset:224
	;; [unrolled: 1-line block ×7, first 2 shown]
	v_mov_b32_e32 v1, 0
	scratch_load_b128 v[79:82], off, off offset:192
	s_mov_b32 s0, exec_lo
	ds_load_b128 v[75:78], v1 offset:496
	ds_load_b128 v[83:86], v1 offset:512
	s_wait_loadcnt_dscnt 0x701
	v_mul_f64_e32 v[2:3], v[77:78], v[8:9]
	v_mul_f64_e32 v[8:9], v[75:76], v[8:9]
	s_wait_loadcnt_dscnt 0x600
	v_mul_f64_e32 v[10:11], v[83:84], v[53:54]
	v_mul_f64_e32 v[53:54], v[85:86], v[53:54]
	s_delay_alu instid0(VALU_DEP_4) | instskip(NEXT) | instid1(VALU_DEP_4)
	v_fma_f64 v[2:3], v[75:76], v[6:7], -v[2:3]
	v_fma_f64 v[87:88], v[77:78], v[6:7], v[8:9]
	ds_load_b128 v[6:9], v1 offset:528
	ds_load_b128 v[75:78], v1 offset:544
	v_fma_f64 v[10:11], v[85:86], v[51:52], v[10:11]
	v_fma_f64 v[51:52], v[83:84], v[51:52], -v[53:54]
	s_wait_loadcnt_dscnt 0x501
	v_mul_f64_e32 v[89:90], v[6:7], v[57:58]
	v_mul_f64_e32 v[57:58], v[8:9], v[57:58]
	s_wait_loadcnt_dscnt 0x400
	v_mul_f64_e32 v[83:84], v[75:76], v[61:62]
	v_mul_f64_e32 v[61:62], v[77:78], v[61:62]
	v_add_f64_e32 v[2:3], 0, v[2:3]
	v_add_f64_e32 v[53:54], 0, v[87:88]
	v_fma_f64 v[85:86], v[8:9], v[55:56], v[89:90]
	v_fma_f64 v[55:56], v[6:7], v[55:56], -v[57:58]
	v_fma_f64 v[77:78], v[77:78], v[59:60], v[83:84]
	v_fma_f64 v[59:60], v[75:76], v[59:60], -v[61:62]
	v_add_f64_e32 v[2:3], v[2:3], v[51:52]
	v_add_f64_e32 v[10:11], v[53:54], v[10:11]
	ds_load_b128 v[6:9], v1 offset:560
	ds_load_b128 v[51:54], v1 offset:576
	s_wait_loadcnt_dscnt 0x301
	v_mul_f64_e32 v[57:58], v[6:7], v[65:66]
	v_mul_f64_e32 v[65:66], v[8:9], v[65:66]
	s_wait_loadcnt_dscnt 0x200
	v_mul_f64_e32 v[61:62], v[53:54], v[69:70]
	v_add_f64_e32 v[2:3], v[2:3], v[55:56]
	v_add_f64_e32 v[10:11], v[10:11], v[85:86]
	v_mul_f64_e32 v[55:56], v[51:52], v[69:70]
	v_fma_f64 v[57:58], v[8:9], v[63:64], v[57:58]
	v_fma_f64 v[63:64], v[6:7], v[63:64], -v[65:66]
	ds_load_b128 v[6:9], v1 offset:592
	v_fma_f64 v[51:52], v[51:52], v[67:68], -v[61:62]
	v_add_f64_e32 v[2:3], v[2:3], v[59:60]
	v_add_f64_e32 v[10:11], v[10:11], v[77:78]
	v_fma_f64 v[53:54], v[53:54], v[67:68], v[55:56]
	s_wait_loadcnt_dscnt 0x100
	v_mul_f64_e32 v[59:60], v[6:7], v[73:74]
	v_mul_f64_e32 v[65:66], v[8:9], v[73:74]
	v_add_f64_e32 v[2:3], v[2:3], v[63:64]
	v_add_f64_e32 v[10:11], v[10:11], v[57:58]
	s_delay_alu instid0(VALU_DEP_4) | instskip(NEXT) | instid1(VALU_DEP_4)
	v_fma_f64 v[8:9], v[8:9], v[71:72], v[59:60]
	v_fma_f64 v[6:7], v[6:7], v[71:72], -v[65:66]
	s_delay_alu instid0(VALU_DEP_4) | instskip(NEXT) | instid1(VALU_DEP_4)
	v_add_f64_e32 v[2:3], v[2:3], v[51:52]
	v_add_f64_e32 v[10:11], v[10:11], v[53:54]
	s_delay_alu instid0(VALU_DEP_2) | instskip(NEXT) | instid1(VALU_DEP_2)
	v_add_f64_e32 v[2:3], v[2:3], v[6:7]
	v_add_f64_e32 v[8:9], v[10:11], v[8:9]
	s_wait_loadcnt 0x0
	s_delay_alu instid0(VALU_DEP_2) | instskip(NEXT) | instid1(VALU_DEP_2)
	v_add_f64_e64 v[6:7], v[79:80], -v[2:3]
	v_add_f64_e64 v[8:9], v[81:82], -v[8:9]
	scratch_store_b128 off, v[6:9], off offset:192
	v_cmpx_lt_u32_e32 10, v0
	s_cbranch_execz .LBB82_107
; %bb.106:
	scratch_load_b128 v[6:9], off, s11
	v_dual_mov_b32 v2, v1 :: v_dual_mov_b32 v3, v1
	v_mov_b32_e32 v4, v1
	scratch_store_b128 off, v[1:4], off offset:176
	s_wait_loadcnt 0x0
	ds_store_b128 v5, v[6:9]
.LBB82_107:
	s_wait_alu 0xfffe
	s_or_b32 exec_lo, exec_lo, s0
	s_wait_storecnt_dscnt 0x0
	s_barrier_signal -1
	s_barrier_wait -1
	global_inv scope:SCOPE_SE
	s_clause 0x7
	scratch_load_b128 v[6:9], off, off offset:192
	scratch_load_b128 v[51:54], off, off offset:208
	;; [unrolled: 1-line block ×8, first 2 shown]
	ds_load_b128 v[79:82], v1 offset:480
	ds_load_b128 v[83:86], v1 offset:496
	scratch_load_b128 v[87:90], off, off offset:176
	s_mov_b32 s0, exec_lo
	s_wait_loadcnt_dscnt 0x801
	v_mul_f64_e32 v[2:3], v[81:82], v[8:9]
	v_mul_f64_e32 v[8:9], v[79:80], v[8:9]
	s_wait_loadcnt_dscnt 0x700
	v_mul_f64_e32 v[10:11], v[83:84], v[53:54]
	v_mul_f64_e32 v[53:54], v[85:86], v[53:54]
	s_delay_alu instid0(VALU_DEP_4) | instskip(NEXT) | instid1(VALU_DEP_4)
	v_fma_f64 v[2:3], v[79:80], v[6:7], -v[2:3]
	v_fma_f64 v[91:92], v[81:82], v[6:7], v[8:9]
	ds_load_b128 v[6:9], v1 offset:512
	ds_load_b128 v[79:82], v1 offset:528
	v_fma_f64 v[10:11], v[85:86], v[51:52], v[10:11]
	v_fma_f64 v[51:52], v[83:84], v[51:52], -v[53:54]
	s_wait_loadcnt_dscnt 0x601
	v_mul_f64_e32 v[93:94], v[6:7], v[57:58]
	v_mul_f64_e32 v[57:58], v[8:9], v[57:58]
	s_wait_loadcnt_dscnt 0x500
	v_mul_f64_e32 v[83:84], v[79:80], v[61:62]
	v_mul_f64_e32 v[61:62], v[81:82], v[61:62]
	v_add_f64_e32 v[2:3], 0, v[2:3]
	v_add_f64_e32 v[53:54], 0, v[91:92]
	v_fma_f64 v[85:86], v[8:9], v[55:56], v[93:94]
	v_fma_f64 v[55:56], v[6:7], v[55:56], -v[57:58]
	v_fma_f64 v[81:82], v[81:82], v[59:60], v[83:84]
	v_fma_f64 v[59:60], v[79:80], v[59:60], -v[61:62]
	v_add_f64_e32 v[2:3], v[2:3], v[51:52]
	v_add_f64_e32 v[10:11], v[53:54], v[10:11]
	ds_load_b128 v[6:9], v1 offset:544
	ds_load_b128 v[51:54], v1 offset:560
	s_wait_loadcnt_dscnt 0x401
	v_mul_f64_e32 v[57:58], v[6:7], v[65:66]
	v_mul_f64_e32 v[65:66], v[8:9], v[65:66]
	s_wait_loadcnt_dscnt 0x300
	v_mul_f64_e32 v[61:62], v[53:54], v[69:70]
	v_add_f64_e32 v[2:3], v[2:3], v[55:56]
	v_add_f64_e32 v[10:11], v[10:11], v[85:86]
	v_mul_f64_e32 v[55:56], v[51:52], v[69:70]
	v_fma_f64 v[57:58], v[8:9], v[63:64], v[57:58]
	v_fma_f64 v[63:64], v[6:7], v[63:64], -v[65:66]
	v_fma_f64 v[51:52], v[51:52], v[67:68], -v[61:62]
	v_add_f64_e32 v[59:60], v[2:3], v[59:60]
	v_add_f64_e32 v[10:11], v[10:11], v[81:82]
	ds_load_b128 v[6:9], v1 offset:576
	ds_load_b128 v[1:4], v1 offset:592
	v_fma_f64 v[53:54], v[53:54], v[67:68], v[55:56]
	s_wait_loadcnt_dscnt 0x201
	v_mul_f64_e32 v[65:66], v[6:7], v[73:74]
	v_mul_f64_e32 v[69:70], v[8:9], v[73:74]
	v_add_f64_e32 v[55:56], v[59:60], v[63:64]
	v_add_f64_e32 v[10:11], v[10:11], v[57:58]
	s_wait_loadcnt_dscnt 0x100
	v_mul_f64_e32 v[57:58], v[1:2], v[77:78]
	v_mul_f64_e32 v[59:60], v[3:4], v[77:78]
	v_fma_f64 v[8:9], v[8:9], v[71:72], v[65:66]
	v_fma_f64 v[6:7], v[6:7], v[71:72], -v[69:70]
	v_add_f64_e32 v[51:52], v[55:56], v[51:52]
	v_add_f64_e32 v[10:11], v[10:11], v[53:54]
	v_fma_f64 v[3:4], v[3:4], v[75:76], v[57:58]
	v_fma_f64 v[1:2], v[1:2], v[75:76], -v[59:60]
	s_delay_alu instid0(VALU_DEP_4) | instskip(NEXT) | instid1(VALU_DEP_4)
	v_add_f64_e32 v[6:7], v[51:52], v[6:7]
	v_add_f64_e32 v[8:9], v[10:11], v[8:9]
	s_delay_alu instid0(VALU_DEP_2) | instskip(NEXT) | instid1(VALU_DEP_2)
	v_add_f64_e32 v[1:2], v[6:7], v[1:2]
	v_add_f64_e32 v[3:4], v[8:9], v[3:4]
	s_wait_loadcnt 0x0
	s_delay_alu instid0(VALU_DEP_2) | instskip(NEXT) | instid1(VALU_DEP_2)
	v_add_f64_e64 v[1:2], v[87:88], -v[1:2]
	v_add_f64_e64 v[3:4], v[89:90], -v[3:4]
	scratch_store_b128 off, v[1:4], off offset:176
	v_cmpx_lt_u32_e32 9, v0
	s_cbranch_execz .LBB82_109
; %bb.108:
	scratch_load_b128 v[1:4], off, s20
	v_mov_b32_e32 v6, 0
	s_delay_alu instid0(VALU_DEP_1)
	v_dual_mov_b32 v7, v6 :: v_dual_mov_b32 v8, v6
	v_mov_b32_e32 v9, v6
	scratch_store_b128 off, v[6:9], off offset:160
	s_wait_loadcnt 0x0
	ds_store_b128 v5, v[1:4]
.LBB82_109:
	s_wait_alu 0xfffe
	s_or_b32 exec_lo, exec_lo, s0
	s_wait_storecnt_dscnt 0x0
	s_barrier_signal -1
	s_barrier_wait -1
	global_inv scope:SCOPE_SE
	s_clause 0x7
	scratch_load_b128 v[6:9], off, off offset:176
	scratch_load_b128 v[51:54], off, off offset:192
	;; [unrolled: 1-line block ×8, first 2 shown]
	v_mov_b32_e32 v1, 0
	s_mov_b32 s0, exec_lo
	ds_load_b128 v[79:82], v1 offset:464
	s_clause 0x1
	scratch_load_b128 v[83:86], off, off offset:304
	scratch_load_b128 v[87:90], off, off offset:160
	ds_load_b128 v[91:94], v1 offset:480
	s_wait_loadcnt_dscnt 0x901
	v_mul_f64_e32 v[2:3], v[81:82], v[8:9]
	v_mul_f64_e32 v[8:9], v[79:80], v[8:9]
	s_wait_loadcnt_dscnt 0x800
	v_mul_f64_e32 v[10:11], v[91:92], v[53:54]
	v_mul_f64_e32 v[53:54], v[93:94], v[53:54]
	s_delay_alu instid0(VALU_DEP_4) | instskip(NEXT) | instid1(VALU_DEP_4)
	v_fma_f64 v[2:3], v[79:80], v[6:7], -v[2:3]
	v_fma_f64 v[95:96], v[81:82], v[6:7], v[8:9]
	ds_load_b128 v[6:9], v1 offset:496
	ds_load_b128 v[79:82], v1 offset:512
	v_fma_f64 v[10:11], v[93:94], v[51:52], v[10:11]
	v_fma_f64 v[51:52], v[91:92], v[51:52], -v[53:54]
	s_wait_loadcnt_dscnt 0x701
	v_mul_f64_e32 v[97:98], v[6:7], v[57:58]
	v_mul_f64_e32 v[57:58], v[8:9], v[57:58]
	s_wait_loadcnt_dscnt 0x600
	v_mul_f64_e32 v[91:92], v[79:80], v[61:62]
	v_mul_f64_e32 v[61:62], v[81:82], v[61:62]
	v_add_f64_e32 v[2:3], 0, v[2:3]
	v_add_f64_e32 v[53:54], 0, v[95:96]
	v_fma_f64 v[93:94], v[8:9], v[55:56], v[97:98]
	v_fma_f64 v[55:56], v[6:7], v[55:56], -v[57:58]
	v_fma_f64 v[81:82], v[81:82], v[59:60], v[91:92]
	v_fma_f64 v[59:60], v[79:80], v[59:60], -v[61:62]
	v_add_f64_e32 v[2:3], v[2:3], v[51:52]
	v_add_f64_e32 v[10:11], v[53:54], v[10:11]
	ds_load_b128 v[6:9], v1 offset:528
	ds_load_b128 v[51:54], v1 offset:544
	s_wait_loadcnt_dscnt 0x501
	v_mul_f64_e32 v[57:58], v[6:7], v[65:66]
	v_mul_f64_e32 v[65:66], v[8:9], v[65:66]
	s_wait_loadcnt_dscnt 0x400
	v_mul_f64_e32 v[61:62], v[51:52], v[69:70]
	v_mul_f64_e32 v[69:70], v[53:54], v[69:70]
	v_add_f64_e32 v[2:3], v[2:3], v[55:56]
	v_add_f64_e32 v[10:11], v[10:11], v[93:94]
	v_fma_f64 v[79:80], v[8:9], v[63:64], v[57:58]
	v_fma_f64 v[63:64], v[6:7], v[63:64], -v[65:66]
	ds_load_b128 v[6:9], v1 offset:560
	ds_load_b128 v[55:58], v1 offset:576
	v_fma_f64 v[53:54], v[53:54], v[67:68], v[61:62]
	v_fma_f64 v[51:52], v[51:52], v[67:68], -v[69:70]
	v_add_f64_e32 v[2:3], v[2:3], v[59:60]
	v_add_f64_e32 v[10:11], v[10:11], v[81:82]
	s_wait_loadcnt_dscnt 0x301
	v_mul_f64_e32 v[59:60], v[6:7], v[73:74]
	v_mul_f64_e32 v[65:66], v[8:9], v[73:74]
	s_wait_loadcnt_dscnt 0x200
	v_mul_f64_e32 v[61:62], v[55:56], v[77:78]
	v_add_f64_e32 v[2:3], v[2:3], v[63:64]
	v_add_f64_e32 v[10:11], v[10:11], v[79:80]
	v_mul_f64_e32 v[63:64], v[57:58], v[77:78]
	v_fma_f64 v[59:60], v[8:9], v[71:72], v[59:60]
	v_fma_f64 v[65:66], v[6:7], v[71:72], -v[65:66]
	ds_load_b128 v[6:9], v1 offset:592
	v_fma_f64 v[57:58], v[57:58], v[75:76], v[61:62]
	v_add_f64_e32 v[2:3], v[2:3], v[51:52]
	v_add_f64_e32 v[10:11], v[10:11], v[53:54]
	s_wait_loadcnt_dscnt 0x100
	v_mul_f64_e32 v[51:52], v[6:7], v[85:86]
	v_mul_f64_e32 v[53:54], v[8:9], v[85:86]
	v_fma_f64 v[55:56], v[55:56], v[75:76], -v[63:64]
	v_add_f64_e32 v[2:3], v[2:3], v[65:66]
	v_add_f64_e32 v[10:11], v[10:11], v[59:60]
	v_fma_f64 v[8:9], v[8:9], v[83:84], v[51:52]
	v_fma_f64 v[6:7], v[6:7], v[83:84], -v[53:54]
	s_delay_alu instid0(VALU_DEP_4) | instskip(NEXT) | instid1(VALU_DEP_4)
	v_add_f64_e32 v[2:3], v[2:3], v[55:56]
	v_add_f64_e32 v[10:11], v[10:11], v[57:58]
	s_delay_alu instid0(VALU_DEP_2) | instskip(NEXT) | instid1(VALU_DEP_2)
	v_add_f64_e32 v[2:3], v[2:3], v[6:7]
	v_add_f64_e32 v[8:9], v[10:11], v[8:9]
	s_wait_loadcnt 0x0
	s_delay_alu instid0(VALU_DEP_2) | instskip(NEXT) | instid1(VALU_DEP_2)
	v_add_f64_e64 v[6:7], v[87:88], -v[2:3]
	v_add_f64_e64 v[8:9], v[89:90], -v[8:9]
	scratch_store_b128 off, v[6:9], off offset:160
	v_cmpx_lt_u32_e32 8, v0
	s_cbranch_execz .LBB82_111
; %bb.110:
	scratch_load_b128 v[6:9], off, s10
	v_dual_mov_b32 v2, v1 :: v_dual_mov_b32 v3, v1
	v_mov_b32_e32 v4, v1
	scratch_store_b128 off, v[1:4], off offset:144
	s_wait_loadcnt 0x0
	ds_store_b128 v5, v[6:9]
.LBB82_111:
	s_wait_alu 0xfffe
	s_or_b32 exec_lo, exec_lo, s0
	s_wait_storecnt_dscnt 0x0
	s_barrier_signal -1
	s_barrier_wait -1
	global_inv scope:SCOPE_SE
	s_clause 0x8
	scratch_load_b128 v[6:9], off, off offset:160
	scratch_load_b128 v[51:54], off, off offset:176
	;; [unrolled: 1-line block ×9, first 2 shown]
	ds_load_b128 v[83:86], v1 offset:448
	ds_load_b128 v[87:90], v1 offset:464
	scratch_load_b128 v[91:94], off, off offset:144
	s_mov_b32 s0, exec_lo
	s_wait_loadcnt_dscnt 0x901
	v_mul_f64_e32 v[2:3], v[85:86], v[8:9]
	v_mul_f64_e32 v[95:96], v[83:84], v[8:9]
	scratch_load_b128 v[8:11], off, off offset:304
	s_wait_loadcnt_dscnt 0x900
	v_mul_f64_e32 v[99:100], v[87:88], v[53:54]
	v_mul_f64_e32 v[53:54], v[89:90], v[53:54]
	v_fma_f64 v[2:3], v[83:84], v[6:7], -v[2:3]
	v_fma_f64 v[6:7], v[85:86], v[6:7], v[95:96]
	ds_load_b128 v[83:86], v1 offset:480
	ds_load_b128 v[95:98], v1 offset:496
	v_fma_f64 v[89:90], v[89:90], v[51:52], v[99:100]
	v_fma_f64 v[51:52], v[87:88], v[51:52], -v[53:54]
	s_wait_loadcnt_dscnt 0x801
	v_mul_f64_e32 v[101:102], v[83:84], v[57:58]
	v_mul_f64_e32 v[57:58], v[85:86], v[57:58]
	s_wait_loadcnt_dscnt 0x700
	v_mul_f64_e32 v[87:88], v[95:96], v[61:62]
	v_mul_f64_e32 v[61:62], v[97:98], v[61:62]
	v_add_f64_e32 v[2:3], 0, v[2:3]
	v_add_f64_e32 v[6:7], 0, v[6:7]
	v_fma_f64 v[85:86], v[85:86], v[55:56], v[101:102]
	v_fma_f64 v[83:84], v[83:84], v[55:56], -v[57:58]
	v_fma_f64 v[87:88], v[97:98], v[59:60], v[87:88]
	v_fma_f64 v[59:60], v[95:96], v[59:60], -v[61:62]
	v_add_f64_e32 v[2:3], v[2:3], v[51:52]
	v_add_f64_e32 v[6:7], v[6:7], v[89:90]
	ds_load_b128 v[51:54], v1 offset:512
	ds_load_b128 v[55:58], v1 offset:528
	s_wait_loadcnt_dscnt 0x601
	v_mul_f64_e32 v[89:90], v[51:52], v[65:66]
	v_mul_f64_e32 v[65:66], v[53:54], v[65:66]
	v_add_f64_e32 v[2:3], v[2:3], v[83:84]
	v_add_f64_e32 v[6:7], v[6:7], v[85:86]
	s_wait_loadcnt_dscnt 0x500
	v_mul_f64_e32 v[83:84], v[55:56], v[69:70]
	v_mul_f64_e32 v[69:70], v[57:58], v[69:70]
	v_fma_f64 v[85:86], v[53:54], v[63:64], v[89:90]
	v_fma_f64 v[63:64], v[51:52], v[63:64], -v[65:66]
	v_add_f64_e32 v[2:3], v[2:3], v[59:60]
	v_add_f64_e32 v[6:7], v[6:7], v[87:88]
	ds_load_b128 v[51:54], v1 offset:544
	ds_load_b128 v[59:62], v1 offset:560
	v_fma_f64 v[57:58], v[57:58], v[67:68], v[83:84]
	v_fma_f64 v[55:56], v[55:56], v[67:68], -v[69:70]
	s_wait_loadcnt_dscnt 0x401
	v_mul_f64_e32 v[65:66], v[51:52], v[73:74]
	v_mul_f64_e32 v[73:74], v[53:54], v[73:74]
	s_wait_loadcnt_dscnt 0x300
	v_mul_f64_e32 v[67:68], v[61:62], v[77:78]
	v_add_f64_e32 v[2:3], v[2:3], v[63:64]
	v_add_f64_e32 v[6:7], v[6:7], v[85:86]
	v_mul_f64_e32 v[63:64], v[59:60], v[77:78]
	v_fma_f64 v[65:66], v[53:54], v[71:72], v[65:66]
	v_fma_f64 v[69:70], v[51:52], v[71:72], -v[73:74]
	v_fma_f64 v[59:60], v[59:60], v[75:76], -v[67:68]
	v_add_f64_e32 v[55:56], v[2:3], v[55:56]
	v_add_f64_e32 v[6:7], v[6:7], v[57:58]
	ds_load_b128 v[51:54], v1 offset:576
	ds_load_b128 v[1:4], v1 offset:592
	v_fma_f64 v[61:62], v[61:62], v[75:76], v[63:64]
	s_wait_loadcnt_dscnt 0x201
	v_mul_f64_e32 v[57:58], v[51:52], v[81:82]
	v_mul_f64_e32 v[71:72], v[53:54], v[81:82]
	v_add_f64_e32 v[55:56], v[55:56], v[69:70]
	v_add_f64_e32 v[6:7], v[6:7], v[65:66]
	s_wait_loadcnt_dscnt 0x0
	v_mul_f64_e32 v[63:64], v[1:2], v[10:11]
	v_mul_f64_e32 v[10:11], v[3:4], v[10:11]
	v_fma_f64 v[53:54], v[53:54], v[79:80], v[57:58]
	v_fma_f64 v[51:52], v[51:52], v[79:80], -v[71:72]
	v_add_f64_e32 v[55:56], v[55:56], v[59:60]
	v_add_f64_e32 v[6:7], v[6:7], v[61:62]
	v_fma_f64 v[3:4], v[3:4], v[8:9], v[63:64]
	v_fma_f64 v[1:2], v[1:2], v[8:9], -v[10:11]
	s_delay_alu instid0(VALU_DEP_4) | instskip(NEXT) | instid1(VALU_DEP_4)
	v_add_f64_e32 v[8:9], v[55:56], v[51:52]
	v_add_f64_e32 v[6:7], v[6:7], v[53:54]
	s_delay_alu instid0(VALU_DEP_2) | instskip(NEXT) | instid1(VALU_DEP_2)
	v_add_f64_e32 v[1:2], v[8:9], v[1:2]
	v_add_f64_e32 v[3:4], v[6:7], v[3:4]
	s_delay_alu instid0(VALU_DEP_2) | instskip(NEXT) | instid1(VALU_DEP_2)
	v_add_f64_e64 v[1:2], v[91:92], -v[1:2]
	v_add_f64_e64 v[3:4], v[93:94], -v[3:4]
	scratch_store_b128 off, v[1:4], off offset:144
	v_cmpx_lt_u32_e32 7, v0
	s_cbranch_execz .LBB82_113
; %bb.112:
	scratch_load_b128 v[1:4], off, s19
	v_mov_b32_e32 v6, 0
	s_delay_alu instid0(VALU_DEP_1)
	v_dual_mov_b32 v7, v6 :: v_dual_mov_b32 v8, v6
	v_mov_b32_e32 v9, v6
	scratch_store_b128 off, v[6:9], off offset:128
	s_wait_loadcnt 0x0
	ds_store_b128 v5, v[1:4]
.LBB82_113:
	s_wait_alu 0xfffe
	s_or_b32 exec_lo, exec_lo, s0
	s_wait_storecnt_dscnt 0x0
	s_barrier_signal -1
	s_barrier_wait -1
	global_inv scope:SCOPE_SE
	s_clause 0x7
	scratch_load_b128 v[6:9], off, off offset:144
	scratch_load_b128 v[51:54], off, off offset:160
	;; [unrolled: 1-line block ×8, first 2 shown]
	v_mov_b32_e32 v1, 0
	s_mov_b32 s0, exec_lo
	ds_load_b128 v[79:82], v1 offset:432
	s_clause 0x1
	scratch_load_b128 v[83:86], off, off offset:272
	scratch_load_b128 v[87:90], off, off offset:128
	ds_load_b128 v[91:94], v1 offset:448
	ds_load_b128 v[99:102], v1 offset:480
	s_wait_loadcnt_dscnt 0x902
	v_mul_f64_e32 v[2:3], v[81:82], v[8:9]
	v_mul_f64_e32 v[95:96], v[79:80], v[8:9]
	scratch_load_b128 v[8:11], off, off offset:288
	v_fma_f64 v[2:3], v[79:80], v[6:7], -v[2:3]
	v_fma_f64 v[6:7], v[81:82], v[6:7], v[95:96]
	ds_load_b128 v[79:82], v1 offset:464
	s_wait_loadcnt_dscnt 0x902
	v_mul_f64_e32 v[103:104], v[91:92], v[53:54]
	v_mul_f64_e32 v[53:54], v[93:94], v[53:54]
	scratch_load_b128 v[95:98], off, off offset:304
	s_wait_loadcnt_dscnt 0x900
	v_mul_f64_e32 v[105:106], v[79:80], v[57:58]
	v_mul_f64_e32 v[57:58], v[81:82], v[57:58]
	v_add_f64_e32 v[2:3], 0, v[2:3]
	v_add_f64_e32 v[6:7], 0, v[6:7]
	v_fma_f64 v[93:94], v[93:94], v[51:52], v[103:104]
	v_fma_f64 v[51:52], v[91:92], v[51:52], -v[53:54]
	s_wait_loadcnt 0x8
	v_mul_f64_e32 v[91:92], v[99:100], v[61:62]
	v_mul_f64_e32 v[61:62], v[101:102], v[61:62]
	v_fma_f64 v[81:82], v[81:82], v[55:56], v[105:106]
	v_fma_f64 v[79:80], v[79:80], v[55:56], -v[57:58]
	v_add_f64_e32 v[6:7], v[6:7], v[93:94]
	v_add_f64_e32 v[2:3], v[2:3], v[51:52]
	ds_load_b128 v[51:54], v1 offset:496
	ds_load_b128 v[55:58], v1 offset:512
	v_fma_f64 v[91:92], v[101:102], v[59:60], v[91:92]
	v_fma_f64 v[59:60], v[99:100], v[59:60], -v[61:62]
	s_wait_loadcnt_dscnt 0x701
	v_mul_f64_e32 v[93:94], v[51:52], v[65:66]
	v_mul_f64_e32 v[65:66], v[53:54], v[65:66]
	v_add_f64_e32 v[6:7], v[6:7], v[81:82]
	v_add_f64_e32 v[2:3], v[2:3], v[79:80]
	s_wait_loadcnt_dscnt 0x600
	v_mul_f64_e32 v[79:80], v[55:56], v[69:70]
	v_mul_f64_e32 v[69:70], v[57:58], v[69:70]
	v_fma_f64 v[81:82], v[53:54], v[63:64], v[93:94]
	v_fma_f64 v[63:64], v[51:52], v[63:64], -v[65:66]
	v_add_f64_e32 v[6:7], v[6:7], v[91:92]
	v_add_f64_e32 v[2:3], v[2:3], v[59:60]
	ds_load_b128 v[51:54], v1 offset:528
	ds_load_b128 v[59:62], v1 offset:544
	v_fma_f64 v[57:58], v[57:58], v[67:68], v[79:80]
	v_fma_f64 v[55:56], v[55:56], v[67:68], -v[69:70]
	s_wait_loadcnt_dscnt 0x501
	v_mul_f64_e32 v[65:66], v[51:52], v[73:74]
	v_mul_f64_e32 v[73:74], v[53:54], v[73:74]
	s_wait_loadcnt_dscnt 0x400
	v_mul_f64_e32 v[67:68], v[61:62], v[77:78]
	v_add_f64_e32 v[6:7], v[6:7], v[81:82]
	v_add_f64_e32 v[2:3], v[2:3], v[63:64]
	v_mul_f64_e32 v[63:64], v[59:60], v[77:78]
	v_fma_f64 v[65:66], v[53:54], v[71:72], v[65:66]
	v_fma_f64 v[69:70], v[51:52], v[71:72], -v[73:74]
	v_fma_f64 v[59:60], v[59:60], v[75:76], -v[67:68]
	v_add_f64_e32 v[6:7], v[6:7], v[57:58]
	v_add_f64_e32 v[2:3], v[2:3], v[55:56]
	ds_load_b128 v[51:54], v1 offset:560
	ds_load_b128 v[55:58], v1 offset:576
	v_fma_f64 v[61:62], v[61:62], v[75:76], v[63:64]
	s_wait_loadcnt_dscnt 0x301
	v_mul_f64_e32 v[71:72], v[51:52], v[85:86]
	v_mul_f64_e32 v[73:74], v[53:54], v[85:86]
	v_add_f64_e32 v[6:7], v[6:7], v[65:66]
	v_add_f64_e32 v[2:3], v[2:3], v[69:70]
	s_wait_loadcnt_dscnt 0x100
	v_mul_f64_e32 v[63:64], v[55:56], v[10:11]
	v_mul_f64_e32 v[10:11], v[57:58], v[10:11]
	v_fma_f64 v[65:66], v[53:54], v[83:84], v[71:72]
	v_fma_f64 v[67:68], v[51:52], v[83:84], -v[73:74]
	ds_load_b128 v[51:54], v1 offset:592
	v_add_f64_e32 v[6:7], v[6:7], v[61:62]
	v_add_f64_e32 v[2:3], v[2:3], v[59:60]
	v_fma_f64 v[57:58], v[57:58], v[8:9], v[63:64]
	v_fma_f64 v[8:9], v[55:56], v[8:9], -v[10:11]
	s_wait_loadcnt_dscnt 0x0
	v_mul_f64_e32 v[59:60], v[51:52], v[97:98]
	v_mul_f64_e32 v[61:62], v[53:54], v[97:98]
	v_add_f64_e32 v[6:7], v[6:7], v[65:66]
	v_add_f64_e32 v[2:3], v[2:3], v[67:68]
	s_delay_alu instid0(VALU_DEP_4) | instskip(NEXT) | instid1(VALU_DEP_4)
	v_fma_f64 v[10:11], v[53:54], v[95:96], v[59:60]
	v_fma_f64 v[51:52], v[51:52], v[95:96], -v[61:62]
	s_delay_alu instid0(VALU_DEP_4) | instskip(NEXT) | instid1(VALU_DEP_4)
	v_add_f64_e32 v[6:7], v[6:7], v[57:58]
	v_add_f64_e32 v[2:3], v[2:3], v[8:9]
	s_delay_alu instid0(VALU_DEP_2) | instskip(NEXT) | instid1(VALU_DEP_2)
	v_add_f64_e32 v[8:9], v[6:7], v[10:11]
	v_add_f64_e32 v[2:3], v[2:3], v[51:52]
	s_delay_alu instid0(VALU_DEP_2) | instskip(NEXT) | instid1(VALU_DEP_2)
	v_add_f64_e64 v[8:9], v[89:90], -v[8:9]
	v_add_f64_e64 v[6:7], v[87:88], -v[2:3]
	scratch_store_b128 off, v[6:9], off offset:128
	v_cmpx_lt_u32_e32 6, v0
	s_cbranch_execz .LBB82_115
; %bb.114:
	scratch_load_b128 v[6:9], off, s5
	v_dual_mov_b32 v2, v1 :: v_dual_mov_b32 v3, v1
	v_mov_b32_e32 v4, v1
	scratch_store_b128 off, v[1:4], off offset:112
	s_wait_loadcnt 0x0
	ds_store_b128 v5, v[6:9]
.LBB82_115:
	s_wait_alu 0xfffe
	s_or_b32 exec_lo, exec_lo, s0
	s_wait_storecnt_dscnt 0x0
	s_barrier_signal -1
	s_barrier_wait -1
	global_inv scope:SCOPE_SE
	s_clause 0x8
	scratch_load_b128 v[6:9], off, off offset:128
	scratch_load_b128 v[51:54], off, off offset:144
	;; [unrolled: 1-line block ×9, first 2 shown]
	ds_load_b128 v[83:86], v1 offset:416
	ds_load_b128 v[87:90], v1 offset:432
	scratch_load_b128 v[91:94], off, off offset:112
	s_mov_b32 s0, exec_lo
	ds_load_b128 v[99:102], v1 offset:464
	s_wait_loadcnt_dscnt 0x902
	v_mul_f64_e32 v[2:3], v[85:86], v[8:9]
	v_mul_f64_e32 v[95:96], v[83:84], v[8:9]
	scratch_load_b128 v[8:11], off, off offset:272
	s_wait_loadcnt_dscnt 0x901
	v_mul_f64_e32 v[103:104], v[87:88], v[53:54]
	v_mul_f64_e32 v[53:54], v[89:90], v[53:54]
	v_fma_f64 v[2:3], v[83:84], v[6:7], -v[2:3]
	v_fma_f64 v[6:7], v[85:86], v[6:7], v[95:96]
	ds_load_b128 v[83:86], v1 offset:448
	scratch_load_b128 v[95:98], off, off offset:288
	v_fma_f64 v[89:90], v[89:90], v[51:52], v[103:104]
	v_fma_f64 v[87:88], v[87:88], v[51:52], -v[53:54]
	scratch_load_b128 v[51:54], off, off offset:304
	s_wait_loadcnt_dscnt 0x901
	v_mul_f64_e32 v[103:104], v[99:100], v[61:62]
	v_mul_f64_e32 v[61:62], v[101:102], v[61:62]
	s_wait_dscnt 0x0
	v_mul_f64_e32 v[105:106], v[83:84], v[57:58]
	v_mul_f64_e32 v[57:58], v[85:86], v[57:58]
	v_add_f64_e32 v[2:3], 0, v[2:3]
	v_add_f64_e32 v[6:7], 0, v[6:7]
	s_delay_alu instid0(VALU_DEP_4) | instskip(NEXT) | instid1(VALU_DEP_4)
	v_fma_f64 v[105:106], v[85:86], v[55:56], v[105:106]
	v_fma_f64 v[107:108], v[83:84], v[55:56], -v[57:58]
	ds_load_b128 v[55:58], v1 offset:480
	ds_load_b128 v[83:86], v1 offset:496
	v_add_f64_e32 v[2:3], v[2:3], v[87:88]
	v_add_f64_e32 v[6:7], v[6:7], v[89:90]
	v_fma_f64 v[89:90], v[101:102], v[59:60], v[103:104]
	v_fma_f64 v[59:60], v[99:100], v[59:60], -v[61:62]
	s_wait_loadcnt_dscnt 0x801
	v_mul_f64_e32 v[87:88], v[55:56], v[65:66]
	v_mul_f64_e32 v[65:66], v[57:58], v[65:66]
	s_wait_loadcnt_dscnt 0x700
	v_mul_f64_e32 v[99:100], v[83:84], v[69:70]
	v_mul_f64_e32 v[69:70], v[85:86], v[69:70]
	v_add_f64_e32 v[2:3], v[2:3], v[107:108]
	v_add_f64_e32 v[6:7], v[6:7], v[105:106]
	v_fma_f64 v[87:88], v[57:58], v[63:64], v[87:88]
	v_fma_f64 v[63:64], v[55:56], v[63:64], -v[65:66]
	v_fma_f64 v[85:86], v[85:86], v[67:68], v[99:100]
	v_fma_f64 v[67:68], v[83:84], v[67:68], -v[69:70]
	v_add_f64_e32 v[2:3], v[2:3], v[59:60]
	v_add_f64_e32 v[6:7], v[6:7], v[89:90]
	ds_load_b128 v[55:58], v1 offset:512
	ds_load_b128 v[59:62], v1 offset:528
	s_wait_loadcnt_dscnt 0x601
	v_mul_f64_e32 v[65:66], v[55:56], v[73:74]
	v_mul_f64_e32 v[73:74], v[57:58], v[73:74]
	s_wait_loadcnt_dscnt 0x500
	v_mul_f64_e32 v[69:70], v[59:60], v[77:78]
	v_mul_f64_e32 v[77:78], v[61:62], v[77:78]
	v_add_f64_e32 v[2:3], v[2:3], v[63:64]
	v_add_f64_e32 v[6:7], v[6:7], v[87:88]
	v_fma_f64 v[83:84], v[57:58], v[71:72], v[65:66]
	v_fma_f64 v[71:72], v[55:56], v[71:72], -v[73:74]
	ds_load_b128 v[55:58], v1 offset:544
	ds_load_b128 v[63:66], v1 offset:560
	v_fma_f64 v[61:62], v[61:62], v[75:76], v[69:70]
	v_fma_f64 v[59:60], v[59:60], v[75:76], -v[77:78]
	v_add_f64_e32 v[2:3], v[2:3], v[67:68]
	v_add_f64_e32 v[6:7], v[6:7], v[85:86]
	s_wait_loadcnt_dscnt 0x401
	v_mul_f64_e32 v[67:68], v[55:56], v[81:82]
	v_mul_f64_e32 v[73:74], v[57:58], v[81:82]
	s_delay_alu instid0(VALU_DEP_4) | instskip(NEXT) | instid1(VALU_DEP_4)
	v_add_f64_e32 v[2:3], v[2:3], v[71:72]
	v_add_f64_e32 v[6:7], v[6:7], v[83:84]
	s_delay_alu instid0(VALU_DEP_4) | instskip(NEXT) | instid1(VALU_DEP_4)
	v_fma_f64 v[67:68], v[57:58], v[79:80], v[67:68]
	v_fma_f64 v[71:72], v[55:56], v[79:80], -v[73:74]
	s_wait_loadcnt_dscnt 0x200
	v_mul_f64_e32 v[69:70], v[63:64], v[10:11]
	v_mul_f64_e32 v[10:11], v[65:66], v[10:11]
	v_add_f64_e32 v[59:60], v[2:3], v[59:60]
	v_add_f64_e32 v[6:7], v[6:7], v[61:62]
	ds_load_b128 v[55:58], v1 offset:576
	ds_load_b128 v[1:4], v1 offset:592
	v_fma_f64 v[65:66], v[65:66], v[8:9], v[69:70]
	v_fma_f64 v[8:9], v[63:64], v[8:9], -v[10:11]
	s_wait_loadcnt_dscnt 0x101
	v_mul_f64_e32 v[61:62], v[55:56], v[97:98]
	v_mul_f64_e32 v[73:74], v[57:58], v[97:98]
	v_add_f64_e32 v[10:11], v[59:60], v[71:72]
	v_add_f64_e32 v[6:7], v[6:7], v[67:68]
	s_wait_loadcnt_dscnt 0x0
	v_mul_f64_e32 v[59:60], v[1:2], v[53:54]
	v_mul_f64_e32 v[53:54], v[3:4], v[53:54]
	v_fma_f64 v[57:58], v[57:58], v[95:96], v[61:62]
	v_fma_f64 v[55:56], v[55:56], v[95:96], -v[73:74]
	v_add_f64_e32 v[8:9], v[10:11], v[8:9]
	v_add_f64_e32 v[6:7], v[6:7], v[65:66]
	v_fma_f64 v[3:4], v[3:4], v[51:52], v[59:60]
	v_fma_f64 v[1:2], v[1:2], v[51:52], -v[53:54]
	s_delay_alu instid0(VALU_DEP_4) | instskip(NEXT) | instid1(VALU_DEP_4)
	v_add_f64_e32 v[8:9], v[8:9], v[55:56]
	v_add_f64_e32 v[6:7], v[6:7], v[57:58]
	s_delay_alu instid0(VALU_DEP_2) | instskip(NEXT) | instid1(VALU_DEP_2)
	v_add_f64_e32 v[1:2], v[8:9], v[1:2]
	v_add_f64_e32 v[3:4], v[6:7], v[3:4]
	s_delay_alu instid0(VALU_DEP_2) | instskip(NEXT) | instid1(VALU_DEP_2)
	v_add_f64_e64 v[1:2], v[91:92], -v[1:2]
	v_add_f64_e64 v[3:4], v[93:94], -v[3:4]
	scratch_store_b128 off, v[1:4], off offset:112
	v_cmpx_lt_u32_e32 5, v0
	s_cbranch_execz .LBB82_117
; %bb.116:
	scratch_load_b128 v[1:4], off, s18
	v_mov_b32_e32 v6, 0
	s_delay_alu instid0(VALU_DEP_1)
	v_dual_mov_b32 v7, v6 :: v_dual_mov_b32 v8, v6
	v_mov_b32_e32 v9, v6
	scratch_store_b128 off, v[6:9], off offset:96
	s_wait_loadcnt 0x0
	ds_store_b128 v5, v[1:4]
.LBB82_117:
	s_wait_alu 0xfffe
	s_or_b32 exec_lo, exec_lo, s0
	s_wait_storecnt_dscnt 0x0
	s_barrier_signal -1
	s_barrier_wait -1
	global_inv scope:SCOPE_SE
	s_clause 0x7
	scratch_load_b128 v[6:9], off, off offset:112
	scratch_load_b128 v[51:54], off, off offset:128
	;; [unrolled: 1-line block ×8, first 2 shown]
	v_mov_b32_e32 v1, 0
	s_mov_b32 s0, exec_lo
	ds_load_b128 v[79:82], v1 offset:400
	s_clause 0x1
	scratch_load_b128 v[83:86], off, off offset:240
	scratch_load_b128 v[87:90], off, off offset:96
	ds_load_b128 v[91:94], v1 offset:416
	ds_load_b128 v[99:102], v1 offset:448
	s_wait_loadcnt_dscnt 0x902
	v_mul_f64_e32 v[2:3], v[81:82], v[8:9]
	v_mul_f64_e32 v[95:96], v[79:80], v[8:9]
	scratch_load_b128 v[8:11], off, off offset:256
	v_fma_f64 v[2:3], v[79:80], v[6:7], -v[2:3]
	v_fma_f64 v[6:7], v[81:82], v[6:7], v[95:96]
	ds_load_b128 v[79:82], v1 offset:432
	s_wait_loadcnt_dscnt 0x902
	v_mul_f64_e32 v[103:104], v[91:92], v[53:54]
	v_mul_f64_e32 v[53:54], v[93:94], v[53:54]
	scratch_load_b128 v[95:98], off, off offset:272
	s_wait_loadcnt_dscnt 0x900
	v_mul_f64_e32 v[105:106], v[79:80], v[57:58]
	v_mul_f64_e32 v[57:58], v[81:82], v[57:58]
	v_add_f64_e32 v[2:3], 0, v[2:3]
	v_add_f64_e32 v[6:7], 0, v[6:7]
	v_fma_f64 v[93:94], v[93:94], v[51:52], v[103:104]
	v_fma_f64 v[91:92], v[91:92], v[51:52], -v[53:54]
	scratch_load_b128 v[51:54], off, off offset:288
	v_fma_f64 v[105:106], v[81:82], v[55:56], v[105:106]
	v_fma_f64 v[107:108], v[79:80], v[55:56], -v[57:58]
	ds_load_b128 v[55:58], v1 offset:464
	s_wait_loadcnt 0x9
	v_mul_f64_e32 v[103:104], v[99:100], v[61:62]
	v_mul_f64_e32 v[61:62], v[101:102], v[61:62]
	scratch_load_b128 v[79:82], off, off offset:304
	v_add_f64_e32 v[6:7], v[6:7], v[93:94]
	v_add_f64_e32 v[2:3], v[2:3], v[91:92]
	ds_load_b128 v[91:94], v1 offset:480
	s_wait_loadcnt_dscnt 0x901
	v_mul_f64_e32 v[109:110], v[55:56], v[65:66]
	v_mul_f64_e32 v[65:66], v[57:58], v[65:66]
	v_fma_f64 v[101:102], v[101:102], v[59:60], v[103:104]
	v_fma_f64 v[59:60], v[99:100], v[59:60], -v[61:62]
	s_wait_loadcnt_dscnt 0x800
	v_mul_f64_e32 v[99:100], v[91:92], v[69:70]
	v_mul_f64_e32 v[69:70], v[93:94], v[69:70]
	v_add_f64_e32 v[6:7], v[6:7], v[105:106]
	v_add_f64_e32 v[2:3], v[2:3], v[107:108]
	v_fma_f64 v[103:104], v[57:58], v[63:64], v[109:110]
	v_fma_f64 v[63:64], v[55:56], v[63:64], -v[65:66]
	v_fma_f64 v[93:94], v[93:94], v[67:68], v[99:100]
	v_fma_f64 v[67:68], v[91:92], v[67:68], -v[69:70]
	v_add_f64_e32 v[6:7], v[6:7], v[101:102]
	v_add_f64_e32 v[2:3], v[2:3], v[59:60]
	ds_load_b128 v[55:58], v1 offset:496
	ds_load_b128 v[59:62], v1 offset:512
	s_wait_loadcnt_dscnt 0x701
	v_mul_f64_e32 v[65:66], v[55:56], v[73:74]
	v_mul_f64_e32 v[73:74], v[57:58], v[73:74]
	s_wait_loadcnt_dscnt 0x600
	v_mul_f64_e32 v[69:70], v[59:60], v[77:78]
	v_mul_f64_e32 v[77:78], v[61:62], v[77:78]
	v_add_f64_e32 v[6:7], v[6:7], v[103:104]
	v_add_f64_e32 v[2:3], v[2:3], v[63:64]
	v_fma_f64 v[91:92], v[57:58], v[71:72], v[65:66]
	v_fma_f64 v[71:72], v[55:56], v[71:72], -v[73:74]
	ds_load_b128 v[55:58], v1 offset:528
	ds_load_b128 v[63:66], v1 offset:544
	v_fma_f64 v[61:62], v[61:62], v[75:76], v[69:70]
	v_fma_f64 v[59:60], v[59:60], v[75:76], -v[77:78]
	v_add_f64_e32 v[6:7], v[6:7], v[93:94]
	v_add_f64_e32 v[2:3], v[2:3], v[67:68]
	s_wait_loadcnt_dscnt 0x501
	v_mul_f64_e32 v[67:68], v[55:56], v[85:86]
	v_mul_f64_e32 v[73:74], v[57:58], v[85:86]
	s_delay_alu instid0(VALU_DEP_4) | instskip(NEXT) | instid1(VALU_DEP_4)
	v_add_f64_e32 v[6:7], v[6:7], v[91:92]
	v_add_f64_e32 v[2:3], v[2:3], v[71:72]
	s_delay_alu instid0(VALU_DEP_4) | instskip(NEXT) | instid1(VALU_DEP_4)
	v_fma_f64 v[67:68], v[57:58], v[83:84], v[67:68]
	v_fma_f64 v[71:72], v[55:56], v[83:84], -v[73:74]
	s_wait_loadcnt_dscnt 0x300
	v_mul_f64_e32 v[69:70], v[63:64], v[10:11]
	v_mul_f64_e32 v[10:11], v[65:66], v[10:11]
	v_add_f64_e32 v[6:7], v[6:7], v[61:62]
	v_add_f64_e32 v[2:3], v[2:3], v[59:60]
	ds_load_b128 v[55:58], v1 offset:560
	ds_load_b128 v[59:62], v1 offset:576
	v_fma_f64 v[65:66], v[65:66], v[8:9], v[69:70]
	v_fma_f64 v[8:9], v[63:64], v[8:9], -v[10:11]
	s_wait_loadcnt_dscnt 0x201
	v_mul_f64_e32 v[73:74], v[55:56], v[97:98]
	v_mul_f64_e32 v[75:76], v[57:58], v[97:98]
	v_add_f64_e32 v[6:7], v[6:7], v[67:68]
	v_add_f64_e32 v[2:3], v[2:3], v[71:72]
	s_wait_loadcnt_dscnt 0x100
	v_mul_f64_e32 v[10:11], v[59:60], v[53:54]
	v_mul_f64_e32 v[53:54], v[61:62], v[53:54]
	v_fma_f64 v[57:58], v[57:58], v[95:96], v[73:74]
	v_fma_f64 v[55:56], v[55:56], v[95:96], -v[75:76]
	v_add_f64_e32 v[63:64], v[6:7], v[65:66]
	v_add_f64_e32 v[2:3], v[2:3], v[8:9]
	ds_load_b128 v[6:9], v1 offset:592
	v_fma_f64 v[10:11], v[61:62], v[51:52], v[10:11]
	v_fma_f64 v[51:52], v[59:60], v[51:52], -v[53:54]
	s_wait_loadcnt_dscnt 0x0
	v_mul_f64_e32 v[65:66], v[6:7], v[81:82]
	v_mul_f64_e32 v[67:68], v[8:9], v[81:82]
	v_add_f64_e32 v[53:54], v[63:64], v[57:58]
	v_add_f64_e32 v[2:3], v[2:3], v[55:56]
	s_delay_alu instid0(VALU_DEP_4) | instskip(NEXT) | instid1(VALU_DEP_4)
	v_fma_f64 v[8:9], v[8:9], v[79:80], v[65:66]
	v_fma_f64 v[6:7], v[6:7], v[79:80], -v[67:68]
	s_delay_alu instid0(VALU_DEP_4) | instskip(NEXT) | instid1(VALU_DEP_4)
	v_add_f64_e32 v[10:11], v[53:54], v[10:11]
	v_add_f64_e32 v[2:3], v[2:3], v[51:52]
	s_delay_alu instid0(VALU_DEP_2) | instskip(NEXT) | instid1(VALU_DEP_2)
	v_add_f64_e32 v[8:9], v[10:11], v[8:9]
	v_add_f64_e32 v[2:3], v[2:3], v[6:7]
	s_delay_alu instid0(VALU_DEP_2) | instskip(NEXT) | instid1(VALU_DEP_2)
	v_add_f64_e64 v[8:9], v[89:90], -v[8:9]
	v_add_f64_e64 v[6:7], v[87:88], -v[2:3]
	scratch_store_b128 off, v[6:9], off offset:96
	v_cmpx_lt_u32_e32 4, v0
	s_cbranch_execz .LBB82_119
; %bb.118:
	scratch_load_b128 v[6:9], off, s4
	v_dual_mov_b32 v2, v1 :: v_dual_mov_b32 v3, v1
	v_mov_b32_e32 v4, v1
	scratch_store_b128 off, v[1:4], off offset:80
	s_wait_loadcnt 0x0
	ds_store_b128 v5, v[6:9]
.LBB82_119:
	s_wait_alu 0xfffe
	s_or_b32 exec_lo, exec_lo, s0
	s_wait_storecnt_dscnt 0x0
	s_barrier_signal -1
	s_barrier_wait -1
	global_inv scope:SCOPE_SE
	s_clause 0x8
	scratch_load_b128 v[6:9], off, off offset:96
	scratch_load_b128 v[51:54], off, off offset:112
	;; [unrolled: 1-line block ×9, first 2 shown]
	ds_load_b128 v[83:86], v1 offset:384
	ds_load_b128 v[87:90], v1 offset:400
	scratch_load_b128 v[91:94], off, off offset:80
	s_mov_b32 s0, exec_lo
	ds_load_b128 v[99:102], v1 offset:432
	s_wait_loadcnt_dscnt 0x902
	v_mul_f64_e32 v[2:3], v[85:86], v[8:9]
	v_mul_f64_e32 v[95:96], v[83:84], v[8:9]
	scratch_load_b128 v[8:11], off, off offset:240
	s_wait_loadcnt_dscnt 0x901
	v_mul_f64_e32 v[103:104], v[87:88], v[53:54]
	v_mul_f64_e32 v[53:54], v[89:90], v[53:54]
	v_fma_f64 v[2:3], v[83:84], v[6:7], -v[2:3]
	v_fma_f64 v[6:7], v[85:86], v[6:7], v[95:96]
	ds_load_b128 v[83:86], v1 offset:416
	scratch_load_b128 v[95:98], off, off offset:256
	v_fma_f64 v[89:90], v[89:90], v[51:52], v[103:104]
	v_fma_f64 v[87:88], v[87:88], v[51:52], -v[53:54]
	scratch_load_b128 v[51:54], off, off offset:272
	s_wait_loadcnt_dscnt 0x901
	v_mul_f64_e32 v[103:104], v[99:100], v[61:62]
	v_mul_f64_e32 v[61:62], v[101:102], v[61:62]
	s_wait_dscnt 0x0
	v_mul_f64_e32 v[105:106], v[83:84], v[57:58]
	v_mul_f64_e32 v[57:58], v[85:86], v[57:58]
	v_add_f64_e32 v[2:3], 0, v[2:3]
	v_add_f64_e32 v[6:7], 0, v[6:7]
	v_fma_f64 v[101:102], v[101:102], v[59:60], v[103:104]
	v_fma_f64 v[99:100], v[99:100], v[59:60], -v[61:62]
	scratch_load_b128 v[59:62], off, off offset:304
	v_fma_f64 v[105:106], v[85:86], v[55:56], v[105:106]
	v_fma_f64 v[107:108], v[83:84], v[55:56], -v[57:58]
	ds_load_b128 v[55:58], v1 offset:448
	scratch_load_b128 v[83:86], off, off offset:288
	v_add_f64_e32 v[2:3], v[2:3], v[87:88]
	v_add_f64_e32 v[6:7], v[6:7], v[89:90]
	ds_load_b128 v[87:90], v1 offset:464
	s_wait_loadcnt_dscnt 0xa01
	v_mul_f64_e32 v[109:110], v[55:56], v[65:66]
	v_mul_f64_e32 v[65:66], v[57:58], v[65:66]
	s_wait_loadcnt_dscnt 0x900
	v_mul_f64_e32 v[103:104], v[87:88], v[69:70]
	v_mul_f64_e32 v[69:70], v[89:90], v[69:70]
	v_add_f64_e32 v[2:3], v[2:3], v[107:108]
	v_add_f64_e32 v[6:7], v[6:7], v[105:106]
	v_fma_f64 v[105:106], v[57:58], v[63:64], v[109:110]
	v_fma_f64 v[107:108], v[55:56], v[63:64], -v[65:66]
	ds_load_b128 v[55:58], v1 offset:480
	ds_load_b128 v[63:66], v1 offset:496
	v_fma_f64 v[89:90], v[89:90], v[67:68], v[103:104]
	v_fma_f64 v[67:68], v[87:88], v[67:68], -v[69:70]
	s_wait_loadcnt_dscnt 0x700
	v_mul_f64_e32 v[87:88], v[63:64], v[77:78]
	v_mul_f64_e32 v[77:78], v[65:66], v[77:78]
	v_add_f64_e32 v[2:3], v[2:3], v[99:100]
	v_add_f64_e32 v[6:7], v[6:7], v[101:102]
	v_mul_f64_e32 v[99:100], v[55:56], v[73:74]
	v_mul_f64_e32 v[73:74], v[57:58], v[73:74]
	v_fma_f64 v[65:66], v[65:66], v[75:76], v[87:88]
	v_fma_f64 v[63:64], v[63:64], v[75:76], -v[77:78]
	v_add_f64_e32 v[2:3], v[2:3], v[107:108]
	v_add_f64_e32 v[6:7], v[6:7], v[105:106]
	v_fma_f64 v[99:100], v[57:58], v[71:72], v[99:100]
	v_fma_f64 v[71:72], v[55:56], v[71:72], -v[73:74]
	s_delay_alu instid0(VALU_DEP_4) | instskip(NEXT) | instid1(VALU_DEP_4)
	v_add_f64_e32 v[2:3], v[2:3], v[67:68]
	v_add_f64_e32 v[6:7], v[6:7], v[89:90]
	ds_load_b128 v[55:58], v1 offset:512
	ds_load_b128 v[67:70], v1 offset:528
	s_wait_loadcnt_dscnt 0x601
	v_mul_f64_e32 v[73:74], v[55:56], v[81:82]
	v_mul_f64_e32 v[81:82], v[57:58], v[81:82]
	v_add_f64_e32 v[2:3], v[2:3], v[71:72]
	v_add_f64_e32 v[6:7], v[6:7], v[99:100]
	s_wait_loadcnt_dscnt 0x400
	v_mul_f64_e32 v[71:72], v[67:68], v[10:11]
	v_mul_f64_e32 v[10:11], v[69:70], v[10:11]
	v_fma_f64 v[73:74], v[57:58], v[79:80], v[73:74]
	v_fma_f64 v[75:76], v[55:56], v[79:80], -v[81:82]
	v_add_f64_e32 v[2:3], v[2:3], v[63:64]
	v_add_f64_e32 v[6:7], v[6:7], v[65:66]
	ds_load_b128 v[55:58], v1 offset:544
	ds_load_b128 v[63:66], v1 offset:560
	v_fma_f64 v[69:70], v[69:70], v[8:9], v[71:72]
	v_fma_f64 v[8:9], v[67:68], v[8:9], -v[10:11]
	s_wait_loadcnt_dscnt 0x301
	v_mul_f64_e32 v[77:78], v[55:56], v[97:98]
	v_mul_f64_e32 v[79:80], v[57:58], v[97:98]
	s_wait_loadcnt_dscnt 0x200
	v_mul_f64_e32 v[10:11], v[63:64], v[53:54]
	v_mul_f64_e32 v[53:54], v[65:66], v[53:54]
	v_add_f64_e32 v[2:3], v[2:3], v[75:76]
	v_add_f64_e32 v[6:7], v[6:7], v[73:74]
	v_fma_f64 v[57:58], v[57:58], v[95:96], v[77:78]
	v_fma_f64 v[55:56], v[55:56], v[95:96], -v[79:80]
	v_fma_f64 v[10:11], v[65:66], v[51:52], v[10:11]
	v_fma_f64 v[51:52], v[63:64], v[51:52], -v[53:54]
	v_add_f64_e32 v[67:68], v[2:3], v[8:9]
	v_add_f64_e32 v[69:70], v[6:7], v[69:70]
	ds_load_b128 v[6:9], v1 offset:576
	ds_load_b128 v[1:4], v1 offset:592
	s_wait_loadcnt_dscnt 0x1
	v_mul_f64_e32 v[71:72], v[6:7], v[85:86]
	v_mul_f64_e32 v[73:74], v[8:9], v[85:86]
	v_add_f64_e32 v[53:54], v[67:68], v[55:56]
	v_add_f64_e32 v[55:56], v[69:70], v[57:58]
	s_wait_dscnt 0x0
	v_mul_f64_e32 v[57:58], v[1:2], v[61:62]
	v_mul_f64_e32 v[61:62], v[3:4], v[61:62]
	v_fma_f64 v[8:9], v[8:9], v[83:84], v[71:72]
	v_fma_f64 v[6:7], v[6:7], v[83:84], -v[73:74]
	v_add_f64_e32 v[51:52], v[53:54], v[51:52]
	v_add_f64_e32 v[10:11], v[55:56], v[10:11]
	v_fma_f64 v[3:4], v[3:4], v[59:60], v[57:58]
	v_fma_f64 v[1:2], v[1:2], v[59:60], -v[61:62]
	s_delay_alu instid0(VALU_DEP_4) | instskip(NEXT) | instid1(VALU_DEP_4)
	v_add_f64_e32 v[6:7], v[51:52], v[6:7]
	v_add_f64_e32 v[8:9], v[10:11], v[8:9]
	s_delay_alu instid0(VALU_DEP_2) | instskip(NEXT) | instid1(VALU_DEP_2)
	v_add_f64_e32 v[1:2], v[6:7], v[1:2]
	v_add_f64_e32 v[3:4], v[8:9], v[3:4]
	s_delay_alu instid0(VALU_DEP_2) | instskip(NEXT) | instid1(VALU_DEP_2)
	v_add_f64_e64 v[1:2], v[91:92], -v[1:2]
	v_add_f64_e64 v[3:4], v[93:94], -v[3:4]
	scratch_store_b128 off, v[1:4], off offset:80
	v_cmpx_lt_u32_e32 3, v0
	s_cbranch_execz .LBB82_121
; %bb.120:
	scratch_load_b128 v[1:4], off, s17
	v_mov_b32_e32 v6, 0
	s_delay_alu instid0(VALU_DEP_1)
	v_dual_mov_b32 v7, v6 :: v_dual_mov_b32 v8, v6
	v_mov_b32_e32 v9, v6
	scratch_store_b128 off, v[6:9], off offset:64
	s_wait_loadcnt 0x0
	ds_store_b128 v5, v[1:4]
.LBB82_121:
	s_wait_alu 0xfffe
	s_or_b32 exec_lo, exec_lo, s0
	s_wait_storecnt_dscnt 0x0
	s_barrier_signal -1
	s_barrier_wait -1
	global_inv scope:SCOPE_SE
	s_clause 0x7
	scratch_load_b128 v[6:9], off, off offset:80
	scratch_load_b128 v[51:54], off, off offset:96
	;; [unrolled: 1-line block ×8, first 2 shown]
	v_mov_b32_e32 v1, 0
	s_mov_b32 s0, exec_lo
	ds_load_b128 v[79:82], v1 offset:368
	s_clause 0x1
	scratch_load_b128 v[83:86], off, off offset:208
	scratch_load_b128 v[87:90], off, off offset:64
	ds_load_b128 v[91:94], v1 offset:384
	ds_load_b128 v[99:102], v1 offset:416
	s_wait_loadcnt_dscnt 0x902
	v_mul_f64_e32 v[2:3], v[81:82], v[8:9]
	v_mul_f64_e32 v[95:96], v[79:80], v[8:9]
	scratch_load_b128 v[8:11], off, off offset:224
	v_fma_f64 v[2:3], v[79:80], v[6:7], -v[2:3]
	v_fma_f64 v[6:7], v[81:82], v[6:7], v[95:96]
	ds_load_b128 v[79:82], v1 offset:400
	s_wait_loadcnt_dscnt 0x902
	v_mul_f64_e32 v[103:104], v[91:92], v[53:54]
	v_mul_f64_e32 v[53:54], v[93:94], v[53:54]
	scratch_load_b128 v[95:98], off, off offset:240
	s_wait_loadcnt_dscnt 0x900
	v_mul_f64_e32 v[105:106], v[79:80], v[57:58]
	v_mul_f64_e32 v[57:58], v[81:82], v[57:58]
	v_add_f64_e32 v[2:3], 0, v[2:3]
	v_add_f64_e32 v[6:7], 0, v[6:7]
	v_fma_f64 v[93:94], v[93:94], v[51:52], v[103:104]
	v_fma_f64 v[91:92], v[91:92], v[51:52], -v[53:54]
	scratch_load_b128 v[51:54], off, off offset:256
	v_fma_f64 v[105:106], v[81:82], v[55:56], v[105:106]
	v_fma_f64 v[107:108], v[79:80], v[55:56], -v[57:58]
	ds_load_b128 v[55:58], v1 offset:432
	s_wait_loadcnt 0x9
	v_mul_f64_e32 v[103:104], v[99:100], v[61:62]
	v_mul_f64_e32 v[61:62], v[101:102], v[61:62]
	scratch_load_b128 v[79:82], off, off offset:272
	v_add_f64_e32 v[6:7], v[6:7], v[93:94]
	v_add_f64_e32 v[2:3], v[2:3], v[91:92]
	ds_load_b128 v[91:94], v1 offset:448
	s_wait_loadcnt_dscnt 0x901
	v_mul_f64_e32 v[109:110], v[55:56], v[65:66]
	v_mul_f64_e32 v[65:66], v[57:58], v[65:66]
	v_fma_f64 v[101:102], v[101:102], v[59:60], v[103:104]
	v_fma_f64 v[99:100], v[99:100], v[59:60], -v[61:62]
	scratch_load_b128 v[59:62], off, off offset:288
	v_add_f64_e32 v[6:7], v[6:7], v[105:106]
	v_add_f64_e32 v[2:3], v[2:3], v[107:108]
	v_fma_f64 v[105:106], v[57:58], v[63:64], v[109:110]
	v_fma_f64 v[107:108], v[55:56], v[63:64], -v[65:66]
	ds_load_b128 v[55:58], v1 offset:464
	s_wait_loadcnt_dscnt 0x901
	v_mul_f64_e32 v[103:104], v[91:92], v[69:70]
	v_mul_f64_e32 v[69:70], v[93:94], v[69:70]
	scratch_load_b128 v[63:66], off, off offset:304
	s_wait_loadcnt_dscnt 0x900
	v_mul_f64_e32 v[109:110], v[55:56], v[73:74]
	v_mul_f64_e32 v[73:74], v[57:58], v[73:74]
	v_add_f64_e32 v[6:7], v[6:7], v[101:102]
	v_add_f64_e32 v[2:3], v[2:3], v[99:100]
	ds_load_b128 v[99:102], v1 offset:480
	v_fma_f64 v[93:94], v[93:94], v[67:68], v[103:104]
	v_fma_f64 v[67:68], v[91:92], v[67:68], -v[69:70]
	s_wait_loadcnt_dscnt 0x800
	v_mul_f64_e32 v[91:92], v[99:100], v[77:78]
	v_mul_f64_e32 v[77:78], v[101:102], v[77:78]
	v_fma_f64 v[103:104], v[57:58], v[71:72], v[109:110]
	v_fma_f64 v[71:72], v[55:56], v[71:72], -v[73:74]
	v_add_f64_e32 v[6:7], v[6:7], v[105:106]
	v_add_f64_e32 v[2:3], v[2:3], v[107:108]
	v_fma_f64 v[91:92], v[101:102], v[75:76], v[91:92]
	v_fma_f64 v[75:76], v[99:100], v[75:76], -v[77:78]
	s_delay_alu instid0(VALU_DEP_4) | instskip(NEXT) | instid1(VALU_DEP_4)
	v_add_f64_e32 v[6:7], v[6:7], v[93:94]
	v_add_f64_e32 v[2:3], v[2:3], v[67:68]
	ds_load_b128 v[55:58], v1 offset:496
	ds_load_b128 v[67:70], v1 offset:512
	s_wait_loadcnt_dscnt 0x701
	v_mul_f64_e32 v[73:74], v[55:56], v[85:86]
	v_mul_f64_e32 v[85:86], v[57:58], v[85:86]
	v_add_f64_e32 v[6:7], v[6:7], v[103:104]
	v_add_f64_e32 v[2:3], v[2:3], v[71:72]
	s_wait_loadcnt_dscnt 0x500
	v_mul_f64_e32 v[77:78], v[67:68], v[10:11]
	v_mul_f64_e32 v[10:11], v[69:70], v[10:11]
	v_fma_f64 v[93:94], v[57:58], v[83:84], v[73:74]
	v_fma_f64 v[83:84], v[55:56], v[83:84], -v[85:86]
	ds_load_b128 v[55:58], v1 offset:528
	ds_load_b128 v[71:74], v1 offset:544
	v_add_f64_e32 v[6:7], v[6:7], v[91:92]
	v_add_f64_e32 v[2:3], v[2:3], v[75:76]
	v_fma_f64 v[69:70], v[69:70], v[8:9], v[77:78]
	v_fma_f64 v[8:9], v[67:68], v[8:9], -v[10:11]
	s_wait_loadcnt_dscnt 0x401
	v_mul_f64_e32 v[75:76], v[55:56], v[97:98]
	v_mul_f64_e32 v[85:86], v[57:58], v[97:98]
	v_add_f64_e32 v[6:7], v[6:7], v[93:94]
	v_add_f64_e32 v[2:3], v[2:3], v[83:84]
	s_wait_loadcnt_dscnt 0x300
	v_mul_f64_e32 v[10:11], v[71:72], v[53:54]
	v_mul_f64_e32 v[67:68], v[73:74], v[53:54]
	v_fma_f64 v[57:58], v[57:58], v[95:96], v[75:76]
	v_fma_f64 v[75:76], v[55:56], v[95:96], -v[85:86]
	v_add_f64_e32 v[69:70], v[6:7], v[69:70]
	v_add_f64_e32 v[2:3], v[2:3], v[8:9]
	ds_load_b128 v[6:9], v1 offset:560
	ds_load_b128 v[53:56], v1 offset:576
	v_fma_f64 v[10:11], v[73:74], v[51:52], v[10:11]
	v_fma_f64 v[51:52], v[71:72], v[51:52], -v[67:68]
	s_wait_loadcnt_dscnt 0x201
	v_mul_f64_e32 v[77:78], v[6:7], v[81:82]
	v_mul_f64_e32 v[81:82], v[8:9], v[81:82]
	v_add_f64_e32 v[57:58], v[69:70], v[57:58]
	v_add_f64_e32 v[2:3], v[2:3], v[75:76]
	s_wait_loadcnt_dscnt 0x100
	v_mul_f64_e32 v[67:68], v[53:54], v[61:62]
	v_mul_f64_e32 v[61:62], v[55:56], v[61:62]
	v_fma_f64 v[69:70], v[8:9], v[79:80], v[77:78]
	v_fma_f64 v[71:72], v[6:7], v[79:80], -v[81:82]
	ds_load_b128 v[6:9], v1 offset:592
	v_add_f64_e32 v[10:11], v[57:58], v[10:11]
	v_add_f64_e32 v[2:3], v[2:3], v[51:52]
	v_fma_f64 v[55:56], v[55:56], v[59:60], v[67:68]
	v_fma_f64 v[53:54], v[53:54], v[59:60], -v[61:62]
	s_wait_loadcnt_dscnt 0x0
	v_mul_f64_e32 v[51:52], v[6:7], v[65:66]
	v_mul_f64_e32 v[57:58], v[8:9], v[65:66]
	v_add_f64_e32 v[10:11], v[10:11], v[69:70]
	v_add_f64_e32 v[2:3], v[2:3], v[71:72]
	s_delay_alu instid0(VALU_DEP_4) | instskip(NEXT) | instid1(VALU_DEP_4)
	v_fma_f64 v[8:9], v[8:9], v[63:64], v[51:52]
	v_fma_f64 v[6:7], v[6:7], v[63:64], -v[57:58]
	s_delay_alu instid0(VALU_DEP_4) | instskip(NEXT) | instid1(VALU_DEP_4)
	v_add_f64_e32 v[10:11], v[10:11], v[55:56]
	v_add_f64_e32 v[2:3], v[2:3], v[53:54]
	s_delay_alu instid0(VALU_DEP_2) | instskip(NEXT) | instid1(VALU_DEP_2)
	v_add_f64_e32 v[8:9], v[10:11], v[8:9]
	v_add_f64_e32 v[2:3], v[2:3], v[6:7]
	s_delay_alu instid0(VALU_DEP_2) | instskip(NEXT) | instid1(VALU_DEP_2)
	v_add_f64_e64 v[8:9], v[89:90], -v[8:9]
	v_add_f64_e64 v[6:7], v[87:88], -v[2:3]
	scratch_store_b128 off, v[6:9], off offset:64
	v_cmpx_lt_u32_e32 2, v0
	s_cbranch_execz .LBB82_123
; %bb.122:
	scratch_load_b128 v[6:9], off, s25
	v_dual_mov_b32 v2, v1 :: v_dual_mov_b32 v3, v1
	v_mov_b32_e32 v4, v1
	scratch_store_b128 off, v[1:4], off offset:48
	s_wait_loadcnt 0x0
	ds_store_b128 v5, v[6:9]
.LBB82_123:
	s_wait_alu 0xfffe
	s_or_b32 exec_lo, exec_lo, s0
	s_wait_storecnt_dscnt 0x0
	s_barrier_signal -1
	s_barrier_wait -1
	global_inv scope:SCOPE_SE
	s_clause 0x8
	scratch_load_b128 v[6:9], off, off offset:64
	scratch_load_b128 v[51:54], off, off offset:80
	;; [unrolled: 1-line block ×9, first 2 shown]
	ds_load_b128 v[83:86], v1 offset:352
	ds_load_b128 v[87:90], v1 offset:368
	scratch_load_b128 v[91:94], off, off offset:48
	s_mov_b32 s0, exec_lo
	ds_load_b128 v[99:102], v1 offset:400
	s_wait_loadcnt_dscnt 0x902
	v_mul_f64_e32 v[2:3], v[85:86], v[8:9]
	v_mul_f64_e32 v[95:96], v[83:84], v[8:9]
	scratch_load_b128 v[8:11], off, off offset:208
	s_wait_loadcnt_dscnt 0x901
	v_mul_f64_e32 v[103:104], v[87:88], v[53:54]
	v_mul_f64_e32 v[53:54], v[89:90], v[53:54]
	v_fma_f64 v[2:3], v[83:84], v[6:7], -v[2:3]
	v_fma_f64 v[6:7], v[85:86], v[6:7], v[95:96]
	ds_load_b128 v[83:86], v1 offset:384
	scratch_load_b128 v[95:98], off, off offset:224
	v_fma_f64 v[89:90], v[89:90], v[51:52], v[103:104]
	v_fma_f64 v[87:88], v[87:88], v[51:52], -v[53:54]
	scratch_load_b128 v[51:54], off, off offset:240
	s_wait_loadcnt_dscnt 0x901
	v_mul_f64_e32 v[103:104], v[99:100], v[61:62]
	v_mul_f64_e32 v[61:62], v[101:102], v[61:62]
	s_wait_dscnt 0x0
	v_mul_f64_e32 v[105:106], v[83:84], v[57:58]
	v_mul_f64_e32 v[57:58], v[85:86], v[57:58]
	v_add_f64_e32 v[2:3], 0, v[2:3]
	v_add_f64_e32 v[6:7], 0, v[6:7]
	v_fma_f64 v[101:102], v[101:102], v[59:60], v[103:104]
	v_fma_f64 v[99:100], v[99:100], v[59:60], -v[61:62]
	scratch_load_b128 v[59:62], off, off offset:272
	v_fma_f64 v[105:106], v[85:86], v[55:56], v[105:106]
	v_fma_f64 v[107:108], v[83:84], v[55:56], -v[57:58]
	ds_load_b128 v[55:58], v1 offset:416
	scratch_load_b128 v[83:86], off, off offset:256
	v_add_f64_e32 v[2:3], v[2:3], v[87:88]
	v_add_f64_e32 v[6:7], v[6:7], v[89:90]
	ds_load_b128 v[87:90], v1 offset:432
	s_wait_loadcnt_dscnt 0xa01
	v_mul_f64_e32 v[109:110], v[55:56], v[65:66]
	v_mul_f64_e32 v[65:66], v[57:58], v[65:66]
	s_wait_loadcnt_dscnt 0x900
	v_mul_f64_e32 v[103:104], v[87:88], v[69:70]
	v_mul_f64_e32 v[69:70], v[89:90], v[69:70]
	v_add_f64_e32 v[2:3], v[2:3], v[107:108]
	v_add_f64_e32 v[6:7], v[6:7], v[105:106]
	v_fma_f64 v[105:106], v[57:58], v[63:64], v[109:110]
	v_fma_f64 v[107:108], v[55:56], v[63:64], -v[65:66]
	ds_load_b128 v[55:58], v1 offset:448
	scratch_load_b128 v[63:66], off, off offset:288
	v_fma_f64 v[89:90], v[89:90], v[67:68], v[103:104]
	v_fma_f64 v[87:88], v[87:88], v[67:68], -v[69:70]
	scratch_load_b128 v[67:70], off, off offset:304
	v_add_f64_e32 v[2:3], v[2:3], v[99:100]
	v_add_f64_e32 v[6:7], v[6:7], v[101:102]
	ds_load_b128 v[99:102], v1 offset:464
	s_wait_loadcnt_dscnt 0xa01
	v_mul_f64_e32 v[109:110], v[55:56], v[73:74]
	v_mul_f64_e32 v[73:74], v[57:58], v[73:74]
	s_wait_loadcnt_dscnt 0x900
	v_mul_f64_e32 v[103:104], v[99:100], v[77:78]
	v_mul_f64_e32 v[77:78], v[101:102], v[77:78]
	v_add_f64_e32 v[2:3], v[2:3], v[107:108]
	v_add_f64_e32 v[6:7], v[6:7], v[105:106]
	v_fma_f64 v[105:106], v[57:58], v[71:72], v[109:110]
	v_fma_f64 v[107:108], v[55:56], v[71:72], -v[73:74]
	ds_load_b128 v[55:58], v1 offset:480
	ds_load_b128 v[71:74], v1 offset:496
	v_add_f64_e32 v[2:3], v[2:3], v[87:88]
	v_add_f64_e32 v[6:7], v[6:7], v[89:90]
	s_wait_loadcnt_dscnt 0x801
	v_mul_f64_e32 v[87:88], v[55:56], v[81:82]
	v_mul_f64_e32 v[81:82], v[57:58], v[81:82]
	v_fma_f64 v[89:90], v[101:102], v[75:76], v[103:104]
	v_fma_f64 v[75:76], v[99:100], v[75:76], -v[77:78]
	v_add_f64_e32 v[2:3], v[2:3], v[107:108]
	v_add_f64_e32 v[6:7], v[6:7], v[105:106]
	v_fma_f64 v[87:88], v[57:58], v[79:80], v[87:88]
	v_fma_f64 v[79:80], v[55:56], v[79:80], -v[81:82]
	s_wait_loadcnt_dscnt 0x600
	v_mul_f64_e32 v[99:100], v[71:72], v[10:11]
	v_mul_f64_e32 v[10:11], v[73:74], v[10:11]
	v_add_f64_e32 v[2:3], v[2:3], v[75:76]
	v_add_f64_e32 v[6:7], v[6:7], v[89:90]
	ds_load_b128 v[55:58], v1 offset:512
	ds_load_b128 v[75:78], v1 offset:528
	v_fma_f64 v[73:74], v[73:74], v[8:9], v[99:100]
	v_fma_f64 v[8:9], v[71:72], v[8:9], -v[10:11]
	s_wait_loadcnt_dscnt 0x501
	v_mul_f64_e32 v[81:82], v[55:56], v[97:98]
	v_mul_f64_e32 v[89:90], v[57:58], v[97:98]
	s_wait_loadcnt_dscnt 0x400
	v_mul_f64_e32 v[10:11], v[75:76], v[53:54]
	v_mul_f64_e32 v[71:72], v[77:78], v[53:54]
	v_add_f64_e32 v[2:3], v[2:3], v[79:80]
	v_add_f64_e32 v[6:7], v[6:7], v[87:88]
	v_fma_f64 v[57:58], v[57:58], v[95:96], v[81:82]
	v_fma_f64 v[79:80], v[55:56], v[95:96], -v[89:90]
	v_fma_f64 v[10:11], v[77:78], v[51:52], v[10:11]
	v_fma_f64 v[51:52], v[75:76], v[51:52], -v[71:72]
	v_add_f64_e32 v[2:3], v[2:3], v[8:9]
	v_add_f64_e32 v[73:74], v[6:7], v[73:74]
	ds_load_b128 v[6:9], v1 offset:544
	ds_load_b128 v[53:56], v1 offset:560
	s_wait_loadcnt_dscnt 0x201
	v_mul_f64_e32 v[81:82], v[6:7], v[85:86]
	v_mul_f64_e32 v[85:86], v[8:9], v[85:86]
	s_wait_dscnt 0x0
	v_mul_f64_e32 v[71:72], v[53:54], v[61:62]
	v_mul_f64_e32 v[61:62], v[55:56], v[61:62]
	v_add_f64_e32 v[2:3], v[2:3], v[79:80]
	v_add_f64_e32 v[57:58], v[73:74], v[57:58]
	v_fma_f64 v[73:74], v[8:9], v[83:84], v[81:82]
	v_fma_f64 v[75:76], v[6:7], v[83:84], -v[85:86]
	v_fma_f64 v[55:56], v[55:56], v[59:60], v[71:72]
	v_fma_f64 v[53:54], v[53:54], v[59:60], -v[61:62]
	v_add_f64_e32 v[51:52], v[2:3], v[51:52]
	v_add_f64_e32 v[10:11], v[57:58], v[10:11]
	ds_load_b128 v[6:9], v1 offset:576
	ds_load_b128 v[1:4], v1 offset:592
	s_wait_loadcnt_dscnt 0x101
	v_mul_f64_e32 v[57:58], v[6:7], v[65:66]
	v_mul_f64_e32 v[65:66], v[8:9], v[65:66]
	s_wait_loadcnt_dscnt 0x0
	v_mul_f64_e32 v[59:60], v[1:2], v[69:70]
	v_mul_f64_e32 v[61:62], v[3:4], v[69:70]
	v_add_f64_e32 v[51:52], v[51:52], v[75:76]
	v_add_f64_e32 v[10:11], v[10:11], v[73:74]
	v_fma_f64 v[8:9], v[8:9], v[63:64], v[57:58]
	v_fma_f64 v[6:7], v[6:7], v[63:64], -v[65:66]
	v_fma_f64 v[3:4], v[3:4], v[67:68], v[59:60]
	v_fma_f64 v[1:2], v[1:2], v[67:68], -v[61:62]
	v_add_f64_e32 v[51:52], v[51:52], v[53:54]
	v_add_f64_e32 v[10:11], v[10:11], v[55:56]
	s_delay_alu instid0(VALU_DEP_2) | instskip(NEXT) | instid1(VALU_DEP_2)
	v_add_f64_e32 v[6:7], v[51:52], v[6:7]
	v_add_f64_e32 v[8:9], v[10:11], v[8:9]
	s_delay_alu instid0(VALU_DEP_2) | instskip(NEXT) | instid1(VALU_DEP_2)
	;; [unrolled: 3-line block ×3, first 2 shown]
	v_add_f64_e64 v[1:2], v[91:92], -v[1:2]
	v_add_f64_e64 v[3:4], v[93:94], -v[3:4]
	scratch_store_b128 off, v[1:4], off offset:48
	v_cmpx_lt_u32_e32 1, v0
	s_cbranch_execz .LBB82_125
; %bb.124:
	scratch_load_b128 v[1:4], off, s26
	v_mov_b32_e32 v6, 0
	s_delay_alu instid0(VALU_DEP_1)
	v_dual_mov_b32 v7, v6 :: v_dual_mov_b32 v8, v6
	v_mov_b32_e32 v9, v6
	scratch_store_b128 off, v[6:9], off offset:32
	s_wait_loadcnt 0x0
	ds_store_b128 v5, v[1:4]
.LBB82_125:
	s_wait_alu 0xfffe
	s_or_b32 exec_lo, exec_lo, s0
	s_wait_storecnt_dscnt 0x0
	s_barrier_signal -1
	s_barrier_wait -1
	global_inv scope:SCOPE_SE
	s_clause 0x7
	scratch_load_b128 v[6:9], off, off offset:48
	scratch_load_b128 v[51:54], off, off offset:64
	;; [unrolled: 1-line block ×8, first 2 shown]
	v_mov_b32_e32 v1, 0
	s_mov_b32 s0, exec_lo
	ds_load_b128 v[79:82], v1 offset:336
	s_clause 0x1
	scratch_load_b128 v[83:86], off, off offset:176
	scratch_load_b128 v[87:90], off, off offset:32
	ds_load_b128 v[91:94], v1 offset:352
	ds_load_b128 v[99:102], v1 offset:384
	s_wait_loadcnt_dscnt 0x902
	v_mul_f64_e32 v[2:3], v[81:82], v[8:9]
	v_mul_f64_e32 v[95:96], v[79:80], v[8:9]
	scratch_load_b128 v[8:11], off, off offset:192
	v_fma_f64 v[2:3], v[79:80], v[6:7], -v[2:3]
	v_fma_f64 v[6:7], v[81:82], v[6:7], v[95:96]
	ds_load_b128 v[79:82], v1 offset:368
	s_wait_loadcnt_dscnt 0x902
	v_mul_f64_e32 v[103:104], v[91:92], v[53:54]
	v_mul_f64_e32 v[53:54], v[93:94], v[53:54]
	scratch_load_b128 v[95:98], off, off offset:208
	s_wait_loadcnt_dscnt 0x900
	v_mul_f64_e32 v[105:106], v[79:80], v[57:58]
	v_mul_f64_e32 v[57:58], v[81:82], v[57:58]
	v_add_f64_e32 v[2:3], 0, v[2:3]
	v_add_f64_e32 v[6:7], 0, v[6:7]
	v_fma_f64 v[93:94], v[93:94], v[51:52], v[103:104]
	v_fma_f64 v[91:92], v[91:92], v[51:52], -v[53:54]
	scratch_load_b128 v[51:54], off, off offset:224
	v_fma_f64 v[105:106], v[81:82], v[55:56], v[105:106]
	v_fma_f64 v[107:108], v[79:80], v[55:56], -v[57:58]
	ds_load_b128 v[55:58], v1 offset:400
	s_wait_loadcnt 0x9
	v_mul_f64_e32 v[103:104], v[99:100], v[61:62]
	v_mul_f64_e32 v[61:62], v[101:102], v[61:62]
	scratch_load_b128 v[79:82], off, off offset:240
	v_add_f64_e32 v[6:7], v[6:7], v[93:94]
	v_add_f64_e32 v[2:3], v[2:3], v[91:92]
	ds_load_b128 v[91:94], v1 offset:416
	s_wait_loadcnt_dscnt 0x901
	v_mul_f64_e32 v[109:110], v[55:56], v[65:66]
	v_mul_f64_e32 v[65:66], v[57:58], v[65:66]
	v_fma_f64 v[101:102], v[101:102], v[59:60], v[103:104]
	v_fma_f64 v[99:100], v[99:100], v[59:60], -v[61:62]
	scratch_load_b128 v[59:62], off, off offset:256
	v_add_f64_e32 v[6:7], v[6:7], v[105:106]
	v_add_f64_e32 v[2:3], v[2:3], v[107:108]
	v_fma_f64 v[105:106], v[57:58], v[63:64], v[109:110]
	v_fma_f64 v[107:108], v[55:56], v[63:64], -v[65:66]
	ds_load_b128 v[55:58], v1 offset:432
	s_wait_loadcnt_dscnt 0x901
	v_mul_f64_e32 v[103:104], v[91:92], v[69:70]
	v_mul_f64_e32 v[69:70], v[93:94], v[69:70]
	scratch_load_b128 v[63:66], off, off offset:272
	s_wait_loadcnt_dscnt 0x900
	v_mul_f64_e32 v[109:110], v[55:56], v[73:74]
	v_mul_f64_e32 v[73:74], v[57:58], v[73:74]
	v_add_f64_e32 v[6:7], v[6:7], v[101:102]
	v_add_f64_e32 v[2:3], v[2:3], v[99:100]
	ds_load_b128 v[99:102], v1 offset:448
	v_fma_f64 v[93:94], v[93:94], v[67:68], v[103:104]
	v_fma_f64 v[91:92], v[91:92], v[67:68], -v[69:70]
	scratch_load_b128 v[67:70], off, off offset:288
	v_add_f64_e32 v[6:7], v[6:7], v[105:106]
	v_add_f64_e32 v[2:3], v[2:3], v[107:108]
	v_fma_f64 v[105:106], v[57:58], v[71:72], v[109:110]
	v_fma_f64 v[107:108], v[55:56], v[71:72], -v[73:74]
	ds_load_b128 v[55:58], v1 offset:464
	s_wait_loadcnt_dscnt 0x901
	v_mul_f64_e32 v[103:104], v[99:100], v[77:78]
	v_mul_f64_e32 v[77:78], v[101:102], v[77:78]
	scratch_load_b128 v[71:74], off, off offset:304
	s_wait_loadcnt_dscnt 0x900
	v_mul_f64_e32 v[109:110], v[55:56], v[85:86]
	v_mul_f64_e32 v[85:86], v[57:58], v[85:86]
	v_add_f64_e32 v[6:7], v[6:7], v[93:94]
	v_add_f64_e32 v[2:3], v[2:3], v[91:92]
	ds_load_b128 v[91:94], v1 offset:480
	v_fma_f64 v[101:102], v[101:102], v[75:76], v[103:104]
	v_fma_f64 v[75:76], v[99:100], v[75:76], -v[77:78]
	v_fma_f64 v[103:104], v[57:58], v[83:84], v[109:110]
	v_fma_f64 v[83:84], v[55:56], v[83:84], -v[85:86]
	v_add_f64_e32 v[6:7], v[6:7], v[105:106]
	v_add_f64_e32 v[2:3], v[2:3], v[107:108]
	s_wait_loadcnt_dscnt 0x700
	v_mul_f64_e32 v[99:100], v[91:92], v[10:11]
	v_mul_f64_e32 v[10:11], v[93:94], v[10:11]
	s_delay_alu instid0(VALU_DEP_4) | instskip(NEXT) | instid1(VALU_DEP_4)
	v_add_f64_e32 v[6:7], v[6:7], v[101:102]
	v_add_f64_e32 v[2:3], v[2:3], v[75:76]
	ds_load_b128 v[55:58], v1 offset:496
	ds_load_b128 v[75:78], v1 offset:512
	v_fma_f64 v[93:94], v[93:94], v[8:9], v[99:100]
	v_fma_f64 v[8:9], v[91:92], v[8:9], -v[10:11]
	s_wait_loadcnt_dscnt 0x601
	v_mul_f64_e32 v[85:86], v[55:56], v[97:98]
	v_mul_f64_e32 v[97:98], v[57:58], v[97:98]
	v_add_f64_e32 v[6:7], v[6:7], v[103:104]
	v_add_f64_e32 v[2:3], v[2:3], v[83:84]
	s_wait_loadcnt_dscnt 0x500
	v_mul_f64_e32 v[10:11], v[75:76], v[53:54]
	v_mul_f64_e32 v[83:84], v[77:78], v[53:54]
	v_fma_f64 v[57:58], v[57:58], v[95:96], v[85:86]
	v_fma_f64 v[85:86], v[55:56], v[95:96], -v[97:98]
	v_add_f64_e32 v[91:92], v[6:7], v[93:94]
	v_add_f64_e32 v[2:3], v[2:3], v[8:9]
	ds_load_b128 v[6:9], v1 offset:528
	ds_load_b128 v[53:56], v1 offset:544
	v_fma_f64 v[10:11], v[77:78], v[51:52], v[10:11]
	v_fma_f64 v[51:52], v[75:76], v[51:52], -v[83:84]
	s_wait_loadcnt_dscnt 0x401
	v_mul_f64_e32 v[93:94], v[6:7], v[81:82]
	v_mul_f64_e32 v[81:82], v[8:9], v[81:82]
	v_add_f64_e32 v[57:58], v[91:92], v[57:58]
	v_add_f64_e32 v[2:3], v[2:3], v[85:86]
	s_wait_loadcnt_dscnt 0x300
	v_mul_f64_e32 v[83:84], v[53:54], v[61:62]
	v_mul_f64_e32 v[61:62], v[55:56], v[61:62]
	v_fma_f64 v[85:86], v[8:9], v[79:80], v[93:94]
	v_fma_f64 v[79:80], v[6:7], v[79:80], -v[81:82]
	ds_load_b128 v[6:9], v1 offset:560
	ds_load_b128 v[75:78], v1 offset:576
	v_add_f64_e32 v[10:11], v[57:58], v[10:11]
	v_add_f64_e32 v[2:3], v[2:3], v[51:52]
	v_fma_f64 v[55:56], v[55:56], v[59:60], v[83:84]
	v_fma_f64 v[53:54], v[53:54], v[59:60], -v[61:62]
	s_wait_loadcnt_dscnt 0x201
	v_mul_f64_e32 v[51:52], v[6:7], v[65:66]
	v_mul_f64_e32 v[57:58], v[8:9], v[65:66]
	s_wait_loadcnt_dscnt 0x100
	v_mul_f64_e32 v[59:60], v[75:76], v[69:70]
	v_mul_f64_e32 v[61:62], v[77:78], v[69:70]
	v_add_f64_e32 v[10:11], v[10:11], v[85:86]
	v_add_f64_e32 v[2:3], v[2:3], v[79:80]
	v_fma_f64 v[51:52], v[8:9], v[63:64], v[51:52]
	v_fma_f64 v[57:58], v[6:7], v[63:64], -v[57:58]
	ds_load_b128 v[6:9], v1 offset:592
	v_fma_f64 v[59:60], v[77:78], v[67:68], v[59:60]
	v_fma_f64 v[61:62], v[75:76], v[67:68], -v[61:62]
	v_add_f64_e32 v[10:11], v[10:11], v[55:56]
	v_add_f64_e32 v[2:3], v[2:3], v[53:54]
	s_wait_loadcnt_dscnt 0x0
	v_mul_f64_e32 v[53:54], v[6:7], v[73:74]
	v_mul_f64_e32 v[55:56], v[8:9], v[73:74]
	s_delay_alu instid0(VALU_DEP_4) | instskip(NEXT) | instid1(VALU_DEP_4)
	v_add_f64_e32 v[10:11], v[10:11], v[51:52]
	v_add_f64_e32 v[2:3], v[2:3], v[57:58]
	s_delay_alu instid0(VALU_DEP_4) | instskip(NEXT) | instid1(VALU_DEP_4)
	v_fma_f64 v[8:9], v[8:9], v[71:72], v[53:54]
	v_fma_f64 v[6:7], v[6:7], v[71:72], -v[55:56]
	s_delay_alu instid0(VALU_DEP_4) | instskip(NEXT) | instid1(VALU_DEP_4)
	v_add_f64_e32 v[10:11], v[10:11], v[59:60]
	v_add_f64_e32 v[2:3], v[2:3], v[61:62]
	s_delay_alu instid0(VALU_DEP_2) | instskip(NEXT) | instid1(VALU_DEP_2)
	v_add_f64_e32 v[8:9], v[10:11], v[8:9]
	v_add_f64_e32 v[2:3], v[2:3], v[6:7]
	s_delay_alu instid0(VALU_DEP_2) | instskip(NEXT) | instid1(VALU_DEP_2)
	v_add_f64_e64 v[8:9], v[89:90], -v[8:9]
	v_add_f64_e64 v[6:7], v[87:88], -v[2:3]
	scratch_store_b128 off, v[6:9], off offset:32
	v_cmpx_ne_u32_e32 0, v0
	s_cbranch_execz .LBB82_127
; %bb.126:
	scratch_load_b128 v[6:9], off, off offset:16
	v_dual_mov_b32 v2, v1 :: v_dual_mov_b32 v3, v1
	v_mov_b32_e32 v4, v1
	scratch_store_b128 off, v[1:4], off offset:16
	s_wait_loadcnt 0x0
	ds_store_b128 v5, v[6:9]
.LBB82_127:
	s_wait_alu 0xfffe
	s_or_b32 exec_lo, exec_lo, s0
	s_wait_storecnt_dscnt 0x0
	s_barrier_signal -1
	s_barrier_wait -1
	global_inv scope:SCOPE_SE
	s_clause 0x8
	scratch_load_b128 v[2:5], off, off offset:32
	scratch_load_b128 v[6:9], off, off offset:48
	;; [unrolled: 1-line block ×9, first 2 shown]
	ds_load_b128 v[79:82], v1 offset:320
	ds_load_b128 v[83:86], v1 offset:336
	s_clause 0x1
	scratch_load_b128 v[87:90], off, off offset:16
	scratch_load_b128 v[91:94], off, off offset:176
	s_and_b32 vcc_lo, exec_lo, s12
	s_wait_loadcnt_dscnt 0xa01
	v_mul_f64_e32 v[10:11], v[81:82], v[4:5]
	v_mul_f64_e32 v[4:5], v[79:80], v[4:5]
	s_wait_loadcnt_dscnt 0x900
	v_mul_f64_e32 v[95:96], v[83:84], v[8:9]
	v_mul_f64_e32 v[97:98], v[85:86], v[8:9]
	s_delay_alu instid0(VALU_DEP_4) | instskip(NEXT) | instid1(VALU_DEP_4)
	v_fma_f64 v[99:100], v[79:80], v[2:3], -v[10:11]
	v_fma_f64 v[101:102], v[81:82], v[2:3], v[4:5]
	ds_load_b128 v[2:5], v1 offset:352
	ds_load_b128 v[79:82], v1 offset:368
	scratch_load_b128 v[8:11], off, off offset:192
	v_fma_f64 v[95:96], v[85:86], v[6:7], v[95:96]
	v_fma_f64 v[6:7], v[83:84], v[6:7], -v[97:98]
	scratch_load_b128 v[83:86], off, off offset:208
	s_wait_loadcnt_dscnt 0xa01
	v_mul_f64_e32 v[103:104], v[2:3], v[53:54]
	v_mul_f64_e32 v[53:54], v[4:5], v[53:54]
	v_add_f64_e32 v[97:98], 0, v[99:100]
	v_add_f64_e32 v[99:100], 0, v[101:102]
	s_wait_loadcnt_dscnt 0x900
	v_mul_f64_e32 v[101:102], v[79:80], v[57:58]
	v_mul_f64_e32 v[57:58], v[81:82], v[57:58]
	v_fma_f64 v[103:104], v[4:5], v[51:52], v[103:104]
	v_fma_f64 v[105:106], v[2:3], v[51:52], -v[53:54]
	ds_load_b128 v[2:5], v1 offset:384
	scratch_load_b128 v[51:54], off, off offset:224
	v_add_f64_e32 v[6:7], v[97:98], v[6:7]
	v_add_f64_e32 v[99:100], v[99:100], v[95:96]
	ds_load_b128 v[95:98], v1 offset:400
	v_fma_f64 v[81:82], v[81:82], v[55:56], v[101:102]
	v_fma_f64 v[79:80], v[79:80], v[55:56], -v[57:58]
	scratch_load_b128 v[55:58], off, off offset:240
	s_wait_loadcnt_dscnt 0xa01
	v_mul_f64_e32 v[107:108], v[2:3], v[61:62]
	v_mul_f64_e32 v[61:62], v[4:5], v[61:62]
	s_wait_loadcnt_dscnt 0x900
	v_mul_f64_e32 v[101:102], v[95:96], v[65:66]
	v_mul_f64_e32 v[65:66], v[97:98], v[65:66]
	v_add_f64_e32 v[6:7], v[6:7], v[105:106]
	v_add_f64_e32 v[99:100], v[99:100], v[103:104]
	v_fma_f64 v[103:104], v[4:5], v[59:60], v[107:108]
	v_fma_f64 v[105:106], v[2:3], v[59:60], -v[61:62]
	ds_load_b128 v[2:5], v1 offset:416
	scratch_load_b128 v[59:62], off, off offset:256
	v_fma_f64 v[97:98], v[97:98], v[63:64], v[101:102]
	v_fma_f64 v[95:96], v[95:96], v[63:64], -v[65:66]
	scratch_load_b128 v[63:66], off, off offset:272
	v_add_f64_e32 v[6:7], v[6:7], v[79:80]
	v_add_f64_e32 v[99:100], v[99:100], v[81:82]
	ds_load_b128 v[79:82], v1 offset:432
	s_wait_loadcnt_dscnt 0xa01
	v_mul_f64_e32 v[107:108], v[2:3], v[69:70]
	v_mul_f64_e32 v[69:70], v[4:5], v[69:70]
	s_wait_loadcnt_dscnt 0x900
	v_mul_f64_e32 v[101:102], v[79:80], v[73:74]
	v_mul_f64_e32 v[73:74], v[81:82], v[73:74]
	v_add_f64_e32 v[6:7], v[6:7], v[105:106]
	v_add_f64_e32 v[99:100], v[99:100], v[103:104]
	v_fma_f64 v[103:104], v[4:5], v[67:68], v[107:108]
	v_fma_f64 v[105:106], v[2:3], v[67:68], -v[69:70]
	ds_load_b128 v[2:5], v1 offset:448
	scratch_load_b128 v[67:70], off, off offset:288
	v_fma_f64 v[81:82], v[81:82], v[71:72], v[101:102]
	v_fma_f64 v[79:80], v[79:80], v[71:72], -v[73:74]
	scratch_load_b128 v[71:74], off, off offset:304
	v_add_f64_e32 v[6:7], v[6:7], v[95:96]
	v_add_f64_e32 v[99:100], v[99:100], v[97:98]
	ds_load_b128 v[95:98], v1 offset:464
	s_wait_loadcnt_dscnt 0xa01
	v_mul_f64_e32 v[107:108], v[2:3], v[77:78]
	v_mul_f64_e32 v[77:78], v[4:5], v[77:78]
	s_wait_loadcnt_dscnt 0x800
	v_mul_f64_e32 v[101:102], v[95:96], v[93:94]
	v_mul_f64_e32 v[93:94], v[97:98], v[93:94]
	v_add_f64_e32 v[6:7], v[6:7], v[105:106]
	v_add_f64_e32 v[99:100], v[99:100], v[103:104]
	v_fma_f64 v[103:104], v[4:5], v[75:76], v[107:108]
	v_fma_f64 v[105:106], v[2:3], v[75:76], -v[77:78]
	ds_load_b128 v[2:5], v1 offset:480
	ds_load_b128 v[75:78], v1 offset:496
	v_fma_f64 v[97:98], v[97:98], v[91:92], v[101:102]
	v_fma_f64 v[91:92], v[95:96], v[91:92], -v[93:94]
	v_add_f64_e32 v[6:7], v[6:7], v[79:80]
	v_add_f64_e32 v[79:80], v[99:100], v[81:82]
	s_wait_loadcnt_dscnt 0x701
	v_mul_f64_e32 v[81:82], v[2:3], v[10:11]
	v_mul_f64_e32 v[10:11], v[4:5], v[10:11]
	s_wait_loadcnt_dscnt 0x600
	v_mul_f64_e32 v[93:94], v[75:76], v[85:86]
	v_mul_f64_e32 v[85:86], v[77:78], v[85:86]
	v_add_f64_e32 v[6:7], v[6:7], v[105:106]
	v_add_f64_e32 v[79:80], v[79:80], v[103:104]
	v_fma_f64 v[81:82], v[4:5], v[8:9], v[81:82]
	v_fma_f64 v[10:11], v[2:3], v[8:9], -v[10:11]
	v_fma_f64 v[77:78], v[77:78], v[83:84], v[93:94]
	v_fma_f64 v[75:76], v[75:76], v[83:84], -v[85:86]
	v_add_f64_e32 v[91:92], v[6:7], v[91:92]
	v_add_f64_e32 v[79:80], v[79:80], v[97:98]
	ds_load_b128 v[2:5], v1 offset:512
	ds_load_b128 v[6:9], v1 offset:528
	s_wait_loadcnt_dscnt 0x501
	v_mul_f64_e32 v[95:96], v[2:3], v[53:54]
	v_mul_f64_e32 v[53:54], v[4:5], v[53:54]
	v_add_f64_e32 v[10:11], v[91:92], v[10:11]
	v_add_f64_e32 v[79:80], v[79:80], v[81:82]
	s_wait_loadcnt_dscnt 0x400
	v_mul_f64_e32 v[81:82], v[6:7], v[57:58]
	v_mul_f64_e32 v[57:58], v[8:9], v[57:58]
	v_fma_f64 v[83:84], v[4:5], v[51:52], v[95:96]
	v_fma_f64 v[85:86], v[2:3], v[51:52], -v[53:54]
	ds_load_b128 v[2:5], v1 offset:544
	ds_load_b128 v[51:54], v1 offset:560
	v_add_f64_e32 v[10:11], v[10:11], v[75:76]
	v_add_f64_e32 v[75:76], v[79:80], v[77:78]
	v_fma_f64 v[8:9], v[8:9], v[55:56], v[81:82]
	v_fma_f64 v[6:7], v[6:7], v[55:56], -v[57:58]
	s_wait_loadcnt_dscnt 0x301
	v_mul_f64_e32 v[77:78], v[2:3], v[61:62]
	v_mul_f64_e32 v[61:62], v[4:5], v[61:62]
	s_wait_loadcnt_dscnt 0x200
	v_mul_f64_e32 v[57:58], v[51:52], v[65:66]
	v_mul_f64_e32 v[65:66], v[53:54], v[65:66]
	v_add_f64_e32 v[10:11], v[10:11], v[85:86]
	v_add_f64_e32 v[55:56], v[75:76], v[83:84]
	v_fma_f64 v[75:76], v[4:5], v[59:60], v[77:78]
	v_fma_f64 v[59:60], v[2:3], v[59:60], -v[61:62]
	v_fma_f64 v[53:54], v[53:54], v[63:64], v[57:58]
	v_fma_f64 v[51:52], v[51:52], v[63:64], -v[65:66]
	v_add_f64_e32 v[10:11], v[10:11], v[6:7]
	v_add_f64_e32 v[55:56], v[55:56], v[8:9]
	ds_load_b128 v[2:5], v1 offset:576
	ds_load_b128 v[6:9], v1 offset:592
	s_wait_loadcnt_dscnt 0x101
	v_mul_f64_e32 v[0:1], v[2:3], v[69:70]
	v_mul_f64_e32 v[61:62], v[4:5], v[69:70]
	s_wait_loadcnt_dscnt 0x0
	v_mul_f64_e32 v[57:58], v[6:7], v[73:74]
	v_add_f64_e32 v[10:11], v[10:11], v[59:60]
	v_add_f64_e32 v[55:56], v[55:56], v[75:76]
	v_mul_f64_e32 v[59:60], v[8:9], v[73:74]
	v_fma_f64 v[0:1], v[4:5], v[67:68], v[0:1]
	v_fma_f64 v[2:3], v[2:3], v[67:68], -v[61:62]
	v_fma_f64 v[8:9], v[8:9], v[71:72], v[57:58]
	v_add_f64_e32 v[4:5], v[10:11], v[51:52]
	v_add_f64_e32 v[10:11], v[55:56], v[53:54]
	v_fma_f64 v[6:7], v[6:7], v[71:72], -v[59:60]
	s_delay_alu instid0(VALU_DEP_3) | instskip(NEXT) | instid1(VALU_DEP_3)
	v_add_f64_e32 v[2:3], v[4:5], v[2:3]
	v_add_f64_e32 v[0:1], v[10:11], v[0:1]
	s_delay_alu instid0(VALU_DEP_2) | instskip(NEXT) | instid1(VALU_DEP_2)
	v_add_f64_e32 v[2:3], v[2:3], v[6:7]
	v_add_f64_e32 v[4:5], v[0:1], v[8:9]
	s_delay_alu instid0(VALU_DEP_2) | instskip(NEXT) | instid1(VALU_DEP_2)
	v_add_f64_e64 v[0:1], v[87:88], -v[2:3]
	v_add_f64_e64 v[2:3], v[89:90], -v[4:5]
	scratch_store_b128 off, v[0:3], off offset:16
	s_wait_alu 0xfffe
	s_cbranch_vccz .LBB82_164
; %bb.128:
	v_mov_b32_e32 v0, 0
	global_load_b32 v1, v0, s[2:3] offset:68
	s_wait_loadcnt 0x0
	v_cmp_ne_u32_e32 vcc_lo, 18, v1
	s_cbranch_vccz .LBB82_130
; %bb.129:
	v_lshlrev_b32_e32 v1, 4, v1
	s_delay_alu instid0(VALU_DEP_1)
	v_add_nc_u32_e32 v9, 16, v1
	s_clause 0x1
	scratch_load_b128 v[1:4], v9, off offset:-16
	scratch_load_b128 v[5:8], off, s24
	s_wait_loadcnt 0x1
	scratch_store_b128 off, v[1:4], s24
	s_wait_loadcnt 0x0
	scratch_store_b128 v9, v[5:8], off offset:-16
.LBB82_130:
	global_load_b32 v0, v0, s[2:3] offset:64
	s_wait_loadcnt 0x0
	v_cmp_eq_u32_e32 vcc_lo, 17, v0
	s_cbranch_vccnz .LBB82_132
; %bb.131:
	v_lshlrev_b32_e32 v0, 4, v0
	s_delay_alu instid0(VALU_DEP_1)
	v_add_nc_u32_e32 v8, 16, v0
	s_clause 0x1
	scratch_load_b128 v[0:3], v8, off offset:-16
	scratch_load_b128 v[4:7], off, s15
	s_wait_loadcnt 0x1
	scratch_store_b128 off, v[0:3], s15
	s_wait_loadcnt 0x0
	scratch_store_b128 v8, v[4:7], off offset:-16
.LBB82_132:
	v_mov_b32_e32 v0, 0
	global_load_b32 v1, v0, s[2:3] offset:60
	s_wait_loadcnt 0x0
	v_cmp_eq_u32_e32 vcc_lo, 16, v1
	s_cbranch_vccnz .LBB82_134
; %bb.133:
	v_lshlrev_b32_e32 v1, 4, v1
	s_delay_alu instid0(VALU_DEP_1)
	v_add_nc_u32_e32 v9, 16, v1
	s_clause 0x1
	scratch_load_b128 v[1:4], v9, off offset:-16
	scratch_load_b128 v[5:8], off, s23
	s_wait_loadcnt 0x1
	scratch_store_b128 off, v[1:4], s23
	s_wait_loadcnt 0x0
	scratch_store_b128 v9, v[5:8], off offset:-16
.LBB82_134:
	global_load_b32 v0, v0, s[2:3] offset:56
	s_wait_loadcnt 0x0
	v_cmp_eq_u32_e32 vcc_lo, 15, v0
	s_cbranch_vccnz .LBB82_136
; %bb.135:
	v_lshlrev_b32_e32 v0, 4, v0
	s_delay_alu instid0(VALU_DEP_1)
	v_add_nc_u32_e32 v8, 16, v0
	s_clause 0x1
	scratch_load_b128 v[0:3], v8, off offset:-16
	scratch_load_b128 v[4:7], off, s14
	s_wait_loadcnt 0x1
	scratch_store_b128 off, v[0:3], s14
	s_wait_loadcnt 0x0
	scratch_store_b128 v8, v[4:7], off offset:-16
.LBB82_136:
	v_mov_b32_e32 v0, 0
	global_load_b32 v1, v0, s[2:3] offset:52
	s_wait_loadcnt 0x0
	v_cmp_eq_u32_e32 vcc_lo, 14, v1
	s_cbranch_vccnz .LBB82_138
; %bb.137:
	v_lshlrev_b32_e32 v1, 4, v1
	s_delay_alu instid0(VALU_DEP_1)
	v_add_nc_u32_e32 v9, 16, v1
	s_clause 0x1
	scratch_load_b128 v[1:4], v9, off offset:-16
	scratch_load_b128 v[5:8], off, s22
	s_wait_loadcnt 0x1
	scratch_store_b128 off, v[1:4], s22
	s_wait_loadcnt 0x0
	scratch_store_b128 v9, v[5:8], off offset:-16
.LBB82_138:
	;; [unrolled: 33-line block ×8, first 2 shown]
	global_load_b32 v0, v0, s[2:3]
	s_wait_loadcnt 0x0
	v_cmp_eq_u32_e32 vcc_lo, 1, v0
	s_cbranch_vccnz .LBB82_164
; %bb.163:
	v_lshlrev_b32_e32 v0, 4, v0
	s_delay_alu instid0(VALU_DEP_1)
	v_add_nc_u32_e32 v8, 16, v0
	scratch_load_b128 v[0:3], v8, off offset:-16
	scratch_load_b128 v[4:7], off, off offset:16
	s_wait_loadcnt 0x1
	scratch_store_b128 off, v[0:3], off offset:16
	s_wait_loadcnt 0x0
	scratch_store_b128 v8, v[4:7], off offset:-16
.LBB82_164:
	scratch_load_b128 v[0:3], off, off offset:16
	s_wait_loadcnt 0x0
	flat_store_b128 v[13:14], v[0:3]
	scratch_load_b128 v[0:3], off, s26
	s_wait_loadcnt 0x0
	flat_store_b128 v[15:16], v[0:3]
	scratch_load_b128 v[0:3], off, s25
	;; [unrolled: 3-line block ×18, first 2 shown]
	s_wait_loadcnt 0x0
	flat_store_b128 v[49:50], v[0:3]
	s_nop 0
	s_sendmsg sendmsg(MSG_DEALLOC_VGPRS)
	s_endpgm
	.section	.rodata,"a",@progbits
	.p2align	6, 0x0
	.amdhsa_kernel _ZN9rocsolver6v33100L18getri_kernel_smallILi19E19rocblas_complex_numIdEPKPS3_EEvT1_iilPiilS8_bb
		.amdhsa_group_segment_fixed_size 616
		.amdhsa_private_segment_fixed_size 336
		.amdhsa_kernarg_size 60
		.amdhsa_user_sgpr_count 2
		.amdhsa_user_sgpr_dispatch_ptr 0
		.amdhsa_user_sgpr_queue_ptr 0
		.amdhsa_user_sgpr_kernarg_segment_ptr 1
		.amdhsa_user_sgpr_dispatch_id 0
		.amdhsa_user_sgpr_private_segment_size 0
		.amdhsa_wavefront_size32 1
		.amdhsa_uses_dynamic_stack 0
		.amdhsa_enable_private_segment 1
		.amdhsa_system_sgpr_workgroup_id_x 1
		.amdhsa_system_sgpr_workgroup_id_y 0
		.amdhsa_system_sgpr_workgroup_id_z 0
		.amdhsa_system_sgpr_workgroup_info 0
		.amdhsa_system_vgpr_workitem_id 0
		.amdhsa_next_free_vgpr 111
		.amdhsa_next_free_sgpr 30
		.amdhsa_reserve_vcc 1
		.amdhsa_float_round_mode_32 0
		.amdhsa_float_round_mode_16_64 0
		.amdhsa_float_denorm_mode_32 3
		.amdhsa_float_denorm_mode_16_64 3
		.amdhsa_fp16_overflow 0
		.amdhsa_workgroup_processor_mode 1
		.amdhsa_memory_ordered 1
		.amdhsa_forward_progress 1
		.amdhsa_inst_pref_size 178
		.amdhsa_round_robin_scheduling 0
		.amdhsa_exception_fp_ieee_invalid_op 0
		.amdhsa_exception_fp_denorm_src 0
		.amdhsa_exception_fp_ieee_div_zero 0
		.amdhsa_exception_fp_ieee_overflow 0
		.amdhsa_exception_fp_ieee_underflow 0
		.amdhsa_exception_fp_ieee_inexact 0
		.amdhsa_exception_int_div_zero 0
	.end_amdhsa_kernel
	.section	.text._ZN9rocsolver6v33100L18getri_kernel_smallILi19E19rocblas_complex_numIdEPKPS3_EEvT1_iilPiilS8_bb,"axG",@progbits,_ZN9rocsolver6v33100L18getri_kernel_smallILi19E19rocblas_complex_numIdEPKPS3_EEvT1_iilPiilS8_bb,comdat
.Lfunc_end82:
	.size	_ZN9rocsolver6v33100L18getri_kernel_smallILi19E19rocblas_complex_numIdEPKPS3_EEvT1_iilPiilS8_bb, .Lfunc_end82-_ZN9rocsolver6v33100L18getri_kernel_smallILi19E19rocblas_complex_numIdEPKPS3_EEvT1_iilPiilS8_bb
                                        ; -- End function
	.set _ZN9rocsolver6v33100L18getri_kernel_smallILi19E19rocblas_complex_numIdEPKPS3_EEvT1_iilPiilS8_bb.num_vgpr, 111
	.set _ZN9rocsolver6v33100L18getri_kernel_smallILi19E19rocblas_complex_numIdEPKPS3_EEvT1_iilPiilS8_bb.num_agpr, 0
	.set _ZN9rocsolver6v33100L18getri_kernel_smallILi19E19rocblas_complex_numIdEPKPS3_EEvT1_iilPiilS8_bb.numbered_sgpr, 30
	.set _ZN9rocsolver6v33100L18getri_kernel_smallILi19E19rocblas_complex_numIdEPKPS3_EEvT1_iilPiilS8_bb.num_named_barrier, 0
	.set _ZN9rocsolver6v33100L18getri_kernel_smallILi19E19rocblas_complex_numIdEPKPS3_EEvT1_iilPiilS8_bb.private_seg_size, 336
	.set _ZN9rocsolver6v33100L18getri_kernel_smallILi19E19rocblas_complex_numIdEPKPS3_EEvT1_iilPiilS8_bb.uses_vcc, 1
	.set _ZN9rocsolver6v33100L18getri_kernel_smallILi19E19rocblas_complex_numIdEPKPS3_EEvT1_iilPiilS8_bb.uses_flat_scratch, 1
	.set _ZN9rocsolver6v33100L18getri_kernel_smallILi19E19rocblas_complex_numIdEPKPS3_EEvT1_iilPiilS8_bb.has_dyn_sized_stack, 0
	.set _ZN9rocsolver6v33100L18getri_kernel_smallILi19E19rocblas_complex_numIdEPKPS3_EEvT1_iilPiilS8_bb.has_recursion, 0
	.set _ZN9rocsolver6v33100L18getri_kernel_smallILi19E19rocblas_complex_numIdEPKPS3_EEvT1_iilPiilS8_bb.has_indirect_call, 0
	.section	.AMDGPU.csdata,"",@progbits
; Kernel info:
; codeLenInByte = 22692
; TotalNumSgprs: 32
; NumVgprs: 111
; ScratchSize: 336
; MemoryBound: 0
; FloatMode: 240
; IeeeMode: 1
; LDSByteSize: 616 bytes/workgroup (compile time only)
; SGPRBlocks: 0
; VGPRBlocks: 13
; NumSGPRsForWavesPerEU: 32
; NumVGPRsForWavesPerEU: 111
; Occupancy: 12
; WaveLimiterHint : 1
; COMPUTE_PGM_RSRC2:SCRATCH_EN: 1
; COMPUTE_PGM_RSRC2:USER_SGPR: 2
; COMPUTE_PGM_RSRC2:TRAP_HANDLER: 0
; COMPUTE_PGM_RSRC2:TGID_X_EN: 1
; COMPUTE_PGM_RSRC2:TGID_Y_EN: 0
; COMPUTE_PGM_RSRC2:TGID_Z_EN: 0
; COMPUTE_PGM_RSRC2:TIDIG_COMP_CNT: 0
	.section	.text._ZN9rocsolver6v33100L18getri_kernel_smallILi20E19rocblas_complex_numIdEPKPS3_EEvT1_iilPiilS8_bb,"axG",@progbits,_ZN9rocsolver6v33100L18getri_kernel_smallILi20E19rocblas_complex_numIdEPKPS3_EEvT1_iilPiilS8_bb,comdat
	.globl	_ZN9rocsolver6v33100L18getri_kernel_smallILi20E19rocblas_complex_numIdEPKPS3_EEvT1_iilPiilS8_bb ; -- Begin function _ZN9rocsolver6v33100L18getri_kernel_smallILi20E19rocblas_complex_numIdEPKPS3_EEvT1_iilPiilS8_bb
	.p2align	8
	.type	_ZN9rocsolver6v33100L18getri_kernel_smallILi20E19rocblas_complex_numIdEPKPS3_EEvT1_iilPiilS8_bb,@function
_ZN9rocsolver6v33100L18getri_kernel_smallILi20E19rocblas_complex_numIdEPKPS3_EEvT1_iilPiilS8_bb: ; @_ZN9rocsolver6v33100L18getri_kernel_smallILi20E19rocblas_complex_numIdEPKPS3_EEvT1_iilPiilS8_bb
; %bb.0:
	s_mov_b32 s2, exec_lo
	v_cmpx_gt_u32_e32 20, v0
	s_cbranch_execz .LBB83_94
; %bb.1:
	s_clause 0x1
	s_load_b32 s13, s[0:1], 0x38
	s_load_b64 s[2:3], s[0:1], 0x0
	s_mov_b32 s8, ttmp9
	s_load_b128 s[4:7], s[0:1], 0x28
	s_wait_kmcnt 0x0
	s_bitcmp1_b32 s13, 8
	s_cselect_b32 s12, -1, 0
	s_ashr_i32 s9, ttmp9, 31
	s_delay_alu instid0(SALU_CYCLE_1) | instskip(NEXT) | instid1(SALU_CYCLE_1)
	s_lshl_b64 s[10:11], s[8:9], 3
	s_add_nc_u64 s[2:3], s[2:3], s[10:11]
	s_load_b64 s[10:11], s[2:3], 0x0
	s_bfe_u32 s2, s13, 0x10008
	s_delay_alu instid0(SALU_CYCLE_1)
	s_cmp_eq_u32 s2, 0
                                        ; implicit-def: $sgpr2_sgpr3
	s_cbranch_scc1 .LBB83_3
; %bb.2:
	s_load_b96 s[16:18], s[0:1], 0x18
	s_mul_u64 s[2:3], s[4:5], s[8:9]
	s_delay_alu instid0(SALU_CYCLE_1)
	s_lshl_b64 s[2:3], s[2:3], 2
	s_wait_kmcnt 0x0
	s_ashr_i32 s5, s18, 31
	s_mov_b32 s4, s18
	s_add_nc_u64 s[2:3], s[16:17], s[2:3]
	s_lshl_b64 s[4:5], s[4:5], 2
	s_delay_alu instid0(SALU_CYCLE_1)
	s_add_nc_u64 s[2:3], s[2:3], s[4:5]
.LBB83_3:
	s_clause 0x1
	s_load_b64 s[4:5], s[0:1], 0x8
	s_load_b32 s28, s[0:1], 0x38
	v_lshlrev_b32_e32 v53, 4, v0
	s_mov_b32 s27, 32
	s_mov_b32 s26, 48
	;; [unrolled: 1-line block ×3, first 2 shown]
	s_movk_i32 s18, 0x50
	s_wait_kmcnt 0x0
	s_ashr_i32 s1, s4, 31
	s_mov_b32 s0, s4
	v_add3_u32 v5, s5, s5, v0
	s_lshl_b64 s[0:1], s[0:1], 4
	s_delay_alu instid0(SALU_CYCLE_1)
	s_add_nc_u64 s[0:1], s[10:11], s[0:1]
	s_ashr_i32 s11, s5, 31
	v_add_co_u32 v13, s4, s0, v53
	s_wait_alu 0xf1ff
	v_add_co_ci_u32_e64 v14, null, s1, 0, s4
	s_mov_b32 s10, s5
	v_ashrrev_i32_e32 v6, 31, v5
	s_lshl_b64 s[10:11], s[10:11], 4
	flat_load_b128 v[1:4], v[13:14]
	v_add_co_u32 v15, vcc_lo, v13, s10
	s_delay_alu instid0(VALU_DEP_1) | instskip(SKIP_2) | instid1(VALU_DEP_2)
	v_add_co_ci_u32_e64 v16, null, s11, v14, vcc_lo
	v_lshlrev_b64_e32 v[6:7], 4, v[5:6]
	v_add_nc_u32_e32 v5, s5, v5
	v_add_co_u32 v17, vcc_lo, s0, v6
	s_wait_alu 0xfffd
	s_delay_alu instid0(VALU_DEP_3) | instskip(NEXT) | instid1(VALU_DEP_3)
	v_add_co_ci_u32_e64 v18, null, s1, v7, vcc_lo
	v_ashrrev_i32_e32 v6, 31, v5
	s_delay_alu instid0(VALU_DEP_1) | instskip(SKIP_1) | instid1(VALU_DEP_2)
	v_lshlrev_b64_e32 v[6:7], 4, v[5:6]
	v_add_nc_u32_e32 v5, s5, v5
	v_add_co_u32 v19, vcc_lo, s0, v6
	s_wait_alu 0xfffd
	s_delay_alu instid0(VALU_DEP_3) | instskip(NEXT) | instid1(VALU_DEP_3)
	v_add_co_ci_u32_e64 v20, null, s1, v7, vcc_lo
	v_ashrrev_i32_e32 v6, 31, v5
	s_delay_alu instid0(VALU_DEP_1) | instskip(SKIP_1) | instid1(VALU_DEP_2)
	;; [unrolled: 8-line block ×16, first 2 shown]
	v_lshlrev_b64_e32 v[6:7], 4, v[5:6]
	v_add_nc_u32_e32 v5, s5, v5
	v_add_co_u32 v49, vcc_lo, s0, v6
	s_wait_alu 0xfffd
	s_delay_alu instid0(VALU_DEP_3) | instskip(NEXT) | instid1(VALU_DEP_3)
	v_add_co_ci_u32_e64 v50, null, s1, v7, vcc_lo
	v_ashrrev_i32_e32 v6, 31, v5
	s_delay_alu instid0(VALU_DEP_1) | instskip(NEXT) | instid1(VALU_DEP_1)
	v_lshlrev_b64_e32 v[5:6], 4, v[5:6]
	v_add_co_u32 v51, vcc_lo, s0, v5
	s_wait_alu 0xfffd
	s_delay_alu instid0(VALU_DEP_2)
	v_add_co_ci_u32_e64 v52, null, s1, v6, vcc_lo
	s_movk_i32 s0, 0x50
	s_movk_i32 s1, 0x70
	s_wait_alu 0xfffe
	s_add_co_i32 s4, s0, 16
	s_movk_i32 s0, 0x60
	s_add_co_i32 s5, s1, 16
	s_wait_alu 0xfffe
	s_add_co_i32 s19, s0, 16
	s_movk_i32 s0, 0x80
	s_movk_i32 s1, 0x90
	s_wait_alu 0xfffe
	s_add_co_i32 s20, s0, 16
	s_add_co_i32 s10, s1, 16
	s_movk_i32 s0, 0xa0
	s_movk_i32 s1, 0xb0
	s_wait_alu 0xfffe
	s_add_co_i32 s21, s0, 16
	;; [unrolled: 5-line block ×6, first 2 shown]
	s_add_co_i32 s16, s1, 16
	s_bitcmp0_b32 s28, 0
	s_mov_b32 s1, -1
	s_wait_loadcnt_dscnt 0x0
	scratch_store_b128 off, v[1:4], off offset:16
	flat_load_b128 v[1:4], v[15:16]
	s_wait_loadcnt_dscnt 0x0
	scratch_store_b128 off, v[1:4], off offset:32
	flat_load_b128 v[1:4], v[17:18]
	;; [unrolled: 3-line block ×19, first 2 shown]
	s_wait_loadcnt_dscnt 0x0
	scratch_store_b128 off, v[1:4], off offset:320
	s_cbranch_scc1 .LBB83_92
; %bb.4:
	v_cmp_eq_u32_e64 s0, 0, v0
	s_and_saveexec_b32 s1, s0
; %bb.5:
	v_mov_b32_e32 v1, 0
	ds_store_b32 v1, v1 offset:640
; %bb.6:
	s_wait_alu 0xfffe
	s_or_b32 exec_lo, exec_lo, s1
	s_wait_storecnt_dscnt 0x0
	s_barrier_signal -1
	s_barrier_wait -1
	global_inv scope:SCOPE_SE
	scratch_load_b128 v[1:4], v53, off offset:16
	s_wait_loadcnt 0x0
	v_cmp_eq_f64_e32 vcc_lo, 0, v[1:2]
	v_cmp_eq_f64_e64 s1, 0, v[3:4]
	s_and_b32 s1, vcc_lo, s1
	s_wait_alu 0xfffe
	s_and_saveexec_b32 s28, s1
	s_cbranch_execz .LBB83_10
; %bb.7:
	v_mov_b32_e32 v1, 0
	s_mov_b32 s29, 0
	ds_load_b32 v2, v1 offset:640
	s_wait_dscnt 0x0
	v_readfirstlane_b32 s1, v2
	v_add_nc_u32_e32 v2, 1, v0
	s_cmp_eq_u32 s1, 0
	s_delay_alu instid0(VALU_DEP_1) | instskip(SKIP_1) | instid1(SALU_CYCLE_1)
	v_cmp_gt_i32_e32 vcc_lo, s1, v2
	s_cselect_b32 s30, -1, 0
	s_or_b32 s30, s30, vcc_lo
	s_delay_alu instid0(SALU_CYCLE_1)
	s_and_b32 exec_lo, exec_lo, s30
	s_cbranch_execz .LBB83_10
; %bb.8:
	v_mov_b32_e32 v3, s1
.LBB83_9:                               ; =>This Inner Loop Header: Depth=1
	ds_cmpstore_rtn_b32 v3, v1, v2, v3 offset:640
	s_wait_dscnt 0x0
	v_cmp_ne_u32_e32 vcc_lo, 0, v3
	v_cmp_le_i32_e64 s1, v3, v2
	s_and_b32 s1, vcc_lo, s1
	s_wait_alu 0xfffe
	s_and_b32 s1, exec_lo, s1
	s_wait_alu 0xfffe
	s_or_b32 s29, s1, s29
	s_delay_alu instid0(SALU_CYCLE_1)
	s_and_not1_b32 exec_lo, exec_lo, s29
	s_cbranch_execnz .LBB83_9
.LBB83_10:
	s_or_b32 exec_lo, exec_lo, s28
	v_mov_b32_e32 v1, 0
	s_barrier_signal -1
	s_barrier_wait -1
	global_inv scope:SCOPE_SE
	ds_load_b32 v2, v1 offset:640
	s_and_saveexec_b32 s1, s0
	s_cbranch_execz .LBB83_12
; %bb.11:
	s_lshl_b64 s[28:29], s[8:9], 2
	s_delay_alu instid0(SALU_CYCLE_1)
	s_add_nc_u64 s[28:29], s[6:7], s[28:29]
	s_wait_dscnt 0x0
	global_store_b32 v1, v2, s[28:29]
.LBB83_12:
	s_wait_alu 0xfffe
	s_or_b32 exec_lo, exec_lo, s1
	s_wait_dscnt 0x0
	v_cmp_ne_u32_e32 vcc_lo, 0, v2
	s_mov_b32 s1, 0
	s_cbranch_vccnz .LBB83_92
; %bb.13:
	v_add_nc_u32_e32 v54, 16, v53
                                        ; implicit-def: $vgpr1_vgpr2
                                        ; implicit-def: $vgpr9_vgpr10
	scratch_load_b128 v[5:8], v54, off
	s_wait_loadcnt 0x0
	v_cmp_ngt_f64_e64 s1, |v[5:6]|, |v[7:8]|
	s_wait_alu 0xfffe
	s_and_saveexec_b32 s28, s1
	s_delay_alu instid0(SALU_CYCLE_1)
	s_xor_b32 s1, exec_lo, s28
	s_cbranch_execz .LBB83_15
; %bb.14:
	v_div_scale_f64 v[1:2], null, v[7:8], v[7:8], v[5:6]
	v_div_scale_f64 v[11:12], vcc_lo, v[5:6], v[7:8], v[5:6]
	s_delay_alu instid0(VALU_DEP_2) | instskip(NEXT) | instid1(TRANS32_DEP_1)
	v_rcp_f64_e32 v[3:4], v[1:2]
	v_fma_f64 v[9:10], -v[1:2], v[3:4], 1.0
	s_delay_alu instid0(VALU_DEP_1) | instskip(NEXT) | instid1(VALU_DEP_1)
	v_fma_f64 v[3:4], v[3:4], v[9:10], v[3:4]
	v_fma_f64 v[9:10], -v[1:2], v[3:4], 1.0
	s_delay_alu instid0(VALU_DEP_1) | instskip(NEXT) | instid1(VALU_DEP_1)
	v_fma_f64 v[3:4], v[3:4], v[9:10], v[3:4]
	v_mul_f64_e32 v[9:10], v[11:12], v[3:4]
	s_delay_alu instid0(VALU_DEP_1) | instskip(SKIP_1) | instid1(VALU_DEP_1)
	v_fma_f64 v[1:2], -v[1:2], v[9:10], v[11:12]
	s_wait_alu 0xfffd
	v_div_fmas_f64 v[1:2], v[1:2], v[3:4], v[9:10]
	s_delay_alu instid0(VALU_DEP_1) | instskip(NEXT) | instid1(VALU_DEP_1)
	v_div_fixup_f64 v[1:2], v[1:2], v[7:8], v[5:6]
	v_fma_f64 v[3:4], v[5:6], v[1:2], v[7:8]
	s_delay_alu instid0(VALU_DEP_1) | instskip(SKIP_1) | instid1(VALU_DEP_2)
	v_div_scale_f64 v[5:6], null, v[3:4], v[3:4], 1.0
	v_div_scale_f64 v[11:12], vcc_lo, 1.0, v[3:4], 1.0
	v_rcp_f64_e32 v[7:8], v[5:6]
	s_delay_alu instid0(TRANS32_DEP_1) | instskip(NEXT) | instid1(VALU_DEP_1)
	v_fma_f64 v[9:10], -v[5:6], v[7:8], 1.0
	v_fma_f64 v[7:8], v[7:8], v[9:10], v[7:8]
	s_delay_alu instid0(VALU_DEP_1) | instskip(NEXT) | instid1(VALU_DEP_1)
	v_fma_f64 v[9:10], -v[5:6], v[7:8], 1.0
	v_fma_f64 v[7:8], v[7:8], v[9:10], v[7:8]
	s_delay_alu instid0(VALU_DEP_1) | instskip(NEXT) | instid1(VALU_DEP_1)
	v_mul_f64_e32 v[9:10], v[11:12], v[7:8]
	v_fma_f64 v[5:6], -v[5:6], v[9:10], v[11:12]
	s_wait_alu 0xfffd
	s_delay_alu instid0(VALU_DEP_1) | instskip(NEXT) | instid1(VALU_DEP_1)
	v_div_fmas_f64 v[5:6], v[5:6], v[7:8], v[9:10]
	v_div_fixup_f64 v[3:4], v[5:6], v[3:4], 1.0
                                        ; implicit-def: $vgpr5_vgpr6
	s_delay_alu instid0(VALU_DEP_1) | instskip(SKIP_1) | instid1(VALU_DEP_2)
	v_mul_f64_e32 v[1:2], v[1:2], v[3:4]
	v_xor_b32_e32 v4, 0x80000000, v4
	v_xor_b32_e32 v10, 0x80000000, v2
	s_delay_alu instid0(VALU_DEP_3)
	v_mov_b32_e32 v9, v1
.LBB83_15:
	s_wait_alu 0xfffe
	s_and_not1_saveexec_b32 s1, s1
	s_cbranch_execz .LBB83_17
; %bb.16:
	v_div_scale_f64 v[1:2], null, v[5:6], v[5:6], v[7:8]
	v_div_scale_f64 v[11:12], vcc_lo, v[7:8], v[5:6], v[7:8]
	s_delay_alu instid0(VALU_DEP_2) | instskip(NEXT) | instid1(TRANS32_DEP_1)
	v_rcp_f64_e32 v[3:4], v[1:2]
	v_fma_f64 v[9:10], -v[1:2], v[3:4], 1.0
	s_delay_alu instid0(VALU_DEP_1) | instskip(NEXT) | instid1(VALU_DEP_1)
	v_fma_f64 v[3:4], v[3:4], v[9:10], v[3:4]
	v_fma_f64 v[9:10], -v[1:2], v[3:4], 1.0
	s_delay_alu instid0(VALU_DEP_1) | instskip(NEXT) | instid1(VALU_DEP_1)
	v_fma_f64 v[3:4], v[3:4], v[9:10], v[3:4]
	v_mul_f64_e32 v[9:10], v[11:12], v[3:4]
	s_delay_alu instid0(VALU_DEP_1) | instskip(SKIP_1) | instid1(VALU_DEP_1)
	v_fma_f64 v[1:2], -v[1:2], v[9:10], v[11:12]
	s_wait_alu 0xfffd
	v_div_fmas_f64 v[1:2], v[1:2], v[3:4], v[9:10]
	s_delay_alu instid0(VALU_DEP_1) | instskip(NEXT) | instid1(VALU_DEP_1)
	v_div_fixup_f64 v[3:4], v[1:2], v[5:6], v[7:8]
	v_fma_f64 v[1:2], v[7:8], v[3:4], v[5:6]
	s_delay_alu instid0(VALU_DEP_1) | instskip(NEXT) | instid1(VALU_DEP_1)
	v_div_scale_f64 v[5:6], null, v[1:2], v[1:2], 1.0
	v_rcp_f64_e32 v[7:8], v[5:6]
	s_delay_alu instid0(TRANS32_DEP_1) | instskip(NEXT) | instid1(VALU_DEP_1)
	v_fma_f64 v[9:10], -v[5:6], v[7:8], 1.0
	v_fma_f64 v[7:8], v[7:8], v[9:10], v[7:8]
	s_delay_alu instid0(VALU_DEP_1) | instskip(NEXT) | instid1(VALU_DEP_1)
	v_fma_f64 v[9:10], -v[5:6], v[7:8], 1.0
	v_fma_f64 v[7:8], v[7:8], v[9:10], v[7:8]
	v_div_scale_f64 v[9:10], vcc_lo, 1.0, v[1:2], 1.0
	s_delay_alu instid0(VALU_DEP_1) | instskip(NEXT) | instid1(VALU_DEP_1)
	v_mul_f64_e32 v[11:12], v[9:10], v[7:8]
	v_fma_f64 v[5:6], -v[5:6], v[11:12], v[9:10]
	s_wait_alu 0xfffd
	s_delay_alu instid0(VALU_DEP_1) | instskip(NEXT) | instid1(VALU_DEP_1)
	v_div_fmas_f64 v[5:6], v[5:6], v[7:8], v[11:12]
	v_div_fixup_f64 v[1:2], v[5:6], v[1:2], 1.0
	s_delay_alu instid0(VALU_DEP_1)
	v_mul_f64_e64 v[3:4], v[3:4], -v[1:2]
	v_xor_b32_e32 v10, 0x80000000, v2
	v_mov_b32_e32 v9, v1
.LBB83_17:
	s_wait_alu 0xfffe
	s_or_b32 exec_lo, exec_lo, s1
	scratch_store_b128 v54, v[1:4], off
	scratch_load_b128 v[55:58], off, s27
	v_xor_b32_e32 v12, 0x80000000, v4
	v_mov_b32_e32 v11, v3
	v_add_nc_u32_e32 v5, 0x140, v53
	ds_store_b128 v53, v[9:12]
	s_wait_loadcnt 0x0
	ds_store_b128 v53, v[55:58] offset:320
	s_wait_storecnt_dscnt 0x0
	s_barrier_signal -1
	s_barrier_wait -1
	global_inv scope:SCOPE_SE
	s_and_saveexec_b32 s1, s0
	s_cbranch_execz .LBB83_19
; %bb.18:
	scratch_load_b128 v[1:4], v54, off
	ds_load_b128 v[6:9], v5
	v_mov_b32_e32 v10, 0
	ds_load_b128 v[55:58], v10 offset:16
	s_wait_loadcnt_dscnt 0x1
	v_mul_f64_e32 v[10:11], v[6:7], v[3:4]
	v_mul_f64_e32 v[3:4], v[8:9], v[3:4]
	s_delay_alu instid0(VALU_DEP_2) | instskip(NEXT) | instid1(VALU_DEP_2)
	v_fma_f64 v[8:9], v[8:9], v[1:2], v[10:11]
	v_fma_f64 v[1:2], v[6:7], v[1:2], -v[3:4]
	s_delay_alu instid0(VALU_DEP_2) | instskip(NEXT) | instid1(VALU_DEP_2)
	v_add_f64_e32 v[3:4], 0, v[8:9]
	v_add_f64_e32 v[1:2], 0, v[1:2]
	s_wait_dscnt 0x0
	s_delay_alu instid0(VALU_DEP_2) | instskip(NEXT) | instid1(VALU_DEP_2)
	v_mul_f64_e32 v[6:7], v[3:4], v[57:58]
	v_mul_f64_e32 v[8:9], v[1:2], v[57:58]
	s_delay_alu instid0(VALU_DEP_2) | instskip(NEXT) | instid1(VALU_DEP_2)
	v_fma_f64 v[1:2], v[1:2], v[55:56], -v[6:7]
	v_fma_f64 v[3:4], v[3:4], v[55:56], v[8:9]
	scratch_store_b128 off, v[1:4], off offset:32
.LBB83_19:
	s_wait_alu 0xfffe
	s_or_b32 exec_lo, exec_lo, s1
	s_wait_loadcnt 0x0
	s_wait_storecnt 0x0
	s_barrier_signal -1
	s_barrier_wait -1
	global_inv scope:SCOPE_SE
	scratch_load_b128 v[1:4], off, s26
	s_mov_b32 s1, exec_lo
	s_wait_loadcnt 0x0
	ds_store_b128 v5, v[1:4]
	s_wait_dscnt 0x0
	s_barrier_signal -1
	s_barrier_wait -1
	global_inv scope:SCOPE_SE
	v_cmpx_gt_u32_e32 2, v0
	s_cbranch_execz .LBB83_23
; %bb.20:
	scratch_load_b128 v[1:4], v54, off
	ds_load_b128 v[6:9], v5
	s_wait_loadcnt_dscnt 0x0
	v_mul_f64_e32 v[10:11], v[8:9], v[3:4]
	v_mul_f64_e32 v[3:4], v[6:7], v[3:4]
	s_delay_alu instid0(VALU_DEP_2) | instskip(NEXT) | instid1(VALU_DEP_2)
	v_fma_f64 v[6:7], v[6:7], v[1:2], -v[10:11]
	v_fma_f64 v[3:4], v[8:9], v[1:2], v[3:4]
	s_delay_alu instid0(VALU_DEP_2) | instskip(NEXT) | instid1(VALU_DEP_2)
	v_add_f64_e32 v[1:2], 0, v[6:7]
	v_add_f64_e32 v[3:4], 0, v[3:4]
	s_and_saveexec_b32 s28, s0
	s_cbranch_execz .LBB83_22
; %bb.21:
	scratch_load_b128 v[6:9], off, off offset:32
	v_mov_b32_e32 v10, 0
	ds_load_b128 v[55:58], v10 offset:336
	s_wait_loadcnt_dscnt 0x0
	v_mul_f64_e32 v[10:11], v[55:56], v[8:9]
	v_mul_f64_e32 v[8:9], v[57:58], v[8:9]
	s_delay_alu instid0(VALU_DEP_2) | instskip(NEXT) | instid1(VALU_DEP_2)
	v_fma_f64 v[10:11], v[57:58], v[6:7], v[10:11]
	v_fma_f64 v[6:7], v[55:56], v[6:7], -v[8:9]
	s_delay_alu instid0(VALU_DEP_2) | instskip(NEXT) | instid1(VALU_DEP_2)
	v_add_f64_e32 v[3:4], v[3:4], v[10:11]
	v_add_f64_e32 v[1:2], v[1:2], v[6:7]
.LBB83_22:
	s_or_b32 exec_lo, exec_lo, s28
	v_mov_b32_e32 v6, 0
	ds_load_b128 v[6:9], v6 offset:32
	s_wait_dscnt 0x0
	v_mul_f64_e32 v[10:11], v[3:4], v[8:9]
	v_mul_f64_e32 v[8:9], v[1:2], v[8:9]
	s_delay_alu instid0(VALU_DEP_2) | instskip(NEXT) | instid1(VALU_DEP_2)
	v_fma_f64 v[1:2], v[1:2], v[6:7], -v[10:11]
	v_fma_f64 v[3:4], v[3:4], v[6:7], v[8:9]
	scratch_store_b128 off, v[1:4], off offset:48
.LBB83_23:
	s_wait_alu 0xfffe
	s_or_b32 exec_lo, exec_lo, s1
	s_wait_loadcnt 0x0
	s_wait_storecnt 0x0
	s_barrier_signal -1
	s_barrier_wait -1
	global_inv scope:SCOPE_SE
	scratch_load_b128 v[1:4], off, s17
	v_add_nc_u32_e32 v6, -1, v0
	s_mov_b32 s0, exec_lo
	s_wait_loadcnt 0x0
	ds_store_b128 v5, v[1:4]
	s_wait_dscnt 0x0
	s_barrier_signal -1
	s_barrier_wait -1
	global_inv scope:SCOPE_SE
	v_cmpx_gt_u32_e32 3, v0
	s_cbranch_execz .LBB83_27
; %bb.24:
	v_dual_mov_b32 v1, 0 :: v_dual_add_nc_u32 v8, 0x140, v53
	v_mov_b32_e32 v3, 0
	v_dual_mov_b32 v2, 0 :: v_dual_add_nc_u32 v7, -1, v0
	v_mov_b32_e32 v4, 0
	v_or_b32_e32 v9, 8, v54
	s_mov_b32 s1, 0
.LBB83_25:                              ; =>This Inner Loop Header: Depth=1
	scratch_load_b128 v[55:58], v9, off offset:-8
	ds_load_b128 v[59:62], v8
	v_add_nc_u32_e32 v7, 1, v7
	v_add_nc_u32_e32 v8, 16, v8
	v_add_nc_u32_e32 v9, 16, v9
	s_delay_alu instid0(VALU_DEP_3)
	v_cmp_lt_u32_e32 vcc_lo, 1, v7
	s_wait_alu 0xfffe
	s_or_b32 s1, vcc_lo, s1
	s_wait_loadcnt_dscnt 0x0
	v_mul_f64_e32 v[10:11], v[61:62], v[57:58]
	v_mul_f64_e32 v[57:58], v[59:60], v[57:58]
	s_delay_alu instid0(VALU_DEP_2) | instskip(NEXT) | instid1(VALU_DEP_2)
	v_fma_f64 v[10:11], v[59:60], v[55:56], -v[10:11]
	v_fma_f64 v[55:56], v[61:62], v[55:56], v[57:58]
	s_delay_alu instid0(VALU_DEP_2) | instskip(NEXT) | instid1(VALU_DEP_2)
	v_add_f64_e32 v[3:4], v[3:4], v[10:11]
	v_add_f64_e32 v[1:2], v[1:2], v[55:56]
	s_wait_alu 0xfffe
	s_and_not1_b32 exec_lo, exec_lo, s1
	s_cbranch_execnz .LBB83_25
; %bb.26:
	s_or_b32 exec_lo, exec_lo, s1
	v_mov_b32_e32 v7, 0
	ds_load_b128 v[7:10], v7 offset:48
	s_wait_dscnt 0x0
	v_mul_f64_e32 v[11:12], v[1:2], v[9:10]
	v_mul_f64_e32 v[55:56], v[3:4], v[9:10]
	s_delay_alu instid0(VALU_DEP_2) | instskip(NEXT) | instid1(VALU_DEP_2)
	v_fma_f64 v[9:10], v[3:4], v[7:8], -v[11:12]
	v_fma_f64 v[11:12], v[1:2], v[7:8], v[55:56]
	scratch_store_b128 off, v[9:12], off offset:64
.LBB83_27:
	s_wait_alu 0xfffe
	s_or_b32 exec_lo, exec_lo, s0
	s_wait_loadcnt 0x0
	s_wait_storecnt 0x0
	s_barrier_signal -1
	s_barrier_wait -1
	global_inv scope:SCOPE_SE
	scratch_load_b128 v[1:4], off, s18
	s_mov_b32 s0, exec_lo
	s_wait_loadcnt 0x0
	ds_store_b128 v5, v[1:4]
	s_wait_dscnt 0x0
	s_barrier_signal -1
	s_barrier_wait -1
	global_inv scope:SCOPE_SE
	v_cmpx_gt_u32_e32 4, v0
	s_cbranch_execz .LBB83_31
; %bb.28:
	v_dual_mov_b32 v1, 0 :: v_dual_add_nc_u32 v8, 0x140, v53
	v_mov_b32_e32 v3, 0
	v_dual_mov_b32 v2, 0 :: v_dual_add_nc_u32 v7, -1, v0
	v_mov_b32_e32 v4, 0
	v_or_b32_e32 v9, 8, v54
	s_mov_b32 s1, 0
.LBB83_29:                              ; =>This Inner Loop Header: Depth=1
	scratch_load_b128 v[55:58], v9, off offset:-8
	ds_load_b128 v[59:62], v8
	v_add_nc_u32_e32 v7, 1, v7
	v_add_nc_u32_e32 v8, 16, v8
	v_add_nc_u32_e32 v9, 16, v9
	s_delay_alu instid0(VALU_DEP_3)
	v_cmp_lt_u32_e32 vcc_lo, 2, v7
	s_wait_alu 0xfffe
	s_or_b32 s1, vcc_lo, s1
	s_wait_loadcnt_dscnt 0x0
	v_mul_f64_e32 v[10:11], v[61:62], v[57:58]
	v_mul_f64_e32 v[57:58], v[59:60], v[57:58]
	s_delay_alu instid0(VALU_DEP_2) | instskip(NEXT) | instid1(VALU_DEP_2)
	v_fma_f64 v[10:11], v[59:60], v[55:56], -v[10:11]
	v_fma_f64 v[55:56], v[61:62], v[55:56], v[57:58]
	s_delay_alu instid0(VALU_DEP_2) | instskip(NEXT) | instid1(VALU_DEP_2)
	v_add_f64_e32 v[3:4], v[3:4], v[10:11]
	v_add_f64_e32 v[1:2], v[1:2], v[55:56]
	s_wait_alu 0xfffe
	s_and_not1_b32 exec_lo, exec_lo, s1
	s_cbranch_execnz .LBB83_29
; %bb.30:
	s_or_b32 exec_lo, exec_lo, s1
	v_mov_b32_e32 v7, 0
	ds_load_b128 v[7:10], v7 offset:64
	s_wait_dscnt 0x0
	v_mul_f64_e32 v[11:12], v[1:2], v[9:10]
	v_mul_f64_e32 v[55:56], v[3:4], v[9:10]
	s_delay_alu instid0(VALU_DEP_2) | instskip(NEXT) | instid1(VALU_DEP_2)
	v_fma_f64 v[9:10], v[3:4], v[7:8], -v[11:12]
	v_fma_f64 v[11:12], v[1:2], v[7:8], v[55:56]
	scratch_store_b128 off, v[9:12], off offset:80
.LBB83_31:
	s_wait_alu 0xfffe
	s_or_b32 exec_lo, exec_lo, s0
	s_wait_loadcnt 0x0
	s_wait_storecnt 0x0
	s_barrier_signal -1
	s_barrier_wait -1
	global_inv scope:SCOPE_SE
	scratch_load_b128 v[1:4], off, s4
	;; [unrolled: 58-line block ×16, first 2 shown]
	s_mov_b32 s0, exec_lo
	s_wait_loadcnt 0x0
	ds_store_b128 v5, v[1:4]
	s_wait_dscnt 0x0
	s_barrier_signal -1
	s_barrier_wait -1
	global_inv scope:SCOPE_SE
	v_cmpx_ne_u32_e32 19, v0
	s_cbranch_execz .LBB83_91
; %bb.88:
	v_mov_b32_e32 v1, 0
	v_dual_mov_b32 v2, 0 :: v_dual_mov_b32 v3, 0
	v_mov_b32_e32 v4, 0
	v_or_b32_e32 v7, 8, v54
	s_mov_b32 s1, 0
.LBB83_89:                              ; =>This Inner Loop Header: Depth=1
	scratch_load_b128 v[8:11], v7, off offset:-8
	ds_load_b128 v[53:56], v5
	v_add_nc_u32_e32 v6, 1, v6
	v_add_nc_u32_e32 v5, 16, v5
	;; [unrolled: 1-line block ×3, first 2 shown]
	s_delay_alu instid0(VALU_DEP_3)
	v_cmp_lt_u32_e32 vcc_lo, 17, v6
	s_wait_alu 0xfffe
	s_or_b32 s1, vcc_lo, s1
	s_wait_loadcnt_dscnt 0x0
	v_mul_f64_e32 v[57:58], v[55:56], v[10:11]
	v_mul_f64_e32 v[10:11], v[53:54], v[10:11]
	s_delay_alu instid0(VALU_DEP_2) | instskip(NEXT) | instid1(VALU_DEP_2)
	v_fma_f64 v[53:54], v[53:54], v[8:9], -v[57:58]
	v_fma_f64 v[8:9], v[55:56], v[8:9], v[10:11]
	s_delay_alu instid0(VALU_DEP_2) | instskip(NEXT) | instid1(VALU_DEP_2)
	v_add_f64_e32 v[3:4], v[3:4], v[53:54]
	v_add_f64_e32 v[1:2], v[1:2], v[8:9]
	s_wait_alu 0xfffe
	s_and_not1_b32 exec_lo, exec_lo, s1
	s_cbranch_execnz .LBB83_89
; %bb.90:
	s_or_b32 exec_lo, exec_lo, s1
	v_mov_b32_e32 v5, 0
	ds_load_b128 v[5:8], v5 offset:304
	s_wait_dscnt 0x0
	v_mul_f64_e32 v[9:10], v[1:2], v[7:8]
	v_mul_f64_e32 v[7:8], v[3:4], v[7:8]
	s_delay_alu instid0(VALU_DEP_2) | instskip(NEXT) | instid1(VALU_DEP_2)
	v_fma_f64 v[3:4], v[3:4], v[5:6], -v[9:10]
	v_fma_f64 v[5:6], v[1:2], v[5:6], v[7:8]
	scratch_store_b128 off, v[3:6], off offset:320
.LBB83_91:
	s_wait_alu 0xfffe
	s_or_b32 exec_lo, exec_lo, s0
	s_mov_b32 s1, -1
	s_wait_loadcnt 0x0
	s_wait_storecnt 0x0
	s_barrier_signal -1
	s_barrier_wait -1
	global_inv scope:SCOPE_SE
.LBB83_92:
	s_wait_alu 0xfffe
	s_and_b32 vcc_lo, exec_lo, s1
	s_wait_alu 0xfffe
	s_cbranch_vccz .LBB83_94
; %bb.93:
	v_mov_b32_e32 v1, 0
	s_lshl_b64 s[0:1], s[8:9], 2
	s_wait_alu 0xfffe
	s_add_nc_u64 s[0:1], s[6:7], s[0:1]
	global_load_b32 v1, v1, s[0:1]
	s_wait_loadcnt 0x0
	v_cmp_ne_u32_e32 vcc_lo, 0, v1
	s_cbranch_vccz .LBB83_95
.LBB83_94:
	s_nop 0
	s_sendmsg sendmsg(MSG_DEALLOC_VGPRS)
	s_endpgm
.LBB83_95:
	v_lshl_add_u32 v5, v0, 4, 0x140
	s_mov_b32 s0, exec_lo
	v_cmpx_eq_u32_e32 19, v0
	s_cbranch_execz .LBB83_97
; %bb.96:
	scratch_load_b128 v[1:4], off, s25
	v_mov_b32_e32 v6, 0
	s_delay_alu instid0(VALU_DEP_1)
	v_dual_mov_b32 v7, v6 :: v_dual_mov_b32 v8, v6
	v_mov_b32_e32 v9, v6
	scratch_store_b128 off, v[6:9], off offset:304
	s_wait_loadcnt 0x0
	ds_store_b128 v5, v[1:4]
.LBB83_97:
	s_wait_alu 0xfffe
	s_or_b32 exec_lo, exec_lo, s0
	s_wait_storecnt_dscnt 0x0
	s_barrier_signal -1
	s_barrier_wait -1
	global_inv scope:SCOPE_SE
	s_clause 0x1
	scratch_load_b128 v[6:9], off, off offset:320
	scratch_load_b128 v[53:56], off, off offset:304
	v_mov_b32_e32 v1, 0
	s_mov_b32 s0, exec_lo
	ds_load_b128 v[57:60], v1 offset:624
	s_wait_loadcnt_dscnt 0x100
	v_mul_f64_e32 v[2:3], v[59:60], v[8:9]
	v_mul_f64_e32 v[8:9], v[57:58], v[8:9]
	s_delay_alu instid0(VALU_DEP_2) | instskip(NEXT) | instid1(VALU_DEP_2)
	v_fma_f64 v[2:3], v[57:58], v[6:7], -v[2:3]
	v_fma_f64 v[6:7], v[59:60], v[6:7], v[8:9]
	s_delay_alu instid0(VALU_DEP_2) | instskip(NEXT) | instid1(VALU_DEP_2)
	v_add_f64_e32 v[2:3], 0, v[2:3]
	v_add_f64_e32 v[8:9], 0, v[6:7]
	s_wait_loadcnt 0x0
	s_delay_alu instid0(VALU_DEP_2) | instskip(NEXT) | instid1(VALU_DEP_2)
	v_add_f64_e64 v[6:7], v[53:54], -v[2:3]
	v_add_f64_e64 v[8:9], v[55:56], -v[8:9]
	scratch_store_b128 off, v[6:9], off offset:304
	v_cmpx_lt_u32_e32 17, v0
	s_cbranch_execz .LBB83_99
; %bb.98:
	scratch_load_b128 v[6:9], off, s15
	v_dual_mov_b32 v2, v1 :: v_dual_mov_b32 v3, v1
	v_mov_b32_e32 v4, v1
	scratch_store_b128 off, v[1:4], off offset:288
	s_wait_loadcnt 0x0
	ds_store_b128 v5, v[6:9]
.LBB83_99:
	s_wait_alu 0xfffe
	s_or_b32 exec_lo, exec_lo, s0
	s_wait_storecnt_dscnt 0x0
	s_barrier_signal -1
	s_barrier_wait -1
	global_inv scope:SCOPE_SE
	s_clause 0x2
	scratch_load_b128 v[6:9], off, off offset:304
	scratch_load_b128 v[53:56], off, off offset:320
	;; [unrolled: 1-line block ×3, first 2 shown]
	ds_load_b128 v[61:64], v1 offset:608
	ds_load_b128 v[1:4], v1 offset:624
	s_mov_b32 s0, exec_lo
	s_wait_loadcnt_dscnt 0x201
	v_mul_f64_e32 v[10:11], v[63:64], v[8:9]
	v_mul_f64_e32 v[8:9], v[61:62], v[8:9]
	s_wait_loadcnt_dscnt 0x100
	v_mul_f64_e32 v[65:66], v[1:2], v[55:56]
	v_mul_f64_e32 v[55:56], v[3:4], v[55:56]
	s_delay_alu instid0(VALU_DEP_4) | instskip(NEXT) | instid1(VALU_DEP_4)
	v_fma_f64 v[10:11], v[61:62], v[6:7], -v[10:11]
	v_fma_f64 v[6:7], v[63:64], v[6:7], v[8:9]
	s_delay_alu instid0(VALU_DEP_4) | instskip(NEXT) | instid1(VALU_DEP_4)
	v_fma_f64 v[3:4], v[3:4], v[53:54], v[65:66]
	v_fma_f64 v[1:2], v[1:2], v[53:54], -v[55:56]
	s_delay_alu instid0(VALU_DEP_4) | instskip(NEXT) | instid1(VALU_DEP_4)
	v_add_f64_e32 v[8:9], 0, v[10:11]
	v_add_f64_e32 v[6:7], 0, v[6:7]
	s_delay_alu instid0(VALU_DEP_2) | instskip(NEXT) | instid1(VALU_DEP_2)
	v_add_f64_e32 v[1:2], v[8:9], v[1:2]
	v_add_f64_e32 v[3:4], v[6:7], v[3:4]
	s_wait_loadcnt 0x0
	s_delay_alu instid0(VALU_DEP_2) | instskip(NEXT) | instid1(VALU_DEP_2)
	v_add_f64_e64 v[1:2], v[57:58], -v[1:2]
	v_add_f64_e64 v[3:4], v[59:60], -v[3:4]
	scratch_store_b128 off, v[1:4], off offset:288
	v_cmpx_lt_u32_e32 16, v0
	s_cbranch_execz .LBB83_101
; %bb.100:
	scratch_load_b128 v[1:4], off, s24
	v_mov_b32_e32 v6, 0
	s_delay_alu instid0(VALU_DEP_1)
	v_dual_mov_b32 v7, v6 :: v_dual_mov_b32 v8, v6
	v_mov_b32_e32 v9, v6
	scratch_store_b128 off, v[6:9], off offset:272
	s_wait_loadcnt 0x0
	ds_store_b128 v5, v[1:4]
.LBB83_101:
	s_wait_alu 0xfffe
	s_or_b32 exec_lo, exec_lo, s0
	s_wait_storecnt_dscnt 0x0
	s_barrier_signal -1
	s_barrier_wait -1
	global_inv scope:SCOPE_SE
	s_clause 0x3
	scratch_load_b128 v[6:9], off, off offset:288
	scratch_load_b128 v[53:56], off, off offset:304
	;; [unrolled: 1-line block ×4, first 2 shown]
	v_mov_b32_e32 v1, 0
	ds_load_b128 v[65:68], v1 offset:592
	ds_load_b128 v[69:72], v1 offset:608
	s_mov_b32 s0, exec_lo
	s_wait_loadcnt_dscnt 0x301
	v_mul_f64_e32 v[2:3], v[67:68], v[8:9]
	v_mul_f64_e32 v[8:9], v[65:66], v[8:9]
	s_wait_loadcnt_dscnt 0x200
	v_mul_f64_e32 v[10:11], v[69:70], v[55:56]
	v_mul_f64_e32 v[55:56], v[71:72], v[55:56]
	s_delay_alu instid0(VALU_DEP_4) | instskip(NEXT) | instid1(VALU_DEP_4)
	v_fma_f64 v[2:3], v[65:66], v[6:7], -v[2:3]
	v_fma_f64 v[65:66], v[67:68], v[6:7], v[8:9]
	ds_load_b128 v[6:9], v1 offset:624
	v_fma_f64 v[10:11], v[71:72], v[53:54], v[10:11]
	v_fma_f64 v[53:54], v[69:70], v[53:54], -v[55:56]
	s_wait_loadcnt_dscnt 0x100
	v_mul_f64_e32 v[67:68], v[6:7], v[59:60]
	v_mul_f64_e32 v[59:60], v[8:9], v[59:60]
	v_add_f64_e32 v[2:3], 0, v[2:3]
	v_add_f64_e32 v[55:56], 0, v[65:66]
	s_delay_alu instid0(VALU_DEP_4) | instskip(NEXT) | instid1(VALU_DEP_4)
	v_fma_f64 v[8:9], v[8:9], v[57:58], v[67:68]
	v_fma_f64 v[6:7], v[6:7], v[57:58], -v[59:60]
	s_delay_alu instid0(VALU_DEP_4) | instskip(NEXT) | instid1(VALU_DEP_4)
	v_add_f64_e32 v[2:3], v[2:3], v[53:54]
	v_add_f64_e32 v[10:11], v[55:56], v[10:11]
	s_delay_alu instid0(VALU_DEP_2) | instskip(NEXT) | instid1(VALU_DEP_2)
	v_add_f64_e32 v[2:3], v[2:3], v[6:7]
	v_add_f64_e32 v[8:9], v[10:11], v[8:9]
	s_wait_loadcnt 0x0
	s_delay_alu instid0(VALU_DEP_2) | instskip(NEXT) | instid1(VALU_DEP_2)
	v_add_f64_e64 v[6:7], v[61:62], -v[2:3]
	v_add_f64_e64 v[8:9], v[63:64], -v[8:9]
	scratch_store_b128 off, v[6:9], off offset:272
	v_cmpx_lt_u32_e32 15, v0
	s_cbranch_execz .LBB83_103
; %bb.102:
	scratch_load_b128 v[6:9], off, s14
	v_dual_mov_b32 v2, v1 :: v_dual_mov_b32 v3, v1
	v_mov_b32_e32 v4, v1
	scratch_store_b128 off, v[1:4], off offset:256
	s_wait_loadcnt 0x0
	ds_store_b128 v5, v[6:9]
.LBB83_103:
	s_wait_alu 0xfffe
	s_or_b32 exec_lo, exec_lo, s0
	s_wait_storecnt_dscnt 0x0
	s_barrier_signal -1
	s_barrier_wait -1
	global_inv scope:SCOPE_SE
	s_clause 0x4
	scratch_load_b128 v[6:9], off, off offset:272
	scratch_load_b128 v[53:56], off, off offset:288
	;; [unrolled: 1-line block ×5, first 2 shown]
	ds_load_b128 v[69:72], v1 offset:576
	ds_load_b128 v[73:76], v1 offset:592
	s_mov_b32 s0, exec_lo
	s_wait_loadcnt_dscnt 0x401
	v_mul_f64_e32 v[2:3], v[71:72], v[8:9]
	v_mul_f64_e32 v[8:9], v[69:70], v[8:9]
	s_wait_loadcnt_dscnt 0x300
	v_mul_f64_e32 v[10:11], v[73:74], v[55:56]
	v_mul_f64_e32 v[55:56], v[75:76], v[55:56]
	s_delay_alu instid0(VALU_DEP_4) | instskip(NEXT) | instid1(VALU_DEP_4)
	v_fma_f64 v[69:70], v[69:70], v[6:7], -v[2:3]
	v_fma_f64 v[71:72], v[71:72], v[6:7], v[8:9]
	ds_load_b128 v[6:9], v1 offset:608
	ds_load_b128 v[1:4], v1 offset:624
	v_fma_f64 v[10:11], v[75:76], v[53:54], v[10:11]
	v_fma_f64 v[53:54], v[73:74], v[53:54], -v[55:56]
	s_wait_loadcnt_dscnt 0x201
	v_mul_f64_e32 v[77:78], v[6:7], v[59:60]
	v_mul_f64_e32 v[59:60], v[8:9], v[59:60]
	v_add_f64_e32 v[55:56], 0, v[69:70]
	v_add_f64_e32 v[69:70], 0, v[71:72]
	s_wait_loadcnt_dscnt 0x100
	v_mul_f64_e32 v[71:72], v[1:2], v[63:64]
	v_mul_f64_e32 v[63:64], v[3:4], v[63:64]
	v_fma_f64 v[8:9], v[8:9], v[57:58], v[77:78]
	v_fma_f64 v[6:7], v[6:7], v[57:58], -v[59:60]
	v_add_f64_e32 v[53:54], v[55:56], v[53:54]
	v_add_f64_e32 v[10:11], v[69:70], v[10:11]
	v_fma_f64 v[3:4], v[3:4], v[61:62], v[71:72]
	v_fma_f64 v[1:2], v[1:2], v[61:62], -v[63:64]
	s_delay_alu instid0(VALU_DEP_4) | instskip(NEXT) | instid1(VALU_DEP_4)
	v_add_f64_e32 v[6:7], v[53:54], v[6:7]
	v_add_f64_e32 v[8:9], v[10:11], v[8:9]
	s_delay_alu instid0(VALU_DEP_2) | instskip(NEXT) | instid1(VALU_DEP_2)
	v_add_f64_e32 v[1:2], v[6:7], v[1:2]
	v_add_f64_e32 v[3:4], v[8:9], v[3:4]
	s_wait_loadcnt 0x0
	s_delay_alu instid0(VALU_DEP_2) | instskip(NEXT) | instid1(VALU_DEP_2)
	v_add_f64_e64 v[1:2], v[65:66], -v[1:2]
	v_add_f64_e64 v[3:4], v[67:68], -v[3:4]
	scratch_store_b128 off, v[1:4], off offset:256
	v_cmpx_lt_u32_e32 14, v0
	s_cbranch_execz .LBB83_105
; %bb.104:
	scratch_load_b128 v[1:4], off, s23
	v_mov_b32_e32 v6, 0
	s_delay_alu instid0(VALU_DEP_1)
	v_dual_mov_b32 v7, v6 :: v_dual_mov_b32 v8, v6
	v_mov_b32_e32 v9, v6
	scratch_store_b128 off, v[6:9], off offset:240
	s_wait_loadcnt 0x0
	ds_store_b128 v5, v[1:4]
.LBB83_105:
	s_wait_alu 0xfffe
	s_or_b32 exec_lo, exec_lo, s0
	s_wait_storecnt_dscnt 0x0
	s_barrier_signal -1
	s_barrier_wait -1
	global_inv scope:SCOPE_SE
	s_clause 0x5
	scratch_load_b128 v[6:9], off, off offset:256
	scratch_load_b128 v[53:56], off, off offset:272
	;; [unrolled: 1-line block ×6, first 2 shown]
	v_mov_b32_e32 v1, 0
	ds_load_b128 v[73:76], v1 offset:560
	ds_load_b128 v[77:80], v1 offset:576
	s_mov_b32 s0, exec_lo
	s_wait_loadcnt_dscnt 0x501
	v_mul_f64_e32 v[2:3], v[75:76], v[8:9]
	v_mul_f64_e32 v[8:9], v[73:74], v[8:9]
	s_wait_loadcnt_dscnt 0x400
	v_mul_f64_e32 v[10:11], v[77:78], v[55:56]
	v_mul_f64_e32 v[55:56], v[79:80], v[55:56]
	s_delay_alu instid0(VALU_DEP_4) | instskip(NEXT) | instid1(VALU_DEP_4)
	v_fma_f64 v[2:3], v[73:74], v[6:7], -v[2:3]
	v_fma_f64 v[81:82], v[75:76], v[6:7], v[8:9]
	ds_load_b128 v[6:9], v1 offset:592
	ds_load_b128 v[73:76], v1 offset:608
	v_fma_f64 v[10:11], v[79:80], v[53:54], v[10:11]
	v_fma_f64 v[53:54], v[77:78], v[53:54], -v[55:56]
	s_wait_loadcnt_dscnt 0x301
	v_mul_f64_e32 v[83:84], v[6:7], v[59:60]
	v_mul_f64_e32 v[59:60], v[8:9], v[59:60]
	s_wait_loadcnt_dscnt 0x200
	v_mul_f64_e32 v[77:78], v[73:74], v[63:64]
	v_mul_f64_e32 v[63:64], v[75:76], v[63:64]
	v_add_f64_e32 v[2:3], 0, v[2:3]
	v_add_f64_e32 v[55:56], 0, v[81:82]
	v_fma_f64 v[79:80], v[8:9], v[57:58], v[83:84]
	v_fma_f64 v[57:58], v[6:7], v[57:58], -v[59:60]
	ds_load_b128 v[6:9], v1 offset:624
	v_fma_f64 v[59:60], v[75:76], v[61:62], v[77:78]
	v_fma_f64 v[61:62], v[73:74], v[61:62], -v[63:64]
	v_add_f64_e32 v[2:3], v[2:3], v[53:54]
	v_add_f64_e32 v[10:11], v[55:56], v[10:11]
	s_wait_loadcnt_dscnt 0x100
	v_mul_f64_e32 v[53:54], v[6:7], v[67:68]
	v_mul_f64_e32 v[55:56], v[8:9], v[67:68]
	s_delay_alu instid0(VALU_DEP_4) | instskip(NEXT) | instid1(VALU_DEP_4)
	v_add_f64_e32 v[2:3], v[2:3], v[57:58]
	v_add_f64_e32 v[10:11], v[10:11], v[79:80]
	s_delay_alu instid0(VALU_DEP_4) | instskip(NEXT) | instid1(VALU_DEP_4)
	v_fma_f64 v[8:9], v[8:9], v[65:66], v[53:54]
	v_fma_f64 v[6:7], v[6:7], v[65:66], -v[55:56]
	s_delay_alu instid0(VALU_DEP_4) | instskip(NEXT) | instid1(VALU_DEP_4)
	v_add_f64_e32 v[2:3], v[2:3], v[61:62]
	v_add_f64_e32 v[10:11], v[10:11], v[59:60]
	s_delay_alu instid0(VALU_DEP_2) | instskip(NEXT) | instid1(VALU_DEP_2)
	v_add_f64_e32 v[2:3], v[2:3], v[6:7]
	v_add_f64_e32 v[8:9], v[10:11], v[8:9]
	s_wait_loadcnt 0x0
	s_delay_alu instid0(VALU_DEP_2) | instskip(NEXT) | instid1(VALU_DEP_2)
	v_add_f64_e64 v[6:7], v[69:70], -v[2:3]
	v_add_f64_e64 v[8:9], v[71:72], -v[8:9]
	scratch_store_b128 off, v[6:9], off offset:240
	v_cmpx_lt_u32_e32 13, v0
	s_cbranch_execz .LBB83_107
; %bb.106:
	scratch_load_b128 v[6:9], off, s13
	v_dual_mov_b32 v2, v1 :: v_dual_mov_b32 v3, v1
	v_mov_b32_e32 v4, v1
	scratch_store_b128 off, v[1:4], off offset:224
	s_wait_loadcnt 0x0
	ds_store_b128 v5, v[6:9]
.LBB83_107:
	s_wait_alu 0xfffe
	s_or_b32 exec_lo, exec_lo, s0
	s_wait_storecnt_dscnt 0x0
	s_barrier_signal -1
	s_barrier_wait -1
	global_inv scope:SCOPE_SE
	s_clause 0x5
	scratch_load_b128 v[6:9], off, off offset:240
	scratch_load_b128 v[53:56], off, off offset:256
	;; [unrolled: 1-line block ×6, first 2 shown]
	ds_load_b128 v[73:76], v1 offset:544
	ds_load_b128 v[81:84], v1 offset:560
	scratch_load_b128 v[77:80], off, off offset:224
	s_mov_b32 s0, exec_lo
	s_wait_loadcnt_dscnt 0x601
	v_mul_f64_e32 v[2:3], v[75:76], v[8:9]
	v_mul_f64_e32 v[8:9], v[73:74], v[8:9]
	s_wait_loadcnt_dscnt 0x500
	v_mul_f64_e32 v[10:11], v[81:82], v[55:56]
	v_mul_f64_e32 v[55:56], v[83:84], v[55:56]
	s_delay_alu instid0(VALU_DEP_4) | instskip(NEXT) | instid1(VALU_DEP_4)
	v_fma_f64 v[2:3], v[73:74], v[6:7], -v[2:3]
	v_fma_f64 v[85:86], v[75:76], v[6:7], v[8:9]
	ds_load_b128 v[6:9], v1 offset:576
	ds_load_b128 v[73:76], v1 offset:592
	v_fma_f64 v[10:11], v[83:84], v[53:54], v[10:11]
	v_fma_f64 v[53:54], v[81:82], v[53:54], -v[55:56]
	s_wait_loadcnt_dscnt 0x401
	v_mul_f64_e32 v[87:88], v[6:7], v[59:60]
	v_mul_f64_e32 v[59:60], v[8:9], v[59:60]
	s_wait_loadcnt_dscnt 0x300
	v_mul_f64_e32 v[81:82], v[73:74], v[63:64]
	v_mul_f64_e32 v[63:64], v[75:76], v[63:64]
	v_add_f64_e32 v[2:3], 0, v[2:3]
	v_add_f64_e32 v[55:56], 0, v[85:86]
	v_fma_f64 v[83:84], v[8:9], v[57:58], v[87:88]
	v_fma_f64 v[57:58], v[6:7], v[57:58], -v[59:60]
	s_delay_alu instid0(VALU_DEP_4) | instskip(NEXT) | instid1(VALU_DEP_4)
	v_add_f64_e32 v[53:54], v[2:3], v[53:54]
	v_add_f64_e32 v[10:11], v[55:56], v[10:11]
	ds_load_b128 v[6:9], v1 offset:608
	ds_load_b128 v[1:4], v1 offset:624
	s_wait_loadcnt_dscnt 0x201
	v_mul_f64_e32 v[55:56], v[6:7], v[67:68]
	v_mul_f64_e32 v[59:60], v[8:9], v[67:68]
	v_fma_f64 v[67:68], v[75:76], v[61:62], v[81:82]
	v_fma_f64 v[61:62], v[73:74], v[61:62], -v[63:64]
	s_wait_loadcnt_dscnt 0x100
	v_mul_f64_e32 v[63:64], v[3:4], v[71:72]
	v_add_f64_e32 v[53:54], v[53:54], v[57:58]
	v_add_f64_e32 v[10:11], v[10:11], v[83:84]
	v_mul_f64_e32 v[57:58], v[1:2], v[71:72]
	v_fma_f64 v[8:9], v[8:9], v[65:66], v[55:56]
	v_fma_f64 v[6:7], v[6:7], v[65:66], -v[59:60]
	v_fma_f64 v[1:2], v[1:2], v[69:70], -v[63:64]
	v_add_f64_e32 v[53:54], v[53:54], v[61:62]
	v_add_f64_e32 v[10:11], v[10:11], v[67:68]
	v_fma_f64 v[3:4], v[3:4], v[69:70], v[57:58]
	s_delay_alu instid0(VALU_DEP_3) | instskip(NEXT) | instid1(VALU_DEP_3)
	v_add_f64_e32 v[6:7], v[53:54], v[6:7]
	v_add_f64_e32 v[8:9], v[10:11], v[8:9]
	s_delay_alu instid0(VALU_DEP_2) | instskip(NEXT) | instid1(VALU_DEP_2)
	v_add_f64_e32 v[1:2], v[6:7], v[1:2]
	v_add_f64_e32 v[3:4], v[8:9], v[3:4]
	s_wait_loadcnt 0x0
	s_delay_alu instid0(VALU_DEP_2) | instskip(NEXT) | instid1(VALU_DEP_2)
	v_add_f64_e64 v[1:2], v[77:78], -v[1:2]
	v_add_f64_e64 v[3:4], v[79:80], -v[3:4]
	scratch_store_b128 off, v[1:4], off offset:224
	v_cmpx_lt_u32_e32 12, v0
	s_cbranch_execz .LBB83_109
; %bb.108:
	scratch_load_b128 v[1:4], off, s22
	v_mov_b32_e32 v6, 0
	s_delay_alu instid0(VALU_DEP_1)
	v_dual_mov_b32 v7, v6 :: v_dual_mov_b32 v8, v6
	v_mov_b32_e32 v9, v6
	scratch_store_b128 off, v[6:9], off offset:208
	s_wait_loadcnt 0x0
	ds_store_b128 v5, v[1:4]
.LBB83_109:
	s_wait_alu 0xfffe
	s_or_b32 exec_lo, exec_lo, s0
	s_wait_storecnt_dscnt 0x0
	s_barrier_signal -1
	s_barrier_wait -1
	global_inv scope:SCOPE_SE
	s_clause 0x6
	scratch_load_b128 v[6:9], off, off offset:224
	scratch_load_b128 v[53:56], off, off offset:240
	;; [unrolled: 1-line block ×7, first 2 shown]
	v_mov_b32_e32 v1, 0
	scratch_load_b128 v[81:84], off, off offset:208
	s_mov_b32 s0, exec_lo
	ds_load_b128 v[77:80], v1 offset:528
	ds_load_b128 v[85:88], v1 offset:544
	s_wait_loadcnt_dscnt 0x701
	v_mul_f64_e32 v[2:3], v[79:80], v[8:9]
	v_mul_f64_e32 v[8:9], v[77:78], v[8:9]
	s_wait_loadcnt_dscnt 0x600
	v_mul_f64_e32 v[10:11], v[85:86], v[55:56]
	v_mul_f64_e32 v[55:56], v[87:88], v[55:56]
	s_delay_alu instid0(VALU_DEP_4) | instskip(NEXT) | instid1(VALU_DEP_4)
	v_fma_f64 v[2:3], v[77:78], v[6:7], -v[2:3]
	v_fma_f64 v[89:90], v[79:80], v[6:7], v[8:9]
	ds_load_b128 v[6:9], v1 offset:560
	ds_load_b128 v[77:80], v1 offset:576
	v_fma_f64 v[10:11], v[87:88], v[53:54], v[10:11]
	v_fma_f64 v[53:54], v[85:86], v[53:54], -v[55:56]
	s_wait_loadcnt_dscnt 0x501
	v_mul_f64_e32 v[91:92], v[6:7], v[59:60]
	v_mul_f64_e32 v[59:60], v[8:9], v[59:60]
	s_wait_loadcnt_dscnt 0x400
	v_mul_f64_e32 v[85:86], v[77:78], v[63:64]
	v_mul_f64_e32 v[63:64], v[79:80], v[63:64]
	v_add_f64_e32 v[2:3], 0, v[2:3]
	v_add_f64_e32 v[55:56], 0, v[89:90]
	v_fma_f64 v[87:88], v[8:9], v[57:58], v[91:92]
	v_fma_f64 v[57:58], v[6:7], v[57:58], -v[59:60]
	v_fma_f64 v[79:80], v[79:80], v[61:62], v[85:86]
	v_fma_f64 v[61:62], v[77:78], v[61:62], -v[63:64]
	v_add_f64_e32 v[2:3], v[2:3], v[53:54]
	v_add_f64_e32 v[10:11], v[55:56], v[10:11]
	ds_load_b128 v[6:9], v1 offset:592
	ds_load_b128 v[53:56], v1 offset:608
	s_wait_loadcnt_dscnt 0x301
	v_mul_f64_e32 v[59:60], v[6:7], v[67:68]
	v_mul_f64_e32 v[67:68], v[8:9], v[67:68]
	s_wait_loadcnt_dscnt 0x200
	v_mul_f64_e32 v[63:64], v[55:56], v[71:72]
	v_add_f64_e32 v[2:3], v[2:3], v[57:58]
	v_add_f64_e32 v[10:11], v[10:11], v[87:88]
	v_mul_f64_e32 v[57:58], v[53:54], v[71:72]
	v_fma_f64 v[59:60], v[8:9], v[65:66], v[59:60]
	v_fma_f64 v[65:66], v[6:7], v[65:66], -v[67:68]
	ds_load_b128 v[6:9], v1 offset:624
	v_fma_f64 v[53:54], v[53:54], v[69:70], -v[63:64]
	v_add_f64_e32 v[2:3], v[2:3], v[61:62]
	v_add_f64_e32 v[10:11], v[10:11], v[79:80]
	v_fma_f64 v[55:56], v[55:56], v[69:70], v[57:58]
	s_wait_loadcnt_dscnt 0x100
	v_mul_f64_e32 v[61:62], v[6:7], v[75:76]
	v_mul_f64_e32 v[67:68], v[8:9], v[75:76]
	v_add_f64_e32 v[2:3], v[2:3], v[65:66]
	v_add_f64_e32 v[10:11], v[10:11], v[59:60]
	s_delay_alu instid0(VALU_DEP_4) | instskip(NEXT) | instid1(VALU_DEP_4)
	v_fma_f64 v[8:9], v[8:9], v[73:74], v[61:62]
	v_fma_f64 v[6:7], v[6:7], v[73:74], -v[67:68]
	s_delay_alu instid0(VALU_DEP_4) | instskip(NEXT) | instid1(VALU_DEP_4)
	v_add_f64_e32 v[2:3], v[2:3], v[53:54]
	v_add_f64_e32 v[10:11], v[10:11], v[55:56]
	s_delay_alu instid0(VALU_DEP_2) | instskip(NEXT) | instid1(VALU_DEP_2)
	v_add_f64_e32 v[2:3], v[2:3], v[6:7]
	v_add_f64_e32 v[8:9], v[10:11], v[8:9]
	s_wait_loadcnt 0x0
	s_delay_alu instid0(VALU_DEP_2) | instskip(NEXT) | instid1(VALU_DEP_2)
	v_add_f64_e64 v[6:7], v[81:82], -v[2:3]
	v_add_f64_e64 v[8:9], v[83:84], -v[8:9]
	scratch_store_b128 off, v[6:9], off offset:208
	v_cmpx_lt_u32_e32 11, v0
	s_cbranch_execz .LBB83_111
; %bb.110:
	scratch_load_b128 v[6:9], off, s11
	v_dual_mov_b32 v2, v1 :: v_dual_mov_b32 v3, v1
	v_mov_b32_e32 v4, v1
	scratch_store_b128 off, v[1:4], off offset:192
	s_wait_loadcnt 0x0
	ds_store_b128 v5, v[6:9]
.LBB83_111:
	s_wait_alu 0xfffe
	s_or_b32 exec_lo, exec_lo, s0
	s_wait_storecnt_dscnt 0x0
	s_barrier_signal -1
	s_barrier_wait -1
	global_inv scope:SCOPE_SE
	s_clause 0x7
	scratch_load_b128 v[6:9], off, off offset:208
	scratch_load_b128 v[53:56], off, off offset:224
	;; [unrolled: 1-line block ×8, first 2 shown]
	ds_load_b128 v[81:84], v1 offset:512
	ds_load_b128 v[85:88], v1 offset:528
	scratch_load_b128 v[89:92], off, off offset:192
	s_mov_b32 s0, exec_lo
	s_wait_loadcnt_dscnt 0x801
	v_mul_f64_e32 v[2:3], v[83:84], v[8:9]
	v_mul_f64_e32 v[8:9], v[81:82], v[8:9]
	s_wait_loadcnt_dscnt 0x700
	v_mul_f64_e32 v[10:11], v[85:86], v[55:56]
	v_mul_f64_e32 v[55:56], v[87:88], v[55:56]
	s_delay_alu instid0(VALU_DEP_4) | instskip(NEXT) | instid1(VALU_DEP_4)
	v_fma_f64 v[2:3], v[81:82], v[6:7], -v[2:3]
	v_fma_f64 v[93:94], v[83:84], v[6:7], v[8:9]
	ds_load_b128 v[6:9], v1 offset:544
	ds_load_b128 v[81:84], v1 offset:560
	v_fma_f64 v[10:11], v[87:88], v[53:54], v[10:11]
	v_fma_f64 v[53:54], v[85:86], v[53:54], -v[55:56]
	s_wait_loadcnt_dscnt 0x601
	v_mul_f64_e32 v[95:96], v[6:7], v[59:60]
	v_mul_f64_e32 v[59:60], v[8:9], v[59:60]
	s_wait_loadcnt_dscnt 0x500
	v_mul_f64_e32 v[85:86], v[81:82], v[63:64]
	v_mul_f64_e32 v[63:64], v[83:84], v[63:64]
	v_add_f64_e32 v[2:3], 0, v[2:3]
	v_add_f64_e32 v[55:56], 0, v[93:94]
	v_fma_f64 v[87:88], v[8:9], v[57:58], v[95:96]
	v_fma_f64 v[57:58], v[6:7], v[57:58], -v[59:60]
	v_fma_f64 v[83:84], v[83:84], v[61:62], v[85:86]
	v_fma_f64 v[61:62], v[81:82], v[61:62], -v[63:64]
	v_add_f64_e32 v[2:3], v[2:3], v[53:54]
	v_add_f64_e32 v[10:11], v[55:56], v[10:11]
	ds_load_b128 v[6:9], v1 offset:576
	ds_load_b128 v[53:56], v1 offset:592
	s_wait_loadcnt_dscnt 0x401
	v_mul_f64_e32 v[59:60], v[6:7], v[67:68]
	v_mul_f64_e32 v[67:68], v[8:9], v[67:68]
	s_wait_loadcnt_dscnt 0x300
	v_mul_f64_e32 v[63:64], v[55:56], v[71:72]
	v_add_f64_e32 v[2:3], v[2:3], v[57:58]
	v_add_f64_e32 v[10:11], v[10:11], v[87:88]
	v_mul_f64_e32 v[57:58], v[53:54], v[71:72]
	v_fma_f64 v[59:60], v[8:9], v[65:66], v[59:60]
	v_fma_f64 v[65:66], v[6:7], v[65:66], -v[67:68]
	v_fma_f64 v[53:54], v[53:54], v[69:70], -v[63:64]
	v_add_f64_e32 v[61:62], v[2:3], v[61:62]
	v_add_f64_e32 v[10:11], v[10:11], v[83:84]
	ds_load_b128 v[6:9], v1 offset:608
	ds_load_b128 v[1:4], v1 offset:624
	v_fma_f64 v[55:56], v[55:56], v[69:70], v[57:58]
	s_wait_loadcnt_dscnt 0x201
	v_mul_f64_e32 v[67:68], v[6:7], v[75:76]
	v_mul_f64_e32 v[71:72], v[8:9], v[75:76]
	v_add_f64_e32 v[57:58], v[61:62], v[65:66]
	v_add_f64_e32 v[10:11], v[10:11], v[59:60]
	s_wait_loadcnt_dscnt 0x100
	v_mul_f64_e32 v[59:60], v[1:2], v[79:80]
	v_mul_f64_e32 v[61:62], v[3:4], v[79:80]
	v_fma_f64 v[8:9], v[8:9], v[73:74], v[67:68]
	v_fma_f64 v[6:7], v[6:7], v[73:74], -v[71:72]
	v_add_f64_e32 v[53:54], v[57:58], v[53:54]
	v_add_f64_e32 v[10:11], v[10:11], v[55:56]
	v_fma_f64 v[3:4], v[3:4], v[77:78], v[59:60]
	v_fma_f64 v[1:2], v[1:2], v[77:78], -v[61:62]
	s_delay_alu instid0(VALU_DEP_4) | instskip(NEXT) | instid1(VALU_DEP_4)
	v_add_f64_e32 v[6:7], v[53:54], v[6:7]
	v_add_f64_e32 v[8:9], v[10:11], v[8:9]
	s_delay_alu instid0(VALU_DEP_2) | instskip(NEXT) | instid1(VALU_DEP_2)
	v_add_f64_e32 v[1:2], v[6:7], v[1:2]
	v_add_f64_e32 v[3:4], v[8:9], v[3:4]
	s_wait_loadcnt 0x0
	s_delay_alu instid0(VALU_DEP_2) | instskip(NEXT) | instid1(VALU_DEP_2)
	v_add_f64_e64 v[1:2], v[89:90], -v[1:2]
	v_add_f64_e64 v[3:4], v[91:92], -v[3:4]
	scratch_store_b128 off, v[1:4], off offset:192
	v_cmpx_lt_u32_e32 10, v0
	s_cbranch_execz .LBB83_113
; %bb.112:
	scratch_load_b128 v[1:4], off, s21
	v_mov_b32_e32 v6, 0
	s_delay_alu instid0(VALU_DEP_1)
	v_dual_mov_b32 v7, v6 :: v_dual_mov_b32 v8, v6
	v_mov_b32_e32 v9, v6
	scratch_store_b128 off, v[6:9], off offset:176
	s_wait_loadcnt 0x0
	ds_store_b128 v5, v[1:4]
.LBB83_113:
	s_wait_alu 0xfffe
	s_or_b32 exec_lo, exec_lo, s0
	s_wait_storecnt_dscnt 0x0
	s_barrier_signal -1
	s_barrier_wait -1
	global_inv scope:SCOPE_SE
	s_clause 0x7
	scratch_load_b128 v[6:9], off, off offset:192
	scratch_load_b128 v[53:56], off, off offset:208
	;; [unrolled: 1-line block ×8, first 2 shown]
	v_mov_b32_e32 v1, 0
	s_mov_b32 s0, exec_lo
	ds_load_b128 v[81:84], v1 offset:496
	s_clause 0x1
	scratch_load_b128 v[85:88], off, off offset:320
	scratch_load_b128 v[89:92], off, off offset:176
	ds_load_b128 v[93:96], v1 offset:512
	s_wait_loadcnt_dscnt 0x901
	v_mul_f64_e32 v[2:3], v[83:84], v[8:9]
	v_mul_f64_e32 v[8:9], v[81:82], v[8:9]
	s_wait_loadcnt_dscnt 0x800
	v_mul_f64_e32 v[10:11], v[93:94], v[55:56]
	v_mul_f64_e32 v[55:56], v[95:96], v[55:56]
	s_delay_alu instid0(VALU_DEP_4) | instskip(NEXT) | instid1(VALU_DEP_4)
	v_fma_f64 v[2:3], v[81:82], v[6:7], -v[2:3]
	v_fma_f64 v[97:98], v[83:84], v[6:7], v[8:9]
	ds_load_b128 v[6:9], v1 offset:528
	ds_load_b128 v[81:84], v1 offset:544
	v_fma_f64 v[10:11], v[95:96], v[53:54], v[10:11]
	v_fma_f64 v[53:54], v[93:94], v[53:54], -v[55:56]
	s_wait_loadcnt_dscnt 0x701
	v_mul_f64_e32 v[99:100], v[6:7], v[59:60]
	v_mul_f64_e32 v[59:60], v[8:9], v[59:60]
	s_wait_loadcnt_dscnt 0x600
	v_mul_f64_e32 v[93:94], v[81:82], v[63:64]
	v_mul_f64_e32 v[63:64], v[83:84], v[63:64]
	v_add_f64_e32 v[2:3], 0, v[2:3]
	v_add_f64_e32 v[55:56], 0, v[97:98]
	v_fma_f64 v[95:96], v[8:9], v[57:58], v[99:100]
	v_fma_f64 v[57:58], v[6:7], v[57:58], -v[59:60]
	v_fma_f64 v[83:84], v[83:84], v[61:62], v[93:94]
	v_fma_f64 v[61:62], v[81:82], v[61:62], -v[63:64]
	v_add_f64_e32 v[2:3], v[2:3], v[53:54]
	v_add_f64_e32 v[10:11], v[55:56], v[10:11]
	ds_load_b128 v[6:9], v1 offset:560
	ds_load_b128 v[53:56], v1 offset:576
	s_wait_loadcnt_dscnt 0x501
	v_mul_f64_e32 v[59:60], v[6:7], v[67:68]
	v_mul_f64_e32 v[67:68], v[8:9], v[67:68]
	s_wait_loadcnt_dscnt 0x400
	v_mul_f64_e32 v[63:64], v[53:54], v[71:72]
	v_mul_f64_e32 v[71:72], v[55:56], v[71:72]
	v_add_f64_e32 v[2:3], v[2:3], v[57:58]
	v_add_f64_e32 v[10:11], v[10:11], v[95:96]
	v_fma_f64 v[81:82], v[8:9], v[65:66], v[59:60]
	v_fma_f64 v[65:66], v[6:7], v[65:66], -v[67:68]
	ds_load_b128 v[6:9], v1 offset:592
	ds_load_b128 v[57:60], v1 offset:608
	v_fma_f64 v[55:56], v[55:56], v[69:70], v[63:64]
	v_fma_f64 v[53:54], v[53:54], v[69:70], -v[71:72]
	v_add_f64_e32 v[2:3], v[2:3], v[61:62]
	v_add_f64_e32 v[10:11], v[10:11], v[83:84]
	s_wait_loadcnt_dscnt 0x301
	v_mul_f64_e32 v[61:62], v[6:7], v[75:76]
	v_mul_f64_e32 v[67:68], v[8:9], v[75:76]
	s_wait_loadcnt_dscnt 0x200
	v_mul_f64_e32 v[63:64], v[57:58], v[79:80]
	v_add_f64_e32 v[2:3], v[2:3], v[65:66]
	v_add_f64_e32 v[10:11], v[10:11], v[81:82]
	v_mul_f64_e32 v[65:66], v[59:60], v[79:80]
	v_fma_f64 v[61:62], v[8:9], v[73:74], v[61:62]
	v_fma_f64 v[67:68], v[6:7], v[73:74], -v[67:68]
	ds_load_b128 v[6:9], v1 offset:624
	v_fma_f64 v[59:60], v[59:60], v[77:78], v[63:64]
	v_add_f64_e32 v[2:3], v[2:3], v[53:54]
	v_add_f64_e32 v[10:11], v[10:11], v[55:56]
	s_wait_loadcnt_dscnt 0x100
	v_mul_f64_e32 v[53:54], v[6:7], v[87:88]
	v_mul_f64_e32 v[55:56], v[8:9], v[87:88]
	v_fma_f64 v[57:58], v[57:58], v[77:78], -v[65:66]
	v_add_f64_e32 v[2:3], v[2:3], v[67:68]
	v_add_f64_e32 v[10:11], v[10:11], v[61:62]
	v_fma_f64 v[8:9], v[8:9], v[85:86], v[53:54]
	v_fma_f64 v[6:7], v[6:7], v[85:86], -v[55:56]
	s_delay_alu instid0(VALU_DEP_4) | instskip(NEXT) | instid1(VALU_DEP_4)
	v_add_f64_e32 v[2:3], v[2:3], v[57:58]
	v_add_f64_e32 v[10:11], v[10:11], v[59:60]
	s_delay_alu instid0(VALU_DEP_2) | instskip(NEXT) | instid1(VALU_DEP_2)
	v_add_f64_e32 v[2:3], v[2:3], v[6:7]
	v_add_f64_e32 v[8:9], v[10:11], v[8:9]
	s_wait_loadcnt 0x0
	s_delay_alu instid0(VALU_DEP_2) | instskip(NEXT) | instid1(VALU_DEP_2)
	v_add_f64_e64 v[6:7], v[89:90], -v[2:3]
	v_add_f64_e64 v[8:9], v[91:92], -v[8:9]
	scratch_store_b128 off, v[6:9], off offset:176
	v_cmpx_lt_u32_e32 9, v0
	s_cbranch_execz .LBB83_115
; %bb.114:
	scratch_load_b128 v[6:9], off, s10
	v_dual_mov_b32 v2, v1 :: v_dual_mov_b32 v3, v1
	v_mov_b32_e32 v4, v1
	scratch_store_b128 off, v[1:4], off offset:160
	s_wait_loadcnt 0x0
	ds_store_b128 v5, v[6:9]
.LBB83_115:
	s_wait_alu 0xfffe
	s_or_b32 exec_lo, exec_lo, s0
	s_wait_storecnt_dscnt 0x0
	s_barrier_signal -1
	s_barrier_wait -1
	global_inv scope:SCOPE_SE
	s_clause 0x8
	scratch_load_b128 v[6:9], off, off offset:176
	scratch_load_b128 v[53:56], off, off offset:192
	;; [unrolled: 1-line block ×9, first 2 shown]
	ds_load_b128 v[85:88], v1 offset:480
	ds_load_b128 v[89:92], v1 offset:496
	scratch_load_b128 v[93:96], off, off offset:160
	s_mov_b32 s0, exec_lo
	s_wait_loadcnt_dscnt 0x901
	v_mul_f64_e32 v[2:3], v[87:88], v[8:9]
	v_mul_f64_e32 v[97:98], v[85:86], v[8:9]
	scratch_load_b128 v[8:11], off, off offset:320
	s_wait_loadcnt_dscnt 0x900
	v_mul_f64_e32 v[101:102], v[89:90], v[55:56]
	v_mul_f64_e32 v[55:56], v[91:92], v[55:56]
	v_fma_f64 v[2:3], v[85:86], v[6:7], -v[2:3]
	v_fma_f64 v[6:7], v[87:88], v[6:7], v[97:98]
	ds_load_b128 v[85:88], v1 offset:512
	ds_load_b128 v[97:100], v1 offset:528
	v_fma_f64 v[91:92], v[91:92], v[53:54], v[101:102]
	v_fma_f64 v[53:54], v[89:90], v[53:54], -v[55:56]
	s_wait_loadcnt_dscnt 0x801
	v_mul_f64_e32 v[103:104], v[85:86], v[59:60]
	v_mul_f64_e32 v[59:60], v[87:88], v[59:60]
	s_wait_loadcnt_dscnt 0x700
	v_mul_f64_e32 v[89:90], v[97:98], v[63:64]
	v_mul_f64_e32 v[63:64], v[99:100], v[63:64]
	v_add_f64_e32 v[2:3], 0, v[2:3]
	v_add_f64_e32 v[6:7], 0, v[6:7]
	v_fma_f64 v[87:88], v[87:88], v[57:58], v[103:104]
	v_fma_f64 v[85:86], v[85:86], v[57:58], -v[59:60]
	v_fma_f64 v[89:90], v[99:100], v[61:62], v[89:90]
	v_fma_f64 v[61:62], v[97:98], v[61:62], -v[63:64]
	v_add_f64_e32 v[2:3], v[2:3], v[53:54]
	v_add_f64_e32 v[6:7], v[6:7], v[91:92]
	ds_load_b128 v[53:56], v1 offset:544
	ds_load_b128 v[57:60], v1 offset:560
	s_wait_loadcnt_dscnt 0x601
	v_mul_f64_e32 v[91:92], v[53:54], v[67:68]
	v_mul_f64_e32 v[67:68], v[55:56], v[67:68]
	v_add_f64_e32 v[2:3], v[2:3], v[85:86]
	v_add_f64_e32 v[6:7], v[6:7], v[87:88]
	s_wait_loadcnt_dscnt 0x500
	v_mul_f64_e32 v[85:86], v[57:58], v[71:72]
	v_mul_f64_e32 v[71:72], v[59:60], v[71:72]
	v_fma_f64 v[87:88], v[55:56], v[65:66], v[91:92]
	v_fma_f64 v[65:66], v[53:54], v[65:66], -v[67:68]
	v_add_f64_e32 v[2:3], v[2:3], v[61:62]
	v_add_f64_e32 v[6:7], v[6:7], v[89:90]
	ds_load_b128 v[53:56], v1 offset:576
	ds_load_b128 v[61:64], v1 offset:592
	v_fma_f64 v[59:60], v[59:60], v[69:70], v[85:86]
	v_fma_f64 v[57:58], v[57:58], v[69:70], -v[71:72]
	s_wait_loadcnt_dscnt 0x401
	v_mul_f64_e32 v[67:68], v[53:54], v[75:76]
	v_mul_f64_e32 v[75:76], v[55:56], v[75:76]
	s_wait_loadcnt_dscnt 0x300
	v_mul_f64_e32 v[69:70], v[63:64], v[79:80]
	v_add_f64_e32 v[2:3], v[2:3], v[65:66]
	v_add_f64_e32 v[6:7], v[6:7], v[87:88]
	v_mul_f64_e32 v[65:66], v[61:62], v[79:80]
	v_fma_f64 v[67:68], v[55:56], v[73:74], v[67:68]
	v_fma_f64 v[71:72], v[53:54], v[73:74], -v[75:76]
	v_fma_f64 v[61:62], v[61:62], v[77:78], -v[69:70]
	v_add_f64_e32 v[57:58], v[2:3], v[57:58]
	v_add_f64_e32 v[6:7], v[6:7], v[59:60]
	ds_load_b128 v[53:56], v1 offset:608
	ds_load_b128 v[1:4], v1 offset:624
	v_fma_f64 v[63:64], v[63:64], v[77:78], v[65:66]
	s_wait_loadcnt_dscnt 0x201
	v_mul_f64_e32 v[59:60], v[53:54], v[83:84]
	v_mul_f64_e32 v[73:74], v[55:56], v[83:84]
	v_add_f64_e32 v[57:58], v[57:58], v[71:72]
	v_add_f64_e32 v[6:7], v[6:7], v[67:68]
	s_wait_loadcnt_dscnt 0x0
	v_mul_f64_e32 v[65:66], v[1:2], v[10:11]
	v_mul_f64_e32 v[10:11], v[3:4], v[10:11]
	v_fma_f64 v[55:56], v[55:56], v[81:82], v[59:60]
	v_fma_f64 v[53:54], v[53:54], v[81:82], -v[73:74]
	v_add_f64_e32 v[57:58], v[57:58], v[61:62]
	v_add_f64_e32 v[6:7], v[6:7], v[63:64]
	v_fma_f64 v[3:4], v[3:4], v[8:9], v[65:66]
	v_fma_f64 v[1:2], v[1:2], v[8:9], -v[10:11]
	s_delay_alu instid0(VALU_DEP_4) | instskip(NEXT) | instid1(VALU_DEP_4)
	v_add_f64_e32 v[8:9], v[57:58], v[53:54]
	v_add_f64_e32 v[6:7], v[6:7], v[55:56]
	s_delay_alu instid0(VALU_DEP_2) | instskip(NEXT) | instid1(VALU_DEP_2)
	v_add_f64_e32 v[1:2], v[8:9], v[1:2]
	v_add_f64_e32 v[3:4], v[6:7], v[3:4]
	s_delay_alu instid0(VALU_DEP_2) | instskip(NEXT) | instid1(VALU_DEP_2)
	v_add_f64_e64 v[1:2], v[93:94], -v[1:2]
	v_add_f64_e64 v[3:4], v[95:96], -v[3:4]
	scratch_store_b128 off, v[1:4], off offset:160
	v_cmpx_lt_u32_e32 8, v0
	s_cbranch_execz .LBB83_117
; %bb.116:
	scratch_load_b128 v[1:4], off, s20
	v_mov_b32_e32 v6, 0
	s_delay_alu instid0(VALU_DEP_1)
	v_dual_mov_b32 v7, v6 :: v_dual_mov_b32 v8, v6
	v_mov_b32_e32 v9, v6
	scratch_store_b128 off, v[6:9], off offset:144
	s_wait_loadcnt 0x0
	ds_store_b128 v5, v[1:4]
.LBB83_117:
	s_wait_alu 0xfffe
	s_or_b32 exec_lo, exec_lo, s0
	s_wait_storecnt_dscnt 0x0
	s_barrier_signal -1
	s_barrier_wait -1
	global_inv scope:SCOPE_SE
	s_clause 0x7
	scratch_load_b128 v[6:9], off, off offset:160
	scratch_load_b128 v[53:56], off, off offset:176
	;; [unrolled: 1-line block ×8, first 2 shown]
	v_mov_b32_e32 v1, 0
	s_mov_b32 s0, exec_lo
	ds_load_b128 v[81:84], v1 offset:464
	s_clause 0x1
	scratch_load_b128 v[85:88], off, off offset:288
	scratch_load_b128 v[89:92], off, off offset:144
	ds_load_b128 v[93:96], v1 offset:480
	ds_load_b128 v[101:104], v1 offset:512
	s_wait_loadcnt_dscnt 0x902
	v_mul_f64_e32 v[2:3], v[83:84], v[8:9]
	v_mul_f64_e32 v[97:98], v[81:82], v[8:9]
	scratch_load_b128 v[8:11], off, off offset:304
	v_fma_f64 v[2:3], v[81:82], v[6:7], -v[2:3]
	v_fma_f64 v[6:7], v[83:84], v[6:7], v[97:98]
	ds_load_b128 v[81:84], v1 offset:496
	s_wait_loadcnt_dscnt 0x902
	v_mul_f64_e32 v[105:106], v[93:94], v[55:56]
	v_mul_f64_e32 v[55:56], v[95:96], v[55:56]
	scratch_load_b128 v[97:100], off, off offset:320
	s_wait_loadcnt_dscnt 0x900
	v_mul_f64_e32 v[107:108], v[81:82], v[59:60]
	v_mul_f64_e32 v[59:60], v[83:84], v[59:60]
	v_add_f64_e32 v[2:3], 0, v[2:3]
	v_add_f64_e32 v[6:7], 0, v[6:7]
	v_fma_f64 v[95:96], v[95:96], v[53:54], v[105:106]
	v_fma_f64 v[53:54], v[93:94], v[53:54], -v[55:56]
	s_wait_loadcnt 0x8
	v_mul_f64_e32 v[93:94], v[101:102], v[63:64]
	v_mul_f64_e32 v[63:64], v[103:104], v[63:64]
	v_fma_f64 v[83:84], v[83:84], v[57:58], v[107:108]
	v_fma_f64 v[81:82], v[81:82], v[57:58], -v[59:60]
	v_add_f64_e32 v[6:7], v[6:7], v[95:96]
	v_add_f64_e32 v[2:3], v[2:3], v[53:54]
	ds_load_b128 v[53:56], v1 offset:528
	ds_load_b128 v[57:60], v1 offset:544
	v_fma_f64 v[93:94], v[103:104], v[61:62], v[93:94]
	v_fma_f64 v[61:62], v[101:102], v[61:62], -v[63:64]
	s_wait_loadcnt_dscnt 0x701
	v_mul_f64_e32 v[95:96], v[53:54], v[67:68]
	v_mul_f64_e32 v[67:68], v[55:56], v[67:68]
	v_add_f64_e32 v[6:7], v[6:7], v[83:84]
	v_add_f64_e32 v[2:3], v[2:3], v[81:82]
	s_wait_loadcnt_dscnt 0x600
	v_mul_f64_e32 v[81:82], v[57:58], v[71:72]
	v_mul_f64_e32 v[71:72], v[59:60], v[71:72]
	v_fma_f64 v[83:84], v[55:56], v[65:66], v[95:96]
	v_fma_f64 v[65:66], v[53:54], v[65:66], -v[67:68]
	v_add_f64_e32 v[6:7], v[6:7], v[93:94]
	v_add_f64_e32 v[2:3], v[2:3], v[61:62]
	ds_load_b128 v[53:56], v1 offset:560
	ds_load_b128 v[61:64], v1 offset:576
	v_fma_f64 v[59:60], v[59:60], v[69:70], v[81:82]
	v_fma_f64 v[57:58], v[57:58], v[69:70], -v[71:72]
	s_wait_loadcnt_dscnt 0x501
	v_mul_f64_e32 v[67:68], v[53:54], v[75:76]
	v_mul_f64_e32 v[75:76], v[55:56], v[75:76]
	s_wait_loadcnt_dscnt 0x400
	v_mul_f64_e32 v[69:70], v[63:64], v[79:80]
	v_add_f64_e32 v[6:7], v[6:7], v[83:84]
	v_add_f64_e32 v[2:3], v[2:3], v[65:66]
	v_mul_f64_e32 v[65:66], v[61:62], v[79:80]
	v_fma_f64 v[67:68], v[55:56], v[73:74], v[67:68]
	v_fma_f64 v[71:72], v[53:54], v[73:74], -v[75:76]
	v_fma_f64 v[61:62], v[61:62], v[77:78], -v[69:70]
	v_add_f64_e32 v[6:7], v[6:7], v[59:60]
	v_add_f64_e32 v[2:3], v[2:3], v[57:58]
	ds_load_b128 v[53:56], v1 offset:592
	ds_load_b128 v[57:60], v1 offset:608
	v_fma_f64 v[63:64], v[63:64], v[77:78], v[65:66]
	s_wait_loadcnt_dscnt 0x301
	v_mul_f64_e32 v[73:74], v[53:54], v[87:88]
	v_mul_f64_e32 v[75:76], v[55:56], v[87:88]
	v_add_f64_e32 v[6:7], v[6:7], v[67:68]
	v_add_f64_e32 v[2:3], v[2:3], v[71:72]
	s_wait_loadcnt_dscnt 0x100
	v_mul_f64_e32 v[65:66], v[57:58], v[10:11]
	v_mul_f64_e32 v[10:11], v[59:60], v[10:11]
	v_fma_f64 v[67:68], v[55:56], v[85:86], v[73:74]
	v_fma_f64 v[69:70], v[53:54], v[85:86], -v[75:76]
	ds_load_b128 v[53:56], v1 offset:624
	v_add_f64_e32 v[6:7], v[6:7], v[63:64]
	v_add_f64_e32 v[2:3], v[2:3], v[61:62]
	v_fma_f64 v[59:60], v[59:60], v[8:9], v[65:66]
	v_fma_f64 v[8:9], v[57:58], v[8:9], -v[10:11]
	s_wait_loadcnt_dscnt 0x0
	v_mul_f64_e32 v[61:62], v[53:54], v[99:100]
	v_mul_f64_e32 v[63:64], v[55:56], v[99:100]
	v_add_f64_e32 v[6:7], v[6:7], v[67:68]
	v_add_f64_e32 v[2:3], v[2:3], v[69:70]
	s_delay_alu instid0(VALU_DEP_4) | instskip(NEXT) | instid1(VALU_DEP_4)
	v_fma_f64 v[10:11], v[55:56], v[97:98], v[61:62]
	v_fma_f64 v[53:54], v[53:54], v[97:98], -v[63:64]
	s_delay_alu instid0(VALU_DEP_4) | instskip(NEXT) | instid1(VALU_DEP_4)
	v_add_f64_e32 v[6:7], v[6:7], v[59:60]
	v_add_f64_e32 v[2:3], v[2:3], v[8:9]
	s_delay_alu instid0(VALU_DEP_2) | instskip(NEXT) | instid1(VALU_DEP_2)
	v_add_f64_e32 v[8:9], v[6:7], v[10:11]
	v_add_f64_e32 v[2:3], v[2:3], v[53:54]
	s_delay_alu instid0(VALU_DEP_2) | instskip(NEXT) | instid1(VALU_DEP_2)
	v_add_f64_e64 v[8:9], v[91:92], -v[8:9]
	v_add_f64_e64 v[6:7], v[89:90], -v[2:3]
	scratch_store_b128 off, v[6:9], off offset:144
	v_cmpx_lt_u32_e32 7, v0
	s_cbranch_execz .LBB83_119
; %bb.118:
	scratch_load_b128 v[6:9], off, s5
	v_dual_mov_b32 v2, v1 :: v_dual_mov_b32 v3, v1
	v_mov_b32_e32 v4, v1
	scratch_store_b128 off, v[1:4], off offset:128
	s_wait_loadcnt 0x0
	ds_store_b128 v5, v[6:9]
.LBB83_119:
	s_wait_alu 0xfffe
	s_or_b32 exec_lo, exec_lo, s0
	s_wait_storecnt_dscnt 0x0
	s_barrier_signal -1
	s_barrier_wait -1
	global_inv scope:SCOPE_SE
	s_clause 0x8
	scratch_load_b128 v[6:9], off, off offset:144
	scratch_load_b128 v[53:56], off, off offset:160
	;; [unrolled: 1-line block ×9, first 2 shown]
	ds_load_b128 v[85:88], v1 offset:448
	ds_load_b128 v[89:92], v1 offset:464
	scratch_load_b128 v[93:96], off, off offset:128
	s_mov_b32 s0, exec_lo
	ds_load_b128 v[101:104], v1 offset:496
	s_wait_loadcnt_dscnt 0x902
	v_mul_f64_e32 v[2:3], v[87:88], v[8:9]
	v_mul_f64_e32 v[97:98], v[85:86], v[8:9]
	scratch_load_b128 v[8:11], off, off offset:288
	s_wait_loadcnt_dscnt 0x901
	v_mul_f64_e32 v[105:106], v[89:90], v[55:56]
	v_mul_f64_e32 v[55:56], v[91:92], v[55:56]
	v_fma_f64 v[2:3], v[85:86], v[6:7], -v[2:3]
	v_fma_f64 v[6:7], v[87:88], v[6:7], v[97:98]
	ds_load_b128 v[85:88], v1 offset:480
	scratch_load_b128 v[97:100], off, off offset:304
	v_fma_f64 v[91:92], v[91:92], v[53:54], v[105:106]
	v_fma_f64 v[89:90], v[89:90], v[53:54], -v[55:56]
	scratch_load_b128 v[53:56], off, off offset:320
	s_wait_loadcnt_dscnt 0x901
	v_mul_f64_e32 v[105:106], v[101:102], v[63:64]
	v_mul_f64_e32 v[63:64], v[103:104], v[63:64]
	s_wait_dscnt 0x0
	v_mul_f64_e32 v[107:108], v[85:86], v[59:60]
	v_mul_f64_e32 v[59:60], v[87:88], v[59:60]
	v_add_f64_e32 v[2:3], 0, v[2:3]
	v_add_f64_e32 v[6:7], 0, v[6:7]
	s_delay_alu instid0(VALU_DEP_4) | instskip(NEXT) | instid1(VALU_DEP_4)
	v_fma_f64 v[107:108], v[87:88], v[57:58], v[107:108]
	v_fma_f64 v[109:110], v[85:86], v[57:58], -v[59:60]
	ds_load_b128 v[57:60], v1 offset:512
	ds_load_b128 v[85:88], v1 offset:528
	v_add_f64_e32 v[2:3], v[2:3], v[89:90]
	v_add_f64_e32 v[6:7], v[6:7], v[91:92]
	v_fma_f64 v[91:92], v[103:104], v[61:62], v[105:106]
	v_fma_f64 v[61:62], v[101:102], v[61:62], -v[63:64]
	s_wait_loadcnt_dscnt 0x801
	v_mul_f64_e32 v[89:90], v[57:58], v[67:68]
	v_mul_f64_e32 v[67:68], v[59:60], v[67:68]
	s_wait_loadcnt_dscnt 0x700
	v_mul_f64_e32 v[101:102], v[85:86], v[71:72]
	v_mul_f64_e32 v[71:72], v[87:88], v[71:72]
	v_add_f64_e32 v[2:3], v[2:3], v[109:110]
	v_add_f64_e32 v[6:7], v[6:7], v[107:108]
	v_fma_f64 v[89:90], v[59:60], v[65:66], v[89:90]
	v_fma_f64 v[65:66], v[57:58], v[65:66], -v[67:68]
	v_fma_f64 v[87:88], v[87:88], v[69:70], v[101:102]
	v_fma_f64 v[69:70], v[85:86], v[69:70], -v[71:72]
	v_add_f64_e32 v[2:3], v[2:3], v[61:62]
	v_add_f64_e32 v[6:7], v[6:7], v[91:92]
	ds_load_b128 v[57:60], v1 offset:544
	ds_load_b128 v[61:64], v1 offset:560
	s_wait_loadcnt_dscnt 0x601
	v_mul_f64_e32 v[67:68], v[57:58], v[75:76]
	v_mul_f64_e32 v[75:76], v[59:60], v[75:76]
	s_wait_loadcnt_dscnt 0x500
	v_mul_f64_e32 v[71:72], v[61:62], v[79:80]
	v_mul_f64_e32 v[79:80], v[63:64], v[79:80]
	v_add_f64_e32 v[2:3], v[2:3], v[65:66]
	v_add_f64_e32 v[6:7], v[6:7], v[89:90]
	v_fma_f64 v[85:86], v[59:60], v[73:74], v[67:68]
	v_fma_f64 v[73:74], v[57:58], v[73:74], -v[75:76]
	ds_load_b128 v[57:60], v1 offset:576
	ds_load_b128 v[65:68], v1 offset:592
	v_fma_f64 v[63:64], v[63:64], v[77:78], v[71:72]
	v_fma_f64 v[61:62], v[61:62], v[77:78], -v[79:80]
	v_add_f64_e32 v[2:3], v[2:3], v[69:70]
	v_add_f64_e32 v[6:7], v[6:7], v[87:88]
	s_wait_loadcnt_dscnt 0x401
	v_mul_f64_e32 v[69:70], v[57:58], v[83:84]
	v_mul_f64_e32 v[75:76], v[59:60], v[83:84]
	s_delay_alu instid0(VALU_DEP_4) | instskip(NEXT) | instid1(VALU_DEP_4)
	v_add_f64_e32 v[2:3], v[2:3], v[73:74]
	v_add_f64_e32 v[6:7], v[6:7], v[85:86]
	s_delay_alu instid0(VALU_DEP_4) | instskip(NEXT) | instid1(VALU_DEP_4)
	v_fma_f64 v[69:70], v[59:60], v[81:82], v[69:70]
	v_fma_f64 v[73:74], v[57:58], v[81:82], -v[75:76]
	s_wait_loadcnt_dscnt 0x200
	v_mul_f64_e32 v[71:72], v[65:66], v[10:11]
	v_mul_f64_e32 v[10:11], v[67:68], v[10:11]
	v_add_f64_e32 v[61:62], v[2:3], v[61:62]
	v_add_f64_e32 v[6:7], v[6:7], v[63:64]
	ds_load_b128 v[57:60], v1 offset:608
	ds_load_b128 v[1:4], v1 offset:624
	v_fma_f64 v[67:68], v[67:68], v[8:9], v[71:72]
	v_fma_f64 v[8:9], v[65:66], v[8:9], -v[10:11]
	s_wait_loadcnt_dscnt 0x101
	v_mul_f64_e32 v[63:64], v[57:58], v[99:100]
	v_mul_f64_e32 v[75:76], v[59:60], v[99:100]
	v_add_f64_e32 v[10:11], v[61:62], v[73:74]
	v_add_f64_e32 v[6:7], v[6:7], v[69:70]
	s_wait_loadcnt_dscnt 0x0
	v_mul_f64_e32 v[61:62], v[1:2], v[55:56]
	v_mul_f64_e32 v[55:56], v[3:4], v[55:56]
	v_fma_f64 v[59:60], v[59:60], v[97:98], v[63:64]
	v_fma_f64 v[57:58], v[57:58], v[97:98], -v[75:76]
	v_add_f64_e32 v[8:9], v[10:11], v[8:9]
	v_add_f64_e32 v[6:7], v[6:7], v[67:68]
	v_fma_f64 v[3:4], v[3:4], v[53:54], v[61:62]
	v_fma_f64 v[1:2], v[1:2], v[53:54], -v[55:56]
	s_delay_alu instid0(VALU_DEP_4) | instskip(NEXT) | instid1(VALU_DEP_4)
	v_add_f64_e32 v[8:9], v[8:9], v[57:58]
	v_add_f64_e32 v[6:7], v[6:7], v[59:60]
	s_delay_alu instid0(VALU_DEP_2) | instskip(NEXT) | instid1(VALU_DEP_2)
	v_add_f64_e32 v[1:2], v[8:9], v[1:2]
	v_add_f64_e32 v[3:4], v[6:7], v[3:4]
	s_delay_alu instid0(VALU_DEP_2) | instskip(NEXT) | instid1(VALU_DEP_2)
	v_add_f64_e64 v[1:2], v[93:94], -v[1:2]
	v_add_f64_e64 v[3:4], v[95:96], -v[3:4]
	scratch_store_b128 off, v[1:4], off offset:128
	v_cmpx_lt_u32_e32 6, v0
	s_cbranch_execz .LBB83_121
; %bb.120:
	scratch_load_b128 v[1:4], off, s19
	v_mov_b32_e32 v6, 0
	s_delay_alu instid0(VALU_DEP_1)
	v_dual_mov_b32 v7, v6 :: v_dual_mov_b32 v8, v6
	v_mov_b32_e32 v9, v6
	scratch_store_b128 off, v[6:9], off offset:112
	s_wait_loadcnt 0x0
	ds_store_b128 v5, v[1:4]
.LBB83_121:
	s_wait_alu 0xfffe
	s_or_b32 exec_lo, exec_lo, s0
	s_wait_storecnt_dscnt 0x0
	s_barrier_signal -1
	s_barrier_wait -1
	global_inv scope:SCOPE_SE
	s_clause 0x7
	scratch_load_b128 v[6:9], off, off offset:128
	scratch_load_b128 v[53:56], off, off offset:144
	;; [unrolled: 1-line block ×8, first 2 shown]
	v_mov_b32_e32 v1, 0
	s_mov_b32 s0, exec_lo
	ds_load_b128 v[81:84], v1 offset:432
	s_clause 0x1
	scratch_load_b128 v[85:88], off, off offset:256
	scratch_load_b128 v[89:92], off, off offset:112
	ds_load_b128 v[93:96], v1 offset:448
	ds_load_b128 v[101:104], v1 offset:480
	s_wait_loadcnt_dscnt 0x902
	v_mul_f64_e32 v[2:3], v[83:84], v[8:9]
	v_mul_f64_e32 v[97:98], v[81:82], v[8:9]
	scratch_load_b128 v[8:11], off, off offset:272
	v_fma_f64 v[2:3], v[81:82], v[6:7], -v[2:3]
	v_fma_f64 v[6:7], v[83:84], v[6:7], v[97:98]
	ds_load_b128 v[81:84], v1 offset:464
	s_wait_loadcnt_dscnt 0x902
	v_mul_f64_e32 v[105:106], v[93:94], v[55:56]
	v_mul_f64_e32 v[55:56], v[95:96], v[55:56]
	scratch_load_b128 v[97:100], off, off offset:288
	s_wait_loadcnt_dscnt 0x900
	v_mul_f64_e32 v[107:108], v[81:82], v[59:60]
	v_mul_f64_e32 v[59:60], v[83:84], v[59:60]
	v_add_f64_e32 v[2:3], 0, v[2:3]
	v_add_f64_e32 v[6:7], 0, v[6:7]
	v_fma_f64 v[95:96], v[95:96], v[53:54], v[105:106]
	v_fma_f64 v[93:94], v[93:94], v[53:54], -v[55:56]
	scratch_load_b128 v[53:56], off, off offset:304
	v_fma_f64 v[107:108], v[83:84], v[57:58], v[107:108]
	v_fma_f64 v[109:110], v[81:82], v[57:58], -v[59:60]
	ds_load_b128 v[57:60], v1 offset:496
	s_wait_loadcnt 0x9
	v_mul_f64_e32 v[105:106], v[101:102], v[63:64]
	v_mul_f64_e32 v[63:64], v[103:104], v[63:64]
	scratch_load_b128 v[81:84], off, off offset:320
	v_add_f64_e32 v[6:7], v[6:7], v[95:96]
	v_add_f64_e32 v[2:3], v[2:3], v[93:94]
	ds_load_b128 v[93:96], v1 offset:512
	s_wait_loadcnt_dscnt 0x901
	v_mul_f64_e32 v[111:112], v[57:58], v[67:68]
	v_mul_f64_e32 v[67:68], v[59:60], v[67:68]
	v_fma_f64 v[103:104], v[103:104], v[61:62], v[105:106]
	v_fma_f64 v[61:62], v[101:102], v[61:62], -v[63:64]
	s_wait_loadcnt_dscnt 0x800
	v_mul_f64_e32 v[101:102], v[93:94], v[71:72]
	v_mul_f64_e32 v[71:72], v[95:96], v[71:72]
	v_add_f64_e32 v[6:7], v[6:7], v[107:108]
	v_add_f64_e32 v[2:3], v[2:3], v[109:110]
	v_fma_f64 v[105:106], v[59:60], v[65:66], v[111:112]
	v_fma_f64 v[65:66], v[57:58], v[65:66], -v[67:68]
	v_fma_f64 v[95:96], v[95:96], v[69:70], v[101:102]
	v_fma_f64 v[69:70], v[93:94], v[69:70], -v[71:72]
	v_add_f64_e32 v[6:7], v[6:7], v[103:104]
	v_add_f64_e32 v[2:3], v[2:3], v[61:62]
	ds_load_b128 v[57:60], v1 offset:528
	ds_load_b128 v[61:64], v1 offset:544
	s_wait_loadcnt_dscnt 0x701
	v_mul_f64_e32 v[67:68], v[57:58], v[75:76]
	v_mul_f64_e32 v[75:76], v[59:60], v[75:76]
	s_wait_loadcnt_dscnt 0x600
	v_mul_f64_e32 v[71:72], v[61:62], v[79:80]
	v_mul_f64_e32 v[79:80], v[63:64], v[79:80]
	v_add_f64_e32 v[6:7], v[6:7], v[105:106]
	v_add_f64_e32 v[2:3], v[2:3], v[65:66]
	v_fma_f64 v[93:94], v[59:60], v[73:74], v[67:68]
	v_fma_f64 v[73:74], v[57:58], v[73:74], -v[75:76]
	ds_load_b128 v[57:60], v1 offset:560
	ds_load_b128 v[65:68], v1 offset:576
	v_fma_f64 v[63:64], v[63:64], v[77:78], v[71:72]
	v_fma_f64 v[61:62], v[61:62], v[77:78], -v[79:80]
	v_add_f64_e32 v[6:7], v[6:7], v[95:96]
	v_add_f64_e32 v[2:3], v[2:3], v[69:70]
	s_wait_loadcnt_dscnt 0x501
	v_mul_f64_e32 v[69:70], v[57:58], v[87:88]
	v_mul_f64_e32 v[75:76], v[59:60], v[87:88]
	s_delay_alu instid0(VALU_DEP_4) | instskip(NEXT) | instid1(VALU_DEP_4)
	v_add_f64_e32 v[6:7], v[6:7], v[93:94]
	v_add_f64_e32 v[2:3], v[2:3], v[73:74]
	s_delay_alu instid0(VALU_DEP_4) | instskip(NEXT) | instid1(VALU_DEP_4)
	v_fma_f64 v[69:70], v[59:60], v[85:86], v[69:70]
	v_fma_f64 v[73:74], v[57:58], v[85:86], -v[75:76]
	s_wait_loadcnt_dscnt 0x300
	v_mul_f64_e32 v[71:72], v[65:66], v[10:11]
	v_mul_f64_e32 v[10:11], v[67:68], v[10:11]
	v_add_f64_e32 v[6:7], v[6:7], v[63:64]
	v_add_f64_e32 v[2:3], v[2:3], v[61:62]
	ds_load_b128 v[57:60], v1 offset:592
	ds_load_b128 v[61:64], v1 offset:608
	v_fma_f64 v[67:68], v[67:68], v[8:9], v[71:72]
	v_fma_f64 v[8:9], v[65:66], v[8:9], -v[10:11]
	s_wait_loadcnt_dscnt 0x201
	v_mul_f64_e32 v[75:76], v[57:58], v[99:100]
	v_mul_f64_e32 v[77:78], v[59:60], v[99:100]
	v_add_f64_e32 v[6:7], v[6:7], v[69:70]
	v_add_f64_e32 v[2:3], v[2:3], v[73:74]
	s_wait_loadcnt_dscnt 0x100
	v_mul_f64_e32 v[10:11], v[61:62], v[55:56]
	v_mul_f64_e32 v[55:56], v[63:64], v[55:56]
	v_fma_f64 v[59:60], v[59:60], v[97:98], v[75:76]
	v_fma_f64 v[57:58], v[57:58], v[97:98], -v[77:78]
	v_add_f64_e32 v[65:66], v[6:7], v[67:68]
	v_add_f64_e32 v[2:3], v[2:3], v[8:9]
	ds_load_b128 v[6:9], v1 offset:624
	v_fma_f64 v[10:11], v[63:64], v[53:54], v[10:11]
	v_fma_f64 v[53:54], v[61:62], v[53:54], -v[55:56]
	s_wait_loadcnt_dscnt 0x0
	v_mul_f64_e32 v[67:68], v[6:7], v[83:84]
	v_mul_f64_e32 v[69:70], v[8:9], v[83:84]
	v_add_f64_e32 v[55:56], v[65:66], v[59:60]
	v_add_f64_e32 v[2:3], v[2:3], v[57:58]
	s_delay_alu instid0(VALU_DEP_4) | instskip(NEXT) | instid1(VALU_DEP_4)
	v_fma_f64 v[8:9], v[8:9], v[81:82], v[67:68]
	v_fma_f64 v[6:7], v[6:7], v[81:82], -v[69:70]
	s_delay_alu instid0(VALU_DEP_4) | instskip(NEXT) | instid1(VALU_DEP_4)
	v_add_f64_e32 v[10:11], v[55:56], v[10:11]
	v_add_f64_e32 v[2:3], v[2:3], v[53:54]
	s_delay_alu instid0(VALU_DEP_2) | instskip(NEXT) | instid1(VALU_DEP_2)
	v_add_f64_e32 v[8:9], v[10:11], v[8:9]
	v_add_f64_e32 v[2:3], v[2:3], v[6:7]
	s_delay_alu instid0(VALU_DEP_2) | instskip(NEXT) | instid1(VALU_DEP_2)
	v_add_f64_e64 v[8:9], v[91:92], -v[8:9]
	v_add_f64_e64 v[6:7], v[89:90], -v[2:3]
	scratch_store_b128 off, v[6:9], off offset:112
	v_cmpx_lt_u32_e32 5, v0
	s_cbranch_execz .LBB83_123
; %bb.122:
	scratch_load_b128 v[6:9], off, s4
	v_dual_mov_b32 v2, v1 :: v_dual_mov_b32 v3, v1
	v_mov_b32_e32 v4, v1
	scratch_store_b128 off, v[1:4], off offset:96
	s_wait_loadcnt 0x0
	ds_store_b128 v5, v[6:9]
.LBB83_123:
	s_wait_alu 0xfffe
	s_or_b32 exec_lo, exec_lo, s0
	s_wait_storecnt_dscnt 0x0
	s_barrier_signal -1
	s_barrier_wait -1
	global_inv scope:SCOPE_SE
	s_clause 0x8
	scratch_load_b128 v[6:9], off, off offset:112
	scratch_load_b128 v[53:56], off, off offset:128
	;; [unrolled: 1-line block ×9, first 2 shown]
	ds_load_b128 v[85:88], v1 offset:416
	ds_load_b128 v[89:92], v1 offset:432
	scratch_load_b128 v[93:96], off, off offset:96
	s_mov_b32 s0, exec_lo
	ds_load_b128 v[101:104], v1 offset:464
	s_wait_loadcnt_dscnt 0x902
	v_mul_f64_e32 v[2:3], v[87:88], v[8:9]
	v_mul_f64_e32 v[97:98], v[85:86], v[8:9]
	scratch_load_b128 v[8:11], off, off offset:256
	s_wait_loadcnt_dscnt 0x901
	v_mul_f64_e32 v[105:106], v[89:90], v[55:56]
	v_mul_f64_e32 v[55:56], v[91:92], v[55:56]
	v_fma_f64 v[2:3], v[85:86], v[6:7], -v[2:3]
	v_fma_f64 v[6:7], v[87:88], v[6:7], v[97:98]
	ds_load_b128 v[85:88], v1 offset:448
	scratch_load_b128 v[97:100], off, off offset:272
	v_fma_f64 v[91:92], v[91:92], v[53:54], v[105:106]
	v_fma_f64 v[89:90], v[89:90], v[53:54], -v[55:56]
	scratch_load_b128 v[53:56], off, off offset:288
	s_wait_loadcnt_dscnt 0x901
	v_mul_f64_e32 v[105:106], v[101:102], v[63:64]
	v_mul_f64_e32 v[63:64], v[103:104], v[63:64]
	s_wait_dscnt 0x0
	v_mul_f64_e32 v[107:108], v[85:86], v[59:60]
	v_mul_f64_e32 v[59:60], v[87:88], v[59:60]
	v_add_f64_e32 v[2:3], 0, v[2:3]
	v_add_f64_e32 v[6:7], 0, v[6:7]
	v_fma_f64 v[103:104], v[103:104], v[61:62], v[105:106]
	v_fma_f64 v[101:102], v[101:102], v[61:62], -v[63:64]
	scratch_load_b128 v[61:64], off, off offset:320
	v_fma_f64 v[107:108], v[87:88], v[57:58], v[107:108]
	v_fma_f64 v[109:110], v[85:86], v[57:58], -v[59:60]
	ds_load_b128 v[57:60], v1 offset:480
	scratch_load_b128 v[85:88], off, off offset:304
	v_add_f64_e32 v[2:3], v[2:3], v[89:90]
	v_add_f64_e32 v[6:7], v[6:7], v[91:92]
	ds_load_b128 v[89:92], v1 offset:496
	s_wait_loadcnt_dscnt 0xa01
	v_mul_f64_e32 v[111:112], v[57:58], v[67:68]
	v_mul_f64_e32 v[67:68], v[59:60], v[67:68]
	s_wait_loadcnt_dscnt 0x900
	v_mul_f64_e32 v[105:106], v[89:90], v[71:72]
	v_mul_f64_e32 v[71:72], v[91:92], v[71:72]
	v_add_f64_e32 v[2:3], v[2:3], v[109:110]
	v_add_f64_e32 v[6:7], v[6:7], v[107:108]
	v_fma_f64 v[107:108], v[59:60], v[65:66], v[111:112]
	v_fma_f64 v[109:110], v[57:58], v[65:66], -v[67:68]
	ds_load_b128 v[57:60], v1 offset:512
	ds_load_b128 v[65:68], v1 offset:528
	v_fma_f64 v[91:92], v[91:92], v[69:70], v[105:106]
	v_fma_f64 v[69:70], v[89:90], v[69:70], -v[71:72]
	s_wait_loadcnt_dscnt 0x700
	v_mul_f64_e32 v[89:90], v[65:66], v[79:80]
	v_mul_f64_e32 v[79:80], v[67:68], v[79:80]
	v_add_f64_e32 v[2:3], v[2:3], v[101:102]
	v_add_f64_e32 v[6:7], v[6:7], v[103:104]
	v_mul_f64_e32 v[101:102], v[57:58], v[75:76]
	v_mul_f64_e32 v[75:76], v[59:60], v[75:76]
	v_fma_f64 v[67:68], v[67:68], v[77:78], v[89:90]
	v_fma_f64 v[65:66], v[65:66], v[77:78], -v[79:80]
	v_add_f64_e32 v[2:3], v[2:3], v[109:110]
	v_add_f64_e32 v[6:7], v[6:7], v[107:108]
	v_fma_f64 v[101:102], v[59:60], v[73:74], v[101:102]
	v_fma_f64 v[73:74], v[57:58], v[73:74], -v[75:76]
	s_delay_alu instid0(VALU_DEP_4) | instskip(NEXT) | instid1(VALU_DEP_4)
	v_add_f64_e32 v[2:3], v[2:3], v[69:70]
	v_add_f64_e32 v[6:7], v[6:7], v[91:92]
	ds_load_b128 v[57:60], v1 offset:544
	ds_load_b128 v[69:72], v1 offset:560
	s_wait_loadcnt_dscnt 0x601
	v_mul_f64_e32 v[75:76], v[57:58], v[83:84]
	v_mul_f64_e32 v[83:84], v[59:60], v[83:84]
	v_add_f64_e32 v[2:3], v[2:3], v[73:74]
	v_add_f64_e32 v[6:7], v[6:7], v[101:102]
	s_wait_loadcnt_dscnt 0x400
	v_mul_f64_e32 v[73:74], v[69:70], v[10:11]
	v_mul_f64_e32 v[10:11], v[71:72], v[10:11]
	v_fma_f64 v[75:76], v[59:60], v[81:82], v[75:76]
	v_fma_f64 v[77:78], v[57:58], v[81:82], -v[83:84]
	v_add_f64_e32 v[2:3], v[2:3], v[65:66]
	v_add_f64_e32 v[6:7], v[6:7], v[67:68]
	ds_load_b128 v[57:60], v1 offset:576
	ds_load_b128 v[65:68], v1 offset:592
	v_fma_f64 v[71:72], v[71:72], v[8:9], v[73:74]
	v_fma_f64 v[8:9], v[69:70], v[8:9], -v[10:11]
	s_wait_loadcnt_dscnt 0x301
	v_mul_f64_e32 v[79:80], v[57:58], v[99:100]
	v_mul_f64_e32 v[81:82], v[59:60], v[99:100]
	s_wait_loadcnt_dscnt 0x200
	v_mul_f64_e32 v[10:11], v[65:66], v[55:56]
	v_mul_f64_e32 v[55:56], v[67:68], v[55:56]
	v_add_f64_e32 v[2:3], v[2:3], v[77:78]
	v_add_f64_e32 v[6:7], v[6:7], v[75:76]
	v_fma_f64 v[59:60], v[59:60], v[97:98], v[79:80]
	v_fma_f64 v[57:58], v[57:58], v[97:98], -v[81:82]
	v_fma_f64 v[10:11], v[67:68], v[53:54], v[10:11]
	v_fma_f64 v[53:54], v[65:66], v[53:54], -v[55:56]
	v_add_f64_e32 v[69:70], v[2:3], v[8:9]
	v_add_f64_e32 v[71:72], v[6:7], v[71:72]
	ds_load_b128 v[6:9], v1 offset:608
	ds_load_b128 v[1:4], v1 offset:624
	s_wait_loadcnt_dscnt 0x1
	v_mul_f64_e32 v[73:74], v[6:7], v[87:88]
	v_mul_f64_e32 v[75:76], v[8:9], v[87:88]
	v_add_f64_e32 v[55:56], v[69:70], v[57:58]
	v_add_f64_e32 v[57:58], v[71:72], v[59:60]
	s_wait_dscnt 0x0
	v_mul_f64_e32 v[59:60], v[1:2], v[63:64]
	v_mul_f64_e32 v[63:64], v[3:4], v[63:64]
	v_fma_f64 v[8:9], v[8:9], v[85:86], v[73:74]
	v_fma_f64 v[6:7], v[6:7], v[85:86], -v[75:76]
	v_add_f64_e32 v[53:54], v[55:56], v[53:54]
	v_add_f64_e32 v[10:11], v[57:58], v[10:11]
	v_fma_f64 v[3:4], v[3:4], v[61:62], v[59:60]
	v_fma_f64 v[1:2], v[1:2], v[61:62], -v[63:64]
	s_delay_alu instid0(VALU_DEP_4) | instskip(NEXT) | instid1(VALU_DEP_4)
	v_add_f64_e32 v[6:7], v[53:54], v[6:7]
	v_add_f64_e32 v[8:9], v[10:11], v[8:9]
	s_delay_alu instid0(VALU_DEP_2) | instskip(NEXT) | instid1(VALU_DEP_2)
	v_add_f64_e32 v[1:2], v[6:7], v[1:2]
	v_add_f64_e32 v[3:4], v[8:9], v[3:4]
	s_delay_alu instid0(VALU_DEP_2) | instskip(NEXT) | instid1(VALU_DEP_2)
	v_add_f64_e64 v[1:2], v[93:94], -v[1:2]
	v_add_f64_e64 v[3:4], v[95:96], -v[3:4]
	scratch_store_b128 off, v[1:4], off offset:96
	v_cmpx_lt_u32_e32 4, v0
	s_cbranch_execz .LBB83_125
; %bb.124:
	scratch_load_b128 v[1:4], off, s18
	v_mov_b32_e32 v6, 0
	s_delay_alu instid0(VALU_DEP_1)
	v_dual_mov_b32 v7, v6 :: v_dual_mov_b32 v8, v6
	v_mov_b32_e32 v9, v6
	scratch_store_b128 off, v[6:9], off offset:80
	s_wait_loadcnt 0x0
	ds_store_b128 v5, v[1:4]
.LBB83_125:
	s_wait_alu 0xfffe
	s_or_b32 exec_lo, exec_lo, s0
	s_wait_storecnt_dscnt 0x0
	s_barrier_signal -1
	s_barrier_wait -1
	global_inv scope:SCOPE_SE
	s_clause 0x7
	scratch_load_b128 v[6:9], off, off offset:96
	scratch_load_b128 v[53:56], off, off offset:112
	;; [unrolled: 1-line block ×8, first 2 shown]
	v_mov_b32_e32 v1, 0
	s_mov_b32 s0, exec_lo
	ds_load_b128 v[81:84], v1 offset:400
	s_clause 0x1
	scratch_load_b128 v[85:88], off, off offset:224
	scratch_load_b128 v[89:92], off, off offset:80
	ds_load_b128 v[93:96], v1 offset:416
	ds_load_b128 v[101:104], v1 offset:448
	s_wait_loadcnt_dscnt 0x902
	v_mul_f64_e32 v[2:3], v[83:84], v[8:9]
	v_mul_f64_e32 v[97:98], v[81:82], v[8:9]
	scratch_load_b128 v[8:11], off, off offset:240
	v_fma_f64 v[2:3], v[81:82], v[6:7], -v[2:3]
	v_fma_f64 v[6:7], v[83:84], v[6:7], v[97:98]
	ds_load_b128 v[81:84], v1 offset:432
	s_wait_loadcnt_dscnt 0x902
	v_mul_f64_e32 v[105:106], v[93:94], v[55:56]
	v_mul_f64_e32 v[55:56], v[95:96], v[55:56]
	scratch_load_b128 v[97:100], off, off offset:256
	s_wait_loadcnt_dscnt 0x900
	v_mul_f64_e32 v[107:108], v[81:82], v[59:60]
	v_mul_f64_e32 v[59:60], v[83:84], v[59:60]
	v_add_f64_e32 v[2:3], 0, v[2:3]
	v_add_f64_e32 v[6:7], 0, v[6:7]
	v_fma_f64 v[95:96], v[95:96], v[53:54], v[105:106]
	v_fma_f64 v[93:94], v[93:94], v[53:54], -v[55:56]
	scratch_load_b128 v[53:56], off, off offset:272
	v_fma_f64 v[107:108], v[83:84], v[57:58], v[107:108]
	v_fma_f64 v[109:110], v[81:82], v[57:58], -v[59:60]
	ds_load_b128 v[57:60], v1 offset:464
	s_wait_loadcnt 0x9
	v_mul_f64_e32 v[105:106], v[101:102], v[63:64]
	v_mul_f64_e32 v[63:64], v[103:104], v[63:64]
	scratch_load_b128 v[81:84], off, off offset:288
	v_add_f64_e32 v[6:7], v[6:7], v[95:96]
	v_add_f64_e32 v[2:3], v[2:3], v[93:94]
	ds_load_b128 v[93:96], v1 offset:480
	s_wait_loadcnt_dscnt 0x901
	v_mul_f64_e32 v[111:112], v[57:58], v[67:68]
	v_mul_f64_e32 v[67:68], v[59:60], v[67:68]
	v_fma_f64 v[103:104], v[103:104], v[61:62], v[105:106]
	v_fma_f64 v[101:102], v[101:102], v[61:62], -v[63:64]
	scratch_load_b128 v[61:64], off, off offset:304
	v_add_f64_e32 v[6:7], v[6:7], v[107:108]
	v_add_f64_e32 v[2:3], v[2:3], v[109:110]
	v_fma_f64 v[107:108], v[59:60], v[65:66], v[111:112]
	v_fma_f64 v[109:110], v[57:58], v[65:66], -v[67:68]
	ds_load_b128 v[57:60], v1 offset:496
	s_wait_loadcnt_dscnt 0x901
	v_mul_f64_e32 v[105:106], v[93:94], v[71:72]
	v_mul_f64_e32 v[71:72], v[95:96], v[71:72]
	scratch_load_b128 v[65:68], off, off offset:320
	s_wait_loadcnt_dscnt 0x900
	v_mul_f64_e32 v[111:112], v[57:58], v[75:76]
	v_mul_f64_e32 v[75:76], v[59:60], v[75:76]
	v_add_f64_e32 v[6:7], v[6:7], v[103:104]
	v_add_f64_e32 v[2:3], v[2:3], v[101:102]
	ds_load_b128 v[101:104], v1 offset:512
	v_fma_f64 v[95:96], v[95:96], v[69:70], v[105:106]
	v_fma_f64 v[69:70], v[93:94], v[69:70], -v[71:72]
	s_wait_loadcnt_dscnt 0x800
	v_mul_f64_e32 v[93:94], v[101:102], v[79:80]
	v_mul_f64_e32 v[79:80], v[103:104], v[79:80]
	v_fma_f64 v[105:106], v[59:60], v[73:74], v[111:112]
	v_fma_f64 v[73:74], v[57:58], v[73:74], -v[75:76]
	v_add_f64_e32 v[6:7], v[6:7], v[107:108]
	v_add_f64_e32 v[2:3], v[2:3], v[109:110]
	v_fma_f64 v[93:94], v[103:104], v[77:78], v[93:94]
	v_fma_f64 v[77:78], v[101:102], v[77:78], -v[79:80]
	s_delay_alu instid0(VALU_DEP_4) | instskip(NEXT) | instid1(VALU_DEP_4)
	v_add_f64_e32 v[6:7], v[6:7], v[95:96]
	v_add_f64_e32 v[2:3], v[2:3], v[69:70]
	ds_load_b128 v[57:60], v1 offset:528
	ds_load_b128 v[69:72], v1 offset:544
	s_wait_loadcnt_dscnt 0x701
	v_mul_f64_e32 v[75:76], v[57:58], v[87:88]
	v_mul_f64_e32 v[87:88], v[59:60], v[87:88]
	v_add_f64_e32 v[6:7], v[6:7], v[105:106]
	v_add_f64_e32 v[2:3], v[2:3], v[73:74]
	s_wait_loadcnt_dscnt 0x500
	v_mul_f64_e32 v[79:80], v[69:70], v[10:11]
	v_mul_f64_e32 v[10:11], v[71:72], v[10:11]
	v_fma_f64 v[95:96], v[59:60], v[85:86], v[75:76]
	v_fma_f64 v[85:86], v[57:58], v[85:86], -v[87:88]
	ds_load_b128 v[57:60], v1 offset:560
	ds_load_b128 v[73:76], v1 offset:576
	v_add_f64_e32 v[6:7], v[6:7], v[93:94]
	v_add_f64_e32 v[2:3], v[2:3], v[77:78]
	v_fma_f64 v[71:72], v[71:72], v[8:9], v[79:80]
	v_fma_f64 v[8:9], v[69:70], v[8:9], -v[10:11]
	s_wait_loadcnt_dscnt 0x401
	v_mul_f64_e32 v[77:78], v[57:58], v[99:100]
	v_mul_f64_e32 v[87:88], v[59:60], v[99:100]
	v_add_f64_e32 v[6:7], v[6:7], v[95:96]
	v_add_f64_e32 v[2:3], v[2:3], v[85:86]
	s_wait_loadcnt_dscnt 0x300
	v_mul_f64_e32 v[10:11], v[73:74], v[55:56]
	v_mul_f64_e32 v[69:70], v[75:76], v[55:56]
	v_fma_f64 v[59:60], v[59:60], v[97:98], v[77:78]
	v_fma_f64 v[77:78], v[57:58], v[97:98], -v[87:88]
	v_add_f64_e32 v[71:72], v[6:7], v[71:72]
	v_add_f64_e32 v[2:3], v[2:3], v[8:9]
	ds_load_b128 v[6:9], v1 offset:592
	ds_load_b128 v[55:58], v1 offset:608
	v_fma_f64 v[10:11], v[75:76], v[53:54], v[10:11]
	v_fma_f64 v[53:54], v[73:74], v[53:54], -v[69:70]
	s_wait_loadcnt_dscnt 0x201
	v_mul_f64_e32 v[79:80], v[6:7], v[83:84]
	v_mul_f64_e32 v[83:84], v[8:9], v[83:84]
	v_add_f64_e32 v[59:60], v[71:72], v[59:60]
	v_add_f64_e32 v[2:3], v[2:3], v[77:78]
	s_wait_loadcnt_dscnt 0x100
	v_mul_f64_e32 v[69:70], v[55:56], v[63:64]
	v_mul_f64_e32 v[63:64], v[57:58], v[63:64]
	v_fma_f64 v[71:72], v[8:9], v[81:82], v[79:80]
	v_fma_f64 v[73:74], v[6:7], v[81:82], -v[83:84]
	ds_load_b128 v[6:9], v1 offset:624
	v_add_f64_e32 v[10:11], v[59:60], v[10:11]
	v_add_f64_e32 v[2:3], v[2:3], v[53:54]
	v_fma_f64 v[57:58], v[57:58], v[61:62], v[69:70]
	v_fma_f64 v[55:56], v[55:56], v[61:62], -v[63:64]
	s_wait_loadcnt_dscnt 0x0
	v_mul_f64_e32 v[53:54], v[6:7], v[67:68]
	v_mul_f64_e32 v[59:60], v[8:9], v[67:68]
	v_add_f64_e32 v[10:11], v[10:11], v[71:72]
	v_add_f64_e32 v[2:3], v[2:3], v[73:74]
	s_delay_alu instid0(VALU_DEP_4) | instskip(NEXT) | instid1(VALU_DEP_4)
	v_fma_f64 v[8:9], v[8:9], v[65:66], v[53:54]
	v_fma_f64 v[6:7], v[6:7], v[65:66], -v[59:60]
	s_delay_alu instid0(VALU_DEP_4) | instskip(NEXT) | instid1(VALU_DEP_4)
	v_add_f64_e32 v[10:11], v[10:11], v[57:58]
	v_add_f64_e32 v[2:3], v[2:3], v[55:56]
	s_delay_alu instid0(VALU_DEP_2) | instskip(NEXT) | instid1(VALU_DEP_2)
	v_add_f64_e32 v[8:9], v[10:11], v[8:9]
	v_add_f64_e32 v[2:3], v[2:3], v[6:7]
	s_delay_alu instid0(VALU_DEP_2) | instskip(NEXT) | instid1(VALU_DEP_2)
	v_add_f64_e64 v[8:9], v[91:92], -v[8:9]
	v_add_f64_e64 v[6:7], v[89:90], -v[2:3]
	scratch_store_b128 off, v[6:9], off offset:80
	v_cmpx_lt_u32_e32 3, v0
	s_cbranch_execz .LBB83_127
; %bb.126:
	scratch_load_b128 v[6:9], off, s17
	v_dual_mov_b32 v2, v1 :: v_dual_mov_b32 v3, v1
	v_mov_b32_e32 v4, v1
	scratch_store_b128 off, v[1:4], off offset:64
	s_wait_loadcnt 0x0
	ds_store_b128 v5, v[6:9]
.LBB83_127:
	s_wait_alu 0xfffe
	s_or_b32 exec_lo, exec_lo, s0
	s_wait_storecnt_dscnt 0x0
	s_barrier_signal -1
	s_barrier_wait -1
	global_inv scope:SCOPE_SE
	s_clause 0x8
	scratch_load_b128 v[6:9], off, off offset:80
	scratch_load_b128 v[53:56], off, off offset:96
	;; [unrolled: 1-line block ×9, first 2 shown]
	ds_load_b128 v[85:88], v1 offset:384
	ds_load_b128 v[89:92], v1 offset:400
	scratch_load_b128 v[93:96], off, off offset:64
	s_mov_b32 s0, exec_lo
	ds_load_b128 v[101:104], v1 offset:432
	s_wait_loadcnt_dscnt 0x902
	v_mul_f64_e32 v[2:3], v[87:88], v[8:9]
	v_mul_f64_e32 v[97:98], v[85:86], v[8:9]
	scratch_load_b128 v[8:11], off, off offset:224
	s_wait_loadcnt_dscnt 0x901
	v_mul_f64_e32 v[105:106], v[89:90], v[55:56]
	v_mul_f64_e32 v[55:56], v[91:92], v[55:56]
	v_fma_f64 v[2:3], v[85:86], v[6:7], -v[2:3]
	v_fma_f64 v[6:7], v[87:88], v[6:7], v[97:98]
	ds_load_b128 v[85:88], v1 offset:416
	scratch_load_b128 v[97:100], off, off offset:240
	v_fma_f64 v[91:92], v[91:92], v[53:54], v[105:106]
	v_fma_f64 v[89:90], v[89:90], v[53:54], -v[55:56]
	scratch_load_b128 v[53:56], off, off offset:256
	s_wait_loadcnt_dscnt 0x901
	v_mul_f64_e32 v[105:106], v[101:102], v[63:64]
	v_mul_f64_e32 v[63:64], v[103:104], v[63:64]
	s_wait_dscnt 0x0
	v_mul_f64_e32 v[107:108], v[85:86], v[59:60]
	v_mul_f64_e32 v[59:60], v[87:88], v[59:60]
	v_add_f64_e32 v[2:3], 0, v[2:3]
	v_add_f64_e32 v[6:7], 0, v[6:7]
	v_fma_f64 v[103:104], v[103:104], v[61:62], v[105:106]
	v_fma_f64 v[101:102], v[101:102], v[61:62], -v[63:64]
	scratch_load_b128 v[61:64], off, off offset:288
	v_fma_f64 v[107:108], v[87:88], v[57:58], v[107:108]
	v_fma_f64 v[109:110], v[85:86], v[57:58], -v[59:60]
	ds_load_b128 v[57:60], v1 offset:448
	scratch_load_b128 v[85:88], off, off offset:272
	v_add_f64_e32 v[2:3], v[2:3], v[89:90]
	v_add_f64_e32 v[6:7], v[6:7], v[91:92]
	ds_load_b128 v[89:92], v1 offset:464
	s_wait_loadcnt_dscnt 0xa01
	v_mul_f64_e32 v[111:112], v[57:58], v[67:68]
	v_mul_f64_e32 v[67:68], v[59:60], v[67:68]
	s_wait_loadcnt_dscnt 0x900
	v_mul_f64_e32 v[105:106], v[89:90], v[71:72]
	v_mul_f64_e32 v[71:72], v[91:92], v[71:72]
	v_add_f64_e32 v[2:3], v[2:3], v[109:110]
	v_add_f64_e32 v[6:7], v[6:7], v[107:108]
	v_fma_f64 v[107:108], v[59:60], v[65:66], v[111:112]
	v_fma_f64 v[109:110], v[57:58], v[65:66], -v[67:68]
	ds_load_b128 v[57:60], v1 offset:480
	scratch_load_b128 v[65:68], off, off offset:304
	v_fma_f64 v[91:92], v[91:92], v[69:70], v[105:106]
	v_fma_f64 v[89:90], v[89:90], v[69:70], -v[71:72]
	scratch_load_b128 v[69:72], off, off offset:320
	v_add_f64_e32 v[2:3], v[2:3], v[101:102]
	v_add_f64_e32 v[6:7], v[6:7], v[103:104]
	ds_load_b128 v[101:104], v1 offset:496
	s_wait_loadcnt_dscnt 0xa01
	v_mul_f64_e32 v[111:112], v[57:58], v[75:76]
	v_mul_f64_e32 v[75:76], v[59:60], v[75:76]
	s_wait_loadcnt_dscnt 0x900
	v_mul_f64_e32 v[105:106], v[101:102], v[79:80]
	v_mul_f64_e32 v[79:80], v[103:104], v[79:80]
	v_add_f64_e32 v[2:3], v[2:3], v[109:110]
	v_add_f64_e32 v[6:7], v[6:7], v[107:108]
	v_fma_f64 v[107:108], v[59:60], v[73:74], v[111:112]
	v_fma_f64 v[109:110], v[57:58], v[73:74], -v[75:76]
	ds_load_b128 v[57:60], v1 offset:512
	ds_load_b128 v[73:76], v1 offset:528
	v_add_f64_e32 v[2:3], v[2:3], v[89:90]
	v_add_f64_e32 v[6:7], v[6:7], v[91:92]
	s_wait_loadcnt_dscnt 0x801
	v_mul_f64_e32 v[89:90], v[57:58], v[83:84]
	v_mul_f64_e32 v[83:84], v[59:60], v[83:84]
	v_fma_f64 v[91:92], v[103:104], v[77:78], v[105:106]
	v_fma_f64 v[77:78], v[101:102], v[77:78], -v[79:80]
	v_add_f64_e32 v[2:3], v[2:3], v[109:110]
	v_add_f64_e32 v[6:7], v[6:7], v[107:108]
	v_fma_f64 v[89:90], v[59:60], v[81:82], v[89:90]
	v_fma_f64 v[81:82], v[57:58], v[81:82], -v[83:84]
	s_wait_loadcnt_dscnt 0x600
	v_mul_f64_e32 v[101:102], v[73:74], v[10:11]
	v_mul_f64_e32 v[10:11], v[75:76], v[10:11]
	v_add_f64_e32 v[2:3], v[2:3], v[77:78]
	v_add_f64_e32 v[6:7], v[6:7], v[91:92]
	ds_load_b128 v[57:60], v1 offset:544
	ds_load_b128 v[77:80], v1 offset:560
	v_fma_f64 v[75:76], v[75:76], v[8:9], v[101:102]
	v_fma_f64 v[8:9], v[73:74], v[8:9], -v[10:11]
	s_wait_loadcnt_dscnt 0x501
	v_mul_f64_e32 v[83:84], v[57:58], v[99:100]
	v_mul_f64_e32 v[91:92], v[59:60], v[99:100]
	s_wait_loadcnt_dscnt 0x400
	v_mul_f64_e32 v[10:11], v[77:78], v[55:56]
	v_mul_f64_e32 v[73:74], v[79:80], v[55:56]
	v_add_f64_e32 v[2:3], v[2:3], v[81:82]
	v_add_f64_e32 v[6:7], v[6:7], v[89:90]
	v_fma_f64 v[59:60], v[59:60], v[97:98], v[83:84]
	v_fma_f64 v[81:82], v[57:58], v[97:98], -v[91:92]
	v_fma_f64 v[10:11], v[79:80], v[53:54], v[10:11]
	v_fma_f64 v[53:54], v[77:78], v[53:54], -v[73:74]
	v_add_f64_e32 v[2:3], v[2:3], v[8:9]
	v_add_f64_e32 v[75:76], v[6:7], v[75:76]
	ds_load_b128 v[6:9], v1 offset:576
	ds_load_b128 v[55:58], v1 offset:592
	s_wait_loadcnt_dscnt 0x201
	v_mul_f64_e32 v[83:84], v[6:7], v[87:88]
	v_mul_f64_e32 v[87:88], v[8:9], v[87:88]
	s_wait_dscnt 0x0
	v_mul_f64_e32 v[73:74], v[55:56], v[63:64]
	v_mul_f64_e32 v[63:64], v[57:58], v[63:64]
	v_add_f64_e32 v[2:3], v[2:3], v[81:82]
	v_add_f64_e32 v[59:60], v[75:76], v[59:60]
	v_fma_f64 v[75:76], v[8:9], v[85:86], v[83:84]
	v_fma_f64 v[77:78], v[6:7], v[85:86], -v[87:88]
	v_fma_f64 v[57:58], v[57:58], v[61:62], v[73:74]
	v_fma_f64 v[55:56], v[55:56], v[61:62], -v[63:64]
	v_add_f64_e32 v[53:54], v[2:3], v[53:54]
	v_add_f64_e32 v[10:11], v[59:60], v[10:11]
	ds_load_b128 v[6:9], v1 offset:608
	ds_load_b128 v[1:4], v1 offset:624
	s_wait_loadcnt_dscnt 0x101
	v_mul_f64_e32 v[59:60], v[6:7], v[67:68]
	v_mul_f64_e32 v[67:68], v[8:9], v[67:68]
	s_wait_loadcnt_dscnt 0x0
	v_mul_f64_e32 v[61:62], v[1:2], v[71:72]
	v_mul_f64_e32 v[63:64], v[3:4], v[71:72]
	v_add_f64_e32 v[53:54], v[53:54], v[77:78]
	v_add_f64_e32 v[10:11], v[10:11], v[75:76]
	v_fma_f64 v[8:9], v[8:9], v[65:66], v[59:60]
	v_fma_f64 v[6:7], v[6:7], v[65:66], -v[67:68]
	v_fma_f64 v[3:4], v[3:4], v[69:70], v[61:62]
	v_fma_f64 v[1:2], v[1:2], v[69:70], -v[63:64]
	v_add_f64_e32 v[53:54], v[53:54], v[55:56]
	v_add_f64_e32 v[10:11], v[10:11], v[57:58]
	s_delay_alu instid0(VALU_DEP_2) | instskip(NEXT) | instid1(VALU_DEP_2)
	v_add_f64_e32 v[6:7], v[53:54], v[6:7]
	v_add_f64_e32 v[8:9], v[10:11], v[8:9]
	s_delay_alu instid0(VALU_DEP_2) | instskip(NEXT) | instid1(VALU_DEP_2)
	;; [unrolled: 3-line block ×3, first 2 shown]
	v_add_f64_e64 v[1:2], v[93:94], -v[1:2]
	v_add_f64_e64 v[3:4], v[95:96], -v[3:4]
	scratch_store_b128 off, v[1:4], off offset:64
	v_cmpx_lt_u32_e32 2, v0
	s_cbranch_execz .LBB83_129
; %bb.128:
	scratch_load_b128 v[1:4], off, s26
	v_mov_b32_e32 v6, 0
	s_delay_alu instid0(VALU_DEP_1)
	v_dual_mov_b32 v7, v6 :: v_dual_mov_b32 v8, v6
	v_mov_b32_e32 v9, v6
	scratch_store_b128 off, v[6:9], off offset:48
	s_wait_loadcnt 0x0
	ds_store_b128 v5, v[1:4]
.LBB83_129:
	s_wait_alu 0xfffe
	s_or_b32 exec_lo, exec_lo, s0
	s_wait_storecnt_dscnt 0x0
	s_barrier_signal -1
	s_barrier_wait -1
	global_inv scope:SCOPE_SE
	s_clause 0x7
	scratch_load_b128 v[6:9], off, off offset:64
	scratch_load_b128 v[53:56], off, off offset:80
	;; [unrolled: 1-line block ×8, first 2 shown]
	v_mov_b32_e32 v1, 0
	s_mov_b32 s0, exec_lo
	ds_load_b128 v[81:84], v1 offset:368
	s_clause 0x1
	scratch_load_b128 v[85:88], off, off offset:192
	scratch_load_b128 v[89:92], off, off offset:48
	ds_load_b128 v[93:96], v1 offset:384
	ds_load_b128 v[101:104], v1 offset:416
	s_wait_loadcnt_dscnt 0x902
	v_mul_f64_e32 v[2:3], v[83:84], v[8:9]
	v_mul_f64_e32 v[97:98], v[81:82], v[8:9]
	scratch_load_b128 v[8:11], off, off offset:208
	v_fma_f64 v[2:3], v[81:82], v[6:7], -v[2:3]
	v_fma_f64 v[6:7], v[83:84], v[6:7], v[97:98]
	ds_load_b128 v[81:84], v1 offset:400
	s_wait_loadcnt_dscnt 0x902
	v_mul_f64_e32 v[105:106], v[93:94], v[55:56]
	v_mul_f64_e32 v[55:56], v[95:96], v[55:56]
	scratch_load_b128 v[97:100], off, off offset:224
	s_wait_loadcnt_dscnt 0x900
	v_mul_f64_e32 v[107:108], v[81:82], v[59:60]
	v_mul_f64_e32 v[59:60], v[83:84], v[59:60]
	v_add_f64_e32 v[2:3], 0, v[2:3]
	v_add_f64_e32 v[6:7], 0, v[6:7]
	v_fma_f64 v[95:96], v[95:96], v[53:54], v[105:106]
	v_fma_f64 v[93:94], v[93:94], v[53:54], -v[55:56]
	scratch_load_b128 v[53:56], off, off offset:240
	v_fma_f64 v[107:108], v[83:84], v[57:58], v[107:108]
	v_fma_f64 v[109:110], v[81:82], v[57:58], -v[59:60]
	ds_load_b128 v[57:60], v1 offset:432
	s_wait_loadcnt 0x9
	v_mul_f64_e32 v[105:106], v[101:102], v[63:64]
	v_mul_f64_e32 v[63:64], v[103:104], v[63:64]
	scratch_load_b128 v[81:84], off, off offset:256
	v_add_f64_e32 v[6:7], v[6:7], v[95:96]
	v_add_f64_e32 v[2:3], v[2:3], v[93:94]
	ds_load_b128 v[93:96], v1 offset:448
	s_wait_loadcnt_dscnt 0x901
	v_mul_f64_e32 v[111:112], v[57:58], v[67:68]
	v_mul_f64_e32 v[67:68], v[59:60], v[67:68]
	v_fma_f64 v[103:104], v[103:104], v[61:62], v[105:106]
	v_fma_f64 v[101:102], v[101:102], v[61:62], -v[63:64]
	scratch_load_b128 v[61:64], off, off offset:272
	v_add_f64_e32 v[6:7], v[6:7], v[107:108]
	v_add_f64_e32 v[2:3], v[2:3], v[109:110]
	v_fma_f64 v[107:108], v[59:60], v[65:66], v[111:112]
	v_fma_f64 v[109:110], v[57:58], v[65:66], -v[67:68]
	ds_load_b128 v[57:60], v1 offset:464
	s_wait_loadcnt_dscnt 0x901
	v_mul_f64_e32 v[105:106], v[93:94], v[71:72]
	v_mul_f64_e32 v[71:72], v[95:96], v[71:72]
	scratch_load_b128 v[65:68], off, off offset:288
	s_wait_loadcnt_dscnt 0x900
	v_mul_f64_e32 v[111:112], v[57:58], v[75:76]
	v_mul_f64_e32 v[75:76], v[59:60], v[75:76]
	v_add_f64_e32 v[6:7], v[6:7], v[103:104]
	v_add_f64_e32 v[2:3], v[2:3], v[101:102]
	ds_load_b128 v[101:104], v1 offset:480
	v_fma_f64 v[95:96], v[95:96], v[69:70], v[105:106]
	v_fma_f64 v[93:94], v[93:94], v[69:70], -v[71:72]
	scratch_load_b128 v[69:72], off, off offset:304
	v_add_f64_e32 v[6:7], v[6:7], v[107:108]
	v_add_f64_e32 v[2:3], v[2:3], v[109:110]
	v_fma_f64 v[107:108], v[59:60], v[73:74], v[111:112]
	v_fma_f64 v[109:110], v[57:58], v[73:74], -v[75:76]
	ds_load_b128 v[57:60], v1 offset:496
	s_wait_loadcnt_dscnt 0x901
	v_mul_f64_e32 v[105:106], v[101:102], v[79:80]
	v_mul_f64_e32 v[79:80], v[103:104], v[79:80]
	scratch_load_b128 v[73:76], off, off offset:320
	s_wait_loadcnt_dscnt 0x900
	v_mul_f64_e32 v[111:112], v[57:58], v[87:88]
	v_mul_f64_e32 v[87:88], v[59:60], v[87:88]
	v_add_f64_e32 v[6:7], v[6:7], v[95:96]
	v_add_f64_e32 v[2:3], v[2:3], v[93:94]
	ds_load_b128 v[93:96], v1 offset:512
	v_fma_f64 v[103:104], v[103:104], v[77:78], v[105:106]
	v_fma_f64 v[77:78], v[101:102], v[77:78], -v[79:80]
	v_fma_f64 v[105:106], v[59:60], v[85:86], v[111:112]
	v_fma_f64 v[85:86], v[57:58], v[85:86], -v[87:88]
	v_add_f64_e32 v[6:7], v[6:7], v[107:108]
	v_add_f64_e32 v[2:3], v[2:3], v[109:110]
	s_wait_loadcnt_dscnt 0x700
	v_mul_f64_e32 v[101:102], v[93:94], v[10:11]
	v_mul_f64_e32 v[10:11], v[95:96], v[10:11]
	s_delay_alu instid0(VALU_DEP_4) | instskip(NEXT) | instid1(VALU_DEP_4)
	v_add_f64_e32 v[6:7], v[6:7], v[103:104]
	v_add_f64_e32 v[2:3], v[2:3], v[77:78]
	ds_load_b128 v[57:60], v1 offset:528
	ds_load_b128 v[77:80], v1 offset:544
	v_fma_f64 v[95:96], v[95:96], v[8:9], v[101:102]
	v_fma_f64 v[8:9], v[93:94], v[8:9], -v[10:11]
	s_wait_loadcnt_dscnt 0x601
	v_mul_f64_e32 v[87:88], v[57:58], v[99:100]
	v_mul_f64_e32 v[99:100], v[59:60], v[99:100]
	v_add_f64_e32 v[6:7], v[6:7], v[105:106]
	v_add_f64_e32 v[2:3], v[2:3], v[85:86]
	s_wait_loadcnt_dscnt 0x500
	v_mul_f64_e32 v[10:11], v[77:78], v[55:56]
	v_mul_f64_e32 v[85:86], v[79:80], v[55:56]
	v_fma_f64 v[59:60], v[59:60], v[97:98], v[87:88]
	v_fma_f64 v[87:88], v[57:58], v[97:98], -v[99:100]
	v_add_f64_e32 v[93:94], v[6:7], v[95:96]
	v_add_f64_e32 v[2:3], v[2:3], v[8:9]
	ds_load_b128 v[6:9], v1 offset:560
	ds_load_b128 v[55:58], v1 offset:576
	v_fma_f64 v[10:11], v[79:80], v[53:54], v[10:11]
	v_fma_f64 v[53:54], v[77:78], v[53:54], -v[85:86]
	s_wait_loadcnt_dscnt 0x401
	v_mul_f64_e32 v[95:96], v[6:7], v[83:84]
	v_mul_f64_e32 v[83:84], v[8:9], v[83:84]
	v_add_f64_e32 v[59:60], v[93:94], v[59:60]
	v_add_f64_e32 v[2:3], v[2:3], v[87:88]
	s_wait_loadcnt_dscnt 0x300
	v_mul_f64_e32 v[85:86], v[55:56], v[63:64]
	v_mul_f64_e32 v[63:64], v[57:58], v[63:64]
	v_fma_f64 v[87:88], v[8:9], v[81:82], v[95:96]
	v_fma_f64 v[81:82], v[6:7], v[81:82], -v[83:84]
	ds_load_b128 v[6:9], v1 offset:592
	ds_load_b128 v[77:80], v1 offset:608
	v_add_f64_e32 v[10:11], v[59:60], v[10:11]
	v_add_f64_e32 v[2:3], v[2:3], v[53:54]
	v_fma_f64 v[57:58], v[57:58], v[61:62], v[85:86]
	v_fma_f64 v[55:56], v[55:56], v[61:62], -v[63:64]
	s_wait_loadcnt_dscnt 0x201
	v_mul_f64_e32 v[53:54], v[6:7], v[67:68]
	v_mul_f64_e32 v[59:60], v[8:9], v[67:68]
	s_wait_loadcnt_dscnt 0x100
	v_mul_f64_e32 v[61:62], v[77:78], v[71:72]
	v_mul_f64_e32 v[63:64], v[79:80], v[71:72]
	v_add_f64_e32 v[10:11], v[10:11], v[87:88]
	v_add_f64_e32 v[2:3], v[2:3], v[81:82]
	v_fma_f64 v[53:54], v[8:9], v[65:66], v[53:54]
	v_fma_f64 v[59:60], v[6:7], v[65:66], -v[59:60]
	ds_load_b128 v[6:9], v1 offset:624
	v_fma_f64 v[61:62], v[79:80], v[69:70], v[61:62]
	v_fma_f64 v[63:64], v[77:78], v[69:70], -v[63:64]
	v_add_f64_e32 v[10:11], v[10:11], v[57:58]
	v_add_f64_e32 v[2:3], v[2:3], v[55:56]
	s_wait_loadcnt_dscnt 0x0
	v_mul_f64_e32 v[55:56], v[6:7], v[75:76]
	v_mul_f64_e32 v[57:58], v[8:9], v[75:76]
	s_delay_alu instid0(VALU_DEP_4) | instskip(NEXT) | instid1(VALU_DEP_4)
	v_add_f64_e32 v[10:11], v[10:11], v[53:54]
	v_add_f64_e32 v[2:3], v[2:3], v[59:60]
	s_delay_alu instid0(VALU_DEP_4) | instskip(NEXT) | instid1(VALU_DEP_4)
	v_fma_f64 v[8:9], v[8:9], v[73:74], v[55:56]
	v_fma_f64 v[6:7], v[6:7], v[73:74], -v[57:58]
	s_delay_alu instid0(VALU_DEP_4) | instskip(NEXT) | instid1(VALU_DEP_4)
	v_add_f64_e32 v[10:11], v[10:11], v[61:62]
	v_add_f64_e32 v[2:3], v[2:3], v[63:64]
	s_delay_alu instid0(VALU_DEP_2) | instskip(NEXT) | instid1(VALU_DEP_2)
	v_add_f64_e32 v[8:9], v[10:11], v[8:9]
	v_add_f64_e32 v[2:3], v[2:3], v[6:7]
	s_delay_alu instid0(VALU_DEP_2) | instskip(NEXT) | instid1(VALU_DEP_2)
	v_add_f64_e64 v[8:9], v[91:92], -v[8:9]
	v_add_f64_e64 v[6:7], v[89:90], -v[2:3]
	scratch_store_b128 off, v[6:9], off offset:48
	v_cmpx_lt_u32_e32 1, v0
	s_cbranch_execz .LBB83_131
; %bb.130:
	scratch_load_b128 v[6:9], off, s27
	v_dual_mov_b32 v2, v1 :: v_dual_mov_b32 v3, v1
	v_mov_b32_e32 v4, v1
	scratch_store_b128 off, v[1:4], off offset:32
	s_wait_loadcnt 0x0
	ds_store_b128 v5, v[6:9]
.LBB83_131:
	s_wait_alu 0xfffe
	s_or_b32 exec_lo, exec_lo, s0
	s_wait_storecnt_dscnt 0x0
	s_barrier_signal -1
	s_barrier_wait -1
	global_inv scope:SCOPE_SE
	s_clause 0x8
	scratch_load_b128 v[6:9], off, off offset:48
	scratch_load_b128 v[53:56], off, off offset:64
	;; [unrolled: 1-line block ×9, first 2 shown]
	ds_load_b128 v[85:88], v1 offset:352
	ds_load_b128 v[89:92], v1 offset:368
	scratch_load_b128 v[93:96], off, off offset:32
	s_mov_b32 s0, exec_lo
	ds_load_b128 v[101:104], v1 offset:400
	s_wait_loadcnt_dscnt 0x902
	v_mul_f64_e32 v[2:3], v[87:88], v[8:9]
	v_mul_f64_e32 v[97:98], v[85:86], v[8:9]
	scratch_load_b128 v[8:11], off, off offset:192
	s_wait_loadcnt_dscnt 0x901
	v_mul_f64_e32 v[105:106], v[89:90], v[55:56]
	v_mul_f64_e32 v[55:56], v[91:92], v[55:56]
	v_fma_f64 v[2:3], v[85:86], v[6:7], -v[2:3]
	v_fma_f64 v[6:7], v[87:88], v[6:7], v[97:98]
	ds_load_b128 v[85:88], v1 offset:384
	scratch_load_b128 v[97:100], off, off offset:208
	v_fma_f64 v[91:92], v[91:92], v[53:54], v[105:106]
	v_fma_f64 v[89:90], v[89:90], v[53:54], -v[55:56]
	scratch_load_b128 v[53:56], off, off offset:224
	s_wait_loadcnt_dscnt 0x901
	v_mul_f64_e32 v[105:106], v[101:102], v[63:64]
	v_mul_f64_e32 v[63:64], v[103:104], v[63:64]
	s_wait_dscnt 0x0
	v_mul_f64_e32 v[107:108], v[85:86], v[59:60]
	v_mul_f64_e32 v[59:60], v[87:88], v[59:60]
	v_add_f64_e32 v[2:3], 0, v[2:3]
	v_add_f64_e32 v[6:7], 0, v[6:7]
	v_fma_f64 v[103:104], v[103:104], v[61:62], v[105:106]
	v_fma_f64 v[101:102], v[101:102], v[61:62], -v[63:64]
	scratch_load_b128 v[61:64], off, off offset:256
	v_fma_f64 v[107:108], v[87:88], v[57:58], v[107:108]
	v_fma_f64 v[109:110], v[85:86], v[57:58], -v[59:60]
	ds_load_b128 v[57:60], v1 offset:416
	scratch_load_b128 v[85:88], off, off offset:240
	v_add_f64_e32 v[2:3], v[2:3], v[89:90]
	v_add_f64_e32 v[6:7], v[6:7], v[91:92]
	ds_load_b128 v[89:92], v1 offset:432
	s_wait_loadcnt_dscnt 0xa01
	v_mul_f64_e32 v[111:112], v[57:58], v[67:68]
	v_mul_f64_e32 v[67:68], v[59:60], v[67:68]
	s_wait_loadcnt_dscnt 0x900
	v_mul_f64_e32 v[105:106], v[89:90], v[71:72]
	v_mul_f64_e32 v[71:72], v[91:92], v[71:72]
	v_add_f64_e32 v[2:3], v[2:3], v[109:110]
	v_add_f64_e32 v[6:7], v[6:7], v[107:108]
	v_fma_f64 v[107:108], v[59:60], v[65:66], v[111:112]
	v_fma_f64 v[109:110], v[57:58], v[65:66], -v[67:68]
	ds_load_b128 v[57:60], v1 offset:448
	scratch_load_b128 v[65:68], off, off offset:272
	v_fma_f64 v[91:92], v[91:92], v[69:70], v[105:106]
	v_fma_f64 v[89:90], v[89:90], v[69:70], -v[71:72]
	scratch_load_b128 v[69:72], off, off offset:288
	v_add_f64_e32 v[2:3], v[2:3], v[101:102]
	v_add_f64_e32 v[6:7], v[6:7], v[103:104]
	ds_load_b128 v[101:104], v1 offset:464
	s_wait_loadcnt_dscnt 0xa01
	v_mul_f64_e32 v[111:112], v[57:58], v[75:76]
	v_mul_f64_e32 v[75:76], v[59:60], v[75:76]
	s_wait_loadcnt_dscnt 0x900
	v_mul_f64_e32 v[105:106], v[101:102], v[79:80]
	v_mul_f64_e32 v[79:80], v[103:104], v[79:80]
	v_add_f64_e32 v[2:3], v[2:3], v[109:110]
	v_add_f64_e32 v[6:7], v[6:7], v[107:108]
	v_fma_f64 v[107:108], v[59:60], v[73:74], v[111:112]
	v_fma_f64 v[109:110], v[57:58], v[73:74], -v[75:76]
	ds_load_b128 v[57:60], v1 offset:480
	scratch_load_b128 v[73:76], off, off offset:304
	v_fma_f64 v[103:104], v[103:104], v[77:78], v[105:106]
	v_fma_f64 v[101:102], v[101:102], v[77:78], -v[79:80]
	scratch_load_b128 v[77:80], off, off offset:320
	v_add_f64_e32 v[2:3], v[2:3], v[89:90]
	v_add_f64_e32 v[6:7], v[6:7], v[91:92]
	ds_load_b128 v[89:92], v1 offset:496
	s_wait_loadcnt_dscnt 0xa01
	v_mul_f64_e32 v[111:112], v[57:58], v[83:84]
	v_mul_f64_e32 v[83:84], v[59:60], v[83:84]
	v_add_f64_e32 v[2:3], v[2:3], v[109:110]
	v_add_f64_e32 v[6:7], v[6:7], v[107:108]
	s_delay_alu instid0(VALU_DEP_4) | instskip(NEXT) | instid1(VALU_DEP_4)
	v_fma_f64 v[107:108], v[59:60], v[81:82], v[111:112]
	v_fma_f64 v[109:110], v[57:58], v[81:82], -v[83:84]
	ds_load_b128 v[57:60], v1 offset:512
	ds_load_b128 v[81:84], v1 offset:528
	s_wait_loadcnt_dscnt 0x802
	v_mul_f64_e32 v[105:106], v[89:90], v[10:11]
	v_mul_f64_e32 v[10:11], v[91:92], v[10:11]
	v_add_f64_e32 v[2:3], v[2:3], v[101:102]
	v_add_f64_e32 v[6:7], v[6:7], v[103:104]
	s_delay_alu instid0(VALU_DEP_4)
	v_fma_f64 v[91:92], v[91:92], v[8:9], v[105:106]
	s_wait_loadcnt_dscnt 0x701
	v_mul_f64_e32 v[101:102], v[57:58], v[99:100]
	v_mul_f64_e32 v[99:100], v[59:60], v[99:100]
	v_fma_f64 v[8:9], v[89:90], v[8:9], -v[10:11]
	s_wait_loadcnt_dscnt 0x600
	v_mul_f64_e32 v[10:11], v[81:82], v[55:56]
	v_mul_f64_e32 v[89:90], v[83:84], v[55:56]
	v_add_f64_e32 v[2:3], v[2:3], v[109:110]
	v_add_f64_e32 v[6:7], v[6:7], v[107:108]
	v_fma_f64 v[59:60], v[59:60], v[97:98], v[101:102]
	v_fma_f64 v[97:98], v[57:58], v[97:98], -v[99:100]
	v_fma_f64 v[10:11], v[83:84], v[53:54], v[10:11]
	v_fma_f64 v[53:54], v[81:82], v[53:54], -v[89:90]
	v_add_f64_e32 v[2:3], v[2:3], v[8:9]
	v_add_f64_e32 v[91:92], v[6:7], v[91:92]
	ds_load_b128 v[6:9], v1 offset:544
	ds_load_b128 v[55:58], v1 offset:560
	s_wait_loadcnt_dscnt 0x401
	v_mul_f64_e32 v[99:100], v[6:7], v[87:88]
	v_mul_f64_e32 v[87:88], v[8:9], v[87:88]
	s_wait_dscnt 0x0
	v_mul_f64_e32 v[89:90], v[55:56], v[63:64]
	v_mul_f64_e32 v[63:64], v[57:58], v[63:64]
	v_add_f64_e32 v[2:3], v[2:3], v[97:98]
	v_add_f64_e32 v[59:60], v[91:92], v[59:60]
	v_fma_f64 v[91:92], v[8:9], v[85:86], v[99:100]
	v_fma_f64 v[85:86], v[6:7], v[85:86], -v[87:88]
	ds_load_b128 v[6:9], v1 offset:576
	ds_load_b128 v[81:84], v1 offset:592
	v_fma_f64 v[57:58], v[57:58], v[61:62], v[89:90]
	v_fma_f64 v[55:56], v[55:56], v[61:62], -v[63:64]
	v_add_f64_e32 v[2:3], v[2:3], v[53:54]
	v_add_f64_e32 v[10:11], v[59:60], v[10:11]
	s_wait_loadcnt_dscnt 0x301
	v_mul_f64_e32 v[53:54], v[6:7], v[67:68]
	v_mul_f64_e32 v[59:60], v[8:9], v[67:68]
	s_wait_loadcnt_dscnt 0x200
	v_mul_f64_e32 v[61:62], v[81:82], v[71:72]
	v_mul_f64_e32 v[63:64], v[83:84], v[71:72]
	v_add_f64_e32 v[2:3], v[2:3], v[85:86]
	v_add_f64_e32 v[10:11], v[10:11], v[91:92]
	v_fma_f64 v[53:54], v[8:9], v[65:66], v[53:54]
	v_fma_f64 v[59:60], v[6:7], v[65:66], -v[59:60]
	v_fma_f64 v[61:62], v[83:84], v[69:70], v[61:62]
	v_fma_f64 v[63:64], v[81:82], v[69:70], -v[63:64]
	v_add_f64_e32 v[55:56], v[2:3], v[55:56]
	v_add_f64_e32 v[10:11], v[10:11], v[57:58]
	ds_load_b128 v[6:9], v1 offset:608
	ds_load_b128 v[1:4], v1 offset:624
	s_wait_loadcnt_dscnt 0x101
	v_mul_f64_e32 v[57:58], v[6:7], v[75:76]
	v_mul_f64_e32 v[65:66], v[8:9], v[75:76]
	v_add_f64_e32 v[55:56], v[55:56], v[59:60]
	v_add_f64_e32 v[10:11], v[10:11], v[53:54]
	s_wait_loadcnt_dscnt 0x0
	v_mul_f64_e32 v[53:54], v[1:2], v[79:80]
	v_mul_f64_e32 v[59:60], v[3:4], v[79:80]
	v_fma_f64 v[8:9], v[8:9], v[73:74], v[57:58]
	v_fma_f64 v[6:7], v[6:7], v[73:74], -v[65:66]
	v_add_f64_e32 v[55:56], v[55:56], v[63:64]
	v_add_f64_e32 v[10:11], v[10:11], v[61:62]
	v_fma_f64 v[3:4], v[3:4], v[77:78], v[53:54]
	v_fma_f64 v[1:2], v[1:2], v[77:78], -v[59:60]
	s_delay_alu instid0(VALU_DEP_4) | instskip(NEXT) | instid1(VALU_DEP_4)
	v_add_f64_e32 v[6:7], v[55:56], v[6:7]
	v_add_f64_e32 v[8:9], v[10:11], v[8:9]
	s_delay_alu instid0(VALU_DEP_2) | instskip(NEXT) | instid1(VALU_DEP_2)
	v_add_f64_e32 v[1:2], v[6:7], v[1:2]
	v_add_f64_e32 v[3:4], v[8:9], v[3:4]
	s_delay_alu instid0(VALU_DEP_2) | instskip(NEXT) | instid1(VALU_DEP_2)
	v_add_f64_e64 v[1:2], v[93:94], -v[1:2]
	v_add_f64_e64 v[3:4], v[95:96], -v[3:4]
	scratch_store_b128 off, v[1:4], off offset:32
	v_cmpx_ne_u32_e32 0, v0
	s_cbranch_execz .LBB83_133
; %bb.132:
	scratch_load_b128 v[0:3], off, off offset:16
	v_mov_b32_e32 v6, 0
	s_delay_alu instid0(VALU_DEP_1)
	v_dual_mov_b32 v7, v6 :: v_dual_mov_b32 v8, v6
	v_mov_b32_e32 v9, v6
	scratch_store_b128 off, v[6:9], off offset:16
	s_wait_loadcnt 0x0
	ds_store_b128 v5, v[0:3]
.LBB83_133:
	s_wait_alu 0xfffe
	s_or_b32 exec_lo, exec_lo, s0
	s_wait_storecnt_dscnt 0x0
	s_barrier_signal -1
	s_barrier_wait -1
	global_inv scope:SCOPE_SE
	s_clause 0x7
	scratch_load_b128 v[1:4], off, off offset:32
	scratch_load_b128 v[5:8], off, off offset:48
	;; [unrolled: 1-line block ×8, first 2 shown]
	v_mov_b32_e32 v0, 0
	s_and_b32 vcc_lo, exec_lo, s12
	ds_load_b128 v[73:76], v0 offset:336
	s_clause 0x1
	scratch_load_b128 v[77:80], off, off offset:160
	scratch_load_b128 v[81:84], off, off offset:16
	ds_load_b128 v[85:88], v0 offset:352
	scratch_load_b128 v[89:92], off, off offset:176
	s_wait_loadcnt_dscnt 0xa01
	v_mul_f64_e32 v[93:94], v[75:76], v[3:4]
	v_mul_f64_e32 v[3:4], v[73:74], v[3:4]
	s_delay_alu instid0(VALU_DEP_2) | instskip(NEXT) | instid1(VALU_DEP_2)
	v_fma_f64 v[99:100], v[73:74], v[1:2], -v[93:94]
	v_fma_f64 v[101:102], v[75:76], v[1:2], v[3:4]
	ds_load_b128 v[1:4], v0 offset:368
	s_wait_loadcnt_dscnt 0x901
	v_mul_f64_e32 v[97:98], v[85:86], v[7:8]
	v_mul_f64_e32 v[7:8], v[87:88], v[7:8]
	scratch_load_b128 v[73:76], off, off offset:192
	ds_load_b128 v[93:96], v0 offset:384
	s_wait_loadcnt_dscnt 0x901
	v_mul_f64_e32 v[103:104], v[1:2], v[11:12]
	v_mul_f64_e32 v[11:12], v[3:4], v[11:12]
	v_fma_f64 v[87:88], v[87:88], v[5:6], v[97:98]
	v_fma_f64 v[85:86], v[85:86], v[5:6], -v[7:8]
	v_add_f64_e32 v[97:98], 0, v[99:100]
	v_add_f64_e32 v[99:100], 0, v[101:102]
	scratch_load_b128 v[5:8], off, off offset:208
	v_fma_f64 v[103:104], v[3:4], v[9:10], v[103:104]
	v_fma_f64 v[105:106], v[1:2], v[9:10], -v[11:12]
	ds_load_b128 v[1:4], v0 offset:400
	s_wait_loadcnt_dscnt 0x901
	v_mul_f64_e32 v[101:102], v[93:94], v[55:56]
	v_mul_f64_e32 v[55:56], v[95:96], v[55:56]
	scratch_load_b128 v[9:12], off, off offset:224
	v_add_f64_e32 v[97:98], v[97:98], v[85:86]
	v_add_f64_e32 v[99:100], v[99:100], v[87:88]
	s_wait_loadcnt_dscnt 0x900
	v_mul_f64_e32 v[107:108], v[1:2], v[59:60]
	v_mul_f64_e32 v[59:60], v[3:4], v[59:60]
	ds_load_b128 v[85:88], v0 offset:416
	v_fma_f64 v[95:96], v[95:96], v[53:54], v[101:102]
	v_fma_f64 v[93:94], v[93:94], v[53:54], -v[55:56]
	scratch_load_b128 v[53:56], off, off offset:240
	v_add_f64_e32 v[97:98], v[97:98], v[105:106]
	v_add_f64_e32 v[99:100], v[99:100], v[103:104]
	v_fma_f64 v[103:104], v[3:4], v[57:58], v[107:108]
	v_fma_f64 v[105:106], v[1:2], v[57:58], -v[59:60]
	ds_load_b128 v[1:4], v0 offset:432
	s_wait_loadcnt_dscnt 0x901
	v_mul_f64_e32 v[101:102], v[85:86], v[63:64]
	v_mul_f64_e32 v[63:64], v[87:88], v[63:64]
	scratch_load_b128 v[57:60], off, off offset:256
	s_wait_loadcnt_dscnt 0x900
	v_mul_f64_e32 v[107:108], v[1:2], v[67:68]
	v_mul_f64_e32 v[67:68], v[3:4], v[67:68]
	v_add_f64_e32 v[97:98], v[97:98], v[93:94]
	v_add_f64_e32 v[99:100], v[99:100], v[95:96]
	ds_load_b128 v[93:96], v0 offset:448
	v_fma_f64 v[87:88], v[87:88], v[61:62], v[101:102]
	v_fma_f64 v[85:86], v[85:86], v[61:62], -v[63:64]
	scratch_load_b128 v[61:64], off, off offset:272
	v_add_f64_e32 v[97:98], v[97:98], v[105:106]
	v_add_f64_e32 v[99:100], v[99:100], v[103:104]
	v_fma_f64 v[103:104], v[3:4], v[65:66], v[107:108]
	v_fma_f64 v[105:106], v[1:2], v[65:66], -v[67:68]
	ds_load_b128 v[1:4], v0 offset:464
	s_wait_loadcnt_dscnt 0x901
	v_mul_f64_e32 v[101:102], v[93:94], v[71:72]
	v_mul_f64_e32 v[71:72], v[95:96], v[71:72]
	scratch_load_b128 v[65:68], off, off offset:288
	s_wait_loadcnt_dscnt 0x900
	v_mul_f64_e32 v[107:108], v[1:2], v[79:80]
	v_mul_f64_e32 v[79:80], v[3:4], v[79:80]
	v_add_f64_e32 v[97:98], v[97:98], v[85:86]
	v_add_f64_e32 v[99:100], v[99:100], v[87:88]
	ds_load_b128 v[85:88], v0 offset:480
	v_fma_f64 v[95:96], v[95:96], v[69:70], v[101:102]
	v_fma_f64 v[93:94], v[93:94], v[69:70], -v[71:72]
	scratch_load_b128 v[69:72], off, off offset:304
	v_add_f64_e32 v[97:98], v[97:98], v[105:106]
	v_add_f64_e32 v[99:100], v[99:100], v[103:104]
	v_fma_f64 v[105:106], v[3:4], v[77:78], v[107:108]
	v_fma_f64 v[107:108], v[1:2], v[77:78], -v[79:80]
	ds_load_b128 v[1:4], v0 offset:496
	s_wait_loadcnt_dscnt 0x801
	v_mul_f64_e32 v[101:102], v[85:86], v[91:92]
	v_mul_f64_e32 v[103:104], v[87:88], v[91:92]
	scratch_load_b128 v[77:80], off, off offset:320
	v_add_f64_e32 v[97:98], v[97:98], v[93:94]
	v_add_f64_e32 v[95:96], v[99:100], v[95:96]
	ds_load_b128 v[91:94], v0 offset:512
	v_fma_f64 v[87:88], v[87:88], v[89:90], v[101:102]
	v_fma_f64 v[85:86], v[85:86], v[89:90], -v[103:104]
	s_wait_loadcnt_dscnt 0x801
	v_mul_f64_e32 v[99:100], v[1:2], v[75:76]
	v_mul_f64_e32 v[75:76], v[3:4], v[75:76]
	v_add_f64_e32 v[89:90], v[97:98], v[107:108]
	v_add_f64_e32 v[95:96], v[95:96], v[105:106]
	s_delay_alu instid0(VALU_DEP_4) | instskip(NEXT) | instid1(VALU_DEP_4)
	v_fma_f64 v[99:100], v[3:4], v[73:74], v[99:100]
	v_fma_f64 v[101:102], v[1:2], v[73:74], -v[75:76]
	s_wait_loadcnt_dscnt 0x700
	v_mul_f64_e32 v[97:98], v[91:92], v[7:8]
	v_mul_f64_e32 v[7:8], v[93:94], v[7:8]
	ds_load_b128 v[1:4], v0 offset:528
	ds_load_b128 v[73:76], v0 offset:544
	v_add_f64_e32 v[85:86], v[89:90], v[85:86]
	v_add_f64_e32 v[87:88], v[95:96], v[87:88]
	s_wait_loadcnt_dscnt 0x601
	v_mul_f64_e32 v[89:90], v[1:2], v[11:12]
	v_mul_f64_e32 v[11:12], v[3:4], v[11:12]
	v_fma_f64 v[93:94], v[93:94], v[5:6], v[97:98]
	v_fma_f64 v[5:6], v[91:92], v[5:6], -v[7:8]
	v_add_f64_e32 v[7:8], v[85:86], v[101:102]
	v_add_f64_e32 v[85:86], v[87:88], v[99:100]
	s_wait_loadcnt_dscnt 0x500
	v_mul_f64_e32 v[87:88], v[73:74], v[55:56]
	v_mul_f64_e32 v[55:56], v[75:76], v[55:56]
	v_fma_f64 v[89:90], v[3:4], v[9:10], v[89:90]
	v_fma_f64 v[9:10], v[1:2], v[9:10], -v[11:12]
	v_add_f64_e32 v[11:12], v[7:8], v[5:6]
	v_add_f64_e32 v[85:86], v[85:86], v[93:94]
	ds_load_b128 v[1:4], v0 offset:560
	ds_load_b128 v[5:8], v0 offset:576
	v_fma_f64 v[75:76], v[75:76], v[53:54], v[87:88]
	v_fma_f64 v[53:54], v[73:74], v[53:54], -v[55:56]
	s_wait_loadcnt_dscnt 0x401
	v_mul_f64_e32 v[91:92], v[1:2], v[59:60]
	v_mul_f64_e32 v[59:60], v[3:4], v[59:60]
	s_wait_loadcnt_dscnt 0x300
	v_mul_f64_e32 v[55:56], v[5:6], v[63:64]
	v_mul_f64_e32 v[63:64], v[7:8], v[63:64]
	v_add_f64_e32 v[9:10], v[11:12], v[9:10]
	v_add_f64_e32 v[11:12], v[85:86], v[89:90]
	v_fma_f64 v[73:74], v[3:4], v[57:58], v[91:92]
	v_fma_f64 v[57:58], v[1:2], v[57:58], -v[59:60]
	v_fma_f64 v[7:8], v[7:8], v[61:62], v[55:56]
	v_fma_f64 v[5:6], v[5:6], v[61:62], -v[63:64]
	v_add_f64_e32 v[53:54], v[9:10], v[53:54]
	v_add_f64_e32 v[59:60], v[11:12], v[75:76]
	ds_load_b128 v[1:4], v0 offset:592
	ds_load_b128 v[9:12], v0 offset:608
	s_wait_loadcnt_dscnt 0x201
	v_mul_f64_e32 v[75:76], v[1:2], v[67:68]
	v_mul_f64_e32 v[67:68], v[3:4], v[67:68]
	v_add_f64_e32 v[53:54], v[53:54], v[57:58]
	v_add_f64_e32 v[55:56], v[59:60], v[73:74]
	s_wait_loadcnt_dscnt 0x100
	v_mul_f64_e32 v[57:58], v[9:10], v[71:72]
	v_mul_f64_e32 v[59:60], v[11:12], v[71:72]
	v_fma_f64 v[61:62], v[3:4], v[65:66], v[75:76]
	v_fma_f64 v[63:64], v[1:2], v[65:66], -v[67:68]
	ds_load_b128 v[1:4], v0 offset:624
	v_add_f64_e32 v[5:6], v[53:54], v[5:6]
	v_add_f64_e32 v[7:8], v[55:56], v[7:8]
	v_fma_f64 v[11:12], v[11:12], v[69:70], v[57:58]
	v_fma_f64 v[9:10], v[9:10], v[69:70], -v[59:60]
	s_wait_loadcnt_dscnt 0x0
	v_mul_f64_e32 v[53:54], v[1:2], v[79:80]
	v_mul_f64_e32 v[55:56], v[3:4], v[79:80]
	v_add_f64_e32 v[5:6], v[5:6], v[63:64]
	v_add_f64_e32 v[7:8], v[7:8], v[61:62]
	s_delay_alu instid0(VALU_DEP_4) | instskip(NEXT) | instid1(VALU_DEP_4)
	v_fma_f64 v[3:4], v[3:4], v[77:78], v[53:54]
	v_fma_f64 v[1:2], v[1:2], v[77:78], -v[55:56]
	s_delay_alu instid0(VALU_DEP_4) | instskip(NEXT) | instid1(VALU_DEP_4)
	v_add_f64_e32 v[5:6], v[5:6], v[9:10]
	v_add_f64_e32 v[7:8], v[7:8], v[11:12]
	s_delay_alu instid0(VALU_DEP_2) | instskip(NEXT) | instid1(VALU_DEP_2)
	v_add_f64_e32 v[1:2], v[5:6], v[1:2]
	v_add_f64_e32 v[3:4], v[7:8], v[3:4]
	s_delay_alu instid0(VALU_DEP_2) | instskip(NEXT) | instid1(VALU_DEP_2)
	v_add_f64_e64 v[1:2], v[81:82], -v[1:2]
	v_add_f64_e64 v[3:4], v[83:84], -v[3:4]
	scratch_store_b128 off, v[1:4], off offset:16
	s_wait_alu 0xfffe
	s_cbranch_vccz .LBB83_172
; %bb.134:
	global_load_b32 v0, v0, s[2:3] offset:72
	s_wait_loadcnt 0x0
	v_cmp_ne_u32_e32 vcc_lo, 19, v0
	s_cbranch_vccz .LBB83_136
; %bb.135:
	v_lshlrev_b32_e32 v0, 4, v0
	s_delay_alu instid0(VALU_DEP_1)
	v_add_nc_u32_e32 v8, 16, v0
	s_clause 0x1
	scratch_load_b128 v[0:3], v8, off offset:-16
	scratch_load_b128 v[4:7], off, s25
	s_wait_loadcnt 0x1
	scratch_store_b128 off, v[0:3], s25
	s_wait_loadcnt 0x0
	scratch_store_b128 v8, v[4:7], off offset:-16
.LBB83_136:
	v_mov_b32_e32 v0, 0
	global_load_b32 v1, v0, s[2:3] offset:68
	s_wait_loadcnt 0x0
	v_cmp_eq_u32_e32 vcc_lo, 18, v1
	s_cbranch_vccnz .LBB83_138
; %bb.137:
	v_lshlrev_b32_e32 v1, 4, v1
	s_delay_alu instid0(VALU_DEP_1)
	v_add_nc_u32_e32 v9, 16, v1
	s_clause 0x1
	scratch_load_b128 v[1:4], v9, off offset:-16
	scratch_load_b128 v[5:8], off, s15
	s_wait_loadcnt 0x1
	scratch_store_b128 off, v[1:4], s15
	s_wait_loadcnt 0x0
	scratch_store_b128 v9, v[5:8], off offset:-16
.LBB83_138:
	global_load_b32 v0, v0, s[2:3] offset:64
	s_wait_loadcnt 0x0
	v_cmp_eq_u32_e32 vcc_lo, 17, v0
	s_cbranch_vccnz .LBB83_140
; %bb.139:
	v_lshlrev_b32_e32 v0, 4, v0
	s_delay_alu instid0(VALU_DEP_1)
	v_add_nc_u32_e32 v8, 16, v0
	s_clause 0x1
	scratch_load_b128 v[0:3], v8, off offset:-16
	scratch_load_b128 v[4:7], off, s24
	s_wait_loadcnt 0x1
	scratch_store_b128 off, v[0:3], s24
	s_wait_loadcnt 0x0
	scratch_store_b128 v8, v[4:7], off offset:-16
.LBB83_140:
	v_mov_b32_e32 v0, 0
	global_load_b32 v1, v0, s[2:3] offset:60
	s_wait_loadcnt 0x0
	v_cmp_eq_u32_e32 vcc_lo, 16, v1
	s_cbranch_vccnz .LBB83_142
; %bb.141:
	v_lshlrev_b32_e32 v1, 4, v1
	s_delay_alu instid0(VALU_DEP_1)
	v_add_nc_u32_e32 v9, 16, v1
	s_clause 0x1
	scratch_load_b128 v[1:4], v9, off offset:-16
	scratch_load_b128 v[5:8], off, s14
	s_wait_loadcnt 0x1
	scratch_store_b128 off, v[1:4], s14
	s_wait_loadcnt 0x0
	scratch_store_b128 v9, v[5:8], off offset:-16
.LBB83_142:
	global_load_b32 v0, v0, s[2:3] offset:56
	s_wait_loadcnt 0x0
	v_cmp_eq_u32_e32 vcc_lo, 15, v0
	s_cbranch_vccnz .LBB83_144
; %bb.143:
	v_lshlrev_b32_e32 v0, 4, v0
	s_delay_alu instid0(VALU_DEP_1)
	v_add_nc_u32_e32 v8, 16, v0
	s_clause 0x1
	scratch_load_b128 v[0:3], v8, off offset:-16
	scratch_load_b128 v[4:7], off, s23
	s_wait_loadcnt 0x1
	scratch_store_b128 off, v[0:3], s23
	s_wait_loadcnt 0x0
	scratch_store_b128 v8, v[4:7], off offset:-16
.LBB83_144:
	;; [unrolled: 33-line block ×8, first 2 shown]
	v_mov_b32_e32 v0, 0
	global_load_b32 v1, v0, s[2:3] offset:4
	s_wait_loadcnt 0x0
	v_cmp_eq_u32_e32 vcc_lo, 2, v1
	s_cbranch_vccnz .LBB83_170
; %bb.169:
	v_lshlrev_b32_e32 v1, 4, v1
	s_delay_alu instid0(VALU_DEP_1)
	v_add_nc_u32_e32 v9, 16, v1
	s_clause 0x1
	scratch_load_b128 v[1:4], v9, off offset:-16
	scratch_load_b128 v[5:8], off, s27
	s_wait_loadcnt 0x1
	scratch_store_b128 off, v[1:4], s27
	s_wait_loadcnt 0x0
	scratch_store_b128 v9, v[5:8], off offset:-16
.LBB83_170:
	global_load_b32 v0, v0, s[2:3]
	s_wait_loadcnt 0x0
	v_cmp_eq_u32_e32 vcc_lo, 1, v0
	s_cbranch_vccnz .LBB83_172
; %bb.171:
	v_lshlrev_b32_e32 v0, 4, v0
	s_delay_alu instid0(VALU_DEP_1)
	v_add_nc_u32_e32 v8, 16, v0
	scratch_load_b128 v[0:3], v8, off offset:-16
	scratch_load_b128 v[4:7], off, off offset:16
	s_wait_loadcnt 0x1
	scratch_store_b128 off, v[0:3], off offset:16
	s_wait_loadcnt 0x0
	scratch_store_b128 v8, v[4:7], off offset:-16
.LBB83_172:
	scratch_load_b128 v[0:3], off, off offset:16
	s_wait_loadcnt 0x0
	flat_store_b128 v[13:14], v[0:3]
	scratch_load_b128 v[0:3], off, s27
	s_wait_loadcnt 0x0
	flat_store_b128 v[15:16], v[0:3]
	scratch_load_b128 v[0:3], off, s26
	;; [unrolled: 3-line block ×19, first 2 shown]
	s_wait_loadcnt 0x0
	flat_store_b128 v[51:52], v[0:3]
	s_nop 0
	s_sendmsg sendmsg(MSG_DEALLOC_VGPRS)
	s_endpgm
	.section	.rodata,"a",@progbits
	.p2align	6, 0x0
	.amdhsa_kernel _ZN9rocsolver6v33100L18getri_kernel_smallILi20E19rocblas_complex_numIdEPKPS3_EEvT1_iilPiilS8_bb
		.amdhsa_group_segment_fixed_size 648
		.amdhsa_private_segment_fixed_size 352
		.amdhsa_kernarg_size 60
		.amdhsa_user_sgpr_count 2
		.amdhsa_user_sgpr_dispatch_ptr 0
		.amdhsa_user_sgpr_queue_ptr 0
		.amdhsa_user_sgpr_kernarg_segment_ptr 1
		.amdhsa_user_sgpr_dispatch_id 0
		.amdhsa_user_sgpr_private_segment_size 0
		.amdhsa_wavefront_size32 1
		.amdhsa_uses_dynamic_stack 0
		.amdhsa_enable_private_segment 1
		.amdhsa_system_sgpr_workgroup_id_x 1
		.amdhsa_system_sgpr_workgroup_id_y 0
		.amdhsa_system_sgpr_workgroup_id_z 0
		.amdhsa_system_sgpr_workgroup_info 0
		.amdhsa_system_vgpr_workitem_id 0
		.amdhsa_next_free_vgpr 113
		.amdhsa_next_free_sgpr 31
		.amdhsa_reserve_vcc 1
		.amdhsa_float_round_mode_32 0
		.amdhsa_float_round_mode_16_64 0
		.amdhsa_float_denorm_mode_32 3
		.amdhsa_float_denorm_mode_16_64 3
		.amdhsa_fp16_overflow 0
		.amdhsa_workgroup_processor_mode 1
		.amdhsa_memory_ordered 1
		.amdhsa_forward_progress 1
		.amdhsa_inst_pref_size 191
		.amdhsa_round_robin_scheduling 0
		.amdhsa_exception_fp_ieee_invalid_op 0
		.amdhsa_exception_fp_denorm_src 0
		.amdhsa_exception_fp_ieee_div_zero 0
		.amdhsa_exception_fp_ieee_overflow 0
		.amdhsa_exception_fp_ieee_underflow 0
		.amdhsa_exception_fp_ieee_inexact 0
		.amdhsa_exception_int_div_zero 0
	.end_amdhsa_kernel
	.section	.text._ZN9rocsolver6v33100L18getri_kernel_smallILi20E19rocblas_complex_numIdEPKPS3_EEvT1_iilPiilS8_bb,"axG",@progbits,_ZN9rocsolver6v33100L18getri_kernel_smallILi20E19rocblas_complex_numIdEPKPS3_EEvT1_iilPiilS8_bb,comdat
.Lfunc_end83:
	.size	_ZN9rocsolver6v33100L18getri_kernel_smallILi20E19rocblas_complex_numIdEPKPS3_EEvT1_iilPiilS8_bb, .Lfunc_end83-_ZN9rocsolver6v33100L18getri_kernel_smallILi20E19rocblas_complex_numIdEPKPS3_EEvT1_iilPiilS8_bb
                                        ; -- End function
	.set _ZN9rocsolver6v33100L18getri_kernel_smallILi20E19rocblas_complex_numIdEPKPS3_EEvT1_iilPiilS8_bb.num_vgpr, 113
	.set _ZN9rocsolver6v33100L18getri_kernel_smallILi20E19rocblas_complex_numIdEPKPS3_EEvT1_iilPiilS8_bb.num_agpr, 0
	.set _ZN9rocsolver6v33100L18getri_kernel_smallILi20E19rocblas_complex_numIdEPKPS3_EEvT1_iilPiilS8_bb.numbered_sgpr, 31
	.set _ZN9rocsolver6v33100L18getri_kernel_smallILi20E19rocblas_complex_numIdEPKPS3_EEvT1_iilPiilS8_bb.num_named_barrier, 0
	.set _ZN9rocsolver6v33100L18getri_kernel_smallILi20E19rocblas_complex_numIdEPKPS3_EEvT1_iilPiilS8_bb.private_seg_size, 352
	.set _ZN9rocsolver6v33100L18getri_kernel_smallILi20E19rocblas_complex_numIdEPKPS3_EEvT1_iilPiilS8_bb.uses_vcc, 1
	.set _ZN9rocsolver6v33100L18getri_kernel_smallILi20E19rocblas_complex_numIdEPKPS3_EEvT1_iilPiilS8_bb.uses_flat_scratch, 1
	.set _ZN9rocsolver6v33100L18getri_kernel_smallILi20E19rocblas_complex_numIdEPKPS3_EEvT1_iilPiilS8_bb.has_dyn_sized_stack, 0
	.set _ZN9rocsolver6v33100L18getri_kernel_smallILi20E19rocblas_complex_numIdEPKPS3_EEvT1_iilPiilS8_bb.has_recursion, 0
	.set _ZN9rocsolver6v33100L18getri_kernel_smallILi20E19rocblas_complex_numIdEPKPS3_EEvT1_iilPiilS8_bb.has_indirect_call, 0
	.section	.AMDGPU.csdata,"",@progbits
; Kernel info:
; codeLenInByte = 24436
; TotalNumSgprs: 33
; NumVgprs: 113
; ScratchSize: 352
; MemoryBound: 0
; FloatMode: 240
; IeeeMode: 1
; LDSByteSize: 648 bytes/workgroup (compile time only)
; SGPRBlocks: 0
; VGPRBlocks: 14
; NumSGPRsForWavesPerEU: 33
; NumVGPRsForWavesPerEU: 113
; Occupancy: 12
; WaveLimiterHint : 1
; COMPUTE_PGM_RSRC2:SCRATCH_EN: 1
; COMPUTE_PGM_RSRC2:USER_SGPR: 2
; COMPUTE_PGM_RSRC2:TRAP_HANDLER: 0
; COMPUTE_PGM_RSRC2:TGID_X_EN: 1
; COMPUTE_PGM_RSRC2:TGID_Y_EN: 0
; COMPUTE_PGM_RSRC2:TGID_Z_EN: 0
; COMPUTE_PGM_RSRC2:TIDIG_COMP_CNT: 0
	.section	.text._ZN9rocsolver6v33100L18getri_kernel_smallILi21E19rocblas_complex_numIdEPKPS3_EEvT1_iilPiilS8_bb,"axG",@progbits,_ZN9rocsolver6v33100L18getri_kernel_smallILi21E19rocblas_complex_numIdEPKPS3_EEvT1_iilPiilS8_bb,comdat
	.globl	_ZN9rocsolver6v33100L18getri_kernel_smallILi21E19rocblas_complex_numIdEPKPS3_EEvT1_iilPiilS8_bb ; -- Begin function _ZN9rocsolver6v33100L18getri_kernel_smallILi21E19rocblas_complex_numIdEPKPS3_EEvT1_iilPiilS8_bb
	.p2align	8
	.type	_ZN9rocsolver6v33100L18getri_kernel_smallILi21E19rocblas_complex_numIdEPKPS3_EEvT1_iilPiilS8_bb,@function
_ZN9rocsolver6v33100L18getri_kernel_smallILi21E19rocblas_complex_numIdEPKPS3_EEvT1_iilPiilS8_bb: ; @_ZN9rocsolver6v33100L18getri_kernel_smallILi21E19rocblas_complex_numIdEPKPS3_EEvT1_iilPiilS8_bb
; %bb.0:
	s_mov_b32 s2, exec_lo
	v_cmpx_gt_u32_e32 21, v0
	s_cbranch_execz .LBB84_98
; %bb.1:
	s_clause 0x1
	s_load_b32 s13, s[0:1], 0x38
	s_load_b64 s[2:3], s[0:1], 0x0
	s_mov_b32 s8, ttmp9
	s_load_b128 s[4:7], s[0:1], 0x28
	s_wait_kmcnt 0x0
	s_bitcmp1_b32 s13, 8
	s_cselect_b32 s12, -1, 0
	s_ashr_i32 s9, ttmp9, 31
	s_delay_alu instid0(SALU_CYCLE_1) | instskip(NEXT) | instid1(SALU_CYCLE_1)
	s_lshl_b64 s[10:11], s[8:9], 3
	s_add_nc_u64 s[2:3], s[2:3], s[10:11]
	s_load_b64 s[10:11], s[2:3], 0x0
	s_bfe_u32 s2, s13, 0x10008
	s_delay_alu instid0(SALU_CYCLE_1)
	s_cmp_eq_u32 s2, 0
                                        ; implicit-def: $sgpr2_sgpr3
	s_cbranch_scc1 .LBB84_3
; %bb.2:
	s_load_b96 s[16:18], s[0:1], 0x18
	s_mul_u64 s[2:3], s[4:5], s[8:9]
	s_delay_alu instid0(SALU_CYCLE_1)
	s_lshl_b64 s[2:3], s[2:3], 2
	s_wait_kmcnt 0x0
	s_ashr_i32 s5, s18, 31
	s_mov_b32 s4, s18
	s_add_nc_u64 s[2:3], s[16:17], s[2:3]
	s_lshl_b64 s[4:5], s[4:5], 2
	s_delay_alu instid0(SALU_CYCLE_1)
	s_add_nc_u64 s[2:3], s[2:3], s[4:5]
.LBB84_3:
	s_clause 0x1
	s_load_b64 s[4:5], s[0:1], 0x8
	s_load_b32 s29, s[0:1], 0x38
	v_lshlrev_b32_e32 v55, 4, v0
	s_mov_b32 s28, 32
	s_mov_b32 s27, 48
	;; [unrolled: 1-line block ×3, first 2 shown]
	s_wait_kmcnt 0x0
	s_ashr_i32 s1, s4, 31
	s_mov_b32 s0, s4
	v_add3_u32 v5, s5, s5, v0
	s_lshl_b64 s[0:1], s[0:1], 4
	s_delay_alu instid0(SALU_CYCLE_1)
	s_add_nc_u64 s[0:1], s[10:11], s[0:1]
	s_ashr_i32 s11, s5, 31
	v_add_co_u32 v13, s4, s0, v55
	s_wait_alu 0xf1ff
	v_add_co_ci_u32_e64 v14, null, s1, 0, s4
	s_mov_b32 s10, s5
	v_ashrrev_i32_e32 v6, 31, v5
	s_lshl_b64 s[10:11], s[10:11], 4
	flat_load_b128 v[1:4], v[13:14]
	v_add_co_u32 v15, vcc_lo, v13, s10
	s_delay_alu instid0(VALU_DEP_1) | instskip(SKIP_3) | instid1(VALU_DEP_2)
	v_add_co_ci_u32_e64 v16, null, s11, v14, vcc_lo
	v_lshlrev_b64_e32 v[6:7], 4, v[5:6]
	v_add_nc_u32_e32 v5, s5, v5
	s_movk_i32 s4, 0x50
	v_add_co_u32 v17, vcc_lo, s0, v6
	s_wait_alu 0xfffd
	s_delay_alu instid0(VALU_DEP_3) | instskip(SKIP_1) | instid1(VALU_DEP_1)
	v_add_co_ci_u32_e64 v18, null, s1, v7, vcc_lo
	v_ashrrev_i32_e32 v6, 31, v5
	v_lshlrev_b64_e32 v[6:7], 4, v[5:6]
	v_add_nc_u32_e32 v5, s5, v5
	s_delay_alu instid0(VALU_DEP_2) | instskip(SKIP_1) | instid1(VALU_DEP_3)
	v_add_co_u32 v19, vcc_lo, s0, v6
	s_wait_alu 0xfffd
	v_add_co_ci_u32_e64 v20, null, s1, v7, vcc_lo
	s_delay_alu instid0(VALU_DEP_3) | instskip(NEXT) | instid1(VALU_DEP_1)
	v_ashrrev_i32_e32 v6, 31, v5
	v_lshlrev_b64_e32 v[6:7], 4, v[5:6]
	v_add_nc_u32_e32 v5, s5, v5
	s_delay_alu instid0(VALU_DEP_2) | instskip(SKIP_1) | instid1(VALU_DEP_3)
	v_add_co_u32 v21, vcc_lo, s0, v6
	s_wait_alu 0xfffd
	v_add_co_ci_u32_e64 v22, null, s1, v7, vcc_lo
	s_delay_alu instid0(VALU_DEP_3) | instskip(NEXT) | instid1(VALU_DEP_1)
	;; [unrolled: 8-line block ×17, first 2 shown]
	v_ashrrev_i32_e32 v6, 31, v5
	v_lshlrev_b64_e32 v[5:6], 4, v[5:6]
	s_delay_alu instid0(VALU_DEP_1) | instskip(SKIP_1) | instid1(VALU_DEP_2)
	v_add_co_u32 v53, vcc_lo, s0, v5
	s_wait_alu 0xfffd
	v_add_co_ci_u32_e64 v54, null, s1, v6, vcc_lo
	s_movk_i32 s0, 0x50
	s_movk_i32 s1, 0x60
	s_wait_alu 0xfffe
	s_add_co_i32 s19, s0, 16
	s_add_co_i32 s5, s1, 16
	s_movk_i32 s0, 0x70
	s_movk_i32 s1, 0x80
	s_wait_alu 0xfffe
	s_add_co_i32 s20, s0, 16
	s_add_co_i32 s10, s1, 16
	;; [unrolled: 5-line block ×8, first 2 shown]
	s_bitcmp0_b32 s29, 0
	s_mov_b32 s1, -1
	s_wait_loadcnt_dscnt 0x0
	scratch_store_b128 off, v[1:4], off offset:16
	flat_load_b128 v[1:4], v[15:16]
	s_wait_loadcnt_dscnt 0x0
	scratch_store_b128 off, v[1:4], off offset:32
	flat_load_b128 v[1:4], v[17:18]
	;; [unrolled: 3-line block ×20, first 2 shown]
	s_wait_loadcnt_dscnt 0x0
	scratch_store_b128 off, v[1:4], off offset:336
	s_cbranch_scc1 .LBB84_96
; %bb.4:
	v_cmp_eq_u32_e64 s0, 0, v0
	s_and_saveexec_b32 s1, s0
; %bb.5:
	v_mov_b32_e32 v1, 0
	ds_store_b32 v1, v1 offset:672
; %bb.6:
	s_wait_alu 0xfffe
	s_or_b32 exec_lo, exec_lo, s1
	s_wait_storecnt_dscnt 0x0
	s_barrier_signal -1
	s_barrier_wait -1
	global_inv scope:SCOPE_SE
	scratch_load_b128 v[1:4], v55, off offset:16
	s_wait_loadcnt 0x0
	v_cmp_eq_f64_e32 vcc_lo, 0, v[1:2]
	v_cmp_eq_f64_e64 s1, 0, v[3:4]
	s_and_b32 s1, vcc_lo, s1
	s_wait_alu 0xfffe
	s_and_saveexec_b32 s29, s1
	s_cbranch_execz .LBB84_10
; %bb.7:
	v_mov_b32_e32 v1, 0
	s_mov_b32 s30, 0
	ds_load_b32 v2, v1 offset:672
	s_wait_dscnt 0x0
	v_readfirstlane_b32 s1, v2
	v_add_nc_u32_e32 v2, 1, v0
	s_cmp_eq_u32 s1, 0
	s_delay_alu instid0(VALU_DEP_1) | instskip(SKIP_1) | instid1(SALU_CYCLE_1)
	v_cmp_gt_i32_e32 vcc_lo, s1, v2
	s_cselect_b32 s31, -1, 0
	s_or_b32 s31, s31, vcc_lo
	s_delay_alu instid0(SALU_CYCLE_1)
	s_and_b32 exec_lo, exec_lo, s31
	s_cbranch_execz .LBB84_10
; %bb.8:
	v_mov_b32_e32 v3, s1
.LBB84_9:                               ; =>This Inner Loop Header: Depth=1
	ds_cmpstore_rtn_b32 v3, v1, v2, v3 offset:672
	s_wait_dscnt 0x0
	v_cmp_ne_u32_e32 vcc_lo, 0, v3
	v_cmp_le_i32_e64 s1, v3, v2
	s_and_b32 s1, vcc_lo, s1
	s_wait_alu 0xfffe
	s_and_b32 s1, exec_lo, s1
	s_wait_alu 0xfffe
	s_or_b32 s30, s1, s30
	s_delay_alu instid0(SALU_CYCLE_1)
	s_and_not1_b32 exec_lo, exec_lo, s30
	s_cbranch_execnz .LBB84_9
.LBB84_10:
	s_or_b32 exec_lo, exec_lo, s29
	v_mov_b32_e32 v1, 0
	s_barrier_signal -1
	s_barrier_wait -1
	global_inv scope:SCOPE_SE
	ds_load_b32 v2, v1 offset:672
	s_and_saveexec_b32 s1, s0
	s_cbranch_execz .LBB84_12
; %bb.11:
	s_lshl_b64 s[30:31], s[8:9], 2
	s_delay_alu instid0(SALU_CYCLE_1)
	s_add_nc_u64 s[30:31], s[6:7], s[30:31]
	s_wait_dscnt 0x0
	global_store_b32 v1, v2, s[30:31]
.LBB84_12:
	s_wait_alu 0xfffe
	s_or_b32 exec_lo, exec_lo, s1
	s_wait_dscnt 0x0
	v_cmp_ne_u32_e32 vcc_lo, 0, v2
	s_mov_b32 s1, 0
	s_cbranch_vccnz .LBB84_96
; %bb.13:
	v_add_nc_u32_e32 v56, 16, v55
                                        ; implicit-def: $vgpr1_vgpr2
                                        ; implicit-def: $vgpr9_vgpr10
	scratch_load_b128 v[5:8], v56, off
	s_wait_loadcnt 0x0
	v_cmp_ngt_f64_e64 s1, |v[5:6]|, |v[7:8]|
	s_wait_alu 0xfffe
	s_and_saveexec_b32 s29, s1
	s_delay_alu instid0(SALU_CYCLE_1)
	s_xor_b32 s1, exec_lo, s29
	s_cbranch_execz .LBB84_15
; %bb.14:
	v_div_scale_f64 v[1:2], null, v[7:8], v[7:8], v[5:6]
	v_div_scale_f64 v[11:12], vcc_lo, v[5:6], v[7:8], v[5:6]
	s_delay_alu instid0(VALU_DEP_2) | instskip(NEXT) | instid1(TRANS32_DEP_1)
	v_rcp_f64_e32 v[3:4], v[1:2]
	v_fma_f64 v[9:10], -v[1:2], v[3:4], 1.0
	s_delay_alu instid0(VALU_DEP_1) | instskip(NEXT) | instid1(VALU_DEP_1)
	v_fma_f64 v[3:4], v[3:4], v[9:10], v[3:4]
	v_fma_f64 v[9:10], -v[1:2], v[3:4], 1.0
	s_delay_alu instid0(VALU_DEP_1) | instskip(NEXT) | instid1(VALU_DEP_1)
	v_fma_f64 v[3:4], v[3:4], v[9:10], v[3:4]
	v_mul_f64_e32 v[9:10], v[11:12], v[3:4]
	s_delay_alu instid0(VALU_DEP_1) | instskip(SKIP_1) | instid1(VALU_DEP_1)
	v_fma_f64 v[1:2], -v[1:2], v[9:10], v[11:12]
	s_wait_alu 0xfffd
	v_div_fmas_f64 v[1:2], v[1:2], v[3:4], v[9:10]
	s_delay_alu instid0(VALU_DEP_1) | instskip(NEXT) | instid1(VALU_DEP_1)
	v_div_fixup_f64 v[1:2], v[1:2], v[7:8], v[5:6]
	v_fma_f64 v[3:4], v[5:6], v[1:2], v[7:8]
	s_delay_alu instid0(VALU_DEP_1) | instskip(SKIP_1) | instid1(VALU_DEP_2)
	v_div_scale_f64 v[5:6], null, v[3:4], v[3:4], 1.0
	v_div_scale_f64 v[11:12], vcc_lo, 1.0, v[3:4], 1.0
	v_rcp_f64_e32 v[7:8], v[5:6]
	s_delay_alu instid0(TRANS32_DEP_1) | instskip(NEXT) | instid1(VALU_DEP_1)
	v_fma_f64 v[9:10], -v[5:6], v[7:8], 1.0
	v_fma_f64 v[7:8], v[7:8], v[9:10], v[7:8]
	s_delay_alu instid0(VALU_DEP_1) | instskip(NEXT) | instid1(VALU_DEP_1)
	v_fma_f64 v[9:10], -v[5:6], v[7:8], 1.0
	v_fma_f64 v[7:8], v[7:8], v[9:10], v[7:8]
	s_delay_alu instid0(VALU_DEP_1) | instskip(NEXT) | instid1(VALU_DEP_1)
	v_mul_f64_e32 v[9:10], v[11:12], v[7:8]
	v_fma_f64 v[5:6], -v[5:6], v[9:10], v[11:12]
	s_wait_alu 0xfffd
	s_delay_alu instid0(VALU_DEP_1) | instskip(NEXT) | instid1(VALU_DEP_1)
	v_div_fmas_f64 v[5:6], v[5:6], v[7:8], v[9:10]
	v_div_fixup_f64 v[3:4], v[5:6], v[3:4], 1.0
                                        ; implicit-def: $vgpr5_vgpr6
	s_delay_alu instid0(VALU_DEP_1) | instskip(SKIP_1) | instid1(VALU_DEP_2)
	v_mul_f64_e32 v[1:2], v[1:2], v[3:4]
	v_xor_b32_e32 v4, 0x80000000, v4
	v_xor_b32_e32 v10, 0x80000000, v2
	s_delay_alu instid0(VALU_DEP_3)
	v_mov_b32_e32 v9, v1
.LBB84_15:
	s_wait_alu 0xfffe
	s_and_not1_saveexec_b32 s1, s1
	s_cbranch_execz .LBB84_17
; %bb.16:
	v_div_scale_f64 v[1:2], null, v[5:6], v[5:6], v[7:8]
	v_div_scale_f64 v[11:12], vcc_lo, v[7:8], v[5:6], v[7:8]
	s_delay_alu instid0(VALU_DEP_2) | instskip(NEXT) | instid1(TRANS32_DEP_1)
	v_rcp_f64_e32 v[3:4], v[1:2]
	v_fma_f64 v[9:10], -v[1:2], v[3:4], 1.0
	s_delay_alu instid0(VALU_DEP_1) | instskip(NEXT) | instid1(VALU_DEP_1)
	v_fma_f64 v[3:4], v[3:4], v[9:10], v[3:4]
	v_fma_f64 v[9:10], -v[1:2], v[3:4], 1.0
	s_delay_alu instid0(VALU_DEP_1) | instskip(NEXT) | instid1(VALU_DEP_1)
	v_fma_f64 v[3:4], v[3:4], v[9:10], v[3:4]
	v_mul_f64_e32 v[9:10], v[11:12], v[3:4]
	s_delay_alu instid0(VALU_DEP_1) | instskip(SKIP_1) | instid1(VALU_DEP_1)
	v_fma_f64 v[1:2], -v[1:2], v[9:10], v[11:12]
	s_wait_alu 0xfffd
	v_div_fmas_f64 v[1:2], v[1:2], v[3:4], v[9:10]
	s_delay_alu instid0(VALU_DEP_1) | instskip(NEXT) | instid1(VALU_DEP_1)
	v_div_fixup_f64 v[3:4], v[1:2], v[5:6], v[7:8]
	v_fma_f64 v[1:2], v[7:8], v[3:4], v[5:6]
	s_delay_alu instid0(VALU_DEP_1) | instskip(NEXT) | instid1(VALU_DEP_1)
	v_div_scale_f64 v[5:6], null, v[1:2], v[1:2], 1.0
	v_rcp_f64_e32 v[7:8], v[5:6]
	s_delay_alu instid0(TRANS32_DEP_1) | instskip(NEXT) | instid1(VALU_DEP_1)
	v_fma_f64 v[9:10], -v[5:6], v[7:8], 1.0
	v_fma_f64 v[7:8], v[7:8], v[9:10], v[7:8]
	s_delay_alu instid0(VALU_DEP_1) | instskip(NEXT) | instid1(VALU_DEP_1)
	v_fma_f64 v[9:10], -v[5:6], v[7:8], 1.0
	v_fma_f64 v[7:8], v[7:8], v[9:10], v[7:8]
	v_div_scale_f64 v[9:10], vcc_lo, 1.0, v[1:2], 1.0
	s_delay_alu instid0(VALU_DEP_1) | instskip(NEXT) | instid1(VALU_DEP_1)
	v_mul_f64_e32 v[11:12], v[9:10], v[7:8]
	v_fma_f64 v[5:6], -v[5:6], v[11:12], v[9:10]
	s_wait_alu 0xfffd
	s_delay_alu instid0(VALU_DEP_1) | instskip(NEXT) | instid1(VALU_DEP_1)
	v_div_fmas_f64 v[5:6], v[5:6], v[7:8], v[11:12]
	v_div_fixup_f64 v[1:2], v[5:6], v[1:2], 1.0
	s_delay_alu instid0(VALU_DEP_1)
	v_mul_f64_e64 v[3:4], v[3:4], -v[1:2]
	v_xor_b32_e32 v10, 0x80000000, v2
	v_mov_b32_e32 v9, v1
.LBB84_17:
	s_wait_alu 0xfffe
	s_or_b32 exec_lo, exec_lo, s1
	scratch_store_b128 v56, v[1:4], off
	scratch_load_b128 v[57:60], off, s28
	v_xor_b32_e32 v12, 0x80000000, v4
	v_mov_b32_e32 v11, v3
	v_add_nc_u32_e32 v5, 0x150, v55
	ds_store_b128 v55, v[9:12]
	s_wait_loadcnt 0x0
	ds_store_b128 v55, v[57:60] offset:336
	s_wait_storecnt_dscnt 0x0
	s_barrier_signal -1
	s_barrier_wait -1
	global_inv scope:SCOPE_SE
	s_and_saveexec_b32 s1, s0
	s_cbranch_execz .LBB84_19
; %bb.18:
	scratch_load_b128 v[1:4], v56, off
	ds_load_b128 v[6:9], v5
	v_mov_b32_e32 v10, 0
	ds_load_b128 v[57:60], v10 offset:16
	s_wait_loadcnt_dscnt 0x1
	v_mul_f64_e32 v[10:11], v[6:7], v[3:4]
	v_mul_f64_e32 v[3:4], v[8:9], v[3:4]
	s_delay_alu instid0(VALU_DEP_2) | instskip(NEXT) | instid1(VALU_DEP_2)
	v_fma_f64 v[8:9], v[8:9], v[1:2], v[10:11]
	v_fma_f64 v[1:2], v[6:7], v[1:2], -v[3:4]
	s_delay_alu instid0(VALU_DEP_2) | instskip(NEXT) | instid1(VALU_DEP_2)
	v_add_f64_e32 v[3:4], 0, v[8:9]
	v_add_f64_e32 v[1:2], 0, v[1:2]
	s_wait_dscnt 0x0
	s_delay_alu instid0(VALU_DEP_2) | instskip(NEXT) | instid1(VALU_DEP_2)
	v_mul_f64_e32 v[6:7], v[3:4], v[59:60]
	v_mul_f64_e32 v[8:9], v[1:2], v[59:60]
	s_delay_alu instid0(VALU_DEP_2) | instskip(NEXT) | instid1(VALU_DEP_2)
	v_fma_f64 v[1:2], v[1:2], v[57:58], -v[6:7]
	v_fma_f64 v[3:4], v[3:4], v[57:58], v[8:9]
	scratch_store_b128 off, v[1:4], off offset:32
.LBB84_19:
	s_wait_alu 0xfffe
	s_or_b32 exec_lo, exec_lo, s1
	s_wait_loadcnt 0x0
	s_wait_storecnt 0x0
	s_barrier_signal -1
	s_barrier_wait -1
	global_inv scope:SCOPE_SE
	scratch_load_b128 v[1:4], off, s27
	s_mov_b32 s1, exec_lo
	s_wait_loadcnt 0x0
	ds_store_b128 v5, v[1:4]
	s_wait_dscnt 0x0
	s_barrier_signal -1
	s_barrier_wait -1
	global_inv scope:SCOPE_SE
	v_cmpx_gt_u32_e32 2, v0
	s_cbranch_execz .LBB84_23
; %bb.20:
	scratch_load_b128 v[1:4], v56, off
	ds_load_b128 v[6:9], v5
	s_wait_loadcnt_dscnt 0x0
	v_mul_f64_e32 v[10:11], v[8:9], v[3:4]
	v_mul_f64_e32 v[3:4], v[6:7], v[3:4]
	s_delay_alu instid0(VALU_DEP_2) | instskip(NEXT) | instid1(VALU_DEP_2)
	v_fma_f64 v[6:7], v[6:7], v[1:2], -v[10:11]
	v_fma_f64 v[3:4], v[8:9], v[1:2], v[3:4]
	s_delay_alu instid0(VALU_DEP_2) | instskip(NEXT) | instid1(VALU_DEP_2)
	v_add_f64_e32 v[1:2], 0, v[6:7]
	v_add_f64_e32 v[3:4], 0, v[3:4]
	s_and_saveexec_b32 s29, s0
	s_cbranch_execz .LBB84_22
; %bb.21:
	scratch_load_b128 v[6:9], off, off offset:32
	v_mov_b32_e32 v10, 0
	ds_load_b128 v[57:60], v10 offset:352
	s_wait_loadcnt_dscnt 0x0
	v_mul_f64_e32 v[10:11], v[57:58], v[8:9]
	v_mul_f64_e32 v[8:9], v[59:60], v[8:9]
	s_delay_alu instid0(VALU_DEP_2) | instskip(NEXT) | instid1(VALU_DEP_2)
	v_fma_f64 v[10:11], v[59:60], v[6:7], v[10:11]
	v_fma_f64 v[6:7], v[57:58], v[6:7], -v[8:9]
	s_delay_alu instid0(VALU_DEP_2) | instskip(NEXT) | instid1(VALU_DEP_2)
	v_add_f64_e32 v[3:4], v[3:4], v[10:11]
	v_add_f64_e32 v[1:2], v[1:2], v[6:7]
.LBB84_22:
	s_or_b32 exec_lo, exec_lo, s29
	v_mov_b32_e32 v6, 0
	ds_load_b128 v[6:9], v6 offset:32
	s_wait_dscnt 0x0
	v_mul_f64_e32 v[10:11], v[3:4], v[8:9]
	v_mul_f64_e32 v[8:9], v[1:2], v[8:9]
	s_delay_alu instid0(VALU_DEP_2) | instskip(NEXT) | instid1(VALU_DEP_2)
	v_fma_f64 v[1:2], v[1:2], v[6:7], -v[10:11]
	v_fma_f64 v[3:4], v[3:4], v[6:7], v[8:9]
	scratch_store_b128 off, v[1:4], off offset:48
.LBB84_23:
	s_wait_alu 0xfffe
	s_or_b32 exec_lo, exec_lo, s1
	s_wait_loadcnt 0x0
	s_wait_storecnt 0x0
	s_barrier_signal -1
	s_barrier_wait -1
	global_inv scope:SCOPE_SE
	scratch_load_b128 v[1:4], off, s18
	v_add_nc_u32_e32 v6, -1, v0
	s_mov_b32 s0, exec_lo
	s_wait_loadcnt 0x0
	ds_store_b128 v5, v[1:4]
	s_wait_dscnt 0x0
	s_barrier_signal -1
	s_barrier_wait -1
	global_inv scope:SCOPE_SE
	v_cmpx_gt_u32_e32 3, v0
	s_cbranch_execz .LBB84_27
; %bb.24:
	v_dual_mov_b32 v1, 0 :: v_dual_add_nc_u32 v8, 0x150, v55
	v_mov_b32_e32 v3, 0
	v_dual_mov_b32 v2, 0 :: v_dual_add_nc_u32 v7, -1, v0
	v_mov_b32_e32 v4, 0
	v_or_b32_e32 v9, 8, v56
	s_mov_b32 s1, 0
.LBB84_25:                              ; =>This Inner Loop Header: Depth=1
	scratch_load_b128 v[57:60], v9, off offset:-8
	ds_load_b128 v[61:64], v8
	v_add_nc_u32_e32 v7, 1, v7
	v_add_nc_u32_e32 v8, 16, v8
	v_add_nc_u32_e32 v9, 16, v9
	s_delay_alu instid0(VALU_DEP_3)
	v_cmp_lt_u32_e32 vcc_lo, 1, v7
	s_wait_alu 0xfffe
	s_or_b32 s1, vcc_lo, s1
	s_wait_loadcnt_dscnt 0x0
	v_mul_f64_e32 v[10:11], v[63:64], v[59:60]
	v_mul_f64_e32 v[59:60], v[61:62], v[59:60]
	s_delay_alu instid0(VALU_DEP_2) | instskip(NEXT) | instid1(VALU_DEP_2)
	v_fma_f64 v[10:11], v[61:62], v[57:58], -v[10:11]
	v_fma_f64 v[57:58], v[63:64], v[57:58], v[59:60]
	s_delay_alu instid0(VALU_DEP_2) | instskip(NEXT) | instid1(VALU_DEP_2)
	v_add_f64_e32 v[3:4], v[3:4], v[10:11]
	v_add_f64_e32 v[1:2], v[1:2], v[57:58]
	s_wait_alu 0xfffe
	s_and_not1_b32 exec_lo, exec_lo, s1
	s_cbranch_execnz .LBB84_25
; %bb.26:
	s_or_b32 exec_lo, exec_lo, s1
	v_mov_b32_e32 v7, 0
	ds_load_b128 v[7:10], v7 offset:48
	s_wait_dscnt 0x0
	v_mul_f64_e32 v[11:12], v[1:2], v[9:10]
	v_mul_f64_e32 v[57:58], v[3:4], v[9:10]
	s_delay_alu instid0(VALU_DEP_2) | instskip(NEXT) | instid1(VALU_DEP_2)
	v_fma_f64 v[9:10], v[3:4], v[7:8], -v[11:12]
	v_fma_f64 v[11:12], v[1:2], v[7:8], v[57:58]
	scratch_store_b128 off, v[9:12], off offset:64
.LBB84_27:
	s_wait_alu 0xfffe
	s_or_b32 exec_lo, exec_lo, s0
	s_wait_loadcnt 0x0
	s_wait_storecnt 0x0
	s_barrier_signal -1
	s_barrier_wait -1
	global_inv scope:SCOPE_SE
	scratch_load_b128 v[1:4], off, s4
	s_mov_b32 s0, exec_lo
	s_wait_loadcnt 0x0
	ds_store_b128 v5, v[1:4]
	s_wait_dscnt 0x0
	s_barrier_signal -1
	s_barrier_wait -1
	global_inv scope:SCOPE_SE
	v_cmpx_gt_u32_e32 4, v0
	s_cbranch_execz .LBB84_31
; %bb.28:
	v_dual_mov_b32 v1, 0 :: v_dual_add_nc_u32 v8, 0x150, v55
	v_mov_b32_e32 v3, 0
	v_dual_mov_b32 v2, 0 :: v_dual_add_nc_u32 v7, -1, v0
	v_mov_b32_e32 v4, 0
	v_or_b32_e32 v9, 8, v56
	s_mov_b32 s1, 0
.LBB84_29:                              ; =>This Inner Loop Header: Depth=1
	scratch_load_b128 v[57:60], v9, off offset:-8
	ds_load_b128 v[61:64], v8
	v_add_nc_u32_e32 v7, 1, v7
	v_add_nc_u32_e32 v8, 16, v8
	v_add_nc_u32_e32 v9, 16, v9
	s_delay_alu instid0(VALU_DEP_3)
	v_cmp_lt_u32_e32 vcc_lo, 2, v7
	s_wait_alu 0xfffe
	s_or_b32 s1, vcc_lo, s1
	s_wait_loadcnt_dscnt 0x0
	v_mul_f64_e32 v[10:11], v[63:64], v[59:60]
	v_mul_f64_e32 v[59:60], v[61:62], v[59:60]
	s_delay_alu instid0(VALU_DEP_2) | instskip(NEXT) | instid1(VALU_DEP_2)
	v_fma_f64 v[10:11], v[61:62], v[57:58], -v[10:11]
	v_fma_f64 v[57:58], v[63:64], v[57:58], v[59:60]
	s_delay_alu instid0(VALU_DEP_2) | instskip(NEXT) | instid1(VALU_DEP_2)
	v_add_f64_e32 v[3:4], v[3:4], v[10:11]
	v_add_f64_e32 v[1:2], v[1:2], v[57:58]
	s_wait_alu 0xfffe
	s_and_not1_b32 exec_lo, exec_lo, s1
	s_cbranch_execnz .LBB84_29
; %bb.30:
	s_or_b32 exec_lo, exec_lo, s1
	v_mov_b32_e32 v7, 0
	ds_load_b128 v[7:10], v7 offset:64
	s_wait_dscnt 0x0
	v_mul_f64_e32 v[11:12], v[1:2], v[9:10]
	v_mul_f64_e32 v[57:58], v[3:4], v[9:10]
	s_delay_alu instid0(VALU_DEP_2) | instskip(NEXT) | instid1(VALU_DEP_2)
	v_fma_f64 v[9:10], v[3:4], v[7:8], -v[11:12]
	v_fma_f64 v[11:12], v[1:2], v[7:8], v[57:58]
	scratch_store_b128 off, v[9:12], off offset:80
.LBB84_31:
	s_wait_alu 0xfffe
	s_or_b32 exec_lo, exec_lo, s0
	s_wait_loadcnt 0x0
	s_wait_storecnt 0x0
	s_barrier_signal -1
	s_barrier_wait -1
	global_inv scope:SCOPE_SE
	scratch_load_b128 v[1:4], off, s19
	;; [unrolled: 58-line block ×17, first 2 shown]
	s_mov_b32 s0, exec_lo
	s_wait_loadcnt 0x0
	ds_store_b128 v5, v[1:4]
	s_wait_dscnt 0x0
	s_barrier_signal -1
	s_barrier_wait -1
	global_inv scope:SCOPE_SE
	v_cmpx_ne_u32_e32 20, v0
	s_cbranch_execz .LBB84_95
; %bb.92:
	v_mov_b32_e32 v1, 0
	v_dual_mov_b32 v2, 0 :: v_dual_mov_b32 v3, 0
	v_mov_b32_e32 v4, 0
	v_or_b32_e32 v7, 8, v56
	s_mov_b32 s1, 0
.LBB84_93:                              ; =>This Inner Loop Header: Depth=1
	scratch_load_b128 v[8:11], v7, off offset:-8
	ds_load_b128 v[55:58], v5
	v_add_nc_u32_e32 v6, 1, v6
	v_add_nc_u32_e32 v5, 16, v5
	v_add_nc_u32_e32 v7, 16, v7
	s_delay_alu instid0(VALU_DEP_3)
	v_cmp_lt_u32_e32 vcc_lo, 18, v6
	s_wait_alu 0xfffe
	s_or_b32 s1, vcc_lo, s1
	s_wait_loadcnt_dscnt 0x0
	v_mul_f64_e32 v[59:60], v[57:58], v[10:11]
	v_mul_f64_e32 v[10:11], v[55:56], v[10:11]
	s_delay_alu instid0(VALU_DEP_2) | instskip(NEXT) | instid1(VALU_DEP_2)
	v_fma_f64 v[55:56], v[55:56], v[8:9], -v[59:60]
	v_fma_f64 v[8:9], v[57:58], v[8:9], v[10:11]
	s_delay_alu instid0(VALU_DEP_2) | instskip(NEXT) | instid1(VALU_DEP_2)
	v_add_f64_e32 v[3:4], v[3:4], v[55:56]
	v_add_f64_e32 v[1:2], v[1:2], v[8:9]
	s_wait_alu 0xfffe
	s_and_not1_b32 exec_lo, exec_lo, s1
	s_cbranch_execnz .LBB84_93
; %bb.94:
	s_or_b32 exec_lo, exec_lo, s1
	v_mov_b32_e32 v5, 0
	ds_load_b128 v[5:8], v5 offset:320
	s_wait_dscnt 0x0
	v_mul_f64_e32 v[9:10], v[1:2], v[7:8]
	v_mul_f64_e32 v[7:8], v[3:4], v[7:8]
	s_delay_alu instid0(VALU_DEP_2) | instskip(NEXT) | instid1(VALU_DEP_2)
	v_fma_f64 v[3:4], v[3:4], v[5:6], -v[9:10]
	v_fma_f64 v[5:6], v[1:2], v[5:6], v[7:8]
	scratch_store_b128 off, v[3:6], off offset:336
.LBB84_95:
	s_wait_alu 0xfffe
	s_or_b32 exec_lo, exec_lo, s0
	s_mov_b32 s1, -1
	s_wait_loadcnt 0x0
	s_wait_storecnt 0x0
	s_barrier_signal -1
	s_barrier_wait -1
	global_inv scope:SCOPE_SE
.LBB84_96:
	s_wait_alu 0xfffe
	s_and_b32 vcc_lo, exec_lo, s1
	s_wait_alu 0xfffe
	s_cbranch_vccz .LBB84_98
; %bb.97:
	v_mov_b32_e32 v1, 0
	s_lshl_b64 s[0:1], s[8:9], 2
	s_wait_alu 0xfffe
	s_add_nc_u64 s[0:1], s[6:7], s[0:1]
	global_load_b32 v1, v1, s[0:1]
	s_wait_loadcnt 0x0
	v_cmp_ne_u32_e32 vcc_lo, 0, v1
	s_cbranch_vccz .LBB84_99
.LBB84_98:
	s_nop 0
	s_sendmsg sendmsg(MSG_DEALLOC_VGPRS)
	s_endpgm
.LBB84_99:
	v_lshl_add_u32 v5, v0, 4, 0x150
	s_mov_b32 s0, exec_lo
	v_cmpx_eq_u32_e32 20, v0
	s_cbranch_execz .LBB84_101
; %bb.100:
	scratch_load_b128 v[1:4], off, s26
	v_mov_b32_e32 v6, 0
	s_delay_alu instid0(VALU_DEP_1)
	v_dual_mov_b32 v7, v6 :: v_dual_mov_b32 v8, v6
	v_mov_b32_e32 v9, v6
	scratch_store_b128 off, v[6:9], off offset:320
	s_wait_loadcnt 0x0
	ds_store_b128 v5, v[1:4]
.LBB84_101:
	s_wait_alu 0xfffe
	s_or_b32 exec_lo, exec_lo, s0
	s_wait_storecnt_dscnt 0x0
	s_barrier_signal -1
	s_barrier_wait -1
	global_inv scope:SCOPE_SE
	s_clause 0x1
	scratch_load_b128 v[6:9], off, off offset:336
	scratch_load_b128 v[55:58], off, off offset:320
	v_mov_b32_e32 v1, 0
	s_mov_b32 s0, exec_lo
	ds_load_b128 v[59:62], v1 offset:656
	s_wait_loadcnt_dscnt 0x100
	v_mul_f64_e32 v[2:3], v[61:62], v[8:9]
	v_mul_f64_e32 v[8:9], v[59:60], v[8:9]
	s_delay_alu instid0(VALU_DEP_2) | instskip(NEXT) | instid1(VALU_DEP_2)
	v_fma_f64 v[2:3], v[59:60], v[6:7], -v[2:3]
	v_fma_f64 v[6:7], v[61:62], v[6:7], v[8:9]
	s_delay_alu instid0(VALU_DEP_2) | instskip(NEXT) | instid1(VALU_DEP_2)
	v_add_f64_e32 v[2:3], 0, v[2:3]
	v_add_f64_e32 v[8:9], 0, v[6:7]
	s_wait_loadcnt 0x0
	s_delay_alu instid0(VALU_DEP_2) | instskip(NEXT) | instid1(VALU_DEP_2)
	v_add_f64_e64 v[6:7], v[55:56], -v[2:3]
	v_add_f64_e64 v[8:9], v[57:58], -v[8:9]
	scratch_store_b128 off, v[6:9], off offset:320
	v_cmpx_lt_u32_e32 18, v0
	s_cbranch_execz .LBB84_103
; %bb.102:
	scratch_load_b128 v[6:9], off, s16
	v_dual_mov_b32 v2, v1 :: v_dual_mov_b32 v3, v1
	v_mov_b32_e32 v4, v1
	scratch_store_b128 off, v[1:4], off offset:304
	s_wait_loadcnt 0x0
	ds_store_b128 v5, v[6:9]
.LBB84_103:
	s_wait_alu 0xfffe
	s_or_b32 exec_lo, exec_lo, s0
	s_wait_storecnt_dscnt 0x0
	s_barrier_signal -1
	s_barrier_wait -1
	global_inv scope:SCOPE_SE
	s_clause 0x2
	scratch_load_b128 v[6:9], off, off offset:320
	scratch_load_b128 v[55:58], off, off offset:336
	;; [unrolled: 1-line block ×3, first 2 shown]
	ds_load_b128 v[63:66], v1 offset:640
	ds_load_b128 v[1:4], v1 offset:656
	s_mov_b32 s0, exec_lo
	s_wait_loadcnt_dscnt 0x201
	v_mul_f64_e32 v[10:11], v[65:66], v[8:9]
	v_mul_f64_e32 v[8:9], v[63:64], v[8:9]
	s_wait_loadcnt_dscnt 0x100
	v_mul_f64_e32 v[67:68], v[1:2], v[57:58]
	v_mul_f64_e32 v[57:58], v[3:4], v[57:58]
	s_delay_alu instid0(VALU_DEP_4) | instskip(NEXT) | instid1(VALU_DEP_4)
	v_fma_f64 v[10:11], v[63:64], v[6:7], -v[10:11]
	v_fma_f64 v[6:7], v[65:66], v[6:7], v[8:9]
	s_delay_alu instid0(VALU_DEP_4) | instskip(NEXT) | instid1(VALU_DEP_4)
	v_fma_f64 v[3:4], v[3:4], v[55:56], v[67:68]
	v_fma_f64 v[1:2], v[1:2], v[55:56], -v[57:58]
	s_delay_alu instid0(VALU_DEP_4) | instskip(NEXT) | instid1(VALU_DEP_4)
	v_add_f64_e32 v[8:9], 0, v[10:11]
	v_add_f64_e32 v[6:7], 0, v[6:7]
	s_delay_alu instid0(VALU_DEP_2) | instskip(NEXT) | instid1(VALU_DEP_2)
	v_add_f64_e32 v[1:2], v[8:9], v[1:2]
	v_add_f64_e32 v[3:4], v[6:7], v[3:4]
	s_wait_loadcnt 0x0
	s_delay_alu instid0(VALU_DEP_2) | instskip(NEXT) | instid1(VALU_DEP_2)
	v_add_f64_e64 v[1:2], v[59:60], -v[1:2]
	v_add_f64_e64 v[3:4], v[61:62], -v[3:4]
	scratch_store_b128 off, v[1:4], off offset:304
	v_cmpx_lt_u32_e32 17, v0
	s_cbranch_execz .LBB84_105
; %bb.104:
	scratch_load_b128 v[1:4], off, s25
	v_mov_b32_e32 v6, 0
	s_delay_alu instid0(VALU_DEP_1)
	v_dual_mov_b32 v7, v6 :: v_dual_mov_b32 v8, v6
	v_mov_b32_e32 v9, v6
	scratch_store_b128 off, v[6:9], off offset:288
	s_wait_loadcnt 0x0
	ds_store_b128 v5, v[1:4]
.LBB84_105:
	s_wait_alu 0xfffe
	s_or_b32 exec_lo, exec_lo, s0
	s_wait_storecnt_dscnt 0x0
	s_barrier_signal -1
	s_barrier_wait -1
	global_inv scope:SCOPE_SE
	s_clause 0x3
	scratch_load_b128 v[6:9], off, off offset:304
	scratch_load_b128 v[55:58], off, off offset:320
	;; [unrolled: 1-line block ×4, first 2 shown]
	v_mov_b32_e32 v1, 0
	ds_load_b128 v[67:70], v1 offset:624
	ds_load_b128 v[71:74], v1 offset:640
	s_mov_b32 s0, exec_lo
	s_wait_loadcnt_dscnt 0x301
	v_mul_f64_e32 v[2:3], v[69:70], v[8:9]
	v_mul_f64_e32 v[8:9], v[67:68], v[8:9]
	s_wait_loadcnt_dscnt 0x200
	v_mul_f64_e32 v[10:11], v[71:72], v[57:58]
	v_mul_f64_e32 v[57:58], v[73:74], v[57:58]
	s_delay_alu instid0(VALU_DEP_4) | instskip(NEXT) | instid1(VALU_DEP_4)
	v_fma_f64 v[2:3], v[67:68], v[6:7], -v[2:3]
	v_fma_f64 v[67:68], v[69:70], v[6:7], v[8:9]
	ds_load_b128 v[6:9], v1 offset:656
	v_fma_f64 v[10:11], v[73:74], v[55:56], v[10:11]
	v_fma_f64 v[55:56], v[71:72], v[55:56], -v[57:58]
	s_wait_loadcnt_dscnt 0x100
	v_mul_f64_e32 v[69:70], v[6:7], v[61:62]
	v_mul_f64_e32 v[61:62], v[8:9], v[61:62]
	v_add_f64_e32 v[2:3], 0, v[2:3]
	v_add_f64_e32 v[57:58], 0, v[67:68]
	s_delay_alu instid0(VALU_DEP_4) | instskip(NEXT) | instid1(VALU_DEP_4)
	v_fma_f64 v[8:9], v[8:9], v[59:60], v[69:70]
	v_fma_f64 v[6:7], v[6:7], v[59:60], -v[61:62]
	s_delay_alu instid0(VALU_DEP_4) | instskip(NEXT) | instid1(VALU_DEP_4)
	v_add_f64_e32 v[2:3], v[2:3], v[55:56]
	v_add_f64_e32 v[10:11], v[57:58], v[10:11]
	s_delay_alu instid0(VALU_DEP_2) | instskip(NEXT) | instid1(VALU_DEP_2)
	v_add_f64_e32 v[2:3], v[2:3], v[6:7]
	v_add_f64_e32 v[8:9], v[10:11], v[8:9]
	s_wait_loadcnt 0x0
	s_delay_alu instid0(VALU_DEP_2) | instskip(NEXT) | instid1(VALU_DEP_2)
	v_add_f64_e64 v[6:7], v[63:64], -v[2:3]
	v_add_f64_e64 v[8:9], v[65:66], -v[8:9]
	scratch_store_b128 off, v[6:9], off offset:288
	v_cmpx_lt_u32_e32 16, v0
	s_cbranch_execz .LBB84_107
; %bb.106:
	scratch_load_b128 v[6:9], off, s15
	v_dual_mov_b32 v2, v1 :: v_dual_mov_b32 v3, v1
	v_mov_b32_e32 v4, v1
	scratch_store_b128 off, v[1:4], off offset:272
	s_wait_loadcnt 0x0
	ds_store_b128 v5, v[6:9]
.LBB84_107:
	s_wait_alu 0xfffe
	s_or_b32 exec_lo, exec_lo, s0
	s_wait_storecnt_dscnt 0x0
	s_barrier_signal -1
	s_barrier_wait -1
	global_inv scope:SCOPE_SE
	s_clause 0x4
	scratch_load_b128 v[6:9], off, off offset:288
	scratch_load_b128 v[55:58], off, off offset:304
	scratch_load_b128 v[59:62], off, off offset:320
	scratch_load_b128 v[63:66], off, off offset:336
	scratch_load_b128 v[67:70], off, off offset:272
	ds_load_b128 v[71:74], v1 offset:608
	ds_load_b128 v[75:78], v1 offset:624
	s_mov_b32 s0, exec_lo
	s_wait_loadcnt_dscnt 0x401
	v_mul_f64_e32 v[2:3], v[73:74], v[8:9]
	v_mul_f64_e32 v[8:9], v[71:72], v[8:9]
	s_wait_loadcnt_dscnt 0x300
	v_mul_f64_e32 v[10:11], v[75:76], v[57:58]
	v_mul_f64_e32 v[57:58], v[77:78], v[57:58]
	s_delay_alu instid0(VALU_DEP_4) | instskip(NEXT) | instid1(VALU_DEP_4)
	v_fma_f64 v[71:72], v[71:72], v[6:7], -v[2:3]
	v_fma_f64 v[73:74], v[73:74], v[6:7], v[8:9]
	ds_load_b128 v[6:9], v1 offset:640
	ds_load_b128 v[1:4], v1 offset:656
	v_fma_f64 v[10:11], v[77:78], v[55:56], v[10:11]
	v_fma_f64 v[55:56], v[75:76], v[55:56], -v[57:58]
	s_wait_loadcnt_dscnt 0x201
	v_mul_f64_e32 v[79:80], v[6:7], v[61:62]
	v_mul_f64_e32 v[61:62], v[8:9], v[61:62]
	v_add_f64_e32 v[57:58], 0, v[71:72]
	v_add_f64_e32 v[71:72], 0, v[73:74]
	s_wait_loadcnt_dscnt 0x100
	v_mul_f64_e32 v[73:74], v[1:2], v[65:66]
	v_mul_f64_e32 v[65:66], v[3:4], v[65:66]
	v_fma_f64 v[8:9], v[8:9], v[59:60], v[79:80]
	v_fma_f64 v[6:7], v[6:7], v[59:60], -v[61:62]
	v_add_f64_e32 v[55:56], v[57:58], v[55:56]
	v_add_f64_e32 v[10:11], v[71:72], v[10:11]
	v_fma_f64 v[3:4], v[3:4], v[63:64], v[73:74]
	v_fma_f64 v[1:2], v[1:2], v[63:64], -v[65:66]
	s_delay_alu instid0(VALU_DEP_4) | instskip(NEXT) | instid1(VALU_DEP_4)
	v_add_f64_e32 v[6:7], v[55:56], v[6:7]
	v_add_f64_e32 v[8:9], v[10:11], v[8:9]
	s_delay_alu instid0(VALU_DEP_2) | instskip(NEXT) | instid1(VALU_DEP_2)
	v_add_f64_e32 v[1:2], v[6:7], v[1:2]
	v_add_f64_e32 v[3:4], v[8:9], v[3:4]
	s_wait_loadcnt 0x0
	s_delay_alu instid0(VALU_DEP_2) | instskip(NEXT) | instid1(VALU_DEP_2)
	v_add_f64_e64 v[1:2], v[67:68], -v[1:2]
	v_add_f64_e64 v[3:4], v[69:70], -v[3:4]
	scratch_store_b128 off, v[1:4], off offset:272
	v_cmpx_lt_u32_e32 15, v0
	s_cbranch_execz .LBB84_109
; %bb.108:
	scratch_load_b128 v[1:4], off, s24
	v_mov_b32_e32 v6, 0
	s_delay_alu instid0(VALU_DEP_1)
	v_dual_mov_b32 v7, v6 :: v_dual_mov_b32 v8, v6
	v_mov_b32_e32 v9, v6
	scratch_store_b128 off, v[6:9], off offset:256
	s_wait_loadcnt 0x0
	ds_store_b128 v5, v[1:4]
.LBB84_109:
	s_wait_alu 0xfffe
	s_or_b32 exec_lo, exec_lo, s0
	s_wait_storecnt_dscnt 0x0
	s_barrier_signal -1
	s_barrier_wait -1
	global_inv scope:SCOPE_SE
	s_clause 0x5
	scratch_load_b128 v[6:9], off, off offset:272
	scratch_load_b128 v[55:58], off, off offset:288
	;; [unrolled: 1-line block ×6, first 2 shown]
	v_mov_b32_e32 v1, 0
	ds_load_b128 v[75:78], v1 offset:592
	ds_load_b128 v[79:82], v1 offset:608
	s_mov_b32 s0, exec_lo
	s_wait_loadcnt_dscnt 0x501
	v_mul_f64_e32 v[2:3], v[77:78], v[8:9]
	v_mul_f64_e32 v[8:9], v[75:76], v[8:9]
	s_wait_loadcnt_dscnt 0x400
	v_mul_f64_e32 v[10:11], v[79:80], v[57:58]
	v_mul_f64_e32 v[57:58], v[81:82], v[57:58]
	s_delay_alu instid0(VALU_DEP_4) | instskip(NEXT) | instid1(VALU_DEP_4)
	v_fma_f64 v[2:3], v[75:76], v[6:7], -v[2:3]
	v_fma_f64 v[83:84], v[77:78], v[6:7], v[8:9]
	ds_load_b128 v[6:9], v1 offset:624
	ds_load_b128 v[75:78], v1 offset:640
	v_fma_f64 v[10:11], v[81:82], v[55:56], v[10:11]
	v_fma_f64 v[55:56], v[79:80], v[55:56], -v[57:58]
	s_wait_loadcnt_dscnt 0x301
	v_mul_f64_e32 v[85:86], v[6:7], v[61:62]
	v_mul_f64_e32 v[61:62], v[8:9], v[61:62]
	s_wait_loadcnt_dscnt 0x200
	v_mul_f64_e32 v[79:80], v[75:76], v[65:66]
	v_mul_f64_e32 v[65:66], v[77:78], v[65:66]
	v_add_f64_e32 v[2:3], 0, v[2:3]
	v_add_f64_e32 v[57:58], 0, v[83:84]
	v_fma_f64 v[81:82], v[8:9], v[59:60], v[85:86]
	v_fma_f64 v[59:60], v[6:7], v[59:60], -v[61:62]
	ds_load_b128 v[6:9], v1 offset:656
	v_fma_f64 v[61:62], v[77:78], v[63:64], v[79:80]
	v_fma_f64 v[63:64], v[75:76], v[63:64], -v[65:66]
	v_add_f64_e32 v[2:3], v[2:3], v[55:56]
	v_add_f64_e32 v[10:11], v[57:58], v[10:11]
	s_wait_loadcnt_dscnt 0x100
	v_mul_f64_e32 v[55:56], v[6:7], v[69:70]
	v_mul_f64_e32 v[57:58], v[8:9], v[69:70]
	s_delay_alu instid0(VALU_DEP_4) | instskip(NEXT) | instid1(VALU_DEP_4)
	v_add_f64_e32 v[2:3], v[2:3], v[59:60]
	v_add_f64_e32 v[10:11], v[10:11], v[81:82]
	s_delay_alu instid0(VALU_DEP_4) | instskip(NEXT) | instid1(VALU_DEP_4)
	v_fma_f64 v[8:9], v[8:9], v[67:68], v[55:56]
	v_fma_f64 v[6:7], v[6:7], v[67:68], -v[57:58]
	s_delay_alu instid0(VALU_DEP_4) | instskip(NEXT) | instid1(VALU_DEP_4)
	v_add_f64_e32 v[2:3], v[2:3], v[63:64]
	v_add_f64_e32 v[10:11], v[10:11], v[61:62]
	s_delay_alu instid0(VALU_DEP_2) | instskip(NEXT) | instid1(VALU_DEP_2)
	v_add_f64_e32 v[2:3], v[2:3], v[6:7]
	v_add_f64_e32 v[8:9], v[10:11], v[8:9]
	s_wait_loadcnt 0x0
	s_delay_alu instid0(VALU_DEP_2) | instskip(NEXT) | instid1(VALU_DEP_2)
	v_add_f64_e64 v[6:7], v[71:72], -v[2:3]
	v_add_f64_e64 v[8:9], v[73:74], -v[8:9]
	scratch_store_b128 off, v[6:9], off offset:256
	v_cmpx_lt_u32_e32 14, v0
	s_cbranch_execz .LBB84_111
; %bb.110:
	scratch_load_b128 v[6:9], off, s14
	v_dual_mov_b32 v2, v1 :: v_dual_mov_b32 v3, v1
	v_mov_b32_e32 v4, v1
	scratch_store_b128 off, v[1:4], off offset:240
	s_wait_loadcnt 0x0
	ds_store_b128 v5, v[6:9]
.LBB84_111:
	s_wait_alu 0xfffe
	s_or_b32 exec_lo, exec_lo, s0
	s_wait_storecnt_dscnt 0x0
	s_barrier_signal -1
	s_barrier_wait -1
	global_inv scope:SCOPE_SE
	s_clause 0x5
	scratch_load_b128 v[6:9], off, off offset:256
	scratch_load_b128 v[55:58], off, off offset:272
	;; [unrolled: 1-line block ×6, first 2 shown]
	ds_load_b128 v[75:78], v1 offset:576
	ds_load_b128 v[83:86], v1 offset:592
	scratch_load_b128 v[79:82], off, off offset:240
	s_mov_b32 s0, exec_lo
	s_wait_loadcnt_dscnt 0x601
	v_mul_f64_e32 v[2:3], v[77:78], v[8:9]
	v_mul_f64_e32 v[8:9], v[75:76], v[8:9]
	s_wait_loadcnt_dscnt 0x500
	v_mul_f64_e32 v[10:11], v[83:84], v[57:58]
	v_mul_f64_e32 v[57:58], v[85:86], v[57:58]
	s_delay_alu instid0(VALU_DEP_4) | instskip(NEXT) | instid1(VALU_DEP_4)
	v_fma_f64 v[2:3], v[75:76], v[6:7], -v[2:3]
	v_fma_f64 v[87:88], v[77:78], v[6:7], v[8:9]
	ds_load_b128 v[6:9], v1 offset:608
	ds_load_b128 v[75:78], v1 offset:624
	v_fma_f64 v[10:11], v[85:86], v[55:56], v[10:11]
	v_fma_f64 v[55:56], v[83:84], v[55:56], -v[57:58]
	s_wait_loadcnt_dscnt 0x401
	v_mul_f64_e32 v[89:90], v[6:7], v[61:62]
	v_mul_f64_e32 v[61:62], v[8:9], v[61:62]
	s_wait_loadcnt_dscnt 0x300
	v_mul_f64_e32 v[83:84], v[75:76], v[65:66]
	v_mul_f64_e32 v[65:66], v[77:78], v[65:66]
	v_add_f64_e32 v[2:3], 0, v[2:3]
	v_add_f64_e32 v[57:58], 0, v[87:88]
	v_fma_f64 v[85:86], v[8:9], v[59:60], v[89:90]
	v_fma_f64 v[59:60], v[6:7], v[59:60], -v[61:62]
	s_delay_alu instid0(VALU_DEP_4) | instskip(NEXT) | instid1(VALU_DEP_4)
	v_add_f64_e32 v[55:56], v[2:3], v[55:56]
	v_add_f64_e32 v[10:11], v[57:58], v[10:11]
	ds_load_b128 v[6:9], v1 offset:640
	ds_load_b128 v[1:4], v1 offset:656
	s_wait_loadcnt_dscnt 0x201
	v_mul_f64_e32 v[57:58], v[6:7], v[69:70]
	v_mul_f64_e32 v[61:62], v[8:9], v[69:70]
	v_fma_f64 v[69:70], v[77:78], v[63:64], v[83:84]
	v_fma_f64 v[63:64], v[75:76], v[63:64], -v[65:66]
	s_wait_loadcnt_dscnt 0x100
	v_mul_f64_e32 v[65:66], v[3:4], v[73:74]
	v_add_f64_e32 v[55:56], v[55:56], v[59:60]
	v_add_f64_e32 v[10:11], v[10:11], v[85:86]
	v_mul_f64_e32 v[59:60], v[1:2], v[73:74]
	v_fma_f64 v[8:9], v[8:9], v[67:68], v[57:58]
	v_fma_f64 v[6:7], v[6:7], v[67:68], -v[61:62]
	v_fma_f64 v[1:2], v[1:2], v[71:72], -v[65:66]
	v_add_f64_e32 v[55:56], v[55:56], v[63:64]
	v_add_f64_e32 v[10:11], v[10:11], v[69:70]
	v_fma_f64 v[3:4], v[3:4], v[71:72], v[59:60]
	s_delay_alu instid0(VALU_DEP_3) | instskip(NEXT) | instid1(VALU_DEP_3)
	v_add_f64_e32 v[6:7], v[55:56], v[6:7]
	v_add_f64_e32 v[8:9], v[10:11], v[8:9]
	s_delay_alu instid0(VALU_DEP_2) | instskip(NEXT) | instid1(VALU_DEP_2)
	v_add_f64_e32 v[1:2], v[6:7], v[1:2]
	v_add_f64_e32 v[3:4], v[8:9], v[3:4]
	s_wait_loadcnt 0x0
	s_delay_alu instid0(VALU_DEP_2) | instskip(NEXT) | instid1(VALU_DEP_2)
	v_add_f64_e64 v[1:2], v[79:80], -v[1:2]
	v_add_f64_e64 v[3:4], v[81:82], -v[3:4]
	scratch_store_b128 off, v[1:4], off offset:240
	v_cmpx_lt_u32_e32 13, v0
	s_cbranch_execz .LBB84_113
; %bb.112:
	scratch_load_b128 v[1:4], off, s23
	v_mov_b32_e32 v6, 0
	s_delay_alu instid0(VALU_DEP_1)
	v_dual_mov_b32 v7, v6 :: v_dual_mov_b32 v8, v6
	v_mov_b32_e32 v9, v6
	scratch_store_b128 off, v[6:9], off offset:224
	s_wait_loadcnt 0x0
	ds_store_b128 v5, v[1:4]
.LBB84_113:
	s_wait_alu 0xfffe
	s_or_b32 exec_lo, exec_lo, s0
	s_wait_storecnt_dscnt 0x0
	s_barrier_signal -1
	s_barrier_wait -1
	global_inv scope:SCOPE_SE
	s_clause 0x6
	scratch_load_b128 v[6:9], off, off offset:240
	scratch_load_b128 v[55:58], off, off offset:256
	scratch_load_b128 v[59:62], off, off offset:272
	scratch_load_b128 v[63:66], off, off offset:288
	scratch_load_b128 v[67:70], off, off offset:304
	scratch_load_b128 v[71:74], off, off offset:320
	scratch_load_b128 v[75:78], off, off offset:336
	v_mov_b32_e32 v1, 0
	scratch_load_b128 v[83:86], off, off offset:224
	s_mov_b32 s0, exec_lo
	ds_load_b128 v[79:82], v1 offset:560
	ds_load_b128 v[87:90], v1 offset:576
	s_wait_loadcnt_dscnt 0x701
	v_mul_f64_e32 v[2:3], v[81:82], v[8:9]
	v_mul_f64_e32 v[8:9], v[79:80], v[8:9]
	s_wait_loadcnt_dscnt 0x600
	v_mul_f64_e32 v[10:11], v[87:88], v[57:58]
	v_mul_f64_e32 v[57:58], v[89:90], v[57:58]
	s_delay_alu instid0(VALU_DEP_4) | instskip(NEXT) | instid1(VALU_DEP_4)
	v_fma_f64 v[2:3], v[79:80], v[6:7], -v[2:3]
	v_fma_f64 v[91:92], v[81:82], v[6:7], v[8:9]
	ds_load_b128 v[6:9], v1 offset:592
	ds_load_b128 v[79:82], v1 offset:608
	v_fma_f64 v[10:11], v[89:90], v[55:56], v[10:11]
	v_fma_f64 v[55:56], v[87:88], v[55:56], -v[57:58]
	s_wait_loadcnt_dscnt 0x501
	v_mul_f64_e32 v[93:94], v[6:7], v[61:62]
	v_mul_f64_e32 v[61:62], v[8:9], v[61:62]
	s_wait_loadcnt_dscnt 0x400
	v_mul_f64_e32 v[87:88], v[79:80], v[65:66]
	v_mul_f64_e32 v[65:66], v[81:82], v[65:66]
	v_add_f64_e32 v[2:3], 0, v[2:3]
	v_add_f64_e32 v[57:58], 0, v[91:92]
	v_fma_f64 v[89:90], v[8:9], v[59:60], v[93:94]
	v_fma_f64 v[59:60], v[6:7], v[59:60], -v[61:62]
	v_fma_f64 v[81:82], v[81:82], v[63:64], v[87:88]
	v_fma_f64 v[63:64], v[79:80], v[63:64], -v[65:66]
	v_add_f64_e32 v[2:3], v[2:3], v[55:56]
	v_add_f64_e32 v[10:11], v[57:58], v[10:11]
	ds_load_b128 v[6:9], v1 offset:624
	ds_load_b128 v[55:58], v1 offset:640
	s_wait_loadcnt_dscnt 0x301
	v_mul_f64_e32 v[61:62], v[6:7], v[69:70]
	v_mul_f64_e32 v[69:70], v[8:9], v[69:70]
	s_wait_loadcnt_dscnt 0x200
	v_mul_f64_e32 v[65:66], v[57:58], v[73:74]
	v_add_f64_e32 v[2:3], v[2:3], v[59:60]
	v_add_f64_e32 v[10:11], v[10:11], v[89:90]
	v_mul_f64_e32 v[59:60], v[55:56], v[73:74]
	v_fma_f64 v[61:62], v[8:9], v[67:68], v[61:62]
	v_fma_f64 v[67:68], v[6:7], v[67:68], -v[69:70]
	ds_load_b128 v[6:9], v1 offset:656
	v_fma_f64 v[55:56], v[55:56], v[71:72], -v[65:66]
	v_add_f64_e32 v[2:3], v[2:3], v[63:64]
	v_add_f64_e32 v[10:11], v[10:11], v[81:82]
	v_fma_f64 v[57:58], v[57:58], v[71:72], v[59:60]
	s_wait_loadcnt_dscnt 0x100
	v_mul_f64_e32 v[63:64], v[6:7], v[77:78]
	v_mul_f64_e32 v[69:70], v[8:9], v[77:78]
	v_add_f64_e32 v[2:3], v[2:3], v[67:68]
	v_add_f64_e32 v[10:11], v[10:11], v[61:62]
	s_delay_alu instid0(VALU_DEP_4) | instskip(NEXT) | instid1(VALU_DEP_4)
	v_fma_f64 v[8:9], v[8:9], v[75:76], v[63:64]
	v_fma_f64 v[6:7], v[6:7], v[75:76], -v[69:70]
	s_delay_alu instid0(VALU_DEP_4) | instskip(NEXT) | instid1(VALU_DEP_4)
	v_add_f64_e32 v[2:3], v[2:3], v[55:56]
	v_add_f64_e32 v[10:11], v[10:11], v[57:58]
	s_delay_alu instid0(VALU_DEP_2) | instskip(NEXT) | instid1(VALU_DEP_2)
	v_add_f64_e32 v[2:3], v[2:3], v[6:7]
	v_add_f64_e32 v[8:9], v[10:11], v[8:9]
	s_wait_loadcnt 0x0
	s_delay_alu instid0(VALU_DEP_2) | instskip(NEXT) | instid1(VALU_DEP_2)
	v_add_f64_e64 v[6:7], v[83:84], -v[2:3]
	v_add_f64_e64 v[8:9], v[85:86], -v[8:9]
	scratch_store_b128 off, v[6:9], off offset:224
	v_cmpx_lt_u32_e32 12, v0
	s_cbranch_execz .LBB84_115
; %bb.114:
	scratch_load_b128 v[6:9], off, s13
	v_dual_mov_b32 v2, v1 :: v_dual_mov_b32 v3, v1
	v_mov_b32_e32 v4, v1
	scratch_store_b128 off, v[1:4], off offset:208
	s_wait_loadcnt 0x0
	ds_store_b128 v5, v[6:9]
.LBB84_115:
	s_wait_alu 0xfffe
	s_or_b32 exec_lo, exec_lo, s0
	s_wait_storecnt_dscnt 0x0
	s_barrier_signal -1
	s_barrier_wait -1
	global_inv scope:SCOPE_SE
	s_clause 0x7
	scratch_load_b128 v[6:9], off, off offset:224
	scratch_load_b128 v[55:58], off, off offset:240
	;; [unrolled: 1-line block ×8, first 2 shown]
	ds_load_b128 v[83:86], v1 offset:544
	ds_load_b128 v[87:90], v1 offset:560
	scratch_load_b128 v[91:94], off, off offset:208
	s_mov_b32 s0, exec_lo
	s_wait_loadcnt_dscnt 0x801
	v_mul_f64_e32 v[2:3], v[85:86], v[8:9]
	v_mul_f64_e32 v[8:9], v[83:84], v[8:9]
	s_wait_loadcnt_dscnt 0x700
	v_mul_f64_e32 v[10:11], v[87:88], v[57:58]
	v_mul_f64_e32 v[57:58], v[89:90], v[57:58]
	s_delay_alu instid0(VALU_DEP_4) | instskip(NEXT) | instid1(VALU_DEP_4)
	v_fma_f64 v[2:3], v[83:84], v[6:7], -v[2:3]
	v_fma_f64 v[95:96], v[85:86], v[6:7], v[8:9]
	ds_load_b128 v[6:9], v1 offset:576
	ds_load_b128 v[83:86], v1 offset:592
	v_fma_f64 v[10:11], v[89:90], v[55:56], v[10:11]
	v_fma_f64 v[55:56], v[87:88], v[55:56], -v[57:58]
	s_wait_loadcnt_dscnt 0x601
	v_mul_f64_e32 v[97:98], v[6:7], v[61:62]
	v_mul_f64_e32 v[61:62], v[8:9], v[61:62]
	s_wait_loadcnt_dscnt 0x500
	v_mul_f64_e32 v[87:88], v[83:84], v[65:66]
	v_mul_f64_e32 v[65:66], v[85:86], v[65:66]
	v_add_f64_e32 v[2:3], 0, v[2:3]
	v_add_f64_e32 v[57:58], 0, v[95:96]
	v_fma_f64 v[89:90], v[8:9], v[59:60], v[97:98]
	v_fma_f64 v[59:60], v[6:7], v[59:60], -v[61:62]
	v_fma_f64 v[85:86], v[85:86], v[63:64], v[87:88]
	v_fma_f64 v[63:64], v[83:84], v[63:64], -v[65:66]
	v_add_f64_e32 v[2:3], v[2:3], v[55:56]
	v_add_f64_e32 v[10:11], v[57:58], v[10:11]
	ds_load_b128 v[6:9], v1 offset:608
	ds_load_b128 v[55:58], v1 offset:624
	s_wait_loadcnt_dscnt 0x401
	v_mul_f64_e32 v[61:62], v[6:7], v[69:70]
	v_mul_f64_e32 v[69:70], v[8:9], v[69:70]
	s_wait_loadcnt_dscnt 0x300
	v_mul_f64_e32 v[65:66], v[57:58], v[73:74]
	v_add_f64_e32 v[2:3], v[2:3], v[59:60]
	v_add_f64_e32 v[10:11], v[10:11], v[89:90]
	v_mul_f64_e32 v[59:60], v[55:56], v[73:74]
	v_fma_f64 v[61:62], v[8:9], v[67:68], v[61:62]
	v_fma_f64 v[67:68], v[6:7], v[67:68], -v[69:70]
	v_fma_f64 v[55:56], v[55:56], v[71:72], -v[65:66]
	v_add_f64_e32 v[63:64], v[2:3], v[63:64]
	v_add_f64_e32 v[10:11], v[10:11], v[85:86]
	ds_load_b128 v[6:9], v1 offset:640
	ds_load_b128 v[1:4], v1 offset:656
	v_fma_f64 v[57:58], v[57:58], v[71:72], v[59:60]
	s_wait_loadcnt_dscnt 0x201
	v_mul_f64_e32 v[69:70], v[6:7], v[77:78]
	v_mul_f64_e32 v[73:74], v[8:9], v[77:78]
	v_add_f64_e32 v[59:60], v[63:64], v[67:68]
	v_add_f64_e32 v[10:11], v[10:11], v[61:62]
	s_wait_loadcnt_dscnt 0x100
	v_mul_f64_e32 v[61:62], v[1:2], v[81:82]
	v_mul_f64_e32 v[63:64], v[3:4], v[81:82]
	v_fma_f64 v[8:9], v[8:9], v[75:76], v[69:70]
	v_fma_f64 v[6:7], v[6:7], v[75:76], -v[73:74]
	v_add_f64_e32 v[55:56], v[59:60], v[55:56]
	v_add_f64_e32 v[10:11], v[10:11], v[57:58]
	v_fma_f64 v[3:4], v[3:4], v[79:80], v[61:62]
	v_fma_f64 v[1:2], v[1:2], v[79:80], -v[63:64]
	s_delay_alu instid0(VALU_DEP_4) | instskip(NEXT) | instid1(VALU_DEP_4)
	v_add_f64_e32 v[6:7], v[55:56], v[6:7]
	v_add_f64_e32 v[8:9], v[10:11], v[8:9]
	s_delay_alu instid0(VALU_DEP_2) | instskip(NEXT) | instid1(VALU_DEP_2)
	v_add_f64_e32 v[1:2], v[6:7], v[1:2]
	v_add_f64_e32 v[3:4], v[8:9], v[3:4]
	s_wait_loadcnt 0x0
	s_delay_alu instid0(VALU_DEP_2) | instskip(NEXT) | instid1(VALU_DEP_2)
	v_add_f64_e64 v[1:2], v[91:92], -v[1:2]
	v_add_f64_e64 v[3:4], v[93:94], -v[3:4]
	scratch_store_b128 off, v[1:4], off offset:208
	v_cmpx_lt_u32_e32 11, v0
	s_cbranch_execz .LBB84_117
; %bb.116:
	scratch_load_b128 v[1:4], off, s22
	v_mov_b32_e32 v6, 0
	s_delay_alu instid0(VALU_DEP_1)
	v_dual_mov_b32 v7, v6 :: v_dual_mov_b32 v8, v6
	v_mov_b32_e32 v9, v6
	scratch_store_b128 off, v[6:9], off offset:192
	s_wait_loadcnt 0x0
	ds_store_b128 v5, v[1:4]
.LBB84_117:
	s_wait_alu 0xfffe
	s_or_b32 exec_lo, exec_lo, s0
	s_wait_storecnt_dscnt 0x0
	s_barrier_signal -1
	s_barrier_wait -1
	global_inv scope:SCOPE_SE
	s_clause 0x7
	scratch_load_b128 v[6:9], off, off offset:208
	scratch_load_b128 v[55:58], off, off offset:224
	;; [unrolled: 1-line block ×8, first 2 shown]
	v_mov_b32_e32 v1, 0
	s_mov_b32 s0, exec_lo
	ds_load_b128 v[83:86], v1 offset:528
	s_clause 0x1
	scratch_load_b128 v[87:90], off, off offset:336
	scratch_load_b128 v[91:94], off, off offset:192
	ds_load_b128 v[95:98], v1 offset:544
	s_wait_loadcnt_dscnt 0x901
	v_mul_f64_e32 v[2:3], v[85:86], v[8:9]
	v_mul_f64_e32 v[8:9], v[83:84], v[8:9]
	s_wait_loadcnt_dscnt 0x800
	v_mul_f64_e32 v[10:11], v[95:96], v[57:58]
	v_mul_f64_e32 v[57:58], v[97:98], v[57:58]
	s_delay_alu instid0(VALU_DEP_4) | instskip(NEXT) | instid1(VALU_DEP_4)
	v_fma_f64 v[2:3], v[83:84], v[6:7], -v[2:3]
	v_fma_f64 v[99:100], v[85:86], v[6:7], v[8:9]
	ds_load_b128 v[6:9], v1 offset:560
	ds_load_b128 v[83:86], v1 offset:576
	v_fma_f64 v[10:11], v[97:98], v[55:56], v[10:11]
	v_fma_f64 v[55:56], v[95:96], v[55:56], -v[57:58]
	s_wait_loadcnt_dscnt 0x701
	v_mul_f64_e32 v[101:102], v[6:7], v[61:62]
	v_mul_f64_e32 v[61:62], v[8:9], v[61:62]
	s_wait_loadcnt_dscnt 0x600
	v_mul_f64_e32 v[95:96], v[83:84], v[65:66]
	v_mul_f64_e32 v[65:66], v[85:86], v[65:66]
	v_add_f64_e32 v[2:3], 0, v[2:3]
	v_add_f64_e32 v[57:58], 0, v[99:100]
	v_fma_f64 v[97:98], v[8:9], v[59:60], v[101:102]
	v_fma_f64 v[59:60], v[6:7], v[59:60], -v[61:62]
	v_fma_f64 v[85:86], v[85:86], v[63:64], v[95:96]
	v_fma_f64 v[63:64], v[83:84], v[63:64], -v[65:66]
	v_add_f64_e32 v[2:3], v[2:3], v[55:56]
	v_add_f64_e32 v[10:11], v[57:58], v[10:11]
	ds_load_b128 v[6:9], v1 offset:592
	ds_load_b128 v[55:58], v1 offset:608
	s_wait_loadcnt_dscnt 0x501
	v_mul_f64_e32 v[61:62], v[6:7], v[69:70]
	v_mul_f64_e32 v[69:70], v[8:9], v[69:70]
	s_wait_loadcnt_dscnt 0x400
	v_mul_f64_e32 v[65:66], v[55:56], v[73:74]
	v_mul_f64_e32 v[73:74], v[57:58], v[73:74]
	v_add_f64_e32 v[2:3], v[2:3], v[59:60]
	v_add_f64_e32 v[10:11], v[10:11], v[97:98]
	v_fma_f64 v[83:84], v[8:9], v[67:68], v[61:62]
	v_fma_f64 v[67:68], v[6:7], v[67:68], -v[69:70]
	ds_load_b128 v[6:9], v1 offset:624
	ds_load_b128 v[59:62], v1 offset:640
	v_fma_f64 v[57:58], v[57:58], v[71:72], v[65:66]
	v_fma_f64 v[55:56], v[55:56], v[71:72], -v[73:74]
	v_add_f64_e32 v[2:3], v[2:3], v[63:64]
	v_add_f64_e32 v[10:11], v[10:11], v[85:86]
	s_wait_loadcnt_dscnt 0x301
	v_mul_f64_e32 v[63:64], v[6:7], v[77:78]
	v_mul_f64_e32 v[69:70], v[8:9], v[77:78]
	s_wait_loadcnt_dscnt 0x200
	v_mul_f64_e32 v[65:66], v[59:60], v[81:82]
	v_add_f64_e32 v[2:3], v[2:3], v[67:68]
	v_add_f64_e32 v[10:11], v[10:11], v[83:84]
	v_mul_f64_e32 v[67:68], v[61:62], v[81:82]
	v_fma_f64 v[63:64], v[8:9], v[75:76], v[63:64]
	v_fma_f64 v[69:70], v[6:7], v[75:76], -v[69:70]
	ds_load_b128 v[6:9], v1 offset:656
	v_fma_f64 v[61:62], v[61:62], v[79:80], v[65:66]
	v_add_f64_e32 v[2:3], v[2:3], v[55:56]
	v_add_f64_e32 v[10:11], v[10:11], v[57:58]
	s_wait_loadcnt_dscnt 0x100
	v_mul_f64_e32 v[55:56], v[6:7], v[89:90]
	v_mul_f64_e32 v[57:58], v[8:9], v[89:90]
	v_fma_f64 v[59:60], v[59:60], v[79:80], -v[67:68]
	v_add_f64_e32 v[2:3], v[2:3], v[69:70]
	v_add_f64_e32 v[10:11], v[10:11], v[63:64]
	v_fma_f64 v[8:9], v[8:9], v[87:88], v[55:56]
	v_fma_f64 v[6:7], v[6:7], v[87:88], -v[57:58]
	s_delay_alu instid0(VALU_DEP_4) | instskip(NEXT) | instid1(VALU_DEP_4)
	v_add_f64_e32 v[2:3], v[2:3], v[59:60]
	v_add_f64_e32 v[10:11], v[10:11], v[61:62]
	s_delay_alu instid0(VALU_DEP_2) | instskip(NEXT) | instid1(VALU_DEP_2)
	v_add_f64_e32 v[2:3], v[2:3], v[6:7]
	v_add_f64_e32 v[8:9], v[10:11], v[8:9]
	s_wait_loadcnt 0x0
	s_delay_alu instid0(VALU_DEP_2) | instskip(NEXT) | instid1(VALU_DEP_2)
	v_add_f64_e64 v[6:7], v[91:92], -v[2:3]
	v_add_f64_e64 v[8:9], v[93:94], -v[8:9]
	scratch_store_b128 off, v[6:9], off offset:192
	v_cmpx_lt_u32_e32 10, v0
	s_cbranch_execz .LBB84_119
; %bb.118:
	scratch_load_b128 v[6:9], off, s11
	v_dual_mov_b32 v2, v1 :: v_dual_mov_b32 v3, v1
	v_mov_b32_e32 v4, v1
	scratch_store_b128 off, v[1:4], off offset:176
	s_wait_loadcnt 0x0
	ds_store_b128 v5, v[6:9]
.LBB84_119:
	s_wait_alu 0xfffe
	s_or_b32 exec_lo, exec_lo, s0
	s_wait_storecnt_dscnt 0x0
	s_barrier_signal -1
	s_barrier_wait -1
	global_inv scope:SCOPE_SE
	s_clause 0x8
	scratch_load_b128 v[6:9], off, off offset:192
	scratch_load_b128 v[55:58], off, off offset:208
	;; [unrolled: 1-line block ×9, first 2 shown]
	ds_load_b128 v[87:90], v1 offset:512
	ds_load_b128 v[91:94], v1 offset:528
	scratch_load_b128 v[95:98], off, off offset:176
	s_mov_b32 s0, exec_lo
	s_wait_loadcnt_dscnt 0x901
	v_mul_f64_e32 v[2:3], v[89:90], v[8:9]
	v_mul_f64_e32 v[99:100], v[87:88], v[8:9]
	scratch_load_b128 v[8:11], off, off offset:336
	s_wait_loadcnt_dscnt 0x900
	v_mul_f64_e32 v[103:104], v[91:92], v[57:58]
	v_mul_f64_e32 v[57:58], v[93:94], v[57:58]
	v_fma_f64 v[2:3], v[87:88], v[6:7], -v[2:3]
	v_fma_f64 v[6:7], v[89:90], v[6:7], v[99:100]
	ds_load_b128 v[87:90], v1 offset:544
	ds_load_b128 v[99:102], v1 offset:560
	v_fma_f64 v[93:94], v[93:94], v[55:56], v[103:104]
	v_fma_f64 v[55:56], v[91:92], v[55:56], -v[57:58]
	s_wait_loadcnt_dscnt 0x801
	v_mul_f64_e32 v[105:106], v[87:88], v[61:62]
	v_mul_f64_e32 v[61:62], v[89:90], v[61:62]
	s_wait_loadcnt_dscnt 0x700
	v_mul_f64_e32 v[91:92], v[99:100], v[65:66]
	v_mul_f64_e32 v[65:66], v[101:102], v[65:66]
	v_add_f64_e32 v[2:3], 0, v[2:3]
	v_add_f64_e32 v[6:7], 0, v[6:7]
	v_fma_f64 v[89:90], v[89:90], v[59:60], v[105:106]
	v_fma_f64 v[87:88], v[87:88], v[59:60], -v[61:62]
	v_fma_f64 v[91:92], v[101:102], v[63:64], v[91:92]
	v_fma_f64 v[63:64], v[99:100], v[63:64], -v[65:66]
	v_add_f64_e32 v[2:3], v[2:3], v[55:56]
	v_add_f64_e32 v[6:7], v[6:7], v[93:94]
	ds_load_b128 v[55:58], v1 offset:576
	ds_load_b128 v[59:62], v1 offset:592
	s_wait_loadcnt_dscnt 0x601
	v_mul_f64_e32 v[93:94], v[55:56], v[69:70]
	v_mul_f64_e32 v[69:70], v[57:58], v[69:70]
	v_add_f64_e32 v[2:3], v[2:3], v[87:88]
	v_add_f64_e32 v[6:7], v[6:7], v[89:90]
	s_wait_loadcnt_dscnt 0x500
	v_mul_f64_e32 v[87:88], v[59:60], v[73:74]
	v_mul_f64_e32 v[73:74], v[61:62], v[73:74]
	v_fma_f64 v[89:90], v[57:58], v[67:68], v[93:94]
	v_fma_f64 v[67:68], v[55:56], v[67:68], -v[69:70]
	v_add_f64_e32 v[2:3], v[2:3], v[63:64]
	v_add_f64_e32 v[6:7], v[6:7], v[91:92]
	ds_load_b128 v[55:58], v1 offset:608
	ds_load_b128 v[63:66], v1 offset:624
	v_fma_f64 v[61:62], v[61:62], v[71:72], v[87:88]
	v_fma_f64 v[59:60], v[59:60], v[71:72], -v[73:74]
	s_wait_loadcnt_dscnt 0x401
	v_mul_f64_e32 v[69:70], v[55:56], v[77:78]
	v_mul_f64_e32 v[77:78], v[57:58], v[77:78]
	s_wait_loadcnt_dscnt 0x300
	v_mul_f64_e32 v[71:72], v[65:66], v[81:82]
	v_add_f64_e32 v[2:3], v[2:3], v[67:68]
	v_add_f64_e32 v[6:7], v[6:7], v[89:90]
	v_mul_f64_e32 v[67:68], v[63:64], v[81:82]
	v_fma_f64 v[69:70], v[57:58], v[75:76], v[69:70]
	v_fma_f64 v[73:74], v[55:56], v[75:76], -v[77:78]
	v_fma_f64 v[63:64], v[63:64], v[79:80], -v[71:72]
	v_add_f64_e32 v[59:60], v[2:3], v[59:60]
	v_add_f64_e32 v[6:7], v[6:7], v[61:62]
	ds_load_b128 v[55:58], v1 offset:640
	ds_load_b128 v[1:4], v1 offset:656
	v_fma_f64 v[65:66], v[65:66], v[79:80], v[67:68]
	s_wait_loadcnt_dscnt 0x201
	v_mul_f64_e32 v[61:62], v[55:56], v[85:86]
	v_mul_f64_e32 v[75:76], v[57:58], v[85:86]
	v_add_f64_e32 v[59:60], v[59:60], v[73:74]
	v_add_f64_e32 v[6:7], v[6:7], v[69:70]
	s_wait_loadcnt_dscnt 0x0
	v_mul_f64_e32 v[67:68], v[1:2], v[10:11]
	v_mul_f64_e32 v[10:11], v[3:4], v[10:11]
	v_fma_f64 v[57:58], v[57:58], v[83:84], v[61:62]
	v_fma_f64 v[55:56], v[55:56], v[83:84], -v[75:76]
	v_add_f64_e32 v[59:60], v[59:60], v[63:64]
	v_add_f64_e32 v[6:7], v[6:7], v[65:66]
	v_fma_f64 v[3:4], v[3:4], v[8:9], v[67:68]
	v_fma_f64 v[1:2], v[1:2], v[8:9], -v[10:11]
	s_delay_alu instid0(VALU_DEP_4) | instskip(NEXT) | instid1(VALU_DEP_4)
	v_add_f64_e32 v[8:9], v[59:60], v[55:56]
	v_add_f64_e32 v[6:7], v[6:7], v[57:58]
	s_delay_alu instid0(VALU_DEP_2) | instskip(NEXT) | instid1(VALU_DEP_2)
	v_add_f64_e32 v[1:2], v[8:9], v[1:2]
	v_add_f64_e32 v[3:4], v[6:7], v[3:4]
	s_delay_alu instid0(VALU_DEP_2) | instskip(NEXT) | instid1(VALU_DEP_2)
	v_add_f64_e64 v[1:2], v[95:96], -v[1:2]
	v_add_f64_e64 v[3:4], v[97:98], -v[3:4]
	scratch_store_b128 off, v[1:4], off offset:176
	v_cmpx_lt_u32_e32 9, v0
	s_cbranch_execz .LBB84_121
; %bb.120:
	scratch_load_b128 v[1:4], off, s21
	v_mov_b32_e32 v6, 0
	s_delay_alu instid0(VALU_DEP_1)
	v_dual_mov_b32 v7, v6 :: v_dual_mov_b32 v8, v6
	v_mov_b32_e32 v9, v6
	scratch_store_b128 off, v[6:9], off offset:160
	s_wait_loadcnt 0x0
	ds_store_b128 v5, v[1:4]
.LBB84_121:
	s_wait_alu 0xfffe
	s_or_b32 exec_lo, exec_lo, s0
	s_wait_storecnt_dscnt 0x0
	s_barrier_signal -1
	s_barrier_wait -1
	global_inv scope:SCOPE_SE
	s_clause 0x7
	scratch_load_b128 v[6:9], off, off offset:176
	scratch_load_b128 v[55:58], off, off offset:192
	;; [unrolled: 1-line block ×8, first 2 shown]
	v_mov_b32_e32 v1, 0
	s_mov_b32 s0, exec_lo
	ds_load_b128 v[83:86], v1 offset:496
	s_clause 0x1
	scratch_load_b128 v[87:90], off, off offset:304
	scratch_load_b128 v[91:94], off, off offset:160
	ds_load_b128 v[95:98], v1 offset:512
	ds_load_b128 v[103:106], v1 offset:544
	s_wait_loadcnt_dscnt 0x902
	v_mul_f64_e32 v[2:3], v[85:86], v[8:9]
	v_mul_f64_e32 v[99:100], v[83:84], v[8:9]
	scratch_load_b128 v[8:11], off, off offset:320
	v_fma_f64 v[2:3], v[83:84], v[6:7], -v[2:3]
	v_fma_f64 v[6:7], v[85:86], v[6:7], v[99:100]
	ds_load_b128 v[83:86], v1 offset:528
	s_wait_loadcnt_dscnt 0x902
	v_mul_f64_e32 v[107:108], v[95:96], v[57:58]
	v_mul_f64_e32 v[57:58], v[97:98], v[57:58]
	scratch_load_b128 v[99:102], off, off offset:336
	s_wait_loadcnt_dscnt 0x900
	v_mul_f64_e32 v[109:110], v[83:84], v[61:62]
	v_mul_f64_e32 v[61:62], v[85:86], v[61:62]
	v_add_f64_e32 v[2:3], 0, v[2:3]
	v_add_f64_e32 v[6:7], 0, v[6:7]
	v_fma_f64 v[97:98], v[97:98], v[55:56], v[107:108]
	v_fma_f64 v[55:56], v[95:96], v[55:56], -v[57:58]
	s_wait_loadcnt 0x8
	v_mul_f64_e32 v[95:96], v[103:104], v[65:66]
	v_mul_f64_e32 v[65:66], v[105:106], v[65:66]
	v_fma_f64 v[85:86], v[85:86], v[59:60], v[109:110]
	v_fma_f64 v[83:84], v[83:84], v[59:60], -v[61:62]
	v_add_f64_e32 v[6:7], v[6:7], v[97:98]
	v_add_f64_e32 v[2:3], v[2:3], v[55:56]
	ds_load_b128 v[55:58], v1 offset:560
	ds_load_b128 v[59:62], v1 offset:576
	v_fma_f64 v[95:96], v[105:106], v[63:64], v[95:96]
	v_fma_f64 v[63:64], v[103:104], v[63:64], -v[65:66]
	s_wait_loadcnt_dscnt 0x701
	v_mul_f64_e32 v[97:98], v[55:56], v[69:70]
	v_mul_f64_e32 v[69:70], v[57:58], v[69:70]
	v_add_f64_e32 v[6:7], v[6:7], v[85:86]
	v_add_f64_e32 v[2:3], v[2:3], v[83:84]
	s_wait_loadcnt_dscnt 0x600
	v_mul_f64_e32 v[83:84], v[59:60], v[73:74]
	v_mul_f64_e32 v[73:74], v[61:62], v[73:74]
	v_fma_f64 v[85:86], v[57:58], v[67:68], v[97:98]
	v_fma_f64 v[67:68], v[55:56], v[67:68], -v[69:70]
	v_add_f64_e32 v[6:7], v[6:7], v[95:96]
	v_add_f64_e32 v[2:3], v[2:3], v[63:64]
	ds_load_b128 v[55:58], v1 offset:592
	ds_load_b128 v[63:66], v1 offset:608
	v_fma_f64 v[61:62], v[61:62], v[71:72], v[83:84]
	v_fma_f64 v[59:60], v[59:60], v[71:72], -v[73:74]
	s_wait_loadcnt_dscnt 0x501
	v_mul_f64_e32 v[69:70], v[55:56], v[77:78]
	v_mul_f64_e32 v[77:78], v[57:58], v[77:78]
	s_wait_loadcnt_dscnt 0x400
	v_mul_f64_e32 v[71:72], v[65:66], v[81:82]
	v_add_f64_e32 v[6:7], v[6:7], v[85:86]
	v_add_f64_e32 v[2:3], v[2:3], v[67:68]
	v_mul_f64_e32 v[67:68], v[63:64], v[81:82]
	v_fma_f64 v[69:70], v[57:58], v[75:76], v[69:70]
	v_fma_f64 v[73:74], v[55:56], v[75:76], -v[77:78]
	v_fma_f64 v[63:64], v[63:64], v[79:80], -v[71:72]
	v_add_f64_e32 v[6:7], v[6:7], v[61:62]
	v_add_f64_e32 v[2:3], v[2:3], v[59:60]
	ds_load_b128 v[55:58], v1 offset:624
	ds_load_b128 v[59:62], v1 offset:640
	v_fma_f64 v[65:66], v[65:66], v[79:80], v[67:68]
	s_wait_loadcnt_dscnt 0x301
	v_mul_f64_e32 v[75:76], v[55:56], v[89:90]
	v_mul_f64_e32 v[77:78], v[57:58], v[89:90]
	v_add_f64_e32 v[6:7], v[6:7], v[69:70]
	v_add_f64_e32 v[2:3], v[2:3], v[73:74]
	s_wait_loadcnt_dscnt 0x100
	v_mul_f64_e32 v[67:68], v[59:60], v[10:11]
	v_mul_f64_e32 v[10:11], v[61:62], v[10:11]
	v_fma_f64 v[69:70], v[57:58], v[87:88], v[75:76]
	v_fma_f64 v[71:72], v[55:56], v[87:88], -v[77:78]
	ds_load_b128 v[55:58], v1 offset:656
	v_add_f64_e32 v[6:7], v[6:7], v[65:66]
	v_add_f64_e32 v[2:3], v[2:3], v[63:64]
	v_fma_f64 v[61:62], v[61:62], v[8:9], v[67:68]
	v_fma_f64 v[8:9], v[59:60], v[8:9], -v[10:11]
	s_wait_loadcnt_dscnt 0x0
	v_mul_f64_e32 v[63:64], v[55:56], v[101:102]
	v_mul_f64_e32 v[65:66], v[57:58], v[101:102]
	v_add_f64_e32 v[6:7], v[6:7], v[69:70]
	v_add_f64_e32 v[2:3], v[2:3], v[71:72]
	s_delay_alu instid0(VALU_DEP_4) | instskip(NEXT) | instid1(VALU_DEP_4)
	v_fma_f64 v[10:11], v[57:58], v[99:100], v[63:64]
	v_fma_f64 v[55:56], v[55:56], v[99:100], -v[65:66]
	s_delay_alu instid0(VALU_DEP_4) | instskip(NEXT) | instid1(VALU_DEP_4)
	v_add_f64_e32 v[6:7], v[6:7], v[61:62]
	v_add_f64_e32 v[2:3], v[2:3], v[8:9]
	s_delay_alu instid0(VALU_DEP_2) | instskip(NEXT) | instid1(VALU_DEP_2)
	v_add_f64_e32 v[8:9], v[6:7], v[10:11]
	v_add_f64_e32 v[2:3], v[2:3], v[55:56]
	s_delay_alu instid0(VALU_DEP_2) | instskip(NEXT) | instid1(VALU_DEP_2)
	v_add_f64_e64 v[8:9], v[93:94], -v[8:9]
	v_add_f64_e64 v[6:7], v[91:92], -v[2:3]
	scratch_store_b128 off, v[6:9], off offset:160
	v_cmpx_lt_u32_e32 8, v0
	s_cbranch_execz .LBB84_123
; %bb.122:
	scratch_load_b128 v[6:9], off, s10
	v_dual_mov_b32 v2, v1 :: v_dual_mov_b32 v3, v1
	v_mov_b32_e32 v4, v1
	scratch_store_b128 off, v[1:4], off offset:144
	s_wait_loadcnt 0x0
	ds_store_b128 v5, v[6:9]
.LBB84_123:
	s_wait_alu 0xfffe
	s_or_b32 exec_lo, exec_lo, s0
	s_wait_storecnt_dscnt 0x0
	s_barrier_signal -1
	s_barrier_wait -1
	global_inv scope:SCOPE_SE
	s_clause 0x8
	scratch_load_b128 v[6:9], off, off offset:160
	scratch_load_b128 v[55:58], off, off offset:176
	;; [unrolled: 1-line block ×9, first 2 shown]
	ds_load_b128 v[87:90], v1 offset:480
	ds_load_b128 v[91:94], v1 offset:496
	scratch_load_b128 v[95:98], off, off offset:144
	s_mov_b32 s0, exec_lo
	ds_load_b128 v[103:106], v1 offset:528
	s_wait_loadcnt_dscnt 0x902
	v_mul_f64_e32 v[2:3], v[89:90], v[8:9]
	v_mul_f64_e32 v[99:100], v[87:88], v[8:9]
	scratch_load_b128 v[8:11], off, off offset:304
	s_wait_loadcnt_dscnt 0x901
	v_mul_f64_e32 v[107:108], v[91:92], v[57:58]
	v_mul_f64_e32 v[57:58], v[93:94], v[57:58]
	v_fma_f64 v[2:3], v[87:88], v[6:7], -v[2:3]
	v_fma_f64 v[6:7], v[89:90], v[6:7], v[99:100]
	ds_load_b128 v[87:90], v1 offset:512
	scratch_load_b128 v[99:102], off, off offset:320
	v_fma_f64 v[93:94], v[93:94], v[55:56], v[107:108]
	v_fma_f64 v[91:92], v[91:92], v[55:56], -v[57:58]
	scratch_load_b128 v[55:58], off, off offset:336
	s_wait_loadcnt_dscnt 0x901
	v_mul_f64_e32 v[107:108], v[103:104], v[65:66]
	v_mul_f64_e32 v[65:66], v[105:106], v[65:66]
	s_wait_dscnt 0x0
	v_mul_f64_e32 v[109:110], v[87:88], v[61:62]
	v_mul_f64_e32 v[61:62], v[89:90], v[61:62]
	v_add_f64_e32 v[2:3], 0, v[2:3]
	v_add_f64_e32 v[6:7], 0, v[6:7]
	s_delay_alu instid0(VALU_DEP_4) | instskip(NEXT) | instid1(VALU_DEP_4)
	v_fma_f64 v[109:110], v[89:90], v[59:60], v[109:110]
	v_fma_f64 v[111:112], v[87:88], v[59:60], -v[61:62]
	ds_load_b128 v[59:62], v1 offset:544
	ds_load_b128 v[87:90], v1 offset:560
	v_add_f64_e32 v[2:3], v[2:3], v[91:92]
	v_add_f64_e32 v[6:7], v[6:7], v[93:94]
	v_fma_f64 v[93:94], v[105:106], v[63:64], v[107:108]
	v_fma_f64 v[63:64], v[103:104], v[63:64], -v[65:66]
	s_wait_loadcnt_dscnt 0x801
	v_mul_f64_e32 v[91:92], v[59:60], v[69:70]
	v_mul_f64_e32 v[69:70], v[61:62], v[69:70]
	s_wait_loadcnt_dscnt 0x700
	v_mul_f64_e32 v[103:104], v[87:88], v[73:74]
	v_mul_f64_e32 v[73:74], v[89:90], v[73:74]
	v_add_f64_e32 v[2:3], v[2:3], v[111:112]
	v_add_f64_e32 v[6:7], v[6:7], v[109:110]
	v_fma_f64 v[91:92], v[61:62], v[67:68], v[91:92]
	v_fma_f64 v[67:68], v[59:60], v[67:68], -v[69:70]
	v_fma_f64 v[89:90], v[89:90], v[71:72], v[103:104]
	v_fma_f64 v[71:72], v[87:88], v[71:72], -v[73:74]
	v_add_f64_e32 v[2:3], v[2:3], v[63:64]
	v_add_f64_e32 v[6:7], v[6:7], v[93:94]
	ds_load_b128 v[59:62], v1 offset:576
	ds_load_b128 v[63:66], v1 offset:592
	s_wait_loadcnt_dscnt 0x601
	v_mul_f64_e32 v[69:70], v[59:60], v[77:78]
	v_mul_f64_e32 v[77:78], v[61:62], v[77:78]
	s_wait_loadcnt_dscnt 0x500
	v_mul_f64_e32 v[73:74], v[63:64], v[81:82]
	v_mul_f64_e32 v[81:82], v[65:66], v[81:82]
	v_add_f64_e32 v[2:3], v[2:3], v[67:68]
	v_add_f64_e32 v[6:7], v[6:7], v[91:92]
	v_fma_f64 v[87:88], v[61:62], v[75:76], v[69:70]
	v_fma_f64 v[75:76], v[59:60], v[75:76], -v[77:78]
	ds_load_b128 v[59:62], v1 offset:608
	ds_load_b128 v[67:70], v1 offset:624
	v_fma_f64 v[65:66], v[65:66], v[79:80], v[73:74]
	v_fma_f64 v[63:64], v[63:64], v[79:80], -v[81:82]
	v_add_f64_e32 v[2:3], v[2:3], v[71:72]
	v_add_f64_e32 v[6:7], v[6:7], v[89:90]
	s_wait_loadcnt_dscnt 0x401
	v_mul_f64_e32 v[71:72], v[59:60], v[85:86]
	v_mul_f64_e32 v[77:78], v[61:62], v[85:86]
	s_delay_alu instid0(VALU_DEP_4) | instskip(NEXT) | instid1(VALU_DEP_4)
	v_add_f64_e32 v[2:3], v[2:3], v[75:76]
	v_add_f64_e32 v[6:7], v[6:7], v[87:88]
	s_delay_alu instid0(VALU_DEP_4) | instskip(NEXT) | instid1(VALU_DEP_4)
	v_fma_f64 v[71:72], v[61:62], v[83:84], v[71:72]
	v_fma_f64 v[75:76], v[59:60], v[83:84], -v[77:78]
	s_wait_loadcnt_dscnt 0x200
	v_mul_f64_e32 v[73:74], v[67:68], v[10:11]
	v_mul_f64_e32 v[10:11], v[69:70], v[10:11]
	v_add_f64_e32 v[63:64], v[2:3], v[63:64]
	v_add_f64_e32 v[6:7], v[6:7], v[65:66]
	ds_load_b128 v[59:62], v1 offset:640
	ds_load_b128 v[1:4], v1 offset:656
	v_fma_f64 v[69:70], v[69:70], v[8:9], v[73:74]
	v_fma_f64 v[8:9], v[67:68], v[8:9], -v[10:11]
	s_wait_loadcnt_dscnt 0x101
	v_mul_f64_e32 v[65:66], v[59:60], v[101:102]
	v_mul_f64_e32 v[77:78], v[61:62], v[101:102]
	v_add_f64_e32 v[10:11], v[63:64], v[75:76]
	v_add_f64_e32 v[6:7], v[6:7], v[71:72]
	s_wait_loadcnt_dscnt 0x0
	v_mul_f64_e32 v[63:64], v[1:2], v[57:58]
	v_mul_f64_e32 v[57:58], v[3:4], v[57:58]
	v_fma_f64 v[61:62], v[61:62], v[99:100], v[65:66]
	v_fma_f64 v[59:60], v[59:60], v[99:100], -v[77:78]
	v_add_f64_e32 v[8:9], v[10:11], v[8:9]
	v_add_f64_e32 v[6:7], v[6:7], v[69:70]
	v_fma_f64 v[3:4], v[3:4], v[55:56], v[63:64]
	v_fma_f64 v[1:2], v[1:2], v[55:56], -v[57:58]
	s_delay_alu instid0(VALU_DEP_4) | instskip(NEXT) | instid1(VALU_DEP_4)
	v_add_f64_e32 v[8:9], v[8:9], v[59:60]
	v_add_f64_e32 v[6:7], v[6:7], v[61:62]
	s_delay_alu instid0(VALU_DEP_2) | instskip(NEXT) | instid1(VALU_DEP_2)
	v_add_f64_e32 v[1:2], v[8:9], v[1:2]
	v_add_f64_e32 v[3:4], v[6:7], v[3:4]
	s_delay_alu instid0(VALU_DEP_2) | instskip(NEXT) | instid1(VALU_DEP_2)
	v_add_f64_e64 v[1:2], v[95:96], -v[1:2]
	v_add_f64_e64 v[3:4], v[97:98], -v[3:4]
	scratch_store_b128 off, v[1:4], off offset:144
	v_cmpx_lt_u32_e32 7, v0
	s_cbranch_execz .LBB84_125
; %bb.124:
	scratch_load_b128 v[1:4], off, s20
	v_mov_b32_e32 v6, 0
	s_delay_alu instid0(VALU_DEP_1)
	v_dual_mov_b32 v7, v6 :: v_dual_mov_b32 v8, v6
	v_mov_b32_e32 v9, v6
	scratch_store_b128 off, v[6:9], off offset:128
	s_wait_loadcnt 0x0
	ds_store_b128 v5, v[1:4]
.LBB84_125:
	s_wait_alu 0xfffe
	s_or_b32 exec_lo, exec_lo, s0
	s_wait_storecnt_dscnt 0x0
	s_barrier_signal -1
	s_barrier_wait -1
	global_inv scope:SCOPE_SE
	s_clause 0x7
	scratch_load_b128 v[6:9], off, off offset:144
	scratch_load_b128 v[55:58], off, off offset:160
	;; [unrolled: 1-line block ×8, first 2 shown]
	v_mov_b32_e32 v1, 0
	s_mov_b32 s0, exec_lo
	ds_load_b128 v[83:86], v1 offset:464
	s_clause 0x1
	scratch_load_b128 v[87:90], off, off offset:272
	scratch_load_b128 v[91:94], off, off offset:128
	ds_load_b128 v[95:98], v1 offset:480
	ds_load_b128 v[103:106], v1 offset:512
	s_wait_loadcnt_dscnt 0x902
	v_mul_f64_e32 v[2:3], v[85:86], v[8:9]
	v_mul_f64_e32 v[99:100], v[83:84], v[8:9]
	scratch_load_b128 v[8:11], off, off offset:288
	v_fma_f64 v[2:3], v[83:84], v[6:7], -v[2:3]
	v_fma_f64 v[6:7], v[85:86], v[6:7], v[99:100]
	ds_load_b128 v[83:86], v1 offset:496
	s_wait_loadcnt_dscnt 0x902
	v_mul_f64_e32 v[107:108], v[95:96], v[57:58]
	v_mul_f64_e32 v[57:58], v[97:98], v[57:58]
	scratch_load_b128 v[99:102], off, off offset:304
	s_wait_loadcnt_dscnt 0x900
	v_mul_f64_e32 v[109:110], v[83:84], v[61:62]
	v_mul_f64_e32 v[61:62], v[85:86], v[61:62]
	v_add_f64_e32 v[2:3], 0, v[2:3]
	v_add_f64_e32 v[6:7], 0, v[6:7]
	v_fma_f64 v[97:98], v[97:98], v[55:56], v[107:108]
	v_fma_f64 v[95:96], v[95:96], v[55:56], -v[57:58]
	scratch_load_b128 v[55:58], off, off offset:320
	v_fma_f64 v[109:110], v[85:86], v[59:60], v[109:110]
	v_fma_f64 v[111:112], v[83:84], v[59:60], -v[61:62]
	ds_load_b128 v[59:62], v1 offset:528
	s_wait_loadcnt 0x9
	v_mul_f64_e32 v[107:108], v[103:104], v[65:66]
	v_mul_f64_e32 v[65:66], v[105:106], v[65:66]
	scratch_load_b128 v[83:86], off, off offset:336
	v_add_f64_e32 v[6:7], v[6:7], v[97:98]
	v_add_f64_e32 v[2:3], v[2:3], v[95:96]
	ds_load_b128 v[95:98], v1 offset:544
	s_wait_loadcnt_dscnt 0x901
	v_mul_f64_e32 v[113:114], v[59:60], v[69:70]
	v_mul_f64_e32 v[69:70], v[61:62], v[69:70]
	v_fma_f64 v[105:106], v[105:106], v[63:64], v[107:108]
	v_fma_f64 v[63:64], v[103:104], v[63:64], -v[65:66]
	s_wait_loadcnt_dscnt 0x800
	v_mul_f64_e32 v[103:104], v[95:96], v[73:74]
	v_mul_f64_e32 v[73:74], v[97:98], v[73:74]
	v_add_f64_e32 v[6:7], v[6:7], v[109:110]
	v_add_f64_e32 v[2:3], v[2:3], v[111:112]
	v_fma_f64 v[107:108], v[61:62], v[67:68], v[113:114]
	v_fma_f64 v[67:68], v[59:60], v[67:68], -v[69:70]
	v_fma_f64 v[97:98], v[97:98], v[71:72], v[103:104]
	v_fma_f64 v[71:72], v[95:96], v[71:72], -v[73:74]
	v_add_f64_e32 v[6:7], v[6:7], v[105:106]
	v_add_f64_e32 v[2:3], v[2:3], v[63:64]
	ds_load_b128 v[59:62], v1 offset:560
	ds_load_b128 v[63:66], v1 offset:576
	s_wait_loadcnt_dscnt 0x701
	v_mul_f64_e32 v[69:70], v[59:60], v[77:78]
	v_mul_f64_e32 v[77:78], v[61:62], v[77:78]
	s_wait_loadcnt_dscnt 0x600
	v_mul_f64_e32 v[73:74], v[63:64], v[81:82]
	v_mul_f64_e32 v[81:82], v[65:66], v[81:82]
	v_add_f64_e32 v[6:7], v[6:7], v[107:108]
	v_add_f64_e32 v[2:3], v[2:3], v[67:68]
	v_fma_f64 v[95:96], v[61:62], v[75:76], v[69:70]
	v_fma_f64 v[75:76], v[59:60], v[75:76], -v[77:78]
	ds_load_b128 v[59:62], v1 offset:592
	ds_load_b128 v[67:70], v1 offset:608
	v_fma_f64 v[65:66], v[65:66], v[79:80], v[73:74]
	v_fma_f64 v[63:64], v[63:64], v[79:80], -v[81:82]
	v_add_f64_e32 v[6:7], v[6:7], v[97:98]
	v_add_f64_e32 v[2:3], v[2:3], v[71:72]
	s_wait_loadcnt_dscnt 0x501
	v_mul_f64_e32 v[71:72], v[59:60], v[89:90]
	v_mul_f64_e32 v[77:78], v[61:62], v[89:90]
	s_delay_alu instid0(VALU_DEP_4) | instskip(NEXT) | instid1(VALU_DEP_4)
	v_add_f64_e32 v[6:7], v[6:7], v[95:96]
	v_add_f64_e32 v[2:3], v[2:3], v[75:76]
	s_delay_alu instid0(VALU_DEP_4) | instskip(NEXT) | instid1(VALU_DEP_4)
	v_fma_f64 v[71:72], v[61:62], v[87:88], v[71:72]
	v_fma_f64 v[75:76], v[59:60], v[87:88], -v[77:78]
	s_wait_loadcnt_dscnt 0x300
	v_mul_f64_e32 v[73:74], v[67:68], v[10:11]
	v_mul_f64_e32 v[10:11], v[69:70], v[10:11]
	v_add_f64_e32 v[6:7], v[6:7], v[65:66]
	v_add_f64_e32 v[2:3], v[2:3], v[63:64]
	ds_load_b128 v[59:62], v1 offset:624
	ds_load_b128 v[63:66], v1 offset:640
	v_fma_f64 v[69:70], v[69:70], v[8:9], v[73:74]
	v_fma_f64 v[8:9], v[67:68], v[8:9], -v[10:11]
	s_wait_loadcnt_dscnt 0x201
	v_mul_f64_e32 v[77:78], v[59:60], v[101:102]
	v_mul_f64_e32 v[79:80], v[61:62], v[101:102]
	v_add_f64_e32 v[6:7], v[6:7], v[71:72]
	v_add_f64_e32 v[2:3], v[2:3], v[75:76]
	s_wait_loadcnt_dscnt 0x100
	v_mul_f64_e32 v[10:11], v[63:64], v[57:58]
	v_mul_f64_e32 v[57:58], v[65:66], v[57:58]
	v_fma_f64 v[61:62], v[61:62], v[99:100], v[77:78]
	v_fma_f64 v[59:60], v[59:60], v[99:100], -v[79:80]
	v_add_f64_e32 v[67:68], v[6:7], v[69:70]
	v_add_f64_e32 v[2:3], v[2:3], v[8:9]
	ds_load_b128 v[6:9], v1 offset:656
	v_fma_f64 v[10:11], v[65:66], v[55:56], v[10:11]
	v_fma_f64 v[55:56], v[63:64], v[55:56], -v[57:58]
	s_wait_loadcnt_dscnt 0x0
	v_mul_f64_e32 v[69:70], v[6:7], v[85:86]
	v_mul_f64_e32 v[71:72], v[8:9], v[85:86]
	v_add_f64_e32 v[57:58], v[67:68], v[61:62]
	v_add_f64_e32 v[2:3], v[2:3], v[59:60]
	s_delay_alu instid0(VALU_DEP_4) | instskip(NEXT) | instid1(VALU_DEP_4)
	v_fma_f64 v[8:9], v[8:9], v[83:84], v[69:70]
	v_fma_f64 v[6:7], v[6:7], v[83:84], -v[71:72]
	s_delay_alu instid0(VALU_DEP_4) | instskip(NEXT) | instid1(VALU_DEP_4)
	v_add_f64_e32 v[10:11], v[57:58], v[10:11]
	v_add_f64_e32 v[2:3], v[2:3], v[55:56]
	s_delay_alu instid0(VALU_DEP_2) | instskip(NEXT) | instid1(VALU_DEP_2)
	v_add_f64_e32 v[8:9], v[10:11], v[8:9]
	v_add_f64_e32 v[2:3], v[2:3], v[6:7]
	s_delay_alu instid0(VALU_DEP_2) | instskip(NEXT) | instid1(VALU_DEP_2)
	v_add_f64_e64 v[8:9], v[93:94], -v[8:9]
	v_add_f64_e64 v[6:7], v[91:92], -v[2:3]
	scratch_store_b128 off, v[6:9], off offset:128
	v_cmpx_lt_u32_e32 6, v0
	s_cbranch_execz .LBB84_127
; %bb.126:
	scratch_load_b128 v[6:9], off, s5
	v_dual_mov_b32 v2, v1 :: v_dual_mov_b32 v3, v1
	v_mov_b32_e32 v4, v1
	scratch_store_b128 off, v[1:4], off offset:112
	s_wait_loadcnt 0x0
	ds_store_b128 v5, v[6:9]
.LBB84_127:
	s_wait_alu 0xfffe
	s_or_b32 exec_lo, exec_lo, s0
	s_wait_storecnt_dscnt 0x0
	s_barrier_signal -1
	s_barrier_wait -1
	global_inv scope:SCOPE_SE
	s_clause 0x8
	scratch_load_b128 v[6:9], off, off offset:128
	scratch_load_b128 v[55:58], off, off offset:144
	;; [unrolled: 1-line block ×9, first 2 shown]
	ds_load_b128 v[87:90], v1 offset:448
	ds_load_b128 v[91:94], v1 offset:464
	scratch_load_b128 v[95:98], off, off offset:112
	s_mov_b32 s0, exec_lo
	ds_load_b128 v[103:106], v1 offset:496
	s_wait_loadcnt_dscnt 0x902
	v_mul_f64_e32 v[2:3], v[89:90], v[8:9]
	v_mul_f64_e32 v[99:100], v[87:88], v[8:9]
	scratch_load_b128 v[8:11], off, off offset:272
	s_wait_loadcnt_dscnt 0x901
	v_mul_f64_e32 v[107:108], v[91:92], v[57:58]
	v_mul_f64_e32 v[57:58], v[93:94], v[57:58]
	v_fma_f64 v[2:3], v[87:88], v[6:7], -v[2:3]
	v_fma_f64 v[6:7], v[89:90], v[6:7], v[99:100]
	ds_load_b128 v[87:90], v1 offset:480
	scratch_load_b128 v[99:102], off, off offset:288
	v_fma_f64 v[93:94], v[93:94], v[55:56], v[107:108]
	v_fma_f64 v[91:92], v[91:92], v[55:56], -v[57:58]
	scratch_load_b128 v[55:58], off, off offset:304
	s_wait_loadcnt_dscnt 0x901
	v_mul_f64_e32 v[107:108], v[103:104], v[65:66]
	v_mul_f64_e32 v[65:66], v[105:106], v[65:66]
	s_wait_dscnt 0x0
	v_mul_f64_e32 v[109:110], v[87:88], v[61:62]
	v_mul_f64_e32 v[61:62], v[89:90], v[61:62]
	v_add_f64_e32 v[2:3], 0, v[2:3]
	v_add_f64_e32 v[6:7], 0, v[6:7]
	v_fma_f64 v[105:106], v[105:106], v[63:64], v[107:108]
	v_fma_f64 v[103:104], v[103:104], v[63:64], -v[65:66]
	scratch_load_b128 v[63:66], off, off offset:336
	v_fma_f64 v[109:110], v[89:90], v[59:60], v[109:110]
	v_fma_f64 v[111:112], v[87:88], v[59:60], -v[61:62]
	ds_load_b128 v[59:62], v1 offset:512
	scratch_load_b128 v[87:90], off, off offset:320
	v_add_f64_e32 v[2:3], v[2:3], v[91:92]
	v_add_f64_e32 v[6:7], v[6:7], v[93:94]
	ds_load_b128 v[91:94], v1 offset:528
	s_wait_loadcnt_dscnt 0xa01
	v_mul_f64_e32 v[113:114], v[59:60], v[69:70]
	v_mul_f64_e32 v[69:70], v[61:62], v[69:70]
	s_wait_loadcnt_dscnt 0x900
	v_mul_f64_e32 v[107:108], v[91:92], v[73:74]
	v_mul_f64_e32 v[73:74], v[93:94], v[73:74]
	v_add_f64_e32 v[2:3], v[2:3], v[111:112]
	v_add_f64_e32 v[6:7], v[6:7], v[109:110]
	v_fma_f64 v[109:110], v[61:62], v[67:68], v[113:114]
	v_fma_f64 v[111:112], v[59:60], v[67:68], -v[69:70]
	ds_load_b128 v[59:62], v1 offset:544
	ds_load_b128 v[67:70], v1 offset:560
	v_fma_f64 v[93:94], v[93:94], v[71:72], v[107:108]
	v_fma_f64 v[71:72], v[91:92], v[71:72], -v[73:74]
	s_wait_loadcnt_dscnt 0x700
	v_mul_f64_e32 v[91:92], v[67:68], v[81:82]
	v_mul_f64_e32 v[81:82], v[69:70], v[81:82]
	v_add_f64_e32 v[2:3], v[2:3], v[103:104]
	v_add_f64_e32 v[6:7], v[6:7], v[105:106]
	v_mul_f64_e32 v[103:104], v[59:60], v[77:78]
	v_mul_f64_e32 v[77:78], v[61:62], v[77:78]
	v_fma_f64 v[69:70], v[69:70], v[79:80], v[91:92]
	v_fma_f64 v[67:68], v[67:68], v[79:80], -v[81:82]
	v_add_f64_e32 v[2:3], v[2:3], v[111:112]
	v_add_f64_e32 v[6:7], v[6:7], v[109:110]
	v_fma_f64 v[103:104], v[61:62], v[75:76], v[103:104]
	v_fma_f64 v[75:76], v[59:60], v[75:76], -v[77:78]
	s_delay_alu instid0(VALU_DEP_4) | instskip(NEXT) | instid1(VALU_DEP_4)
	v_add_f64_e32 v[2:3], v[2:3], v[71:72]
	v_add_f64_e32 v[6:7], v[6:7], v[93:94]
	ds_load_b128 v[59:62], v1 offset:576
	ds_load_b128 v[71:74], v1 offset:592
	s_wait_loadcnt_dscnt 0x601
	v_mul_f64_e32 v[77:78], v[59:60], v[85:86]
	v_mul_f64_e32 v[85:86], v[61:62], v[85:86]
	v_add_f64_e32 v[2:3], v[2:3], v[75:76]
	v_add_f64_e32 v[6:7], v[6:7], v[103:104]
	s_wait_loadcnt_dscnt 0x400
	v_mul_f64_e32 v[75:76], v[71:72], v[10:11]
	v_mul_f64_e32 v[10:11], v[73:74], v[10:11]
	v_fma_f64 v[77:78], v[61:62], v[83:84], v[77:78]
	v_fma_f64 v[79:80], v[59:60], v[83:84], -v[85:86]
	v_add_f64_e32 v[2:3], v[2:3], v[67:68]
	v_add_f64_e32 v[6:7], v[6:7], v[69:70]
	ds_load_b128 v[59:62], v1 offset:608
	ds_load_b128 v[67:70], v1 offset:624
	v_fma_f64 v[73:74], v[73:74], v[8:9], v[75:76]
	v_fma_f64 v[8:9], v[71:72], v[8:9], -v[10:11]
	s_wait_loadcnt_dscnt 0x301
	v_mul_f64_e32 v[81:82], v[59:60], v[101:102]
	v_mul_f64_e32 v[83:84], v[61:62], v[101:102]
	s_wait_loadcnt_dscnt 0x200
	v_mul_f64_e32 v[10:11], v[67:68], v[57:58]
	v_mul_f64_e32 v[57:58], v[69:70], v[57:58]
	v_add_f64_e32 v[2:3], v[2:3], v[79:80]
	v_add_f64_e32 v[6:7], v[6:7], v[77:78]
	v_fma_f64 v[61:62], v[61:62], v[99:100], v[81:82]
	v_fma_f64 v[59:60], v[59:60], v[99:100], -v[83:84]
	v_fma_f64 v[10:11], v[69:70], v[55:56], v[10:11]
	v_fma_f64 v[55:56], v[67:68], v[55:56], -v[57:58]
	v_add_f64_e32 v[71:72], v[2:3], v[8:9]
	v_add_f64_e32 v[73:74], v[6:7], v[73:74]
	ds_load_b128 v[6:9], v1 offset:640
	ds_load_b128 v[1:4], v1 offset:656
	s_wait_loadcnt_dscnt 0x1
	v_mul_f64_e32 v[75:76], v[6:7], v[89:90]
	v_mul_f64_e32 v[77:78], v[8:9], v[89:90]
	v_add_f64_e32 v[57:58], v[71:72], v[59:60]
	v_add_f64_e32 v[59:60], v[73:74], v[61:62]
	s_wait_dscnt 0x0
	v_mul_f64_e32 v[61:62], v[1:2], v[65:66]
	v_mul_f64_e32 v[65:66], v[3:4], v[65:66]
	v_fma_f64 v[8:9], v[8:9], v[87:88], v[75:76]
	v_fma_f64 v[6:7], v[6:7], v[87:88], -v[77:78]
	v_add_f64_e32 v[55:56], v[57:58], v[55:56]
	v_add_f64_e32 v[10:11], v[59:60], v[10:11]
	v_fma_f64 v[3:4], v[3:4], v[63:64], v[61:62]
	v_fma_f64 v[1:2], v[1:2], v[63:64], -v[65:66]
	s_delay_alu instid0(VALU_DEP_4) | instskip(NEXT) | instid1(VALU_DEP_4)
	v_add_f64_e32 v[6:7], v[55:56], v[6:7]
	v_add_f64_e32 v[8:9], v[10:11], v[8:9]
	s_delay_alu instid0(VALU_DEP_2) | instskip(NEXT) | instid1(VALU_DEP_2)
	v_add_f64_e32 v[1:2], v[6:7], v[1:2]
	v_add_f64_e32 v[3:4], v[8:9], v[3:4]
	s_delay_alu instid0(VALU_DEP_2) | instskip(NEXT) | instid1(VALU_DEP_2)
	v_add_f64_e64 v[1:2], v[95:96], -v[1:2]
	v_add_f64_e64 v[3:4], v[97:98], -v[3:4]
	scratch_store_b128 off, v[1:4], off offset:112
	v_cmpx_lt_u32_e32 5, v0
	s_cbranch_execz .LBB84_129
; %bb.128:
	scratch_load_b128 v[1:4], off, s19
	v_mov_b32_e32 v6, 0
	s_delay_alu instid0(VALU_DEP_1)
	v_dual_mov_b32 v7, v6 :: v_dual_mov_b32 v8, v6
	v_mov_b32_e32 v9, v6
	scratch_store_b128 off, v[6:9], off offset:96
	s_wait_loadcnt 0x0
	ds_store_b128 v5, v[1:4]
.LBB84_129:
	s_wait_alu 0xfffe
	s_or_b32 exec_lo, exec_lo, s0
	s_wait_storecnt_dscnt 0x0
	s_barrier_signal -1
	s_barrier_wait -1
	global_inv scope:SCOPE_SE
	s_clause 0x7
	scratch_load_b128 v[6:9], off, off offset:112
	scratch_load_b128 v[55:58], off, off offset:128
	;; [unrolled: 1-line block ×8, first 2 shown]
	v_mov_b32_e32 v1, 0
	s_mov_b32 s0, exec_lo
	ds_load_b128 v[83:86], v1 offset:432
	s_clause 0x1
	scratch_load_b128 v[87:90], off, off offset:240
	scratch_load_b128 v[91:94], off, off offset:96
	ds_load_b128 v[95:98], v1 offset:448
	ds_load_b128 v[103:106], v1 offset:480
	s_wait_loadcnt_dscnt 0x902
	v_mul_f64_e32 v[2:3], v[85:86], v[8:9]
	v_mul_f64_e32 v[99:100], v[83:84], v[8:9]
	scratch_load_b128 v[8:11], off, off offset:256
	v_fma_f64 v[2:3], v[83:84], v[6:7], -v[2:3]
	v_fma_f64 v[6:7], v[85:86], v[6:7], v[99:100]
	ds_load_b128 v[83:86], v1 offset:464
	s_wait_loadcnt_dscnt 0x902
	v_mul_f64_e32 v[107:108], v[95:96], v[57:58]
	v_mul_f64_e32 v[57:58], v[97:98], v[57:58]
	scratch_load_b128 v[99:102], off, off offset:272
	s_wait_loadcnt_dscnt 0x900
	v_mul_f64_e32 v[109:110], v[83:84], v[61:62]
	v_mul_f64_e32 v[61:62], v[85:86], v[61:62]
	v_add_f64_e32 v[2:3], 0, v[2:3]
	v_add_f64_e32 v[6:7], 0, v[6:7]
	v_fma_f64 v[97:98], v[97:98], v[55:56], v[107:108]
	v_fma_f64 v[95:96], v[95:96], v[55:56], -v[57:58]
	scratch_load_b128 v[55:58], off, off offset:288
	v_fma_f64 v[109:110], v[85:86], v[59:60], v[109:110]
	v_fma_f64 v[111:112], v[83:84], v[59:60], -v[61:62]
	ds_load_b128 v[59:62], v1 offset:496
	s_wait_loadcnt 0x9
	v_mul_f64_e32 v[107:108], v[103:104], v[65:66]
	v_mul_f64_e32 v[65:66], v[105:106], v[65:66]
	scratch_load_b128 v[83:86], off, off offset:304
	v_add_f64_e32 v[6:7], v[6:7], v[97:98]
	v_add_f64_e32 v[2:3], v[2:3], v[95:96]
	ds_load_b128 v[95:98], v1 offset:512
	s_wait_loadcnt_dscnt 0x901
	v_mul_f64_e32 v[113:114], v[59:60], v[69:70]
	v_mul_f64_e32 v[69:70], v[61:62], v[69:70]
	v_fma_f64 v[105:106], v[105:106], v[63:64], v[107:108]
	v_fma_f64 v[103:104], v[103:104], v[63:64], -v[65:66]
	scratch_load_b128 v[63:66], off, off offset:320
	v_add_f64_e32 v[6:7], v[6:7], v[109:110]
	v_add_f64_e32 v[2:3], v[2:3], v[111:112]
	v_fma_f64 v[109:110], v[61:62], v[67:68], v[113:114]
	v_fma_f64 v[111:112], v[59:60], v[67:68], -v[69:70]
	ds_load_b128 v[59:62], v1 offset:528
	s_wait_loadcnt_dscnt 0x901
	v_mul_f64_e32 v[107:108], v[95:96], v[73:74]
	v_mul_f64_e32 v[73:74], v[97:98], v[73:74]
	scratch_load_b128 v[67:70], off, off offset:336
	s_wait_loadcnt_dscnt 0x900
	v_mul_f64_e32 v[113:114], v[59:60], v[77:78]
	v_mul_f64_e32 v[77:78], v[61:62], v[77:78]
	v_add_f64_e32 v[6:7], v[6:7], v[105:106]
	v_add_f64_e32 v[2:3], v[2:3], v[103:104]
	ds_load_b128 v[103:106], v1 offset:544
	v_fma_f64 v[97:98], v[97:98], v[71:72], v[107:108]
	v_fma_f64 v[71:72], v[95:96], v[71:72], -v[73:74]
	s_wait_loadcnt_dscnt 0x800
	v_mul_f64_e32 v[95:96], v[103:104], v[81:82]
	v_mul_f64_e32 v[81:82], v[105:106], v[81:82]
	v_fma_f64 v[107:108], v[61:62], v[75:76], v[113:114]
	v_fma_f64 v[75:76], v[59:60], v[75:76], -v[77:78]
	v_add_f64_e32 v[6:7], v[6:7], v[109:110]
	v_add_f64_e32 v[2:3], v[2:3], v[111:112]
	v_fma_f64 v[95:96], v[105:106], v[79:80], v[95:96]
	v_fma_f64 v[79:80], v[103:104], v[79:80], -v[81:82]
	s_delay_alu instid0(VALU_DEP_4) | instskip(NEXT) | instid1(VALU_DEP_4)
	v_add_f64_e32 v[6:7], v[6:7], v[97:98]
	v_add_f64_e32 v[2:3], v[2:3], v[71:72]
	ds_load_b128 v[59:62], v1 offset:560
	ds_load_b128 v[71:74], v1 offset:576
	s_wait_loadcnt_dscnt 0x701
	v_mul_f64_e32 v[77:78], v[59:60], v[89:90]
	v_mul_f64_e32 v[89:90], v[61:62], v[89:90]
	v_add_f64_e32 v[6:7], v[6:7], v[107:108]
	v_add_f64_e32 v[2:3], v[2:3], v[75:76]
	s_wait_loadcnt_dscnt 0x500
	v_mul_f64_e32 v[81:82], v[71:72], v[10:11]
	v_mul_f64_e32 v[10:11], v[73:74], v[10:11]
	v_fma_f64 v[97:98], v[61:62], v[87:88], v[77:78]
	v_fma_f64 v[87:88], v[59:60], v[87:88], -v[89:90]
	ds_load_b128 v[59:62], v1 offset:592
	ds_load_b128 v[75:78], v1 offset:608
	v_add_f64_e32 v[6:7], v[6:7], v[95:96]
	v_add_f64_e32 v[2:3], v[2:3], v[79:80]
	v_fma_f64 v[73:74], v[73:74], v[8:9], v[81:82]
	v_fma_f64 v[8:9], v[71:72], v[8:9], -v[10:11]
	s_wait_loadcnt_dscnt 0x401
	v_mul_f64_e32 v[79:80], v[59:60], v[101:102]
	v_mul_f64_e32 v[89:90], v[61:62], v[101:102]
	v_add_f64_e32 v[6:7], v[6:7], v[97:98]
	v_add_f64_e32 v[2:3], v[2:3], v[87:88]
	s_wait_loadcnt_dscnt 0x300
	v_mul_f64_e32 v[10:11], v[75:76], v[57:58]
	v_mul_f64_e32 v[71:72], v[77:78], v[57:58]
	v_fma_f64 v[61:62], v[61:62], v[99:100], v[79:80]
	v_fma_f64 v[79:80], v[59:60], v[99:100], -v[89:90]
	v_add_f64_e32 v[73:74], v[6:7], v[73:74]
	v_add_f64_e32 v[2:3], v[2:3], v[8:9]
	ds_load_b128 v[6:9], v1 offset:624
	ds_load_b128 v[57:60], v1 offset:640
	v_fma_f64 v[10:11], v[77:78], v[55:56], v[10:11]
	v_fma_f64 v[55:56], v[75:76], v[55:56], -v[71:72]
	s_wait_loadcnt_dscnt 0x201
	v_mul_f64_e32 v[81:82], v[6:7], v[85:86]
	v_mul_f64_e32 v[85:86], v[8:9], v[85:86]
	v_add_f64_e32 v[61:62], v[73:74], v[61:62]
	v_add_f64_e32 v[2:3], v[2:3], v[79:80]
	s_wait_loadcnt_dscnt 0x100
	v_mul_f64_e32 v[71:72], v[57:58], v[65:66]
	v_mul_f64_e32 v[65:66], v[59:60], v[65:66]
	v_fma_f64 v[73:74], v[8:9], v[83:84], v[81:82]
	v_fma_f64 v[75:76], v[6:7], v[83:84], -v[85:86]
	ds_load_b128 v[6:9], v1 offset:656
	v_add_f64_e32 v[10:11], v[61:62], v[10:11]
	v_add_f64_e32 v[2:3], v[2:3], v[55:56]
	v_fma_f64 v[59:60], v[59:60], v[63:64], v[71:72]
	v_fma_f64 v[57:58], v[57:58], v[63:64], -v[65:66]
	s_wait_loadcnt_dscnt 0x0
	v_mul_f64_e32 v[55:56], v[6:7], v[69:70]
	v_mul_f64_e32 v[61:62], v[8:9], v[69:70]
	v_add_f64_e32 v[10:11], v[10:11], v[73:74]
	v_add_f64_e32 v[2:3], v[2:3], v[75:76]
	s_delay_alu instid0(VALU_DEP_4) | instskip(NEXT) | instid1(VALU_DEP_4)
	v_fma_f64 v[8:9], v[8:9], v[67:68], v[55:56]
	v_fma_f64 v[6:7], v[6:7], v[67:68], -v[61:62]
	s_delay_alu instid0(VALU_DEP_4) | instskip(NEXT) | instid1(VALU_DEP_4)
	v_add_f64_e32 v[10:11], v[10:11], v[59:60]
	v_add_f64_e32 v[2:3], v[2:3], v[57:58]
	s_delay_alu instid0(VALU_DEP_2) | instskip(NEXT) | instid1(VALU_DEP_2)
	v_add_f64_e32 v[8:9], v[10:11], v[8:9]
	v_add_f64_e32 v[2:3], v[2:3], v[6:7]
	s_delay_alu instid0(VALU_DEP_2) | instskip(NEXT) | instid1(VALU_DEP_2)
	v_add_f64_e64 v[8:9], v[93:94], -v[8:9]
	v_add_f64_e64 v[6:7], v[91:92], -v[2:3]
	scratch_store_b128 off, v[6:9], off offset:96
	v_cmpx_lt_u32_e32 4, v0
	s_cbranch_execz .LBB84_131
; %bb.130:
	scratch_load_b128 v[6:9], off, s4
	v_dual_mov_b32 v2, v1 :: v_dual_mov_b32 v3, v1
	v_mov_b32_e32 v4, v1
	scratch_store_b128 off, v[1:4], off offset:80
	s_wait_loadcnt 0x0
	ds_store_b128 v5, v[6:9]
.LBB84_131:
	s_wait_alu 0xfffe
	s_or_b32 exec_lo, exec_lo, s0
	s_wait_storecnt_dscnt 0x0
	s_barrier_signal -1
	s_barrier_wait -1
	global_inv scope:SCOPE_SE
	s_clause 0x8
	scratch_load_b128 v[6:9], off, off offset:96
	scratch_load_b128 v[55:58], off, off offset:112
	;; [unrolled: 1-line block ×9, first 2 shown]
	ds_load_b128 v[87:90], v1 offset:416
	ds_load_b128 v[91:94], v1 offset:432
	scratch_load_b128 v[95:98], off, off offset:80
	s_mov_b32 s0, exec_lo
	ds_load_b128 v[103:106], v1 offset:464
	s_wait_loadcnt_dscnt 0x902
	v_mul_f64_e32 v[2:3], v[89:90], v[8:9]
	v_mul_f64_e32 v[99:100], v[87:88], v[8:9]
	scratch_load_b128 v[8:11], off, off offset:240
	s_wait_loadcnt_dscnt 0x901
	v_mul_f64_e32 v[107:108], v[91:92], v[57:58]
	v_mul_f64_e32 v[57:58], v[93:94], v[57:58]
	v_fma_f64 v[2:3], v[87:88], v[6:7], -v[2:3]
	v_fma_f64 v[6:7], v[89:90], v[6:7], v[99:100]
	ds_load_b128 v[87:90], v1 offset:448
	scratch_load_b128 v[99:102], off, off offset:256
	v_fma_f64 v[93:94], v[93:94], v[55:56], v[107:108]
	v_fma_f64 v[91:92], v[91:92], v[55:56], -v[57:58]
	scratch_load_b128 v[55:58], off, off offset:272
	s_wait_loadcnt_dscnt 0x901
	v_mul_f64_e32 v[107:108], v[103:104], v[65:66]
	v_mul_f64_e32 v[65:66], v[105:106], v[65:66]
	s_wait_dscnt 0x0
	v_mul_f64_e32 v[109:110], v[87:88], v[61:62]
	v_mul_f64_e32 v[61:62], v[89:90], v[61:62]
	v_add_f64_e32 v[2:3], 0, v[2:3]
	v_add_f64_e32 v[6:7], 0, v[6:7]
	v_fma_f64 v[105:106], v[105:106], v[63:64], v[107:108]
	v_fma_f64 v[103:104], v[103:104], v[63:64], -v[65:66]
	scratch_load_b128 v[63:66], off, off offset:304
	v_fma_f64 v[109:110], v[89:90], v[59:60], v[109:110]
	v_fma_f64 v[111:112], v[87:88], v[59:60], -v[61:62]
	ds_load_b128 v[59:62], v1 offset:480
	scratch_load_b128 v[87:90], off, off offset:288
	v_add_f64_e32 v[2:3], v[2:3], v[91:92]
	v_add_f64_e32 v[6:7], v[6:7], v[93:94]
	ds_load_b128 v[91:94], v1 offset:496
	s_wait_loadcnt_dscnt 0xa01
	v_mul_f64_e32 v[113:114], v[59:60], v[69:70]
	v_mul_f64_e32 v[69:70], v[61:62], v[69:70]
	s_wait_loadcnt_dscnt 0x900
	v_mul_f64_e32 v[107:108], v[91:92], v[73:74]
	v_mul_f64_e32 v[73:74], v[93:94], v[73:74]
	v_add_f64_e32 v[2:3], v[2:3], v[111:112]
	v_add_f64_e32 v[6:7], v[6:7], v[109:110]
	v_fma_f64 v[109:110], v[61:62], v[67:68], v[113:114]
	v_fma_f64 v[111:112], v[59:60], v[67:68], -v[69:70]
	ds_load_b128 v[59:62], v1 offset:512
	scratch_load_b128 v[67:70], off, off offset:320
	v_fma_f64 v[93:94], v[93:94], v[71:72], v[107:108]
	v_fma_f64 v[91:92], v[91:92], v[71:72], -v[73:74]
	scratch_load_b128 v[71:74], off, off offset:336
	v_add_f64_e32 v[2:3], v[2:3], v[103:104]
	v_add_f64_e32 v[6:7], v[6:7], v[105:106]
	ds_load_b128 v[103:106], v1 offset:528
	s_wait_loadcnt_dscnt 0xa01
	v_mul_f64_e32 v[113:114], v[59:60], v[77:78]
	v_mul_f64_e32 v[77:78], v[61:62], v[77:78]
	s_wait_loadcnt_dscnt 0x900
	v_mul_f64_e32 v[107:108], v[103:104], v[81:82]
	v_mul_f64_e32 v[81:82], v[105:106], v[81:82]
	v_add_f64_e32 v[2:3], v[2:3], v[111:112]
	v_add_f64_e32 v[6:7], v[6:7], v[109:110]
	v_fma_f64 v[109:110], v[61:62], v[75:76], v[113:114]
	v_fma_f64 v[111:112], v[59:60], v[75:76], -v[77:78]
	ds_load_b128 v[59:62], v1 offset:544
	ds_load_b128 v[75:78], v1 offset:560
	v_add_f64_e32 v[2:3], v[2:3], v[91:92]
	v_add_f64_e32 v[6:7], v[6:7], v[93:94]
	s_wait_loadcnt_dscnt 0x801
	v_mul_f64_e32 v[91:92], v[59:60], v[85:86]
	v_mul_f64_e32 v[85:86], v[61:62], v[85:86]
	v_fma_f64 v[93:94], v[105:106], v[79:80], v[107:108]
	v_fma_f64 v[79:80], v[103:104], v[79:80], -v[81:82]
	v_add_f64_e32 v[2:3], v[2:3], v[111:112]
	v_add_f64_e32 v[6:7], v[6:7], v[109:110]
	v_fma_f64 v[91:92], v[61:62], v[83:84], v[91:92]
	v_fma_f64 v[83:84], v[59:60], v[83:84], -v[85:86]
	s_wait_loadcnt_dscnt 0x600
	v_mul_f64_e32 v[103:104], v[75:76], v[10:11]
	v_mul_f64_e32 v[10:11], v[77:78], v[10:11]
	v_add_f64_e32 v[2:3], v[2:3], v[79:80]
	v_add_f64_e32 v[6:7], v[6:7], v[93:94]
	ds_load_b128 v[59:62], v1 offset:576
	ds_load_b128 v[79:82], v1 offset:592
	v_fma_f64 v[77:78], v[77:78], v[8:9], v[103:104]
	v_fma_f64 v[8:9], v[75:76], v[8:9], -v[10:11]
	s_wait_loadcnt_dscnt 0x501
	v_mul_f64_e32 v[85:86], v[59:60], v[101:102]
	v_mul_f64_e32 v[93:94], v[61:62], v[101:102]
	s_wait_loadcnt_dscnt 0x400
	v_mul_f64_e32 v[10:11], v[79:80], v[57:58]
	v_mul_f64_e32 v[75:76], v[81:82], v[57:58]
	v_add_f64_e32 v[2:3], v[2:3], v[83:84]
	v_add_f64_e32 v[6:7], v[6:7], v[91:92]
	v_fma_f64 v[61:62], v[61:62], v[99:100], v[85:86]
	v_fma_f64 v[83:84], v[59:60], v[99:100], -v[93:94]
	v_fma_f64 v[10:11], v[81:82], v[55:56], v[10:11]
	v_fma_f64 v[55:56], v[79:80], v[55:56], -v[75:76]
	v_add_f64_e32 v[2:3], v[2:3], v[8:9]
	v_add_f64_e32 v[77:78], v[6:7], v[77:78]
	ds_load_b128 v[6:9], v1 offset:608
	ds_load_b128 v[57:60], v1 offset:624
	s_wait_loadcnt_dscnt 0x201
	v_mul_f64_e32 v[85:86], v[6:7], v[89:90]
	v_mul_f64_e32 v[89:90], v[8:9], v[89:90]
	s_wait_dscnt 0x0
	v_mul_f64_e32 v[75:76], v[57:58], v[65:66]
	v_mul_f64_e32 v[65:66], v[59:60], v[65:66]
	v_add_f64_e32 v[2:3], v[2:3], v[83:84]
	v_add_f64_e32 v[61:62], v[77:78], v[61:62]
	v_fma_f64 v[77:78], v[8:9], v[87:88], v[85:86]
	v_fma_f64 v[79:80], v[6:7], v[87:88], -v[89:90]
	v_fma_f64 v[59:60], v[59:60], v[63:64], v[75:76]
	v_fma_f64 v[57:58], v[57:58], v[63:64], -v[65:66]
	v_add_f64_e32 v[55:56], v[2:3], v[55:56]
	v_add_f64_e32 v[10:11], v[61:62], v[10:11]
	ds_load_b128 v[6:9], v1 offset:640
	ds_load_b128 v[1:4], v1 offset:656
	s_wait_loadcnt_dscnt 0x101
	v_mul_f64_e32 v[61:62], v[6:7], v[69:70]
	v_mul_f64_e32 v[69:70], v[8:9], v[69:70]
	s_wait_loadcnt_dscnt 0x0
	v_mul_f64_e32 v[63:64], v[1:2], v[73:74]
	v_mul_f64_e32 v[65:66], v[3:4], v[73:74]
	v_add_f64_e32 v[55:56], v[55:56], v[79:80]
	v_add_f64_e32 v[10:11], v[10:11], v[77:78]
	v_fma_f64 v[8:9], v[8:9], v[67:68], v[61:62]
	v_fma_f64 v[6:7], v[6:7], v[67:68], -v[69:70]
	v_fma_f64 v[3:4], v[3:4], v[71:72], v[63:64]
	v_fma_f64 v[1:2], v[1:2], v[71:72], -v[65:66]
	v_add_f64_e32 v[55:56], v[55:56], v[57:58]
	v_add_f64_e32 v[10:11], v[10:11], v[59:60]
	s_delay_alu instid0(VALU_DEP_2) | instskip(NEXT) | instid1(VALU_DEP_2)
	v_add_f64_e32 v[6:7], v[55:56], v[6:7]
	v_add_f64_e32 v[8:9], v[10:11], v[8:9]
	s_delay_alu instid0(VALU_DEP_2) | instskip(NEXT) | instid1(VALU_DEP_2)
	v_add_f64_e32 v[1:2], v[6:7], v[1:2]
	v_add_f64_e32 v[3:4], v[8:9], v[3:4]
	s_delay_alu instid0(VALU_DEP_2) | instskip(NEXT) | instid1(VALU_DEP_2)
	v_add_f64_e64 v[1:2], v[95:96], -v[1:2]
	v_add_f64_e64 v[3:4], v[97:98], -v[3:4]
	scratch_store_b128 off, v[1:4], off offset:80
	v_cmpx_lt_u32_e32 3, v0
	s_cbranch_execz .LBB84_133
; %bb.132:
	scratch_load_b128 v[1:4], off, s18
	v_mov_b32_e32 v6, 0
	s_delay_alu instid0(VALU_DEP_1)
	v_dual_mov_b32 v7, v6 :: v_dual_mov_b32 v8, v6
	v_mov_b32_e32 v9, v6
	scratch_store_b128 off, v[6:9], off offset:64
	s_wait_loadcnt 0x0
	ds_store_b128 v5, v[1:4]
.LBB84_133:
	s_wait_alu 0xfffe
	s_or_b32 exec_lo, exec_lo, s0
	s_wait_storecnt_dscnt 0x0
	s_barrier_signal -1
	s_barrier_wait -1
	global_inv scope:SCOPE_SE
	s_clause 0x7
	scratch_load_b128 v[6:9], off, off offset:80
	scratch_load_b128 v[55:58], off, off offset:96
	scratch_load_b128 v[59:62], off, off offset:112
	scratch_load_b128 v[63:66], off, off offset:128
	scratch_load_b128 v[67:70], off, off offset:144
	scratch_load_b128 v[71:74], off, off offset:160
	scratch_load_b128 v[75:78], off, off offset:176
	scratch_load_b128 v[79:82], off, off offset:192
	v_mov_b32_e32 v1, 0
	s_mov_b32 s0, exec_lo
	ds_load_b128 v[83:86], v1 offset:400
	s_clause 0x1
	scratch_load_b128 v[87:90], off, off offset:208
	scratch_load_b128 v[91:94], off, off offset:64
	ds_load_b128 v[95:98], v1 offset:416
	ds_load_b128 v[103:106], v1 offset:448
	s_wait_loadcnt_dscnt 0x902
	v_mul_f64_e32 v[2:3], v[85:86], v[8:9]
	v_mul_f64_e32 v[99:100], v[83:84], v[8:9]
	scratch_load_b128 v[8:11], off, off offset:224
	v_fma_f64 v[2:3], v[83:84], v[6:7], -v[2:3]
	v_fma_f64 v[6:7], v[85:86], v[6:7], v[99:100]
	ds_load_b128 v[83:86], v1 offset:432
	s_wait_loadcnt_dscnt 0x902
	v_mul_f64_e32 v[107:108], v[95:96], v[57:58]
	v_mul_f64_e32 v[57:58], v[97:98], v[57:58]
	scratch_load_b128 v[99:102], off, off offset:240
	s_wait_loadcnt_dscnt 0x900
	v_mul_f64_e32 v[109:110], v[83:84], v[61:62]
	v_mul_f64_e32 v[61:62], v[85:86], v[61:62]
	v_add_f64_e32 v[2:3], 0, v[2:3]
	v_add_f64_e32 v[6:7], 0, v[6:7]
	v_fma_f64 v[97:98], v[97:98], v[55:56], v[107:108]
	v_fma_f64 v[95:96], v[95:96], v[55:56], -v[57:58]
	scratch_load_b128 v[55:58], off, off offset:256
	v_fma_f64 v[109:110], v[85:86], v[59:60], v[109:110]
	v_fma_f64 v[111:112], v[83:84], v[59:60], -v[61:62]
	ds_load_b128 v[59:62], v1 offset:464
	s_wait_loadcnt 0x9
	v_mul_f64_e32 v[107:108], v[103:104], v[65:66]
	v_mul_f64_e32 v[65:66], v[105:106], v[65:66]
	scratch_load_b128 v[83:86], off, off offset:272
	v_add_f64_e32 v[6:7], v[6:7], v[97:98]
	v_add_f64_e32 v[2:3], v[2:3], v[95:96]
	ds_load_b128 v[95:98], v1 offset:480
	s_wait_loadcnt_dscnt 0x901
	v_mul_f64_e32 v[113:114], v[59:60], v[69:70]
	v_mul_f64_e32 v[69:70], v[61:62], v[69:70]
	v_fma_f64 v[105:106], v[105:106], v[63:64], v[107:108]
	v_fma_f64 v[103:104], v[103:104], v[63:64], -v[65:66]
	scratch_load_b128 v[63:66], off, off offset:288
	v_add_f64_e32 v[6:7], v[6:7], v[109:110]
	v_add_f64_e32 v[2:3], v[2:3], v[111:112]
	v_fma_f64 v[109:110], v[61:62], v[67:68], v[113:114]
	v_fma_f64 v[111:112], v[59:60], v[67:68], -v[69:70]
	ds_load_b128 v[59:62], v1 offset:496
	s_wait_loadcnt_dscnt 0x901
	v_mul_f64_e32 v[107:108], v[95:96], v[73:74]
	v_mul_f64_e32 v[73:74], v[97:98], v[73:74]
	scratch_load_b128 v[67:70], off, off offset:304
	s_wait_loadcnt_dscnt 0x900
	v_mul_f64_e32 v[113:114], v[59:60], v[77:78]
	v_mul_f64_e32 v[77:78], v[61:62], v[77:78]
	v_add_f64_e32 v[6:7], v[6:7], v[105:106]
	v_add_f64_e32 v[2:3], v[2:3], v[103:104]
	ds_load_b128 v[103:106], v1 offset:512
	v_fma_f64 v[97:98], v[97:98], v[71:72], v[107:108]
	v_fma_f64 v[95:96], v[95:96], v[71:72], -v[73:74]
	scratch_load_b128 v[71:74], off, off offset:320
	v_add_f64_e32 v[6:7], v[6:7], v[109:110]
	v_add_f64_e32 v[2:3], v[2:3], v[111:112]
	v_fma_f64 v[109:110], v[61:62], v[75:76], v[113:114]
	v_fma_f64 v[111:112], v[59:60], v[75:76], -v[77:78]
	ds_load_b128 v[59:62], v1 offset:528
	s_wait_loadcnt_dscnt 0x901
	v_mul_f64_e32 v[107:108], v[103:104], v[81:82]
	v_mul_f64_e32 v[81:82], v[105:106], v[81:82]
	scratch_load_b128 v[75:78], off, off offset:336
	s_wait_loadcnt_dscnt 0x900
	v_mul_f64_e32 v[113:114], v[59:60], v[89:90]
	v_mul_f64_e32 v[89:90], v[61:62], v[89:90]
	v_add_f64_e32 v[6:7], v[6:7], v[97:98]
	v_add_f64_e32 v[2:3], v[2:3], v[95:96]
	ds_load_b128 v[95:98], v1 offset:544
	v_fma_f64 v[105:106], v[105:106], v[79:80], v[107:108]
	v_fma_f64 v[79:80], v[103:104], v[79:80], -v[81:82]
	v_fma_f64 v[107:108], v[61:62], v[87:88], v[113:114]
	v_fma_f64 v[87:88], v[59:60], v[87:88], -v[89:90]
	v_add_f64_e32 v[6:7], v[6:7], v[109:110]
	v_add_f64_e32 v[2:3], v[2:3], v[111:112]
	s_wait_loadcnt_dscnt 0x700
	v_mul_f64_e32 v[103:104], v[95:96], v[10:11]
	v_mul_f64_e32 v[10:11], v[97:98], v[10:11]
	s_delay_alu instid0(VALU_DEP_4) | instskip(NEXT) | instid1(VALU_DEP_4)
	v_add_f64_e32 v[6:7], v[6:7], v[105:106]
	v_add_f64_e32 v[2:3], v[2:3], v[79:80]
	ds_load_b128 v[59:62], v1 offset:560
	ds_load_b128 v[79:82], v1 offset:576
	v_fma_f64 v[97:98], v[97:98], v[8:9], v[103:104]
	v_fma_f64 v[8:9], v[95:96], v[8:9], -v[10:11]
	s_wait_loadcnt_dscnt 0x601
	v_mul_f64_e32 v[89:90], v[59:60], v[101:102]
	v_mul_f64_e32 v[101:102], v[61:62], v[101:102]
	v_add_f64_e32 v[6:7], v[6:7], v[107:108]
	v_add_f64_e32 v[2:3], v[2:3], v[87:88]
	s_wait_loadcnt_dscnt 0x500
	v_mul_f64_e32 v[10:11], v[79:80], v[57:58]
	v_mul_f64_e32 v[87:88], v[81:82], v[57:58]
	v_fma_f64 v[61:62], v[61:62], v[99:100], v[89:90]
	v_fma_f64 v[89:90], v[59:60], v[99:100], -v[101:102]
	v_add_f64_e32 v[95:96], v[6:7], v[97:98]
	v_add_f64_e32 v[2:3], v[2:3], v[8:9]
	ds_load_b128 v[6:9], v1 offset:592
	ds_load_b128 v[57:60], v1 offset:608
	v_fma_f64 v[10:11], v[81:82], v[55:56], v[10:11]
	v_fma_f64 v[55:56], v[79:80], v[55:56], -v[87:88]
	s_wait_loadcnt_dscnt 0x401
	v_mul_f64_e32 v[97:98], v[6:7], v[85:86]
	v_mul_f64_e32 v[85:86], v[8:9], v[85:86]
	v_add_f64_e32 v[61:62], v[95:96], v[61:62]
	v_add_f64_e32 v[2:3], v[2:3], v[89:90]
	s_wait_loadcnt_dscnt 0x300
	v_mul_f64_e32 v[87:88], v[57:58], v[65:66]
	v_mul_f64_e32 v[65:66], v[59:60], v[65:66]
	v_fma_f64 v[89:90], v[8:9], v[83:84], v[97:98]
	v_fma_f64 v[83:84], v[6:7], v[83:84], -v[85:86]
	ds_load_b128 v[6:9], v1 offset:624
	ds_load_b128 v[79:82], v1 offset:640
	v_add_f64_e32 v[10:11], v[61:62], v[10:11]
	v_add_f64_e32 v[2:3], v[2:3], v[55:56]
	v_fma_f64 v[59:60], v[59:60], v[63:64], v[87:88]
	v_fma_f64 v[57:58], v[57:58], v[63:64], -v[65:66]
	s_wait_loadcnt_dscnt 0x201
	v_mul_f64_e32 v[55:56], v[6:7], v[69:70]
	v_mul_f64_e32 v[61:62], v[8:9], v[69:70]
	s_wait_loadcnt_dscnt 0x100
	v_mul_f64_e32 v[63:64], v[79:80], v[73:74]
	v_mul_f64_e32 v[65:66], v[81:82], v[73:74]
	v_add_f64_e32 v[10:11], v[10:11], v[89:90]
	v_add_f64_e32 v[2:3], v[2:3], v[83:84]
	v_fma_f64 v[55:56], v[8:9], v[67:68], v[55:56]
	v_fma_f64 v[61:62], v[6:7], v[67:68], -v[61:62]
	ds_load_b128 v[6:9], v1 offset:656
	v_fma_f64 v[63:64], v[81:82], v[71:72], v[63:64]
	v_fma_f64 v[65:66], v[79:80], v[71:72], -v[65:66]
	v_add_f64_e32 v[10:11], v[10:11], v[59:60]
	v_add_f64_e32 v[2:3], v[2:3], v[57:58]
	s_wait_loadcnt_dscnt 0x0
	v_mul_f64_e32 v[57:58], v[6:7], v[77:78]
	v_mul_f64_e32 v[59:60], v[8:9], v[77:78]
	s_delay_alu instid0(VALU_DEP_4) | instskip(NEXT) | instid1(VALU_DEP_4)
	v_add_f64_e32 v[10:11], v[10:11], v[55:56]
	v_add_f64_e32 v[2:3], v[2:3], v[61:62]
	s_delay_alu instid0(VALU_DEP_4) | instskip(NEXT) | instid1(VALU_DEP_4)
	v_fma_f64 v[8:9], v[8:9], v[75:76], v[57:58]
	v_fma_f64 v[6:7], v[6:7], v[75:76], -v[59:60]
	s_delay_alu instid0(VALU_DEP_4) | instskip(NEXT) | instid1(VALU_DEP_4)
	v_add_f64_e32 v[10:11], v[10:11], v[63:64]
	v_add_f64_e32 v[2:3], v[2:3], v[65:66]
	s_delay_alu instid0(VALU_DEP_2) | instskip(NEXT) | instid1(VALU_DEP_2)
	v_add_f64_e32 v[8:9], v[10:11], v[8:9]
	v_add_f64_e32 v[2:3], v[2:3], v[6:7]
	s_delay_alu instid0(VALU_DEP_2) | instskip(NEXT) | instid1(VALU_DEP_2)
	v_add_f64_e64 v[8:9], v[93:94], -v[8:9]
	v_add_f64_e64 v[6:7], v[91:92], -v[2:3]
	scratch_store_b128 off, v[6:9], off offset:64
	v_cmpx_lt_u32_e32 2, v0
	s_cbranch_execz .LBB84_135
; %bb.134:
	scratch_load_b128 v[6:9], off, s27
	v_dual_mov_b32 v2, v1 :: v_dual_mov_b32 v3, v1
	v_mov_b32_e32 v4, v1
	scratch_store_b128 off, v[1:4], off offset:48
	s_wait_loadcnt 0x0
	ds_store_b128 v5, v[6:9]
.LBB84_135:
	s_wait_alu 0xfffe
	s_or_b32 exec_lo, exec_lo, s0
	s_wait_storecnt_dscnt 0x0
	s_barrier_signal -1
	s_barrier_wait -1
	global_inv scope:SCOPE_SE
	s_clause 0x8
	scratch_load_b128 v[6:9], off, off offset:64
	scratch_load_b128 v[55:58], off, off offset:80
	;; [unrolled: 1-line block ×9, first 2 shown]
	ds_load_b128 v[87:90], v1 offset:384
	ds_load_b128 v[91:94], v1 offset:400
	scratch_load_b128 v[95:98], off, off offset:48
	s_mov_b32 s0, exec_lo
	ds_load_b128 v[103:106], v1 offset:432
	s_wait_loadcnt_dscnt 0x902
	v_mul_f64_e32 v[2:3], v[89:90], v[8:9]
	v_mul_f64_e32 v[99:100], v[87:88], v[8:9]
	scratch_load_b128 v[8:11], off, off offset:208
	s_wait_loadcnt_dscnt 0x901
	v_mul_f64_e32 v[107:108], v[91:92], v[57:58]
	v_mul_f64_e32 v[57:58], v[93:94], v[57:58]
	v_fma_f64 v[2:3], v[87:88], v[6:7], -v[2:3]
	v_fma_f64 v[6:7], v[89:90], v[6:7], v[99:100]
	ds_load_b128 v[87:90], v1 offset:416
	scratch_load_b128 v[99:102], off, off offset:224
	v_fma_f64 v[93:94], v[93:94], v[55:56], v[107:108]
	v_fma_f64 v[91:92], v[91:92], v[55:56], -v[57:58]
	scratch_load_b128 v[55:58], off, off offset:240
	s_wait_loadcnt_dscnt 0x901
	v_mul_f64_e32 v[107:108], v[103:104], v[65:66]
	v_mul_f64_e32 v[65:66], v[105:106], v[65:66]
	s_wait_dscnt 0x0
	v_mul_f64_e32 v[109:110], v[87:88], v[61:62]
	v_mul_f64_e32 v[61:62], v[89:90], v[61:62]
	v_add_f64_e32 v[2:3], 0, v[2:3]
	v_add_f64_e32 v[6:7], 0, v[6:7]
	v_fma_f64 v[105:106], v[105:106], v[63:64], v[107:108]
	v_fma_f64 v[103:104], v[103:104], v[63:64], -v[65:66]
	scratch_load_b128 v[63:66], off, off offset:272
	v_fma_f64 v[109:110], v[89:90], v[59:60], v[109:110]
	v_fma_f64 v[111:112], v[87:88], v[59:60], -v[61:62]
	ds_load_b128 v[59:62], v1 offset:448
	scratch_load_b128 v[87:90], off, off offset:256
	v_add_f64_e32 v[2:3], v[2:3], v[91:92]
	v_add_f64_e32 v[6:7], v[6:7], v[93:94]
	ds_load_b128 v[91:94], v1 offset:464
	s_wait_loadcnt_dscnt 0xa01
	v_mul_f64_e32 v[113:114], v[59:60], v[69:70]
	v_mul_f64_e32 v[69:70], v[61:62], v[69:70]
	s_wait_loadcnt_dscnt 0x900
	v_mul_f64_e32 v[107:108], v[91:92], v[73:74]
	v_mul_f64_e32 v[73:74], v[93:94], v[73:74]
	v_add_f64_e32 v[2:3], v[2:3], v[111:112]
	v_add_f64_e32 v[6:7], v[6:7], v[109:110]
	v_fma_f64 v[109:110], v[61:62], v[67:68], v[113:114]
	v_fma_f64 v[111:112], v[59:60], v[67:68], -v[69:70]
	ds_load_b128 v[59:62], v1 offset:480
	scratch_load_b128 v[67:70], off, off offset:288
	v_fma_f64 v[93:94], v[93:94], v[71:72], v[107:108]
	v_fma_f64 v[91:92], v[91:92], v[71:72], -v[73:74]
	scratch_load_b128 v[71:74], off, off offset:304
	v_add_f64_e32 v[2:3], v[2:3], v[103:104]
	v_add_f64_e32 v[6:7], v[6:7], v[105:106]
	ds_load_b128 v[103:106], v1 offset:496
	s_wait_loadcnt_dscnt 0xa01
	v_mul_f64_e32 v[113:114], v[59:60], v[77:78]
	v_mul_f64_e32 v[77:78], v[61:62], v[77:78]
	s_wait_loadcnt_dscnt 0x900
	v_mul_f64_e32 v[107:108], v[103:104], v[81:82]
	v_mul_f64_e32 v[81:82], v[105:106], v[81:82]
	v_add_f64_e32 v[2:3], v[2:3], v[111:112]
	v_add_f64_e32 v[6:7], v[6:7], v[109:110]
	v_fma_f64 v[109:110], v[61:62], v[75:76], v[113:114]
	v_fma_f64 v[111:112], v[59:60], v[75:76], -v[77:78]
	ds_load_b128 v[59:62], v1 offset:512
	scratch_load_b128 v[75:78], off, off offset:320
	v_fma_f64 v[105:106], v[105:106], v[79:80], v[107:108]
	v_fma_f64 v[103:104], v[103:104], v[79:80], -v[81:82]
	scratch_load_b128 v[79:82], off, off offset:336
	v_add_f64_e32 v[2:3], v[2:3], v[91:92]
	v_add_f64_e32 v[6:7], v[6:7], v[93:94]
	ds_load_b128 v[91:94], v1 offset:528
	s_wait_loadcnt_dscnt 0xa01
	v_mul_f64_e32 v[113:114], v[59:60], v[85:86]
	v_mul_f64_e32 v[85:86], v[61:62], v[85:86]
	v_add_f64_e32 v[2:3], v[2:3], v[111:112]
	v_add_f64_e32 v[6:7], v[6:7], v[109:110]
	s_delay_alu instid0(VALU_DEP_4) | instskip(NEXT) | instid1(VALU_DEP_4)
	v_fma_f64 v[109:110], v[61:62], v[83:84], v[113:114]
	v_fma_f64 v[111:112], v[59:60], v[83:84], -v[85:86]
	ds_load_b128 v[59:62], v1 offset:544
	ds_load_b128 v[83:86], v1 offset:560
	s_wait_loadcnt_dscnt 0x802
	v_mul_f64_e32 v[107:108], v[91:92], v[10:11]
	v_mul_f64_e32 v[10:11], v[93:94], v[10:11]
	v_add_f64_e32 v[2:3], v[2:3], v[103:104]
	v_add_f64_e32 v[6:7], v[6:7], v[105:106]
	s_delay_alu instid0(VALU_DEP_4)
	v_fma_f64 v[93:94], v[93:94], v[8:9], v[107:108]
	s_wait_loadcnt_dscnt 0x701
	v_mul_f64_e32 v[103:104], v[59:60], v[101:102]
	v_mul_f64_e32 v[101:102], v[61:62], v[101:102]
	v_fma_f64 v[8:9], v[91:92], v[8:9], -v[10:11]
	s_wait_loadcnt_dscnt 0x600
	v_mul_f64_e32 v[10:11], v[83:84], v[57:58]
	v_mul_f64_e32 v[91:92], v[85:86], v[57:58]
	v_add_f64_e32 v[2:3], v[2:3], v[111:112]
	v_add_f64_e32 v[6:7], v[6:7], v[109:110]
	v_fma_f64 v[61:62], v[61:62], v[99:100], v[103:104]
	v_fma_f64 v[99:100], v[59:60], v[99:100], -v[101:102]
	v_fma_f64 v[10:11], v[85:86], v[55:56], v[10:11]
	v_fma_f64 v[55:56], v[83:84], v[55:56], -v[91:92]
	v_add_f64_e32 v[2:3], v[2:3], v[8:9]
	v_add_f64_e32 v[93:94], v[6:7], v[93:94]
	ds_load_b128 v[6:9], v1 offset:576
	ds_load_b128 v[57:60], v1 offset:592
	s_wait_loadcnt_dscnt 0x401
	v_mul_f64_e32 v[101:102], v[6:7], v[89:90]
	v_mul_f64_e32 v[89:90], v[8:9], v[89:90]
	s_wait_dscnt 0x0
	v_mul_f64_e32 v[91:92], v[57:58], v[65:66]
	v_mul_f64_e32 v[65:66], v[59:60], v[65:66]
	v_add_f64_e32 v[2:3], v[2:3], v[99:100]
	v_add_f64_e32 v[61:62], v[93:94], v[61:62]
	v_fma_f64 v[93:94], v[8:9], v[87:88], v[101:102]
	v_fma_f64 v[87:88], v[6:7], v[87:88], -v[89:90]
	ds_load_b128 v[6:9], v1 offset:608
	ds_load_b128 v[83:86], v1 offset:624
	v_fma_f64 v[59:60], v[59:60], v[63:64], v[91:92]
	v_fma_f64 v[57:58], v[57:58], v[63:64], -v[65:66]
	v_add_f64_e32 v[2:3], v[2:3], v[55:56]
	v_add_f64_e32 v[10:11], v[61:62], v[10:11]
	s_wait_loadcnt_dscnt 0x301
	v_mul_f64_e32 v[55:56], v[6:7], v[69:70]
	v_mul_f64_e32 v[61:62], v[8:9], v[69:70]
	s_wait_loadcnt_dscnt 0x200
	v_mul_f64_e32 v[63:64], v[83:84], v[73:74]
	v_mul_f64_e32 v[65:66], v[85:86], v[73:74]
	v_add_f64_e32 v[2:3], v[2:3], v[87:88]
	v_add_f64_e32 v[10:11], v[10:11], v[93:94]
	v_fma_f64 v[55:56], v[8:9], v[67:68], v[55:56]
	v_fma_f64 v[61:62], v[6:7], v[67:68], -v[61:62]
	v_fma_f64 v[63:64], v[85:86], v[71:72], v[63:64]
	v_fma_f64 v[65:66], v[83:84], v[71:72], -v[65:66]
	v_add_f64_e32 v[57:58], v[2:3], v[57:58]
	v_add_f64_e32 v[10:11], v[10:11], v[59:60]
	ds_load_b128 v[6:9], v1 offset:640
	ds_load_b128 v[1:4], v1 offset:656
	s_wait_loadcnt_dscnt 0x101
	v_mul_f64_e32 v[59:60], v[6:7], v[77:78]
	v_mul_f64_e32 v[67:68], v[8:9], v[77:78]
	v_add_f64_e32 v[57:58], v[57:58], v[61:62]
	v_add_f64_e32 v[10:11], v[10:11], v[55:56]
	s_wait_loadcnt_dscnt 0x0
	v_mul_f64_e32 v[55:56], v[1:2], v[81:82]
	v_mul_f64_e32 v[61:62], v[3:4], v[81:82]
	v_fma_f64 v[8:9], v[8:9], v[75:76], v[59:60]
	v_fma_f64 v[6:7], v[6:7], v[75:76], -v[67:68]
	v_add_f64_e32 v[57:58], v[57:58], v[65:66]
	v_add_f64_e32 v[10:11], v[10:11], v[63:64]
	v_fma_f64 v[3:4], v[3:4], v[79:80], v[55:56]
	v_fma_f64 v[1:2], v[1:2], v[79:80], -v[61:62]
	s_delay_alu instid0(VALU_DEP_4) | instskip(NEXT) | instid1(VALU_DEP_4)
	v_add_f64_e32 v[6:7], v[57:58], v[6:7]
	v_add_f64_e32 v[8:9], v[10:11], v[8:9]
	s_delay_alu instid0(VALU_DEP_2) | instskip(NEXT) | instid1(VALU_DEP_2)
	v_add_f64_e32 v[1:2], v[6:7], v[1:2]
	v_add_f64_e32 v[3:4], v[8:9], v[3:4]
	s_delay_alu instid0(VALU_DEP_2) | instskip(NEXT) | instid1(VALU_DEP_2)
	v_add_f64_e64 v[1:2], v[95:96], -v[1:2]
	v_add_f64_e64 v[3:4], v[97:98], -v[3:4]
	scratch_store_b128 off, v[1:4], off offset:48
	v_cmpx_lt_u32_e32 1, v0
	s_cbranch_execz .LBB84_137
; %bb.136:
	scratch_load_b128 v[1:4], off, s28
	v_mov_b32_e32 v6, 0
	s_delay_alu instid0(VALU_DEP_1)
	v_dual_mov_b32 v7, v6 :: v_dual_mov_b32 v8, v6
	v_mov_b32_e32 v9, v6
	scratch_store_b128 off, v[6:9], off offset:32
	s_wait_loadcnt 0x0
	ds_store_b128 v5, v[1:4]
.LBB84_137:
	s_wait_alu 0xfffe
	s_or_b32 exec_lo, exec_lo, s0
	s_wait_storecnt_dscnt 0x0
	s_barrier_signal -1
	s_barrier_wait -1
	global_inv scope:SCOPE_SE
	s_clause 0x7
	scratch_load_b128 v[6:9], off, off offset:48
	scratch_load_b128 v[55:58], off, off offset:64
	scratch_load_b128 v[59:62], off, off offset:80
	scratch_load_b128 v[63:66], off, off offset:96
	scratch_load_b128 v[67:70], off, off offset:112
	scratch_load_b128 v[71:74], off, off offset:128
	scratch_load_b128 v[75:78], off, off offset:144
	scratch_load_b128 v[79:82], off, off offset:160
	v_mov_b32_e32 v1, 0
	s_mov_b32 s0, exec_lo
	ds_load_b128 v[83:86], v1 offset:368
	s_clause 0x1
	scratch_load_b128 v[87:90], off, off offset:176
	scratch_load_b128 v[91:94], off, off offset:32
	ds_load_b128 v[95:98], v1 offset:384
	ds_load_b128 v[103:106], v1 offset:416
	s_wait_loadcnt_dscnt 0x902
	v_mul_f64_e32 v[2:3], v[85:86], v[8:9]
	v_mul_f64_e32 v[99:100], v[83:84], v[8:9]
	scratch_load_b128 v[8:11], off, off offset:192
	v_fma_f64 v[2:3], v[83:84], v[6:7], -v[2:3]
	v_fma_f64 v[6:7], v[85:86], v[6:7], v[99:100]
	ds_load_b128 v[83:86], v1 offset:400
	s_wait_loadcnt_dscnt 0x902
	v_mul_f64_e32 v[107:108], v[95:96], v[57:58]
	v_mul_f64_e32 v[57:58], v[97:98], v[57:58]
	scratch_load_b128 v[99:102], off, off offset:208
	s_wait_loadcnt_dscnt 0x900
	v_mul_f64_e32 v[109:110], v[83:84], v[61:62]
	v_mul_f64_e32 v[61:62], v[85:86], v[61:62]
	v_add_f64_e32 v[2:3], 0, v[2:3]
	v_add_f64_e32 v[6:7], 0, v[6:7]
	v_fma_f64 v[97:98], v[97:98], v[55:56], v[107:108]
	v_fma_f64 v[95:96], v[95:96], v[55:56], -v[57:58]
	scratch_load_b128 v[55:58], off, off offset:224
	v_fma_f64 v[109:110], v[85:86], v[59:60], v[109:110]
	v_fma_f64 v[111:112], v[83:84], v[59:60], -v[61:62]
	ds_load_b128 v[59:62], v1 offset:432
	s_wait_loadcnt 0x9
	v_mul_f64_e32 v[107:108], v[103:104], v[65:66]
	v_mul_f64_e32 v[65:66], v[105:106], v[65:66]
	scratch_load_b128 v[83:86], off, off offset:240
	v_add_f64_e32 v[6:7], v[6:7], v[97:98]
	v_add_f64_e32 v[2:3], v[2:3], v[95:96]
	ds_load_b128 v[95:98], v1 offset:448
	s_wait_loadcnt_dscnt 0x901
	v_mul_f64_e32 v[113:114], v[59:60], v[69:70]
	v_mul_f64_e32 v[69:70], v[61:62], v[69:70]
	v_fma_f64 v[105:106], v[105:106], v[63:64], v[107:108]
	v_fma_f64 v[103:104], v[103:104], v[63:64], -v[65:66]
	scratch_load_b128 v[63:66], off, off offset:256
	v_add_f64_e32 v[6:7], v[6:7], v[109:110]
	v_add_f64_e32 v[2:3], v[2:3], v[111:112]
	v_fma_f64 v[109:110], v[61:62], v[67:68], v[113:114]
	v_fma_f64 v[111:112], v[59:60], v[67:68], -v[69:70]
	ds_load_b128 v[59:62], v1 offset:464
	s_wait_loadcnt_dscnt 0x901
	v_mul_f64_e32 v[107:108], v[95:96], v[73:74]
	v_mul_f64_e32 v[73:74], v[97:98], v[73:74]
	scratch_load_b128 v[67:70], off, off offset:272
	s_wait_loadcnt_dscnt 0x900
	v_mul_f64_e32 v[113:114], v[59:60], v[77:78]
	v_mul_f64_e32 v[77:78], v[61:62], v[77:78]
	v_add_f64_e32 v[6:7], v[6:7], v[105:106]
	v_add_f64_e32 v[2:3], v[2:3], v[103:104]
	ds_load_b128 v[103:106], v1 offset:480
	v_fma_f64 v[97:98], v[97:98], v[71:72], v[107:108]
	v_fma_f64 v[95:96], v[95:96], v[71:72], -v[73:74]
	scratch_load_b128 v[71:74], off, off offset:288
	v_add_f64_e32 v[6:7], v[6:7], v[109:110]
	v_add_f64_e32 v[2:3], v[2:3], v[111:112]
	v_fma_f64 v[109:110], v[61:62], v[75:76], v[113:114]
	v_fma_f64 v[111:112], v[59:60], v[75:76], -v[77:78]
	ds_load_b128 v[59:62], v1 offset:496
	s_wait_loadcnt_dscnt 0x901
	v_mul_f64_e32 v[107:108], v[103:104], v[81:82]
	v_mul_f64_e32 v[81:82], v[105:106], v[81:82]
	scratch_load_b128 v[75:78], off, off offset:304
	s_wait_loadcnt_dscnt 0x900
	v_mul_f64_e32 v[113:114], v[59:60], v[89:90]
	v_mul_f64_e32 v[89:90], v[61:62], v[89:90]
	v_add_f64_e32 v[6:7], v[6:7], v[97:98]
	v_add_f64_e32 v[2:3], v[2:3], v[95:96]
	ds_load_b128 v[95:98], v1 offset:512
	v_fma_f64 v[105:106], v[105:106], v[79:80], v[107:108]
	v_fma_f64 v[103:104], v[103:104], v[79:80], -v[81:82]
	scratch_load_b128 v[79:82], off, off offset:320
	v_add_f64_e32 v[6:7], v[6:7], v[109:110]
	v_add_f64_e32 v[2:3], v[2:3], v[111:112]
	v_fma_f64 v[109:110], v[61:62], v[87:88], v[113:114]
	v_fma_f64 v[111:112], v[59:60], v[87:88], -v[89:90]
	ds_load_b128 v[59:62], v1 offset:528
	scratch_load_b128 v[87:90], off, off offset:336
	s_wait_loadcnt_dscnt 0x901
	v_mul_f64_e32 v[107:108], v[95:96], v[10:11]
	v_mul_f64_e32 v[10:11], v[97:98], v[10:11]
	v_add_f64_e32 v[6:7], v[6:7], v[105:106]
	v_add_f64_e32 v[2:3], v[2:3], v[103:104]
	ds_load_b128 v[103:106], v1 offset:544
	v_fma_f64 v[97:98], v[97:98], v[8:9], v[107:108]
	v_fma_f64 v[8:9], v[95:96], v[8:9], -v[10:11]
	s_wait_loadcnt_dscnt 0x801
	v_mul_f64_e32 v[113:114], v[59:60], v[101:102]
	v_mul_f64_e32 v[101:102], v[61:62], v[101:102]
	v_add_f64_e32 v[6:7], v[6:7], v[109:110]
	v_add_f64_e32 v[2:3], v[2:3], v[111:112]
	s_wait_loadcnt_dscnt 0x700
	v_mul_f64_e32 v[10:11], v[103:104], v[57:58]
	v_mul_f64_e32 v[95:96], v[105:106], v[57:58]
	v_fma_f64 v[61:62], v[61:62], v[99:100], v[113:114]
	v_fma_f64 v[99:100], v[59:60], v[99:100], -v[101:102]
	v_add_f64_e32 v[97:98], v[6:7], v[97:98]
	v_add_f64_e32 v[2:3], v[2:3], v[8:9]
	ds_load_b128 v[6:9], v1 offset:560
	ds_load_b128 v[57:60], v1 offset:576
	v_fma_f64 v[10:11], v[105:106], v[55:56], v[10:11]
	v_fma_f64 v[55:56], v[103:104], v[55:56], -v[95:96]
	s_wait_loadcnt_dscnt 0x601
	v_mul_f64_e32 v[101:102], v[6:7], v[85:86]
	v_mul_f64_e32 v[85:86], v[8:9], v[85:86]
	v_add_f64_e32 v[61:62], v[97:98], v[61:62]
	v_add_f64_e32 v[2:3], v[2:3], v[99:100]
	s_wait_loadcnt_dscnt 0x500
	v_mul_f64_e32 v[95:96], v[57:58], v[65:66]
	v_mul_f64_e32 v[65:66], v[59:60], v[65:66]
	v_fma_f64 v[97:98], v[8:9], v[83:84], v[101:102]
	v_fma_f64 v[99:100], v[6:7], v[83:84], -v[85:86]
	ds_load_b128 v[6:9], v1 offset:592
	ds_load_b128 v[83:86], v1 offset:608
	v_add_f64_e32 v[10:11], v[61:62], v[10:11]
	v_add_f64_e32 v[2:3], v[2:3], v[55:56]
	v_fma_f64 v[59:60], v[59:60], v[63:64], v[95:96]
	v_fma_f64 v[57:58], v[57:58], v[63:64], -v[65:66]
	s_wait_loadcnt_dscnt 0x401
	v_mul_f64_e32 v[55:56], v[6:7], v[69:70]
	v_mul_f64_e32 v[61:62], v[8:9], v[69:70]
	s_wait_loadcnt_dscnt 0x300
	v_mul_f64_e32 v[63:64], v[83:84], v[73:74]
	v_mul_f64_e32 v[65:66], v[85:86], v[73:74]
	v_add_f64_e32 v[10:11], v[10:11], v[97:98]
	v_add_f64_e32 v[2:3], v[2:3], v[99:100]
	v_fma_f64 v[69:70], v[8:9], v[67:68], v[55:56]
	v_fma_f64 v[61:62], v[6:7], v[67:68], -v[61:62]
	v_fma_f64 v[63:64], v[85:86], v[71:72], v[63:64]
	v_fma_f64 v[65:66], v[83:84], v[71:72], -v[65:66]
	v_add_f64_e32 v[10:11], v[10:11], v[59:60]
	v_add_f64_e32 v[2:3], v[2:3], v[57:58]
	ds_load_b128 v[6:9], v1 offset:624
	ds_load_b128 v[55:58], v1 offset:640
	s_wait_loadcnt_dscnt 0x201
	v_mul_f64_e32 v[59:60], v[6:7], v[77:78]
	v_mul_f64_e32 v[67:68], v[8:9], v[77:78]
	v_add_f64_e32 v[10:11], v[10:11], v[69:70]
	v_add_f64_e32 v[2:3], v[2:3], v[61:62]
	s_wait_loadcnt_dscnt 0x100
	v_mul_f64_e32 v[61:62], v[55:56], v[81:82]
	v_mul_f64_e32 v[69:70], v[57:58], v[81:82]
	v_fma_f64 v[59:60], v[8:9], v[75:76], v[59:60]
	v_fma_f64 v[67:68], v[6:7], v[75:76], -v[67:68]
	ds_load_b128 v[6:9], v1 offset:656
	v_add_f64_e32 v[10:11], v[10:11], v[63:64]
	v_add_f64_e32 v[2:3], v[2:3], v[65:66]
	v_fma_f64 v[57:58], v[57:58], v[79:80], v[61:62]
	v_fma_f64 v[55:56], v[55:56], v[79:80], -v[69:70]
	s_wait_loadcnt_dscnt 0x0
	v_mul_f64_e32 v[63:64], v[6:7], v[89:90]
	v_mul_f64_e32 v[65:66], v[8:9], v[89:90]
	v_add_f64_e32 v[10:11], v[10:11], v[59:60]
	v_add_f64_e32 v[2:3], v[2:3], v[67:68]
	s_delay_alu instid0(VALU_DEP_4) | instskip(NEXT) | instid1(VALU_DEP_4)
	v_fma_f64 v[8:9], v[8:9], v[87:88], v[63:64]
	v_fma_f64 v[6:7], v[6:7], v[87:88], -v[65:66]
	s_delay_alu instid0(VALU_DEP_4) | instskip(NEXT) | instid1(VALU_DEP_4)
	v_add_f64_e32 v[10:11], v[10:11], v[57:58]
	v_add_f64_e32 v[2:3], v[2:3], v[55:56]
	s_delay_alu instid0(VALU_DEP_2) | instskip(NEXT) | instid1(VALU_DEP_2)
	v_add_f64_e32 v[8:9], v[10:11], v[8:9]
	v_add_f64_e32 v[2:3], v[2:3], v[6:7]
	s_delay_alu instid0(VALU_DEP_2) | instskip(NEXT) | instid1(VALU_DEP_2)
	v_add_f64_e64 v[8:9], v[93:94], -v[8:9]
	v_add_f64_e64 v[6:7], v[91:92], -v[2:3]
	scratch_store_b128 off, v[6:9], off offset:32
	v_cmpx_ne_u32_e32 0, v0
	s_cbranch_execz .LBB84_139
; %bb.138:
	scratch_load_b128 v[6:9], off, off offset:16
	v_dual_mov_b32 v2, v1 :: v_dual_mov_b32 v3, v1
	v_mov_b32_e32 v4, v1
	scratch_store_b128 off, v[1:4], off offset:16
	s_wait_loadcnt 0x0
	ds_store_b128 v5, v[6:9]
.LBB84_139:
	s_wait_alu 0xfffe
	s_or_b32 exec_lo, exec_lo, s0
	s_wait_storecnt_dscnt 0x0
	s_barrier_signal -1
	s_barrier_wait -1
	global_inv scope:SCOPE_SE
	s_clause 0x8
	scratch_load_b128 v[2:5], off, off offset:32
	scratch_load_b128 v[6:9], off, off offset:48
	;; [unrolled: 1-line block ×9, first 2 shown]
	ds_load_b128 v[83:86], v1 offset:352
	ds_load_b128 v[87:90], v1 offset:368
	s_clause 0x1
	scratch_load_b128 v[91:94], off, off offset:16
	scratch_load_b128 v[95:98], off, off offset:176
	s_and_b32 vcc_lo, exec_lo, s12
	s_wait_loadcnt_dscnt 0xa01
	v_mul_f64_e32 v[10:11], v[85:86], v[4:5]
	v_mul_f64_e32 v[4:5], v[83:84], v[4:5]
	s_wait_loadcnt_dscnt 0x900
	v_mul_f64_e32 v[99:100], v[87:88], v[8:9]
	v_mul_f64_e32 v[101:102], v[89:90], v[8:9]
	s_delay_alu instid0(VALU_DEP_4) | instskip(NEXT) | instid1(VALU_DEP_4)
	v_fma_f64 v[103:104], v[83:84], v[2:3], -v[10:11]
	v_fma_f64 v[105:106], v[85:86], v[2:3], v[4:5]
	ds_load_b128 v[2:5], v1 offset:384
	ds_load_b128 v[83:86], v1 offset:400
	scratch_load_b128 v[8:11], off, off offset:192
	v_fma_f64 v[99:100], v[89:90], v[6:7], v[99:100]
	v_fma_f64 v[6:7], v[87:88], v[6:7], -v[101:102]
	scratch_load_b128 v[87:90], off, off offset:208
	s_wait_loadcnt_dscnt 0xa01
	v_mul_f64_e32 v[107:108], v[2:3], v[57:58]
	v_mul_f64_e32 v[57:58], v[4:5], v[57:58]
	v_add_f64_e32 v[101:102], 0, v[103:104]
	v_add_f64_e32 v[103:104], 0, v[105:106]
	s_wait_loadcnt_dscnt 0x900
	v_mul_f64_e32 v[105:106], v[83:84], v[61:62]
	v_mul_f64_e32 v[61:62], v[85:86], v[61:62]
	v_fma_f64 v[107:108], v[4:5], v[55:56], v[107:108]
	v_fma_f64 v[109:110], v[2:3], v[55:56], -v[57:58]
	ds_load_b128 v[2:5], v1 offset:416
	scratch_load_b128 v[55:58], off, off offset:224
	v_add_f64_e32 v[6:7], v[101:102], v[6:7]
	v_add_f64_e32 v[103:104], v[103:104], v[99:100]
	ds_load_b128 v[99:102], v1 offset:432
	v_fma_f64 v[85:86], v[85:86], v[59:60], v[105:106]
	v_fma_f64 v[83:84], v[83:84], v[59:60], -v[61:62]
	scratch_load_b128 v[59:62], off, off offset:240
	s_wait_loadcnt_dscnt 0xa01
	v_mul_f64_e32 v[111:112], v[2:3], v[65:66]
	v_mul_f64_e32 v[65:66], v[4:5], v[65:66]
	s_wait_loadcnt_dscnt 0x900
	v_mul_f64_e32 v[105:106], v[99:100], v[69:70]
	v_mul_f64_e32 v[69:70], v[101:102], v[69:70]
	v_add_f64_e32 v[6:7], v[6:7], v[109:110]
	v_add_f64_e32 v[103:104], v[103:104], v[107:108]
	v_fma_f64 v[107:108], v[4:5], v[63:64], v[111:112]
	v_fma_f64 v[109:110], v[2:3], v[63:64], -v[65:66]
	ds_load_b128 v[2:5], v1 offset:448
	scratch_load_b128 v[63:66], off, off offset:256
	v_fma_f64 v[101:102], v[101:102], v[67:68], v[105:106]
	v_fma_f64 v[99:100], v[99:100], v[67:68], -v[69:70]
	scratch_load_b128 v[67:70], off, off offset:272
	v_add_f64_e32 v[6:7], v[6:7], v[83:84]
	v_add_f64_e32 v[103:104], v[103:104], v[85:86]
	ds_load_b128 v[83:86], v1 offset:464
	s_wait_loadcnt_dscnt 0xa01
	v_mul_f64_e32 v[111:112], v[2:3], v[73:74]
	v_mul_f64_e32 v[73:74], v[4:5], v[73:74]
	s_wait_loadcnt_dscnt 0x900
	v_mul_f64_e32 v[105:106], v[83:84], v[77:78]
	v_mul_f64_e32 v[77:78], v[85:86], v[77:78]
	v_add_f64_e32 v[6:7], v[6:7], v[109:110]
	v_add_f64_e32 v[103:104], v[103:104], v[107:108]
	v_fma_f64 v[107:108], v[4:5], v[71:72], v[111:112]
	v_fma_f64 v[109:110], v[2:3], v[71:72], -v[73:74]
	ds_load_b128 v[2:5], v1 offset:480
	scratch_load_b128 v[71:74], off, off offset:288
	v_fma_f64 v[85:86], v[85:86], v[75:76], v[105:106]
	v_fma_f64 v[83:84], v[83:84], v[75:76], -v[77:78]
	scratch_load_b128 v[75:78], off, off offset:304
	v_add_f64_e32 v[6:7], v[6:7], v[99:100]
	v_add_f64_e32 v[103:104], v[103:104], v[101:102]
	ds_load_b128 v[99:102], v1 offset:496
	;; [unrolled: 18-line block ×3, first 2 shown]
	s_wait_loadcnt_dscnt 0x901
	v_mul_f64_e32 v[111:112], v[2:3], v[10:11]
	v_mul_f64_e32 v[10:11], v[4:5], v[10:11]
	s_wait_loadcnt_dscnt 0x800
	v_mul_f64_e32 v[105:106], v[83:84], v[89:90]
	v_mul_f64_e32 v[89:90], v[85:86], v[89:90]
	v_add_f64_e32 v[6:7], v[6:7], v[109:110]
	v_add_f64_e32 v[103:104], v[103:104], v[107:108]
	v_fma_f64 v[107:108], v[4:5], v[8:9], v[111:112]
	v_fma_f64 v[10:11], v[2:3], v[8:9], -v[10:11]
	v_fma_f64 v[85:86], v[85:86], v[87:88], v[105:106]
	v_fma_f64 v[83:84], v[83:84], v[87:88], -v[89:90]
	v_add_f64_e32 v[99:100], v[6:7], v[99:100]
	v_add_f64_e32 v[101:102], v[103:104], v[101:102]
	ds_load_b128 v[2:5], v1 offset:544
	ds_load_b128 v[6:9], v1 offset:560
	s_wait_loadcnt_dscnt 0x701
	v_mul_f64_e32 v[103:104], v[2:3], v[57:58]
	v_mul_f64_e32 v[57:58], v[4:5], v[57:58]
	s_wait_loadcnt_dscnt 0x600
	v_mul_f64_e32 v[89:90], v[6:7], v[61:62]
	v_mul_f64_e32 v[61:62], v[8:9], v[61:62]
	v_add_f64_e32 v[10:11], v[99:100], v[10:11]
	v_add_f64_e32 v[87:88], v[101:102], v[107:108]
	v_fma_f64 v[99:100], v[4:5], v[55:56], v[103:104]
	v_fma_f64 v[101:102], v[2:3], v[55:56], -v[57:58]
	ds_load_b128 v[2:5], v1 offset:576
	ds_load_b128 v[55:58], v1 offset:592
	v_fma_f64 v[8:9], v[8:9], v[59:60], v[89:90]
	v_fma_f64 v[6:7], v[6:7], v[59:60], -v[61:62]
	v_add_f64_e32 v[10:11], v[10:11], v[83:84]
	v_add_f64_e32 v[83:84], v[87:88], v[85:86]
	s_wait_loadcnt_dscnt 0x501
	v_mul_f64_e32 v[85:86], v[2:3], v[65:66]
	v_mul_f64_e32 v[65:66], v[4:5], v[65:66]
	s_wait_loadcnt_dscnt 0x400
	v_mul_f64_e32 v[61:62], v[55:56], v[69:70]
	v_mul_f64_e32 v[69:70], v[57:58], v[69:70]
	v_add_f64_e32 v[10:11], v[10:11], v[101:102]
	v_add_f64_e32 v[59:60], v[83:84], v[99:100]
	v_fma_f64 v[83:84], v[4:5], v[63:64], v[85:86]
	v_fma_f64 v[63:64], v[2:3], v[63:64], -v[65:66]
	v_fma_f64 v[57:58], v[57:58], v[67:68], v[61:62]
	v_fma_f64 v[55:56], v[55:56], v[67:68], -v[69:70]
	v_add_f64_e32 v[10:11], v[10:11], v[6:7]
	v_add_f64_e32 v[59:60], v[59:60], v[8:9]
	ds_load_b128 v[2:5], v1 offset:608
	ds_load_b128 v[6:9], v1 offset:624
	s_wait_loadcnt_dscnt 0x301
	v_mul_f64_e32 v[65:66], v[2:3], v[73:74]
	v_mul_f64_e32 v[73:74], v[4:5], v[73:74]
	s_wait_loadcnt_dscnt 0x200
	v_mul_f64_e32 v[61:62], v[6:7], v[77:78]
	v_add_f64_e32 v[10:11], v[10:11], v[63:64]
	v_add_f64_e32 v[59:60], v[59:60], v[83:84]
	v_mul_f64_e32 v[63:64], v[8:9], v[77:78]
	v_fma_f64 v[65:66], v[4:5], v[71:72], v[65:66]
	v_fma_f64 v[67:68], v[2:3], v[71:72], -v[73:74]
	v_fma_f64 v[8:9], v[8:9], v[75:76], v[61:62]
	v_add_f64_e32 v[10:11], v[10:11], v[55:56]
	v_add_f64_e32 v[59:60], v[59:60], v[57:58]
	ds_load_b128 v[2:5], v1 offset:640
	ds_load_b128 v[55:58], v1 offset:656
	v_fma_f64 v[6:7], v[6:7], v[75:76], -v[63:64]
	s_wait_loadcnt_dscnt 0x101
	v_mul_f64_e32 v[0:1], v[2:3], v[81:82]
	v_mul_f64_e32 v[69:70], v[4:5], v[81:82]
	s_wait_loadcnt_dscnt 0x0
	v_mul_f64_e32 v[61:62], v[55:56], v[97:98]
	v_mul_f64_e32 v[63:64], v[57:58], v[97:98]
	v_add_f64_e32 v[10:11], v[10:11], v[67:68]
	v_add_f64_e32 v[59:60], v[59:60], v[65:66]
	v_fma_f64 v[0:1], v[4:5], v[79:80], v[0:1]
	v_fma_f64 v[2:3], v[2:3], v[79:80], -v[69:70]
	s_delay_alu instid0(VALU_DEP_4) | instskip(NEXT) | instid1(VALU_DEP_4)
	v_add_f64_e32 v[4:5], v[10:11], v[6:7]
	v_add_f64_e32 v[6:7], v[59:60], v[8:9]
	v_fma_f64 v[8:9], v[57:58], v[95:96], v[61:62]
	v_fma_f64 v[10:11], v[55:56], v[95:96], -v[63:64]
	s_delay_alu instid0(VALU_DEP_4) | instskip(NEXT) | instid1(VALU_DEP_4)
	v_add_f64_e32 v[2:3], v[4:5], v[2:3]
	v_add_f64_e32 v[0:1], v[6:7], v[0:1]
	s_delay_alu instid0(VALU_DEP_2) | instskip(NEXT) | instid1(VALU_DEP_2)
	v_add_f64_e32 v[2:3], v[2:3], v[10:11]
	v_add_f64_e32 v[4:5], v[0:1], v[8:9]
	s_delay_alu instid0(VALU_DEP_2) | instskip(NEXT) | instid1(VALU_DEP_2)
	v_add_f64_e64 v[0:1], v[91:92], -v[2:3]
	v_add_f64_e64 v[2:3], v[93:94], -v[4:5]
	scratch_store_b128 off, v[0:3], off offset:16
	s_wait_alu 0xfffe
	s_cbranch_vccz .LBB84_180
; %bb.140:
	v_mov_b32_e32 v0, 0
	global_load_b32 v1, v0, s[2:3] offset:76
	s_wait_loadcnt 0x0
	v_cmp_ne_u32_e32 vcc_lo, 20, v1
	s_cbranch_vccz .LBB84_142
; %bb.141:
	v_lshlrev_b32_e32 v1, 4, v1
	s_delay_alu instid0(VALU_DEP_1)
	v_add_nc_u32_e32 v9, 16, v1
	s_clause 0x1
	scratch_load_b128 v[1:4], v9, off offset:-16
	scratch_load_b128 v[5:8], off, s26
	s_wait_loadcnt 0x1
	scratch_store_b128 off, v[1:4], s26
	s_wait_loadcnt 0x0
	scratch_store_b128 v9, v[5:8], off offset:-16
.LBB84_142:
	global_load_b32 v0, v0, s[2:3] offset:72
	s_wait_loadcnt 0x0
	v_cmp_eq_u32_e32 vcc_lo, 19, v0
	s_cbranch_vccnz .LBB84_144
; %bb.143:
	v_lshlrev_b32_e32 v0, 4, v0
	s_delay_alu instid0(VALU_DEP_1)
	v_add_nc_u32_e32 v8, 16, v0
	s_clause 0x1
	scratch_load_b128 v[0:3], v8, off offset:-16
	scratch_load_b128 v[4:7], off, s16
	s_wait_loadcnt 0x1
	scratch_store_b128 off, v[0:3], s16
	s_wait_loadcnt 0x0
	scratch_store_b128 v8, v[4:7], off offset:-16
.LBB84_144:
	v_mov_b32_e32 v0, 0
	global_load_b32 v1, v0, s[2:3] offset:68
	s_wait_loadcnt 0x0
	v_cmp_eq_u32_e32 vcc_lo, 18, v1
	s_cbranch_vccnz .LBB84_146
; %bb.145:
	v_lshlrev_b32_e32 v1, 4, v1
	s_delay_alu instid0(VALU_DEP_1)
	v_add_nc_u32_e32 v9, 16, v1
	s_clause 0x1
	scratch_load_b128 v[1:4], v9, off offset:-16
	scratch_load_b128 v[5:8], off, s25
	s_wait_loadcnt 0x1
	scratch_store_b128 off, v[1:4], s25
	s_wait_loadcnt 0x0
	scratch_store_b128 v9, v[5:8], off offset:-16
.LBB84_146:
	global_load_b32 v0, v0, s[2:3] offset:64
	s_wait_loadcnt 0x0
	v_cmp_eq_u32_e32 vcc_lo, 17, v0
	s_cbranch_vccnz .LBB84_148
; %bb.147:
	v_lshlrev_b32_e32 v0, 4, v0
	s_delay_alu instid0(VALU_DEP_1)
	v_add_nc_u32_e32 v8, 16, v0
	s_clause 0x1
	scratch_load_b128 v[0:3], v8, off offset:-16
	scratch_load_b128 v[4:7], off, s15
	s_wait_loadcnt 0x1
	scratch_store_b128 off, v[0:3], s15
	s_wait_loadcnt 0x0
	scratch_store_b128 v8, v[4:7], off offset:-16
.LBB84_148:
	v_mov_b32_e32 v0, 0
	global_load_b32 v1, v0, s[2:3] offset:60
	s_wait_loadcnt 0x0
	v_cmp_eq_u32_e32 vcc_lo, 16, v1
	s_cbranch_vccnz .LBB84_150
; %bb.149:
	v_lshlrev_b32_e32 v1, 4, v1
	s_delay_alu instid0(VALU_DEP_1)
	v_add_nc_u32_e32 v9, 16, v1
	s_clause 0x1
	scratch_load_b128 v[1:4], v9, off offset:-16
	scratch_load_b128 v[5:8], off, s24
	s_wait_loadcnt 0x1
	scratch_store_b128 off, v[1:4], s24
	s_wait_loadcnt 0x0
	scratch_store_b128 v9, v[5:8], off offset:-16
.LBB84_150:
	;; [unrolled: 33-line block ×9, first 2 shown]
	global_load_b32 v0, v0, s[2:3]
	s_wait_loadcnt 0x0
	v_cmp_eq_u32_e32 vcc_lo, 1, v0
	s_cbranch_vccnz .LBB84_180
; %bb.179:
	v_lshlrev_b32_e32 v0, 4, v0
	s_delay_alu instid0(VALU_DEP_1)
	v_add_nc_u32_e32 v8, 16, v0
	scratch_load_b128 v[0:3], v8, off offset:-16
	scratch_load_b128 v[4:7], off, off offset:16
	s_wait_loadcnt 0x1
	scratch_store_b128 off, v[0:3], off offset:16
	s_wait_loadcnt 0x0
	scratch_store_b128 v8, v[4:7], off offset:-16
.LBB84_180:
	scratch_load_b128 v[0:3], off, off offset:16
	s_wait_loadcnt 0x0
	flat_store_b128 v[13:14], v[0:3]
	scratch_load_b128 v[0:3], off, s28
	s_wait_loadcnt 0x0
	flat_store_b128 v[15:16], v[0:3]
	scratch_load_b128 v[0:3], off, s27
	;; [unrolled: 3-line block ×20, first 2 shown]
	s_wait_loadcnt 0x0
	flat_store_b128 v[53:54], v[0:3]
	s_nop 0
	s_sendmsg sendmsg(MSG_DEALLOC_VGPRS)
	s_endpgm
	.section	.rodata,"a",@progbits
	.p2align	6, 0x0
	.amdhsa_kernel _ZN9rocsolver6v33100L18getri_kernel_smallILi21E19rocblas_complex_numIdEPKPS3_EEvT1_iilPiilS8_bb
		.amdhsa_group_segment_fixed_size 680
		.amdhsa_private_segment_fixed_size 368
		.amdhsa_kernarg_size 60
		.amdhsa_user_sgpr_count 2
		.amdhsa_user_sgpr_dispatch_ptr 0
		.amdhsa_user_sgpr_queue_ptr 0
		.amdhsa_user_sgpr_kernarg_segment_ptr 1
		.amdhsa_user_sgpr_dispatch_id 0
		.amdhsa_user_sgpr_private_segment_size 0
		.amdhsa_wavefront_size32 1
		.amdhsa_uses_dynamic_stack 0
		.amdhsa_enable_private_segment 1
		.amdhsa_system_sgpr_workgroup_id_x 1
		.amdhsa_system_sgpr_workgroup_id_y 0
		.amdhsa_system_sgpr_workgroup_id_z 0
		.amdhsa_system_sgpr_workgroup_info 0
		.amdhsa_system_vgpr_workitem_id 0
		.amdhsa_next_free_vgpr 115
		.amdhsa_next_free_sgpr 32
		.amdhsa_reserve_vcc 1
		.amdhsa_float_round_mode_32 0
		.amdhsa_float_round_mode_16_64 0
		.amdhsa_float_denorm_mode_32 3
		.amdhsa_float_denorm_mode_16_64 3
		.amdhsa_fp16_overflow 0
		.amdhsa_workgroup_processor_mode 1
		.amdhsa_memory_ordered 1
		.amdhsa_forward_progress 1
		.amdhsa_inst_pref_size 205
		.amdhsa_round_robin_scheduling 0
		.amdhsa_exception_fp_ieee_invalid_op 0
		.amdhsa_exception_fp_denorm_src 0
		.amdhsa_exception_fp_ieee_div_zero 0
		.amdhsa_exception_fp_ieee_overflow 0
		.amdhsa_exception_fp_ieee_underflow 0
		.amdhsa_exception_fp_ieee_inexact 0
		.amdhsa_exception_int_div_zero 0
	.end_amdhsa_kernel
	.section	.text._ZN9rocsolver6v33100L18getri_kernel_smallILi21E19rocblas_complex_numIdEPKPS3_EEvT1_iilPiilS8_bb,"axG",@progbits,_ZN9rocsolver6v33100L18getri_kernel_smallILi21E19rocblas_complex_numIdEPKPS3_EEvT1_iilPiilS8_bb,comdat
.Lfunc_end84:
	.size	_ZN9rocsolver6v33100L18getri_kernel_smallILi21E19rocblas_complex_numIdEPKPS3_EEvT1_iilPiilS8_bb, .Lfunc_end84-_ZN9rocsolver6v33100L18getri_kernel_smallILi21E19rocblas_complex_numIdEPKPS3_EEvT1_iilPiilS8_bb
                                        ; -- End function
	.set _ZN9rocsolver6v33100L18getri_kernel_smallILi21E19rocblas_complex_numIdEPKPS3_EEvT1_iilPiilS8_bb.num_vgpr, 115
	.set _ZN9rocsolver6v33100L18getri_kernel_smallILi21E19rocblas_complex_numIdEPKPS3_EEvT1_iilPiilS8_bb.num_agpr, 0
	.set _ZN9rocsolver6v33100L18getri_kernel_smallILi21E19rocblas_complex_numIdEPKPS3_EEvT1_iilPiilS8_bb.numbered_sgpr, 32
	.set _ZN9rocsolver6v33100L18getri_kernel_smallILi21E19rocblas_complex_numIdEPKPS3_EEvT1_iilPiilS8_bb.num_named_barrier, 0
	.set _ZN9rocsolver6v33100L18getri_kernel_smallILi21E19rocblas_complex_numIdEPKPS3_EEvT1_iilPiilS8_bb.private_seg_size, 368
	.set _ZN9rocsolver6v33100L18getri_kernel_smallILi21E19rocblas_complex_numIdEPKPS3_EEvT1_iilPiilS8_bb.uses_vcc, 1
	.set _ZN9rocsolver6v33100L18getri_kernel_smallILi21E19rocblas_complex_numIdEPKPS3_EEvT1_iilPiilS8_bb.uses_flat_scratch, 1
	.set _ZN9rocsolver6v33100L18getri_kernel_smallILi21E19rocblas_complex_numIdEPKPS3_EEvT1_iilPiilS8_bb.has_dyn_sized_stack, 0
	.set _ZN9rocsolver6v33100L18getri_kernel_smallILi21E19rocblas_complex_numIdEPKPS3_EEvT1_iilPiilS8_bb.has_recursion, 0
	.set _ZN9rocsolver6v33100L18getri_kernel_smallILi21E19rocblas_complex_numIdEPKPS3_EEvT1_iilPiilS8_bb.has_indirect_call, 0
	.section	.AMDGPU.csdata,"",@progbits
; Kernel info:
; codeLenInByte = 26204
; TotalNumSgprs: 34
; NumVgprs: 115
; ScratchSize: 368
; MemoryBound: 0
; FloatMode: 240
; IeeeMode: 1
; LDSByteSize: 680 bytes/workgroup (compile time only)
; SGPRBlocks: 0
; VGPRBlocks: 14
; NumSGPRsForWavesPerEU: 34
; NumVGPRsForWavesPerEU: 115
; Occupancy: 12
; WaveLimiterHint : 1
; COMPUTE_PGM_RSRC2:SCRATCH_EN: 1
; COMPUTE_PGM_RSRC2:USER_SGPR: 2
; COMPUTE_PGM_RSRC2:TRAP_HANDLER: 0
; COMPUTE_PGM_RSRC2:TGID_X_EN: 1
; COMPUTE_PGM_RSRC2:TGID_Y_EN: 0
; COMPUTE_PGM_RSRC2:TGID_Z_EN: 0
; COMPUTE_PGM_RSRC2:TIDIG_COMP_CNT: 0
	.section	.text._ZN9rocsolver6v33100L18getri_kernel_smallILi22E19rocblas_complex_numIdEPKPS3_EEvT1_iilPiilS8_bb,"axG",@progbits,_ZN9rocsolver6v33100L18getri_kernel_smallILi22E19rocblas_complex_numIdEPKPS3_EEvT1_iilPiilS8_bb,comdat
	.globl	_ZN9rocsolver6v33100L18getri_kernel_smallILi22E19rocblas_complex_numIdEPKPS3_EEvT1_iilPiilS8_bb ; -- Begin function _ZN9rocsolver6v33100L18getri_kernel_smallILi22E19rocblas_complex_numIdEPKPS3_EEvT1_iilPiilS8_bb
	.p2align	8
	.type	_ZN9rocsolver6v33100L18getri_kernel_smallILi22E19rocblas_complex_numIdEPKPS3_EEvT1_iilPiilS8_bb,@function
_ZN9rocsolver6v33100L18getri_kernel_smallILi22E19rocblas_complex_numIdEPKPS3_EEvT1_iilPiilS8_bb: ; @_ZN9rocsolver6v33100L18getri_kernel_smallILi22E19rocblas_complex_numIdEPKPS3_EEvT1_iilPiilS8_bb
; %bb.0:
	s_mov_b32 s2, exec_lo
	v_cmpx_gt_u32_e32 22, v0
	s_cbranch_execz .LBB85_102
; %bb.1:
	s_clause 0x1
	s_load_b32 s13, s[0:1], 0x38
	s_load_b64 s[2:3], s[0:1], 0x0
	s_mov_b32 s8, ttmp9
	s_load_b128 s[4:7], s[0:1], 0x28
	s_wait_kmcnt 0x0
	s_bitcmp1_b32 s13, 8
	s_cselect_b32 s12, -1, 0
	s_ashr_i32 s9, ttmp9, 31
	s_delay_alu instid0(SALU_CYCLE_1) | instskip(NEXT) | instid1(SALU_CYCLE_1)
	s_lshl_b64 s[10:11], s[8:9], 3
	s_add_nc_u64 s[2:3], s[2:3], s[10:11]
	s_load_b64 s[10:11], s[2:3], 0x0
	s_bfe_u32 s2, s13, 0x10008
	s_delay_alu instid0(SALU_CYCLE_1)
	s_cmp_eq_u32 s2, 0
                                        ; implicit-def: $sgpr2_sgpr3
	s_cbranch_scc1 .LBB85_3
; %bb.2:
	s_load_b96 s[16:18], s[0:1], 0x18
	s_mul_u64 s[2:3], s[4:5], s[8:9]
	s_delay_alu instid0(SALU_CYCLE_1)
	s_lshl_b64 s[2:3], s[2:3], 2
	s_wait_kmcnt 0x0
	s_ashr_i32 s5, s18, 31
	s_mov_b32 s4, s18
	s_add_nc_u64 s[2:3], s[16:17], s[2:3]
	s_lshl_b64 s[4:5], s[4:5], 2
	s_delay_alu instid0(SALU_CYCLE_1)
	s_add_nc_u64 s[2:3], s[2:3], s[4:5]
.LBB85_3:
	s_clause 0x1
	s_load_b64 s[4:5], s[0:1], 0x8
	s_load_b32 s30, s[0:1], 0x38
	v_lshlrev_b32_e32 v57, 4, v0
	s_mov_b32 s29, 32
	s_mov_b32 s28, 48
	;; [unrolled: 1-line block ×3, first 2 shown]
	s_movk_i32 s19, 0x50
	s_wait_kmcnt 0x0
	s_ashr_i32 s1, s4, 31
	s_mov_b32 s0, s4
	v_add3_u32 v5, s5, s5, v0
	s_lshl_b64 s[0:1], s[0:1], 4
	s_delay_alu instid0(SALU_CYCLE_1)
	s_add_nc_u64 s[0:1], s[10:11], s[0:1]
	s_ashr_i32 s11, s5, 31
	v_add_co_u32 v13, s4, s0, v57
	s_wait_alu 0xf1ff
	v_add_co_ci_u32_e64 v14, null, s1, 0, s4
	s_mov_b32 s10, s5
	v_ashrrev_i32_e32 v6, 31, v5
	s_lshl_b64 s[10:11], s[10:11], 4
	flat_load_b128 v[1:4], v[13:14]
	v_add_co_u32 v15, vcc_lo, v13, s10
	s_delay_alu instid0(VALU_DEP_1) | instskip(SKIP_2) | instid1(VALU_DEP_2)
	v_add_co_ci_u32_e64 v16, null, s11, v14, vcc_lo
	v_lshlrev_b64_e32 v[6:7], 4, v[5:6]
	v_add_nc_u32_e32 v5, s5, v5
	v_add_co_u32 v17, vcc_lo, s0, v6
	s_wait_alu 0xfffd
	s_delay_alu instid0(VALU_DEP_3) | instskip(NEXT) | instid1(VALU_DEP_3)
	v_add_co_ci_u32_e64 v18, null, s1, v7, vcc_lo
	v_ashrrev_i32_e32 v6, 31, v5
	s_delay_alu instid0(VALU_DEP_1) | instskip(SKIP_1) | instid1(VALU_DEP_2)
	v_lshlrev_b64_e32 v[6:7], 4, v[5:6]
	v_add_nc_u32_e32 v5, s5, v5
	v_add_co_u32 v19, vcc_lo, s0, v6
	s_wait_alu 0xfffd
	s_delay_alu instid0(VALU_DEP_3) | instskip(NEXT) | instid1(VALU_DEP_3)
	v_add_co_ci_u32_e64 v20, null, s1, v7, vcc_lo
	v_ashrrev_i32_e32 v6, 31, v5
	s_delay_alu instid0(VALU_DEP_1) | instskip(SKIP_1) | instid1(VALU_DEP_2)
	v_lshlrev_b64_e32 v[6:7], 4, v[5:6]
	v_add_nc_u32_e32 v5, s5, v5
	v_add_co_u32 v21, vcc_lo, s0, v6
	s_wait_alu 0xfffd
	s_delay_alu instid0(VALU_DEP_3) | instskip(NEXT) | instid1(VALU_DEP_3)
	v_add_co_ci_u32_e64 v22, null, s1, v7, vcc_lo
	v_ashrrev_i32_e32 v6, 31, v5
	s_delay_alu instid0(VALU_DEP_1) | instskip(SKIP_1) | instid1(VALU_DEP_2)
	v_lshlrev_b64_e32 v[6:7], 4, v[5:6]
	v_add_nc_u32_e32 v5, s5, v5
	v_add_co_u32 v23, vcc_lo, s0, v6
	s_wait_alu 0xfffd
	s_delay_alu instid0(VALU_DEP_3) | instskip(NEXT) | instid1(VALU_DEP_3)
	v_add_co_ci_u32_e64 v24, null, s1, v7, vcc_lo
	v_ashrrev_i32_e32 v6, 31, v5
	s_delay_alu instid0(VALU_DEP_1) | instskip(SKIP_1) | instid1(VALU_DEP_2)
	v_lshlrev_b64_e32 v[6:7], 4, v[5:6]
	v_add_nc_u32_e32 v5, s5, v5
	v_add_co_u32 v25, vcc_lo, s0, v6
	s_wait_alu 0xfffd
	s_delay_alu instid0(VALU_DEP_3) | instskip(NEXT) | instid1(VALU_DEP_3)
	v_add_co_ci_u32_e64 v26, null, s1, v7, vcc_lo
	v_ashrrev_i32_e32 v6, 31, v5
	s_delay_alu instid0(VALU_DEP_1) | instskip(SKIP_1) | instid1(VALU_DEP_2)
	v_lshlrev_b64_e32 v[6:7], 4, v[5:6]
	v_add_nc_u32_e32 v5, s5, v5
	v_add_co_u32 v27, vcc_lo, s0, v6
	s_wait_alu 0xfffd
	s_delay_alu instid0(VALU_DEP_3) | instskip(NEXT) | instid1(VALU_DEP_3)
	v_add_co_ci_u32_e64 v28, null, s1, v7, vcc_lo
	v_ashrrev_i32_e32 v6, 31, v5
	s_delay_alu instid0(VALU_DEP_1) | instskip(SKIP_1) | instid1(VALU_DEP_2)
	v_lshlrev_b64_e32 v[6:7], 4, v[5:6]
	v_add_nc_u32_e32 v5, s5, v5
	v_add_co_u32 v29, vcc_lo, s0, v6
	s_wait_alu 0xfffd
	s_delay_alu instid0(VALU_DEP_3) | instskip(NEXT) | instid1(VALU_DEP_3)
	v_add_co_ci_u32_e64 v30, null, s1, v7, vcc_lo
	v_ashrrev_i32_e32 v6, 31, v5
	s_delay_alu instid0(VALU_DEP_1) | instskip(SKIP_1) | instid1(VALU_DEP_2)
	v_lshlrev_b64_e32 v[6:7], 4, v[5:6]
	v_add_nc_u32_e32 v5, s5, v5
	v_add_co_u32 v31, vcc_lo, s0, v6
	s_wait_alu 0xfffd
	s_delay_alu instid0(VALU_DEP_3) | instskip(NEXT) | instid1(VALU_DEP_3)
	v_add_co_ci_u32_e64 v32, null, s1, v7, vcc_lo
	v_ashrrev_i32_e32 v6, 31, v5
	s_delay_alu instid0(VALU_DEP_1) | instskip(SKIP_1) | instid1(VALU_DEP_2)
	v_lshlrev_b64_e32 v[6:7], 4, v[5:6]
	v_add_nc_u32_e32 v5, s5, v5
	v_add_co_u32 v33, vcc_lo, s0, v6
	s_wait_alu 0xfffd
	s_delay_alu instid0(VALU_DEP_3) | instskip(NEXT) | instid1(VALU_DEP_3)
	v_add_co_ci_u32_e64 v34, null, s1, v7, vcc_lo
	v_ashrrev_i32_e32 v6, 31, v5
	s_delay_alu instid0(VALU_DEP_1) | instskip(SKIP_1) | instid1(VALU_DEP_2)
	v_lshlrev_b64_e32 v[6:7], 4, v[5:6]
	v_add_nc_u32_e32 v5, s5, v5
	v_add_co_u32 v35, vcc_lo, s0, v6
	s_wait_alu 0xfffd
	s_delay_alu instid0(VALU_DEP_3) | instskip(NEXT) | instid1(VALU_DEP_3)
	v_add_co_ci_u32_e64 v36, null, s1, v7, vcc_lo
	v_ashrrev_i32_e32 v6, 31, v5
	s_delay_alu instid0(VALU_DEP_1) | instskip(SKIP_1) | instid1(VALU_DEP_2)
	v_lshlrev_b64_e32 v[6:7], 4, v[5:6]
	v_add_nc_u32_e32 v5, s5, v5
	v_add_co_u32 v37, vcc_lo, s0, v6
	s_wait_alu 0xfffd
	s_delay_alu instid0(VALU_DEP_3) | instskip(NEXT) | instid1(VALU_DEP_3)
	v_add_co_ci_u32_e64 v38, null, s1, v7, vcc_lo
	v_ashrrev_i32_e32 v6, 31, v5
	s_delay_alu instid0(VALU_DEP_1) | instskip(SKIP_1) | instid1(VALU_DEP_2)
	v_lshlrev_b64_e32 v[6:7], 4, v[5:6]
	v_add_nc_u32_e32 v5, s5, v5
	v_add_co_u32 v39, vcc_lo, s0, v6
	s_wait_alu 0xfffd
	s_delay_alu instid0(VALU_DEP_3) | instskip(NEXT) | instid1(VALU_DEP_3)
	v_add_co_ci_u32_e64 v40, null, s1, v7, vcc_lo
	v_ashrrev_i32_e32 v6, 31, v5
	s_delay_alu instid0(VALU_DEP_1) | instskip(SKIP_1) | instid1(VALU_DEP_2)
	v_lshlrev_b64_e32 v[6:7], 4, v[5:6]
	v_add_nc_u32_e32 v5, s5, v5
	v_add_co_u32 v41, vcc_lo, s0, v6
	s_wait_alu 0xfffd
	s_delay_alu instid0(VALU_DEP_3) | instskip(NEXT) | instid1(VALU_DEP_3)
	v_add_co_ci_u32_e64 v42, null, s1, v7, vcc_lo
	v_ashrrev_i32_e32 v6, 31, v5
	s_delay_alu instid0(VALU_DEP_1) | instskip(SKIP_1) | instid1(VALU_DEP_2)
	v_lshlrev_b64_e32 v[6:7], 4, v[5:6]
	v_add_nc_u32_e32 v5, s5, v5
	v_add_co_u32 v43, vcc_lo, s0, v6
	s_wait_alu 0xfffd
	s_delay_alu instid0(VALU_DEP_3) | instskip(NEXT) | instid1(VALU_DEP_3)
	v_add_co_ci_u32_e64 v44, null, s1, v7, vcc_lo
	v_ashrrev_i32_e32 v6, 31, v5
	s_delay_alu instid0(VALU_DEP_1) | instskip(SKIP_1) | instid1(VALU_DEP_2)
	v_lshlrev_b64_e32 v[6:7], 4, v[5:6]
	v_add_nc_u32_e32 v5, s5, v5
	v_add_co_u32 v45, vcc_lo, s0, v6
	s_wait_alu 0xfffd
	s_delay_alu instid0(VALU_DEP_3) | instskip(NEXT) | instid1(VALU_DEP_3)
	v_add_co_ci_u32_e64 v46, null, s1, v7, vcc_lo
	v_ashrrev_i32_e32 v6, 31, v5
	s_delay_alu instid0(VALU_DEP_1) | instskip(SKIP_1) | instid1(VALU_DEP_2)
	v_lshlrev_b64_e32 v[6:7], 4, v[5:6]
	v_add_nc_u32_e32 v5, s5, v5
	v_add_co_u32 v47, vcc_lo, s0, v6
	s_wait_alu 0xfffd
	s_delay_alu instid0(VALU_DEP_3) | instskip(NEXT) | instid1(VALU_DEP_3)
	v_add_co_ci_u32_e64 v48, null, s1, v7, vcc_lo
	v_ashrrev_i32_e32 v6, 31, v5
	s_delay_alu instid0(VALU_DEP_1) | instskip(SKIP_1) | instid1(VALU_DEP_2)
	v_lshlrev_b64_e32 v[6:7], 4, v[5:6]
	v_add_nc_u32_e32 v5, s5, v5
	v_add_co_u32 v49, vcc_lo, s0, v6
	s_wait_alu 0xfffd
	s_delay_alu instid0(VALU_DEP_3) | instskip(NEXT) | instid1(VALU_DEP_3)
	v_add_co_ci_u32_e64 v50, null, s1, v7, vcc_lo
	v_ashrrev_i32_e32 v6, 31, v5
	s_delay_alu instid0(VALU_DEP_1) | instskip(SKIP_1) | instid1(VALU_DEP_2)
	v_lshlrev_b64_e32 v[6:7], 4, v[5:6]
	v_add_nc_u32_e32 v5, s5, v5
	v_add_co_u32 v51, vcc_lo, s0, v6
	s_wait_alu 0xfffd
	s_delay_alu instid0(VALU_DEP_3) | instskip(NEXT) | instid1(VALU_DEP_3)
	v_add_co_ci_u32_e64 v52, null, s1, v7, vcc_lo
	v_ashrrev_i32_e32 v6, 31, v5
	s_delay_alu instid0(VALU_DEP_1) | instskip(SKIP_1) | instid1(VALU_DEP_2)
	v_lshlrev_b64_e32 v[6:7], 4, v[5:6]
	v_add_nc_u32_e32 v5, s5, v5
	v_add_co_u32 v53, vcc_lo, s0, v6
	s_wait_alu 0xfffd
	s_delay_alu instid0(VALU_DEP_3) | instskip(NEXT) | instid1(VALU_DEP_3)
	v_add_co_ci_u32_e64 v54, null, s1, v7, vcc_lo
	v_ashrrev_i32_e32 v6, 31, v5
	s_delay_alu instid0(VALU_DEP_1) | instskip(NEXT) | instid1(VALU_DEP_1)
	v_lshlrev_b64_e32 v[5:6], 4, v[5:6]
	v_add_co_u32 v55, vcc_lo, s0, v5
	s_wait_alu 0xfffd
	s_delay_alu instid0(VALU_DEP_2)
	v_add_co_ci_u32_e64 v56, null, s1, v6, vcc_lo
	s_movk_i32 s0, 0x50
	s_movk_i32 s1, 0x70
	s_wait_alu 0xfffe
	s_add_co_i32 s4, s0, 16
	s_movk_i32 s0, 0x60
	s_add_co_i32 s5, s1, 16
	s_wait_alu 0xfffe
	s_add_co_i32 s20, s0, 16
	s_movk_i32 s0, 0x80
	s_movk_i32 s1, 0x90
	s_wait_alu 0xfffe
	s_add_co_i32 s21, s0, 16
	s_add_co_i32 s10, s1, 16
	s_movk_i32 s0, 0xa0
	s_movk_i32 s1, 0xb0
	s_wait_alu 0xfffe
	s_add_co_i32 s22, s0, 16
	;; [unrolled: 5-line block ×3, first 2 shown]
	s_add_co_i32 s13, s1, 16
	s_movk_i32 s0, 0xe0
	s_movk_i32 s1, 0xf0
	s_wait_loadcnt_dscnt 0x0
	scratch_store_b128 off, v[1:4], off offset:16
	flat_load_b128 v[1:4], v[15:16]
	s_wait_alu 0xfffe
	s_add_co_i32 s24, s0, 16
	s_add_co_i32 s14, s1, 16
	s_movk_i32 s0, 0x100
	s_movk_i32 s1, 0x110
	s_wait_alu 0xfffe
	s_add_co_i32 s25, s0, 16
	s_add_co_i32 s15, s1, 16
	s_movk_i32 s0, 0x120
	s_movk_i32 s1, 0x130
	;; [unrolled: 5-line block ×3, first 2 shown]
	s_wait_alu 0xfffe
	s_add_co_i32 s27, s0, 16
	s_add_co_i32 s17, s1, 16
	s_bitcmp0_b32 s30, 0
	s_mov_b32 s1, -1
	s_wait_loadcnt_dscnt 0x0
	scratch_store_b128 off, v[1:4], off offset:32
	flat_load_b128 v[1:4], v[17:18]
	s_wait_loadcnt_dscnt 0x0
	scratch_store_b128 off, v[1:4], off offset:48
	flat_load_b128 v[1:4], v[19:20]
	;; [unrolled: 3-line block ×20, first 2 shown]
	s_wait_loadcnt_dscnt 0x0
	scratch_store_b128 off, v[1:4], off offset:352
	s_cbranch_scc1 .LBB85_100
; %bb.4:
	v_cmp_eq_u32_e64 s0, 0, v0
	s_and_saveexec_b32 s1, s0
; %bb.5:
	v_mov_b32_e32 v1, 0
	ds_store_b32 v1, v1 offset:704
; %bb.6:
	s_wait_alu 0xfffe
	s_or_b32 exec_lo, exec_lo, s1
	s_wait_storecnt_dscnt 0x0
	s_barrier_signal -1
	s_barrier_wait -1
	global_inv scope:SCOPE_SE
	scratch_load_b128 v[1:4], v57, off offset:16
	s_wait_loadcnt 0x0
	v_cmp_eq_f64_e32 vcc_lo, 0, v[1:2]
	v_cmp_eq_f64_e64 s1, 0, v[3:4]
	s_and_b32 s1, vcc_lo, s1
	s_wait_alu 0xfffe
	s_and_saveexec_b32 s30, s1
	s_cbranch_execz .LBB85_10
; %bb.7:
	v_mov_b32_e32 v1, 0
	s_mov_b32 s31, 0
	ds_load_b32 v2, v1 offset:704
	s_wait_dscnt 0x0
	v_readfirstlane_b32 s1, v2
	v_add_nc_u32_e32 v2, 1, v0
	s_cmp_eq_u32 s1, 0
	s_delay_alu instid0(VALU_DEP_1) | instskip(SKIP_1) | instid1(SALU_CYCLE_1)
	v_cmp_gt_i32_e32 vcc_lo, s1, v2
	s_cselect_b32 s33, -1, 0
	s_or_b32 s33, s33, vcc_lo
	s_delay_alu instid0(SALU_CYCLE_1)
	s_and_b32 exec_lo, exec_lo, s33
	s_cbranch_execz .LBB85_10
; %bb.8:
	v_mov_b32_e32 v3, s1
.LBB85_9:                               ; =>This Inner Loop Header: Depth=1
	ds_cmpstore_rtn_b32 v3, v1, v2, v3 offset:704
	s_wait_dscnt 0x0
	v_cmp_ne_u32_e32 vcc_lo, 0, v3
	v_cmp_le_i32_e64 s1, v3, v2
	s_and_b32 s1, vcc_lo, s1
	s_wait_alu 0xfffe
	s_and_b32 s1, exec_lo, s1
	s_wait_alu 0xfffe
	s_or_b32 s31, s1, s31
	s_delay_alu instid0(SALU_CYCLE_1)
	s_and_not1_b32 exec_lo, exec_lo, s31
	s_cbranch_execnz .LBB85_9
.LBB85_10:
	s_or_b32 exec_lo, exec_lo, s30
	v_mov_b32_e32 v1, 0
	s_barrier_signal -1
	s_barrier_wait -1
	global_inv scope:SCOPE_SE
	ds_load_b32 v2, v1 offset:704
	s_and_saveexec_b32 s1, s0
	s_cbranch_execz .LBB85_12
; %bb.11:
	s_lshl_b64 s[30:31], s[8:9], 2
	s_delay_alu instid0(SALU_CYCLE_1)
	s_add_nc_u64 s[30:31], s[6:7], s[30:31]
	s_wait_dscnt 0x0
	global_store_b32 v1, v2, s[30:31]
.LBB85_12:
	s_wait_alu 0xfffe
	s_or_b32 exec_lo, exec_lo, s1
	s_wait_dscnt 0x0
	v_cmp_ne_u32_e32 vcc_lo, 0, v2
	s_mov_b32 s1, 0
	s_cbranch_vccnz .LBB85_100
; %bb.13:
	v_add_nc_u32_e32 v58, 16, v57
                                        ; implicit-def: $vgpr1_vgpr2
                                        ; implicit-def: $vgpr9_vgpr10
	scratch_load_b128 v[5:8], v58, off
	s_wait_loadcnt 0x0
	v_cmp_ngt_f64_e64 s1, |v[5:6]|, |v[7:8]|
	s_wait_alu 0xfffe
	s_and_saveexec_b32 s30, s1
	s_delay_alu instid0(SALU_CYCLE_1)
	s_xor_b32 s1, exec_lo, s30
	s_cbranch_execz .LBB85_15
; %bb.14:
	v_div_scale_f64 v[1:2], null, v[7:8], v[7:8], v[5:6]
	v_div_scale_f64 v[11:12], vcc_lo, v[5:6], v[7:8], v[5:6]
	s_delay_alu instid0(VALU_DEP_2) | instskip(NEXT) | instid1(TRANS32_DEP_1)
	v_rcp_f64_e32 v[3:4], v[1:2]
	v_fma_f64 v[9:10], -v[1:2], v[3:4], 1.0
	s_delay_alu instid0(VALU_DEP_1) | instskip(NEXT) | instid1(VALU_DEP_1)
	v_fma_f64 v[3:4], v[3:4], v[9:10], v[3:4]
	v_fma_f64 v[9:10], -v[1:2], v[3:4], 1.0
	s_delay_alu instid0(VALU_DEP_1) | instskip(NEXT) | instid1(VALU_DEP_1)
	v_fma_f64 v[3:4], v[3:4], v[9:10], v[3:4]
	v_mul_f64_e32 v[9:10], v[11:12], v[3:4]
	s_delay_alu instid0(VALU_DEP_1) | instskip(SKIP_1) | instid1(VALU_DEP_1)
	v_fma_f64 v[1:2], -v[1:2], v[9:10], v[11:12]
	s_wait_alu 0xfffd
	v_div_fmas_f64 v[1:2], v[1:2], v[3:4], v[9:10]
	s_delay_alu instid0(VALU_DEP_1) | instskip(NEXT) | instid1(VALU_DEP_1)
	v_div_fixup_f64 v[1:2], v[1:2], v[7:8], v[5:6]
	v_fma_f64 v[3:4], v[5:6], v[1:2], v[7:8]
	s_delay_alu instid0(VALU_DEP_1) | instskip(SKIP_1) | instid1(VALU_DEP_2)
	v_div_scale_f64 v[5:6], null, v[3:4], v[3:4], 1.0
	v_div_scale_f64 v[11:12], vcc_lo, 1.0, v[3:4], 1.0
	v_rcp_f64_e32 v[7:8], v[5:6]
	s_delay_alu instid0(TRANS32_DEP_1) | instskip(NEXT) | instid1(VALU_DEP_1)
	v_fma_f64 v[9:10], -v[5:6], v[7:8], 1.0
	v_fma_f64 v[7:8], v[7:8], v[9:10], v[7:8]
	s_delay_alu instid0(VALU_DEP_1) | instskip(NEXT) | instid1(VALU_DEP_1)
	v_fma_f64 v[9:10], -v[5:6], v[7:8], 1.0
	v_fma_f64 v[7:8], v[7:8], v[9:10], v[7:8]
	s_delay_alu instid0(VALU_DEP_1) | instskip(NEXT) | instid1(VALU_DEP_1)
	v_mul_f64_e32 v[9:10], v[11:12], v[7:8]
	v_fma_f64 v[5:6], -v[5:6], v[9:10], v[11:12]
	s_wait_alu 0xfffd
	s_delay_alu instid0(VALU_DEP_1) | instskip(NEXT) | instid1(VALU_DEP_1)
	v_div_fmas_f64 v[5:6], v[5:6], v[7:8], v[9:10]
	v_div_fixup_f64 v[3:4], v[5:6], v[3:4], 1.0
                                        ; implicit-def: $vgpr5_vgpr6
	s_delay_alu instid0(VALU_DEP_1) | instskip(SKIP_1) | instid1(VALU_DEP_2)
	v_mul_f64_e32 v[1:2], v[1:2], v[3:4]
	v_xor_b32_e32 v4, 0x80000000, v4
	v_xor_b32_e32 v10, 0x80000000, v2
	s_delay_alu instid0(VALU_DEP_3)
	v_mov_b32_e32 v9, v1
.LBB85_15:
	s_wait_alu 0xfffe
	s_and_not1_saveexec_b32 s1, s1
	s_cbranch_execz .LBB85_17
; %bb.16:
	v_div_scale_f64 v[1:2], null, v[5:6], v[5:6], v[7:8]
	v_div_scale_f64 v[11:12], vcc_lo, v[7:8], v[5:6], v[7:8]
	s_delay_alu instid0(VALU_DEP_2) | instskip(NEXT) | instid1(TRANS32_DEP_1)
	v_rcp_f64_e32 v[3:4], v[1:2]
	v_fma_f64 v[9:10], -v[1:2], v[3:4], 1.0
	s_delay_alu instid0(VALU_DEP_1) | instskip(NEXT) | instid1(VALU_DEP_1)
	v_fma_f64 v[3:4], v[3:4], v[9:10], v[3:4]
	v_fma_f64 v[9:10], -v[1:2], v[3:4], 1.0
	s_delay_alu instid0(VALU_DEP_1) | instskip(NEXT) | instid1(VALU_DEP_1)
	v_fma_f64 v[3:4], v[3:4], v[9:10], v[3:4]
	v_mul_f64_e32 v[9:10], v[11:12], v[3:4]
	s_delay_alu instid0(VALU_DEP_1) | instskip(SKIP_1) | instid1(VALU_DEP_1)
	v_fma_f64 v[1:2], -v[1:2], v[9:10], v[11:12]
	s_wait_alu 0xfffd
	v_div_fmas_f64 v[1:2], v[1:2], v[3:4], v[9:10]
	s_delay_alu instid0(VALU_DEP_1) | instskip(NEXT) | instid1(VALU_DEP_1)
	v_div_fixup_f64 v[3:4], v[1:2], v[5:6], v[7:8]
	v_fma_f64 v[1:2], v[7:8], v[3:4], v[5:6]
	s_delay_alu instid0(VALU_DEP_1) | instskip(NEXT) | instid1(VALU_DEP_1)
	v_div_scale_f64 v[5:6], null, v[1:2], v[1:2], 1.0
	v_rcp_f64_e32 v[7:8], v[5:6]
	s_delay_alu instid0(TRANS32_DEP_1) | instskip(NEXT) | instid1(VALU_DEP_1)
	v_fma_f64 v[9:10], -v[5:6], v[7:8], 1.0
	v_fma_f64 v[7:8], v[7:8], v[9:10], v[7:8]
	s_delay_alu instid0(VALU_DEP_1) | instskip(NEXT) | instid1(VALU_DEP_1)
	v_fma_f64 v[9:10], -v[5:6], v[7:8], 1.0
	v_fma_f64 v[7:8], v[7:8], v[9:10], v[7:8]
	v_div_scale_f64 v[9:10], vcc_lo, 1.0, v[1:2], 1.0
	s_delay_alu instid0(VALU_DEP_1) | instskip(NEXT) | instid1(VALU_DEP_1)
	v_mul_f64_e32 v[11:12], v[9:10], v[7:8]
	v_fma_f64 v[5:6], -v[5:6], v[11:12], v[9:10]
	s_wait_alu 0xfffd
	s_delay_alu instid0(VALU_DEP_1) | instskip(NEXT) | instid1(VALU_DEP_1)
	v_div_fmas_f64 v[5:6], v[5:6], v[7:8], v[11:12]
	v_div_fixup_f64 v[1:2], v[5:6], v[1:2], 1.0
	s_delay_alu instid0(VALU_DEP_1)
	v_mul_f64_e64 v[3:4], v[3:4], -v[1:2]
	v_xor_b32_e32 v10, 0x80000000, v2
	v_mov_b32_e32 v9, v1
.LBB85_17:
	s_wait_alu 0xfffe
	s_or_b32 exec_lo, exec_lo, s1
	scratch_store_b128 v58, v[1:4], off
	scratch_load_b128 v[59:62], off, s29
	v_xor_b32_e32 v12, 0x80000000, v4
	v_mov_b32_e32 v11, v3
	v_add_nc_u32_e32 v5, 0x160, v57
	ds_store_b128 v57, v[9:12]
	s_wait_loadcnt 0x0
	ds_store_b128 v57, v[59:62] offset:352
	s_wait_storecnt_dscnt 0x0
	s_barrier_signal -1
	s_barrier_wait -1
	global_inv scope:SCOPE_SE
	s_and_saveexec_b32 s1, s0
	s_cbranch_execz .LBB85_19
; %bb.18:
	scratch_load_b128 v[1:4], v58, off
	ds_load_b128 v[6:9], v5
	v_mov_b32_e32 v10, 0
	ds_load_b128 v[59:62], v10 offset:16
	s_wait_loadcnt_dscnt 0x1
	v_mul_f64_e32 v[10:11], v[6:7], v[3:4]
	v_mul_f64_e32 v[3:4], v[8:9], v[3:4]
	s_delay_alu instid0(VALU_DEP_2) | instskip(NEXT) | instid1(VALU_DEP_2)
	v_fma_f64 v[8:9], v[8:9], v[1:2], v[10:11]
	v_fma_f64 v[1:2], v[6:7], v[1:2], -v[3:4]
	s_delay_alu instid0(VALU_DEP_2) | instskip(NEXT) | instid1(VALU_DEP_2)
	v_add_f64_e32 v[3:4], 0, v[8:9]
	v_add_f64_e32 v[1:2], 0, v[1:2]
	s_wait_dscnt 0x0
	s_delay_alu instid0(VALU_DEP_2) | instskip(NEXT) | instid1(VALU_DEP_2)
	v_mul_f64_e32 v[6:7], v[3:4], v[61:62]
	v_mul_f64_e32 v[8:9], v[1:2], v[61:62]
	s_delay_alu instid0(VALU_DEP_2) | instskip(NEXT) | instid1(VALU_DEP_2)
	v_fma_f64 v[1:2], v[1:2], v[59:60], -v[6:7]
	v_fma_f64 v[3:4], v[3:4], v[59:60], v[8:9]
	scratch_store_b128 off, v[1:4], off offset:32
.LBB85_19:
	s_wait_alu 0xfffe
	s_or_b32 exec_lo, exec_lo, s1
	s_wait_loadcnt 0x0
	s_wait_storecnt 0x0
	s_barrier_signal -1
	s_barrier_wait -1
	global_inv scope:SCOPE_SE
	scratch_load_b128 v[1:4], off, s28
	s_mov_b32 s1, exec_lo
	s_wait_loadcnt 0x0
	ds_store_b128 v5, v[1:4]
	s_wait_dscnt 0x0
	s_barrier_signal -1
	s_barrier_wait -1
	global_inv scope:SCOPE_SE
	v_cmpx_gt_u32_e32 2, v0
	s_cbranch_execz .LBB85_23
; %bb.20:
	scratch_load_b128 v[1:4], v58, off
	ds_load_b128 v[6:9], v5
	s_wait_loadcnt_dscnt 0x0
	v_mul_f64_e32 v[10:11], v[8:9], v[3:4]
	v_mul_f64_e32 v[3:4], v[6:7], v[3:4]
	s_delay_alu instid0(VALU_DEP_2) | instskip(NEXT) | instid1(VALU_DEP_2)
	v_fma_f64 v[6:7], v[6:7], v[1:2], -v[10:11]
	v_fma_f64 v[3:4], v[8:9], v[1:2], v[3:4]
	s_delay_alu instid0(VALU_DEP_2) | instskip(NEXT) | instid1(VALU_DEP_2)
	v_add_f64_e32 v[1:2], 0, v[6:7]
	v_add_f64_e32 v[3:4], 0, v[3:4]
	s_and_saveexec_b32 s30, s0
	s_cbranch_execz .LBB85_22
; %bb.21:
	scratch_load_b128 v[6:9], off, off offset:32
	v_mov_b32_e32 v10, 0
	ds_load_b128 v[59:62], v10 offset:368
	s_wait_loadcnt_dscnt 0x0
	v_mul_f64_e32 v[10:11], v[59:60], v[8:9]
	v_mul_f64_e32 v[8:9], v[61:62], v[8:9]
	s_delay_alu instid0(VALU_DEP_2) | instskip(NEXT) | instid1(VALU_DEP_2)
	v_fma_f64 v[10:11], v[61:62], v[6:7], v[10:11]
	v_fma_f64 v[6:7], v[59:60], v[6:7], -v[8:9]
	s_delay_alu instid0(VALU_DEP_2) | instskip(NEXT) | instid1(VALU_DEP_2)
	v_add_f64_e32 v[3:4], v[3:4], v[10:11]
	v_add_f64_e32 v[1:2], v[1:2], v[6:7]
.LBB85_22:
	s_or_b32 exec_lo, exec_lo, s30
	v_mov_b32_e32 v6, 0
	ds_load_b128 v[6:9], v6 offset:32
	s_wait_dscnt 0x0
	v_mul_f64_e32 v[10:11], v[3:4], v[8:9]
	v_mul_f64_e32 v[8:9], v[1:2], v[8:9]
	s_delay_alu instid0(VALU_DEP_2) | instskip(NEXT) | instid1(VALU_DEP_2)
	v_fma_f64 v[1:2], v[1:2], v[6:7], -v[10:11]
	v_fma_f64 v[3:4], v[3:4], v[6:7], v[8:9]
	scratch_store_b128 off, v[1:4], off offset:48
.LBB85_23:
	s_wait_alu 0xfffe
	s_or_b32 exec_lo, exec_lo, s1
	s_wait_loadcnt 0x0
	s_wait_storecnt 0x0
	s_barrier_signal -1
	s_barrier_wait -1
	global_inv scope:SCOPE_SE
	scratch_load_b128 v[1:4], off, s18
	v_add_nc_u32_e32 v6, -1, v0
	s_mov_b32 s0, exec_lo
	s_wait_loadcnt 0x0
	ds_store_b128 v5, v[1:4]
	s_wait_dscnt 0x0
	s_barrier_signal -1
	s_barrier_wait -1
	global_inv scope:SCOPE_SE
	v_cmpx_gt_u32_e32 3, v0
	s_cbranch_execz .LBB85_27
; %bb.24:
	v_dual_mov_b32 v1, 0 :: v_dual_add_nc_u32 v8, 0x160, v57
	v_mov_b32_e32 v3, 0
	v_dual_mov_b32 v2, 0 :: v_dual_add_nc_u32 v7, -1, v0
	v_mov_b32_e32 v4, 0
	v_or_b32_e32 v9, 8, v58
	s_mov_b32 s1, 0
.LBB85_25:                              ; =>This Inner Loop Header: Depth=1
	scratch_load_b128 v[59:62], v9, off offset:-8
	ds_load_b128 v[63:66], v8
	v_add_nc_u32_e32 v7, 1, v7
	v_add_nc_u32_e32 v8, 16, v8
	v_add_nc_u32_e32 v9, 16, v9
	s_delay_alu instid0(VALU_DEP_3)
	v_cmp_lt_u32_e32 vcc_lo, 1, v7
	s_wait_alu 0xfffe
	s_or_b32 s1, vcc_lo, s1
	s_wait_loadcnt_dscnt 0x0
	v_mul_f64_e32 v[10:11], v[65:66], v[61:62]
	v_mul_f64_e32 v[61:62], v[63:64], v[61:62]
	s_delay_alu instid0(VALU_DEP_2) | instskip(NEXT) | instid1(VALU_DEP_2)
	v_fma_f64 v[10:11], v[63:64], v[59:60], -v[10:11]
	v_fma_f64 v[59:60], v[65:66], v[59:60], v[61:62]
	s_delay_alu instid0(VALU_DEP_2) | instskip(NEXT) | instid1(VALU_DEP_2)
	v_add_f64_e32 v[3:4], v[3:4], v[10:11]
	v_add_f64_e32 v[1:2], v[1:2], v[59:60]
	s_wait_alu 0xfffe
	s_and_not1_b32 exec_lo, exec_lo, s1
	s_cbranch_execnz .LBB85_25
; %bb.26:
	s_or_b32 exec_lo, exec_lo, s1
	v_mov_b32_e32 v7, 0
	ds_load_b128 v[7:10], v7 offset:48
	s_wait_dscnt 0x0
	v_mul_f64_e32 v[11:12], v[1:2], v[9:10]
	v_mul_f64_e32 v[59:60], v[3:4], v[9:10]
	s_delay_alu instid0(VALU_DEP_2) | instskip(NEXT) | instid1(VALU_DEP_2)
	v_fma_f64 v[9:10], v[3:4], v[7:8], -v[11:12]
	v_fma_f64 v[11:12], v[1:2], v[7:8], v[59:60]
	scratch_store_b128 off, v[9:12], off offset:64
.LBB85_27:
	s_wait_alu 0xfffe
	s_or_b32 exec_lo, exec_lo, s0
	s_wait_loadcnt 0x0
	s_wait_storecnt 0x0
	s_barrier_signal -1
	s_barrier_wait -1
	global_inv scope:SCOPE_SE
	scratch_load_b128 v[1:4], off, s19
	s_mov_b32 s0, exec_lo
	s_wait_loadcnt 0x0
	ds_store_b128 v5, v[1:4]
	s_wait_dscnt 0x0
	s_barrier_signal -1
	s_barrier_wait -1
	global_inv scope:SCOPE_SE
	v_cmpx_gt_u32_e32 4, v0
	s_cbranch_execz .LBB85_31
; %bb.28:
	v_dual_mov_b32 v1, 0 :: v_dual_add_nc_u32 v8, 0x160, v57
	v_mov_b32_e32 v3, 0
	v_dual_mov_b32 v2, 0 :: v_dual_add_nc_u32 v7, -1, v0
	v_mov_b32_e32 v4, 0
	v_or_b32_e32 v9, 8, v58
	s_mov_b32 s1, 0
.LBB85_29:                              ; =>This Inner Loop Header: Depth=1
	scratch_load_b128 v[59:62], v9, off offset:-8
	ds_load_b128 v[63:66], v8
	v_add_nc_u32_e32 v7, 1, v7
	v_add_nc_u32_e32 v8, 16, v8
	v_add_nc_u32_e32 v9, 16, v9
	s_delay_alu instid0(VALU_DEP_3)
	v_cmp_lt_u32_e32 vcc_lo, 2, v7
	s_wait_alu 0xfffe
	s_or_b32 s1, vcc_lo, s1
	s_wait_loadcnt_dscnt 0x0
	v_mul_f64_e32 v[10:11], v[65:66], v[61:62]
	v_mul_f64_e32 v[61:62], v[63:64], v[61:62]
	s_delay_alu instid0(VALU_DEP_2) | instskip(NEXT) | instid1(VALU_DEP_2)
	v_fma_f64 v[10:11], v[63:64], v[59:60], -v[10:11]
	v_fma_f64 v[59:60], v[65:66], v[59:60], v[61:62]
	s_delay_alu instid0(VALU_DEP_2) | instskip(NEXT) | instid1(VALU_DEP_2)
	v_add_f64_e32 v[3:4], v[3:4], v[10:11]
	v_add_f64_e32 v[1:2], v[1:2], v[59:60]
	s_wait_alu 0xfffe
	s_and_not1_b32 exec_lo, exec_lo, s1
	s_cbranch_execnz .LBB85_29
; %bb.30:
	s_or_b32 exec_lo, exec_lo, s1
	v_mov_b32_e32 v7, 0
	ds_load_b128 v[7:10], v7 offset:64
	s_wait_dscnt 0x0
	v_mul_f64_e32 v[11:12], v[1:2], v[9:10]
	v_mul_f64_e32 v[59:60], v[3:4], v[9:10]
	s_delay_alu instid0(VALU_DEP_2) | instskip(NEXT) | instid1(VALU_DEP_2)
	v_fma_f64 v[9:10], v[3:4], v[7:8], -v[11:12]
	v_fma_f64 v[11:12], v[1:2], v[7:8], v[59:60]
	scratch_store_b128 off, v[9:12], off offset:80
.LBB85_31:
	s_wait_alu 0xfffe
	s_or_b32 exec_lo, exec_lo, s0
	s_wait_loadcnt 0x0
	s_wait_storecnt 0x0
	s_barrier_signal -1
	s_barrier_wait -1
	global_inv scope:SCOPE_SE
	scratch_load_b128 v[1:4], off, s4
	;; [unrolled: 58-line block ×18, first 2 shown]
	s_mov_b32 s0, exec_lo
	s_wait_loadcnt 0x0
	ds_store_b128 v5, v[1:4]
	s_wait_dscnt 0x0
	s_barrier_signal -1
	s_barrier_wait -1
	global_inv scope:SCOPE_SE
	v_cmpx_ne_u32_e32 21, v0
	s_cbranch_execz .LBB85_99
; %bb.96:
	v_mov_b32_e32 v1, 0
	v_dual_mov_b32 v2, 0 :: v_dual_mov_b32 v3, 0
	v_mov_b32_e32 v4, 0
	v_or_b32_e32 v7, 8, v58
	s_mov_b32 s1, 0
.LBB85_97:                              ; =>This Inner Loop Header: Depth=1
	scratch_load_b128 v[8:11], v7, off offset:-8
	ds_load_b128 v[57:60], v5
	v_add_nc_u32_e32 v6, 1, v6
	v_add_nc_u32_e32 v5, 16, v5
	;; [unrolled: 1-line block ×3, first 2 shown]
	s_delay_alu instid0(VALU_DEP_3)
	v_cmp_lt_u32_e32 vcc_lo, 19, v6
	s_wait_alu 0xfffe
	s_or_b32 s1, vcc_lo, s1
	s_wait_loadcnt_dscnt 0x0
	v_mul_f64_e32 v[61:62], v[59:60], v[10:11]
	v_mul_f64_e32 v[10:11], v[57:58], v[10:11]
	s_delay_alu instid0(VALU_DEP_2) | instskip(NEXT) | instid1(VALU_DEP_2)
	v_fma_f64 v[57:58], v[57:58], v[8:9], -v[61:62]
	v_fma_f64 v[8:9], v[59:60], v[8:9], v[10:11]
	s_delay_alu instid0(VALU_DEP_2) | instskip(NEXT) | instid1(VALU_DEP_2)
	v_add_f64_e32 v[3:4], v[3:4], v[57:58]
	v_add_f64_e32 v[1:2], v[1:2], v[8:9]
	s_wait_alu 0xfffe
	s_and_not1_b32 exec_lo, exec_lo, s1
	s_cbranch_execnz .LBB85_97
; %bb.98:
	s_or_b32 exec_lo, exec_lo, s1
	v_mov_b32_e32 v5, 0
	ds_load_b128 v[5:8], v5 offset:336
	s_wait_dscnt 0x0
	v_mul_f64_e32 v[9:10], v[1:2], v[7:8]
	v_mul_f64_e32 v[7:8], v[3:4], v[7:8]
	s_delay_alu instid0(VALU_DEP_2) | instskip(NEXT) | instid1(VALU_DEP_2)
	v_fma_f64 v[3:4], v[3:4], v[5:6], -v[9:10]
	v_fma_f64 v[5:6], v[1:2], v[5:6], v[7:8]
	scratch_store_b128 off, v[3:6], off offset:352
.LBB85_99:
	s_wait_alu 0xfffe
	s_or_b32 exec_lo, exec_lo, s0
	s_mov_b32 s1, -1
	s_wait_loadcnt 0x0
	s_wait_storecnt 0x0
	s_barrier_signal -1
	s_barrier_wait -1
	global_inv scope:SCOPE_SE
.LBB85_100:
	s_wait_alu 0xfffe
	s_and_b32 vcc_lo, exec_lo, s1
	s_wait_alu 0xfffe
	s_cbranch_vccz .LBB85_102
; %bb.101:
	v_mov_b32_e32 v1, 0
	s_lshl_b64 s[0:1], s[8:9], 2
	s_wait_alu 0xfffe
	s_add_nc_u64 s[0:1], s[6:7], s[0:1]
	global_load_b32 v1, v1, s[0:1]
	s_wait_loadcnt 0x0
	v_cmp_ne_u32_e32 vcc_lo, 0, v1
	s_cbranch_vccz .LBB85_103
.LBB85_102:
	s_nop 0
	s_sendmsg sendmsg(MSG_DEALLOC_VGPRS)
	s_endpgm
.LBB85_103:
	v_lshl_add_u32 v5, v0, 4, 0x160
	s_mov_b32 s0, exec_lo
	v_cmpx_eq_u32_e32 21, v0
	s_cbranch_execz .LBB85_105
; %bb.104:
	scratch_load_b128 v[1:4], off, s27
	v_mov_b32_e32 v6, 0
	s_delay_alu instid0(VALU_DEP_1)
	v_dual_mov_b32 v7, v6 :: v_dual_mov_b32 v8, v6
	v_mov_b32_e32 v9, v6
	scratch_store_b128 off, v[6:9], off offset:336
	s_wait_loadcnt 0x0
	ds_store_b128 v5, v[1:4]
.LBB85_105:
	s_wait_alu 0xfffe
	s_or_b32 exec_lo, exec_lo, s0
	s_wait_storecnt_dscnt 0x0
	s_barrier_signal -1
	s_barrier_wait -1
	global_inv scope:SCOPE_SE
	s_clause 0x1
	scratch_load_b128 v[6:9], off, off offset:352
	scratch_load_b128 v[57:60], off, off offset:336
	v_mov_b32_e32 v1, 0
	s_mov_b32 s0, exec_lo
	ds_load_b128 v[61:64], v1 offset:688
	s_wait_loadcnt_dscnt 0x100
	v_mul_f64_e32 v[2:3], v[63:64], v[8:9]
	v_mul_f64_e32 v[8:9], v[61:62], v[8:9]
	s_delay_alu instid0(VALU_DEP_2) | instskip(NEXT) | instid1(VALU_DEP_2)
	v_fma_f64 v[2:3], v[61:62], v[6:7], -v[2:3]
	v_fma_f64 v[6:7], v[63:64], v[6:7], v[8:9]
	s_delay_alu instid0(VALU_DEP_2) | instskip(NEXT) | instid1(VALU_DEP_2)
	v_add_f64_e32 v[2:3], 0, v[2:3]
	v_add_f64_e32 v[8:9], 0, v[6:7]
	s_wait_loadcnt 0x0
	s_delay_alu instid0(VALU_DEP_2) | instskip(NEXT) | instid1(VALU_DEP_2)
	v_add_f64_e64 v[6:7], v[57:58], -v[2:3]
	v_add_f64_e64 v[8:9], v[59:60], -v[8:9]
	scratch_store_b128 off, v[6:9], off offset:336
	v_cmpx_lt_u32_e32 19, v0
	s_cbranch_execz .LBB85_107
; %bb.106:
	scratch_load_b128 v[6:9], off, s16
	v_dual_mov_b32 v2, v1 :: v_dual_mov_b32 v3, v1
	v_mov_b32_e32 v4, v1
	scratch_store_b128 off, v[1:4], off offset:320
	s_wait_loadcnt 0x0
	ds_store_b128 v5, v[6:9]
.LBB85_107:
	s_wait_alu 0xfffe
	s_or_b32 exec_lo, exec_lo, s0
	s_wait_storecnt_dscnt 0x0
	s_barrier_signal -1
	s_barrier_wait -1
	global_inv scope:SCOPE_SE
	s_clause 0x2
	scratch_load_b128 v[6:9], off, off offset:336
	scratch_load_b128 v[57:60], off, off offset:352
	;; [unrolled: 1-line block ×3, first 2 shown]
	ds_load_b128 v[65:68], v1 offset:672
	ds_load_b128 v[1:4], v1 offset:688
	s_mov_b32 s0, exec_lo
	s_wait_loadcnt_dscnt 0x201
	v_mul_f64_e32 v[10:11], v[67:68], v[8:9]
	v_mul_f64_e32 v[8:9], v[65:66], v[8:9]
	s_wait_loadcnt_dscnt 0x100
	v_mul_f64_e32 v[69:70], v[1:2], v[59:60]
	v_mul_f64_e32 v[59:60], v[3:4], v[59:60]
	s_delay_alu instid0(VALU_DEP_4) | instskip(NEXT) | instid1(VALU_DEP_4)
	v_fma_f64 v[10:11], v[65:66], v[6:7], -v[10:11]
	v_fma_f64 v[6:7], v[67:68], v[6:7], v[8:9]
	s_delay_alu instid0(VALU_DEP_4) | instskip(NEXT) | instid1(VALU_DEP_4)
	v_fma_f64 v[3:4], v[3:4], v[57:58], v[69:70]
	v_fma_f64 v[1:2], v[1:2], v[57:58], -v[59:60]
	s_delay_alu instid0(VALU_DEP_4) | instskip(NEXT) | instid1(VALU_DEP_4)
	v_add_f64_e32 v[8:9], 0, v[10:11]
	v_add_f64_e32 v[6:7], 0, v[6:7]
	s_delay_alu instid0(VALU_DEP_2) | instskip(NEXT) | instid1(VALU_DEP_2)
	v_add_f64_e32 v[1:2], v[8:9], v[1:2]
	v_add_f64_e32 v[3:4], v[6:7], v[3:4]
	s_wait_loadcnt 0x0
	s_delay_alu instid0(VALU_DEP_2) | instskip(NEXT) | instid1(VALU_DEP_2)
	v_add_f64_e64 v[1:2], v[61:62], -v[1:2]
	v_add_f64_e64 v[3:4], v[63:64], -v[3:4]
	scratch_store_b128 off, v[1:4], off offset:320
	v_cmpx_lt_u32_e32 18, v0
	s_cbranch_execz .LBB85_109
; %bb.108:
	scratch_load_b128 v[1:4], off, s26
	v_mov_b32_e32 v6, 0
	s_delay_alu instid0(VALU_DEP_1)
	v_dual_mov_b32 v7, v6 :: v_dual_mov_b32 v8, v6
	v_mov_b32_e32 v9, v6
	scratch_store_b128 off, v[6:9], off offset:304
	s_wait_loadcnt 0x0
	ds_store_b128 v5, v[1:4]
.LBB85_109:
	s_wait_alu 0xfffe
	s_or_b32 exec_lo, exec_lo, s0
	s_wait_storecnt_dscnt 0x0
	s_barrier_signal -1
	s_barrier_wait -1
	global_inv scope:SCOPE_SE
	s_clause 0x3
	scratch_load_b128 v[6:9], off, off offset:320
	scratch_load_b128 v[57:60], off, off offset:336
	;; [unrolled: 1-line block ×4, first 2 shown]
	v_mov_b32_e32 v1, 0
	ds_load_b128 v[69:72], v1 offset:656
	ds_load_b128 v[73:76], v1 offset:672
	s_mov_b32 s0, exec_lo
	s_wait_loadcnt_dscnt 0x301
	v_mul_f64_e32 v[2:3], v[71:72], v[8:9]
	v_mul_f64_e32 v[8:9], v[69:70], v[8:9]
	s_wait_loadcnt_dscnt 0x200
	v_mul_f64_e32 v[10:11], v[73:74], v[59:60]
	v_mul_f64_e32 v[59:60], v[75:76], v[59:60]
	s_delay_alu instid0(VALU_DEP_4) | instskip(NEXT) | instid1(VALU_DEP_4)
	v_fma_f64 v[2:3], v[69:70], v[6:7], -v[2:3]
	v_fma_f64 v[69:70], v[71:72], v[6:7], v[8:9]
	ds_load_b128 v[6:9], v1 offset:688
	v_fma_f64 v[10:11], v[75:76], v[57:58], v[10:11]
	v_fma_f64 v[57:58], v[73:74], v[57:58], -v[59:60]
	s_wait_loadcnt_dscnt 0x100
	v_mul_f64_e32 v[71:72], v[6:7], v[63:64]
	v_mul_f64_e32 v[63:64], v[8:9], v[63:64]
	v_add_f64_e32 v[2:3], 0, v[2:3]
	v_add_f64_e32 v[59:60], 0, v[69:70]
	s_delay_alu instid0(VALU_DEP_4) | instskip(NEXT) | instid1(VALU_DEP_4)
	v_fma_f64 v[8:9], v[8:9], v[61:62], v[71:72]
	v_fma_f64 v[6:7], v[6:7], v[61:62], -v[63:64]
	s_delay_alu instid0(VALU_DEP_4) | instskip(NEXT) | instid1(VALU_DEP_4)
	v_add_f64_e32 v[2:3], v[2:3], v[57:58]
	v_add_f64_e32 v[10:11], v[59:60], v[10:11]
	s_delay_alu instid0(VALU_DEP_2) | instskip(NEXT) | instid1(VALU_DEP_2)
	v_add_f64_e32 v[2:3], v[2:3], v[6:7]
	v_add_f64_e32 v[8:9], v[10:11], v[8:9]
	s_wait_loadcnt 0x0
	s_delay_alu instid0(VALU_DEP_2) | instskip(NEXT) | instid1(VALU_DEP_2)
	v_add_f64_e64 v[6:7], v[65:66], -v[2:3]
	v_add_f64_e64 v[8:9], v[67:68], -v[8:9]
	scratch_store_b128 off, v[6:9], off offset:304
	v_cmpx_lt_u32_e32 17, v0
	s_cbranch_execz .LBB85_111
; %bb.110:
	scratch_load_b128 v[6:9], off, s15
	v_dual_mov_b32 v2, v1 :: v_dual_mov_b32 v3, v1
	v_mov_b32_e32 v4, v1
	scratch_store_b128 off, v[1:4], off offset:288
	s_wait_loadcnt 0x0
	ds_store_b128 v5, v[6:9]
.LBB85_111:
	s_wait_alu 0xfffe
	s_or_b32 exec_lo, exec_lo, s0
	s_wait_storecnt_dscnt 0x0
	s_barrier_signal -1
	s_barrier_wait -1
	global_inv scope:SCOPE_SE
	s_clause 0x4
	scratch_load_b128 v[6:9], off, off offset:304
	scratch_load_b128 v[57:60], off, off offset:320
	;; [unrolled: 1-line block ×5, first 2 shown]
	ds_load_b128 v[73:76], v1 offset:640
	ds_load_b128 v[77:80], v1 offset:656
	s_mov_b32 s0, exec_lo
	s_wait_loadcnt_dscnt 0x401
	v_mul_f64_e32 v[2:3], v[75:76], v[8:9]
	v_mul_f64_e32 v[8:9], v[73:74], v[8:9]
	s_wait_loadcnt_dscnt 0x300
	v_mul_f64_e32 v[10:11], v[77:78], v[59:60]
	v_mul_f64_e32 v[59:60], v[79:80], v[59:60]
	s_delay_alu instid0(VALU_DEP_4) | instskip(NEXT) | instid1(VALU_DEP_4)
	v_fma_f64 v[73:74], v[73:74], v[6:7], -v[2:3]
	v_fma_f64 v[75:76], v[75:76], v[6:7], v[8:9]
	ds_load_b128 v[6:9], v1 offset:672
	ds_load_b128 v[1:4], v1 offset:688
	v_fma_f64 v[10:11], v[79:80], v[57:58], v[10:11]
	v_fma_f64 v[57:58], v[77:78], v[57:58], -v[59:60]
	s_wait_loadcnt_dscnt 0x201
	v_mul_f64_e32 v[81:82], v[6:7], v[63:64]
	v_mul_f64_e32 v[63:64], v[8:9], v[63:64]
	v_add_f64_e32 v[59:60], 0, v[73:74]
	v_add_f64_e32 v[73:74], 0, v[75:76]
	s_wait_loadcnt_dscnt 0x100
	v_mul_f64_e32 v[75:76], v[1:2], v[67:68]
	v_mul_f64_e32 v[67:68], v[3:4], v[67:68]
	v_fma_f64 v[8:9], v[8:9], v[61:62], v[81:82]
	v_fma_f64 v[6:7], v[6:7], v[61:62], -v[63:64]
	v_add_f64_e32 v[57:58], v[59:60], v[57:58]
	v_add_f64_e32 v[10:11], v[73:74], v[10:11]
	v_fma_f64 v[3:4], v[3:4], v[65:66], v[75:76]
	v_fma_f64 v[1:2], v[1:2], v[65:66], -v[67:68]
	s_delay_alu instid0(VALU_DEP_4) | instskip(NEXT) | instid1(VALU_DEP_4)
	v_add_f64_e32 v[6:7], v[57:58], v[6:7]
	v_add_f64_e32 v[8:9], v[10:11], v[8:9]
	s_delay_alu instid0(VALU_DEP_2) | instskip(NEXT) | instid1(VALU_DEP_2)
	v_add_f64_e32 v[1:2], v[6:7], v[1:2]
	v_add_f64_e32 v[3:4], v[8:9], v[3:4]
	s_wait_loadcnt 0x0
	s_delay_alu instid0(VALU_DEP_2) | instskip(NEXT) | instid1(VALU_DEP_2)
	v_add_f64_e64 v[1:2], v[69:70], -v[1:2]
	v_add_f64_e64 v[3:4], v[71:72], -v[3:4]
	scratch_store_b128 off, v[1:4], off offset:288
	v_cmpx_lt_u32_e32 16, v0
	s_cbranch_execz .LBB85_113
; %bb.112:
	scratch_load_b128 v[1:4], off, s25
	v_mov_b32_e32 v6, 0
	s_delay_alu instid0(VALU_DEP_1)
	v_dual_mov_b32 v7, v6 :: v_dual_mov_b32 v8, v6
	v_mov_b32_e32 v9, v6
	scratch_store_b128 off, v[6:9], off offset:272
	s_wait_loadcnt 0x0
	ds_store_b128 v5, v[1:4]
.LBB85_113:
	s_wait_alu 0xfffe
	s_or_b32 exec_lo, exec_lo, s0
	s_wait_storecnt_dscnt 0x0
	s_barrier_signal -1
	s_barrier_wait -1
	global_inv scope:SCOPE_SE
	s_clause 0x5
	scratch_load_b128 v[6:9], off, off offset:288
	scratch_load_b128 v[57:60], off, off offset:304
	;; [unrolled: 1-line block ×6, first 2 shown]
	v_mov_b32_e32 v1, 0
	ds_load_b128 v[77:80], v1 offset:624
	ds_load_b128 v[81:84], v1 offset:640
	s_mov_b32 s0, exec_lo
	s_wait_loadcnt_dscnt 0x501
	v_mul_f64_e32 v[2:3], v[79:80], v[8:9]
	v_mul_f64_e32 v[8:9], v[77:78], v[8:9]
	s_wait_loadcnt_dscnt 0x400
	v_mul_f64_e32 v[10:11], v[81:82], v[59:60]
	v_mul_f64_e32 v[59:60], v[83:84], v[59:60]
	s_delay_alu instid0(VALU_DEP_4) | instskip(NEXT) | instid1(VALU_DEP_4)
	v_fma_f64 v[2:3], v[77:78], v[6:7], -v[2:3]
	v_fma_f64 v[85:86], v[79:80], v[6:7], v[8:9]
	ds_load_b128 v[6:9], v1 offset:656
	ds_load_b128 v[77:80], v1 offset:672
	v_fma_f64 v[10:11], v[83:84], v[57:58], v[10:11]
	v_fma_f64 v[57:58], v[81:82], v[57:58], -v[59:60]
	s_wait_loadcnt_dscnt 0x301
	v_mul_f64_e32 v[87:88], v[6:7], v[63:64]
	v_mul_f64_e32 v[63:64], v[8:9], v[63:64]
	s_wait_loadcnt_dscnt 0x200
	v_mul_f64_e32 v[81:82], v[77:78], v[67:68]
	v_mul_f64_e32 v[67:68], v[79:80], v[67:68]
	v_add_f64_e32 v[2:3], 0, v[2:3]
	v_add_f64_e32 v[59:60], 0, v[85:86]
	v_fma_f64 v[83:84], v[8:9], v[61:62], v[87:88]
	v_fma_f64 v[61:62], v[6:7], v[61:62], -v[63:64]
	ds_load_b128 v[6:9], v1 offset:688
	v_fma_f64 v[63:64], v[79:80], v[65:66], v[81:82]
	v_fma_f64 v[65:66], v[77:78], v[65:66], -v[67:68]
	v_add_f64_e32 v[2:3], v[2:3], v[57:58]
	v_add_f64_e32 v[10:11], v[59:60], v[10:11]
	s_wait_loadcnt_dscnt 0x100
	v_mul_f64_e32 v[57:58], v[6:7], v[71:72]
	v_mul_f64_e32 v[59:60], v[8:9], v[71:72]
	s_delay_alu instid0(VALU_DEP_4) | instskip(NEXT) | instid1(VALU_DEP_4)
	v_add_f64_e32 v[2:3], v[2:3], v[61:62]
	v_add_f64_e32 v[10:11], v[10:11], v[83:84]
	s_delay_alu instid0(VALU_DEP_4) | instskip(NEXT) | instid1(VALU_DEP_4)
	v_fma_f64 v[8:9], v[8:9], v[69:70], v[57:58]
	v_fma_f64 v[6:7], v[6:7], v[69:70], -v[59:60]
	s_delay_alu instid0(VALU_DEP_4) | instskip(NEXT) | instid1(VALU_DEP_4)
	v_add_f64_e32 v[2:3], v[2:3], v[65:66]
	v_add_f64_e32 v[10:11], v[10:11], v[63:64]
	s_delay_alu instid0(VALU_DEP_2) | instskip(NEXT) | instid1(VALU_DEP_2)
	v_add_f64_e32 v[2:3], v[2:3], v[6:7]
	v_add_f64_e32 v[8:9], v[10:11], v[8:9]
	s_wait_loadcnt 0x0
	s_delay_alu instid0(VALU_DEP_2) | instskip(NEXT) | instid1(VALU_DEP_2)
	v_add_f64_e64 v[6:7], v[73:74], -v[2:3]
	v_add_f64_e64 v[8:9], v[75:76], -v[8:9]
	scratch_store_b128 off, v[6:9], off offset:272
	v_cmpx_lt_u32_e32 15, v0
	s_cbranch_execz .LBB85_115
; %bb.114:
	scratch_load_b128 v[6:9], off, s14
	v_dual_mov_b32 v2, v1 :: v_dual_mov_b32 v3, v1
	v_mov_b32_e32 v4, v1
	scratch_store_b128 off, v[1:4], off offset:256
	s_wait_loadcnt 0x0
	ds_store_b128 v5, v[6:9]
.LBB85_115:
	s_wait_alu 0xfffe
	s_or_b32 exec_lo, exec_lo, s0
	s_wait_storecnt_dscnt 0x0
	s_barrier_signal -1
	s_barrier_wait -1
	global_inv scope:SCOPE_SE
	s_clause 0x5
	scratch_load_b128 v[6:9], off, off offset:272
	scratch_load_b128 v[57:60], off, off offset:288
	;; [unrolled: 1-line block ×6, first 2 shown]
	ds_load_b128 v[77:80], v1 offset:608
	ds_load_b128 v[85:88], v1 offset:624
	scratch_load_b128 v[81:84], off, off offset:256
	s_mov_b32 s0, exec_lo
	s_wait_loadcnt_dscnt 0x601
	v_mul_f64_e32 v[2:3], v[79:80], v[8:9]
	v_mul_f64_e32 v[8:9], v[77:78], v[8:9]
	s_wait_loadcnt_dscnt 0x500
	v_mul_f64_e32 v[10:11], v[85:86], v[59:60]
	v_mul_f64_e32 v[59:60], v[87:88], v[59:60]
	s_delay_alu instid0(VALU_DEP_4) | instskip(NEXT) | instid1(VALU_DEP_4)
	v_fma_f64 v[2:3], v[77:78], v[6:7], -v[2:3]
	v_fma_f64 v[89:90], v[79:80], v[6:7], v[8:9]
	ds_load_b128 v[6:9], v1 offset:640
	ds_load_b128 v[77:80], v1 offset:656
	v_fma_f64 v[10:11], v[87:88], v[57:58], v[10:11]
	v_fma_f64 v[57:58], v[85:86], v[57:58], -v[59:60]
	s_wait_loadcnt_dscnt 0x401
	v_mul_f64_e32 v[91:92], v[6:7], v[63:64]
	v_mul_f64_e32 v[63:64], v[8:9], v[63:64]
	s_wait_loadcnt_dscnt 0x300
	v_mul_f64_e32 v[85:86], v[77:78], v[67:68]
	v_mul_f64_e32 v[67:68], v[79:80], v[67:68]
	v_add_f64_e32 v[2:3], 0, v[2:3]
	v_add_f64_e32 v[59:60], 0, v[89:90]
	v_fma_f64 v[87:88], v[8:9], v[61:62], v[91:92]
	v_fma_f64 v[61:62], v[6:7], v[61:62], -v[63:64]
	s_delay_alu instid0(VALU_DEP_4) | instskip(NEXT) | instid1(VALU_DEP_4)
	v_add_f64_e32 v[57:58], v[2:3], v[57:58]
	v_add_f64_e32 v[10:11], v[59:60], v[10:11]
	ds_load_b128 v[6:9], v1 offset:672
	ds_load_b128 v[1:4], v1 offset:688
	s_wait_loadcnt_dscnt 0x201
	v_mul_f64_e32 v[59:60], v[6:7], v[71:72]
	v_mul_f64_e32 v[63:64], v[8:9], v[71:72]
	v_fma_f64 v[71:72], v[79:80], v[65:66], v[85:86]
	v_fma_f64 v[65:66], v[77:78], v[65:66], -v[67:68]
	s_wait_loadcnt_dscnt 0x100
	v_mul_f64_e32 v[67:68], v[3:4], v[75:76]
	v_add_f64_e32 v[57:58], v[57:58], v[61:62]
	v_add_f64_e32 v[10:11], v[10:11], v[87:88]
	v_mul_f64_e32 v[61:62], v[1:2], v[75:76]
	v_fma_f64 v[8:9], v[8:9], v[69:70], v[59:60]
	v_fma_f64 v[6:7], v[6:7], v[69:70], -v[63:64]
	v_fma_f64 v[1:2], v[1:2], v[73:74], -v[67:68]
	v_add_f64_e32 v[57:58], v[57:58], v[65:66]
	v_add_f64_e32 v[10:11], v[10:11], v[71:72]
	v_fma_f64 v[3:4], v[3:4], v[73:74], v[61:62]
	s_delay_alu instid0(VALU_DEP_3) | instskip(NEXT) | instid1(VALU_DEP_3)
	v_add_f64_e32 v[6:7], v[57:58], v[6:7]
	v_add_f64_e32 v[8:9], v[10:11], v[8:9]
	s_delay_alu instid0(VALU_DEP_2) | instskip(NEXT) | instid1(VALU_DEP_2)
	v_add_f64_e32 v[1:2], v[6:7], v[1:2]
	v_add_f64_e32 v[3:4], v[8:9], v[3:4]
	s_wait_loadcnt 0x0
	s_delay_alu instid0(VALU_DEP_2) | instskip(NEXT) | instid1(VALU_DEP_2)
	v_add_f64_e64 v[1:2], v[81:82], -v[1:2]
	v_add_f64_e64 v[3:4], v[83:84], -v[3:4]
	scratch_store_b128 off, v[1:4], off offset:256
	v_cmpx_lt_u32_e32 14, v0
	s_cbranch_execz .LBB85_117
; %bb.116:
	scratch_load_b128 v[1:4], off, s24
	v_mov_b32_e32 v6, 0
	s_delay_alu instid0(VALU_DEP_1)
	v_dual_mov_b32 v7, v6 :: v_dual_mov_b32 v8, v6
	v_mov_b32_e32 v9, v6
	scratch_store_b128 off, v[6:9], off offset:240
	s_wait_loadcnt 0x0
	ds_store_b128 v5, v[1:4]
.LBB85_117:
	s_wait_alu 0xfffe
	s_or_b32 exec_lo, exec_lo, s0
	s_wait_storecnt_dscnt 0x0
	s_barrier_signal -1
	s_barrier_wait -1
	global_inv scope:SCOPE_SE
	s_clause 0x6
	scratch_load_b128 v[6:9], off, off offset:256
	scratch_load_b128 v[57:60], off, off offset:272
	;; [unrolled: 1-line block ×7, first 2 shown]
	v_mov_b32_e32 v1, 0
	scratch_load_b128 v[85:88], off, off offset:240
	s_mov_b32 s0, exec_lo
	ds_load_b128 v[81:84], v1 offset:592
	ds_load_b128 v[89:92], v1 offset:608
	s_wait_loadcnt_dscnt 0x701
	v_mul_f64_e32 v[2:3], v[83:84], v[8:9]
	v_mul_f64_e32 v[8:9], v[81:82], v[8:9]
	s_wait_loadcnt_dscnt 0x600
	v_mul_f64_e32 v[10:11], v[89:90], v[59:60]
	v_mul_f64_e32 v[59:60], v[91:92], v[59:60]
	s_delay_alu instid0(VALU_DEP_4) | instskip(NEXT) | instid1(VALU_DEP_4)
	v_fma_f64 v[2:3], v[81:82], v[6:7], -v[2:3]
	v_fma_f64 v[93:94], v[83:84], v[6:7], v[8:9]
	ds_load_b128 v[6:9], v1 offset:624
	ds_load_b128 v[81:84], v1 offset:640
	v_fma_f64 v[10:11], v[91:92], v[57:58], v[10:11]
	v_fma_f64 v[57:58], v[89:90], v[57:58], -v[59:60]
	s_wait_loadcnt_dscnt 0x501
	v_mul_f64_e32 v[95:96], v[6:7], v[63:64]
	v_mul_f64_e32 v[63:64], v[8:9], v[63:64]
	s_wait_loadcnt_dscnt 0x400
	v_mul_f64_e32 v[89:90], v[81:82], v[67:68]
	v_mul_f64_e32 v[67:68], v[83:84], v[67:68]
	v_add_f64_e32 v[2:3], 0, v[2:3]
	v_add_f64_e32 v[59:60], 0, v[93:94]
	v_fma_f64 v[91:92], v[8:9], v[61:62], v[95:96]
	v_fma_f64 v[61:62], v[6:7], v[61:62], -v[63:64]
	v_fma_f64 v[83:84], v[83:84], v[65:66], v[89:90]
	v_fma_f64 v[65:66], v[81:82], v[65:66], -v[67:68]
	v_add_f64_e32 v[2:3], v[2:3], v[57:58]
	v_add_f64_e32 v[10:11], v[59:60], v[10:11]
	ds_load_b128 v[6:9], v1 offset:656
	ds_load_b128 v[57:60], v1 offset:672
	s_wait_loadcnt_dscnt 0x301
	v_mul_f64_e32 v[63:64], v[6:7], v[71:72]
	v_mul_f64_e32 v[71:72], v[8:9], v[71:72]
	s_wait_loadcnt_dscnt 0x200
	v_mul_f64_e32 v[67:68], v[59:60], v[75:76]
	v_add_f64_e32 v[2:3], v[2:3], v[61:62]
	v_add_f64_e32 v[10:11], v[10:11], v[91:92]
	v_mul_f64_e32 v[61:62], v[57:58], v[75:76]
	v_fma_f64 v[63:64], v[8:9], v[69:70], v[63:64]
	v_fma_f64 v[69:70], v[6:7], v[69:70], -v[71:72]
	ds_load_b128 v[6:9], v1 offset:688
	v_fma_f64 v[57:58], v[57:58], v[73:74], -v[67:68]
	v_add_f64_e32 v[2:3], v[2:3], v[65:66]
	v_add_f64_e32 v[10:11], v[10:11], v[83:84]
	v_fma_f64 v[59:60], v[59:60], v[73:74], v[61:62]
	s_wait_loadcnt_dscnt 0x100
	v_mul_f64_e32 v[65:66], v[6:7], v[79:80]
	v_mul_f64_e32 v[71:72], v[8:9], v[79:80]
	v_add_f64_e32 v[2:3], v[2:3], v[69:70]
	v_add_f64_e32 v[10:11], v[10:11], v[63:64]
	s_delay_alu instid0(VALU_DEP_4) | instskip(NEXT) | instid1(VALU_DEP_4)
	v_fma_f64 v[8:9], v[8:9], v[77:78], v[65:66]
	v_fma_f64 v[6:7], v[6:7], v[77:78], -v[71:72]
	s_delay_alu instid0(VALU_DEP_4) | instskip(NEXT) | instid1(VALU_DEP_4)
	v_add_f64_e32 v[2:3], v[2:3], v[57:58]
	v_add_f64_e32 v[10:11], v[10:11], v[59:60]
	s_delay_alu instid0(VALU_DEP_2) | instskip(NEXT) | instid1(VALU_DEP_2)
	v_add_f64_e32 v[2:3], v[2:3], v[6:7]
	v_add_f64_e32 v[8:9], v[10:11], v[8:9]
	s_wait_loadcnt 0x0
	s_delay_alu instid0(VALU_DEP_2) | instskip(NEXT) | instid1(VALU_DEP_2)
	v_add_f64_e64 v[6:7], v[85:86], -v[2:3]
	v_add_f64_e64 v[8:9], v[87:88], -v[8:9]
	scratch_store_b128 off, v[6:9], off offset:240
	v_cmpx_lt_u32_e32 13, v0
	s_cbranch_execz .LBB85_119
; %bb.118:
	scratch_load_b128 v[6:9], off, s13
	v_dual_mov_b32 v2, v1 :: v_dual_mov_b32 v3, v1
	v_mov_b32_e32 v4, v1
	scratch_store_b128 off, v[1:4], off offset:224
	s_wait_loadcnt 0x0
	ds_store_b128 v5, v[6:9]
.LBB85_119:
	s_wait_alu 0xfffe
	s_or_b32 exec_lo, exec_lo, s0
	s_wait_storecnt_dscnt 0x0
	s_barrier_signal -1
	s_barrier_wait -1
	global_inv scope:SCOPE_SE
	s_clause 0x7
	scratch_load_b128 v[6:9], off, off offset:240
	scratch_load_b128 v[57:60], off, off offset:256
	;; [unrolled: 1-line block ×8, first 2 shown]
	ds_load_b128 v[85:88], v1 offset:576
	ds_load_b128 v[89:92], v1 offset:592
	scratch_load_b128 v[93:96], off, off offset:224
	s_mov_b32 s0, exec_lo
	s_wait_loadcnt_dscnt 0x801
	v_mul_f64_e32 v[2:3], v[87:88], v[8:9]
	v_mul_f64_e32 v[8:9], v[85:86], v[8:9]
	s_wait_loadcnt_dscnt 0x700
	v_mul_f64_e32 v[10:11], v[89:90], v[59:60]
	v_mul_f64_e32 v[59:60], v[91:92], v[59:60]
	s_delay_alu instid0(VALU_DEP_4) | instskip(NEXT) | instid1(VALU_DEP_4)
	v_fma_f64 v[2:3], v[85:86], v[6:7], -v[2:3]
	v_fma_f64 v[97:98], v[87:88], v[6:7], v[8:9]
	ds_load_b128 v[6:9], v1 offset:608
	ds_load_b128 v[85:88], v1 offset:624
	v_fma_f64 v[10:11], v[91:92], v[57:58], v[10:11]
	v_fma_f64 v[57:58], v[89:90], v[57:58], -v[59:60]
	s_wait_loadcnt_dscnt 0x601
	v_mul_f64_e32 v[99:100], v[6:7], v[63:64]
	v_mul_f64_e32 v[63:64], v[8:9], v[63:64]
	s_wait_loadcnt_dscnt 0x500
	v_mul_f64_e32 v[89:90], v[85:86], v[67:68]
	v_mul_f64_e32 v[67:68], v[87:88], v[67:68]
	v_add_f64_e32 v[2:3], 0, v[2:3]
	v_add_f64_e32 v[59:60], 0, v[97:98]
	v_fma_f64 v[91:92], v[8:9], v[61:62], v[99:100]
	v_fma_f64 v[61:62], v[6:7], v[61:62], -v[63:64]
	v_fma_f64 v[87:88], v[87:88], v[65:66], v[89:90]
	v_fma_f64 v[65:66], v[85:86], v[65:66], -v[67:68]
	v_add_f64_e32 v[2:3], v[2:3], v[57:58]
	v_add_f64_e32 v[10:11], v[59:60], v[10:11]
	ds_load_b128 v[6:9], v1 offset:640
	ds_load_b128 v[57:60], v1 offset:656
	s_wait_loadcnt_dscnt 0x401
	v_mul_f64_e32 v[63:64], v[6:7], v[71:72]
	v_mul_f64_e32 v[71:72], v[8:9], v[71:72]
	s_wait_loadcnt_dscnt 0x300
	v_mul_f64_e32 v[67:68], v[59:60], v[75:76]
	v_add_f64_e32 v[2:3], v[2:3], v[61:62]
	v_add_f64_e32 v[10:11], v[10:11], v[91:92]
	v_mul_f64_e32 v[61:62], v[57:58], v[75:76]
	v_fma_f64 v[63:64], v[8:9], v[69:70], v[63:64]
	v_fma_f64 v[69:70], v[6:7], v[69:70], -v[71:72]
	v_fma_f64 v[57:58], v[57:58], v[73:74], -v[67:68]
	v_add_f64_e32 v[65:66], v[2:3], v[65:66]
	v_add_f64_e32 v[10:11], v[10:11], v[87:88]
	ds_load_b128 v[6:9], v1 offset:672
	ds_load_b128 v[1:4], v1 offset:688
	v_fma_f64 v[59:60], v[59:60], v[73:74], v[61:62]
	s_wait_loadcnt_dscnt 0x201
	v_mul_f64_e32 v[71:72], v[6:7], v[79:80]
	v_mul_f64_e32 v[75:76], v[8:9], v[79:80]
	v_add_f64_e32 v[61:62], v[65:66], v[69:70]
	v_add_f64_e32 v[10:11], v[10:11], v[63:64]
	s_wait_loadcnt_dscnt 0x100
	v_mul_f64_e32 v[63:64], v[1:2], v[83:84]
	v_mul_f64_e32 v[65:66], v[3:4], v[83:84]
	v_fma_f64 v[8:9], v[8:9], v[77:78], v[71:72]
	v_fma_f64 v[6:7], v[6:7], v[77:78], -v[75:76]
	v_add_f64_e32 v[57:58], v[61:62], v[57:58]
	v_add_f64_e32 v[10:11], v[10:11], v[59:60]
	v_fma_f64 v[3:4], v[3:4], v[81:82], v[63:64]
	v_fma_f64 v[1:2], v[1:2], v[81:82], -v[65:66]
	s_delay_alu instid0(VALU_DEP_4) | instskip(NEXT) | instid1(VALU_DEP_4)
	v_add_f64_e32 v[6:7], v[57:58], v[6:7]
	v_add_f64_e32 v[8:9], v[10:11], v[8:9]
	s_delay_alu instid0(VALU_DEP_2) | instskip(NEXT) | instid1(VALU_DEP_2)
	v_add_f64_e32 v[1:2], v[6:7], v[1:2]
	v_add_f64_e32 v[3:4], v[8:9], v[3:4]
	s_wait_loadcnt 0x0
	s_delay_alu instid0(VALU_DEP_2) | instskip(NEXT) | instid1(VALU_DEP_2)
	v_add_f64_e64 v[1:2], v[93:94], -v[1:2]
	v_add_f64_e64 v[3:4], v[95:96], -v[3:4]
	scratch_store_b128 off, v[1:4], off offset:224
	v_cmpx_lt_u32_e32 12, v0
	s_cbranch_execz .LBB85_121
; %bb.120:
	scratch_load_b128 v[1:4], off, s23
	v_mov_b32_e32 v6, 0
	s_delay_alu instid0(VALU_DEP_1)
	v_dual_mov_b32 v7, v6 :: v_dual_mov_b32 v8, v6
	v_mov_b32_e32 v9, v6
	scratch_store_b128 off, v[6:9], off offset:208
	s_wait_loadcnt 0x0
	ds_store_b128 v5, v[1:4]
.LBB85_121:
	s_wait_alu 0xfffe
	s_or_b32 exec_lo, exec_lo, s0
	s_wait_storecnt_dscnt 0x0
	s_barrier_signal -1
	s_barrier_wait -1
	global_inv scope:SCOPE_SE
	s_clause 0x7
	scratch_load_b128 v[6:9], off, off offset:224
	scratch_load_b128 v[57:60], off, off offset:240
	;; [unrolled: 1-line block ×8, first 2 shown]
	v_mov_b32_e32 v1, 0
	s_mov_b32 s0, exec_lo
	ds_load_b128 v[85:88], v1 offset:560
	s_clause 0x1
	scratch_load_b128 v[89:92], off, off offset:352
	scratch_load_b128 v[93:96], off, off offset:208
	ds_load_b128 v[97:100], v1 offset:576
	s_wait_loadcnt_dscnt 0x901
	v_mul_f64_e32 v[2:3], v[87:88], v[8:9]
	v_mul_f64_e32 v[8:9], v[85:86], v[8:9]
	s_wait_loadcnt_dscnt 0x800
	v_mul_f64_e32 v[10:11], v[97:98], v[59:60]
	v_mul_f64_e32 v[59:60], v[99:100], v[59:60]
	s_delay_alu instid0(VALU_DEP_4) | instskip(NEXT) | instid1(VALU_DEP_4)
	v_fma_f64 v[2:3], v[85:86], v[6:7], -v[2:3]
	v_fma_f64 v[101:102], v[87:88], v[6:7], v[8:9]
	ds_load_b128 v[6:9], v1 offset:592
	ds_load_b128 v[85:88], v1 offset:608
	v_fma_f64 v[10:11], v[99:100], v[57:58], v[10:11]
	v_fma_f64 v[57:58], v[97:98], v[57:58], -v[59:60]
	s_wait_loadcnt_dscnt 0x701
	v_mul_f64_e32 v[103:104], v[6:7], v[63:64]
	v_mul_f64_e32 v[63:64], v[8:9], v[63:64]
	s_wait_loadcnt_dscnt 0x600
	v_mul_f64_e32 v[97:98], v[85:86], v[67:68]
	v_mul_f64_e32 v[67:68], v[87:88], v[67:68]
	v_add_f64_e32 v[2:3], 0, v[2:3]
	v_add_f64_e32 v[59:60], 0, v[101:102]
	v_fma_f64 v[99:100], v[8:9], v[61:62], v[103:104]
	v_fma_f64 v[61:62], v[6:7], v[61:62], -v[63:64]
	v_fma_f64 v[87:88], v[87:88], v[65:66], v[97:98]
	v_fma_f64 v[65:66], v[85:86], v[65:66], -v[67:68]
	v_add_f64_e32 v[2:3], v[2:3], v[57:58]
	v_add_f64_e32 v[10:11], v[59:60], v[10:11]
	ds_load_b128 v[6:9], v1 offset:624
	ds_load_b128 v[57:60], v1 offset:640
	s_wait_loadcnt_dscnt 0x501
	v_mul_f64_e32 v[63:64], v[6:7], v[71:72]
	v_mul_f64_e32 v[71:72], v[8:9], v[71:72]
	s_wait_loadcnt_dscnt 0x400
	v_mul_f64_e32 v[67:68], v[57:58], v[75:76]
	v_mul_f64_e32 v[75:76], v[59:60], v[75:76]
	v_add_f64_e32 v[2:3], v[2:3], v[61:62]
	v_add_f64_e32 v[10:11], v[10:11], v[99:100]
	v_fma_f64 v[85:86], v[8:9], v[69:70], v[63:64]
	v_fma_f64 v[69:70], v[6:7], v[69:70], -v[71:72]
	ds_load_b128 v[6:9], v1 offset:656
	ds_load_b128 v[61:64], v1 offset:672
	v_fma_f64 v[59:60], v[59:60], v[73:74], v[67:68]
	v_fma_f64 v[57:58], v[57:58], v[73:74], -v[75:76]
	v_add_f64_e32 v[2:3], v[2:3], v[65:66]
	v_add_f64_e32 v[10:11], v[10:11], v[87:88]
	s_wait_loadcnt_dscnt 0x301
	v_mul_f64_e32 v[65:66], v[6:7], v[79:80]
	v_mul_f64_e32 v[71:72], v[8:9], v[79:80]
	s_wait_loadcnt_dscnt 0x200
	v_mul_f64_e32 v[67:68], v[61:62], v[83:84]
	v_add_f64_e32 v[2:3], v[2:3], v[69:70]
	v_add_f64_e32 v[10:11], v[10:11], v[85:86]
	v_mul_f64_e32 v[69:70], v[63:64], v[83:84]
	v_fma_f64 v[65:66], v[8:9], v[77:78], v[65:66]
	v_fma_f64 v[71:72], v[6:7], v[77:78], -v[71:72]
	ds_load_b128 v[6:9], v1 offset:688
	v_fma_f64 v[63:64], v[63:64], v[81:82], v[67:68]
	v_add_f64_e32 v[2:3], v[2:3], v[57:58]
	v_add_f64_e32 v[10:11], v[10:11], v[59:60]
	s_wait_loadcnt_dscnt 0x100
	v_mul_f64_e32 v[57:58], v[6:7], v[91:92]
	v_mul_f64_e32 v[59:60], v[8:9], v[91:92]
	v_fma_f64 v[61:62], v[61:62], v[81:82], -v[69:70]
	v_add_f64_e32 v[2:3], v[2:3], v[71:72]
	v_add_f64_e32 v[10:11], v[10:11], v[65:66]
	v_fma_f64 v[8:9], v[8:9], v[89:90], v[57:58]
	v_fma_f64 v[6:7], v[6:7], v[89:90], -v[59:60]
	s_delay_alu instid0(VALU_DEP_4) | instskip(NEXT) | instid1(VALU_DEP_4)
	v_add_f64_e32 v[2:3], v[2:3], v[61:62]
	v_add_f64_e32 v[10:11], v[10:11], v[63:64]
	s_delay_alu instid0(VALU_DEP_2) | instskip(NEXT) | instid1(VALU_DEP_2)
	v_add_f64_e32 v[2:3], v[2:3], v[6:7]
	v_add_f64_e32 v[8:9], v[10:11], v[8:9]
	s_wait_loadcnt 0x0
	s_delay_alu instid0(VALU_DEP_2) | instskip(NEXT) | instid1(VALU_DEP_2)
	v_add_f64_e64 v[6:7], v[93:94], -v[2:3]
	v_add_f64_e64 v[8:9], v[95:96], -v[8:9]
	scratch_store_b128 off, v[6:9], off offset:208
	v_cmpx_lt_u32_e32 11, v0
	s_cbranch_execz .LBB85_123
; %bb.122:
	scratch_load_b128 v[6:9], off, s11
	v_dual_mov_b32 v2, v1 :: v_dual_mov_b32 v3, v1
	v_mov_b32_e32 v4, v1
	scratch_store_b128 off, v[1:4], off offset:192
	s_wait_loadcnt 0x0
	ds_store_b128 v5, v[6:9]
.LBB85_123:
	s_wait_alu 0xfffe
	s_or_b32 exec_lo, exec_lo, s0
	s_wait_storecnt_dscnt 0x0
	s_barrier_signal -1
	s_barrier_wait -1
	global_inv scope:SCOPE_SE
	s_clause 0x8
	scratch_load_b128 v[6:9], off, off offset:208
	scratch_load_b128 v[57:60], off, off offset:224
	;; [unrolled: 1-line block ×9, first 2 shown]
	ds_load_b128 v[89:92], v1 offset:544
	ds_load_b128 v[93:96], v1 offset:560
	scratch_load_b128 v[97:100], off, off offset:192
	s_mov_b32 s0, exec_lo
	s_wait_loadcnt_dscnt 0x901
	v_mul_f64_e32 v[2:3], v[91:92], v[8:9]
	v_mul_f64_e32 v[101:102], v[89:90], v[8:9]
	scratch_load_b128 v[8:11], off, off offset:352
	s_wait_loadcnt_dscnt 0x900
	v_mul_f64_e32 v[105:106], v[93:94], v[59:60]
	v_mul_f64_e32 v[59:60], v[95:96], v[59:60]
	v_fma_f64 v[2:3], v[89:90], v[6:7], -v[2:3]
	v_fma_f64 v[6:7], v[91:92], v[6:7], v[101:102]
	ds_load_b128 v[89:92], v1 offset:576
	ds_load_b128 v[101:104], v1 offset:592
	v_fma_f64 v[95:96], v[95:96], v[57:58], v[105:106]
	v_fma_f64 v[57:58], v[93:94], v[57:58], -v[59:60]
	s_wait_loadcnt_dscnt 0x801
	v_mul_f64_e32 v[107:108], v[89:90], v[63:64]
	v_mul_f64_e32 v[63:64], v[91:92], v[63:64]
	s_wait_loadcnt_dscnt 0x700
	v_mul_f64_e32 v[93:94], v[101:102], v[67:68]
	v_mul_f64_e32 v[67:68], v[103:104], v[67:68]
	v_add_f64_e32 v[2:3], 0, v[2:3]
	v_add_f64_e32 v[6:7], 0, v[6:7]
	v_fma_f64 v[91:92], v[91:92], v[61:62], v[107:108]
	v_fma_f64 v[89:90], v[89:90], v[61:62], -v[63:64]
	v_fma_f64 v[93:94], v[103:104], v[65:66], v[93:94]
	v_fma_f64 v[65:66], v[101:102], v[65:66], -v[67:68]
	v_add_f64_e32 v[2:3], v[2:3], v[57:58]
	v_add_f64_e32 v[6:7], v[6:7], v[95:96]
	ds_load_b128 v[57:60], v1 offset:608
	ds_load_b128 v[61:64], v1 offset:624
	s_wait_loadcnt_dscnt 0x601
	v_mul_f64_e32 v[95:96], v[57:58], v[71:72]
	v_mul_f64_e32 v[71:72], v[59:60], v[71:72]
	v_add_f64_e32 v[2:3], v[2:3], v[89:90]
	v_add_f64_e32 v[6:7], v[6:7], v[91:92]
	s_wait_loadcnt_dscnt 0x500
	v_mul_f64_e32 v[89:90], v[61:62], v[75:76]
	v_mul_f64_e32 v[75:76], v[63:64], v[75:76]
	v_fma_f64 v[91:92], v[59:60], v[69:70], v[95:96]
	v_fma_f64 v[69:70], v[57:58], v[69:70], -v[71:72]
	v_add_f64_e32 v[2:3], v[2:3], v[65:66]
	v_add_f64_e32 v[6:7], v[6:7], v[93:94]
	ds_load_b128 v[57:60], v1 offset:640
	ds_load_b128 v[65:68], v1 offset:656
	v_fma_f64 v[63:64], v[63:64], v[73:74], v[89:90]
	v_fma_f64 v[61:62], v[61:62], v[73:74], -v[75:76]
	s_wait_loadcnt_dscnt 0x401
	v_mul_f64_e32 v[71:72], v[57:58], v[79:80]
	v_mul_f64_e32 v[79:80], v[59:60], v[79:80]
	s_wait_loadcnt_dscnt 0x300
	v_mul_f64_e32 v[73:74], v[67:68], v[83:84]
	v_add_f64_e32 v[2:3], v[2:3], v[69:70]
	v_add_f64_e32 v[6:7], v[6:7], v[91:92]
	v_mul_f64_e32 v[69:70], v[65:66], v[83:84]
	v_fma_f64 v[71:72], v[59:60], v[77:78], v[71:72]
	v_fma_f64 v[75:76], v[57:58], v[77:78], -v[79:80]
	v_fma_f64 v[65:66], v[65:66], v[81:82], -v[73:74]
	v_add_f64_e32 v[61:62], v[2:3], v[61:62]
	v_add_f64_e32 v[6:7], v[6:7], v[63:64]
	ds_load_b128 v[57:60], v1 offset:672
	ds_load_b128 v[1:4], v1 offset:688
	v_fma_f64 v[67:68], v[67:68], v[81:82], v[69:70]
	s_wait_loadcnt_dscnt 0x201
	v_mul_f64_e32 v[63:64], v[57:58], v[87:88]
	v_mul_f64_e32 v[77:78], v[59:60], v[87:88]
	v_add_f64_e32 v[61:62], v[61:62], v[75:76]
	v_add_f64_e32 v[6:7], v[6:7], v[71:72]
	s_wait_loadcnt_dscnt 0x0
	v_mul_f64_e32 v[69:70], v[1:2], v[10:11]
	v_mul_f64_e32 v[10:11], v[3:4], v[10:11]
	v_fma_f64 v[59:60], v[59:60], v[85:86], v[63:64]
	v_fma_f64 v[57:58], v[57:58], v[85:86], -v[77:78]
	v_add_f64_e32 v[61:62], v[61:62], v[65:66]
	v_add_f64_e32 v[6:7], v[6:7], v[67:68]
	v_fma_f64 v[3:4], v[3:4], v[8:9], v[69:70]
	v_fma_f64 v[1:2], v[1:2], v[8:9], -v[10:11]
	s_delay_alu instid0(VALU_DEP_4) | instskip(NEXT) | instid1(VALU_DEP_4)
	v_add_f64_e32 v[8:9], v[61:62], v[57:58]
	v_add_f64_e32 v[6:7], v[6:7], v[59:60]
	s_delay_alu instid0(VALU_DEP_2) | instskip(NEXT) | instid1(VALU_DEP_2)
	v_add_f64_e32 v[1:2], v[8:9], v[1:2]
	v_add_f64_e32 v[3:4], v[6:7], v[3:4]
	s_delay_alu instid0(VALU_DEP_2) | instskip(NEXT) | instid1(VALU_DEP_2)
	v_add_f64_e64 v[1:2], v[97:98], -v[1:2]
	v_add_f64_e64 v[3:4], v[99:100], -v[3:4]
	scratch_store_b128 off, v[1:4], off offset:192
	v_cmpx_lt_u32_e32 10, v0
	s_cbranch_execz .LBB85_125
; %bb.124:
	scratch_load_b128 v[1:4], off, s22
	v_mov_b32_e32 v6, 0
	s_delay_alu instid0(VALU_DEP_1)
	v_dual_mov_b32 v7, v6 :: v_dual_mov_b32 v8, v6
	v_mov_b32_e32 v9, v6
	scratch_store_b128 off, v[6:9], off offset:176
	s_wait_loadcnt 0x0
	ds_store_b128 v5, v[1:4]
.LBB85_125:
	s_wait_alu 0xfffe
	s_or_b32 exec_lo, exec_lo, s0
	s_wait_storecnt_dscnt 0x0
	s_barrier_signal -1
	s_barrier_wait -1
	global_inv scope:SCOPE_SE
	s_clause 0x7
	scratch_load_b128 v[6:9], off, off offset:192
	scratch_load_b128 v[57:60], off, off offset:208
	;; [unrolled: 1-line block ×8, first 2 shown]
	v_mov_b32_e32 v1, 0
	s_mov_b32 s0, exec_lo
	ds_load_b128 v[85:88], v1 offset:528
	s_clause 0x1
	scratch_load_b128 v[89:92], off, off offset:320
	scratch_load_b128 v[93:96], off, off offset:176
	ds_load_b128 v[97:100], v1 offset:544
	ds_load_b128 v[105:108], v1 offset:576
	s_wait_loadcnt_dscnt 0x902
	v_mul_f64_e32 v[2:3], v[87:88], v[8:9]
	v_mul_f64_e32 v[101:102], v[85:86], v[8:9]
	scratch_load_b128 v[8:11], off, off offset:336
	v_fma_f64 v[2:3], v[85:86], v[6:7], -v[2:3]
	v_fma_f64 v[6:7], v[87:88], v[6:7], v[101:102]
	ds_load_b128 v[85:88], v1 offset:560
	s_wait_loadcnt_dscnt 0x902
	v_mul_f64_e32 v[109:110], v[97:98], v[59:60]
	v_mul_f64_e32 v[59:60], v[99:100], v[59:60]
	scratch_load_b128 v[101:104], off, off offset:352
	s_wait_loadcnt_dscnt 0x900
	v_mul_f64_e32 v[111:112], v[85:86], v[63:64]
	v_mul_f64_e32 v[63:64], v[87:88], v[63:64]
	v_add_f64_e32 v[2:3], 0, v[2:3]
	v_add_f64_e32 v[6:7], 0, v[6:7]
	v_fma_f64 v[99:100], v[99:100], v[57:58], v[109:110]
	v_fma_f64 v[57:58], v[97:98], v[57:58], -v[59:60]
	s_wait_loadcnt 0x8
	v_mul_f64_e32 v[97:98], v[105:106], v[67:68]
	v_mul_f64_e32 v[67:68], v[107:108], v[67:68]
	v_fma_f64 v[87:88], v[87:88], v[61:62], v[111:112]
	v_fma_f64 v[85:86], v[85:86], v[61:62], -v[63:64]
	v_add_f64_e32 v[6:7], v[6:7], v[99:100]
	v_add_f64_e32 v[2:3], v[2:3], v[57:58]
	ds_load_b128 v[57:60], v1 offset:592
	ds_load_b128 v[61:64], v1 offset:608
	v_fma_f64 v[97:98], v[107:108], v[65:66], v[97:98]
	v_fma_f64 v[65:66], v[105:106], v[65:66], -v[67:68]
	s_wait_loadcnt_dscnt 0x701
	v_mul_f64_e32 v[99:100], v[57:58], v[71:72]
	v_mul_f64_e32 v[71:72], v[59:60], v[71:72]
	v_add_f64_e32 v[6:7], v[6:7], v[87:88]
	v_add_f64_e32 v[2:3], v[2:3], v[85:86]
	s_wait_loadcnt_dscnt 0x600
	v_mul_f64_e32 v[85:86], v[61:62], v[75:76]
	v_mul_f64_e32 v[75:76], v[63:64], v[75:76]
	v_fma_f64 v[87:88], v[59:60], v[69:70], v[99:100]
	v_fma_f64 v[69:70], v[57:58], v[69:70], -v[71:72]
	v_add_f64_e32 v[6:7], v[6:7], v[97:98]
	v_add_f64_e32 v[2:3], v[2:3], v[65:66]
	ds_load_b128 v[57:60], v1 offset:624
	ds_load_b128 v[65:68], v1 offset:640
	v_fma_f64 v[63:64], v[63:64], v[73:74], v[85:86]
	v_fma_f64 v[61:62], v[61:62], v[73:74], -v[75:76]
	s_wait_loadcnt_dscnt 0x501
	v_mul_f64_e32 v[71:72], v[57:58], v[79:80]
	v_mul_f64_e32 v[79:80], v[59:60], v[79:80]
	s_wait_loadcnt_dscnt 0x400
	v_mul_f64_e32 v[73:74], v[67:68], v[83:84]
	v_add_f64_e32 v[6:7], v[6:7], v[87:88]
	v_add_f64_e32 v[2:3], v[2:3], v[69:70]
	v_mul_f64_e32 v[69:70], v[65:66], v[83:84]
	v_fma_f64 v[71:72], v[59:60], v[77:78], v[71:72]
	v_fma_f64 v[75:76], v[57:58], v[77:78], -v[79:80]
	v_fma_f64 v[65:66], v[65:66], v[81:82], -v[73:74]
	v_add_f64_e32 v[6:7], v[6:7], v[63:64]
	v_add_f64_e32 v[2:3], v[2:3], v[61:62]
	ds_load_b128 v[57:60], v1 offset:656
	ds_load_b128 v[61:64], v1 offset:672
	v_fma_f64 v[67:68], v[67:68], v[81:82], v[69:70]
	s_wait_loadcnt_dscnt 0x301
	v_mul_f64_e32 v[77:78], v[57:58], v[91:92]
	v_mul_f64_e32 v[79:80], v[59:60], v[91:92]
	v_add_f64_e32 v[6:7], v[6:7], v[71:72]
	v_add_f64_e32 v[2:3], v[2:3], v[75:76]
	s_wait_loadcnt_dscnt 0x100
	v_mul_f64_e32 v[69:70], v[61:62], v[10:11]
	v_mul_f64_e32 v[10:11], v[63:64], v[10:11]
	v_fma_f64 v[71:72], v[59:60], v[89:90], v[77:78]
	v_fma_f64 v[73:74], v[57:58], v[89:90], -v[79:80]
	ds_load_b128 v[57:60], v1 offset:688
	v_add_f64_e32 v[6:7], v[6:7], v[67:68]
	v_add_f64_e32 v[2:3], v[2:3], v[65:66]
	v_fma_f64 v[63:64], v[63:64], v[8:9], v[69:70]
	v_fma_f64 v[8:9], v[61:62], v[8:9], -v[10:11]
	s_wait_loadcnt_dscnt 0x0
	v_mul_f64_e32 v[65:66], v[57:58], v[103:104]
	v_mul_f64_e32 v[67:68], v[59:60], v[103:104]
	v_add_f64_e32 v[6:7], v[6:7], v[71:72]
	v_add_f64_e32 v[2:3], v[2:3], v[73:74]
	s_delay_alu instid0(VALU_DEP_4) | instskip(NEXT) | instid1(VALU_DEP_4)
	v_fma_f64 v[10:11], v[59:60], v[101:102], v[65:66]
	v_fma_f64 v[57:58], v[57:58], v[101:102], -v[67:68]
	s_delay_alu instid0(VALU_DEP_4) | instskip(NEXT) | instid1(VALU_DEP_4)
	v_add_f64_e32 v[6:7], v[6:7], v[63:64]
	v_add_f64_e32 v[2:3], v[2:3], v[8:9]
	s_delay_alu instid0(VALU_DEP_2) | instskip(NEXT) | instid1(VALU_DEP_2)
	v_add_f64_e32 v[8:9], v[6:7], v[10:11]
	v_add_f64_e32 v[2:3], v[2:3], v[57:58]
	s_delay_alu instid0(VALU_DEP_2) | instskip(NEXT) | instid1(VALU_DEP_2)
	v_add_f64_e64 v[8:9], v[95:96], -v[8:9]
	v_add_f64_e64 v[6:7], v[93:94], -v[2:3]
	scratch_store_b128 off, v[6:9], off offset:176
	v_cmpx_lt_u32_e32 9, v0
	s_cbranch_execz .LBB85_127
; %bb.126:
	scratch_load_b128 v[6:9], off, s10
	v_dual_mov_b32 v2, v1 :: v_dual_mov_b32 v3, v1
	v_mov_b32_e32 v4, v1
	scratch_store_b128 off, v[1:4], off offset:160
	s_wait_loadcnt 0x0
	ds_store_b128 v5, v[6:9]
.LBB85_127:
	s_wait_alu 0xfffe
	s_or_b32 exec_lo, exec_lo, s0
	s_wait_storecnt_dscnt 0x0
	s_barrier_signal -1
	s_barrier_wait -1
	global_inv scope:SCOPE_SE
	s_clause 0x8
	scratch_load_b128 v[6:9], off, off offset:176
	scratch_load_b128 v[57:60], off, off offset:192
	;; [unrolled: 1-line block ×9, first 2 shown]
	ds_load_b128 v[89:92], v1 offset:512
	ds_load_b128 v[93:96], v1 offset:528
	scratch_load_b128 v[97:100], off, off offset:160
	s_mov_b32 s0, exec_lo
	ds_load_b128 v[105:108], v1 offset:560
	s_wait_loadcnt_dscnt 0x902
	v_mul_f64_e32 v[2:3], v[91:92], v[8:9]
	v_mul_f64_e32 v[101:102], v[89:90], v[8:9]
	scratch_load_b128 v[8:11], off, off offset:320
	s_wait_loadcnt_dscnt 0x901
	v_mul_f64_e32 v[109:110], v[93:94], v[59:60]
	v_mul_f64_e32 v[59:60], v[95:96], v[59:60]
	v_fma_f64 v[2:3], v[89:90], v[6:7], -v[2:3]
	v_fma_f64 v[6:7], v[91:92], v[6:7], v[101:102]
	ds_load_b128 v[89:92], v1 offset:544
	scratch_load_b128 v[101:104], off, off offset:336
	v_fma_f64 v[95:96], v[95:96], v[57:58], v[109:110]
	v_fma_f64 v[93:94], v[93:94], v[57:58], -v[59:60]
	scratch_load_b128 v[57:60], off, off offset:352
	s_wait_loadcnt_dscnt 0x901
	v_mul_f64_e32 v[109:110], v[105:106], v[67:68]
	v_mul_f64_e32 v[67:68], v[107:108], v[67:68]
	s_wait_dscnt 0x0
	v_mul_f64_e32 v[111:112], v[89:90], v[63:64]
	v_mul_f64_e32 v[63:64], v[91:92], v[63:64]
	v_add_f64_e32 v[2:3], 0, v[2:3]
	v_add_f64_e32 v[6:7], 0, v[6:7]
	s_delay_alu instid0(VALU_DEP_4) | instskip(NEXT) | instid1(VALU_DEP_4)
	v_fma_f64 v[111:112], v[91:92], v[61:62], v[111:112]
	v_fma_f64 v[113:114], v[89:90], v[61:62], -v[63:64]
	ds_load_b128 v[61:64], v1 offset:576
	ds_load_b128 v[89:92], v1 offset:592
	v_add_f64_e32 v[2:3], v[2:3], v[93:94]
	v_add_f64_e32 v[6:7], v[6:7], v[95:96]
	v_fma_f64 v[95:96], v[107:108], v[65:66], v[109:110]
	v_fma_f64 v[65:66], v[105:106], v[65:66], -v[67:68]
	s_wait_loadcnt_dscnt 0x801
	v_mul_f64_e32 v[93:94], v[61:62], v[71:72]
	v_mul_f64_e32 v[71:72], v[63:64], v[71:72]
	s_wait_loadcnt_dscnt 0x700
	v_mul_f64_e32 v[105:106], v[89:90], v[75:76]
	v_mul_f64_e32 v[75:76], v[91:92], v[75:76]
	v_add_f64_e32 v[2:3], v[2:3], v[113:114]
	v_add_f64_e32 v[6:7], v[6:7], v[111:112]
	v_fma_f64 v[93:94], v[63:64], v[69:70], v[93:94]
	v_fma_f64 v[69:70], v[61:62], v[69:70], -v[71:72]
	v_fma_f64 v[91:92], v[91:92], v[73:74], v[105:106]
	v_fma_f64 v[73:74], v[89:90], v[73:74], -v[75:76]
	v_add_f64_e32 v[2:3], v[2:3], v[65:66]
	v_add_f64_e32 v[6:7], v[6:7], v[95:96]
	ds_load_b128 v[61:64], v1 offset:608
	ds_load_b128 v[65:68], v1 offset:624
	s_wait_loadcnt_dscnt 0x601
	v_mul_f64_e32 v[71:72], v[61:62], v[79:80]
	v_mul_f64_e32 v[79:80], v[63:64], v[79:80]
	s_wait_loadcnt_dscnt 0x500
	v_mul_f64_e32 v[75:76], v[65:66], v[83:84]
	v_mul_f64_e32 v[83:84], v[67:68], v[83:84]
	v_add_f64_e32 v[2:3], v[2:3], v[69:70]
	v_add_f64_e32 v[6:7], v[6:7], v[93:94]
	v_fma_f64 v[89:90], v[63:64], v[77:78], v[71:72]
	v_fma_f64 v[77:78], v[61:62], v[77:78], -v[79:80]
	ds_load_b128 v[61:64], v1 offset:640
	ds_load_b128 v[69:72], v1 offset:656
	v_fma_f64 v[67:68], v[67:68], v[81:82], v[75:76]
	v_fma_f64 v[65:66], v[65:66], v[81:82], -v[83:84]
	v_add_f64_e32 v[2:3], v[2:3], v[73:74]
	v_add_f64_e32 v[6:7], v[6:7], v[91:92]
	s_wait_loadcnt_dscnt 0x401
	v_mul_f64_e32 v[73:74], v[61:62], v[87:88]
	v_mul_f64_e32 v[79:80], v[63:64], v[87:88]
	s_delay_alu instid0(VALU_DEP_4) | instskip(NEXT) | instid1(VALU_DEP_4)
	v_add_f64_e32 v[2:3], v[2:3], v[77:78]
	v_add_f64_e32 v[6:7], v[6:7], v[89:90]
	s_delay_alu instid0(VALU_DEP_4) | instskip(NEXT) | instid1(VALU_DEP_4)
	v_fma_f64 v[73:74], v[63:64], v[85:86], v[73:74]
	v_fma_f64 v[77:78], v[61:62], v[85:86], -v[79:80]
	s_wait_loadcnt_dscnt 0x200
	v_mul_f64_e32 v[75:76], v[69:70], v[10:11]
	v_mul_f64_e32 v[10:11], v[71:72], v[10:11]
	v_add_f64_e32 v[65:66], v[2:3], v[65:66]
	v_add_f64_e32 v[6:7], v[6:7], v[67:68]
	ds_load_b128 v[61:64], v1 offset:672
	ds_load_b128 v[1:4], v1 offset:688
	v_fma_f64 v[71:72], v[71:72], v[8:9], v[75:76]
	v_fma_f64 v[8:9], v[69:70], v[8:9], -v[10:11]
	s_wait_loadcnt_dscnt 0x101
	v_mul_f64_e32 v[67:68], v[61:62], v[103:104]
	v_mul_f64_e32 v[79:80], v[63:64], v[103:104]
	v_add_f64_e32 v[10:11], v[65:66], v[77:78]
	v_add_f64_e32 v[6:7], v[6:7], v[73:74]
	s_wait_loadcnt_dscnt 0x0
	v_mul_f64_e32 v[65:66], v[1:2], v[59:60]
	v_mul_f64_e32 v[59:60], v[3:4], v[59:60]
	v_fma_f64 v[63:64], v[63:64], v[101:102], v[67:68]
	v_fma_f64 v[61:62], v[61:62], v[101:102], -v[79:80]
	v_add_f64_e32 v[8:9], v[10:11], v[8:9]
	v_add_f64_e32 v[6:7], v[6:7], v[71:72]
	v_fma_f64 v[3:4], v[3:4], v[57:58], v[65:66]
	v_fma_f64 v[1:2], v[1:2], v[57:58], -v[59:60]
	s_delay_alu instid0(VALU_DEP_4) | instskip(NEXT) | instid1(VALU_DEP_4)
	v_add_f64_e32 v[8:9], v[8:9], v[61:62]
	v_add_f64_e32 v[6:7], v[6:7], v[63:64]
	s_delay_alu instid0(VALU_DEP_2) | instskip(NEXT) | instid1(VALU_DEP_2)
	v_add_f64_e32 v[1:2], v[8:9], v[1:2]
	v_add_f64_e32 v[3:4], v[6:7], v[3:4]
	s_delay_alu instid0(VALU_DEP_2) | instskip(NEXT) | instid1(VALU_DEP_2)
	v_add_f64_e64 v[1:2], v[97:98], -v[1:2]
	v_add_f64_e64 v[3:4], v[99:100], -v[3:4]
	scratch_store_b128 off, v[1:4], off offset:160
	v_cmpx_lt_u32_e32 8, v0
	s_cbranch_execz .LBB85_129
; %bb.128:
	scratch_load_b128 v[1:4], off, s21
	v_mov_b32_e32 v6, 0
	s_delay_alu instid0(VALU_DEP_1)
	v_dual_mov_b32 v7, v6 :: v_dual_mov_b32 v8, v6
	v_mov_b32_e32 v9, v6
	scratch_store_b128 off, v[6:9], off offset:144
	s_wait_loadcnt 0x0
	ds_store_b128 v5, v[1:4]
.LBB85_129:
	s_wait_alu 0xfffe
	s_or_b32 exec_lo, exec_lo, s0
	s_wait_storecnt_dscnt 0x0
	s_barrier_signal -1
	s_barrier_wait -1
	global_inv scope:SCOPE_SE
	s_clause 0x7
	scratch_load_b128 v[6:9], off, off offset:160
	scratch_load_b128 v[57:60], off, off offset:176
	;; [unrolled: 1-line block ×8, first 2 shown]
	v_mov_b32_e32 v1, 0
	s_mov_b32 s0, exec_lo
	ds_load_b128 v[85:88], v1 offset:496
	s_clause 0x1
	scratch_load_b128 v[89:92], off, off offset:288
	scratch_load_b128 v[93:96], off, off offset:144
	ds_load_b128 v[97:100], v1 offset:512
	ds_load_b128 v[105:108], v1 offset:544
	s_wait_loadcnt_dscnt 0x902
	v_mul_f64_e32 v[2:3], v[87:88], v[8:9]
	v_mul_f64_e32 v[101:102], v[85:86], v[8:9]
	scratch_load_b128 v[8:11], off, off offset:304
	v_fma_f64 v[2:3], v[85:86], v[6:7], -v[2:3]
	v_fma_f64 v[6:7], v[87:88], v[6:7], v[101:102]
	ds_load_b128 v[85:88], v1 offset:528
	s_wait_loadcnt_dscnt 0x902
	v_mul_f64_e32 v[109:110], v[97:98], v[59:60]
	v_mul_f64_e32 v[59:60], v[99:100], v[59:60]
	scratch_load_b128 v[101:104], off, off offset:320
	s_wait_loadcnt_dscnt 0x900
	v_mul_f64_e32 v[111:112], v[85:86], v[63:64]
	v_mul_f64_e32 v[63:64], v[87:88], v[63:64]
	v_add_f64_e32 v[2:3], 0, v[2:3]
	v_add_f64_e32 v[6:7], 0, v[6:7]
	v_fma_f64 v[99:100], v[99:100], v[57:58], v[109:110]
	v_fma_f64 v[97:98], v[97:98], v[57:58], -v[59:60]
	scratch_load_b128 v[57:60], off, off offset:336
	v_fma_f64 v[111:112], v[87:88], v[61:62], v[111:112]
	v_fma_f64 v[113:114], v[85:86], v[61:62], -v[63:64]
	ds_load_b128 v[61:64], v1 offset:560
	s_wait_loadcnt 0x9
	v_mul_f64_e32 v[109:110], v[105:106], v[67:68]
	v_mul_f64_e32 v[67:68], v[107:108], v[67:68]
	scratch_load_b128 v[85:88], off, off offset:352
	v_add_f64_e32 v[6:7], v[6:7], v[99:100]
	v_add_f64_e32 v[2:3], v[2:3], v[97:98]
	ds_load_b128 v[97:100], v1 offset:576
	s_wait_loadcnt_dscnt 0x901
	v_mul_f64_e32 v[115:116], v[61:62], v[71:72]
	v_mul_f64_e32 v[71:72], v[63:64], v[71:72]
	v_fma_f64 v[107:108], v[107:108], v[65:66], v[109:110]
	v_fma_f64 v[65:66], v[105:106], v[65:66], -v[67:68]
	s_wait_loadcnt_dscnt 0x800
	v_mul_f64_e32 v[105:106], v[97:98], v[75:76]
	v_mul_f64_e32 v[75:76], v[99:100], v[75:76]
	v_add_f64_e32 v[6:7], v[6:7], v[111:112]
	v_add_f64_e32 v[2:3], v[2:3], v[113:114]
	v_fma_f64 v[109:110], v[63:64], v[69:70], v[115:116]
	v_fma_f64 v[69:70], v[61:62], v[69:70], -v[71:72]
	v_fma_f64 v[99:100], v[99:100], v[73:74], v[105:106]
	v_fma_f64 v[73:74], v[97:98], v[73:74], -v[75:76]
	v_add_f64_e32 v[6:7], v[6:7], v[107:108]
	v_add_f64_e32 v[2:3], v[2:3], v[65:66]
	ds_load_b128 v[61:64], v1 offset:592
	ds_load_b128 v[65:68], v1 offset:608
	s_wait_loadcnt_dscnt 0x701
	v_mul_f64_e32 v[71:72], v[61:62], v[79:80]
	v_mul_f64_e32 v[79:80], v[63:64], v[79:80]
	s_wait_loadcnt_dscnt 0x600
	v_mul_f64_e32 v[75:76], v[65:66], v[83:84]
	v_mul_f64_e32 v[83:84], v[67:68], v[83:84]
	v_add_f64_e32 v[6:7], v[6:7], v[109:110]
	v_add_f64_e32 v[2:3], v[2:3], v[69:70]
	v_fma_f64 v[97:98], v[63:64], v[77:78], v[71:72]
	v_fma_f64 v[77:78], v[61:62], v[77:78], -v[79:80]
	ds_load_b128 v[61:64], v1 offset:624
	ds_load_b128 v[69:72], v1 offset:640
	v_fma_f64 v[67:68], v[67:68], v[81:82], v[75:76]
	v_fma_f64 v[65:66], v[65:66], v[81:82], -v[83:84]
	v_add_f64_e32 v[6:7], v[6:7], v[99:100]
	v_add_f64_e32 v[2:3], v[2:3], v[73:74]
	s_wait_loadcnt_dscnt 0x501
	v_mul_f64_e32 v[73:74], v[61:62], v[91:92]
	v_mul_f64_e32 v[79:80], v[63:64], v[91:92]
	s_delay_alu instid0(VALU_DEP_4) | instskip(NEXT) | instid1(VALU_DEP_4)
	v_add_f64_e32 v[6:7], v[6:7], v[97:98]
	v_add_f64_e32 v[2:3], v[2:3], v[77:78]
	s_delay_alu instid0(VALU_DEP_4) | instskip(NEXT) | instid1(VALU_DEP_4)
	v_fma_f64 v[73:74], v[63:64], v[89:90], v[73:74]
	v_fma_f64 v[77:78], v[61:62], v[89:90], -v[79:80]
	s_wait_loadcnt_dscnt 0x300
	v_mul_f64_e32 v[75:76], v[69:70], v[10:11]
	v_mul_f64_e32 v[10:11], v[71:72], v[10:11]
	v_add_f64_e32 v[6:7], v[6:7], v[67:68]
	v_add_f64_e32 v[2:3], v[2:3], v[65:66]
	ds_load_b128 v[61:64], v1 offset:656
	ds_load_b128 v[65:68], v1 offset:672
	v_fma_f64 v[71:72], v[71:72], v[8:9], v[75:76]
	v_fma_f64 v[8:9], v[69:70], v[8:9], -v[10:11]
	s_wait_loadcnt_dscnt 0x201
	v_mul_f64_e32 v[79:80], v[61:62], v[103:104]
	v_mul_f64_e32 v[81:82], v[63:64], v[103:104]
	v_add_f64_e32 v[6:7], v[6:7], v[73:74]
	v_add_f64_e32 v[2:3], v[2:3], v[77:78]
	s_wait_loadcnt_dscnt 0x100
	v_mul_f64_e32 v[10:11], v[65:66], v[59:60]
	v_mul_f64_e32 v[59:60], v[67:68], v[59:60]
	v_fma_f64 v[63:64], v[63:64], v[101:102], v[79:80]
	v_fma_f64 v[61:62], v[61:62], v[101:102], -v[81:82]
	v_add_f64_e32 v[69:70], v[6:7], v[71:72]
	v_add_f64_e32 v[2:3], v[2:3], v[8:9]
	ds_load_b128 v[6:9], v1 offset:688
	v_fma_f64 v[10:11], v[67:68], v[57:58], v[10:11]
	v_fma_f64 v[57:58], v[65:66], v[57:58], -v[59:60]
	s_wait_loadcnt_dscnt 0x0
	v_mul_f64_e32 v[71:72], v[6:7], v[87:88]
	v_mul_f64_e32 v[73:74], v[8:9], v[87:88]
	v_add_f64_e32 v[59:60], v[69:70], v[63:64]
	v_add_f64_e32 v[2:3], v[2:3], v[61:62]
	s_delay_alu instid0(VALU_DEP_4) | instskip(NEXT) | instid1(VALU_DEP_4)
	v_fma_f64 v[8:9], v[8:9], v[85:86], v[71:72]
	v_fma_f64 v[6:7], v[6:7], v[85:86], -v[73:74]
	s_delay_alu instid0(VALU_DEP_4) | instskip(NEXT) | instid1(VALU_DEP_4)
	v_add_f64_e32 v[10:11], v[59:60], v[10:11]
	v_add_f64_e32 v[2:3], v[2:3], v[57:58]
	s_delay_alu instid0(VALU_DEP_2) | instskip(NEXT) | instid1(VALU_DEP_2)
	v_add_f64_e32 v[8:9], v[10:11], v[8:9]
	v_add_f64_e32 v[2:3], v[2:3], v[6:7]
	s_delay_alu instid0(VALU_DEP_2) | instskip(NEXT) | instid1(VALU_DEP_2)
	v_add_f64_e64 v[8:9], v[95:96], -v[8:9]
	v_add_f64_e64 v[6:7], v[93:94], -v[2:3]
	scratch_store_b128 off, v[6:9], off offset:144
	v_cmpx_lt_u32_e32 7, v0
	s_cbranch_execz .LBB85_131
; %bb.130:
	scratch_load_b128 v[6:9], off, s5
	v_dual_mov_b32 v2, v1 :: v_dual_mov_b32 v3, v1
	v_mov_b32_e32 v4, v1
	scratch_store_b128 off, v[1:4], off offset:128
	s_wait_loadcnt 0x0
	ds_store_b128 v5, v[6:9]
.LBB85_131:
	s_wait_alu 0xfffe
	s_or_b32 exec_lo, exec_lo, s0
	s_wait_storecnt_dscnt 0x0
	s_barrier_signal -1
	s_barrier_wait -1
	global_inv scope:SCOPE_SE
	s_clause 0x8
	scratch_load_b128 v[6:9], off, off offset:144
	scratch_load_b128 v[57:60], off, off offset:160
	;; [unrolled: 1-line block ×9, first 2 shown]
	ds_load_b128 v[89:92], v1 offset:480
	ds_load_b128 v[93:96], v1 offset:496
	scratch_load_b128 v[97:100], off, off offset:128
	s_mov_b32 s0, exec_lo
	ds_load_b128 v[105:108], v1 offset:528
	s_wait_loadcnt_dscnt 0x902
	v_mul_f64_e32 v[2:3], v[91:92], v[8:9]
	v_mul_f64_e32 v[101:102], v[89:90], v[8:9]
	scratch_load_b128 v[8:11], off, off offset:288
	s_wait_loadcnt_dscnt 0x901
	v_mul_f64_e32 v[109:110], v[93:94], v[59:60]
	v_mul_f64_e32 v[59:60], v[95:96], v[59:60]
	v_fma_f64 v[2:3], v[89:90], v[6:7], -v[2:3]
	v_fma_f64 v[6:7], v[91:92], v[6:7], v[101:102]
	ds_load_b128 v[89:92], v1 offset:512
	scratch_load_b128 v[101:104], off, off offset:304
	v_fma_f64 v[95:96], v[95:96], v[57:58], v[109:110]
	v_fma_f64 v[93:94], v[93:94], v[57:58], -v[59:60]
	scratch_load_b128 v[57:60], off, off offset:320
	s_wait_loadcnt_dscnt 0x901
	v_mul_f64_e32 v[109:110], v[105:106], v[67:68]
	v_mul_f64_e32 v[67:68], v[107:108], v[67:68]
	s_wait_dscnt 0x0
	v_mul_f64_e32 v[111:112], v[89:90], v[63:64]
	v_mul_f64_e32 v[63:64], v[91:92], v[63:64]
	v_add_f64_e32 v[2:3], 0, v[2:3]
	v_add_f64_e32 v[6:7], 0, v[6:7]
	v_fma_f64 v[107:108], v[107:108], v[65:66], v[109:110]
	v_fma_f64 v[105:106], v[105:106], v[65:66], -v[67:68]
	scratch_load_b128 v[65:68], off, off offset:352
	v_fma_f64 v[111:112], v[91:92], v[61:62], v[111:112]
	v_fma_f64 v[113:114], v[89:90], v[61:62], -v[63:64]
	ds_load_b128 v[61:64], v1 offset:544
	scratch_load_b128 v[89:92], off, off offset:336
	v_add_f64_e32 v[2:3], v[2:3], v[93:94]
	v_add_f64_e32 v[6:7], v[6:7], v[95:96]
	ds_load_b128 v[93:96], v1 offset:560
	s_wait_loadcnt_dscnt 0xa01
	v_mul_f64_e32 v[115:116], v[61:62], v[71:72]
	v_mul_f64_e32 v[71:72], v[63:64], v[71:72]
	s_wait_loadcnt_dscnt 0x900
	v_mul_f64_e32 v[109:110], v[93:94], v[75:76]
	v_mul_f64_e32 v[75:76], v[95:96], v[75:76]
	v_add_f64_e32 v[2:3], v[2:3], v[113:114]
	v_add_f64_e32 v[6:7], v[6:7], v[111:112]
	v_fma_f64 v[111:112], v[63:64], v[69:70], v[115:116]
	v_fma_f64 v[113:114], v[61:62], v[69:70], -v[71:72]
	ds_load_b128 v[61:64], v1 offset:576
	ds_load_b128 v[69:72], v1 offset:592
	v_fma_f64 v[95:96], v[95:96], v[73:74], v[109:110]
	v_fma_f64 v[73:74], v[93:94], v[73:74], -v[75:76]
	s_wait_loadcnt_dscnt 0x700
	v_mul_f64_e32 v[93:94], v[69:70], v[83:84]
	v_mul_f64_e32 v[83:84], v[71:72], v[83:84]
	v_add_f64_e32 v[2:3], v[2:3], v[105:106]
	v_add_f64_e32 v[6:7], v[6:7], v[107:108]
	v_mul_f64_e32 v[105:106], v[61:62], v[79:80]
	v_mul_f64_e32 v[79:80], v[63:64], v[79:80]
	v_fma_f64 v[71:72], v[71:72], v[81:82], v[93:94]
	v_fma_f64 v[69:70], v[69:70], v[81:82], -v[83:84]
	v_add_f64_e32 v[2:3], v[2:3], v[113:114]
	v_add_f64_e32 v[6:7], v[6:7], v[111:112]
	v_fma_f64 v[105:106], v[63:64], v[77:78], v[105:106]
	v_fma_f64 v[77:78], v[61:62], v[77:78], -v[79:80]
	s_delay_alu instid0(VALU_DEP_4) | instskip(NEXT) | instid1(VALU_DEP_4)
	v_add_f64_e32 v[2:3], v[2:3], v[73:74]
	v_add_f64_e32 v[6:7], v[6:7], v[95:96]
	ds_load_b128 v[61:64], v1 offset:608
	ds_load_b128 v[73:76], v1 offset:624
	s_wait_loadcnt_dscnt 0x601
	v_mul_f64_e32 v[79:80], v[61:62], v[87:88]
	v_mul_f64_e32 v[87:88], v[63:64], v[87:88]
	v_add_f64_e32 v[2:3], v[2:3], v[77:78]
	v_add_f64_e32 v[6:7], v[6:7], v[105:106]
	s_wait_loadcnt_dscnt 0x400
	v_mul_f64_e32 v[77:78], v[73:74], v[10:11]
	v_mul_f64_e32 v[10:11], v[75:76], v[10:11]
	v_fma_f64 v[79:80], v[63:64], v[85:86], v[79:80]
	v_fma_f64 v[81:82], v[61:62], v[85:86], -v[87:88]
	v_add_f64_e32 v[2:3], v[2:3], v[69:70]
	v_add_f64_e32 v[6:7], v[6:7], v[71:72]
	ds_load_b128 v[61:64], v1 offset:640
	ds_load_b128 v[69:72], v1 offset:656
	v_fma_f64 v[75:76], v[75:76], v[8:9], v[77:78]
	v_fma_f64 v[8:9], v[73:74], v[8:9], -v[10:11]
	s_wait_loadcnt_dscnt 0x301
	v_mul_f64_e32 v[83:84], v[61:62], v[103:104]
	v_mul_f64_e32 v[85:86], v[63:64], v[103:104]
	s_wait_loadcnt_dscnt 0x200
	v_mul_f64_e32 v[10:11], v[69:70], v[59:60]
	v_mul_f64_e32 v[59:60], v[71:72], v[59:60]
	v_add_f64_e32 v[2:3], v[2:3], v[81:82]
	v_add_f64_e32 v[6:7], v[6:7], v[79:80]
	v_fma_f64 v[63:64], v[63:64], v[101:102], v[83:84]
	v_fma_f64 v[61:62], v[61:62], v[101:102], -v[85:86]
	v_fma_f64 v[10:11], v[71:72], v[57:58], v[10:11]
	v_fma_f64 v[57:58], v[69:70], v[57:58], -v[59:60]
	v_add_f64_e32 v[73:74], v[2:3], v[8:9]
	v_add_f64_e32 v[75:76], v[6:7], v[75:76]
	ds_load_b128 v[6:9], v1 offset:672
	ds_load_b128 v[1:4], v1 offset:688
	s_wait_loadcnt_dscnt 0x1
	v_mul_f64_e32 v[77:78], v[6:7], v[91:92]
	v_mul_f64_e32 v[79:80], v[8:9], v[91:92]
	v_add_f64_e32 v[59:60], v[73:74], v[61:62]
	v_add_f64_e32 v[61:62], v[75:76], v[63:64]
	s_wait_dscnt 0x0
	v_mul_f64_e32 v[63:64], v[1:2], v[67:68]
	v_mul_f64_e32 v[67:68], v[3:4], v[67:68]
	v_fma_f64 v[8:9], v[8:9], v[89:90], v[77:78]
	v_fma_f64 v[6:7], v[6:7], v[89:90], -v[79:80]
	v_add_f64_e32 v[57:58], v[59:60], v[57:58]
	v_add_f64_e32 v[10:11], v[61:62], v[10:11]
	v_fma_f64 v[3:4], v[3:4], v[65:66], v[63:64]
	v_fma_f64 v[1:2], v[1:2], v[65:66], -v[67:68]
	s_delay_alu instid0(VALU_DEP_4) | instskip(NEXT) | instid1(VALU_DEP_4)
	v_add_f64_e32 v[6:7], v[57:58], v[6:7]
	v_add_f64_e32 v[8:9], v[10:11], v[8:9]
	s_delay_alu instid0(VALU_DEP_2) | instskip(NEXT) | instid1(VALU_DEP_2)
	v_add_f64_e32 v[1:2], v[6:7], v[1:2]
	v_add_f64_e32 v[3:4], v[8:9], v[3:4]
	s_delay_alu instid0(VALU_DEP_2) | instskip(NEXT) | instid1(VALU_DEP_2)
	v_add_f64_e64 v[1:2], v[97:98], -v[1:2]
	v_add_f64_e64 v[3:4], v[99:100], -v[3:4]
	scratch_store_b128 off, v[1:4], off offset:128
	v_cmpx_lt_u32_e32 6, v0
	s_cbranch_execz .LBB85_133
; %bb.132:
	scratch_load_b128 v[1:4], off, s20
	v_mov_b32_e32 v6, 0
	s_delay_alu instid0(VALU_DEP_1)
	v_dual_mov_b32 v7, v6 :: v_dual_mov_b32 v8, v6
	v_mov_b32_e32 v9, v6
	scratch_store_b128 off, v[6:9], off offset:112
	s_wait_loadcnt 0x0
	ds_store_b128 v5, v[1:4]
.LBB85_133:
	s_wait_alu 0xfffe
	s_or_b32 exec_lo, exec_lo, s0
	s_wait_storecnt_dscnt 0x0
	s_barrier_signal -1
	s_barrier_wait -1
	global_inv scope:SCOPE_SE
	s_clause 0x7
	scratch_load_b128 v[6:9], off, off offset:128
	scratch_load_b128 v[57:60], off, off offset:144
	;; [unrolled: 1-line block ×8, first 2 shown]
	v_mov_b32_e32 v1, 0
	s_mov_b32 s0, exec_lo
	ds_load_b128 v[85:88], v1 offset:464
	s_clause 0x1
	scratch_load_b128 v[89:92], off, off offset:256
	scratch_load_b128 v[93:96], off, off offset:112
	ds_load_b128 v[97:100], v1 offset:480
	ds_load_b128 v[105:108], v1 offset:512
	s_wait_loadcnt_dscnt 0x902
	v_mul_f64_e32 v[2:3], v[87:88], v[8:9]
	v_mul_f64_e32 v[101:102], v[85:86], v[8:9]
	scratch_load_b128 v[8:11], off, off offset:272
	v_fma_f64 v[2:3], v[85:86], v[6:7], -v[2:3]
	v_fma_f64 v[6:7], v[87:88], v[6:7], v[101:102]
	ds_load_b128 v[85:88], v1 offset:496
	s_wait_loadcnt_dscnt 0x902
	v_mul_f64_e32 v[109:110], v[97:98], v[59:60]
	v_mul_f64_e32 v[59:60], v[99:100], v[59:60]
	scratch_load_b128 v[101:104], off, off offset:288
	s_wait_loadcnt_dscnt 0x900
	v_mul_f64_e32 v[111:112], v[85:86], v[63:64]
	v_mul_f64_e32 v[63:64], v[87:88], v[63:64]
	v_add_f64_e32 v[2:3], 0, v[2:3]
	v_add_f64_e32 v[6:7], 0, v[6:7]
	v_fma_f64 v[99:100], v[99:100], v[57:58], v[109:110]
	v_fma_f64 v[97:98], v[97:98], v[57:58], -v[59:60]
	scratch_load_b128 v[57:60], off, off offset:304
	v_fma_f64 v[111:112], v[87:88], v[61:62], v[111:112]
	v_fma_f64 v[113:114], v[85:86], v[61:62], -v[63:64]
	ds_load_b128 v[61:64], v1 offset:528
	s_wait_loadcnt 0x9
	v_mul_f64_e32 v[109:110], v[105:106], v[67:68]
	v_mul_f64_e32 v[67:68], v[107:108], v[67:68]
	scratch_load_b128 v[85:88], off, off offset:320
	v_add_f64_e32 v[6:7], v[6:7], v[99:100]
	v_add_f64_e32 v[2:3], v[2:3], v[97:98]
	ds_load_b128 v[97:100], v1 offset:544
	s_wait_loadcnt_dscnt 0x901
	v_mul_f64_e32 v[115:116], v[61:62], v[71:72]
	v_mul_f64_e32 v[71:72], v[63:64], v[71:72]
	v_fma_f64 v[107:108], v[107:108], v[65:66], v[109:110]
	v_fma_f64 v[105:106], v[105:106], v[65:66], -v[67:68]
	scratch_load_b128 v[65:68], off, off offset:336
	v_add_f64_e32 v[6:7], v[6:7], v[111:112]
	v_add_f64_e32 v[2:3], v[2:3], v[113:114]
	v_fma_f64 v[111:112], v[63:64], v[69:70], v[115:116]
	v_fma_f64 v[113:114], v[61:62], v[69:70], -v[71:72]
	ds_load_b128 v[61:64], v1 offset:560
	s_wait_loadcnt_dscnt 0x901
	v_mul_f64_e32 v[109:110], v[97:98], v[75:76]
	v_mul_f64_e32 v[75:76], v[99:100], v[75:76]
	scratch_load_b128 v[69:72], off, off offset:352
	s_wait_loadcnt_dscnt 0x900
	v_mul_f64_e32 v[115:116], v[61:62], v[79:80]
	v_mul_f64_e32 v[79:80], v[63:64], v[79:80]
	v_add_f64_e32 v[6:7], v[6:7], v[107:108]
	v_add_f64_e32 v[2:3], v[2:3], v[105:106]
	ds_load_b128 v[105:108], v1 offset:576
	v_fma_f64 v[99:100], v[99:100], v[73:74], v[109:110]
	v_fma_f64 v[73:74], v[97:98], v[73:74], -v[75:76]
	s_wait_loadcnt_dscnt 0x800
	v_mul_f64_e32 v[97:98], v[105:106], v[83:84]
	v_mul_f64_e32 v[83:84], v[107:108], v[83:84]
	v_fma_f64 v[109:110], v[63:64], v[77:78], v[115:116]
	v_fma_f64 v[77:78], v[61:62], v[77:78], -v[79:80]
	v_add_f64_e32 v[6:7], v[6:7], v[111:112]
	v_add_f64_e32 v[2:3], v[2:3], v[113:114]
	v_fma_f64 v[97:98], v[107:108], v[81:82], v[97:98]
	v_fma_f64 v[81:82], v[105:106], v[81:82], -v[83:84]
	s_delay_alu instid0(VALU_DEP_4) | instskip(NEXT) | instid1(VALU_DEP_4)
	v_add_f64_e32 v[6:7], v[6:7], v[99:100]
	v_add_f64_e32 v[2:3], v[2:3], v[73:74]
	ds_load_b128 v[61:64], v1 offset:592
	ds_load_b128 v[73:76], v1 offset:608
	s_wait_loadcnt_dscnt 0x701
	v_mul_f64_e32 v[79:80], v[61:62], v[91:92]
	v_mul_f64_e32 v[91:92], v[63:64], v[91:92]
	v_add_f64_e32 v[6:7], v[6:7], v[109:110]
	v_add_f64_e32 v[2:3], v[2:3], v[77:78]
	s_wait_loadcnt_dscnt 0x500
	v_mul_f64_e32 v[83:84], v[73:74], v[10:11]
	v_mul_f64_e32 v[10:11], v[75:76], v[10:11]
	v_fma_f64 v[99:100], v[63:64], v[89:90], v[79:80]
	v_fma_f64 v[89:90], v[61:62], v[89:90], -v[91:92]
	ds_load_b128 v[61:64], v1 offset:624
	ds_load_b128 v[77:80], v1 offset:640
	v_add_f64_e32 v[6:7], v[6:7], v[97:98]
	v_add_f64_e32 v[2:3], v[2:3], v[81:82]
	v_fma_f64 v[75:76], v[75:76], v[8:9], v[83:84]
	v_fma_f64 v[8:9], v[73:74], v[8:9], -v[10:11]
	s_wait_loadcnt_dscnt 0x401
	v_mul_f64_e32 v[81:82], v[61:62], v[103:104]
	v_mul_f64_e32 v[91:92], v[63:64], v[103:104]
	v_add_f64_e32 v[6:7], v[6:7], v[99:100]
	v_add_f64_e32 v[2:3], v[2:3], v[89:90]
	s_wait_loadcnt_dscnt 0x300
	v_mul_f64_e32 v[10:11], v[77:78], v[59:60]
	v_mul_f64_e32 v[73:74], v[79:80], v[59:60]
	v_fma_f64 v[63:64], v[63:64], v[101:102], v[81:82]
	v_fma_f64 v[81:82], v[61:62], v[101:102], -v[91:92]
	v_add_f64_e32 v[75:76], v[6:7], v[75:76]
	v_add_f64_e32 v[2:3], v[2:3], v[8:9]
	ds_load_b128 v[6:9], v1 offset:656
	ds_load_b128 v[59:62], v1 offset:672
	v_fma_f64 v[10:11], v[79:80], v[57:58], v[10:11]
	v_fma_f64 v[57:58], v[77:78], v[57:58], -v[73:74]
	s_wait_loadcnt_dscnt 0x201
	v_mul_f64_e32 v[83:84], v[6:7], v[87:88]
	v_mul_f64_e32 v[87:88], v[8:9], v[87:88]
	v_add_f64_e32 v[63:64], v[75:76], v[63:64]
	v_add_f64_e32 v[2:3], v[2:3], v[81:82]
	s_wait_loadcnt_dscnt 0x100
	v_mul_f64_e32 v[73:74], v[59:60], v[67:68]
	v_mul_f64_e32 v[67:68], v[61:62], v[67:68]
	v_fma_f64 v[75:76], v[8:9], v[85:86], v[83:84]
	v_fma_f64 v[77:78], v[6:7], v[85:86], -v[87:88]
	ds_load_b128 v[6:9], v1 offset:688
	v_add_f64_e32 v[10:11], v[63:64], v[10:11]
	v_add_f64_e32 v[2:3], v[2:3], v[57:58]
	v_fma_f64 v[61:62], v[61:62], v[65:66], v[73:74]
	v_fma_f64 v[59:60], v[59:60], v[65:66], -v[67:68]
	s_wait_loadcnt_dscnt 0x0
	v_mul_f64_e32 v[57:58], v[6:7], v[71:72]
	v_mul_f64_e32 v[63:64], v[8:9], v[71:72]
	v_add_f64_e32 v[10:11], v[10:11], v[75:76]
	v_add_f64_e32 v[2:3], v[2:3], v[77:78]
	s_delay_alu instid0(VALU_DEP_4) | instskip(NEXT) | instid1(VALU_DEP_4)
	v_fma_f64 v[8:9], v[8:9], v[69:70], v[57:58]
	v_fma_f64 v[6:7], v[6:7], v[69:70], -v[63:64]
	s_delay_alu instid0(VALU_DEP_4) | instskip(NEXT) | instid1(VALU_DEP_4)
	v_add_f64_e32 v[10:11], v[10:11], v[61:62]
	v_add_f64_e32 v[2:3], v[2:3], v[59:60]
	s_delay_alu instid0(VALU_DEP_2) | instskip(NEXT) | instid1(VALU_DEP_2)
	v_add_f64_e32 v[8:9], v[10:11], v[8:9]
	v_add_f64_e32 v[2:3], v[2:3], v[6:7]
	s_delay_alu instid0(VALU_DEP_2) | instskip(NEXT) | instid1(VALU_DEP_2)
	v_add_f64_e64 v[8:9], v[95:96], -v[8:9]
	v_add_f64_e64 v[6:7], v[93:94], -v[2:3]
	scratch_store_b128 off, v[6:9], off offset:112
	v_cmpx_lt_u32_e32 5, v0
	s_cbranch_execz .LBB85_135
; %bb.134:
	scratch_load_b128 v[6:9], off, s4
	v_dual_mov_b32 v2, v1 :: v_dual_mov_b32 v3, v1
	v_mov_b32_e32 v4, v1
	scratch_store_b128 off, v[1:4], off offset:96
	s_wait_loadcnt 0x0
	ds_store_b128 v5, v[6:9]
.LBB85_135:
	s_wait_alu 0xfffe
	s_or_b32 exec_lo, exec_lo, s0
	s_wait_storecnt_dscnt 0x0
	s_barrier_signal -1
	s_barrier_wait -1
	global_inv scope:SCOPE_SE
	s_clause 0x8
	scratch_load_b128 v[6:9], off, off offset:112
	scratch_load_b128 v[57:60], off, off offset:128
	;; [unrolled: 1-line block ×9, first 2 shown]
	ds_load_b128 v[89:92], v1 offset:448
	ds_load_b128 v[93:96], v1 offset:464
	scratch_load_b128 v[97:100], off, off offset:96
	s_mov_b32 s0, exec_lo
	ds_load_b128 v[105:108], v1 offset:496
	s_wait_loadcnt_dscnt 0x902
	v_mul_f64_e32 v[2:3], v[91:92], v[8:9]
	v_mul_f64_e32 v[101:102], v[89:90], v[8:9]
	scratch_load_b128 v[8:11], off, off offset:256
	s_wait_loadcnt_dscnt 0x901
	v_mul_f64_e32 v[109:110], v[93:94], v[59:60]
	v_mul_f64_e32 v[59:60], v[95:96], v[59:60]
	v_fma_f64 v[2:3], v[89:90], v[6:7], -v[2:3]
	v_fma_f64 v[6:7], v[91:92], v[6:7], v[101:102]
	ds_load_b128 v[89:92], v1 offset:480
	scratch_load_b128 v[101:104], off, off offset:272
	v_fma_f64 v[95:96], v[95:96], v[57:58], v[109:110]
	v_fma_f64 v[93:94], v[93:94], v[57:58], -v[59:60]
	scratch_load_b128 v[57:60], off, off offset:288
	s_wait_loadcnt_dscnt 0x901
	v_mul_f64_e32 v[109:110], v[105:106], v[67:68]
	v_mul_f64_e32 v[67:68], v[107:108], v[67:68]
	s_wait_dscnt 0x0
	v_mul_f64_e32 v[111:112], v[89:90], v[63:64]
	v_mul_f64_e32 v[63:64], v[91:92], v[63:64]
	v_add_f64_e32 v[2:3], 0, v[2:3]
	v_add_f64_e32 v[6:7], 0, v[6:7]
	v_fma_f64 v[107:108], v[107:108], v[65:66], v[109:110]
	v_fma_f64 v[105:106], v[105:106], v[65:66], -v[67:68]
	scratch_load_b128 v[65:68], off, off offset:320
	v_fma_f64 v[111:112], v[91:92], v[61:62], v[111:112]
	v_fma_f64 v[113:114], v[89:90], v[61:62], -v[63:64]
	ds_load_b128 v[61:64], v1 offset:512
	scratch_load_b128 v[89:92], off, off offset:304
	v_add_f64_e32 v[2:3], v[2:3], v[93:94]
	v_add_f64_e32 v[6:7], v[6:7], v[95:96]
	ds_load_b128 v[93:96], v1 offset:528
	s_wait_loadcnt_dscnt 0xa01
	v_mul_f64_e32 v[115:116], v[61:62], v[71:72]
	v_mul_f64_e32 v[71:72], v[63:64], v[71:72]
	s_wait_loadcnt_dscnt 0x900
	v_mul_f64_e32 v[109:110], v[93:94], v[75:76]
	v_mul_f64_e32 v[75:76], v[95:96], v[75:76]
	v_add_f64_e32 v[2:3], v[2:3], v[113:114]
	v_add_f64_e32 v[6:7], v[6:7], v[111:112]
	v_fma_f64 v[111:112], v[63:64], v[69:70], v[115:116]
	v_fma_f64 v[113:114], v[61:62], v[69:70], -v[71:72]
	ds_load_b128 v[61:64], v1 offset:544
	scratch_load_b128 v[69:72], off, off offset:336
	v_fma_f64 v[95:96], v[95:96], v[73:74], v[109:110]
	v_fma_f64 v[93:94], v[93:94], v[73:74], -v[75:76]
	scratch_load_b128 v[73:76], off, off offset:352
	v_add_f64_e32 v[2:3], v[2:3], v[105:106]
	v_add_f64_e32 v[6:7], v[6:7], v[107:108]
	ds_load_b128 v[105:108], v1 offset:560
	s_wait_loadcnt_dscnt 0xa01
	v_mul_f64_e32 v[115:116], v[61:62], v[79:80]
	v_mul_f64_e32 v[79:80], v[63:64], v[79:80]
	s_wait_loadcnt_dscnt 0x900
	v_mul_f64_e32 v[109:110], v[105:106], v[83:84]
	v_mul_f64_e32 v[83:84], v[107:108], v[83:84]
	v_add_f64_e32 v[2:3], v[2:3], v[113:114]
	v_add_f64_e32 v[6:7], v[6:7], v[111:112]
	v_fma_f64 v[111:112], v[63:64], v[77:78], v[115:116]
	v_fma_f64 v[113:114], v[61:62], v[77:78], -v[79:80]
	ds_load_b128 v[61:64], v1 offset:576
	ds_load_b128 v[77:80], v1 offset:592
	v_add_f64_e32 v[2:3], v[2:3], v[93:94]
	v_add_f64_e32 v[6:7], v[6:7], v[95:96]
	s_wait_loadcnt_dscnt 0x801
	v_mul_f64_e32 v[93:94], v[61:62], v[87:88]
	v_mul_f64_e32 v[87:88], v[63:64], v[87:88]
	v_fma_f64 v[95:96], v[107:108], v[81:82], v[109:110]
	v_fma_f64 v[81:82], v[105:106], v[81:82], -v[83:84]
	v_add_f64_e32 v[2:3], v[2:3], v[113:114]
	v_add_f64_e32 v[6:7], v[6:7], v[111:112]
	v_fma_f64 v[93:94], v[63:64], v[85:86], v[93:94]
	v_fma_f64 v[85:86], v[61:62], v[85:86], -v[87:88]
	s_wait_loadcnt_dscnt 0x600
	v_mul_f64_e32 v[105:106], v[77:78], v[10:11]
	v_mul_f64_e32 v[10:11], v[79:80], v[10:11]
	v_add_f64_e32 v[2:3], v[2:3], v[81:82]
	v_add_f64_e32 v[6:7], v[6:7], v[95:96]
	ds_load_b128 v[61:64], v1 offset:608
	ds_load_b128 v[81:84], v1 offset:624
	v_fma_f64 v[79:80], v[79:80], v[8:9], v[105:106]
	v_fma_f64 v[8:9], v[77:78], v[8:9], -v[10:11]
	s_wait_loadcnt_dscnt 0x501
	v_mul_f64_e32 v[87:88], v[61:62], v[103:104]
	v_mul_f64_e32 v[95:96], v[63:64], v[103:104]
	s_wait_loadcnt_dscnt 0x400
	v_mul_f64_e32 v[10:11], v[81:82], v[59:60]
	v_mul_f64_e32 v[77:78], v[83:84], v[59:60]
	v_add_f64_e32 v[2:3], v[2:3], v[85:86]
	v_add_f64_e32 v[6:7], v[6:7], v[93:94]
	v_fma_f64 v[63:64], v[63:64], v[101:102], v[87:88]
	v_fma_f64 v[85:86], v[61:62], v[101:102], -v[95:96]
	v_fma_f64 v[10:11], v[83:84], v[57:58], v[10:11]
	v_fma_f64 v[57:58], v[81:82], v[57:58], -v[77:78]
	v_add_f64_e32 v[2:3], v[2:3], v[8:9]
	v_add_f64_e32 v[79:80], v[6:7], v[79:80]
	ds_load_b128 v[6:9], v1 offset:640
	ds_load_b128 v[59:62], v1 offset:656
	s_wait_loadcnt_dscnt 0x201
	v_mul_f64_e32 v[87:88], v[6:7], v[91:92]
	v_mul_f64_e32 v[91:92], v[8:9], v[91:92]
	s_wait_dscnt 0x0
	v_mul_f64_e32 v[77:78], v[59:60], v[67:68]
	v_mul_f64_e32 v[67:68], v[61:62], v[67:68]
	v_add_f64_e32 v[2:3], v[2:3], v[85:86]
	v_add_f64_e32 v[63:64], v[79:80], v[63:64]
	v_fma_f64 v[79:80], v[8:9], v[89:90], v[87:88]
	v_fma_f64 v[81:82], v[6:7], v[89:90], -v[91:92]
	v_fma_f64 v[61:62], v[61:62], v[65:66], v[77:78]
	v_fma_f64 v[59:60], v[59:60], v[65:66], -v[67:68]
	v_add_f64_e32 v[57:58], v[2:3], v[57:58]
	v_add_f64_e32 v[10:11], v[63:64], v[10:11]
	ds_load_b128 v[6:9], v1 offset:672
	ds_load_b128 v[1:4], v1 offset:688
	s_wait_loadcnt_dscnt 0x101
	v_mul_f64_e32 v[63:64], v[6:7], v[71:72]
	v_mul_f64_e32 v[71:72], v[8:9], v[71:72]
	s_wait_loadcnt_dscnt 0x0
	v_mul_f64_e32 v[65:66], v[1:2], v[75:76]
	v_mul_f64_e32 v[67:68], v[3:4], v[75:76]
	v_add_f64_e32 v[57:58], v[57:58], v[81:82]
	v_add_f64_e32 v[10:11], v[10:11], v[79:80]
	v_fma_f64 v[8:9], v[8:9], v[69:70], v[63:64]
	v_fma_f64 v[6:7], v[6:7], v[69:70], -v[71:72]
	v_fma_f64 v[3:4], v[3:4], v[73:74], v[65:66]
	v_fma_f64 v[1:2], v[1:2], v[73:74], -v[67:68]
	v_add_f64_e32 v[57:58], v[57:58], v[59:60]
	v_add_f64_e32 v[10:11], v[10:11], v[61:62]
	s_delay_alu instid0(VALU_DEP_2) | instskip(NEXT) | instid1(VALU_DEP_2)
	v_add_f64_e32 v[6:7], v[57:58], v[6:7]
	v_add_f64_e32 v[8:9], v[10:11], v[8:9]
	s_delay_alu instid0(VALU_DEP_2) | instskip(NEXT) | instid1(VALU_DEP_2)
	v_add_f64_e32 v[1:2], v[6:7], v[1:2]
	v_add_f64_e32 v[3:4], v[8:9], v[3:4]
	s_delay_alu instid0(VALU_DEP_2) | instskip(NEXT) | instid1(VALU_DEP_2)
	v_add_f64_e64 v[1:2], v[97:98], -v[1:2]
	v_add_f64_e64 v[3:4], v[99:100], -v[3:4]
	scratch_store_b128 off, v[1:4], off offset:96
	v_cmpx_lt_u32_e32 4, v0
	s_cbranch_execz .LBB85_137
; %bb.136:
	scratch_load_b128 v[1:4], off, s19
	v_mov_b32_e32 v6, 0
	s_delay_alu instid0(VALU_DEP_1)
	v_dual_mov_b32 v7, v6 :: v_dual_mov_b32 v8, v6
	v_mov_b32_e32 v9, v6
	scratch_store_b128 off, v[6:9], off offset:80
	s_wait_loadcnt 0x0
	ds_store_b128 v5, v[1:4]
.LBB85_137:
	s_wait_alu 0xfffe
	s_or_b32 exec_lo, exec_lo, s0
	s_wait_storecnt_dscnt 0x0
	s_barrier_signal -1
	s_barrier_wait -1
	global_inv scope:SCOPE_SE
	s_clause 0x7
	scratch_load_b128 v[6:9], off, off offset:96
	scratch_load_b128 v[57:60], off, off offset:112
	scratch_load_b128 v[61:64], off, off offset:128
	scratch_load_b128 v[65:68], off, off offset:144
	scratch_load_b128 v[69:72], off, off offset:160
	scratch_load_b128 v[73:76], off, off offset:176
	scratch_load_b128 v[77:80], off, off offset:192
	scratch_load_b128 v[81:84], off, off offset:208
	v_mov_b32_e32 v1, 0
	s_mov_b32 s0, exec_lo
	ds_load_b128 v[85:88], v1 offset:432
	s_clause 0x1
	scratch_load_b128 v[89:92], off, off offset:224
	scratch_load_b128 v[93:96], off, off offset:80
	ds_load_b128 v[97:100], v1 offset:448
	ds_load_b128 v[105:108], v1 offset:480
	s_wait_loadcnt_dscnt 0x902
	v_mul_f64_e32 v[2:3], v[87:88], v[8:9]
	v_mul_f64_e32 v[101:102], v[85:86], v[8:9]
	scratch_load_b128 v[8:11], off, off offset:240
	v_fma_f64 v[2:3], v[85:86], v[6:7], -v[2:3]
	v_fma_f64 v[6:7], v[87:88], v[6:7], v[101:102]
	ds_load_b128 v[85:88], v1 offset:464
	s_wait_loadcnt_dscnt 0x902
	v_mul_f64_e32 v[109:110], v[97:98], v[59:60]
	v_mul_f64_e32 v[59:60], v[99:100], v[59:60]
	scratch_load_b128 v[101:104], off, off offset:256
	s_wait_loadcnt_dscnt 0x900
	v_mul_f64_e32 v[111:112], v[85:86], v[63:64]
	v_mul_f64_e32 v[63:64], v[87:88], v[63:64]
	v_add_f64_e32 v[2:3], 0, v[2:3]
	v_add_f64_e32 v[6:7], 0, v[6:7]
	v_fma_f64 v[99:100], v[99:100], v[57:58], v[109:110]
	v_fma_f64 v[97:98], v[97:98], v[57:58], -v[59:60]
	scratch_load_b128 v[57:60], off, off offset:272
	v_fma_f64 v[111:112], v[87:88], v[61:62], v[111:112]
	v_fma_f64 v[113:114], v[85:86], v[61:62], -v[63:64]
	ds_load_b128 v[61:64], v1 offset:496
	s_wait_loadcnt 0x9
	v_mul_f64_e32 v[109:110], v[105:106], v[67:68]
	v_mul_f64_e32 v[67:68], v[107:108], v[67:68]
	scratch_load_b128 v[85:88], off, off offset:288
	v_add_f64_e32 v[6:7], v[6:7], v[99:100]
	v_add_f64_e32 v[2:3], v[2:3], v[97:98]
	ds_load_b128 v[97:100], v1 offset:512
	s_wait_loadcnt_dscnt 0x901
	v_mul_f64_e32 v[115:116], v[61:62], v[71:72]
	v_mul_f64_e32 v[71:72], v[63:64], v[71:72]
	v_fma_f64 v[107:108], v[107:108], v[65:66], v[109:110]
	v_fma_f64 v[105:106], v[105:106], v[65:66], -v[67:68]
	scratch_load_b128 v[65:68], off, off offset:304
	v_add_f64_e32 v[6:7], v[6:7], v[111:112]
	v_add_f64_e32 v[2:3], v[2:3], v[113:114]
	v_fma_f64 v[111:112], v[63:64], v[69:70], v[115:116]
	v_fma_f64 v[113:114], v[61:62], v[69:70], -v[71:72]
	ds_load_b128 v[61:64], v1 offset:528
	s_wait_loadcnt_dscnt 0x901
	v_mul_f64_e32 v[109:110], v[97:98], v[75:76]
	v_mul_f64_e32 v[75:76], v[99:100], v[75:76]
	scratch_load_b128 v[69:72], off, off offset:320
	s_wait_loadcnt_dscnt 0x900
	v_mul_f64_e32 v[115:116], v[61:62], v[79:80]
	v_mul_f64_e32 v[79:80], v[63:64], v[79:80]
	v_add_f64_e32 v[6:7], v[6:7], v[107:108]
	v_add_f64_e32 v[2:3], v[2:3], v[105:106]
	ds_load_b128 v[105:108], v1 offset:544
	v_fma_f64 v[99:100], v[99:100], v[73:74], v[109:110]
	v_fma_f64 v[97:98], v[97:98], v[73:74], -v[75:76]
	scratch_load_b128 v[73:76], off, off offset:336
	v_add_f64_e32 v[6:7], v[6:7], v[111:112]
	v_add_f64_e32 v[2:3], v[2:3], v[113:114]
	v_fma_f64 v[111:112], v[63:64], v[77:78], v[115:116]
	v_fma_f64 v[113:114], v[61:62], v[77:78], -v[79:80]
	ds_load_b128 v[61:64], v1 offset:560
	s_wait_loadcnt_dscnt 0x901
	v_mul_f64_e32 v[109:110], v[105:106], v[83:84]
	v_mul_f64_e32 v[83:84], v[107:108], v[83:84]
	scratch_load_b128 v[77:80], off, off offset:352
	s_wait_loadcnt_dscnt 0x900
	v_mul_f64_e32 v[115:116], v[61:62], v[91:92]
	v_mul_f64_e32 v[91:92], v[63:64], v[91:92]
	v_add_f64_e32 v[6:7], v[6:7], v[99:100]
	v_add_f64_e32 v[2:3], v[2:3], v[97:98]
	ds_load_b128 v[97:100], v1 offset:576
	v_fma_f64 v[107:108], v[107:108], v[81:82], v[109:110]
	v_fma_f64 v[81:82], v[105:106], v[81:82], -v[83:84]
	v_fma_f64 v[109:110], v[63:64], v[89:90], v[115:116]
	v_fma_f64 v[89:90], v[61:62], v[89:90], -v[91:92]
	v_add_f64_e32 v[6:7], v[6:7], v[111:112]
	v_add_f64_e32 v[2:3], v[2:3], v[113:114]
	s_wait_loadcnt_dscnt 0x700
	v_mul_f64_e32 v[105:106], v[97:98], v[10:11]
	v_mul_f64_e32 v[10:11], v[99:100], v[10:11]
	s_delay_alu instid0(VALU_DEP_4) | instskip(NEXT) | instid1(VALU_DEP_4)
	v_add_f64_e32 v[6:7], v[6:7], v[107:108]
	v_add_f64_e32 v[2:3], v[2:3], v[81:82]
	ds_load_b128 v[61:64], v1 offset:592
	ds_load_b128 v[81:84], v1 offset:608
	v_fma_f64 v[99:100], v[99:100], v[8:9], v[105:106]
	v_fma_f64 v[8:9], v[97:98], v[8:9], -v[10:11]
	s_wait_loadcnt_dscnt 0x601
	v_mul_f64_e32 v[91:92], v[61:62], v[103:104]
	v_mul_f64_e32 v[103:104], v[63:64], v[103:104]
	v_add_f64_e32 v[6:7], v[6:7], v[109:110]
	v_add_f64_e32 v[2:3], v[2:3], v[89:90]
	s_wait_loadcnt_dscnt 0x500
	v_mul_f64_e32 v[10:11], v[81:82], v[59:60]
	v_mul_f64_e32 v[89:90], v[83:84], v[59:60]
	v_fma_f64 v[63:64], v[63:64], v[101:102], v[91:92]
	v_fma_f64 v[91:92], v[61:62], v[101:102], -v[103:104]
	v_add_f64_e32 v[97:98], v[6:7], v[99:100]
	v_add_f64_e32 v[2:3], v[2:3], v[8:9]
	ds_load_b128 v[6:9], v1 offset:624
	ds_load_b128 v[59:62], v1 offset:640
	v_fma_f64 v[10:11], v[83:84], v[57:58], v[10:11]
	v_fma_f64 v[57:58], v[81:82], v[57:58], -v[89:90]
	s_wait_loadcnt_dscnt 0x401
	v_mul_f64_e32 v[99:100], v[6:7], v[87:88]
	v_mul_f64_e32 v[87:88], v[8:9], v[87:88]
	v_add_f64_e32 v[63:64], v[97:98], v[63:64]
	v_add_f64_e32 v[2:3], v[2:3], v[91:92]
	s_wait_loadcnt_dscnt 0x300
	v_mul_f64_e32 v[89:90], v[59:60], v[67:68]
	v_mul_f64_e32 v[67:68], v[61:62], v[67:68]
	v_fma_f64 v[91:92], v[8:9], v[85:86], v[99:100]
	v_fma_f64 v[85:86], v[6:7], v[85:86], -v[87:88]
	ds_load_b128 v[6:9], v1 offset:656
	ds_load_b128 v[81:84], v1 offset:672
	v_add_f64_e32 v[10:11], v[63:64], v[10:11]
	v_add_f64_e32 v[2:3], v[2:3], v[57:58]
	v_fma_f64 v[61:62], v[61:62], v[65:66], v[89:90]
	v_fma_f64 v[59:60], v[59:60], v[65:66], -v[67:68]
	s_wait_loadcnt_dscnt 0x201
	v_mul_f64_e32 v[57:58], v[6:7], v[71:72]
	v_mul_f64_e32 v[63:64], v[8:9], v[71:72]
	s_wait_loadcnt_dscnt 0x100
	v_mul_f64_e32 v[65:66], v[81:82], v[75:76]
	v_mul_f64_e32 v[67:68], v[83:84], v[75:76]
	v_add_f64_e32 v[10:11], v[10:11], v[91:92]
	v_add_f64_e32 v[2:3], v[2:3], v[85:86]
	v_fma_f64 v[57:58], v[8:9], v[69:70], v[57:58]
	v_fma_f64 v[63:64], v[6:7], v[69:70], -v[63:64]
	ds_load_b128 v[6:9], v1 offset:688
	v_fma_f64 v[65:66], v[83:84], v[73:74], v[65:66]
	v_fma_f64 v[67:68], v[81:82], v[73:74], -v[67:68]
	v_add_f64_e32 v[10:11], v[10:11], v[61:62]
	v_add_f64_e32 v[2:3], v[2:3], v[59:60]
	s_wait_loadcnt_dscnt 0x0
	v_mul_f64_e32 v[59:60], v[6:7], v[79:80]
	v_mul_f64_e32 v[61:62], v[8:9], v[79:80]
	s_delay_alu instid0(VALU_DEP_4) | instskip(NEXT) | instid1(VALU_DEP_4)
	v_add_f64_e32 v[10:11], v[10:11], v[57:58]
	v_add_f64_e32 v[2:3], v[2:3], v[63:64]
	s_delay_alu instid0(VALU_DEP_4) | instskip(NEXT) | instid1(VALU_DEP_4)
	v_fma_f64 v[8:9], v[8:9], v[77:78], v[59:60]
	v_fma_f64 v[6:7], v[6:7], v[77:78], -v[61:62]
	s_delay_alu instid0(VALU_DEP_4) | instskip(NEXT) | instid1(VALU_DEP_4)
	v_add_f64_e32 v[10:11], v[10:11], v[65:66]
	v_add_f64_e32 v[2:3], v[2:3], v[67:68]
	s_delay_alu instid0(VALU_DEP_2) | instskip(NEXT) | instid1(VALU_DEP_2)
	v_add_f64_e32 v[8:9], v[10:11], v[8:9]
	v_add_f64_e32 v[2:3], v[2:3], v[6:7]
	s_delay_alu instid0(VALU_DEP_2) | instskip(NEXT) | instid1(VALU_DEP_2)
	v_add_f64_e64 v[8:9], v[95:96], -v[8:9]
	v_add_f64_e64 v[6:7], v[93:94], -v[2:3]
	scratch_store_b128 off, v[6:9], off offset:80
	v_cmpx_lt_u32_e32 3, v0
	s_cbranch_execz .LBB85_139
; %bb.138:
	scratch_load_b128 v[6:9], off, s18
	v_dual_mov_b32 v2, v1 :: v_dual_mov_b32 v3, v1
	v_mov_b32_e32 v4, v1
	scratch_store_b128 off, v[1:4], off offset:64
	s_wait_loadcnt 0x0
	ds_store_b128 v5, v[6:9]
.LBB85_139:
	s_wait_alu 0xfffe
	s_or_b32 exec_lo, exec_lo, s0
	s_wait_storecnt_dscnt 0x0
	s_barrier_signal -1
	s_barrier_wait -1
	global_inv scope:SCOPE_SE
	s_clause 0x8
	scratch_load_b128 v[6:9], off, off offset:80
	scratch_load_b128 v[57:60], off, off offset:96
	;; [unrolled: 1-line block ×9, first 2 shown]
	ds_load_b128 v[89:92], v1 offset:416
	ds_load_b128 v[93:96], v1 offset:432
	scratch_load_b128 v[97:100], off, off offset:64
	s_mov_b32 s0, exec_lo
	ds_load_b128 v[105:108], v1 offset:464
	s_wait_loadcnt_dscnt 0x902
	v_mul_f64_e32 v[2:3], v[91:92], v[8:9]
	v_mul_f64_e32 v[101:102], v[89:90], v[8:9]
	scratch_load_b128 v[8:11], off, off offset:224
	s_wait_loadcnt_dscnt 0x901
	v_mul_f64_e32 v[109:110], v[93:94], v[59:60]
	v_mul_f64_e32 v[59:60], v[95:96], v[59:60]
	v_fma_f64 v[2:3], v[89:90], v[6:7], -v[2:3]
	v_fma_f64 v[6:7], v[91:92], v[6:7], v[101:102]
	ds_load_b128 v[89:92], v1 offset:448
	scratch_load_b128 v[101:104], off, off offset:240
	v_fma_f64 v[95:96], v[95:96], v[57:58], v[109:110]
	v_fma_f64 v[93:94], v[93:94], v[57:58], -v[59:60]
	scratch_load_b128 v[57:60], off, off offset:256
	s_wait_loadcnt_dscnt 0x901
	v_mul_f64_e32 v[109:110], v[105:106], v[67:68]
	v_mul_f64_e32 v[67:68], v[107:108], v[67:68]
	s_wait_dscnt 0x0
	v_mul_f64_e32 v[111:112], v[89:90], v[63:64]
	v_mul_f64_e32 v[63:64], v[91:92], v[63:64]
	v_add_f64_e32 v[2:3], 0, v[2:3]
	v_add_f64_e32 v[6:7], 0, v[6:7]
	v_fma_f64 v[107:108], v[107:108], v[65:66], v[109:110]
	v_fma_f64 v[105:106], v[105:106], v[65:66], -v[67:68]
	scratch_load_b128 v[65:68], off, off offset:288
	v_fma_f64 v[111:112], v[91:92], v[61:62], v[111:112]
	v_fma_f64 v[113:114], v[89:90], v[61:62], -v[63:64]
	ds_load_b128 v[61:64], v1 offset:480
	scratch_load_b128 v[89:92], off, off offset:272
	v_add_f64_e32 v[2:3], v[2:3], v[93:94]
	v_add_f64_e32 v[6:7], v[6:7], v[95:96]
	ds_load_b128 v[93:96], v1 offset:496
	s_wait_loadcnt_dscnt 0xa01
	v_mul_f64_e32 v[115:116], v[61:62], v[71:72]
	v_mul_f64_e32 v[71:72], v[63:64], v[71:72]
	s_wait_loadcnt_dscnt 0x900
	v_mul_f64_e32 v[109:110], v[93:94], v[75:76]
	v_mul_f64_e32 v[75:76], v[95:96], v[75:76]
	v_add_f64_e32 v[2:3], v[2:3], v[113:114]
	v_add_f64_e32 v[6:7], v[6:7], v[111:112]
	v_fma_f64 v[111:112], v[63:64], v[69:70], v[115:116]
	v_fma_f64 v[113:114], v[61:62], v[69:70], -v[71:72]
	ds_load_b128 v[61:64], v1 offset:512
	scratch_load_b128 v[69:72], off, off offset:304
	v_fma_f64 v[95:96], v[95:96], v[73:74], v[109:110]
	v_fma_f64 v[93:94], v[93:94], v[73:74], -v[75:76]
	scratch_load_b128 v[73:76], off, off offset:320
	v_add_f64_e32 v[2:3], v[2:3], v[105:106]
	v_add_f64_e32 v[6:7], v[6:7], v[107:108]
	ds_load_b128 v[105:108], v1 offset:528
	s_wait_loadcnt_dscnt 0xa01
	v_mul_f64_e32 v[115:116], v[61:62], v[79:80]
	v_mul_f64_e32 v[79:80], v[63:64], v[79:80]
	s_wait_loadcnt_dscnt 0x900
	v_mul_f64_e32 v[109:110], v[105:106], v[83:84]
	v_mul_f64_e32 v[83:84], v[107:108], v[83:84]
	v_add_f64_e32 v[2:3], v[2:3], v[113:114]
	v_add_f64_e32 v[6:7], v[6:7], v[111:112]
	v_fma_f64 v[111:112], v[63:64], v[77:78], v[115:116]
	v_fma_f64 v[113:114], v[61:62], v[77:78], -v[79:80]
	ds_load_b128 v[61:64], v1 offset:544
	scratch_load_b128 v[77:80], off, off offset:336
	v_fma_f64 v[107:108], v[107:108], v[81:82], v[109:110]
	v_fma_f64 v[105:106], v[105:106], v[81:82], -v[83:84]
	scratch_load_b128 v[81:84], off, off offset:352
	v_add_f64_e32 v[2:3], v[2:3], v[93:94]
	v_add_f64_e32 v[6:7], v[6:7], v[95:96]
	ds_load_b128 v[93:96], v1 offset:560
	s_wait_loadcnt_dscnt 0xa01
	v_mul_f64_e32 v[115:116], v[61:62], v[87:88]
	v_mul_f64_e32 v[87:88], v[63:64], v[87:88]
	v_add_f64_e32 v[2:3], v[2:3], v[113:114]
	v_add_f64_e32 v[6:7], v[6:7], v[111:112]
	s_delay_alu instid0(VALU_DEP_4) | instskip(NEXT) | instid1(VALU_DEP_4)
	v_fma_f64 v[111:112], v[63:64], v[85:86], v[115:116]
	v_fma_f64 v[113:114], v[61:62], v[85:86], -v[87:88]
	ds_load_b128 v[61:64], v1 offset:576
	ds_load_b128 v[85:88], v1 offset:592
	s_wait_loadcnt_dscnt 0x802
	v_mul_f64_e32 v[109:110], v[93:94], v[10:11]
	v_mul_f64_e32 v[10:11], v[95:96], v[10:11]
	v_add_f64_e32 v[2:3], v[2:3], v[105:106]
	v_add_f64_e32 v[6:7], v[6:7], v[107:108]
	s_delay_alu instid0(VALU_DEP_4)
	v_fma_f64 v[95:96], v[95:96], v[8:9], v[109:110]
	s_wait_loadcnt_dscnt 0x701
	v_mul_f64_e32 v[105:106], v[61:62], v[103:104]
	v_mul_f64_e32 v[103:104], v[63:64], v[103:104]
	v_fma_f64 v[8:9], v[93:94], v[8:9], -v[10:11]
	s_wait_loadcnt_dscnt 0x600
	v_mul_f64_e32 v[10:11], v[85:86], v[59:60]
	v_mul_f64_e32 v[93:94], v[87:88], v[59:60]
	v_add_f64_e32 v[2:3], v[2:3], v[113:114]
	v_add_f64_e32 v[6:7], v[6:7], v[111:112]
	v_fma_f64 v[63:64], v[63:64], v[101:102], v[105:106]
	v_fma_f64 v[101:102], v[61:62], v[101:102], -v[103:104]
	v_fma_f64 v[10:11], v[87:88], v[57:58], v[10:11]
	v_fma_f64 v[57:58], v[85:86], v[57:58], -v[93:94]
	v_add_f64_e32 v[2:3], v[2:3], v[8:9]
	v_add_f64_e32 v[95:96], v[6:7], v[95:96]
	ds_load_b128 v[6:9], v1 offset:608
	ds_load_b128 v[59:62], v1 offset:624
	s_wait_loadcnt_dscnt 0x401
	v_mul_f64_e32 v[103:104], v[6:7], v[91:92]
	v_mul_f64_e32 v[91:92], v[8:9], v[91:92]
	s_wait_dscnt 0x0
	v_mul_f64_e32 v[93:94], v[59:60], v[67:68]
	v_mul_f64_e32 v[67:68], v[61:62], v[67:68]
	v_add_f64_e32 v[2:3], v[2:3], v[101:102]
	v_add_f64_e32 v[63:64], v[95:96], v[63:64]
	v_fma_f64 v[95:96], v[8:9], v[89:90], v[103:104]
	v_fma_f64 v[89:90], v[6:7], v[89:90], -v[91:92]
	ds_load_b128 v[6:9], v1 offset:640
	ds_load_b128 v[85:88], v1 offset:656
	v_fma_f64 v[61:62], v[61:62], v[65:66], v[93:94]
	v_fma_f64 v[59:60], v[59:60], v[65:66], -v[67:68]
	v_add_f64_e32 v[2:3], v[2:3], v[57:58]
	v_add_f64_e32 v[10:11], v[63:64], v[10:11]
	s_wait_loadcnt_dscnt 0x301
	v_mul_f64_e32 v[57:58], v[6:7], v[71:72]
	v_mul_f64_e32 v[63:64], v[8:9], v[71:72]
	s_wait_loadcnt_dscnt 0x200
	v_mul_f64_e32 v[65:66], v[85:86], v[75:76]
	v_mul_f64_e32 v[67:68], v[87:88], v[75:76]
	v_add_f64_e32 v[2:3], v[2:3], v[89:90]
	v_add_f64_e32 v[10:11], v[10:11], v[95:96]
	v_fma_f64 v[57:58], v[8:9], v[69:70], v[57:58]
	v_fma_f64 v[63:64], v[6:7], v[69:70], -v[63:64]
	v_fma_f64 v[65:66], v[87:88], v[73:74], v[65:66]
	v_fma_f64 v[67:68], v[85:86], v[73:74], -v[67:68]
	v_add_f64_e32 v[59:60], v[2:3], v[59:60]
	v_add_f64_e32 v[10:11], v[10:11], v[61:62]
	ds_load_b128 v[6:9], v1 offset:672
	ds_load_b128 v[1:4], v1 offset:688
	s_wait_loadcnt_dscnt 0x101
	v_mul_f64_e32 v[61:62], v[6:7], v[79:80]
	v_mul_f64_e32 v[69:70], v[8:9], v[79:80]
	v_add_f64_e32 v[59:60], v[59:60], v[63:64]
	v_add_f64_e32 v[10:11], v[10:11], v[57:58]
	s_wait_loadcnt_dscnt 0x0
	v_mul_f64_e32 v[57:58], v[1:2], v[83:84]
	v_mul_f64_e32 v[63:64], v[3:4], v[83:84]
	v_fma_f64 v[8:9], v[8:9], v[77:78], v[61:62]
	v_fma_f64 v[6:7], v[6:7], v[77:78], -v[69:70]
	v_add_f64_e32 v[59:60], v[59:60], v[67:68]
	v_add_f64_e32 v[10:11], v[10:11], v[65:66]
	v_fma_f64 v[3:4], v[3:4], v[81:82], v[57:58]
	v_fma_f64 v[1:2], v[1:2], v[81:82], -v[63:64]
	s_delay_alu instid0(VALU_DEP_4) | instskip(NEXT) | instid1(VALU_DEP_4)
	v_add_f64_e32 v[6:7], v[59:60], v[6:7]
	v_add_f64_e32 v[8:9], v[10:11], v[8:9]
	s_delay_alu instid0(VALU_DEP_2) | instskip(NEXT) | instid1(VALU_DEP_2)
	v_add_f64_e32 v[1:2], v[6:7], v[1:2]
	v_add_f64_e32 v[3:4], v[8:9], v[3:4]
	s_delay_alu instid0(VALU_DEP_2) | instskip(NEXT) | instid1(VALU_DEP_2)
	v_add_f64_e64 v[1:2], v[97:98], -v[1:2]
	v_add_f64_e64 v[3:4], v[99:100], -v[3:4]
	scratch_store_b128 off, v[1:4], off offset:64
	v_cmpx_lt_u32_e32 2, v0
	s_cbranch_execz .LBB85_141
; %bb.140:
	scratch_load_b128 v[1:4], off, s28
	v_mov_b32_e32 v6, 0
	s_delay_alu instid0(VALU_DEP_1)
	v_dual_mov_b32 v7, v6 :: v_dual_mov_b32 v8, v6
	v_mov_b32_e32 v9, v6
	scratch_store_b128 off, v[6:9], off offset:48
	s_wait_loadcnt 0x0
	ds_store_b128 v5, v[1:4]
.LBB85_141:
	s_wait_alu 0xfffe
	s_or_b32 exec_lo, exec_lo, s0
	s_wait_storecnt_dscnt 0x0
	s_barrier_signal -1
	s_barrier_wait -1
	global_inv scope:SCOPE_SE
	s_clause 0x7
	scratch_load_b128 v[6:9], off, off offset:64
	scratch_load_b128 v[57:60], off, off offset:80
	;; [unrolled: 1-line block ×8, first 2 shown]
	v_mov_b32_e32 v1, 0
	s_mov_b32 s0, exec_lo
	ds_load_b128 v[85:88], v1 offset:400
	s_clause 0x1
	scratch_load_b128 v[89:92], off, off offset:192
	scratch_load_b128 v[93:96], off, off offset:48
	ds_load_b128 v[97:100], v1 offset:416
	ds_load_b128 v[105:108], v1 offset:448
	s_wait_loadcnt_dscnt 0x902
	v_mul_f64_e32 v[2:3], v[87:88], v[8:9]
	v_mul_f64_e32 v[101:102], v[85:86], v[8:9]
	scratch_load_b128 v[8:11], off, off offset:208
	v_fma_f64 v[2:3], v[85:86], v[6:7], -v[2:3]
	v_fma_f64 v[6:7], v[87:88], v[6:7], v[101:102]
	ds_load_b128 v[85:88], v1 offset:432
	s_wait_loadcnt_dscnt 0x902
	v_mul_f64_e32 v[109:110], v[97:98], v[59:60]
	v_mul_f64_e32 v[59:60], v[99:100], v[59:60]
	scratch_load_b128 v[101:104], off, off offset:224
	s_wait_loadcnt_dscnt 0x900
	v_mul_f64_e32 v[111:112], v[85:86], v[63:64]
	v_mul_f64_e32 v[63:64], v[87:88], v[63:64]
	v_add_f64_e32 v[2:3], 0, v[2:3]
	v_add_f64_e32 v[6:7], 0, v[6:7]
	v_fma_f64 v[99:100], v[99:100], v[57:58], v[109:110]
	v_fma_f64 v[97:98], v[97:98], v[57:58], -v[59:60]
	scratch_load_b128 v[57:60], off, off offset:240
	v_fma_f64 v[111:112], v[87:88], v[61:62], v[111:112]
	v_fma_f64 v[113:114], v[85:86], v[61:62], -v[63:64]
	ds_load_b128 v[61:64], v1 offset:464
	s_wait_loadcnt 0x9
	v_mul_f64_e32 v[109:110], v[105:106], v[67:68]
	v_mul_f64_e32 v[67:68], v[107:108], v[67:68]
	scratch_load_b128 v[85:88], off, off offset:256
	v_add_f64_e32 v[6:7], v[6:7], v[99:100]
	v_add_f64_e32 v[2:3], v[2:3], v[97:98]
	ds_load_b128 v[97:100], v1 offset:480
	s_wait_loadcnt_dscnt 0x901
	v_mul_f64_e32 v[115:116], v[61:62], v[71:72]
	v_mul_f64_e32 v[71:72], v[63:64], v[71:72]
	v_fma_f64 v[107:108], v[107:108], v[65:66], v[109:110]
	v_fma_f64 v[105:106], v[105:106], v[65:66], -v[67:68]
	scratch_load_b128 v[65:68], off, off offset:272
	v_add_f64_e32 v[6:7], v[6:7], v[111:112]
	v_add_f64_e32 v[2:3], v[2:3], v[113:114]
	v_fma_f64 v[111:112], v[63:64], v[69:70], v[115:116]
	v_fma_f64 v[113:114], v[61:62], v[69:70], -v[71:72]
	ds_load_b128 v[61:64], v1 offset:496
	s_wait_loadcnt_dscnt 0x901
	v_mul_f64_e32 v[109:110], v[97:98], v[75:76]
	v_mul_f64_e32 v[75:76], v[99:100], v[75:76]
	scratch_load_b128 v[69:72], off, off offset:288
	s_wait_loadcnt_dscnt 0x900
	v_mul_f64_e32 v[115:116], v[61:62], v[79:80]
	v_mul_f64_e32 v[79:80], v[63:64], v[79:80]
	v_add_f64_e32 v[6:7], v[6:7], v[107:108]
	v_add_f64_e32 v[2:3], v[2:3], v[105:106]
	ds_load_b128 v[105:108], v1 offset:512
	v_fma_f64 v[99:100], v[99:100], v[73:74], v[109:110]
	v_fma_f64 v[97:98], v[97:98], v[73:74], -v[75:76]
	scratch_load_b128 v[73:76], off, off offset:304
	v_add_f64_e32 v[6:7], v[6:7], v[111:112]
	v_add_f64_e32 v[2:3], v[2:3], v[113:114]
	v_fma_f64 v[111:112], v[63:64], v[77:78], v[115:116]
	v_fma_f64 v[113:114], v[61:62], v[77:78], -v[79:80]
	ds_load_b128 v[61:64], v1 offset:528
	s_wait_loadcnt_dscnt 0x901
	v_mul_f64_e32 v[109:110], v[105:106], v[83:84]
	v_mul_f64_e32 v[83:84], v[107:108], v[83:84]
	scratch_load_b128 v[77:80], off, off offset:320
	s_wait_loadcnt_dscnt 0x900
	v_mul_f64_e32 v[115:116], v[61:62], v[91:92]
	v_mul_f64_e32 v[91:92], v[63:64], v[91:92]
	v_add_f64_e32 v[6:7], v[6:7], v[99:100]
	v_add_f64_e32 v[2:3], v[2:3], v[97:98]
	ds_load_b128 v[97:100], v1 offset:544
	v_fma_f64 v[107:108], v[107:108], v[81:82], v[109:110]
	v_fma_f64 v[105:106], v[105:106], v[81:82], -v[83:84]
	scratch_load_b128 v[81:84], off, off offset:336
	v_add_f64_e32 v[6:7], v[6:7], v[111:112]
	v_add_f64_e32 v[2:3], v[2:3], v[113:114]
	v_fma_f64 v[111:112], v[63:64], v[89:90], v[115:116]
	v_fma_f64 v[113:114], v[61:62], v[89:90], -v[91:92]
	ds_load_b128 v[61:64], v1 offset:560
	scratch_load_b128 v[89:92], off, off offset:352
	s_wait_loadcnt_dscnt 0x901
	v_mul_f64_e32 v[109:110], v[97:98], v[10:11]
	v_mul_f64_e32 v[10:11], v[99:100], v[10:11]
	v_add_f64_e32 v[6:7], v[6:7], v[107:108]
	v_add_f64_e32 v[2:3], v[2:3], v[105:106]
	ds_load_b128 v[105:108], v1 offset:576
	v_fma_f64 v[99:100], v[99:100], v[8:9], v[109:110]
	v_fma_f64 v[8:9], v[97:98], v[8:9], -v[10:11]
	s_wait_loadcnt_dscnt 0x801
	v_mul_f64_e32 v[115:116], v[61:62], v[103:104]
	v_mul_f64_e32 v[103:104], v[63:64], v[103:104]
	v_add_f64_e32 v[6:7], v[6:7], v[111:112]
	v_add_f64_e32 v[2:3], v[2:3], v[113:114]
	s_wait_loadcnt_dscnt 0x700
	v_mul_f64_e32 v[10:11], v[105:106], v[59:60]
	v_mul_f64_e32 v[97:98], v[107:108], v[59:60]
	v_fma_f64 v[63:64], v[63:64], v[101:102], v[115:116]
	v_fma_f64 v[101:102], v[61:62], v[101:102], -v[103:104]
	v_add_f64_e32 v[99:100], v[6:7], v[99:100]
	v_add_f64_e32 v[2:3], v[2:3], v[8:9]
	ds_load_b128 v[6:9], v1 offset:592
	ds_load_b128 v[59:62], v1 offset:608
	v_fma_f64 v[10:11], v[107:108], v[57:58], v[10:11]
	v_fma_f64 v[57:58], v[105:106], v[57:58], -v[97:98]
	s_wait_loadcnt_dscnt 0x601
	v_mul_f64_e32 v[103:104], v[6:7], v[87:88]
	v_mul_f64_e32 v[87:88], v[8:9], v[87:88]
	v_add_f64_e32 v[63:64], v[99:100], v[63:64]
	v_add_f64_e32 v[2:3], v[2:3], v[101:102]
	s_wait_loadcnt_dscnt 0x500
	v_mul_f64_e32 v[97:98], v[59:60], v[67:68]
	v_mul_f64_e32 v[67:68], v[61:62], v[67:68]
	v_fma_f64 v[99:100], v[8:9], v[85:86], v[103:104]
	v_fma_f64 v[101:102], v[6:7], v[85:86], -v[87:88]
	ds_load_b128 v[6:9], v1 offset:624
	ds_load_b128 v[85:88], v1 offset:640
	v_add_f64_e32 v[10:11], v[63:64], v[10:11]
	v_add_f64_e32 v[2:3], v[2:3], v[57:58]
	v_fma_f64 v[61:62], v[61:62], v[65:66], v[97:98]
	v_fma_f64 v[59:60], v[59:60], v[65:66], -v[67:68]
	s_wait_loadcnt_dscnt 0x401
	v_mul_f64_e32 v[57:58], v[6:7], v[71:72]
	v_mul_f64_e32 v[63:64], v[8:9], v[71:72]
	s_wait_loadcnt_dscnt 0x300
	v_mul_f64_e32 v[65:66], v[85:86], v[75:76]
	v_mul_f64_e32 v[67:68], v[87:88], v[75:76]
	v_add_f64_e32 v[10:11], v[10:11], v[99:100]
	v_add_f64_e32 v[2:3], v[2:3], v[101:102]
	v_fma_f64 v[71:72], v[8:9], v[69:70], v[57:58]
	v_fma_f64 v[63:64], v[6:7], v[69:70], -v[63:64]
	v_fma_f64 v[65:66], v[87:88], v[73:74], v[65:66]
	v_fma_f64 v[67:68], v[85:86], v[73:74], -v[67:68]
	v_add_f64_e32 v[10:11], v[10:11], v[61:62]
	v_add_f64_e32 v[2:3], v[2:3], v[59:60]
	ds_load_b128 v[6:9], v1 offset:656
	ds_load_b128 v[57:60], v1 offset:672
	s_wait_loadcnt_dscnt 0x201
	v_mul_f64_e32 v[61:62], v[6:7], v[79:80]
	v_mul_f64_e32 v[69:70], v[8:9], v[79:80]
	v_add_f64_e32 v[10:11], v[10:11], v[71:72]
	v_add_f64_e32 v[2:3], v[2:3], v[63:64]
	s_wait_loadcnt_dscnt 0x100
	v_mul_f64_e32 v[63:64], v[57:58], v[83:84]
	v_mul_f64_e32 v[71:72], v[59:60], v[83:84]
	v_fma_f64 v[61:62], v[8:9], v[77:78], v[61:62]
	v_fma_f64 v[69:70], v[6:7], v[77:78], -v[69:70]
	ds_load_b128 v[6:9], v1 offset:688
	v_add_f64_e32 v[10:11], v[10:11], v[65:66]
	v_add_f64_e32 v[2:3], v[2:3], v[67:68]
	v_fma_f64 v[59:60], v[59:60], v[81:82], v[63:64]
	v_fma_f64 v[57:58], v[57:58], v[81:82], -v[71:72]
	s_wait_loadcnt_dscnt 0x0
	v_mul_f64_e32 v[65:66], v[6:7], v[91:92]
	v_mul_f64_e32 v[67:68], v[8:9], v[91:92]
	v_add_f64_e32 v[10:11], v[10:11], v[61:62]
	v_add_f64_e32 v[2:3], v[2:3], v[69:70]
	s_delay_alu instid0(VALU_DEP_4) | instskip(NEXT) | instid1(VALU_DEP_4)
	v_fma_f64 v[8:9], v[8:9], v[89:90], v[65:66]
	v_fma_f64 v[6:7], v[6:7], v[89:90], -v[67:68]
	s_delay_alu instid0(VALU_DEP_4) | instskip(NEXT) | instid1(VALU_DEP_4)
	v_add_f64_e32 v[10:11], v[10:11], v[59:60]
	v_add_f64_e32 v[2:3], v[2:3], v[57:58]
	s_delay_alu instid0(VALU_DEP_2) | instskip(NEXT) | instid1(VALU_DEP_2)
	v_add_f64_e32 v[8:9], v[10:11], v[8:9]
	v_add_f64_e32 v[2:3], v[2:3], v[6:7]
	s_delay_alu instid0(VALU_DEP_2) | instskip(NEXT) | instid1(VALU_DEP_2)
	v_add_f64_e64 v[8:9], v[95:96], -v[8:9]
	v_add_f64_e64 v[6:7], v[93:94], -v[2:3]
	scratch_store_b128 off, v[6:9], off offset:48
	v_cmpx_lt_u32_e32 1, v0
	s_cbranch_execz .LBB85_143
; %bb.142:
	scratch_load_b128 v[6:9], off, s29
	v_dual_mov_b32 v2, v1 :: v_dual_mov_b32 v3, v1
	v_mov_b32_e32 v4, v1
	scratch_store_b128 off, v[1:4], off offset:32
	s_wait_loadcnt 0x0
	ds_store_b128 v5, v[6:9]
.LBB85_143:
	s_wait_alu 0xfffe
	s_or_b32 exec_lo, exec_lo, s0
	s_wait_storecnt_dscnt 0x0
	s_barrier_signal -1
	s_barrier_wait -1
	global_inv scope:SCOPE_SE
	s_clause 0x8
	scratch_load_b128 v[6:9], off, off offset:48
	scratch_load_b128 v[57:60], off, off offset:64
	;; [unrolled: 1-line block ×9, first 2 shown]
	ds_load_b128 v[89:92], v1 offset:384
	ds_load_b128 v[93:96], v1 offset:400
	scratch_load_b128 v[97:100], off, off offset:32
	s_mov_b32 s0, exec_lo
	ds_load_b128 v[105:108], v1 offset:432
	s_wait_loadcnt_dscnt 0x902
	v_mul_f64_e32 v[2:3], v[91:92], v[8:9]
	v_mul_f64_e32 v[101:102], v[89:90], v[8:9]
	scratch_load_b128 v[8:11], off, off offset:192
	s_wait_loadcnt_dscnt 0x901
	v_mul_f64_e32 v[109:110], v[93:94], v[59:60]
	v_mul_f64_e32 v[59:60], v[95:96], v[59:60]
	v_fma_f64 v[2:3], v[89:90], v[6:7], -v[2:3]
	v_fma_f64 v[6:7], v[91:92], v[6:7], v[101:102]
	ds_load_b128 v[89:92], v1 offset:416
	scratch_load_b128 v[101:104], off, off offset:208
	v_fma_f64 v[95:96], v[95:96], v[57:58], v[109:110]
	v_fma_f64 v[93:94], v[93:94], v[57:58], -v[59:60]
	scratch_load_b128 v[57:60], off, off offset:224
	s_wait_loadcnt_dscnt 0x901
	v_mul_f64_e32 v[109:110], v[105:106], v[67:68]
	v_mul_f64_e32 v[67:68], v[107:108], v[67:68]
	s_wait_dscnt 0x0
	v_mul_f64_e32 v[111:112], v[89:90], v[63:64]
	v_mul_f64_e32 v[63:64], v[91:92], v[63:64]
	v_add_f64_e32 v[2:3], 0, v[2:3]
	v_add_f64_e32 v[6:7], 0, v[6:7]
	v_fma_f64 v[107:108], v[107:108], v[65:66], v[109:110]
	v_fma_f64 v[105:106], v[105:106], v[65:66], -v[67:68]
	scratch_load_b128 v[65:68], off, off offset:256
	v_fma_f64 v[111:112], v[91:92], v[61:62], v[111:112]
	v_fma_f64 v[113:114], v[89:90], v[61:62], -v[63:64]
	ds_load_b128 v[61:64], v1 offset:448
	scratch_load_b128 v[89:92], off, off offset:240
	v_add_f64_e32 v[2:3], v[2:3], v[93:94]
	v_add_f64_e32 v[6:7], v[6:7], v[95:96]
	ds_load_b128 v[93:96], v1 offset:464
	s_wait_loadcnt_dscnt 0xa01
	v_mul_f64_e32 v[115:116], v[61:62], v[71:72]
	v_mul_f64_e32 v[71:72], v[63:64], v[71:72]
	s_wait_loadcnt_dscnt 0x900
	v_mul_f64_e32 v[109:110], v[93:94], v[75:76]
	v_mul_f64_e32 v[75:76], v[95:96], v[75:76]
	v_add_f64_e32 v[2:3], v[2:3], v[113:114]
	v_add_f64_e32 v[6:7], v[6:7], v[111:112]
	v_fma_f64 v[111:112], v[63:64], v[69:70], v[115:116]
	v_fma_f64 v[113:114], v[61:62], v[69:70], -v[71:72]
	ds_load_b128 v[61:64], v1 offset:480
	scratch_load_b128 v[69:72], off, off offset:272
	v_fma_f64 v[95:96], v[95:96], v[73:74], v[109:110]
	v_fma_f64 v[93:94], v[93:94], v[73:74], -v[75:76]
	scratch_load_b128 v[73:76], off, off offset:288
	v_add_f64_e32 v[2:3], v[2:3], v[105:106]
	v_add_f64_e32 v[6:7], v[6:7], v[107:108]
	ds_load_b128 v[105:108], v1 offset:496
	s_wait_loadcnt_dscnt 0xa01
	v_mul_f64_e32 v[115:116], v[61:62], v[79:80]
	v_mul_f64_e32 v[79:80], v[63:64], v[79:80]
	s_wait_loadcnt_dscnt 0x900
	v_mul_f64_e32 v[109:110], v[105:106], v[83:84]
	v_mul_f64_e32 v[83:84], v[107:108], v[83:84]
	v_add_f64_e32 v[2:3], v[2:3], v[113:114]
	v_add_f64_e32 v[6:7], v[6:7], v[111:112]
	v_fma_f64 v[111:112], v[63:64], v[77:78], v[115:116]
	v_fma_f64 v[113:114], v[61:62], v[77:78], -v[79:80]
	ds_load_b128 v[61:64], v1 offset:512
	scratch_load_b128 v[77:80], off, off offset:304
	v_fma_f64 v[107:108], v[107:108], v[81:82], v[109:110]
	v_fma_f64 v[105:106], v[105:106], v[81:82], -v[83:84]
	scratch_load_b128 v[81:84], off, off offset:320
	v_add_f64_e32 v[2:3], v[2:3], v[93:94]
	v_add_f64_e32 v[6:7], v[6:7], v[95:96]
	ds_load_b128 v[93:96], v1 offset:528
	s_wait_loadcnt_dscnt 0xa01
	v_mul_f64_e32 v[115:116], v[61:62], v[87:88]
	v_mul_f64_e32 v[87:88], v[63:64], v[87:88]
	v_add_f64_e32 v[2:3], v[2:3], v[113:114]
	v_add_f64_e32 v[6:7], v[6:7], v[111:112]
	s_delay_alu instid0(VALU_DEP_4) | instskip(NEXT) | instid1(VALU_DEP_4)
	v_fma_f64 v[111:112], v[63:64], v[85:86], v[115:116]
	v_fma_f64 v[113:114], v[61:62], v[85:86], -v[87:88]
	ds_load_b128 v[61:64], v1 offset:544
	scratch_load_b128 v[85:88], off, off offset:336
	s_wait_loadcnt_dscnt 0x901
	v_mul_f64_e32 v[109:110], v[93:94], v[10:11]
	v_mul_f64_e32 v[10:11], v[95:96], v[10:11]
	v_add_f64_e32 v[2:3], v[2:3], v[105:106]
	v_add_f64_e32 v[6:7], v[6:7], v[107:108]
	ds_load_b128 v[105:108], v1 offset:560
	v_fma_f64 v[95:96], v[95:96], v[8:9], v[109:110]
	s_wait_loadcnt_dscnt 0x801
	v_mul_f64_e32 v[115:116], v[61:62], v[103:104]
	v_mul_f64_e32 v[103:104], v[63:64], v[103:104]
	v_fma_f64 v[10:11], v[93:94], v[8:9], -v[10:11]
	s_wait_loadcnt_dscnt 0x700
	v_mul_f64_e32 v[109:110], v[105:106], v[59:60]
	v_add_f64_e32 v[2:3], v[2:3], v[113:114]
	v_add_f64_e32 v[93:94], v[6:7], v[111:112]
	scratch_load_b128 v[6:9], off, off offset:352
	v_mul_f64_e32 v[111:112], v[107:108], v[59:60]
	v_fma_f64 v[63:64], v[63:64], v[101:102], v[115:116]
	v_fma_f64 v[101:102], v[61:62], v[101:102], -v[103:104]
	v_fma_f64 v[107:108], v[107:108], v[57:58], v[109:110]
	v_add_f64_e32 v[2:3], v[2:3], v[10:11]
	v_add_f64_e32 v[10:11], v[93:94], v[95:96]
	ds_load_b128 v[59:62], v1 offset:576
	ds_load_b128 v[93:96], v1 offset:592
	v_fma_f64 v[57:58], v[105:106], v[57:58], -v[111:112]
	s_wait_loadcnt_dscnt 0x601
	v_mul_f64_e32 v[103:104], v[59:60], v[91:92]
	v_mul_f64_e32 v[91:92], v[61:62], v[91:92]
	v_add_f64_e32 v[2:3], v[2:3], v[101:102]
	v_add_f64_e32 v[10:11], v[10:11], v[63:64]
	s_wait_dscnt 0x0
	v_mul_f64_e32 v[101:102], v[93:94], v[67:68]
	v_mul_f64_e32 v[67:68], v[95:96], v[67:68]
	v_fma_f64 v[103:104], v[61:62], v[89:90], v[103:104]
	v_fma_f64 v[89:90], v[59:60], v[89:90], -v[91:92]
	v_add_f64_e32 v[2:3], v[2:3], v[57:58]
	v_add_f64_e32 v[10:11], v[10:11], v[107:108]
	ds_load_b128 v[57:60], v1 offset:608
	ds_load_b128 v[61:64], v1 offset:624
	v_fma_f64 v[95:96], v[95:96], v[65:66], v[101:102]
	v_fma_f64 v[65:66], v[93:94], v[65:66], -v[67:68]
	s_wait_loadcnt_dscnt 0x501
	v_mul_f64_e32 v[91:92], v[57:58], v[71:72]
	v_mul_f64_e32 v[71:72], v[59:60], v[71:72]
	v_add_f64_e32 v[2:3], v[2:3], v[89:90]
	v_add_f64_e32 v[10:11], v[10:11], v[103:104]
	s_wait_loadcnt_dscnt 0x400
	v_mul_f64_e32 v[89:90], v[61:62], v[75:76]
	v_mul_f64_e32 v[75:76], v[63:64], v[75:76]
	v_fma_f64 v[91:92], v[59:60], v[69:70], v[91:92]
	v_fma_f64 v[69:70], v[57:58], v[69:70], -v[71:72]
	v_add_f64_e32 v[2:3], v[2:3], v[65:66]
	v_add_f64_e32 v[10:11], v[10:11], v[95:96]
	ds_load_b128 v[57:60], v1 offset:640
	ds_load_b128 v[65:68], v1 offset:656
	v_fma_f64 v[63:64], v[63:64], v[73:74], v[89:90]
	v_fma_f64 v[61:62], v[61:62], v[73:74], -v[75:76]
	s_wait_loadcnt_dscnt 0x301
	v_mul_f64_e32 v[71:72], v[57:58], v[79:80]
	v_mul_f64_e32 v[79:80], v[59:60], v[79:80]
	s_wait_loadcnt_dscnt 0x200
	v_mul_f64_e32 v[73:74], v[67:68], v[83:84]
	v_add_f64_e32 v[2:3], v[2:3], v[69:70]
	v_add_f64_e32 v[10:11], v[10:11], v[91:92]
	v_mul_f64_e32 v[69:70], v[65:66], v[83:84]
	v_fma_f64 v[71:72], v[59:60], v[77:78], v[71:72]
	v_fma_f64 v[75:76], v[57:58], v[77:78], -v[79:80]
	v_fma_f64 v[65:66], v[65:66], v[81:82], -v[73:74]
	v_add_f64_e32 v[61:62], v[2:3], v[61:62]
	v_add_f64_e32 v[10:11], v[10:11], v[63:64]
	ds_load_b128 v[57:60], v1 offset:672
	ds_load_b128 v[1:4], v1 offset:688
	v_fma_f64 v[67:68], v[67:68], v[81:82], v[69:70]
	s_wait_loadcnt_dscnt 0x101
	v_mul_f64_e32 v[63:64], v[57:58], v[87:88]
	v_mul_f64_e32 v[77:78], v[59:60], v[87:88]
	v_add_f64_e32 v[61:62], v[61:62], v[75:76]
	v_add_f64_e32 v[10:11], v[10:11], v[71:72]
	s_wait_loadcnt_dscnt 0x0
	v_mul_f64_e32 v[69:70], v[1:2], v[8:9]
	v_mul_f64_e32 v[8:9], v[3:4], v[8:9]
	v_fma_f64 v[59:60], v[59:60], v[85:86], v[63:64]
	v_fma_f64 v[57:58], v[57:58], v[85:86], -v[77:78]
	v_add_f64_e32 v[61:62], v[61:62], v[65:66]
	v_add_f64_e32 v[10:11], v[10:11], v[67:68]
	v_fma_f64 v[3:4], v[3:4], v[6:7], v[69:70]
	v_fma_f64 v[1:2], v[1:2], v[6:7], -v[8:9]
	s_delay_alu instid0(VALU_DEP_4) | instskip(NEXT) | instid1(VALU_DEP_4)
	v_add_f64_e32 v[6:7], v[61:62], v[57:58]
	v_add_f64_e32 v[8:9], v[10:11], v[59:60]
	s_delay_alu instid0(VALU_DEP_2) | instskip(NEXT) | instid1(VALU_DEP_2)
	v_add_f64_e32 v[1:2], v[6:7], v[1:2]
	v_add_f64_e32 v[3:4], v[8:9], v[3:4]
	s_delay_alu instid0(VALU_DEP_2) | instskip(NEXT) | instid1(VALU_DEP_2)
	v_add_f64_e64 v[1:2], v[97:98], -v[1:2]
	v_add_f64_e64 v[3:4], v[99:100], -v[3:4]
	scratch_store_b128 off, v[1:4], off offset:32
	v_cmpx_ne_u32_e32 0, v0
	s_cbranch_execz .LBB85_145
; %bb.144:
	scratch_load_b128 v[0:3], off, off offset:16
	v_mov_b32_e32 v6, 0
	s_delay_alu instid0(VALU_DEP_1)
	v_dual_mov_b32 v7, v6 :: v_dual_mov_b32 v8, v6
	v_mov_b32_e32 v9, v6
	scratch_store_b128 off, v[6:9], off offset:16
	s_wait_loadcnt 0x0
	ds_store_b128 v5, v[0:3]
.LBB85_145:
	s_wait_alu 0xfffe
	s_or_b32 exec_lo, exec_lo, s0
	s_wait_storecnt_dscnt 0x0
	s_barrier_signal -1
	s_barrier_wait -1
	global_inv scope:SCOPE_SE
	s_clause 0x7
	scratch_load_b128 v[1:4], off, off offset:32
	scratch_load_b128 v[5:8], off, off offset:48
	;; [unrolled: 1-line block ×8, first 2 shown]
	v_mov_b32_e32 v0, 0
	s_and_b32 vcc_lo, exec_lo, s12
	ds_load_b128 v[77:80], v0 offset:368
	s_clause 0x1
	scratch_load_b128 v[81:84], off, off offset:160
	scratch_load_b128 v[85:88], off, off offset:16
	ds_load_b128 v[89:92], v0 offset:384
	scratch_load_b128 v[93:96], off, off offset:176
	s_wait_loadcnt_dscnt 0xa01
	v_mul_f64_e32 v[97:98], v[79:80], v[3:4]
	v_mul_f64_e32 v[3:4], v[77:78], v[3:4]
	s_delay_alu instid0(VALU_DEP_2) | instskip(NEXT) | instid1(VALU_DEP_2)
	v_fma_f64 v[103:104], v[77:78], v[1:2], -v[97:98]
	v_fma_f64 v[105:106], v[79:80], v[1:2], v[3:4]
	ds_load_b128 v[1:4], v0 offset:400
	s_wait_loadcnt_dscnt 0x901
	v_mul_f64_e32 v[101:102], v[89:90], v[7:8]
	v_mul_f64_e32 v[7:8], v[91:92], v[7:8]
	scratch_load_b128 v[77:80], off, off offset:192
	ds_load_b128 v[97:100], v0 offset:416
	s_wait_loadcnt_dscnt 0x901
	v_mul_f64_e32 v[107:108], v[1:2], v[11:12]
	v_mul_f64_e32 v[11:12], v[3:4], v[11:12]
	v_fma_f64 v[91:92], v[91:92], v[5:6], v[101:102]
	v_fma_f64 v[89:90], v[89:90], v[5:6], -v[7:8]
	v_add_f64_e32 v[101:102], 0, v[103:104]
	v_add_f64_e32 v[103:104], 0, v[105:106]
	scratch_load_b128 v[5:8], off, off offset:208
	v_fma_f64 v[107:108], v[3:4], v[9:10], v[107:108]
	v_fma_f64 v[109:110], v[1:2], v[9:10], -v[11:12]
	ds_load_b128 v[1:4], v0 offset:432
	s_wait_loadcnt_dscnt 0x901
	v_mul_f64_e32 v[105:106], v[97:98], v[59:60]
	v_mul_f64_e32 v[59:60], v[99:100], v[59:60]
	scratch_load_b128 v[9:12], off, off offset:224
	v_add_f64_e32 v[101:102], v[101:102], v[89:90]
	v_add_f64_e32 v[103:104], v[103:104], v[91:92]
	s_wait_loadcnt_dscnt 0x900
	v_mul_f64_e32 v[111:112], v[1:2], v[63:64]
	v_mul_f64_e32 v[63:64], v[3:4], v[63:64]
	ds_load_b128 v[89:92], v0 offset:448
	v_fma_f64 v[99:100], v[99:100], v[57:58], v[105:106]
	v_fma_f64 v[97:98], v[97:98], v[57:58], -v[59:60]
	scratch_load_b128 v[57:60], off, off offset:240
	v_add_f64_e32 v[101:102], v[101:102], v[109:110]
	v_add_f64_e32 v[103:104], v[103:104], v[107:108]
	v_fma_f64 v[107:108], v[3:4], v[61:62], v[111:112]
	v_fma_f64 v[109:110], v[1:2], v[61:62], -v[63:64]
	ds_load_b128 v[1:4], v0 offset:464
	s_wait_loadcnt_dscnt 0x901
	v_mul_f64_e32 v[105:106], v[89:90], v[67:68]
	v_mul_f64_e32 v[67:68], v[91:92], v[67:68]
	scratch_load_b128 v[61:64], off, off offset:256
	s_wait_loadcnt_dscnt 0x900
	v_mul_f64_e32 v[111:112], v[1:2], v[71:72]
	v_mul_f64_e32 v[71:72], v[3:4], v[71:72]
	v_add_f64_e32 v[101:102], v[101:102], v[97:98]
	v_add_f64_e32 v[103:104], v[103:104], v[99:100]
	ds_load_b128 v[97:100], v0 offset:480
	v_fma_f64 v[91:92], v[91:92], v[65:66], v[105:106]
	v_fma_f64 v[89:90], v[89:90], v[65:66], -v[67:68]
	scratch_load_b128 v[65:68], off, off offset:272
	v_add_f64_e32 v[101:102], v[101:102], v[109:110]
	v_add_f64_e32 v[103:104], v[103:104], v[107:108]
	v_fma_f64 v[107:108], v[3:4], v[69:70], v[111:112]
	v_fma_f64 v[109:110], v[1:2], v[69:70], -v[71:72]
	ds_load_b128 v[1:4], v0 offset:496
	s_wait_loadcnt_dscnt 0x901
	v_mul_f64_e32 v[105:106], v[97:98], v[75:76]
	v_mul_f64_e32 v[75:76], v[99:100], v[75:76]
	scratch_load_b128 v[69:72], off, off offset:288
	s_wait_loadcnt_dscnt 0x900
	v_mul_f64_e32 v[111:112], v[1:2], v[83:84]
	v_mul_f64_e32 v[83:84], v[3:4], v[83:84]
	v_add_f64_e32 v[101:102], v[101:102], v[89:90]
	v_add_f64_e32 v[103:104], v[103:104], v[91:92]
	ds_load_b128 v[89:92], v0 offset:512
	v_fma_f64 v[99:100], v[99:100], v[73:74], v[105:106]
	v_fma_f64 v[97:98], v[97:98], v[73:74], -v[75:76]
	scratch_load_b128 v[73:76], off, off offset:304
	v_add_f64_e32 v[101:102], v[101:102], v[109:110]
	v_add_f64_e32 v[103:104], v[103:104], v[107:108]
	v_fma_f64 v[109:110], v[3:4], v[81:82], v[111:112]
	v_fma_f64 v[111:112], v[1:2], v[81:82], -v[83:84]
	ds_load_b128 v[1:4], v0 offset:528
	s_wait_loadcnt_dscnt 0x801
	v_mul_f64_e32 v[105:106], v[89:90], v[95:96]
	v_mul_f64_e32 v[107:108], v[91:92], v[95:96]
	scratch_load_b128 v[81:84], off, off offset:320
	v_add_f64_e32 v[101:102], v[101:102], v[97:98]
	v_add_f64_e32 v[99:100], v[103:104], v[99:100]
	ds_load_b128 v[95:98], v0 offset:544
	v_fma_f64 v[105:106], v[91:92], v[93:94], v[105:106]
	v_fma_f64 v[93:94], v[89:90], v[93:94], -v[107:108]
	scratch_load_b128 v[89:92], off, off offset:336
	s_wait_loadcnt_dscnt 0x901
	v_mul_f64_e32 v[103:104], v[1:2], v[79:80]
	v_mul_f64_e32 v[79:80], v[3:4], v[79:80]
	v_add_f64_e32 v[101:102], v[101:102], v[111:112]
	v_add_f64_e32 v[99:100], v[99:100], v[109:110]
	s_delay_alu instid0(VALU_DEP_4) | instskip(NEXT) | instid1(VALU_DEP_4)
	v_fma_f64 v[103:104], v[3:4], v[77:78], v[103:104]
	v_fma_f64 v[109:110], v[1:2], v[77:78], -v[79:80]
	ds_load_b128 v[1:4], v0 offset:560
	s_wait_loadcnt_dscnt 0x801
	v_mul_f64_e32 v[107:108], v[95:96], v[7:8]
	v_mul_f64_e32 v[7:8], v[97:98], v[7:8]
	scratch_load_b128 v[77:80], off, off offset:352
	s_wait_loadcnt_dscnt 0x800
	v_mul_f64_e32 v[111:112], v[1:2], v[11:12]
	v_add_f64_e32 v[93:94], v[101:102], v[93:94]
	v_add_f64_e32 v[105:106], v[99:100], v[105:106]
	v_mul_f64_e32 v[11:12], v[3:4], v[11:12]
	ds_load_b128 v[99:102], v0 offset:576
	v_fma_f64 v[97:98], v[97:98], v[5:6], v[107:108]
	v_fma_f64 v[5:6], v[95:96], v[5:6], -v[7:8]
	s_wait_loadcnt_dscnt 0x700
	v_mul_f64_e32 v[95:96], v[99:100], v[59:60]
	v_add_f64_e32 v[7:8], v[93:94], v[109:110]
	v_add_f64_e32 v[93:94], v[105:106], v[103:104]
	v_mul_f64_e32 v[59:60], v[101:102], v[59:60]
	v_fma_f64 v[103:104], v[3:4], v[9:10], v[111:112]
	v_fma_f64 v[9:10], v[1:2], v[9:10], -v[11:12]
	v_fma_f64 v[95:96], v[101:102], v[57:58], v[95:96]
	v_add_f64_e32 v[11:12], v[7:8], v[5:6]
	v_add_f64_e32 v[93:94], v[93:94], v[97:98]
	ds_load_b128 v[1:4], v0 offset:592
	ds_load_b128 v[5:8], v0 offset:608
	v_fma_f64 v[57:58], v[99:100], v[57:58], -v[59:60]
	s_wait_loadcnt_dscnt 0x601
	v_mul_f64_e32 v[97:98], v[1:2], v[63:64]
	v_mul_f64_e32 v[63:64], v[3:4], v[63:64]
	s_wait_loadcnt_dscnt 0x500
	v_mul_f64_e32 v[59:60], v[5:6], v[67:68]
	v_mul_f64_e32 v[67:68], v[7:8], v[67:68]
	v_add_f64_e32 v[9:10], v[11:12], v[9:10]
	v_add_f64_e32 v[11:12], v[93:94], v[103:104]
	v_fma_f64 v[93:94], v[3:4], v[61:62], v[97:98]
	v_fma_f64 v[61:62], v[1:2], v[61:62], -v[63:64]
	v_fma_f64 v[7:8], v[7:8], v[65:66], v[59:60]
	v_fma_f64 v[5:6], v[5:6], v[65:66], -v[67:68]
	v_add_f64_e32 v[57:58], v[9:10], v[57:58]
	v_add_f64_e32 v[63:64], v[11:12], v[95:96]
	ds_load_b128 v[1:4], v0 offset:624
	ds_load_b128 v[9:12], v0 offset:640
	s_wait_loadcnt_dscnt 0x401
	v_mul_f64_e32 v[95:96], v[1:2], v[71:72]
	v_mul_f64_e32 v[71:72], v[3:4], v[71:72]
	v_add_f64_e32 v[57:58], v[57:58], v[61:62]
	v_add_f64_e32 v[59:60], v[63:64], v[93:94]
	s_wait_loadcnt_dscnt 0x300
	v_mul_f64_e32 v[61:62], v[9:10], v[75:76]
	v_mul_f64_e32 v[63:64], v[11:12], v[75:76]
	v_fma_f64 v[65:66], v[3:4], v[69:70], v[95:96]
	v_fma_f64 v[67:68], v[1:2], v[69:70], -v[71:72]
	v_add_f64_e32 v[57:58], v[57:58], v[5:6]
	v_add_f64_e32 v[59:60], v[59:60], v[7:8]
	ds_load_b128 v[1:4], v0 offset:656
	ds_load_b128 v[5:8], v0 offset:672
	v_fma_f64 v[11:12], v[11:12], v[73:74], v[61:62]
	v_fma_f64 v[9:10], v[9:10], v[73:74], -v[63:64]
	s_wait_loadcnt_dscnt 0x201
	v_mul_f64_e32 v[69:70], v[1:2], v[83:84]
	v_mul_f64_e32 v[71:72], v[3:4], v[83:84]
	s_wait_loadcnt_dscnt 0x100
	v_mul_f64_e32 v[61:62], v[5:6], v[91:92]
	v_mul_f64_e32 v[63:64], v[7:8], v[91:92]
	v_add_f64_e32 v[57:58], v[57:58], v[67:68]
	v_add_f64_e32 v[59:60], v[59:60], v[65:66]
	v_fma_f64 v[65:66], v[3:4], v[81:82], v[69:70]
	v_fma_f64 v[67:68], v[1:2], v[81:82], -v[71:72]
	ds_load_b128 v[1:4], v0 offset:688
	v_fma_f64 v[7:8], v[7:8], v[89:90], v[61:62]
	v_fma_f64 v[5:6], v[5:6], v[89:90], -v[63:64]
	v_add_f64_e32 v[9:10], v[57:58], v[9:10]
	v_add_f64_e32 v[11:12], v[59:60], v[11:12]
	s_wait_loadcnt_dscnt 0x0
	v_mul_f64_e32 v[57:58], v[1:2], v[79:80]
	v_mul_f64_e32 v[59:60], v[3:4], v[79:80]
	s_delay_alu instid0(VALU_DEP_4) | instskip(NEXT) | instid1(VALU_DEP_4)
	v_add_f64_e32 v[9:10], v[9:10], v[67:68]
	v_add_f64_e32 v[11:12], v[11:12], v[65:66]
	s_delay_alu instid0(VALU_DEP_4) | instskip(NEXT) | instid1(VALU_DEP_4)
	v_fma_f64 v[3:4], v[3:4], v[77:78], v[57:58]
	v_fma_f64 v[1:2], v[1:2], v[77:78], -v[59:60]
	s_delay_alu instid0(VALU_DEP_4) | instskip(NEXT) | instid1(VALU_DEP_4)
	v_add_f64_e32 v[5:6], v[9:10], v[5:6]
	v_add_f64_e32 v[7:8], v[11:12], v[7:8]
	s_delay_alu instid0(VALU_DEP_2) | instskip(NEXT) | instid1(VALU_DEP_2)
	v_add_f64_e32 v[1:2], v[5:6], v[1:2]
	v_add_f64_e32 v[3:4], v[7:8], v[3:4]
	s_delay_alu instid0(VALU_DEP_2) | instskip(NEXT) | instid1(VALU_DEP_2)
	v_add_f64_e64 v[1:2], v[85:86], -v[1:2]
	v_add_f64_e64 v[3:4], v[87:88], -v[3:4]
	scratch_store_b128 off, v[1:4], off offset:16
	s_wait_alu 0xfffe
	s_cbranch_vccz .LBB85_188
; %bb.146:
	global_load_b32 v0, v0, s[2:3] offset:80
	s_wait_loadcnt 0x0
	v_cmp_ne_u32_e32 vcc_lo, 21, v0
	s_cbranch_vccz .LBB85_148
; %bb.147:
	v_lshlrev_b32_e32 v0, 4, v0
	s_delay_alu instid0(VALU_DEP_1)
	v_add_nc_u32_e32 v8, 16, v0
	s_clause 0x1
	scratch_load_b128 v[0:3], v8, off offset:-16
	scratch_load_b128 v[4:7], off, s27
	s_wait_loadcnt 0x1
	scratch_store_b128 off, v[0:3], s27
	s_wait_loadcnt 0x0
	scratch_store_b128 v8, v[4:7], off offset:-16
.LBB85_148:
	v_mov_b32_e32 v0, 0
	global_load_b32 v1, v0, s[2:3] offset:76
	s_wait_loadcnt 0x0
	v_cmp_eq_u32_e32 vcc_lo, 20, v1
	s_cbranch_vccnz .LBB85_150
; %bb.149:
	v_lshlrev_b32_e32 v1, 4, v1
	s_delay_alu instid0(VALU_DEP_1)
	v_add_nc_u32_e32 v9, 16, v1
	s_clause 0x1
	scratch_load_b128 v[1:4], v9, off offset:-16
	scratch_load_b128 v[5:8], off, s16
	s_wait_loadcnt 0x1
	scratch_store_b128 off, v[1:4], s16
	s_wait_loadcnt 0x0
	scratch_store_b128 v9, v[5:8], off offset:-16
.LBB85_150:
	global_load_b32 v0, v0, s[2:3] offset:72
	s_wait_loadcnt 0x0
	v_cmp_eq_u32_e32 vcc_lo, 19, v0
	s_cbranch_vccnz .LBB85_152
; %bb.151:
	v_lshlrev_b32_e32 v0, 4, v0
	s_delay_alu instid0(VALU_DEP_1)
	v_add_nc_u32_e32 v8, 16, v0
	s_clause 0x1
	scratch_load_b128 v[0:3], v8, off offset:-16
	scratch_load_b128 v[4:7], off, s26
	s_wait_loadcnt 0x1
	scratch_store_b128 off, v[0:3], s26
	s_wait_loadcnt 0x0
	scratch_store_b128 v8, v[4:7], off offset:-16
.LBB85_152:
	v_mov_b32_e32 v0, 0
	global_load_b32 v1, v0, s[2:3] offset:68
	s_wait_loadcnt 0x0
	v_cmp_eq_u32_e32 vcc_lo, 18, v1
	s_cbranch_vccnz .LBB85_154
; %bb.153:
	v_lshlrev_b32_e32 v1, 4, v1
	s_delay_alu instid0(VALU_DEP_1)
	v_add_nc_u32_e32 v9, 16, v1
	s_clause 0x1
	scratch_load_b128 v[1:4], v9, off offset:-16
	scratch_load_b128 v[5:8], off, s15
	s_wait_loadcnt 0x1
	scratch_store_b128 off, v[1:4], s15
	s_wait_loadcnt 0x0
	scratch_store_b128 v9, v[5:8], off offset:-16
.LBB85_154:
	global_load_b32 v0, v0, s[2:3] offset:64
	s_wait_loadcnt 0x0
	v_cmp_eq_u32_e32 vcc_lo, 17, v0
	s_cbranch_vccnz .LBB85_156
; %bb.155:
	v_lshlrev_b32_e32 v0, 4, v0
	s_delay_alu instid0(VALU_DEP_1)
	v_add_nc_u32_e32 v8, 16, v0
	s_clause 0x1
	scratch_load_b128 v[0:3], v8, off offset:-16
	scratch_load_b128 v[4:7], off, s25
	s_wait_loadcnt 0x1
	scratch_store_b128 off, v[0:3], s25
	s_wait_loadcnt 0x0
	scratch_store_b128 v8, v[4:7], off offset:-16
.LBB85_156:
	;; [unrolled: 33-line block ×9, first 2 shown]
	v_mov_b32_e32 v0, 0
	global_load_b32 v1, v0, s[2:3] offset:4
	s_wait_loadcnt 0x0
	v_cmp_eq_u32_e32 vcc_lo, 2, v1
	s_cbranch_vccnz .LBB85_186
; %bb.185:
	v_lshlrev_b32_e32 v1, 4, v1
	s_delay_alu instid0(VALU_DEP_1)
	v_add_nc_u32_e32 v9, 16, v1
	s_clause 0x1
	scratch_load_b128 v[1:4], v9, off offset:-16
	scratch_load_b128 v[5:8], off, s29
	s_wait_loadcnt 0x1
	scratch_store_b128 off, v[1:4], s29
	s_wait_loadcnt 0x0
	scratch_store_b128 v9, v[5:8], off offset:-16
.LBB85_186:
	global_load_b32 v0, v0, s[2:3]
	s_wait_loadcnt 0x0
	v_cmp_eq_u32_e32 vcc_lo, 1, v0
	s_cbranch_vccnz .LBB85_188
; %bb.187:
	v_lshlrev_b32_e32 v0, 4, v0
	s_delay_alu instid0(VALU_DEP_1)
	v_add_nc_u32_e32 v8, 16, v0
	scratch_load_b128 v[0:3], v8, off offset:-16
	scratch_load_b128 v[4:7], off, off offset:16
	s_wait_loadcnt 0x1
	scratch_store_b128 off, v[0:3], off offset:16
	s_wait_loadcnt 0x0
	scratch_store_b128 v8, v[4:7], off offset:-16
.LBB85_188:
	scratch_load_b128 v[0:3], off, off offset:16
	s_wait_loadcnt 0x0
	flat_store_b128 v[13:14], v[0:3]
	scratch_load_b128 v[0:3], off, s29
	s_wait_loadcnt 0x0
	flat_store_b128 v[15:16], v[0:3]
	scratch_load_b128 v[0:3], off, s28
	s_wait_loadcnt 0x0
	flat_store_b128 v[17:18], v[0:3]
	scratch_load_b128 v[0:3], off, s18
	s_wait_loadcnt 0x0
	flat_store_b128 v[19:20], v[0:3]
	scratch_load_b128 v[0:3], off, s19
	s_wait_loadcnt 0x0
	flat_store_b128 v[21:22], v[0:3]
	scratch_load_b128 v[0:3], off, s4
	s_wait_loadcnt 0x0
	flat_store_b128 v[23:24], v[0:3]
	scratch_load_b128 v[0:3], off, s20
	s_wait_loadcnt 0x0
	flat_store_b128 v[25:26], v[0:3]
	scratch_load_b128 v[0:3], off, s5
	s_wait_loadcnt 0x0
	flat_store_b128 v[27:28], v[0:3]
	scratch_load_b128 v[0:3], off, s21
	s_wait_loadcnt 0x0
	flat_store_b128 v[29:30], v[0:3]
	scratch_load_b128 v[0:3], off, s10
	s_wait_loadcnt 0x0
	flat_store_b128 v[31:32], v[0:3]
	scratch_load_b128 v[0:3], off, s22
	s_wait_loadcnt 0x0
	flat_store_b128 v[33:34], v[0:3]
	scratch_load_b128 v[0:3], off, s11
	s_wait_loadcnt 0x0
	flat_store_b128 v[35:36], v[0:3]
	scratch_load_b128 v[0:3], off, s23
	s_wait_loadcnt 0x0
	flat_store_b128 v[37:38], v[0:3]
	scratch_load_b128 v[0:3], off, s13
	s_wait_loadcnt 0x0
	flat_store_b128 v[39:40], v[0:3]
	scratch_load_b128 v[0:3], off, s24
	s_wait_loadcnt 0x0
	flat_store_b128 v[41:42], v[0:3]
	scratch_load_b128 v[0:3], off, s14
	s_wait_loadcnt 0x0
	flat_store_b128 v[43:44], v[0:3]
	scratch_load_b128 v[0:3], off, s25
	s_wait_loadcnt 0x0
	flat_store_b128 v[45:46], v[0:3]
	scratch_load_b128 v[0:3], off, s15
	s_wait_loadcnt 0x0
	flat_store_b128 v[47:48], v[0:3]
	scratch_load_b128 v[0:3], off, s26
	s_wait_loadcnt 0x0
	flat_store_b128 v[49:50], v[0:3]
	scratch_load_b128 v[0:3], off, s16
	s_wait_loadcnt 0x0
	flat_store_b128 v[51:52], v[0:3]
	scratch_load_b128 v[0:3], off, s27
	s_wait_loadcnt 0x0
	flat_store_b128 v[53:54], v[0:3]
	scratch_load_b128 v[0:3], off, s17
	s_wait_loadcnt 0x0
	flat_store_b128 v[55:56], v[0:3]
	s_nop 0
	s_sendmsg sendmsg(MSG_DEALLOC_VGPRS)
	s_endpgm
	.section	.rodata,"a",@progbits
	.p2align	6, 0x0
	.amdhsa_kernel _ZN9rocsolver6v33100L18getri_kernel_smallILi22E19rocblas_complex_numIdEPKPS3_EEvT1_iilPiilS8_bb
		.amdhsa_group_segment_fixed_size 712
		.amdhsa_private_segment_fixed_size 384
		.amdhsa_kernarg_size 60
		.amdhsa_user_sgpr_count 2
		.amdhsa_user_sgpr_dispatch_ptr 0
		.amdhsa_user_sgpr_queue_ptr 0
		.amdhsa_user_sgpr_kernarg_segment_ptr 1
		.amdhsa_user_sgpr_dispatch_id 0
		.amdhsa_user_sgpr_private_segment_size 0
		.amdhsa_wavefront_size32 1
		.amdhsa_uses_dynamic_stack 0
		.amdhsa_enable_private_segment 1
		.amdhsa_system_sgpr_workgroup_id_x 1
		.amdhsa_system_sgpr_workgroup_id_y 0
		.amdhsa_system_sgpr_workgroup_id_z 0
		.amdhsa_system_sgpr_workgroup_info 0
		.amdhsa_system_vgpr_workitem_id 0
		.amdhsa_next_free_vgpr 117
		.amdhsa_next_free_sgpr 34
		.amdhsa_reserve_vcc 1
		.amdhsa_float_round_mode_32 0
		.amdhsa_float_round_mode_16_64 0
		.amdhsa_float_denorm_mode_32 3
		.amdhsa_float_denorm_mode_16_64 3
		.amdhsa_fp16_overflow 0
		.amdhsa_workgroup_processor_mode 1
		.amdhsa_memory_ordered 1
		.amdhsa_forward_progress 1
		.amdhsa_inst_pref_size 220
		.amdhsa_round_robin_scheduling 0
		.amdhsa_exception_fp_ieee_invalid_op 0
		.amdhsa_exception_fp_denorm_src 0
		.amdhsa_exception_fp_ieee_div_zero 0
		.amdhsa_exception_fp_ieee_overflow 0
		.amdhsa_exception_fp_ieee_underflow 0
		.amdhsa_exception_fp_ieee_inexact 0
		.amdhsa_exception_int_div_zero 0
	.end_amdhsa_kernel
	.section	.text._ZN9rocsolver6v33100L18getri_kernel_smallILi22E19rocblas_complex_numIdEPKPS3_EEvT1_iilPiilS8_bb,"axG",@progbits,_ZN9rocsolver6v33100L18getri_kernel_smallILi22E19rocblas_complex_numIdEPKPS3_EEvT1_iilPiilS8_bb,comdat
.Lfunc_end85:
	.size	_ZN9rocsolver6v33100L18getri_kernel_smallILi22E19rocblas_complex_numIdEPKPS3_EEvT1_iilPiilS8_bb, .Lfunc_end85-_ZN9rocsolver6v33100L18getri_kernel_smallILi22E19rocblas_complex_numIdEPKPS3_EEvT1_iilPiilS8_bb
                                        ; -- End function
	.set _ZN9rocsolver6v33100L18getri_kernel_smallILi22E19rocblas_complex_numIdEPKPS3_EEvT1_iilPiilS8_bb.num_vgpr, 117
	.set _ZN9rocsolver6v33100L18getri_kernel_smallILi22E19rocblas_complex_numIdEPKPS3_EEvT1_iilPiilS8_bb.num_agpr, 0
	.set _ZN9rocsolver6v33100L18getri_kernel_smallILi22E19rocblas_complex_numIdEPKPS3_EEvT1_iilPiilS8_bb.numbered_sgpr, 34
	.set _ZN9rocsolver6v33100L18getri_kernel_smallILi22E19rocblas_complex_numIdEPKPS3_EEvT1_iilPiilS8_bb.num_named_barrier, 0
	.set _ZN9rocsolver6v33100L18getri_kernel_smallILi22E19rocblas_complex_numIdEPKPS3_EEvT1_iilPiilS8_bb.private_seg_size, 384
	.set _ZN9rocsolver6v33100L18getri_kernel_smallILi22E19rocblas_complex_numIdEPKPS3_EEvT1_iilPiilS8_bb.uses_vcc, 1
	.set _ZN9rocsolver6v33100L18getri_kernel_smallILi22E19rocblas_complex_numIdEPKPS3_EEvT1_iilPiilS8_bb.uses_flat_scratch, 1
	.set _ZN9rocsolver6v33100L18getri_kernel_smallILi22E19rocblas_complex_numIdEPKPS3_EEvT1_iilPiilS8_bb.has_dyn_sized_stack, 0
	.set _ZN9rocsolver6v33100L18getri_kernel_smallILi22E19rocblas_complex_numIdEPKPS3_EEvT1_iilPiilS8_bb.has_recursion, 0
	.set _ZN9rocsolver6v33100L18getri_kernel_smallILi22E19rocblas_complex_numIdEPKPS3_EEvT1_iilPiilS8_bb.has_indirect_call, 0
	.section	.AMDGPU.csdata,"",@progbits
; Kernel info:
; codeLenInByte = 28056
; TotalNumSgprs: 36
; NumVgprs: 117
; ScratchSize: 384
; MemoryBound: 0
; FloatMode: 240
; IeeeMode: 1
; LDSByteSize: 712 bytes/workgroup (compile time only)
; SGPRBlocks: 0
; VGPRBlocks: 14
; NumSGPRsForWavesPerEU: 36
; NumVGPRsForWavesPerEU: 117
; Occupancy: 12
; WaveLimiterHint : 1
; COMPUTE_PGM_RSRC2:SCRATCH_EN: 1
; COMPUTE_PGM_RSRC2:USER_SGPR: 2
; COMPUTE_PGM_RSRC2:TRAP_HANDLER: 0
; COMPUTE_PGM_RSRC2:TGID_X_EN: 1
; COMPUTE_PGM_RSRC2:TGID_Y_EN: 0
; COMPUTE_PGM_RSRC2:TGID_Z_EN: 0
; COMPUTE_PGM_RSRC2:TIDIG_COMP_CNT: 0
	.section	.text._ZN9rocsolver6v33100L18getri_kernel_smallILi23E19rocblas_complex_numIdEPKPS3_EEvT1_iilPiilS8_bb,"axG",@progbits,_ZN9rocsolver6v33100L18getri_kernel_smallILi23E19rocblas_complex_numIdEPKPS3_EEvT1_iilPiilS8_bb,comdat
	.globl	_ZN9rocsolver6v33100L18getri_kernel_smallILi23E19rocblas_complex_numIdEPKPS3_EEvT1_iilPiilS8_bb ; -- Begin function _ZN9rocsolver6v33100L18getri_kernel_smallILi23E19rocblas_complex_numIdEPKPS3_EEvT1_iilPiilS8_bb
	.p2align	8
	.type	_ZN9rocsolver6v33100L18getri_kernel_smallILi23E19rocblas_complex_numIdEPKPS3_EEvT1_iilPiilS8_bb,@function
_ZN9rocsolver6v33100L18getri_kernel_smallILi23E19rocblas_complex_numIdEPKPS3_EEvT1_iilPiilS8_bb: ; @_ZN9rocsolver6v33100L18getri_kernel_smallILi23E19rocblas_complex_numIdEPKPS3_EEvT1_iilPiilS8_bb
; %bb.0:
	s_mov_b32 s2, exec_lo
	v_cmpx_gt_u32_e32 23, v0
	s_cbranch_execz .LBB86_106
; %bb.1:
	s_clause 0x1
	s_load_b32 s13, s[0:1], 0x38
	s_load_b64 s[2:3], s[0:1], 0x0
	s_mov_b32 s8, ttmp9
	s_load_b128 s[4:7], s[0:1], 0x28
	s_wait_kmcnt 0x0
	s_bitcmp1_b32 s13, 8
	s_cselect_b32 s12, -1, 0
	s_ashr_i32 s9, ttmp9, 31
	s_delay_alu instid0(SALU_CYCLE_1) | instskip(NEXT) | instid1(SALU_CYCLE_1)
	s_lshl_b64 s[10:11], s[8:9], 3
	s_add_nc_u64 s[2:3], s[2:3], s[10:11]
	s_load_b64 s[10:11], s[2:3], 0x0
	s_bfe_u32 s2, s13, 0x10008
	s_delay_alu instid0(SALU_CYCLE_1)
	s_cmp_eq_u32 s2, 0
                                        ; implicit-def: $sgpr2_sgpr3
	s_cbranch_scc1 .LBB86_3
; %bb.2:
	s_load_b96 s[16:18], s[0:1], 0x18
	s_mul_u64 s[2:3], s[4:5], s[8:9]
	s_delay_alu instid0(SALU_CYCLE_1)
	s_lshl_b64 s[2:3], s[2:3], 2
	s_wait_kmcnt 0x0
	s_ashr_i32 s5, s18, 31
	s_mov_b32 s4, s18
	s_add_nc_u64 s[2:3], s[16:17], s[2:3]
	s_lshl_b64 s[4:5], s[4:5], 2
	s_delay_alu instid0(SALU_CYCLE_1)
	s_add_nc_u64 s[2:3], s[2:3], s[4:5]
.LBB86_3:
	s_clause 0x1
	s_load_b64 s[4:5], s[0:1], 0x8
	s_load_b32 s31, s[0:1], 0x38
	v_lshlrev_b32_e32 v59, 4, v0
	s_mov_b32 s30, 32
	s_mov_b32 s29, 48
	;; [unrolled: 1-line block ×3, first 2 shown]
	s_wait_kmcnt 0x0
	s_ashr_i32 s1, s4, 31
	s_mov_b32 s0, s4
	v_add3_u32 v5, s5, s5, v0
	s_lshl_b64 s[0:1], s[0:1], 4
	s_delay_alu instid0(SALU_CYCLE_1)
	s_add_nc_u64 s[0:1], s[10:11], s[0:1]
	s_ashr_i32 s11, s5, 31
	v_add_co_u32 v13, s4, s0, v59
	s_wait_alu 0xf1ff
	v_add_co_ci_u32_e64 v14, null, s1, 0, s4
	s_mov_b32 s10, s5
	v_ashrrev_i32_e32 v6, 31, v5
	s_lshl_b64 s[10:11], s[10:11], 4
	flat_load_b128 v[1:4], v[13:14]
	v_add_co_u32 v15, vcc_lo, v13, s10
	s_delay_alu instid0(VALU_DEP_1) | instskip(SKIP_3) | instid1(VALU_DEP_2)
	v_add_co_ci_u32_e64 v16, null, s11, v14, vcc_lo
	v_lshlrev_b64_e32 v[6:7], 4, v[5:6]
	v_add_nc_u32_e32 v5, s5, v5
	s_movk_i32 s4, 0x50
	v_add_co_u32 v17, vcc_lo, s0, v6
	s_wait_alu 0xfffd
	s_delay_alu instid0(VALU_DEP_3) | instskip(SKIP_1) | instid1(VALU_DEP_1)
	v_add_co_ci_u32_e64 v18, null, s1, v7, vcc_lo
	v_ashrrev_i32_e32 v6, 31, v5
	v_lshlrev_b64_e32 v[6:7], 4, v[5:6]
	v_add_nc_u32_e32 v5, s5, v5
	s_delay_alu instid0(VALU_DEP_2) | instskip(SKIP_1) | instid1(VALU_DEP_3)
	v_add_co_u32 v19, vcc_lo, s0, v6
	s_wait_alu 0xfffd
	v_add_co_ci_u32_e64 v20, null, s1, v7, vcc_lo
	s_delay_alu instid0(VALU_DEP_3) | instskip(NEXT) | instid1(VALU_DEP_1)
	v_ashrrev_i32_e32 v6, 31, v5
	v_lshlrev_b64_e32 v[6:7], 4, v[5:6]
	v_add_nc_u32_e32 v5, s5, v5
	s_delay_alu instid0(VALU_DEP_2) | instskip(SKIP_1) | instid1(VALU_DEP_3)
	v_add_co_u32 v21, vcc_lo, s0, v6
	s_wait_alu 0xfffd
	v_add_co_ci_u32_e64 v22, null, s1, v7, vcc_lo
	s_delay_alu instid0(VALU_DEP_3) | instskip(NEXT) | instid1(VALU_DEP_1)
	;; [unrolled: 8-line block ×19, first 2 shown]
	v_ashrrev_i32_e32 v6, 31, v5
	v_lshlrev_b64_e32 v[5:6], 4, v[5:6]
	s_delay_alu instid0(VALU_DEP_1) | instskip(SKIP_1) | instid1(VALU_DEP_2)
	v_add_co_u32 v57, vcc_lo, s0, v5
	s_wait_alu 0xfffd
	v_add_co_ci_u32_e64 v58, null, s1, v6, vcc_lo
	s_movk_i32 s0, 0x50
	s_movk_i32 s1, 0x60
	s_wait_alu 0xfffe
	s_add_co_i32 s20, s0, 16
	s_add_co_i32 s5, s1, 16
	s_movk_i32 s0, 0x70
	s_wait_loadcnt_dscnt 0x0
	scratch_store_b128 off, v[1:4], off offset:16
	flat_load_b128 v[1:4], v[15:16]
	s_movk_i32 s1, 0x80
	s_wait_alu 0xfffe
	s_add_co_i32 s21, s0, 16
	s_add_co_i32 s10, s1, 16
	s_movk_i32 s0, 0x90
	s_movk_i32 s1, 0xa0
	s_wait_alu 0xfffe
	s_add_co_i32 s22, s0, 16
	s_add_co_i32 s11, s1, 16
	s_movk_i32 s0, 0xb0
	;; [unrolled: 5-line block ×7, first 2 shown]
	s_movk_i32 s1, 0x160
	s_wait_alu 0xfffe
	s_add_co_i32 s28, s0, 16
	s_add_co_i32 s18, s1, 16
	s_bitcmp0_b32 s31, 0
	s_mov_b32 s1, -1
	s_wait_loadcnt_dscnt 0x0
	scratch_store_b128 off, v[1:4], off offset:32
	flat_load_b128 v[1:4], v[17:18]
	s_wait_loadcnt_dscnt 0x0
	scratch_store_b128 off, v[1:4], off offset:48
	flat_load_b128 v[1:4], v[19:20]
	;; [unrolled: 3-line block ×21, first 2 shown]
	s_wait_loadcnt_dscnt 0x0
	scratch_store_b128 off, v[1:4], off offset:368
	s_cbranch_scc1 .LBB86_104
; %bb.4:
	v_cmp_eq_u32_e64 s0, 0, v0
	s_and_saveexec_b32 s1, s0
; %bb.5:
	v_mov_b32_e32 v1, 0
	ds_store_b32 v1, v1 offset:736
; %bb.6:
	s_wait_alu 0xfffe
	s_or_b32 exec_lo, exec_lo, s1
	s_wait_storecnt_dscnt 0x0
	s_barrier_signal -1
	s_barrier_wait -1
	global_inv scope:SCOPE_SE
	scratch_load_b128 v[1:4], v59, off offset:16
	s_wait_loadcnt 0x0
	v_cmp_eq_f64_e32 vcc_lo, 0, v[1:2]
	v_cmp_eq_f64_e64 s1, 0, v[3:4]
	s_and_b32 s1, vcc_lo, s1
	s_wait_alu 0xfffe
	s_and_saveexec_b32 s31, s1
	s_cbranch_execz .LBB86_10
; %bb.7:
	v_mov_b32_e32 v1, 0
	s_mov_b32 s33, 0
	ds_load_b32 v2, v1 offset:736
	s_wait_dscnt 0x0
	v_readfirstlane_b32 s1, v2
	v_add_nc_u32_e32 v2, 1, v0
	s_cmp_eq_u32 s1, 0
	s_delay_alu instid0(VALU_DEP_1) | instskip(SKIP_1) | instid1(SALU_CYCLE_1)
	v_cmp_gt_i32_e32 vcc_lo, s1, v2
	s_cselect_b32 s34, -1, 0
	s_or_b32 s34, s34, vcc_lo
	s_delay_alu instid0(SALU_CYCLE_1)
	s_and_b32 exec_lo, exec_lo, s34
	s_cbranch_execz .LBB86_10
; %bb.8:
	v_mov_b32_e32 v3, s1
.LBB86_9:                               ; =>This Inner Loop Header: Depth=1
	ds_cmpstore_rtn_b32 v3, v1, v2, v3 offset:736
	s_wait_dscnt 0x0
	v_cmp_ne_u32_e32 vcc_lo, 0, v3
	v_cmp_le_i32_e64 s1, v3, v2
	s_and_b32 s1, vcc_lo, s1
	s_wait_alu 0xfffe
	s_and_b32 s1, exec_lo, s1
	s_wait_alu 0xfffe
	s_or_b32 s33, s1, s33
	s_delay_alu instid0(SALU_CYCLE_1)
	s_and_not1_b32 exec_lo, exec_lo, s33
	s_cbranch_execnz .LBB86_9
.LBB86_10:
	s_or_b32 exec_lo, exec_lo, s31
	v_mov_b32_e32 v1, 0
	s_barrier_signal -1
	s_barrier_wait -1
	global_inv scope:SCOPE_SE
	ds_load_b32 v2, v1 offset:736
	s_and_saveexec_b32 s1, s0
	s_cbranch_execz .LBB86_12
; %bb.11:
	s_lshl_b64 s[34:35], s[8:9], 2
	s_delay_alu instid0(SALU_CYCLE_1)
	s_add_nc_u64 s[34:35], s[6:7], s[34:35]
	s_wait_dscnt 0x0
	global_store_b32 v1, v2, s[34:35]
.LBB86_12:
	s_wait_alu 0xfffe
	s_or_b32 exec_lo, exec_lo, s1
	s_wait_dscnt 0x0
	v_cmp_ne_u32_e32 vcc_lo, 0, v2
	s_mov_b32 s1, 0
	s_cbranch_vccnz .LBB86_104
; %bb.13:
	v_add_nc_u32_e32 v60, 16, v59
                                        ; implicit-def: $vgpr1_vgpr2
                                        ; implicit-def: $vgpr9_vgpr10
	scratch_load_b128 v[5:8], v60, off
	s_wait_loadcnt 0x0
	v_cmp_ngt_f64_e64 s1, |v[5:6]|, |v[7:8]|
	s_wait_alu 0xfffe
	s_and_saveexec_b32 s31, s1
	s_delay_alu instid0(SALU_CYCLE_1)
	s_xor_b32 s1, exec_lo, s31
	s_cbranch_execz .LBB86_15
; %bb.14:
	v_div_scale_f64 v[1:2], null, v[7:8], v[7:8], v[5:6]
	v_div_scale_f64 v[11:12], vcc_lo, v[5:6], v[7:8], v[5:6]
	s_delay_alu instid0(VALU_DEP_2) | instskip(NEXT) | instid1(TRANS32_DEP_1)
	v_rcp_f64_e32 v[3:4], v[1:2]
	v_fma_f64 v[9:10], -v[1:2], v[3:4], 1.0
	s_delay_alu instid0(VALU_DEP_1) | instskip(NEXT) | instid1(VALU_DEP_1)
	v_fma_f64 v[3:4], v[3:4], v[9:10], v[3:4]
	v_fma_f64 v[9:10], -v[1:2], v[3:4], 1.0
	s_delay_alu instid0(VALU_DEP_1) | instskip(NEXT) | instid1(VALU_DEP_1)
	v_fma_f64 v[3:4], v[3:4], v[9:10], v[3:4]
	v_mul_f64_e32 v[9:10], v[11:12], v[3:4]
	s_delay_alu instid0(VALU_DEP_1) | instskip(SKIP_1) | instid1(VALU_DEP_1)
	v_fma_f64 v[1:2], -v[1:2], v[9:10], v[11:12]
	s_wait_alu 0xfffd
	v_div_fmas_f64 v[1:2], v[1:2], v[3:4], v[9:10]
	s_delay_alu instid0(VALU_DEP_1) | instskip(NEXT) | instid1(VALU_DEP_1)
	v_div_fixup_f64 v[1:2], v[1:2], v[7:8], v[5:6]
	v_fma_f64 v[3:4], v[5:6], v[1:2], v[7:8]
	s_delay_alu instid0(VALU_DEP_1) | instskip(SKIP_1) | instid1(VALU_DEP_2)
	v_div_scale_f64 v[5:6], null, v[3:4], v[3:4], 1.0
	v_div_scale_f64 v[11:12], vcc_lo, 1.0, v[3:4], 1.0
	v_rcp_f64_e32 v[7:8], v[5:6]
	s_delay_alu instid0(TRANS32_DEP_1) | instskip(NEXT) | instid1(VALU_DEP_1)
	v_fma_f64 v[9:10], -v[5:6], v[7:8], 1.0
	v_fma_f64 v[7:8], v[7:8], v[9:10], v[7:8]
	s_delay_alu instid0(VALU_DEP_1) | instskip(NEXT) | instid1(VALU_DEP_1)
	v_fma_f64 v[9:10], -v[5:6], v[7:8], 1.0
	v_fma_f64 v[7:8], v[7:8], v[9:10], v[7:8]
	s_delay_alu instid0(VALU_DEP_1) | instskip(NEXT) | instid1(VALU_DEP_1)
	v_mul_f64_e32 v[9:10], v[11:12], v[7:8]
	v_fma_f64 v[5:6], -v[5:6], v[9:10], v[11:12]
	s_wait_alu 0xfffd
	s_delay_alu instid0(VALU_DEP_1) | instskip(NEXT) | instid1(VALU_DEP_1)
	v_div_fmas_f64 v[5:6], v[5:6], v[7:8], v[9:10]
	v_div_fixup_f64 v[3:4], v[5:6], v[3:4], 1.0
                                        ; implicit-def: $vgpr5_vgpr6
	s_delay_alu instid0(VALU_DEP_1) | instskip(SKIP_1) | instid1(VALU_DEP_2)
	v_mul_f64_e32 v[1:2], v[1:2], v[3:4]
	v_xor_b32_e32 v4, 0x80000000, v4
	v_xor_b32_e32 v10, 0x80000000, v2
	s_delay_alu instid0(VALU_DEP_3)
	v_mov_b32_e32 v9, v1
.LBB86_15:
	s_wait_alu 0xfffe
	s_and_not1_saveexec_b32 s1, s1
	s_cbranch_execz .LBB86_17
; %bb.16:
	v_div_scale_f64 v[1:2], null, v[5:6], v[5:6], v[7:8]
	v_div_scale_f64 v[11:12], vcc_lo, v[7:8], v[5:6], v[7:8]
	s_delay_alu instid0(VALU_DEP_2) | instskip(NEXT) | instid1(TRANS32_DEP_1)
	v_rcp_f64_e32 v[3:4], v[1:2]
	v_fma_f64 v[9:10], -v[1:2], v[3:4], 1.0
	s_delay_alu instid0(VALU_DEP_1) | instskip(NEXT) | instid1(VALU_DEP_1)
	v_fma_f64 v[3:4], v[3:4], v[9:10], v[3:4]
	v_fma_f64 v[9:10], -v[1:2], v[3:4], 1.0
	s_delay_alu instid0(VALU_DEP_1) | instskip(NEXT) | instid1(VALU_DEP_1)
	v_fma_f64 v[3:4], v[3:4], v[9:10], v[3:4]
	v_mul_f64_e32 v[9:10], v[11:12], v[3:4]
	s_delay_alu instid0(VALU_DEP_1) | instskip(SKIP_1) | instid1(VALU_DEP_1)
	v_fma_f64 v[1:2], -v[1:2], v[9:10], v[11:12]
	s_wait_alu 0xfffd
	v_div_fmas_f64 v[1:2], v[1:2], v[3:4], v[9:10]
	s_delay_alu instid0(VALU_DEP_1) | instskip(NEXT) | instid1(VALU_DEP_1)
	v_div_fixup_f64 v[3:4], v[1:2], v[5:6], v[7:8]
	v_fma_f64 v[1:2], v[7:8], v[3:4], v[5:6]
	s_delay_alu instid0(VALU_DEP_1) | instskip(NEXT) | instid1(VALU_DEP_1)
	v_div_scale_f64 v[5:6], null, v[1:2], v[1:2], 1.0
	v_rcp_f64_e32 v[7:8], v[5:6]
	s_delay_alu instid0(TRANS32_DEP_1) | instskip(NEXT) | instid1(VALU_DEP_1)
	v_fma_f64 v[9:10], -v[5:6], v[7:8], 1.0
	v_fma_f64 v[7:8], v[7:8], v[9:10], v[7:8]
	s_delay_alu instid0(VALU_DEP_1) | instskip(NEXT) | instid1(VALU_DEP_1)
	v_fma_f64 v[9:10], -v[5:6], v[7:8], 1.0
	v_fma_f64 v[7:8], v[7:8], v[9:10], v[7:8]
	v_div_scale_f64 v[9:10], vcc_lo, 1.0, v[1:2], 1.0
	s_delay_alu instid0(VALU_DEP_1) | instskip(NEXT) | instid1(VALU_DEP_1)
	v_mul_f64_e32 v[11:12], v[9:10], v[7:8]
	v_fma_f64 v[5:6], -v[5:6], v[11:12], v[9:10]
	s_wait_alu 0xfffd
	s_delay_alu instid0(VALU_DEP_1) | instskip(NEXT) | instid1(VALU_DEP_1)
	v_div_fmas_f64 v[5:6], v[5:6], v[7:8], v[11:12]
	v_div_fixup_f64 v[1:2], v[5:6], v[1:2], 1.0
	s_delay_alu instid0(VALU_DEP_1)
	v_mul_f64_e64 v[3:4], v[3:4], -v[1:2]
	v_xor_b32_e32 v10, 0x80000000, v2
	v_mov_b32_e32 v9, v1
.LBB86_17:
	s_wait_alu 0xfffe
	s_or_b32 exec_lo, exec_lo, s1
	scratch_store_b128 v60, v[1:4], off
	scratch_load_b128 v[61:64], off, s30
	v_xor_b32_e32 v12, 0x80000000, v4
	v_mov_b32_e32 v11, v3
	v_add_nc_u32_e32 v5, 0x170, v59
	ds_store_b128 v59, v[9:12]
	s_wait_loadcnt 0x0
	ds_store_b128 v59, v[61:64] offset:368
	s_wait_storecnt_dscnt 0x0
	s_barrier_signal -1
	s_barrier_wait -1
	global_inv scope:SCOPE_SE
	s_and_saveexec_b32 s1, s0
	s_cbranch_execz .LBB86_19
; %bb.18:
	scratch_load_b128 v[1:4], v60, off
	ds_load_b128 v[6:9], v5
	v_mov_b32_e32 v10, 0
	ds_load_b128 v[61:64], v10 offset:16
	s_wait_loadcnt_dscnt 0x1
	v_mul_f64_e32 v[10:11], v[6:7], v[3:4]
	v_mul_f64_e32 v[3:4], v[8:9], v[3:4]
	s_delay_alu instid0(VALU_DEP_2) | instskip(NEXT) | instid1(VALU_DEP_2)
	v_fma_f64 v[8:9], v[8:9], v[1:2], v[10:11]
	v_fma_f64 v[1:2], v[6:7], v[1:2], -v[3:4]
	s_delay_alu instid0(VALU_DEP_2) | instskip(NEXT) | instid1(VALU_DEP_2)
	v_add_f64_e32 v[3:4], 0, v[8:9]
	v_add_f64_e32 v[1:2], 0, v[1:2]
	s_wait_dscnt 0x0
	s_delay_alu instid0(VALU_DEP_2) | instskip(NEXT) | instid1(VALU_DEP_2)
	v_mul_f64_e32 v[6:7], v[3:4], v[63:64]
	v_mul_f64_e32 v[8:9], v[1:2], v[63:64]
	s_delay_alu instid0(VALU_DEP_2) | instskip(NEXT) | instid1(VALU_DEP_2)
	v_fma_f64 v[1:2], v[1:2], v[61:62], -v[6:7]
	v_fma_f64 v[3:4], v[3:4], v[61:62], v[8:9]
	scratch_store_b128 off, v[1:4], off offset:32
.LBB86_19:
	s_wait_alu 0xfffe
	s_or_b32 exec_lo, exec_lo, s1
	s_wait_loadcnt 0x0
	s_wait_storecnt 0x0
	s_barrier_signal -1
	s_barrier_wait -1
	global_inv scope:SCOPE_SE
	scratch_load_b128 v[1:4], off, s29
	s_mov_b32 s1, exec_lo
	s_wait_loadcnt 0x0
	ds_store_b128 v5, v[1:4]
	s_wait_dscnt 0x0
	s_barrier_signal -1
	s_barrier_wait -1
	global_inv scope:SCOPE_SE
	v_cmpx_gt_u32_e32 2, v0
	s_cbranch_execz .LBB86_23
; %bb.20:
	scratch_load_b128 v[1:4], v60, off
	ds_load_b128 v[6:9], v5
	s_wait_loadcnt_dscnt 0x0
	v_mul_f64_e32 v[10:11], v[8:9], v[3:4]
	v_mul_f64_e32 v[3:4], v[6:7], v[3:4]
	s_delay_alu instid0(VALU_DEP_2) | instskip(NEXT) | instid1(VALU_DEP_2)
	v_fma_f64 v[6:7], v[6:7], v[1:2], -v[10:11]
	v_fma_f64 v[3:4], v[8:9], v[1:2], v[3:4]
	s_delay_alu instid0(VALU_DEP_2) | instskip(NEXT) | instid1(VALU_DEP_2)
	v_add_f64_e32 v[1:2], 0, v[6:7]
	v_add_f64_e32 v[3:4], 0, v[3:4]
	s_and_saveexec_b32 s31, s0
	s_cbranch_execz .LBB86_22
; %bb.21:
	scratch_load_b128 v[6:9], off, off offset:32
	v_mov_b32_e32 v10, 0
	ds_load_b128 v[61:64], v10 offset:384
	s_wait_loadcnt_dscnt 0x0
	v_mul_f64_e32 v[10:11], v[61:62], v[8:9]
	v_mul_f64_e32 v[8:9], v[63:64], v[8:9]
	s_delay_alu instid0(VALU_DEP_2) | instskip(NEXT) | instid1(VALU_DEP_2)
	v_fma_f64 v[10:11], v[63:64], v[6:7], v[10:11]
	v_fma_f64 v[6:7], v[61:62], v[6:7], -v[8:9]
	s_delay_alu instid0(VALU_DEP_2) | instskip(NEXT) | instid1(VALU_DEP_2)
	v_add_f64_e32 v[3:4], v[3:4], v[10:11]
	v_add_f64_e32 v[1:2], v[1:2], v[6:7]
.LBB86_22:
	s_or_b32 exec_lo, exec_lo, s31
	v_mov_b32_e32 v6, 0
	ds_load_b128 v[6:9], v6 offset:32
	s_wait_dscnt 0x0
	v_mul_f64_e32 v[10:11], v[3:4], v[8:9]
	v_mul_f64_e32 v[8:9], v[1:2], v[8:9]
	s_delay_alu instid0(VALU_DEP_2) | instskip(NEXT) | instid1(VALU_DEP_2)
	v_fma_f64 v[1:2], v[1:2], v[6:7], -v[10:11]
	v_fma_f64 v[3:4], v[3:4], v[6:7], v[8:9]
	scratch_store_b128 off, v[1:4], off offset:48
.LBB86_23:
	s_wait_alu 0xfffe
	s_or_b32 exec_lo, exec_lo, s1
	s_wait_loadcnt 0x0
	s_wait_storecnt 0x0
	s_barrier_signal -1
	s_barrier_wait -1
	global_inv scope:SCOPE_SE
	scratch_load_b128 v[1:4], off, s19
	v_add_nc_u32_e32 v6, -1, v0
	s_mov_b32 s0, exec_lo
	s_wait_loadcnt 0x0
	ds_store_b128 v5, v[1:4]
	s_wait_dscnt 0x0
	s_barrier_signal -1
	s_barrier_wait -1
	global_inv scope:SCOPE_SE
	v_cmpx_gt_u32_e32 3, v0
	s_cbranch_execz .LBB86_27
; %bb.24:
	v_dual_mov_b32 v1, 0 :: v_dual_add_nc_u32 v8, 0x170, v59
	v_mov_b32_e32 v3, 0
	v_dual_mov_b32 v2, 0 :: v_dual_add_nc_u32 v7, -1, v0
	v_mov_b32_e32 v4, 0
	v_or_b32_e32 v9, 8, v60
	s_mov_b32 s1, 0
.LBB86_25:                              ; =>This Inner Loop Header: Depth=1
	scratch_load_b128 v[61:64], v9, off offset:-8
	ds_load_b128 v[65:68], v8
	v_add_nc_u32_e32 v7, 1, v7
	v_add_nc_u32_e32 v8, 16, v8
	v_add_nc_u32_e32 v9, 16, v9
	s_delay_alu instid0(VALU_DEP_3)
	v_cmp_lt_u32_e32 vcc_lo, 1, v7
	s_wait_alu 0xfffe
	s_or_b32 s1, vcc_lo, s1
	s_wait_loadcnt_dscnt 0x0
	v_mul_f64_e32 v[10:11], v[67:68], v[63:64]
	v_mul_f64_e32 v[63:64], v[65:66], v[63:64]
	s_delay_alu instid0(VALU_DEP_2) | instskip(NEXT) | instid1(VALU_DEP_2)
	v_fma_f64 v[10:11], v[65:66], v[61:62], -v[10:11]
	v_fma_f64 v[61:62], v[67:68], v[61:62], v[63:64]
	s_delay_alu instid0(VALU_DEP_2) | instskip(NEXT) | instid1(VALU_DEP_2)
	v_add_f64_e32 v[3:4], v[3:4], v[10:11]
	v_add_f64_e32 v[1:2], v[1:2], v[61:62]
	s_wait_alu 0xfffe
	s_and_not1_b32 exec_lo, exec_lo, s1
	s_cbranch_execnz .LBB86_25
; %bb.26:
	s_or_b32 exec_lo, exec_lo, s1
	v_mov_b32_e32 v7, 0
	ds_load_b128 v[7:10], v7 offset:48
	s_wait_dscnt 0x0
	v_mul_f64_e32 v[11:12], v[1:2], v[9:10]
	v_mul_f64_e32 v[61:62], v[3:4], v[9:10]
	s_delay_alu instid0(VALU_DEP_2) | instskip(NEXT) | instid1(VALU_DEP_2)
	v_fma_f64 v[9:10], v[3:4], v[7:8], -v[11:12]
	v_fma_f64 v[11:12], v[1:2], v[7:8], v[61:62]
	scratch_store_b128 off, v[9:12], off offset:64
.LBB86_27:
	s_wait_alu 0xfffe
	s_or_b32 exec_lo, exec_lo, s0
	s_wait_loadcnt 0x0
	s_wait_storecnt 0x0
	s_barrier_signal -1
	s_barrier_wait -1
	global_inv scope:SCOPE_SE
	scratch_load_b128 v[1:4], off, s4
	s_mov_b32 s0, exec_lo
	s_wait_loadcnt 0x0
	ds_store_b128 v5, v[1:4]
	s_wait_dscnt 0x0
	s_barrier_signal -1
	s_barrier_wait -1
	global_inv scope:SCOPE_SE
	v_cmpx_gt_u32_e32 4, v0
	s_cbranch_execz .LBB86_31
; %bb.28:
	v_dual_mov_b32 v1, 0 :: v_dual_add_nc_u32 v8, 0x170, v59
	v_mov_b32_e32 v3, 0
	v_dual_mov_b32 v2, 0 :: v_dual_add_nc_u32 v7, -1, v0
	v_mov_b32_e32 v4, 0
	v_or_b32_e32 v9, 8, v60
	s_mov_b32 s1, 0
.LBB86_29:                              ; =>This Inner Loop Header: Depth=1
	scratch_load_b128 v[61:64], v9, off offset:-8
	ds_load_b128 v[65:68], v8
	v_add_nc_u32_e32 v7, 1, v7
	v_add_nc_u32_e32 v8, 16, v8
	v_add_nc_u32_e32 v9, 16, v9
	s_delay_alu instid0(VALU_DEP_3)
	v_cmp_lt_u32_e32 vcc_lo, 2, v7
	s_wait_alu 0xfffe
	s_or_b32 s1, vcc_lo, s1
	s_wait_loadcnt_dscnt 0x0
	v_mul_f64_e32 v[10:11], v[67:68], v[63:64]
	v_mul_f64_e32 v[63:64], v[65:66], v[63:64]
	s_delay_alu instid0(VALU_DEP_2) | instskip(NEXT) | instid1(VALU_DEP_2)
	v_fma_f64 v[10:11], v[65:66], v[61:62], -v[10:11]
	v_fma_f64 v[61:62], v[67:68], v[61:62], v[63:64]
	s_delay_alu instid0(VALU_DEP_2) | instskip(NEXT) | instid1(VALU_DEP_2)
	v_add_f64_e32 v[3:4], v[3:4], v[10:11]
	v_add_f64_e32 v[1:2], v[1:2], v[61:62]
	s_wait_alu 0xfffe
	s_and_not1_b32 exec_lo, exec_lo, s1
	s_cbranch_execnz .LBB86_29
; %bb.30:
	s_or_b32 exec_lo, exec_lo, s1
	v_mov_b32_e32 v7, 0
	ds_load_b128 v[7:10], v7 offset:64
	s_wait_dscnt 0x0
	v_mul_f64_e32 v[11:12], v[1:2], v[9:10]
	v_mul_f64_e32 v[61:62], v[3:4], v[9:10]
	s_delay_alu instid0(VALU_DEP_2) | instskip(NEXT) | instid1(VALU_DEP_2)
	v_fma_f64 v[9:10], v[3:4], v[7:8], -v[11:12]
	v_fma_f64 v[11:12], v[1:2], v[7:8], v[61:62]
	scratch_store_b128 off, v[9:12], off offset:80
.LBB86_31:
	s_wait_alu 0xfffe
	s_or_b32 exec_lo, exec_lo, s0
	s_wait_loadcnt 0x0
	s_wait_storecnt 0x0
	s_barrier_signal -1
	s_barrier_wait -1
	global_inv scope:SCOPE_SE
	scratch_load_b128 v[1:4], off, s20
	;; [unrolled: 58-line block ×19, first 2 shown]
	s_mov_b32 s0, exec_lo
	s_wait_loadcnt 0x0
	ds_store_b128 v5, v[1:4]
	s_wait_dscnt 0x0
	s_barrier_signal -1
	s_barrier_wait -1
	global_inv scope:SCOPE_SE
	v_cmpx_ne_u32_e32 22, v0
	s_cbranch_execz .LBB86_103
; %bb.100:
	v_mov_b32_e32 v1, 0
	v_dual_mov_b32 v2, 0 :: v_dual_mov_b32 v3, 0
	v_mov_b32_e32 v4, 0
	v_or_b32_e32 v7, 8, v60
	s_mov_b32 s1, 0
.LBB86_101:                             ; =>This Inner Loop Header: Depth=1
	scratch_load_b128 v[8:11], v7, off offset:-8
	ds_load_b128 v[59:62], v5
	v_add_nc_u32_e32 v6, 1, v6
	v_add_nc_u32_e32 v5, 16, v5
	;; [unrolled: 1-line block ×3, first 2 shown]
	s_delay_alu instid0(VALU_DEP_3)
	v_cmp_lt_u32_e32 vcc_lo, 20, v6
	s_wait_alu 0xfffe
	s_or_b32 s1, vcc_lo, s1
	s_wait_loadcnt_dscnt 0x0
	v_mul_f64_e32 v[63:64], v[61:62], v[10:11]
	v_mul_f64_e32 v[10:11], v[59:60], v[10:11]
	s_delay_alu instid0(VALU_DEP_2) | instskip(NEXT) | instid1(VALU_DEP_2)
	v_fma_f64 v[59:60], v[59:60], v[8:9], -v[63:64]
	v_fma_f64 v[8:9], v[61:62], v[8:9], v[10:11]
	s_delay_alu instid0(VALU_DEP_2) | instskip(NEXT) | instid1(VALU_DEP_2)
	v_add_f64_e32 v[3:4], v[3:4], v[59:60]
	v_add_f64_e32 v[1:2], v[1:2], v[8:9]
	s_wait_alu 0xfffe
	s_and_not1_b32 exec_lo, exec_lo, s1
	s_cbranch_execnz .LBB86_101
; %bb.102:
	s_or_b32 exec_lo, exec_lo, s1
	v_mov_b32_e32 v5, 0
	ds_load_b128 v[5:8], v5 offset:352
	s_wait_dscnt 0x0
	v_mul_f64_e32 v[9:10], v[1:2], v[7:8]
	v_mul_f64_e32 v[7:8], v[3:4], v[7:8]
	s_delay_alu instid0(VALU_DEP_2) | instskip(NEXT) | instid1(VALU_DEP_2)
	v_fma_f64 v[3:4], v[3:4], v[5:6], -v[9:10]
	v_fma_f64 v[5:6], v[1:2], v[5:6], v[7:8]
	scratch_store_b128 off, v[3:6], off offset:368
.LBB86_103:
	s_wait_alu 0xfffe
	s_or_b32 exec_lo, exec_lo, s0
	s_mov_b32 s1, -1
	s_wait_loadcnt 0x0
	s_wait_storecnt 0x0
	s_barrier_signal -1
	s_barrier_wait -1
	global_inv scope:SCOPE_SE
.LBB86_104:
	s_wait_alu 0xfffe
	s_and_b32 vcc_lo, exec_lo, s1
	s_wait_alu 0xfffe
	s_cbranch_vccz .LBB86_106
; %bb.105:
	v_mov_b32_e32 v1, 0
	s_lshl_b64 s[0:1], s[8:9], 2
	s_wait_alu 0xfffe
	s_add_nc_u64 s[0:1], s[6:7], s[0:1]
	global_load_b32 v1, v1, s[0:1]
	s_wait_loadcnt 0x0
	v_cmp_ne_u32_e32 vcc_lo, 0, v1
	s_cbranch_vccz .LBB86_107
.LBB86_106:
	s_nop 0
	s_sendmsg sendmsg(MSG_DEALLOC_VGPRS)
	s_endpgm
.LBB86_107:
	v_lshl_add_u32 v5, v0, 4, 0x170
	s_mov_b32 s0, exec_lo
	v_cmpx_eq_u32_e32 22, v0
	s_cbranch_execz .LBB86_109
; %bb.108:
	scratch_load_b128 v[1:4], off, s28
	v_mov_b32_e32 v6, 0
	s_delay_alu instid0(VALU_DEP_1)
	v_dual_mov_b32 v7, v6 :: v_dual_mov_b32 v8, v6
	v_mov_b32_e32 v9, v6
	scratch_store_b128 off, v[6:9], off offset:352
	s_wait_loadcnt 0x0
	ds_store_b128 v5, v[1:4]
.LBB86_109:
	s_wait_alu 0xfffe
	s_or_b32 exec_lo, exec_lo, s0
	s_wait_storecnt_dscnt 0x0
	s_barrier_signal -1
	s_barrier_wait -1
	global_inv scope:SCOPE_SE
	s_clause 0x1
	scratch_load_b128 v[6:9], off, off offset:368
	scratch_load_b128 v[59:62], off, off offset:352
	v_mov_b32_e32 v1, 0
	s_mov_b32 s0, exec_lo
	ds_load_b128 v[63:66], v1 offset:720
	s_wait_loadcnt_dscnt 0x100
	v_mul_f64_e32 v[2:3], v[65:66], v[8:9]
	v_mul_f64_e32 v[8:9], v[63:64], v[8:9]
	s_delay_alu instid0(VALU_DEP_2) | instskip(NEXT) | instid1(VALU_DEP_2)
	v_fma_f64 v[2:3], v[63:64], v[6:7], -v[2:3]
	v_fma_f64 v[6:7], v[65:66], v[6:7], v[8:9]
	s_delay_alu instid0(VALU_DEP_2) | instskip(NEXT) | instid1(VALU_DEP_2)
	v_add_f64_e32 v[2:3], 0, v[2:3]
	v_add_f64_e32 v[8:9], 0, v[6:7]
	s_wait_loadcnt 0x0
	s_delay_alu instid0(VALU_DEP_2) | instskip(NEXT) | instid1(VALU_DEP_2)
	v_add_f64_e64 v[6:7], v[59:60], -v[2:3]
	v_add_f64_e64 v[8:9], v[61:62], -v[8:9]
	scratch_store_b128 off, v[6:9], off offset:352
	v_cmpx_lt_u32_e32 20, v0
	s_cbranch_execz .LBB86_111
; %bb.110:
	scratch_load_b128 v[6:9], off, s17
	v_dual_mov_b32 v2, v1 :: v_dual_mov_b32 v3, v1
	v_mov_b32_e32 v4, v1
	scratch_store_b128 off, v[1:4], off offset:336
	s_wait_loadcnt 0x0
	ds_store_b128 v5, v[6:9]
.LBB86_111:
	s_wait_alu 0xfffe
	s_or_b32 exec_lo, exec_lo, s0
	s_wait_storecnt_dscnt 0x0
	s_barrier_signal -1
	s_barrier_wait -1
	global_inv scope:SCOPE_SE
	s_clause 0x2
	scratch_load_b128 v[6:9], off, off offset:352
	scratch_load_b128 v[59:62], off, off offset:368
	scratch_load_b128 v[63:66], off, off offset:336
	ds_load_b128 v[67:70], v1 offset:704
	ds_load_b128 v[1:4], v1 offset:720
	s_mov_b32 s0, exec_lo
	s_wait_loadcnt_dscnt 0x201
	v_mul_f64_e32 v[10:11], v[69:70], v[8:9]
	v_mul_f64_e32 v[8:9], v[67:68], v[8:9]
	s_wait_loadcnt_dscnt 0x100
	v_mul_f64_e32 v[71:72], v[1:2], v[61:62]
	v_mul_f64_e32 v[61:62], v[3:4], v[61:62]
	s_delay_alu instid0(VALU_DEP_4) | instskip(NEXT) | instid1(VALU_DEP_4)
	v_fma_f64 v[10:11], v[67:68], v[6:7], -v[10:11]
	v_fma_f64 v[6:7], v[69:70], v[6:7], v[8:9]
	s_delay_alu instid0(VALU_DEP_4) | instskip(NEXT) | instid1(VALU_DEP_4)
	v_fma_f64 v[3:4], v[3:4], v[59:60], v[71:72]
	v_fma_f64 v[1:2], v[1:2], v[59:60], -v[61:62]
	s_delay_alu instid0(VALU_DEP_4) | instskip(NEXT) | instid1(VALU_DEP_4)
	v_add_f64_e32 v[8:9], 0, v[10:11]
	v_add_f64_e32 v[6:7], 0, v[6:7]
	s_delay_alu instid0(VALU_DEP_2) | instskip(NEXT) | instid1(VALU_DEP_2)
	v_add_f64_e32 v[1:2], v[8:9], v[1:2]
	v_add_f64_e32 v[3:4], v[6:7], v[3:4]
	s_wait_loadcnt 0x0
	s_delay_alu instid0(VALU_DEP_2) | instskip(NEXT) | instid1(VALU_DEP_2)
	v_add_f64_e64 v[1:2], v[63:64], -v[1:2]
	v_add_f64_e64 v[3:4], v[65:66], -v[3:4]
	scratch_store_b128 off, v[1:4], off offset:336
	v_cmpx_lt_u32_e32 19, v0
	s_cbranch_execz .LBB86_113
; %bb.112:
	scratch_load_b128 v[1:4], off, s27
	v_mov_b32_e32 v6, 0
	s_delay_alu instid0(VALU_DEP_1)
	v_dual_mov_b32 v7, v6 :: v_dual_mov_b32 v8, v6
	v_mov_b32_e32 v9, v6
	scratch_store_b128 off, v[6:9], off offset:320
	s_wait_loadcnt 0x0
	ds_store_b128 v5, v[1:4]
.LBB86_113:
	s_wait_alu 0xfffe
	s_or_b32 exec_lo, exec_lo, s0
	s_wait_storecnt_dscnt 0x0
	s_barrier_signal -1
	s_barrier_wait -1
	global_inv scope:SCOPE_SE
	s_clause 0x3
	scratch_load_b128 v[6:9], off, off offset:336
	scratch_load_b128 v[59:62], off, off offset:352
	;; [unrolled: 1-line block ×4, first 2 shown]
	v_mov_b32_e32 v1, 0
	ds_load_b128 v[71:74], v1 offset:688
	ds_load_b128 v[75:78], v1 offset:704
	s_mov_b32 s0, exec_lo
	s_wait_loadcnt_dscnt 0x301
	v_mul_f64_e32 v[2:3], v[73:74], v[8:9]
	v_mul_f64_e32 v[8:9], v[71:72], v[8:9]
	s_wait_loadcnt_dscnt 0x200
	v_mul_f64_e32 v[10:11], v[75:76], v[61:62]
	v_mul_f64_e32 v[61:62], v[77:78], v[61:62]
	s_delay_alu instid0(VALU_DEP_4) | instskip(NEXT) | instid1(VALU_DEP_4)
	v_fma_f64 v[2:3], v[71:72], v[6:7], -v[2:3]
	v_fma_f64 v[71:72], v[73:74], v[6:7], v[8:9]
	ds_load_b128 v[6:9], v1 offset:720
	v_fma_f64 v[10:11], v[77:78], v[59:60], v[10:11]
	v_fma_f64 v[59:60], v[75:76], v[59:60], -v[61:62]
	s_wait_loadcnt_dscnt 0x100
	v_mul_f64_e32 v[73:74], v[6:7], v[65:66]
	v_mul_f64_e32 v[65:66], v[8:9], v[65:66]
	v_add_f64_e32 v[2:3], 0, v[2:3]
	v_add_f64_e32 v[61:62], 0, v[71:72]
	s_delay_alu instid0(VALU_DEP_4) | instskip(NEXT) | instid1(VALU_DEP_4)
	v_fma_f64 v[8:9], v[8:9], v[63:64], v[73:74]
	v_fma_f64 v[6:7], v[6:7], v[63:64], -v[65:66]
	s_delay_alu instid0(VALU_DEP_4) | instskip(NEXT) | instid1(VALU_DEP_4)
	v_add_f64_e32 v[2:3], v[2:3], v[59:60]
	v_add_f64_e32 v[10:11], v[61:62], v[10:11]
	s_delay_alu instid0(VALU_DEP_2) | instskip(NEXT) | instid1(VALU_DEP_2)
	v_add_f64_e32 v[2:3], v[2:3], v[6:7]
	v_add_f64_e32 v[8:9], v[10:11], v[8:9]
	s_wait_loadcnt 0x0
	s_delay_alu instid0(VALU_DEP_2) | instskip(NEXT) | instid1(VALU_DEP_2)
	v_add_f64_e64 v[6:7], v[67:68], -v[2:3]
	v_add_f64_e64 v[8:9], v[69:70], -v[8:9]
	scratch_store_b128 off, v[6:9], off offset:320
	v_cmpx_lt_u32_e32 18, v0
	s_cbranch_execz .LBB86_115
; %bb.114:
	scratch_load_b128 v[6:9], off, s16
	v_dual_mov_b32 v2, v1 :: v_dual_mov_b32 v3, v1
	v_mov_b32_e32 v4, v1
	scratch_store_b128 off, v[1:4], off offset:304
	s_wait_loadcnt 0x0
	ds_store_b128 v5, v[6:9]
.LBB86_115:
	s_wait_alu 0xfffe
	s_or_b32 exec_lo, exec_lo, s0
	s_wait_storecnt_dscnt 0x0
	s_barrier_signal -1
	s_barrier_wait -1
	global_inv scope:SCOPE_SE
	s_clause 0x4
	scratch_load_b128 v[6:9], off, off offset:320
	scratch_load_b128 v[59:62], off, off offset:336
	;; [unrolled: 1-line block ×5, first 2 shown]
	ds_load_b128 v[75:78], v1 offset:672
	ds_load_b128 v[79:82], v1 offset:688
	s_mov_b32 s0, exec_lo
	s_wait_loadcnt_dscnt 0x401
	v_mul_f64_e32 v[2:3], v[77:78], v[8:9]
	v_mul_f64_e32 v[8:9], v[75:76], v[8:9]
	s_wait_loadcnt_dscnt 0x300
	v_mul_f64_e32 v[10:11], v[79:80], v[61:62]
	v_mul_f64_e32 v[61:62], v[81:82], v[61:62]
	s_delay_alu instid0(VALU_DEP_4) | instskip(NEXT) | instid1(VALU_DEP_4)
	v_fma_f64 v[75:76], v[75:76], v[6:7], -v[2:3]
	v_fma_f64 v[77:78], v[77:78], v[6:7], v[8:9]
	ds_load_b128 v[6:9], v1 offset:704
	ds_load_b128 v[1:4], v1 offset:720
	v_fma_f64 v[10:11], v[81:82], v[59:60], v[10:11]
	v_fma_f64 v[59:60], v[79:80], v[59:60], -v[61:62]
	s_wait_loadcnt_dscnt 0x201
	v_mul_f64_e32 v[83:84], v[6:7], v[65:66]
	v_mul_f64_e32 v[65:66], v[8:9], v[65:66]
	v_add_f64_e32 v[61:62], 0, v[75:76]
	v_add_f64_e32 v[75:76], 0, v[77:78]
	s_wait_loadcnt_dscnt 0x100
	v_mul_f64_e32 v[77:78], v[1:2], v[69:70]
	v_mul_f64_e32 v[69:70], v[3:4], v[69:70]
	v_fma_f64 v[8:9], v[8:9], v[63:64], v[83:84]
	v_fma_f64 v[6:7], v[6:7], v[63:64], -v[65:66]
	v_add_f64_e32 v[59:60], v[61:62], v[59:60]
	v_add_f64_e32 v[10:11], v[75:76], v[10:11]
	v_fma_f64 v[3:4], v[3:4], v[67:68], v[77:78]
	v_fma_f64 v[1:2], v[1:2], v[67:68], -v[69:70]
	s_delay_alu instid0(VALU_DEP_4) | instskip(NEXT) | instid1(VALU_DEP_4)
	v_add_f64_e32 v[6:7], v[59:60], v[6:7]
	v_add_f64_e32 v[8:9], v[10:11], v[8:9]
	s_delay_alu instid0(VALU_DEP_2) | instskip(NEXT) | instid1(VALU_DEP_2)
	v_add_f64_e32 v[1:2], v[6:7], v[1:2]
	v_add_f64_e32 v[3:4], v[8:9], v[3:4]
	s_wait_loadcnt 0x0
	s_delay_alu instid0(VALU_DEP_2) | instskip(NEXT) | instid1(VALU_DEP_2)
	v_add_f64_e64 v[1:2], v[71:72], -v[1:2]
	v_add_f64_e64 v[3:4], v[73:74], -v[3:4]
	scratch_store_b128 off, v[1:4], off offset:304
	v_cmpx_lt_u32_e32 17, v0
	s_cbranch_execz .LBB86_117
; %bb.116:
	scratch_load_b128 v[1:4], off, s26
	v_mov_b32_e32 v6, 0
	s_delay_alu instid0(VALU_DEP_1)
	v_dual_mov_b32 v7, v6 :: v_dual_mov_b32 v8, v6
	v_mov_b32_e32 v9, v6
	scratch_store_b128 off, v[6:9], off offset:288
	s_wait_loadcnt 0x0
	ds_store_b128 v5, v[1:4]
.LBB86_117:
	s_wait_alu 0xfffe
	s_or_b32 exec_lo, exec_lo, s0
	s_wait_storecnt_dscnt 0x0
	s_barrier_signal -1
	s_barrier_wait -1
	global_inv scope:SCOPE_SE
	s_clause 0x5
	scratch_load_b128 v[6:9], off, off offset:304
	scratch_load_b128 v[59:62], off, off offset:320
	;; [unrolled: 1-line block ×6, first 2 shown]
	v_mov_b32_e32 v1, 0
	ds_load_b128 v[79:82], v1 offset:656
	ds_load_b128 v[83:86], v1 offset:672
	s_mov_b32 s0, exec_lo
	s_wait_loadcnt_dscnt 0x501
	v_mul_f64_e32 v[2:3], v[81:82], v[8:9]
	v_mul_f64_e32 v[8:9], v[79:80], v[8:9]
	s_wait_loadcnt_dscnt 0x400
	v_mul_f64_e32 v[10:11], v[83:84], v[61:62]
	v_mul_f64_e32 v[61:62], v[85:86], v[61:62]
	s_delay_alu instid0(VALU_DEP_4) | instskip(NEXT) | instid1(VALU_DEP_4)
	v_fma_f64 v[2:3], v[79:80], v[6:7], -v[2:3]
	v_fma_f64 v[87:88], v[81:82], v[6:7], v[8:9]
	ds_load_b128 v[6:9], v1 offset:688
	ds_load_b128 v[79:82], v1 offset:704
	v_fma_f64 v[10:11], v[85:86], v[59:60], v[10:11]
	v_fma_f64 v[59:60], v[83:84], v[59:60], -v[61:62]
	s_wait_loadcnt_dscnt 0x301
	v_mul_f64_e32 v[89:90], v[6:7], v[65:66]
	v_mul_f64_e32 v[65:66], v[8:9], v[65:66]
	s_wait_loadcnt_dscnt 0x200
	v_mul_f64_e32 v[83:84], v[79:80], v[69:70]
	v_mul_f64_e32 v[69:70], v[81:82], v[69:70]
	v_add_f64_e32 v[2:3], 0, v[2:3]
	v_add_f64_e32 v[61:62], 0, v[87:88]
	v_fma_f64 v[85:86], v[8:9], v[63:64], v[89:90]
	v_fma_f64 v[63:64], v[6:7], v[63:64], -v[65:66]
	ds_load_b128 v[6:9], v1 offset:720
	v_fma_f64 v[65:66], v[81:82], v[67:68], v[83:84]
	v_fma_f64 v[67:68], v[79:80], v[67:68], -v[69:70]
	v_add_f64_e32 v[2:3], v[2:3], v[59:60]
	v_add_f64_e32 v[10:11], v[61:62], v[10:11]
	s_wait_loadcnt_dscnt 0x100
	v_mul_f64_e32 v[59:60], v[6:7], v[73:74]
	v_mul_f64_e32 v[61:62], v[8:9], v[73:74]
	s_delay_alu instid0(VALU_DEP_4) | instskip(NEXT) | instid1(VALU_DEP_4)
	v_add_f64_e32 v[2:3], v[2:3], v[63:64]
	v_add_f64_e32 v[10:11], v[10:11], v[85:86]
	s_delay_alu instid0(VALU_DEP_4) | instskip(NEXT) | instid1(VALU_DEP_4)
	v_fma_f64 v[8:9], v[8:9], v[71:72], v[59:60]
	v_fma_f64 v[6:7], v[6:7], v[71:72], -v[61:62]
	s_delay_alu instid0(VALU_DEP_4) | instskip(NEXT) | instid1(VALU_DEP_4)
	v_add_f64_e32 v[2:3], v[2:3], v[67:68]
	v_add_f64_e32 v[10:11], v[10:11], v[65:66]
	s_delay_alu instid0(VALU_DEP_2) | instskip(NEXT) | instid1(VALU_DEP_2)
	v_add_f64_e32 v[2:3], v[2:3], v[6:7]
	v_add_f64_e32 v[8:9], v[10:11], v[8:9]
	s_wait_loadcnt 0x0
	s_delay_alu instid0(VALU_DEP_2) | instskip(NEXT) | instid1(VALU_DEP_2)
	v_add_f64_e64 v[6:7], v[75:76], -v[2:3]
	v_add_f64_e64 v[8:9], v[77:78], -v[8:9]
	scratch_store_b128 off, v[6:9], off offset:288
	v_cmpx_lt_u32_e32 16, v0
	s_cbranch_execz .LBB86_119
; %bb.118:
	scratch_load_b128 v[6:9], off, s15
	v_dual_mov_b32 v2, v1 :: v_dual_mov_b32 v3, v1
	v_mov_b32_e32 v4, v1
	scratch_store_b128 off, v[1:4], off offset:272
	s_wait_loadcnt 0x0
	ds_store_b128 v5, v[6:9]
.LBB86_119:
	s_wait_alu 0xfffe
	s_or_b32 exec_lo, exec_lo, s0
	s_wait_storecnt_dscnt 0x0
	s_barrier_signal -1
	s_barrier_wait -1
	global_inv scope:SCOPE_SE
	s_clause 0x5
	scratch_load_b128 v[6:9], off, off offset:288
	scratch_load_b128 v[59:62], off, off offset:304
	scratch_load_b128 v[63:66], off, off offset:320
	scratch_load_b128 v[67:70], off, off offset:336
	scratch_load_b128 v[71:74], off, off offset:352
	scratch_load_b128 v[75:78], off, off offset:368
	ds_load_b128 v[79:82], v1 offset:640
	ds_load_b128 v[87:90], v1 offset:656
	scratch_load_b128 v[83:86], off, off offset:272
	s_mov_b32 s0, exec_lo
	s_wait_loadcnt_dscnt 0x601
	v_mul_f64_e32 v[2:3], v[81:82], v[8:9]
	v_mul_f64_e32 v[8:9], v[79:80], v[8:9]
	s_wait_loadcnt_dscnt 0x500
	v_mul_f64_e32 v[10:11], v[87:88], v[61:62]
	v_mul_f64_e32 v[61:62], v[89:90], v[61:62]
	s_delay_alu instid0(VALU_DEP_4) | instskip(NEXT) | instid1(VALU_DEP_4)
	v_fma_f64 v[2:3], v[79:80], v[6:7], -v[2:3]
	v_fma_f64 v[91:92], v[81:82], v[6:7], v[8:9]
	ds_load_b128 v[6:9], v1 offset:672
	ds_load_b128 v[79:82], v1 offset:688
	v_fma_f64 v[10:11], v[89:90], v[59:60], v[10:11]
	v_fma_f64 v[59:60], v[87:88], v[59:60], -v[61:62]
	s_wait_loadcnt_dscnt 0x401
	v_mul_f64_e32 v[93:94], v[6:7], v[65:66]
	v_mul_f64_e32 v[65:66], v[8:9], v[65:66]
	s_wait_loadcnt_dscnt 0x300
	v_mul_f64_e32 v[87:88], v[79:80], v[69:70]
	v_mul_f64_e32 v[69:70], v[81:82], v[69:70]
	v_add_f64_e32 v[2:3], 0, v[2:3]
	v_add_f64_e32 v[61:62], 0, v[91:92]
	v_fma_f64 v[89:90], v[8:9], v[63:64], v[93:94]
	v_fma_f64 v[63:64], v[6:7], v[63:64], -v[65:66]
	s_delay_alu instid0(VALU_DEP_4) | instskip(NEXT) | instid1(VALU_DEP_4)
	v_add_f64_e32 v[59:60], v[2:3], v[59:60]
	v_add_f64_e32 v[10:11], v[61:62], v[10:11]
	ds_load_b128 v[6:9], v1 offset:704
	ds_load_b128 v[1:4], v1 offset:720
	s_wait_loadcnt_dscnt 0x201
	v_mul_f64_e32 v[61:62], v[6:7], v[73:74]
	v_mul_f64_e32 v[65:66], v[8:9], v[73:74]
	v_fma_f64 v[73:74], v[81:82], v[67:68], v[87:88]
	v_fma_f64 v[67:68], v[79:80], v[67:68], -v[69:70]
	s_wait_loadcnt_dscnt 0x100
	v_mul_f64_e32 v[69:70], v[3:4], v[77:78]
	v_add_f64_e32 v[59:60], v[59:60], v[63:64]
	v_add_f64_e32 v[10:11], v[10:11], v[89:90]
	v_mul_f64_e32 v[63:64], v[1:2], v[77:78]
	v_fma_f64 v[8:9], v[8:9], v[71:72], v[61:62]
	v_fma_f64 v[6:7], v[6:7], v[71:72], -v[65:66]
	v_fma_f64 v[1:2], v[1:2], v[75:76], -v[69:70]
	v_add_f64_e32 v[59:60], v[59:60], v[67:68]
	v_add_f64_e32 v[10:11], v[10:11], v[73:74]
	v_fma_f64 v[3:4], v[3:4], v[75:76], v[63:64]
	s_delay_alu instid0(VALU_DEP_3) | instskip(NEXT) | instid1(VALU_DEP_3)
	v_add_f64_e32 v[6:7], v[59:60], v[6:7]
	v_add_f64_e32 v[8:9], v[10:11], v[8:9]
	s_delay_alu instid0(VALU_DEP_2) | instskip(NEXT) | instid1(VALU_DEP_2)
	v_add_f64_e32 v[1:2], v[6:7], v[1:2]
	v_add_f64_e32 v[3:4], v[8:9], v[3:4]
	s_wait_loadcnt 0x0
	s_delay_alu instid0(VALU_DEP_2) | instskip(NEXT) | instid1(VALU_DEP_2)
	v_add_f64_e64 v[1:2], v[83:84], -v[1:2]
	v_add_f64_e64 v[3:4], v[85:86], -v[3:4]
	scratch_store_b128 off, v[1:4], off offset:272
	v_cmpx_lt_u32_e32 15, v0
	s_cbranch_execz .LBB86_121
; %bb.120:
	scratch_load_b128 v[1:4], off, s25
	v_mov_b32_e32 v6, 0
	s_delay_alu instid0(VALU_DEP_1)
	v_dual_mov_b32 v7, v6 :: v_dual_mov_b32 v8, v6
	v_mov_b32_e32 v9, v6
	scratch_store_b128 off, v[6:9], off offset:256
	s_wait_loadcnt 0x0
	ds_store_b128 v5, v[1:4]
.LBB86_121:
	s_wait_alu 0xfffe
	s_or_b32 exec_lo, exec_lo, s0
	s_wait_storecnt_dscnt 0x0
	s_barrier_signal -1
	s_barrier_wait -1
	global_inv scope:SCOPE_SE
	s_clause 0x6
	scratch_load_b128 v[6:9], off, off offset:272
	scratch_load_b128 v[59:62], off, off offset:288
	;; [unrolled: 1-line block ×7, first 2 shown]
	v_mov_b32_e32 v1, 0
	scratch_load_b128 v[87:90], off, off offset:256
	s_mov_b32 s0, exec_lo
	ds_load_b128 v[83:86], v1 offset:624
	ds_load_b128 v[91:94], v1 offset:640
	s_wait_loadcnt_dscnt 0x701
	v_mul_f64_e32 v[2:3], v[85:86], v[8:9]
	v_mul_f64_e32 v[8:9], v[83:84], v[8:9]
	s_wait_loadcnt_dscnt 0x600
	v_mul_f64_e32 v[10:11], v[91:92], v[61:62]
	v_mul_f64_e32 v[61:62], v[93:94], v[61:62]
	s_delay_alu instid0(VALU_DEP_4) | instskip(NEXT) | instid1(VALU_DEP_4)
	v_fma_f64 v[2:3], v[83:84], v[6:7], -v[2:3]
	v_fma_f64 v[95:96], v[85:86], v[6:7], v[8:9]
	ds_load_b128 v[6:9], v1 offset:656
	ds_load_b128 v[83:86], v1 offset:672
	v_fma_f64 v[10:11], v[93:94], v[59:60], v[10:11]
	v_fma_f64 v[59:60], v[91:92], v[59:60], -v[61:62]
	s_wait_loadcnt_dscnt 0x501
	v_mul_f64_e32 v[97:98], v[6:7], v[65:66]
	v_mul_f64_e32 v[65:66], v[8:9], v[65:66]
	s_wait_loadcnt_dscnt 0x400
	v_mul_f64_e32 v[91:92], v[83:84], v[69:70]
	v_mul_f64_e32 v[69:70], v[85:86], v[69:70]
	v_add_f64_e32 v[2:3], 0, v[2:3]
	v_add_f64_e32 v[61:62], 0, v[95:96]
	v_fma_f64 v[93:94], v[8:9], v[63:64], v[97:98]
	v_fma_f64 v[63:64], v[6:7], v[63:64], -v[65:66]
	v_fma_f64 v[85:86], v[85:86], v[67:68], v[91:92]
	v_fma_f64 v[67:68], v[83:84], v[67:68], -v[69:70]
	v_add_f64_e32 v[2:3], v[2:3], v[59:60]
	v_add_f64_e32 v[10:11], v[61:62], v[10:11]
	ds_load_b128 v[6:9], v1 offset:688
	ds_load_b128 v[59:62], v1 offset:704
	s_wait_loadcnt_dscnt 0x301
	v_mul_f64_e32 v[65:66], v[6:7], v[73:74]
	v_mul_f64_e32 v[73:74], v[8:9], v[73:74]
	s_wait_loadcnt_dscnt 0x200
	v_mul_f64_e32 v[69:70], v[61:62], v[77:78]
	v_add_f64_e32 v[2:3], v[2:3], v[63:64]
	v_add_f64_e32 v[10:11], v[10:11], v[93:94]
	v_mul_f64_e32 v[63:64], v[59:60], v[77:78]
	v_fma_f64 v[65:66], v[8:9], v[71:72], v[65:66]
	v_fma_f64 v[71:72], v[6:7], v[71:72], -v[73:74]
	ds_load_b128 v[6:9], v1 offset:720
	v_fma_f64 v[59:60], v[59:60], v[75:76], -v[69:70]
	v_add_f64_e32 v[2:3], v[2:3], v[67:68]
	v_add_f64_e32 v[10:11], v[10:11], v[85:86]
	v_fma_f64 v[61:62], v[61:62], v[75:76], v[63:64]
	s_wait_loadcnt_dscnt 0x100
	v_mul_f64_e32 v[67:68], v[6:7], v[81:82]
	v_mul_f64_e32 v[73:74], v[8:9], v[81:82]
	v_add_f64_e32 v[2:3], v[2:3], v[71:72]
	v_add_f64_e32 v[10:11], v[10:11], v[65:66]
	s_delay_alu instid0(VALU_DEP_4) | instskip(NEXT) | instid1(VALU_DEP_4)
	v_fma_f64 v[8:9], v[8:9], v[79:80], v[67:68]
	v_fma_f64 v[6:7], v[6:7], v[79:80], -v[73:74]
	s_delay_alu instid0(VALU_DEP_4) | instskip(NEXT) | instid1(VALU_DEP_4)
	v_add_f64_e32 v[2:3], v[2:3], v[59:60]
	v_add_f64_e32 v[10:11], v[10:11], v[61:62]
	s_delay_alu instid0(VALU_DEP_2) | instskip(NEXT) | instid1(VALU_DEP_2)
	v_add_f64_e32 v[2:3], v[2:3], v[6:7]
	v_add_f64_e32 v[8:9], v[10:11], v[8:9]
	s_wait_loadcnt 0x0
	s_delay_alu instid0(VALU_DEP_2) | instskip(NEXT) | instid1(VALU_DEP_2)
	v_add_f64_e64 v[6:7], v[87:88], -v[2:3]
	v_add_f64_e64 v[8:9], v[89:90], -v[8:9]
	scratch_store_b128 off, v[6:9], off offset:256
	v_cmpx_lt_u32_e32 14, v0
	s_cbranch_execz .LBB86_123
; %bb.122:
	scratch_load_b128 v[6:9], off, s14
	v_dual_mov_b32 v2, v1 :: v_dual_mov_b32 v3, v1
	v_mov_b32_e32 v4, v1
	scratch_store_b128 off, v[1:4], off offset:240
	s_wait_loadcnt 0x0
	ds_store_b128 v5, v[6:9]
.LBB86_123:
	s_wait_alu 0xfffe
	s_or_b32 exec_lo, exec_lo, s0
	s_wait_storecnt_dscnt 0x0
	s_barrier_signal -1
	s_barrier_wait -1
	global_inv scope:SCOPE_SE
	s_clause 0x7
	scratch_load_b128 v[6:9], off, off offset:256
	scratch_load_b128 v[59:62], off, off offset:272
	;; [unrolled: 1-line block ×8, first 2 shown]
	ds_load_b128 v[87:90], v1 offset:608
	ds_load_b128 v[91:94], v1 offset:624
	scratch_load_b128 v[95:98], off, off offset:240
	s_mov_b32 s0, exec_lo
	s_wait_loadcnt_dscnt 0x801
	v_mul_f64_e32 v[2:3], v[89:90], v[8:9]
	v_mul_f64_e32 v[8:9], v[87:88], v[8:9]
	s_wait_loadcnt_dscnt 0x700
	v_mul_f64_e32 v[10:11], v[91:92], v[61:62]
	v_mul_f64_e32 v[61:62], v[93:94], v[61:62]
	s_delay_alu instid0(VALU_DEP_4) | instskip(NEXT) | instid1(VALU_DEP_4)
	v_fma_f64 v[2:3], v[87:88], v[6:7], -v[2:3]
	v_fma_f64 v[99:100], v[89:90], v[6:7], v[8:9]
	ds_load_b128 v[6:9], v1 offset:640
	ds_load_b128 v[87:90], v1 offset:656
	v_fma_f64 v[10:11], v[93:94], v[59:60], v[10:11]
	v_fma_f64 v[59:60], v[91:92], v[59:60], -v[61:62]
	s_wait_loadcnt_dscnt 0x601
	v_mul_f64_e32 v[101:102], v[6:7], v[65:66]
	v_mul_f64_e32 v[65:66], v[8:9], v[65:66]
	s_wait_loadcnt_dscnt 0x500
	v_mul_f64_e32 v[91:92], v[87:88], v[69:70]
	v_mul_f64_e32 v[69:70], v[89:90], v[69:70]
	v_add_f64_e32 v[2:3], 0, v[2:3]
	v_add_f64_e32 v[61:62], 0, v[99:100]
	v_fma_f64 v[93:94], v[8:9], v[63:64], v[101:102]
	v_fma_f64 v[63:64], v[6:7], v[63:64], -v[65:66]
	v_fma_f64 v[89:90], v[89:90], v[67:68], v[91:92]
	v_fma_f64 v[67:68], v[87:88], v[67:68], -v[69:70]
	v_add_f64_e32 v[2:3], v[2:3], v[59:60]
	v_add_f64_e32 v[10:11], v[61:62], v[10:11]
	ds_load_b128 v[6:9], v1 offset:672
	ds_load_b128 v[59:62], v1 offset:688
	s_wait_loadcnt_dscnt 0x401
	v_mul_f64_e32 v[65:66], v[6:7], v[73:74]
	v_mul_f64_e32 v[73:74], v[8:9], v[73:74]
	s_wait_loadcnt_dscnt 0x300
	v_mul_f64_e32 v[69:70], v[61:62], v[77:78]
	v_add_f64_e32 v[2:3], v[2:3], v[63:64]
	v_add_f64_e32 v[10:11], v[10:11], v[93:94]
	v_mul_f64_e32 v[63:64], v[59:60], v[77:78]
	v_fma_f64 v[65:66], v[8:9], v[71:72], v[65:66]
	v_fma_f64 v[71:72], v[6:7], v[71:72], -v[73:74]
	v_fma_f64 v[59:60], v[59:60], v[75:76], -v[69:70]
	v_add_f64_e32 v[67:68], v[2:3], v[67:68]
	v_add_f64_e32 v[10:11], v[10:11], v[89:90]
	ds_load_b128 v[6:9], v1 offset:704
	ds_load_b128 v[1:4], v1 offset:720
	v_fma_f64 v[61:62], v[61:62], v[75:76], v[63:64]
	s_wait_loadcnt_dscnt 0x201
	v_mul_f64_e32 v[73:74], v[6:7], v[81:82]
	v_mul_f64_e32 v[77:78], v[8:9], v[81:82]
	v_add_f64_e32 v[63:64], v[67:68], v[71:72]
	v_add_f64_e32 v[10:11], v[10:11], v[65:66]
	s_wait_loadcnt_dscnt 0x100
	v_mul_f64_e32 v[65:66], v[1:2], v[85:86]
	v_mul_f64_e32 v[67:68], v[3:4], v[85:86]
	v_fma_f64 v[8:9], v[8:9], v[79:80], v[73:74]
	v_fma_f64 v[6:7], v[6:7], v[79:80], -v[77:78]
	v_add_f64_e32 v[59:60], v[63:64], v[59:60]
	v_add_f64_e32 v[10:11], v[10:11], v[61:62]
	v_fma_f64 v[3:4], v[3:4], v[83:84], v[65:66]
	v_fma_f64 v[1:2], v[1:2], v[83:84], -v[67:68]
	s_delay_alu instid0(VALU_DEP_4) | instskip(NEXT) | instid1(VALU_DEP_4)
	v_add_f64_e32 v[6:7], v[59:60], v[6:7]
	v_add_f64_e32 v[8:9], v[10:11], v[8:9]
	s_delay_alu instid0(VALU_DEP_2) | instskip(NEXT) | instid1(VALU_DEP_2)
	v_add_f64_e32 v[1:2], v[6:7], v[1:2]
	v_add_f64_e32 v[3:4], v[8:9], v[3:4]
	s_wait_loadcnt 0x0
	s_delay_alu instid0(VALU_DEP_2) | instskip(NEXT) | instid1(VALU_DEP_2)
	v_add_f64_e64 v[1:2], v[95:96], -v[1:2]
	v_add_f64_e64 v[3:4], v[97:98], -v[3:4]
	scratch_store_b128 off, v[1:4], off offset:240
	v_cmpx_lt_u32_e32 13, v0
	s_cbranch_execz .LBB86_125
; %bb.124:
	scratch_load_b128 v[1:4], off, s24
	v_mov_b32_e32 v6, 0
	s_delay_alu instid0(VALU_DEP_1)
	v_dual_mov_b32 v7, v6 :: v_dual_mov_b32 v8, v6
	v_mov_b32_e32 v9, v6
	scratch_store_b128 off, v[6:9], off offset:224
	s_wait_loadcnt 0x0
	ds_store_b128 v5, v[1:4]
.LBB86_125:
	s_wait_alu 0xfffe
	s_or_b32 exec_lo, exec_lo, s0
	s_wait_storecnt_dscnt 0x0
	s_barrier_signal -1
	s_barrier_wait -1
	global_inv scope:SCOPE_SE
	s_clause 0x7
	scratch_load_b128 v[6:9], off, off offset:240
	scratch_load_b128 v[59:62], off, off offset:256
	;; [unrolled: 1-line block ×8, first 2 shown]
	v_mov_b32_e32 v1, 0
	s_mov_b32 s0, exec_lo
	ds_load_b128 v[87:90], v1 offset:592
	s_clause 0x1
	scratch_load_b128 v[91:94], off, off offset:368
	scratch_load_b128 v[95:98], off, off offset:224
	ds_load_b128 v[99:102], v1 offset:608
	s_wait_loadcnt_dscnt 0x901
	v_mul_f64_e32 v[2:3], v[89:90], v[8:9]
	v_mul_f64_e32 v[8:9], v[87:88], v[8:9]
	s_wait_loadcnt_dscnt 0x800
	v_mul_f64_e32 v[10:11], v[99:100], v[61:62]
	v_mul_f64_e32 v[61:62], v[101:102], v[61:62]
	s_delay_alu instid0(VALU_DEP_4) | instskip(NEXT) | instid1(VALU_DEP_4)
	v_fma_f64 v[2:3], v[87:88], v[6:7], -v[2:3]
	v_fma_f64 v[103:104], v[89:90], v[6:7], v[8:9]
	ds_load_b128 v[6:9], v1 offset:624
	ds_load_b128 v[87:90], v1 offset:640
	v_fma_f64 v[10:11], v[101:102], v[59:60], v[10:11]
	v_fma_f64 v[59:60], v[99:100], v[59:60], -v[61:62]
	s_wait_loadcnt_dscnt 0x701
	v_mul_f64_e32 v[105:106], v[6:7], v[65:66]
	v_mul_f64_e32 v[65:66], v[8:9], v[65:66]
	s_wait_loadcnt_dscnt 0x600
	v_mul_f64_e32 v[99:100], v[87:88], v[69:70]
	v_mul_f64_e32 v[69:70], v[89:90], v[69:70]
	v_add_f64_e32 v[2:3], 0, v[2:3]
	v_add_f64_e32 v[61:62], 0, v[103:104]
	v_fma_f64 v[101:102], v[8:9], v[63:64], v[105:106]
	v_fma_f64 v[63:64], v[6:7], v[63:64], -v[65:66]
	v_fma_f64 v[89:90], v[89:90], v[67:68], v[99:100]
	v_fma_f64 v[67:68], v[87:88], v[67:68], -v[69:70]
	v_add_f64_e32 v[2:3], v[2:3], v[59:60]
	v_add_f64_e32 v[10:11], v[61:62], v[10:11]
	ds_load_b128 v[6:9], v1 offset:656
	ds_load_b128 v[59:62], v1 offset:672
	s_wait_loadcnt_dscnt 0x501
	v_mul_f64_e32 v[65:66], v[6:7], v[73:74]
	v_mul_f64_e32 v[73:74], v[8:9], v[73:74]
	s_wait_loadcnt_dscnt 0x400
	v_mul_f64_e32 v[69:70], v[59:60], v[77:78]
	v_mul_f64_e32 v[77:78], v[61:62], v[77:78]
	v_add_f64_e32 v[2:3], v[2:3], v[63:64]
	v_add_f64_e32 v[10:11], v[10:11], v[101:102]
	v_fma_f64 v[87:88], v[8:9], v[71:72], v[65:66]
	v_fma_f64 v[71:72], v[6:7], v[71:72], -v[73:74]
	ds_load_b128 v[6:9], v1 offset:688
	ds_load_b128 v[63:66], v1 offset:704
	v_fma_f64 v[61:62], v[61:62], v[75:76], v[69:70]
	v_fma_f64 v[59:60], v[59:60], v[75:76], -v[77:78]
	v_add_f64_e32 v[2:3], v[2:3], v[67:68]
	v_add_f64_e32 v[10:11], v[10:11], v[89:90]
	s_wait_loadcnt_dscnt 0x301
	v_mul_f64_e32 v[67:68], v[6:7], v[81:82]
	v_mul_f64_e32 v[73:74], v[8:9], v[81:82]
	s_wait_loadcnt_dscnt 0x200
	v_mul_f64_e32 v[69:70], v[63:64], v[85:86]
	v_add_f64_e32 v[2:3], v[2:3], v[71:72]
	v_add_f64_e32 v[10:11], v[10:11], v[87:88]
	v_mul_f64_e32 v[71:72], v[65:66], v[85:86]
	v_fma_f64 v[67:68], v[8:9], v[79:80], v[67:68]
	v_fma_f64 v[73:74], v[6:7], v[79:80], -v[73:74]
	ds_load_b128 v[6:9], v1 offset:720
	v_fma_f64 v[65:66], v[65:66], v[83:84], v[69:70]
	v_add_f64_e32 v[2:3], v[2:3], v[59:60]
	v_add_f64_e32 v[10:11], v[10:11], v[61:62]
	s_wait_loadcnt_dscnt 0x100
	v_mul_f64_e32 v[59:60], v[6:7], v[93:94]
	v_mul_f64_e32 v[61:62], v[8:9], v[93:94]
	v_fma_f64 v[63:64], v[63:64], v[83:84], -v[71:72]
	v_add_f64_e32 v[2:3], v[2:3], v[73:74]
	v_add_f64_e32 v[10:11], v[10:11], v[67:68]
	v_fma_f64 v[8:9], v[8:9], v[91:92], v[59:60]
	v_fma_f64 v[6:7], v[6:7], v[91:92], -v[61:62]
	s_delay_alu instid0(VALU_DEP_4) | instskip(NEXT) | instid1(VALU_DEP_4)
	v_add_f64_e32 v[2:3], v[2:3], v[63:64]
	v_add_f64_e32 v[10:11], v[10:11], v[65:66]
	s_delay_alu instid0(VALU_DEP_2) | instskip(NEXT) | instid1(VALU_DEP_2)
	v_add_f64_e32 v[2:3], v[2:3], v[6:7]
	v_add_f64_e32 v[8:9], v[10:11], v[8:9]
	s_wait_loadcnt 0x0
	s_delay_alu instid0(VALU_DEP_2) | instskip(NEXT) | instid1(VALU_DEP_2)
	v_add_f64_e64 v[6:7], v[95:96], -v[2:3]
	v_add_f64_e64 v[8:9], v[97:98], -v[8:9]
	scratch_store_b128 off, v[6:9], off offset:224
	v_cmpx_lt_u32_e32 12, v0
	s_cbranch_execz .LBB86_127
; %bb.126:
	scratch_load_b128 v[6:9], off, s13
	v_dual_mov_b32 v2, v1 :: v_dual_mov_b32 v3, v1
	v_mov_b32_e32 v4, v1
	scratch_store_b128 off, v[1:4], off offset:208
	s_wait_loadcnt 0x0
	ds_store_b128 v5, v[6:9]
.LBB86_127:
	s_wait_alu 0xfffe
	s_or_b32 exec_lo, exec_lo, s0
	s_wait_storecnt_dscnt 0x0
	s_barrier_signal -1
	s_barrier_wait -1
	global_inv scope:SCOPE_SE
	s_clause 0x8
	scratch_load_b128 v[6:9], off, off offset:224
	scratch_load_b128 v[59:62], off, off offset:240
	;; [unrolled: 1-line block ×9, first 2 shown]
	ds_load_b128 v[91:94], v1 offset:576
	ds_load_b128 v[95:98], v1 offset:592
	scratch_load_b128 v[99:102], off, off offset:208
	s_mov_b32 s0, exec_lo
	s_wait_loadcnt_dscnt 0x901
	v_mul_f64_e32 v[2:3], v[93:94], v[8:9]
	v_mul_f64_e32 v[103:104], v[91:92], v[8:9]
	scratch_load_b128 v[8:11], off, off offset:368
	s_wait_loadcnt_dscnt 0x900
	v_mul_f64_e32 v[107:108], v[95:96], v[61:62]
	v_mul_f64_e32 v[61:62], v[97:98], v[61:62]
	v_fma_f64 v[2:3], v[91:92], v[6:7], -v[2:3]
	v_fma_f64 v[6:7], v[93:94], v[6:7], v[103:104]
	ds_load_b128 v[91:94], v1 offset:608
	ds_load_b128 v[103:106], v1 offset:624
	v_fma_f64 v[97:98], v[97:98], v[59:60], v[107:108]
	v_fma_f64 v[59:60], v[95:96], v[59:60], -v[61:62]
	s_wait_loadcnt_dscnt 0x801
	v_mul_f64_e32 v[109:110], v[91:92], v[65:66]
	v_mul_f64_e32 v[65:66], v[93:94], v[65:66]
	s_wait_loadcnt_dscnt 0x700
	v_mul_f64_e32 v[95:96], v[103:104], v[69:70]
	v_mul_f64_e32 v[69:70], v[105:106], v[69:70]
	v_add_f64_e32 v[2:3], 0, v[2:3]
	v_add_f64_e32 v[6:7], 0, v[6:7]
	v_fma_f64 v[93:94], v[93:94], v[63:64], v[109:110]
	v_fma_f64 v[91:92], v[91:92], v[63:64], -v[65:66]
	v_fma_f64 v[95:96], v[105:106], v[67:68], v[95:96]
	v_fma_f64 v[67:68], v[103:104], v[67:68], -v[69:70]
	v_add_f64_e32 v[2:3], v[2:3], v[59:60]
	v_add_f64_e32 v[6:7], v[6:7], v[97:98]
	ds_load_b128 v[59:62], v1 offset:640
	ds_load_b128 v[63:66], v1 offset:656
	s_wait_loadcnt_dscnt 0x601
	v_mul_f64_e32 v[97:98], v[59:60], v[73:74]
	v_mul_f64_e32 v[73:74], v[61:62], v[73:74]
	v_add_f64_e32 v[2:3], v[2:3], v[91:92]
	v_add_f64_e32 v[6:7], v[6:7], v[93:94]
	s_wait_loadcnt_dscnt 0x500
	v_mul_f64_e32 v[91:92], v[63:64], v[77:78]
	v_mul_f64_e32 v[77:78], v[65:66], v[77:78]
	v_fma_f64 v[93:94], v[61:62], v[71:72], v[97:98]
	v_fma_f64 v[71:72], v[59:60], v[71:72], -v[73:74]
	v_add_f64_e32 v[2:3], v[2:3], v[67:68]
	v_add_f64_e32 v[6:7], v[6:7], v[95:96]
	ds_load_b128 v[59:62], v1 offset:672
	ds_load_b128 v[67:70], v1 offset:688
	v_fma_f64 v[65:66], v[65:66], v[75:76], v[91:92]
	v_fma_f64 v[63:64], v[63:64], v[75:76], -v[77:78]
	s_wait_loadcnt_dscnt 0x401
	v_mul_f64_e32 v[73:74], v[59:60], v[81:82]
	v_mul_f64_e32 v[81:82], v[61:62], v[81:82]
	s_wait_loadcnt_dscnt 0x300
	v_mul_f64_e32 v[75:76], v[69:70], v[85:86]
	v_add_f64_e32 v[2:3], v[2:3], v[71:72]
	v_add_f64_e32 v[6:7], v[6:7], v[93:94]
	v_mul_f64_e32 v[71:72], v[67:68], v[85:86]
	v_fma_f64 v[73:74], v[61:62], v[79:80], v[73:74]
	v_fma_f64 v[77:78], v[59:60], v[79:80], -v[81:82]
	v_fma_f64 v[67:68], v[67:68], v[83:84], -v[75:76]
	v_add_f64_e32 v[63:64], v[2:3], v[63:64]
	v_add_f64_e32 v[6:7], v[6:7], v[65:66]
	ds_load_b128 v[59:62], v1 offset:704
	ds_load_b128 v[1:4], v1 offset:720
	v_fma_f64 v[69:70], v[69:70], v[83:84], v[71:72]
	s_wait_loadcnt_dscnt 0x201
	v_mul_f64_e32 v[65:66], v[59:60], v[89:90]
	v_mul_f64_e32 v[79:80], v[61:62], v[89:90]
	v_add_f64_e32 v[63:64], v[63:64], v[77:78]
	v_add_f64_e32 v[6:7], v[6:7], v[73:74]
	s_wait_loadcnt_dscnt 0x0
	v_mul_f64_e32 v[71:72], v[1:2], v[10:11]
	v_mul_f64_e32 v[10:11], v[3:4], v[10:11]
	v_fma_f64 v[61:62], v[61:62], v[87:88], v[65:66]
	v_fma_f64 v[59:60], v[59:60], v[87:88], -v[79:80]
	v_add_f64_e32 v[63:64], v[63:64], v[67:68]
	v_add_f64_e32 v[6:7], v[6:7], v[69:70]
	v_fma_f64 v[3:4], v[3:4], v[8:9], v[71:72]
	v_fma_f64 v[1:2], v[1:2], v[8:9], -v[10:11]
	s_delay_alu instid0(VALU_DEP_4) | instskip(NEXT) | instid1(VALU_DEP_4)
	v_add_f64_e32 v[8:9], v[63:64], v[59:60]
	v_add_f64_e32 v[6:7], v[6:7], v[61:62]
	s_delay_alu instid0(VALU_DEP_2) | instskip(NEXT) | instid1(VALU_DEP_2)
	v_add_f64_e32 v[1:2], v[8:9], v[1:2]
	v_add_f64_e32 v[3:4], v[6:7], v[3:4]
	s_delay_alu instid0(VALU_DEP_2) | instskip(NEXT) | instid1(VALU_DEP_2)
	v_add_f64_e64 v[1:2], v[99:100], -v[1:2]
	v_add_f64_e64 v[3:4], v[101:102], -v[3:4]
	scratch_store_b128 off, v[1:4], off offset:208
	v_cmpx_lt_u32_e32 11, v0
	s_cbranch_execz .LBB86_129
; %bb.128:
	scratch_load_b128 v[1:4], off, s23
	v_mov_b32_e32 v6, 0
	s_delay_alu instid0(VALU_DEP_1)
	v_dual_mov_b32 v7, v6 :: v_dual_mov_b32 v8, v6
	v_mov_b32_e32 v9, v6
	scratch_store_b128 off, v[6:9], off offset:192
	s_wait_loadcnt 0x0
	ds_store_b128 v5, v[1:4]
.LBB86_129:
	s_wait_alu 0xfffe
	s_or_b32 exec_lo, exec_lo, s0
	s_wait_storecnt_dscnt 0x0
	s_barrier_signal -1
	s_barrier_wait -1
	global_inv scope:SCOPE_SE
	s_clause 0x7
	scratch_load_b128 v[6:9], off, off offset:208
	scratch_load_b128 v[59:62], off, off offset:224
	;; [unrolled: 1-line block ×8, first 2 shown]
	v_mov_b32_e32 v1, 0
	s_mov_b32 s0, exec_lo
	ds_load_b128 v[87:90], v1 offset:560
	s_clause 0x1
	scratch_load_b128 v[91:94], off, off offset:336
	scratch_load_b128 v[95:98], off, off offset:192
	ds_load_b128 v[99:102], v1 offset:576
	ds_load_b128 v[107:110], v1 offset:608
	s_wait_loadcnt_dscnt 0x902
	v_mul_f64_e32 v[2:3], v[89:90], v[8:9]
	v_mul_f64_e32 v[103:104], v[87:88], v[8:9]
	scratch_load_b128 v[8:11], off, off offset:352
	v_fma_f64 v[2:3], v[87:88], v[6:7], -v[2:3]
	v_fma_f64 v[6:7], v[89:90], v[6:7], v[103:104]
	ds_load_b128 v[87:90], v1 offset:592
	s_wait_loadcnt_dscnt 0x902
	v_mul_f64_e32 v[111:112], v[99:100], v[61:62]
	v_mul_f64_e32 v[61:62], v[101:102], v[61:62]
	scratch_load_b128 v[103:106], off, off offset:368
	s_wait_loadcnt_dscnt 0x900
	v_mul_f64_e32 v[113:114], v[87:88], v[65:66]
	v_mul_f64_e32 v[65:66], v[89:90], v[65:66]
	v_add_f64_e32 v[2:3], 0, v[2:3]
	v_add_f64_e32 v[6:7], 0, v[6:7]
	v_fma_f64 v[101:102], v[101:102], v[59:60], v[111:112]
	v_fma_f64 v[59:60], v[99:100], v[59:60], -v[61:62]
	s_wait_loadcnt 0x8
	v_mul_f64_e32 v[99:100], v[107:108], v[69:70]
	v_mul_f64_e32 v[69:70], v[109:110], v[69:70]
	v_fma_f64 v[89:90], v[89:90], v[63:64], v[113:114]
	v_fma_f64 v[87:88], v[87:88], v[63:64], -v[65:66]
	v_add_f64_e32 v[6:7], v[6:7], v[101:102]
	v_add_f64_e32 v[2:3], v[2:3], v[59:60]
	ds_load_b128 v[59:62], v1 offset:624
	ds_load_b128 v[63:66], v1 offset:640
	v_fma_f64 v[99:100], v[109:110], v[67:68], v[99:100]
	v_fma_f64 v[67:68], v[107:108], v[67:68], -v[69:70]
	s_wait_loadcnt_dscnt 0x701
	v_mul_f64_e32 v[101:102], v[59:60], v[73:74]
	v_mul_f64_e32 v[73:74], v[61:62], v[73:74]
	v_add_f64_e32 v[6:7], v[6:7], v[89:90]
	v_add_f64_e32 v[2:3], v[2:3], v[87:88]
	s_wait_loadcnt_dscnt 0x600
	v_mul_f64_e32 v[87:88], v[63:64], v[77:78]
	v_mul_f64_e32 v[77:78], v[65:66], v[77:78]
	v_fma_f64 v[89:90], v[61:62], v[71:72], v[101:102]
	v_fma_f64 v[71:72], v[59:60], v[71:72], -v[73:74]
	v_add_f64_e32 v[6:7], v[6:7], v[99:100]
	v_add_f64_e32 v[2:3], v[2:3], v[67:68]
	ds_load_b128 v[59:62], v1 offset:656
	ds_load_b128 v[67:70], v1 offset:672
	v_fma_f64 v[65:66], v[65:66], v[75:76], v[87:88]
	v_fma_f64 v[63:64], v[63:64], v[75:76], -v[77:78]
	s_wait_loadcnt_dscnt 0x501
	v_mul_f64_e32 v[73:74], v[59:60], v[81:82]
	v_mul_f64_e32 v[81:82], v[61:62], v[81:82]
	s_wait_loadcnt_dscnt 0x400
	v_mul_f64_e32 v[75:76], v[69:70], v[85:86]
	v_add_f64_e32 v[6:7], v[6:7], v[89:90]
	v_add_f64_e32 v[2:3], v[2:3], v[71:72]
	v_mul_f64_e32 v[71:72], v[67:68], v[85:86]
	v_fma_f64 v[73:74], v[61:62], v[79:80], v[73:74]
	v_fma_f64 v[77:78], v[59:60], v[79:80], -v[81:82]
	v_fma_f64 v[67:68], v[67:68], v[83:84], -v[75:76]
	v_add_f64_e32 v[6:7], v[6:7], v[65:66]
	v_add_f64_e32 v[2:3], v[2:3], v[63:64]
	ds_load_b128 v[59:62], v1 offset:688
	ds_load_b128 v[63:66], v1 offset:704
	v_fma_f64 v[69:70], v[69:70], v[83:84], v[71:72]
	s_wait_loadcnt_dscnt 0x301
	v_mul_f64_e32 v[79:80], v[59:60], v[93:94]
	v_mul_f64_e32 v[81:82], v[61:62], v[93:94]
	v_add_f64_e32 v[6:7], v[6:7], v[73:74]
	v_add_f64_e32 v[2:3], v[2:3], v[77:78]
	s_wait_loadcnt_dscnt 0x100
	v_mul_f64_e32 v[71:72], v[63:64], v[10:11]
	v_mul_f64_e32 v[10:11], v[65:66], v[10:11]
	v_fma_f64 v[73:74], v[61:62], v[91:92], v[79:80]
	v_fma_f64 v[75:76], v[59:60], v[91:92], -v[81:82]
	ds_load_b128 v[59:62], v1 offset:720
	v_add_f64_e32 v[6:7], v[6:7], v[69:70]
	v_add_f64_e32 v[2:3], v[2:3], v[67:68]
	v_fma_f64 v[65:66], v[65:66], v[8:9], v[71:72]
	v_fma_f64 v[8:9], v[63:64], v[8:9], -v[10:11]
	s_wait_loadcnt_dscnt 0x0
	v_mul_f64_e32 v[67:68], v[59:60], v[105:106]
	v_mul_f64_e32 v[69:70], v[61:62], v[105:106]
	v_add_f64_e32 v[6:7], v[6:7], v[73:74]
	v_add_f64_e32 v[2:3], v[2:3], v[75:76]
	s_delay_alu instid0(VALU_DEP_4) | instskip(NEXT) | instid1(VALU_DEP_4)
	v_fma_f64 v[10:11], v[61:62], v[103:104], v[67:68]
	v_fma_f64 v[59:60], v[59:60], v[103:104], -v[69:70]
	s_delay_alu instid0(VALU_DEP_4) | instskip(NEXT) | instid1(VALU_DEP_4)
	v_add_f64_e32 v[6:7], v[6:7], v[65:66]
	v_add_f64_e32 v[2:3], v[2:3], v[8:9]
	s_delay_alu instid0(VALU_DEP_2) | instskip(NEXT) | instid1(VALU_DEP_2)
	v_add_f64_e32 v[8:9], v[6:7], v[10:11]
	v_add_f64_e32 v[2:3], v[2:3], v[59:60]
	s_delay_alu instid0(VALU_DEP_2) | instskip(NEXT) | instid1(VALU_DEP_2)
	v_add_f64_e64 v[8:9], v[97:98], -v[8:9]
	v_add_f64_e64 v[6:7], v[95:96], -v[2:3]
	scratch_store_b128 off, v[6:9], off offset:192
	v_cmpx_lt_u32_e32 10, v0
	s_cbranch_execz .LBB86_131
; %bb.130:
	scratch_load_b128 v[6:9], off, s11
	v_dual_mov_b32 v2, v1 :: v_dual_mov_b32 v3, v1
	v_mov_b32_e32 v4, v1
	scratch_store_b128 off, v[1:4], off offset:176
	s_wait_loadcnt 0x0
	ds_store_b128 v5, v[6:9]
.LBB86_131:
	s_wait_alu 0xfffe
	s_or_b32 exec_lo, exec_lo, s0
	s_wait_storecnt_dscnt 0x0
	s_barrier_signal -1
	s_barrier_wait -1
	global_inv scope:SCOPE_SE
	s_clause 0x8
	scratch_load_b128 v[6:9], off, off offset:192
	scratch_load_b128 v[59:62], off, off offset:208
	;; [unrolled: 1-line block ×9, first 2 shown]
	ds_load_b128 v[91:94], v1 offset:544
	ds_load_b128 v[95:98], v1 offset:560
	scratch_load_b128 v[99:102], off, off offset:176
	s_mov_b32 s0, exec_lo
	ds_load_b128 v[107:110], v1 offset:592
	s_wait_loadcnt_dscnt 0x902
	v_mul_f64_e32 v[2:3], v[93:94], v[8:9]
	v_mul_f64_e32 v[103:104], v[91:92], v[8:9]
	scratch_load_b128 v[8:11], off, off offset:336
	s_wait_loadcnt_dscnt 0x901
	v_mul_f64_e32 v[111:112], v[95:96], v[61:62]
	v_mul_f64_e32 v[61:62], v[97:98], v[61:62]
	v_fma_f64 v[2:3], v[91:92], v[6:7], -v[2:3]
	v_fma_f64 v[6:7], v[93:94], v[6:7], v[103:104]
	ds_load_b128 v[91:94], v1 offset:576
	scratch_load_b128 v[103:106], off, off offset:352
	v_fma_f64 v[97:98], v[97:98], v[59:60], v[111:112]
	v_fma_f64 v[95:96], v[95:96], v[59:60], -v[61:62]
	scratch_load_b128 v[59:62], off, off offset:368
	s_wait_loadcnt_dscnt 0x901
	v_mul_f64_e32 v[111:112], v[107:108], v[69:70]
	v_mul_f64_e32 v[69:70], v[109:110], v[69:70]
	s_wait_dscnt 0x0
	v_mul_f64_e32 v[113:114], v[91:92], v[65:66]
	v_mul_f64_e32 v[65:66], v[93:94], v[65:66]
	v_add_f64_e32 v[2:3], 0, v[2:3]
	v_add_f64_e32 v[6:7], 0, v[6:7]
	s_delay_alu instid0(VALU_DEP_4) | instskip(NEXT) | instid1(VALU_DEP_4)
	v_fma_f64 v[113:114], v[93:94], v[63:64], v[113:114]
	v_fma_f64 v[115:116], v[91:92], v[63:64], -v[65:66]
	ds_load_b128 v[63:66], v1 offset:608
	ds_load_b128 v[91:94], v1 offset:624
	v_add_f64_e32 v[2:3], v[2:3], v[95:96]
	v_add_f64_e32 v[6:7], v[6:7], v[97:98]
	v_fma_f64 v[97:98], v[109:110], v[67:68], v[111:112]
	v_fma_f64 v[67:68], v[107:108], v[67:68], -v[69:70]
	s_wait_loadcnt_dscnt 0x801
	v_mul_f64_e32 v[95:96], v[63:64], v[73:74]
	v_mul_f64_e32 v[73:74], v[65:66], v[73:74]
	s_wait_loadcnt_dscnt 0x700
	v_mul_f64_e32 v[107:108], v[91:92], v[77:78]
	v_mul_f64_e32 v[77:78], v[93:94], v[77:78]
	v_add_f64_e32 v[2:3], v[2:3], v[115:116]
	v_add_f64_e32 v[6:7], v[6:7], v[113:114]
	v_fma_f64 v[95:96], v[65:66], v[71:72], v[95:96]
	v_fma_f64 v[71:72], v[63:64], v[71:72], -v[73:74]
	v_fma_f64 v[93:94], v[93:94], v[75:76], v[107:108]
	v_fma_f64 v[75:76], v[91:92], v[75:76], -v[77:78]
	v_add_f64_e32 v[2:3], v[2:3], v[67:68]
	v_add_f64_e32 v[6:7], v[6:7], v[97:98]
	ds_load_b128 v[63:66], v1 offset:640
	ds_load_b128 v[67:70], v1 offset:656
	s_wait_loadcnt_dscnt 0x601
	v_mul_f64_e32 v[73:74], v[63:64], v[81:82]
	v_mul_f64_e32 v[81:82], v[65:66], v[81:82]
	s_wait_loadcnt_dscnt 0x500
	v_mul_f64_e32 v[77:78], v[67:68], v[85:86]
	v_mul_f64_e32 v[85:86], v[69:70], v[85:86]
	v_add_f64_e32 v[2:3], v[2:3], v[71:72]
	v_add_f64_e32 v[6:7], v[6:7], v[95:96]
	v_fma_f64 v[91:92], v[65:66], v[79:80], v[73:74]
	v_fma_f64 v[79:80], v[63:64], v[79:80], -v[81:82]
	ds_load_b128 v[63:66], v1 offset:672
	ds_load_b128 v[71:74], v1 offset:688
	v_fma_f64 v[69:70], v[69:70], v[83:84], v[77:78]
	v_fma_f64 v[67:68], v[67:68], v[83:84], -v[85:86]
	v_add_f64_e32 v[2:3], v[2:3], v[75:76]
	v_add_f64_e32 v[6:7], v[6:7], v[93:94]
	s_wait_loadcnt_dscnt 0x401
	v_mul_f64_e32 v[75:76], v[63:64], v[89:90]
	v_mul_f64_e32 v[81:82], v[65:66], v[89:90]
	s_delay_alu instid0(VALU_DEP_4) | instskip(NEXT) | instid1(VALU_DEP_4)
	v_add_f64_e32 v[2:3], v[2:3], v[79:80]
	v_add_f64_e32 v[6:7], v[6:7], v[91:92]
	s_delay_alu instid0(VALU_DEP_4) | instskip(NEXT) | instid1(VALU_DEP_4)
	v_fma_f64 v[75:76], v[65:66], v[87:88], v[75:76]
	v_fma_f64 v[79:80], v[63:64], v[87:88], -v[81:82]
	s_wait_loadcnt_dscnt 0x200
	v_mul_f64_e32 v[77:78], v[71:72], v[10:11]
	v_mul_f64_e32 v[10:11], v[73:74], v[10:11]
	v_add_f64_e32 v[67:68], v[2:3], v[67:68]
	v_add_f64_e32 v[6:7], v[6:7], v[69:70]
	ds_load_b128 v[63:66], v1 offset:704
	ds_load_b128 v[1:4], v1 offset:720
	v_fma_f64 v[73:74], v[73:74], v[8:9], v[77:78]
	v_fma_f64 v[8:9], v[71:72], v[8:9], -v[10:11]
	s_wait_loadcnt_dscnt 0x101
	v_mul_f64_e32 v[69:70], v[63:64], v[105:106]
	v_mul_f64_e32 v[81:82], v[65:66], v[105:106]
	v_add_f64_e32 v[10:11], v[67:68], v[79:80]
	v_add_f64_e32 v[6:7], v[6:7], v[75:76]
	s_wait_loadcnt_dscnt 0x0
	v_mul_f64_e32 v[67:68], v[1:2], v[61:62]
	v_mul_f64_e32 v[61:62], v[3:4], v[61:62]
	v_fma_f64 v[65:66], v[65:66], v[103:104], v[69:70]
	v_fma_f64 v[63:64], v[63:64], v[103:104], -v[81:82]
	v_add_f64_e32 v[8:9], v[10:11], v[8:9]
	v_add_f64_e32 v[6:7], v[6:7], v[73:74]
	v_fma_f64 v[3:4], v[3:4], v[59:60], v[67:68]
	v_fma_f64 v[1:2], v[1:2], v[59:60], -v[61:62]
	s_delay_alu instid0(VALU_DEP_4) | instskip(NEXT) | instid1(VALU_DEP_4)
	v_add_f64_e32 v[8:9], v[8:9], v[63:64]
	v_add_f64_e32 v[6:7], v[6:7], v[65:66]
	s_delay_alu instid0(VALU_DEP_2) | instskip(NEXT) | instid1(VALU_DEP_2)
	v_add_f64_e32 v[1:2], v[8:9], v[1:2]
	v_add_f64_e32 v[3:4], v[6:7], v[3:4]
	s_delay_alu instid0(VALU_DEP_2) | instskip(NEXT) | instid1(VALU_DEP_2)
	v_add_f64_e64 v[1:2], v[99:100], -v[1:2]
	v_add_f64_e64 v[3:4], v[101:102], -v[3:4]
	scratch_store_b128 off, v[1:4], off offset:176
	v_cmpx_lt_u32_e32 9, v0
	s_cbranch_execz .LBB86_133
; %bb.132:
	scratch_load_b128 v[1:4], off, s22
	v_mov_b32_e32 v6, 0
	s_delay_alu instid0(VALU_DEP_1)
	v_dual_mov_b32 v7, v6 :: v_dual_mov_b32 v8, v6
	v_mov_b32_e32 v9, v6
	scratch_store_b128 off, v[6:9], off offset:160
	s_wait_loadcnt 0x0
	ds_store_b128 v5, v[1:4]
.LBB86_133:
	s_wait_alu 0xfffe
	s_or_b32 exec_lo, exec_lo, s0
	s_wait_storecnt_dscnt 0x0
	s_barrier_signal -1
	s_barrier_wait -1
	global_inv scope:SCOPE_SE
	s_clause 0x7
	scratch_load_b128 v[6:9], off, off offset:176
	scratch_load_b128 v[59:62], off, off offset:192
	;; [unrolled: 1-line block ×8, first 2 shown]
	v_mov_b32_e32 v1, 0
	s_mov_b32 s0, exec_lo
	ds_load_b128 v[87:90], v1 offset:528
	s_clause 0x1
	scratch_load_b128 v[91:94], off, off offset:304
	scratch_load_b128 v[95:98], off, off offset:160
	ds_load_b128 v[99:102], v1 offset:544
	ds_load_b128 v[107:110], v1 offset:576
	s_wait_loadcnt_dscnt 0x902
	v_mul_f64_e32 v[2:3], v[89:90], v[8:9]
	v_mul_f64_e32 v[103:104], v[87:88], v[8:9]
	scratch_load_b128 v[8:11], off, off offset:320
	v_fma_f64 v[2:3], v[87:88], v[6:7], -v[2:3]
	v_fma_f64 v[6:7], v[89:90], v[6:7], v[103:104]
	ds_load_b128 v[87:90], v1 offset:560
	s_wait_loadcnt_dscnt 0x902
	v_mul_f64_e32 v[111:112], v[99:100], v[61:62]
	v_mul_f64_e32 v[61:62], v[101:102], v[61:62]
	scratch_load_b128 v[103:106], off, off offset:336
	s_wait_loadcnt_dscnt 0x900
	v_mul_f64_e32 v[113:114], v[87:88], v[65:66]
	v_mul_f64_e32 v[65:66], v[89:90], v[65:66]
	v_add_f64_e32 v[2:3], 0, v[2:3]
	v_add_f64_e32 v[6:7], 0, v[6:7]
	v_fma_f64 v[101:102], v[101:102], v[59:60], v[111:112]
	v_fma_f64 v[99:100], v[99:100], v[59:60], -v[61:62]
	scratch_load_b128 v[59:62], off, off offset:352
	v_fma_f64 v[113:114], v[89:90], v[63:64], v[113:114]
	v_fma_f64 v[115:116], v[87:88], v[63:64], -v[65:66]
	ds_load_b128 v[63:66], v1 offset:592
	s_wait_loadcnt 0x9
	v_mul_f64_e32 v[111:112], v[107:108], v[69:70]
	v_mul_f64_e32 v[69:70], v[109:110], v[69:70]
	scratch_load_b128 v[87:90], off, off offset:368
	v_add_f64_e32 v[6:7], v[6:7], v[101:102]
	v_add_f64_e32 v[2:3], v[2:3], v[99:100]
	ds_load_b128 v[99:102], v1 offset:608
	s_wait_loadcnt_dscnt 0x901
	v_mul_f64_e32 v[117:118], v[63:64], v[73:74]
	v_mul_f64_e32 v[73:74], v[65:66], v[73:74]
	v_fma_f64 v[109:110], v[109:110], v[67:68], v[111:112]
	v_fma_f64 v[67:68], v[107:108], v[67:68], -v[69:70]
	s_wait_loadcnt_dscnt 0x800
	v_mul_f64_e32 v[107:108], v[99:100], v[77:78]
	v_mul_f64_e32 v[77:78], v[101:102], v[77:78]
	v_add_f64_e32 v[6:7], v[6:7], v[113:114]
	v_add_f64_e32 v[2:3], v[2:3], v[115:116]
	v_fma_f64 v[111:112], v[65:66], v[71:72], v[117:118]
	v_fma_f64 v[71:72], v[63:64], v[71:72], -v[73:74]
	v_fma_f64 v[101:102], v[101:102], v[75:76], v[107:108]
	v_fma_f64 v[75:76], v[99:100], v[75:76], -v[77:78]
	v_add_f64_e32 v[6:7], v[6:7], v[109:110]
	v_add_f64_e32 v[2:3], v[2:3], v[67:68]
	ds_load_b128 v[63:66], v1 offset:624
	ds_load_b128 v[67:70], v1 offset:640
	s_wait_loadcnt_dscnt 0x701
	v_mul_f64_e32 v[73:74], v[63:64], v[81:82]
	v_mul_f64_e32 v[81:82], v[65:66], v[81:82]
	s_wait_loadcnt_dscnt 0x600
	v_mul_f64_e32 v[77:78], v[67:68], v[85:86]
	v_mul_f64_e32 v[85:86], v[69:70], v[85:86]
	v_add_f64_e32 v[6:7], v[6:7], v[111:112]
	v_add_f64_e32 v[2:3], v[2:3], v[71:72]
	v_fma_f64 v[99:100], v[65:66], v[79:80], v[73:74]
	v_fma_f64 v[79:80], v[63:64], v[79:80], -v[81:82]
	ds_load_b128 v[63:66], v1 offset:656
	ds_load_b128 v[71:74], v1 offset:672
	v_fma_f64 v[69:70], v[69:70], v[83:84], v[77:78]
	v_fma_f64 v[67:68], v[67:68], v[83:84], -v[85:86]
	v_add_f64_e32 v[6:7], v[6:7], v[101:102]
	v_add_f64_e32 v[2:3], v[2:3], v[75:76]
	s_wait_loadcnt_dscnt 0x501
	v_mul_f64_e32 v[75:76], v[63:64], v[93:94]
	v_mul_f64_e32 v[81:82], v[65:66], v[93:94]
	s_delay_alu instid0(VALU_DEP_4) | instskip(NEXT) | instid1(VALU_DEP_4)
	v_add_f64_e32 v[6:7], v[6:7], v[99:100]
	v_add_f64_e32 v[2:3], v[2:3], v[79:80]
	s_delay_alu instid0(VALU_DEP_4) | instskip(NEXT) | instid1(VALU_DEP_4)
	v_fma_f64 v[75:76], v[65:66], v[91:92], v[75:76]
	v_fma_f64 v[79:80], v[63:64], v[91:92], -v[81:82]
	s_wait_loadcnt_dscnt 0x300
	v_mul_f64_e32 v[77:78], v[71:72], v[10:11]
	v_mul_f64_e32 v[10:11], v[73:74], v[10:11]
	v_add_f64_e32 v[6:7], v[6:7], v[69:70]
	v_add_f64_e32 v[2:3], v[2:3], v[67:68]
	ds_load_b128 v[63:66], v1 offset:688
	ds_load_b128 v[67:70], v1 offset:704
	v_fma_f64 v[73:74], v[73:74], v[8:9], v[77:78]
	v_fma_f64 v[8:9], v[71:72], v[8:9], -v[10:11]
	s_wait_loadcnt_dscnt 0x201
	v_mul_f64_e32 v[81:82], v[63:64], v[105:106]
	v_mul_f64_e32 v[83:84], v[65:66], v[105:106]
	v_add_f64_e32 v[6:7], v[6:7], v[75:76]
	v_add_f64_e32 v[2:3], v[2:3], v[79:80]
	s_wait_loadcnt_dscnt 0x100
	v_mul_f64_e32 v[10:11], v[67:68], v[61:62]
	v_mul_f64_e32 v[61:62], v[69:70], v[61:62]
	v_fma_f64 v[65:66], v[65:66], v[103:104], v[81:82]
	v_fma_f64 v[63:64], v[63:64], v[103:104], -v[83:84]
	v_add_f64_e32 v[71:72], v[6:7], v[73:74]
	v_add_f64_e32 v[2:3], v[2:3], v[8:9]
	ds_load_b128 v[6:9], v1 offset:720
	v_fma_f64 v[10:11], v[69:70], v[59:60], v[10:11]
	v_fma_f64 v[59:60], v[67:68], v[59:60], -v[61:62]
	s_wait_loadcnt_dscnt 0x0
	v_mul_f64_e32 v[73:74], v[6:7], v[89:90]
	v_mul_f64_e32 v[75:76], v[8:9], v[89:90]
	v_add_f64_e32 v[61:62], v[71:72], v[65:66]
	v_add_f64_e32 v[2:3], v[2:3], v[63:64]
	s_delay_alu instid0(VALU_DEP_4) | instskip(NEXT) | instid1(VALU_DEP_4)
	v_fma_f64 v[8:9], v[8:9], v[87:88], v[73:74]
	v_fma_f64 v[6:7], v[6:7], v[87:88], -v[75:76]
	s_delay_alu instid0(VALU_DEP_4) | instskip(NEXT) | instid1(VALU_DEP_4)
	v_add_f64_e32 v[10:11], v[61:62], v[10:11]
	v_add_f64_e32 v[2:3], v[2:3], v[59:60]
	s_delay_alu instid0(VALU_DEP_2) | instskip(NEXT) | instid1(VALU_DEP_2)
	v_add_f64_e32 v[8:9], v[10:11], v[8:9]
	v_add_f64_e32 v[2:3], v[2:3], v[6:7]
	s_delay_alu instid0(VALU_DEP_2) | instskip(NEXT) | instid1(VALU_DEP_2)
	v_add_f64_e64 v[8:9], v[97:98], -v[8:9]
	v_add_f64_e64 v[6:7], v[95:96], -v[2:3]
	scratch_store_b128 off, v[6:9], off offset:160
	v_cmpx_lt_u32_e32 8, v0
	s_cbranch_execz .LBB86_135
; %bb.134:
	scratch_load_b128 v[6:9], off, s10
	v_dual_mov_b32 v2, v1 :: v_dual_mov_b32 v3, v1
	v_mov_b32_e32 v4, v1
	scratch_store_b128 off, v[1:4], off offset:144
	s_wait_loadcnt 0x0
	ds_store_b128 v5, v[6:9]
.LBB86_135:
	s_wait_alu 0xfffe
	s_or_b32 exec_lo, exec_lo, s0
	s_wait_storecnt_dscnt 0x0
	s_barrier_signal -1
	s_barrier_wait -1
	global_inv scope:SCOPE_SE
	s_clause 0x8
	scratch_load_b128 v[6:9], off, off offset:160
	scratch_load_b128 v[59:62], off, off offset:176
	;; [unrolled: 1-line block ×9, first 2 shown]
	ds_load_b128 v[91:94], v1 offset:512
	ds_load_b128 v[95:98], v1 offset:528
	scratch_load_b128 v[99:102], off, off offset:144
	s_mov_b32 s0, exec_lo
	ds_load_b128 v[107:110], v1 offset:560
	s_wait_loadcnt_dscnt 0x902
	v_mul_f64_e32 v[2:3], v[93:94], v[8:9]
	v_mul_f64_e32 v[103:104], v[91:92], v[8:9]
	scratch_load_b128 v[8:11], off, off offset:304
	s_wait_loadcnt_dscnt 0x901
	v_mul_f64_e32 v[111:112], v[95:96], v[61:62]
	v_mul_f64_e32 v[61:62], v[97:98], v[61:62]
	v_fma_f64 v[2:3], v[91:92], v[6:7], -v[2:3]
	v_fma_f64 v[6:7], v[93:94], v[6:7], v[103:104]
	ds_load_b128 v[91:94], v1 offset:544
	scratch_load_b128 v[103:106], off, off offset:320
	v_fma_f64 v[97:98], v[97:98], v[59:60], v[111:112]
	v_fma_f64 v[95:96], v[95:96], v[59:60], -v[61:62]
	scratch_load_b128 v[59:62], off, off offset:336
	s_wait_loadcnt_dscnt 0x901
	v_mul_f64_e32 v[111:112], v[107:108], v[69:70]
	v_mul_f64_e32 v[69:70], v[109:110], v[69:70]
	s_wait_dscnt 0x0
	v_mul_f64_e32 v[113:114], v[91:92], v[65:66]
	v_mul_f64_e32 v[65:66], v[93:94], v[65:66]
	v_add_f64_e32 v[2:3], 0, v[2:3]
	v_add_f64_e32 v[6:7], 0, v[6:7]
	v_fma_f64 v[109:110], v[109:110], v[67:68], v[111:112]
	v_fma_f64 v[107:108], v[107:108], v[67:68], -v[69:70]
	scratch_load_b128 v[67:70], off, off offset:368
	v_fma_f64 v[113:114], v[93:94], v[63:64], v[113:114]
	v_fma_f64 v[115:116], v[91:92], v[63:64], -v[65:66]
	ds_load_b128 v[63:66], v1 offset:576
	scratch_load_b128 v[91:94], off, off offset:352
	v_add_f64_e32 v[2:3], v[2:3], v[95:96]
	v_add_f64_e32 v[6:7], v[6:7], v[97:98]
	ds_load_b128 v[95:98], v1 offset:592
	s_wait_loadcnt_dscnt 0xa01
	v_mul_f64_e32 v[117:118], v[63:64], v[73:74]
	v_mul_f64_e32 v[73:74], v[65:66], v[73:74]
	s_wait_loadcnt_dscnt 0x900
	v_mul_f64_e32 v[111:112], v[95:96], v[77:78]
	v_mul_f64_e32 v[77:78], v[97:98], v[77:78]
	v_add_f64_e32 v[2:3], v[2:3], v[115:116]
	v_add_f64_e32 v[6:7], v[6:7], v[113:114]
	v_fma_f64 v[113:114], v[65:66], v[71:72], v[117:118]
	v_fma_f64 v[115:116], v[63:64], v[71:72], -v[73:74]
	ds_load_b128 v[63:66], v1 offset:608
	ds_load_b128 v[71:74], v1 offset:624
	v_fma_f64 v[97:98], v[97:98], v[75:76], v[111:112]
	v_fma_f64 v[75:76], v[95:96], v[75:76], -v[77:78]
	s_wait_loadcnt_dscnt 0x700
	v_mul_f64_e32 v[95:96], v[71:72], v[85:86]
	v_mul_f64_e32 v[85:86], v[73:74], v[85:86]
	v_add_f64_e32 v[2:3], v[2:3], v[107:108]
	v_add_f64_e32 v[6:7], v[6:7], v[109:110]
	v_mul_f64_e32 v[107:108], v[63:64], v[81:82]
	v_mul_f64_e32 v[81:82], v[65:66], v[81:82]
	v_fma_f64 v[73:74], v[73:74], v[83:84], v[95:96]
	v_fma_f64 v[71:72], v[71:72], v[83:84], -v[85:86]
	v_add_f64_e32 v[2:3], v[2:3], v[115:116]
	v_add_f64_e32 v[6:7], v[6:7], v[113:114]
	v_fma_f64 v[107:108], v[65:66], v[79:80], v[107:108]
	v_fma_f64 v[79:80], v[63:64], v[79:80], -v[81:82]
	s_delay_alu instid0(VALU_DEP_4) | instskip(NEXT) | instid1(VALU_DEP_4)
	v_add_f64_e32 v[2:3], v[2:3], v[75:76]
	v_add_f64_e32 v[6:7], v[6:7], v[97:98]
	ds_load_b128 v[63:66], v1 offset:640
	ds_load_b128 v[75:78], v1 offset:656
	s_wait_loadcnt_dscnt 0x601
	v_mul_f64_e32 v[81:82], v[63:64], v[89:90]
	v_mul_f64_e32 v[89:90], v[65:66], v[89:90]
	v_add_f64_e32 v[2:3], v[2:3], v[79:80]
	v_add_f64_e32 v[6:7], v[6:7], v[107:108]
	s_wait_loadcnt_dscnt 0x400
	v_mul_f64_e32 v[79:80], v[75:76], v[10:11]
	v_mul_f64_e32 v[10:11], v[77:78], v[10:11]
	v_fma_f64 v[81:82], v[65:66], v[87:88], v[81:82]
	v_fma_f64 v[83:84], v[63:64], v[87:88], -v[89:90]
	v_add_f64_e32 v[2:3], v[2:3], v[71:72]
	v_add_f64_e32 v[6:7], v[6:7], v[73:74]
	ds_load_b128 v[63:66], v1 offset:672
	ds_load_b128 v[71:74], v1 offset:688
	v_fma_f64 v[77:78], v[77:78], v[8:9], v[79:80]
	v_fma_f64 v[8:9], v[75:76], v[8:9], -v[10:11]
	s_wait_loadcnt_dscnt 0x301
	v_mul_f64_e32 v[85:86], v[63:64], v[105:106]
	v_mul_f64_e32 v[87:88], v[65:66], v[105:106]
	s_wait_loadcnt_dscnt 0x200
	v_mul_f64_e32 v[10:11], v[71:72], v[61:62]
	v_mul_f64_e32 v[61:62], v[73:74], v[61:62]
	v_add_f64_e32 v[2:3], v[2:3], v[83:84]
	v_add_f64_e32 v[6:7], v[6:7], v[81:82]
	v_fma_f64 v[65:66], v[65:66], v[103:104], v[85:86]
	v_fma_f64 v[63:64], v[63:64], v[103:104], -v[87:88]
	v_fma_f64 v[10:11], v[73:74], v[59:60], v[10:11]
	v_fma_f64 v[59:60], v[71:72], v[59:60], -v[61:62]
	v_add_f64_e32 v[75:76], v[2:3], v[8:9]
	v_add_f64_e32 v[77:78], v[6:7], v[77:78]
	ds_load_b128 v[6:9], v1 offset:704
	ds_load_b128 v[1:4], v1 offset:720
	s_wait_loadcnt_dscnt 0x1
	v_mul_f64_e32 v[79:80], v[6:7], v[93:94]
	v_mul_f64_e32 v[81:82], v[8:9], v[93:94]
	v_add_f64_e32 v[61:62], v[75:76], v[63:64]
	v_add_f64_e32 v[63:64], v[77:78], v[65:66]
	s_wait_dscnt 0x0
	v_mul_f64_e32 v[65:66], v[1:2], v[69:70]
	v_mul_f64_e32 v[69:70], v[3:4], v[69:70]
	v_fma_f64 v[8:9], v[8:9], v[91:92], v[79:80]
	v_fma_f64 v[6:7], v[6:7], v[91:92], -v[81:82]
	v_add_f64_e32 v[59:60], v[61:62], v[59:60]
	v_add_f64_e32 v[10:11], v[63:64], v[10:11]
	v_fma_f64 v[3:4], v[3:4], v[67:68], v[65:66]
	v_fma_f64 v[1:2], v[1:2], v[67:68], -v[69:70]
	s_delay_alu instid0(VALU_DEP_4) | instskip(NEXT) | instid1(VALU_DEP_4)
	v_add_f64_e32 v[6:7], v[59:60], v[6:7]
	v_add_f64_e32 v[8:9], v[10:11], v[8:9]
	s_delay_alu instid0(VALU_DEP_2) | instskip(NEXT) | instid1(VALU_DEP_2)
	v_add_f64_e32 v[1:2], v[6:7], v[1:2]
	v_add_f64_e32 v[3:4], v[8:9], v[3:4]
	s_delay_alu instid0(VALU_DEP_2) | instskip(NEXT) | instid1(VALU_DEP_2)
	v_add_f64_e64 v[1:2], v[99:100], -v[1:2]
	v_add_f64_e64 v[3:4], v[101:102], -v[3:4]
	scratch_store_b128 off, v[1:4], off offset:144
	v_cmpx_lt_u32_e32 7, v0
	s_cbranch_execz .LBB86_137
; %bb.136:
	scratch_load_b128 v[1:4], off, s21
	v_mov_b32_e32 v6, 0
	s_delay_alu instid0(VALU_DEP_1)
	v_dual_mov_b32 v7, v6 :: v_dual_mov_b32 v8, v6
	v_mov_b32_e32 v9, v6
	scratch_store_b128 off, v[6:9], off offset:128
	s_wait_loadcnt 0x0
	ds_store_b128 v5, v[1:4]
.LBB86_137:
	s_wait_alu 0xfffe
	s_or_b32 exec_lo, exec_lo, s0
	s_wait_storecnt_dscnt 0x0
	s_barrier_signal -1
	s_barrier_wait -1
	global_inv scope:SCOPE_SE
	s_clause 0x7
	scratch_load_b128 v[6:9], off, off offset:144
	scratch_load_b128 v[59:62], off, off offset:160
	;; [unrolled: 1-line block ×8, first 2 shown]
	v_mov_b32_e32 v1, 0
	s_mov_b32 s0, exec_lo
	ds_load_b128 v[87:90], v1 offset:496
	s_clause 0x1
	scratch_load_b128 v[91:94], off, off offset:272
	scratch_load_b128 v[95:98], off, off offset:128
	ds_load_b128 v[99:102], v1 offset:512
	ds_load_b128 v[107:110], v1 offset:544
	s_wait_loadcnt_dscnt 0x902
	v_mul_f64_e32 v[2:3], v[89:90], v[8:9]
	v_mul_f64_e32 v[103:104], v[87:88], v[8:9]
	scratch_load_b128 v[8:11], off, off offset:288
	v_fma_f64 v[2:3], v[87:88], v[6:7], -v[2:3]
	v_fma_f64 v[6:7], v[89:90], v[6:7], v[103:104]
	ds_load_b128 v[87:90], v1 offset:528
	s_wait_loadcnt_dscnt 0x902
	v_mul_f64_e32 v[111:112], v[99:100], v[61:62]
	v_mul_f64_e32 v[61:62], v[101:102], v[61:62]
	scratch_load_b128 v[103:106], off, off offset:304
	s_wait_loadcnt_dscnt 0x900
	v_mul_f64_e32 v[113:114], v[87:88], v[65:66]
	v_mul_f64_e32 v[65:66], v[89:90], v[65:66]
	v_add_f64_e32 v[2:3], 0, v[2:3]
	v_add_f64_e32 v[6:7], 0, v[6:7]
	v_fma_f64 v[101:102], v[101:102], v[59:60], v[111:112]
	v_fma_f64 v[99:100], v[99:100], v[59:60], -v[61:62]
	scratch_load_b128 v[59:62], off, off offset:320
	v_fma_f64 v[113:114], v[89:90], v[63:64], v[113:114]
	v_fma_f64 v[115:116], v[87:88], v[63:64], -v[65:66]
	ds_load_b128 v[63:66], v1 offset:560
	s_wait_loadcnt 0x9
	v_mul_f64_e32 v[111:112], v[107:108], v[69:70]
	v_mul_f64_e32 v[69:70], v[109:110], v[69:70]
	scratch_load_b128 v[87:90], off, off offset:336
	v_add_f64_e32 v[6:7], v[6:7], v[101:102]
	v_add_f64_e32 v[2:3], v[2:3], v[99:100]
	ds_load_b128 v[99:102], v1 offset:576
	s_wait_loadcnt_dscnt 0x901
	v_mul_f64_e32 v[117:118], v[63:64], v[73:74]
	v_mul_f64_e32 v[73:74], v[65:66], v[73:74]
	v_fma_f64 v[109:110], v[109:110], v[67:68], v[111:112]
	v_fma_f64 v[107:108], v[107:108], v[67:68], -v[69:70]
	scratch_load_b128 v[67:70], off, off offset:352
	v_add_f64_e32 v[6:7], v[6:7], v[113:114]
	v_add_f64_e32 v[2:3], v[2:3], v[115:116]
	v_fma_f64 v[113:114], v[65:66], v[71:72], v[117:118]
	v_fma_f64 v[115:116], v[63:64], v[71:72], -v[73:74]
	ds_load_b128 v[63:66], v1 offset:592
	s_wait_loadcnt_dscnt 0x901
	v_mul_f64_e32 v[111:112], v[99:100], v[77:78]
	v_mul_f64_e32 v[77:78], v[101:102], v[77:78]
	scratch_load_b128 v[71:74], off, off offset:368
	s_wait_loadcnt_dscnt 0x900
	v_mul_f64_e32 v[117:118], v[63:64], v[81:82]
	v_mul_f64_e32 v[81:82], v[65:66], v[81:82]
	v_add_f64_e32 v[6:7], v[6:7], v[109:110]
	v_add_f64_e32 v[2:3], v[2:3], v[107:108]
	ds_load_b128 v[107:110], v1 offset:608
	v_fma_f64 v[101:102], v[101:102], v[75:76], v[111:112]
	v_fma_f64 v[75:76], v[99:100], v[75:76], -v[77:78]
	s_wait_loadcnt_dscnt 0x800
	v_mul_f64_e32 v[99:100], v[107:108], v[85:86]
	v_mul_f64_e32 v[85:86], v[109:110], v[85:86]
	v_fma_f64 v[111:112], v[65:66], v[79:80], v[117:118]
	v_fma_f64 v[79:80], v[63:64], v[79:80], -v[81:82]
	v_add_f64_e32 v[6:7], v[6:7], v[113:114]
	v_add_f64_e32 v[2:3], v[2:3], v[115:116]
	v_fma_f64 v[99:100], v[109:110], v[83:84], v[99:100]
	v_fma_f64 v[83:84], v[107:108], v[83:84], -v[85:86]
	s_delay_alu instid0(VALU_DEP_4) | instskip(NEXT) | instid1(VALU_DEP_4)
	v_add_f64_e32 v[6:7], v[6:7], v[101:102]
	v_add_f64_e32 v[2:3], v[2:3], v[75:76]
	ds_load_b128 v[63:66], v1 offset:624
	ds_load_b128 v[75:78], v1 offset:640
	s_wait_loadcnt_dscnt 0x701
	v_mul_f64_e32 v[81:82], v[63:64], v[93:94]
	v_mul_f64_e32 v[93:94], v[65:66], v[93:94]
	v_add_f64_e32 v[6:7], v[6:7], v[111:112]
	v_add_f64_e32 v[2:3], v[2:3], v[79:80]
	s_wait_loadcnt_dscnt 0x500
	v_mul_f64_e32 v[85:86], v[75:76], v[10:11]
	v_mul_f64_e32 v[10:11], v[77:78], v[10:11]
	v_fma_f64 v[101:102], v[65:66], v[91:92], v[81:82]
	v_fma_f64 v[91:92], v[63:64], v[91:92], -v[93:94]
	ds_load_b128 v[63:66], v1 offset:656
	ds_load_b128 v[79:82], v1 offset:672
	v_add_f64_e32 v[6:7], v[6:7], v[99:100]
	v_add_f64_e32 v[2:3], v[2:3], v[83:84]
	v_fma_f64 v[77:78], v[77:78], v[8:9], v[85:86]
	v_fma_f64 v[8:9], v[75:76], v[8:9], -v[10:11]
	s_wait_loadcnt_dscnt 0x401
	v_mul_f64_e32 v[83:84], v[63:64], v[105:106]
	v_mul_f64_e32 v[93:94], v[65:66], v[105:106]
	v_add_f64_e32 v[6:7], v[6:7], v[101:102]
	v_add_f64_e32 v[2:3], v[2:3], v[91:92]
	s_wait_loadcnt_dscnt 0x300
	v_mul_f64_e32 v[10:11], v[79:80], v[61:62]
	v_mul_f64_e32 v[75:76], v[81:82], v[61:62]
	v_fma_f64 v[65:66], v[65:66], v[103:104], v[83:84]
	v_fma_f64 v[83:84], v[63:64], v[103:104], -v[93:94]
	v_add_f64_e32 v[77:78], v[6:7], v[77:78]
	v_add_f64_e32 v[2:3], v[2:3], v[8:9]
	ds_load_b128 v[6:9], v1 offset:688
	ds_load_b128 v[61:64], v1 offset:704
	v_fma_f64 v[10:11], v[81:82], v[59:60], v[10:11]
	v_fma_f64 v[59:60], v[79:80], v[59:60], -v[75:76]
	s_wait_loadcnt_dscnt 0x201
	v_mul_f64_e32 v[85:86], v[6:7], v[89:90]
	v_mul_f64_e32 v[89:90], v[8:9], v[89:90]
	v_add_f64_e32 v[65:66], v[77:78], v[65:66]
	v_add_f64_e32 v[2:3], v[2:3], v[83:84]
	s_wait_loadcnt_dscnt 0x100
	v_mul_f64_e32 v[75:76], v[61:62], v[69:70]
	v_mul_f64_e32 v[69:70], v[63:64], v[69:70]
	v_fma_f64 v[77:78], v[8:9], v[87:88], v[85:86]
	v_fma_f64 v[79:80], v[6:7], v[87:88], -v[89:90]
	ds_load_b128 v[6:9], v1 offset:720
	v_add_f64_e32 v[10:11], v[65:66], v[10:11]
	v_add_f64_e32 v[2:3], v[2:3], v[59:60]
	v_fma_f64 v[63:64], v[63:64], v[67:68], v[75:76]
	v_fma_f64 v[61:62], v[61:62], v[67:68], -v[69:70]
	s_wait_loadcnt_dscnt 0x0
	v_mul_f64_e32 v[59:60], v[6:7], v[73:74]
	v_mul_f64_e32 v[65:66], v[8:9], v[73:74]
	v_add_f64_e32 v[10:11], v[10:11], v[77:78]
	v_add_f64_e32 v[2:3], v[2:3], v[79:80]
	s_delay_alu instid0(VALU_DEP_4) | instskip(NEXT) | instid1(VALU_DEP_4)
	v_fma_f64 v[8:9], v[8:9], v[71:72], v[59:60]
	v_fma_f64 v[6:7], v[6:7], v[71:72], -v[65:66]
	s_delay_alu instid0(VALU_DEP_4) | instskip(NEXT) | instid1(VALU_DEP_4)
	v_add_f64_e32 v[10:11], v[10:11], v[63:64]
	v_add_f64_e32 v[2:3], v[2:3], v[61:62]
	s_delay_alu instid0(VALU_DEP_2) | instskip(NEXT) | instid1(VALU_DEP_2)
	v_add_f64_e32 v[8:9], v[10:11], v[8:9]
	v_add_f64_e32 v[2:3], v[2:3], v[6:7]
	s_delay_alu instid0(VALU_DEP_2) | instskip(NEXT) | instid1(VALU_DEP_2)
	v_add_f64_e64 v[8:9], v[97:98], -v[8:9]
	v_add_f64_e64 v[6:7], v[95:96], -v[2:3]
	scratch_store_b128 off, v[6:9], off offset:128
	v_cmpx_lt_u32_e32 6, v0
	s_cbranch_execz .LBB86_139
; %bb.138:
	scratch_load_b128 v[6:9], off, s5
	v_dual_mov_b32 v2, v1 :: v_dual_mov_b32 v3, v1
	v_mov_b32_e32 v4, v1
	scratch_store_b128 off, v[1:4], off offset:112
	s_wait_loadcnt 0x0
	ds_store_b128 v5, v[6:9]
.LBB86_139:
	s_wait_alu 0xfffe
	s_or_b32 exec_lo, exec_lo, s0
	s_wait_storecnt_dscnt 0x0
	s_barrier_signal -1
	s_barrier_wait -1
	global_inv scope:SCOPE_SE
	s_clause 0x8
	scratch_load_b128 v[6:9], off, off offset:128
	scratch_load_b128 v[59:62], off, off offset:144
	;; [unrolled: 1-line block ×9, first 2 shown]
	ds_load_b128 v[91:94], v1 offset:480
	ds_load_b128 v[95:98], v1 offset:496
	scratch_load_b128 v[99:102], off, off offset:112
	s_mov_b32 s0, exec_lo
	ds_load_b128 v[107:110], v1 offset:528
	s_wait_loadcnt_dscnt 0x902
	v_mul_f64_e32 v[2:3], v[93:94], v[8:9]
	v_mul_f64_e32 v[103:104], v[91:92], v[8:9]
	scratch_load_b128 v[8:11], off, off offset:272
	s_wait_loadcnt_dscnt 0x901
	v_mul_f64_e32 v[111:112], v[95:96], v[61:62]
	v_mul_f64_e32 v[61:62], v[97:98], v[61:62]
	v_fma_f64 v[2:3], v[91:92], v[6:7], -v[2:3]
	v_fma_f64 v[6:7], v[93:94], v[6:7], v[103:104]
	ds_load_b128 v[91:94], v1 offset:512
	scratch_load_b128 v[103:106], off, off offset:288
	v_fma_f64 v[97:98], v[97:98], v[59:60], v[111:112]
	v_fma_f64 v[95:96], v[95:96], v[59:60], -v[61:62]
	scratch_load_b128 v[59:62], off, off offset:304
	s_wait_loadcnt_dscnt 0x901
	v_mul_f64_e32 v[111:112], v[107:108], v[69:70]
	v_mul_f64_e32 v[69:70], v[109:110], v[69:70]
	s_wait_dscnt 0x0
	v_mul_f64_e32 v[113:114], v[91:92], v[65:66]
	v_mul_f64_e32 v[65:66], v[93:94], v[65:66]
	v_add_f64_e32 v[2:3], 0, v[2:3]
	v_add_f64_e32 v[6:7], 0, v[6:7]
	v_fma_f64 v[109:110], v[109:110], v[67:68], v[111:112]
	v_fma_f64 v[107:108], v[107:108], v[67:68], -v[69:70]
	scratch_load_b128 v[67:70], off, off offset:336
	v_fma_f64 v[113:114], v[93:94], v[63:64], v[113:114]
	v_fma_f64 v[115:116], v[91:92], v[63:64], -v[65:66]
	ds_load_b128 v[63:66], v1 offset:544
	scratch_load_b128 v[91:94], off, off offset:320
	v_add_f64_e32 v[2:3], v[2:3], v[95:96]
	v_add_f64_e32 v[6:7], v[6:7], v[97:98]
	ds_load_b128 v[95:98], v1 offset:560
	s_wait_loadcnt_dscnt 0xa01
	v_mul_f64_e32 v[117:118], v[63:64], v[73:74]
	v_mul_f64_e32 v[73:74], v[65:66], v[73:74]
	s_wait_loadcnt_dscnt 0x900
	v_mul_f64_e32 v[111:112], v[95:96], v[77:78]
	v_mul_f64_e32 v[77:78], v[97:98], v[77:78]
	v_add_f64_e32 v[2:3], v[2:3], v[115:116]
	v_add_f64_e32 v[6:7], v[6:7], v[113:114]
	v_fma_f64 v[113:114], v[65:66], v[71:72], v[117:118]
	v_fma_f64 v[115:116], v[63:64], v[71:72], -v[73:74]
	ds_load_b128 v[63:66], v1 offset:576
	scratch_load_b128 v[71:74], off, off offset:352
	v_fma_f64 v[97:98], v[97:98], v[75:76], v[111:112]
	v_fma_f64 v[95:96], v[95:96], v[75:76], -v[77:78]
	scratch_load_b128 v[75:78], off, off offset:368
	v_add_f64_e32 v[2:3], v[2:3], v[107:108]
	v_add_f64_e32 v[6:7], v[6:7], v[109:110]
	ds_load_b128 v[107:110], v1 offset:592
	s_wait_loadcnt_dscnt 0xa01
	v_mul_f64_e32 v[117:118], v[63:64], v[81:82]
	v_mul_f64_e32 v[81:82], v[65:66], v[81:82]
	s_wait_loadcnt_dscnt 0x900
	v_mul_f64_e32 v[111:112], v[107:108], v[85:86]
	v_mul_f64_e32 v[85:86], v[109:110], v[85:86]
	v_add_f64_e32 v[2:3], v[2:3], v[115:116]
	v_add_f64_e32 v[6:7], v[6:7], v[113:114]
	v_fma_f64 v[113:114], v[65:66], v[79:80], v[117:118]
	v_fma_f64 v[115:116], v[63:64], v[79:80], -v[81:82]
	ds_load_b128 v[63:66], v1 offset:608
	ds_load_b128 v[79:82], v1 offset:624
	v_add_f64_e32 v[2:3], v[2:3], v[95:96]
	v_add_f64_e32 v[6:7], v[6:7], v[97:98]
	s_wait_loadcnt_dscnt 0x801
	v_mul_f64_e32 v[95:96], v[63:64], v[89:90]
	v_mul_f64_e32 v[89:90], v[65:66], v[89:90]
	v_fma_f64 v[97:98], v[109:110], v[83:84], v[111:112]
	v_fma_f64 v[83:84], v[107:108], v[83:84], -v[85:86]
	v_add_f64_e32 v[2:3], v[2:3], v[115:116]
	v_add_f64_e32 v[6:7], v[6:7], v[113:114]
	v_fma_f64 v[95:96], v[65:66], v[87:88], v[95:96]
	v_fma_f64 v[87:88], v[63:64], v[87:88], -v[89:90]
	s_wait_loadcnt_dscnt 0x600
	v_mul_f64_e32 v[107:108], v[79:80], v[10:11]
	v_mul_f64_e32 v[10:11], v[81:82], v[10:11]
	v_add_f64_e32 v[2:3], v[2:3], v[83:84]
	v_add_f64_e32 v[6:7], v[6:7], v[97:98]
	ds_load_b128 v[63:66], v1 offset:640
	ds_load_b128 v[83:86], v1 offset:656
	v_fma_f64 v[81:82], v[81:82], v[8:9], v[107:108]
	v_fma_f64 v[8:9], v[79:80], v[8:9], -v[10:11]
	s_wait_loadcnt_dscnt 0x501
	v_mul_f64_e32 v[89:90], v[63:64], v[105:106]
	v_mul_f64_e32 v[97:98], v[65:66], v[105:106]
	s_wait_loadcnt_dscnt 0x400
	v_mul_f64_e32 v[10:11], v[83:84], v[61:62]
	v_mul_f64_e32 v[79:80], v[85:86], v[61:62]
	v_add_f64_e32 v[2:3], v[2:3], v[87:88]
	v_add_f64_e32 v[6:7], v[6:7], v[95:96]
	v_fma_f64 v[65:66], v[65:66], v[103:104], v[89:90]
	v_fma_f64 v[87:88], v[63:64], v[103:104], -v[97:98]
	v_fma_f64 v[10:11], v[85:86], v[59:60], v[10:11]
	v_fma_f64 v[59:60], v[83:84], v[59:60], -v[79:80]
	v_add_f64_e32 v[2:3], v[2:3], v[8:9]
	v_add_f64_e32 v[81:82], v[6:7], v[81:82]
	ds_load_b128 v[6:9], v1 offset:672
	ds_load_b128 v[61:64], v1 offset:688
	s_wait_loadcnt_dscnt 0x201
	v_mul_f64_e32 v[89:90], v[6:7], v[93:94]
	v_mul_f64_e32 v[93:94], v[8:9], v[93:94]
	s_wait_dscnt 0x0
	v_mul_f64_e32 v[79:80], v[61:62], v[69:70]
	v_mul_f64_e32 v[69:70], v[63:64], v[69:70]
	v_add_f64_e32 v[2:3], v[2:3], v[87:88]
	v_add_f64_e32 v[65:66], v[81:82], v[65:66]
	v_fma_f64 v[81:82], v[8:9], v[91:92], v[89:90]
	v_fma_f64 v[83:84], v[6:7], v[91:92], -v[93:94]
	v_fma_f64 v[63:64], v[63:64], v[67:68], v[79:80]
	v_fma_f64 v[61:62], v[61:62], v[67:68], -v[69:70]
	v_add_f64_e32 v[59:60], v[2:3], v[59:60]
	v_add_f64_e32 v[10:11], v[65:66], v[10:11]
	ds_load_b128 v[6:9], v1 offset:704
	ds_load_b128 v[1:4], v1 offset:720
	s_wait_loadcnt_dscnt 0x101
	v_mul_f64_e32 v[65:66], v[6:7], v[73:74]
	v_mul_f64_e32 v[73:74], v[8:9], v[73:74]
	s_wait_loadcnt_dscnt 0x0
	v_mul_f64_e32 v[67:68], v[1:2], v[77:78]
	v_mul_f64_e32 v[69:70], v[3:4], v[77:78]
	v_add_f64_e32 v[59:60], v[59:60], v[83:84]
	v_add_f64_e32 v[10:11], v[10:11], v[81:82]
	v_fma_f64 v[8:9], v[8:9], v[71:72], v[65:66]
	v_fma_f64 v[6:7], v[6:7], v[71:72], -v[73:74]
	v_fma_f64 v[3:4], v[3:4], v[75:76], v[67:68]
	v_fma_f64 v[1:2], v[1:2], v[75:76], -v[69:70]
	v_add_f64_e32 v[59:60], v[59:60], v[61:62]
	v_add_f64_e32 v[10:11], v[10:11], v[63:64]
	s_delay_alu instid0(VALU_DEP_2) | instskip(NEXT) | instid1(VALU_DEP_2)
	v_add_f64_e32 v[6:7], v[59:60], v[6:7]
	v_add_f64_e32 v[8:9], v[10:11], v[8:9]
	s_delay_alu instid0(VALU_DEP_2) | instskip(NEXT) | instid1(VALU_DEP_2)
	;; [unrolled: 3-line block ×3, first 2 shown]
	v_add_f64_e64 v[1:2], v[99:100], -v[1:2]
	v_add_f64_e64 v[3:4], v[101:102], -v[3:4]
	scratch_store_b128 off, v[1:4], off offset:112
	v_cmpx_lt_u32_e32 5, v0
	s_cbranch_execz .LBB86_141
; %bb.140:
	scratch_load_b128 v[1:4], off, s20
	v_mov_b32_e32 v6, 0
	s_delay_alu instid0(VALU_DEP_1)
	v_dual_mov_b32 v7, v6 :: v_dual_mov_b32 v8, v6
	v_mov_b32_e32 v9, v6
	scratch_store_b128 off, v[6:9], off offset:96
	s_wait_loadcnt 0x0
	ds_store_b128 v5, v[1:4]
.LBB86_141:
	s_wait_alu 0xfffe
	s_or_b32 exec_lo, exec_lo, s0
	s_wait_storecnt_dscnt 0x0
	s_barrier_signal -1
	s_barrier_wait -1
	global_inv scope:SCOPE_SE
	s_clause 0x7
	scratch_load_b128 v[6:9], off, off offset:112
	scratch_load_b128 v[59:62], off, off offset:128
	;; [unrolled: 1-line block ×8, first 2 shown]
	v_mov_b32_e32 v1, 0
	s_mov_b32 s0, exec_lo
	ds_load_b128 v[87:90], v1 offset:464
	s_clause 0x1
	scratch_load_b128 v[91:94], off, off offset:240
	scratch_load_b128 v[95:98], off, off offset:96
	ds_load_b128 v[99:102], v1 offset:480
	ds_load_b128 v[107:110], v1 offset:512
	s_wait_loadcnt_dscnt 0x902
	v_mul_f64_e32 v[2:3], v[89:90], v[8:9]
	v_mul_f64_e32 v[103:104], v[87:88], v[8:9]
	scratch_load_b128 v[8:11], off, off offset:256
	v_fma_f64 v[2:3], v[87:88], v[6:7], -v[2:3]
	v_fma_f64 v[6:7], v[89:90], v[6:7], v[103:104]
	ds_load_b128 v[87:90], v1 offset:496
	s_wait_loadcnt_dscnt 0x902
	v_mul_f64_e32 v[111:112], v[99:100], v[61:62]
	v_mul_f64_e32 v[61:62], v[101:102], v[61:62]
	scratch_load_b128 v[103:106], off, off offset:272
	s_wait_loadcnt_dscnt 0x900
	v_mul_f64_e32 v[113:114], v[87:88], v[65:66]
	v_mul_f64_e32 v[65:66], v[89:90], v[65:66]
	v_add_f64_e32 v[2:3], 0, v[2:3]
	v_add_f64_e32 v[6:7], 0, v[6:7]
	v_fma_f64 v[101:102], v[101:102], v[59:60], v[111:112]
	v_fma_f64 v[99:100], v[99:100], v[59:60], -v[61:62]
	scratch_load_b128 v[59:62], off, off offset:288
	v_fma_f64 v[113:114], v[89:90], v[63:64], v[113:114]
	v_fma_f64 v[115:116], v[87:88], v[63:64], -v[65:66]
	ds_load_b128 v[63:66], v1 offset:528
	s_wait_loadcnt 0x9
	v_mul_f64_e32 v[111:112], v[107:108], v[69:70]
	v_mul_f64_e32 v[69:70], v[109:110], v[69:70]
	scratch_load_b128 v[87:90], off, off offset:304
	v_add_f64_e32 v[6:7], v[6:7], v[101:102]
	v_add_f64_e32 v[2:3], v[2:3], v[99:100]
	ds_load_b128 v[99:102], v1 offset:544
	s_wait_loadcnt_dscnt 0x901
	v_mul_f64_e32 v[117:118], v[63:64], v[73:74]
	v_mul_f64_e32 v[73:74], v[65:66], v[73:74]
	v_fma_f64 v[109:110], v[109:110], v[67:68], v[111:112]
	v_fma_f64 v[107:108], v[107:108], v[67:68], -v[69:70]
	scratch_load_b128 v[67:70], off, off offset:320
	v_add_f64_e32 v[6:7], v[6:7], v[113:114]
	v_add_f64_e32 v[2:3], v[2:3], v[115:116]
	v_fma_f64 v[113:114], v[65:66], v[71:72], v[117:118]
	v_fma_f64 v[115:116], v[63:64], v[71:72], -v[73:74]
	ds_load_b128 v[63:66], v1 offset:560
	s_wait_loadcnt_dscnt 0x901
	v_mul_f64_e32 v[111:112], v[99:100], v[77:78]
	v_mul_f64_e32 v[77:78], v[101:102], v[77:78]
	scratch_load_b128 v[71:74], off, off offset:336
	s_wait_loadcnt_dscnt 0x900
	v_mul_f64_e32 v[117:118], v[63:64], v[81:82]
	v_mul_f64_e32 v[81:82], v[65:66], v[81:82]
	v_add_f64_e32 v[6:7], v[6:7], v[109:110]
	v_add_f64_e32 v[2:3], v[2:3], v[107:108]
	ds_load_b128 v[107:110], v1 offset:576
	v_fma_f64 v[101:102], v[101:102], v[75:76], v[111:112]
	v_fma_f64 v[99:100], v[99:100], v[75:76], -v[77:78]
	scratch_load_b128 v[75:78], off, off offset:352
	v_add_f64_e32 v[6:7], v[6:7], v[113:114]
	v_add_f64_e32 v[2:3], v[2:3], v[115:116]
	v_fma_f64 v[113:114], v[65:66], v[79:80], v[117:118]
	v_fma_f64 v[115:116], v[63:64], v[79:80], -v[81:82]
	ds_load_b128 v[63:66], v1 offset:592
	s_wait_loadcnt_dscnt 0x901
	v_mul_f64_e32 v[111:112], v[107:108], v[85:86]
	v_mul_f64_e32 v[85:86], v[109:110], v[85:86]
	scratch_load_b128 v[79:82], off, off offset:368
	s_wait_loadcnt_dscnt 0x900
	v_mul_f64_e32 v[117:118], v[63:64], v[93:94]
	v_mul_f64_e32 v[93:94], v[65:66], v[93:94]
	v_add_f64_e32 v[6:7], v[6:7], v[101:102]
	v_add_f64_e32 v[2:3], v[2:3], v[99:100]
	ds_load_b128 v[99:102], v1 offset:608
	v_fma_f64 v[109:110], v[109:110], v[83:84], v[111:112]
	v_fma_f64 v[83:84], v[107:108], v[83:84], -v[85:86]
	v_fma_f64 v[111:112], v[65:66], v[91:92], v[117:118]
	v_fma_f64 v[91:92], v[63:64], v[91:92], -v[93:94]
	v_add_f64_e32 v[6:7], v[6:7], v[113:114]
	v_add_f64_e32 v[2:3], v[2:3], v[115:116]
	s_wait_loadcnt_dscnt 0x700
	v_mul_f64_e32 v[107:108], v[99:100], v[10:11]
	v_mul_f64_e32 v[10:11], v[101:102], v[10:11]
	s_delay_alu instid0(VALU_DEP_4) | instskip(NEXT) | instid1(VALU_DEP_4)
	v_add_f64_e32 v[6:7], v[6:7], v[109:110]
	v_add_f64_e32 v[2:3], v[2:3], v[83:84]
	ds_load_b128 v[63:66], v1 offset:624
	ds_load_b128 v[83:86], v1 offset:640
	v_fma_f64 v[101:102], v[101:102], v[8:9], v[107:108]
	v_fma_f64 v[8:9], v[99:100], v[8:9], -v[10:11]
	s_wait_loadcnt_dscnt 0x601
	v_mul_f64_e32 v[93:94], v[63:64], v[105:106]
	v_mul_f64_e32 v[105:106], v[65:66], v[105:106]
	v_add_f64_e32 v[6:7], v[6:7], v[111:112]
	v_add_f64_e32 v[2:3], v[2:3], v[91:92]
	s_wait_loadcnt_dscnt 0x500
	v_mul_f64_e32 v[10:11], v[83:84], v[61:62]
	v_mul_f64_e32 v[91:92], v[85:86], v[61:62]
	v_fma_f64 v[65:66], v[65:66], v[103:104], v[93:94]
	v_fma_f64 v[93:94], v[63:64], v[103:104], -v[105:106]
	v_add_f64_e32 v[99:100], v[6:7], v[101:102]
	v_add_f64_e32 v[2:3], v[2:3], v[8:9]
	ds_load_b128 v[6:9], v1 offset:656
	ds_load_b128 v[61:64], v1 offset:672
	v_fma_f64 v[10:11], v[85:86], v[59:60], v[10:11]
	v_fma_f64 v[59:60], v[83:84], v[59:60], -v[91:92]
	s_wait_loadcnt_dscnt 0x401
	v_mul_f64_e32 v[101:102], v[6:7], v[89:90]
	v_mul_f64_e32 v[89:90], v[8:9], v[89:90]
	v_add_f64_e32 v[65:66], v[99:100], v[65:66]
	v_add_f64_e32 v[2:3], v[2:3], v[93:94]
	s_wait_loadcnt_dscnt 0x300
	v_mul_f64_e32 v[91:92], v[61:62], v[69:70]
	v_mul_f64_e32 v[69:70], v[63:64], v[69:70]
	v_fma_f64 v[93:94], v[8:9], v[87:88], v[101:102]
	v_fma_f64 v[87:88], v[6:7], v[87:88], -v[89:90]
	ds_load_b128 v[6:9], v1 offset:688
	ds_load_b128 v[83:86], v1 offset:704
	v_add_f64_e32 v[10:11], v[65:66], v[10:11]
	v_add_f64_e32 v[2:3], v[2:3], v[59:60]
	v_fma_f64 v[63:64], v[63:64], v[67:68], v[91:92]
	v_fma_f64 v[61:62], v[61:62], v[67:68], -v[69:70]
	s_wait_loadcnt_dscnt 0x201
	v_mul_f64_e32 v[59:60], v[6:7], v[73:74]
	v_mul_f64_e32 v[65:66], v[8:9], v[73:74]
	s_wait_loadcnt_dscnt 0x100
	v_mul_f64_e32 v[67:68], v[83:84], v[77:78]
	v_mul_f64_e32 v[69:70], v[85:86], v[77:78]
	v_add_f64_e32 v[10:11], v[10:11], v[93:94]
	v_add_f64_e32 v[2:3], v[2:3], v[87:88]
	v_fma_f64 v[59:60], v[8:9], v[71:72], v[59:60]
	v_fma_f64 v[65:66], v[6:7], v[71:72], -v[65:66]
	ds_load_b128 v[6:9], v1 offset:720
	v_fma_f64 v[67:68], v[85:86], v[75:76], v[67:68]
	v_fma_f64 v[69:70], v[83:84], v[75:76], -v[69:70]
	v_add_f64_e32 v[10:11], v[10:11], v[63:64]
	v_add_f64_e32 v[2:3], v[2:3], v[61:62]
	s_wait_loadcnt_dscnt 0x0
	v_mul_f64_e32 v[61:62], v[6:7], v[81:82]
	v_mul_f64_e32 v[63:64], v[8:9], v[81:82]
	s_delay_alu instid0(VALU_DEP_4) | instskip(NEXT) | instid1(VALU_DEP_4)
	v_add_f64_e32 v[10:11], v[10:11], v[59:60]
	v_add_f64_e32 v[2:3], v[2:3], v[65:66]
	s_delay_alu instid0(VALU_DEP_4) | instskip(NEXT) | instid1(VALU_DEP_4)
	v_fma_f64 v[8:9], v[8:9], v[79:80], v[61:62]
	v_fma_f64 v[6:7], v[6:7], v[79:80], -v[63:64]
	s_delay_alu instid0(VALU_DEP_4) | instskip(NEXT) | instid1(VALU_DEP_4)
	v_add_f64_e32 v[10:11], v[10:11], v[67:68]
	v_add_f64_e32 v[2:3], v[2:3], v[69:70]
	s_delay_alu instid0(VALU_DEP_2) | instskip(NEXT) | instid1(VALU_DEP_2)
	v_add_f64_e32 v[8:9], v[10:11], v[8:9]
	v_add_f64_e32 v[2:3], v[2:3], v[6:7]
	s_delay_alu instid0(VALU_DEP_2) | instskip(NEXT) | instid1(VALU_DEP_2)
	v_add_f64_e64 v[8:9], v[97:98], -v[8:9]
	v_add_f64_e64 v[6:7], v[95:96], -v[2:3]
	scratch_store_b128 off, v[6:9], off offset:96
	v_cmpx_lt_u32_e32 4, v0
	s_cbranch_execz .LBB86_143
; %bb.142:
	scratch_load_b128 v[6:9], off, s4
	v_dual_mov_b32 v2, v1 :: v_dual_mov_b32 v3, v1
	v_mov_b32_e32 v4, v1
	scratch_store_b128 off, v[1:4], off offset:80
	s_wait_loadcnt 0x0
	ds_store_b128 v5, v[6:9]
.LBB86_143:
	s_wait_alu 0xfffe
	s_or_b32 exec_lo, exec_lo, s0
	s_wait_storecnt_dscnt 0x0
	s_barrier_signal -1
	s_barrier_wait -1
	global_inv scope:SCOPE_SE
	s_clause 0x8
	scratch_load_b128 v[6:9], off, off offset:96
	scratch_load_b128 v[59:62], off, off offset:112
	;; [unrolled: 1-line block ×9, first 2 shown]
	ds_load_b128 v[91:94], v1 offset:448
	ds_load_b128 v[95:98], v1 offset:464
	scratch_load_b128 v[99:102], off, off offset:80
	s_mov_b32 s0, exec_lo
	ds_load_b128 v[107:110], v1 offset:496
	s_wait_loadcnt_dscnt 0x902
	v_mul_f64_e32 v[2:3], v[93:94], v[8:9]
	v_mul_f64_e32 v[103:104], v[91:92], v[8:9]
	scratch_load_b128 v[8:11], off, off offset:240
	s_wait_loadcnt_dscnt 0x901
	v_mul_f64_e32 v[111:112], v[95:96], v[61:62]
	v_mul_f64_e32 v[61:62], v[97:98], v[61:62]
	v_fma_f64 v[2:3], v[91:92], v[6:7], -v[2:3]
	v_fma_f64 v[6:7], v[93:94], v[6:7], v[103:104]
	ds_load_b128 v[91:94], v1 offset:480
	scratch_load_b128 v[103:106], off, off offset:256
	v_fma_f64 v[97:98], v[97:98], v[59:60], v[111:112]
	v_fma_f64 v[95:96], v[95:96], v[59:60], -v[61:62]
	scratch_load_b128 v[59:62], off, off offset:272
	s_wait_loadcnt_dscnt 0x901
	v_mul_f64_e32 v[111:112], v[107:108], v[69:70]
	v_mul_f64_e32 v[69:70], v[109:110], v[69:70]
	s_wait_dscnt 0x0
	v_mul_f64_e32 v[113:114], v[91:92], v[65:66]
	v_mul_f64_e32 v[65:66], v[93:94], v[65:66]
	v_add_f64_e32 v[2:3], 0, v[2:3]
	v_add_f64_e32 v[6:7], 0, v[6:7]
	v_fma_f64 v[109:110], v[109:110], v[67:68], v[111:112]
	v_fma_f64 v[107:108], v[107:108], v[67:68], -v[69:70]
	scratch_load_b128 v[67:70], off, off offset:304
	v_fma_f64 v[113:114], v[93:94], v[63:64], v[113:114]
	v_fma_f64 v[115:116], v[91:92], v[63:64], -v[65:66]
	ds_load_b128 v[63:66], v1 offset:512
	scratch_load_b128 v[91:94], off, off offset:288
	v_add_f64_e32 v[2:3], v[2:3], v[95:96]
	v_add_f64_e32 v[6:7], v[6:7], v[97:98]
	ds_load_b128 v[95:98], v1 offset:528
	s_wait_loadcnt_dscnt 0xa01
	v_mul_f64_e32 v[117:118], v[63:64], v[73:74]
	v_mul_f64_e32 v[73:74], v[65:66], v[73:74]
	s_wait_loadcnt_dscnt 0x900
	v_mul_f64_e32 v[111:112], v[95:96], v[77:78]
	v_mul_f64_e32 v[77:78], v[97:98], v[77:78]
	v_add_f64_e32 v[2:3], v[2:3], v[115:116]
	v_add_f64_e32 v[6:7], v[6:7], v[113:114]
	v_fma_f64 v[113:114], v[65:66], v[71:72], v[117:118]
	v_fma_f64 v[115:116], v[63:64], v[71:72], -v[73:74]
	ds_load_b128 v[63:66], v1 offset:544
	scratch_load_b128 v[71:74], off, off offset:320
	v_fma_f64 v[97:98], v[97:98], v[75:76], v[111:112]
	v_fma_f64 v[95:96], v[95:96], v[75:76], -v[77:78]
	scratch_load_b128 v[75:78], off, off offset:336
	v_add_f64_e32 v[2:3], v[2:3], v[107:108]
	v_add_f64_e32 v[6:7], v[6:7], v[109:110]
	ds_load_b128 v[107:110], v1 offset:560
	s_wait_loadcnt_dscnt 0xa01
	v_mul_f64_e32 v[117:118], v[63:64], v[81:82]
	v_mul_f64_e32 v[81:82], v[65:66], v[81:82]
	s_wait_loadcnt_dscnt 0x900
	v_mul_f64_e32 v[111:112], v[107:108], v[85:86]
	v_mul_f64_e32 v[85:86], v[109:110], v[85:86]
	v_add_f64_e32 v[2:3], v[2:3], v[115:116]
	v_add_f64_e32 v[6:7], v[6:7], v[113:114]
	v_fma_f64 v[113:114], v[65:66], v[79:80], v[117:118]
	v_fma_f64 v[115:116], v[63:64], v[79:80], -v[81:82]
	ds_load_b128 v[63:66], v1 offset:576
	scratch_load_b128 v[79:82], off, off offset:352
	v_fma_f64 v[109:110], v[109:110], v[83:84], v[111:112]
	v_fma_f64 v[107:108], v[107:108], v[83:84], -v[85:86]
	scratch_load_b128 v[83:86], off, off offset:368
	v_add_f64_e32 v[2:3], v[2:3], v[95:96]
	v_add_f64_e32 v[6:7], v[6:7], v[97:98]
	ds_load_b128 v[95:98], v1 offset:592
	s_wait_loadcnt_dscnt 0xa01
	v_mul_f64_e32 v[117:118], v[63:64], v[89:90]
	v_mul_f64_e32 v[89:90], v[65:66], v[89:90]
	v_add_f64_e32 v[2:3], v[2:3], v[115:116]
	v_add_f64_e32 v[6:7], v[6:7], v[113:114]
	s_delay_alu instid0(VALU_DEP_4) | instskip(NEXT) | instid1(VALU_DEP_4)
	v_fma_f64 v[113:114], v[65:66], v[87:88], v[117:118]
	v_fma_f64 v[115:116], v[63:64], v[87:88], -v[89:90]
	ds_load_b128 v[63:66], v1 offset:608
	ds_load_b128 v[87:90], v1 offset:624
	s_wait_loadcnt_dscnt 0x802
	v_mul_f64_e32 v[111:112], v[95:96], v[10:11]
	v_mul_f64_e32 v[10:11], v[97:98], v[10:11]
	v_add_f64_e32 v[2:3], v[2:3], v[107:108]
	v_add_f64_e32 v[6:7], v[6:7], v[109:110]
	s_delay_alu instid0(VALU_DEP_4)
	v_fma_f64 v[97:98], v[97:98], v[8:9], v[111:112]
	s_wait_loadcnt_dscnt 0x701
	v_mul_f64_e32 v[107:108], v[63:64], v[105:106]
	v_mul_f64_e32 v[105:106], v[65:66], v[105:106]
	v_fma_f64 v[8:9], v[95:96], v[8:9], -v[10:11]
	s_wait_loadcnt_dscnt 0x600
	v_mul_f64_e32 v[10:11], v[87:88], v[61:62]
	v_mul_f64_e32 v[95:96], v[89:90], v[61:62]
	v_add_f64_e32 v[2:3], v[2:3], v[115:116]
	v_add_f64_e32 v[6:7], v[6:7], v[113:114]
	v_fma_f64 v[65:66], v[65:66], v[103:104], v[107:108]
	v_fma_f64 v[103:104], v[63:64], v[103:104], -v[105:106]
	v_fma_f64 v[10:11], v[89:90], v[59:60], v[10:11]
	v_fma_f64 v[59:60], v[87:88], v[59:60], -v[95:96]
	v_add_f64_e32 v[2:3], v[2:3], v[8:9]
	v_add_f64_e32 v[97:98], v[6:7], v[97:98]
	ds_load_b128 v[6:9], v1 offset:640
	ds_load_b128 v[61:64], v1 offset:656
	s_wait_loadcnt_dscnt 0x401
	v_mul_f64_e32 v[105:106], v[6:7], v[93:94]
	v_mul_f64_e32 v[93:94], v[8:9], v[93:94]
	s_wait_dscnt 0x0
	v_mul_f64_e32 v[95:96], v[61:62], v[69:70]
	v_mul_f64_e32 v[69:70], v[63:64], v[69:70]
	v_add_f64_e32 v[2:3], v[2:3], v[103:104]
	v_add_f64_e32 v[65:66], v[97:98], v[65:66]
	v_fma_f64 v[97:98], v[8:9], v[91:92], v[105:106]
	v_fma_f64 v[91:92], v[6:7], v[91:92], -v[93:94]
	ds_load_b128 v[6:9], v1 offset:672
	ds_load_b128 v[87:90], v1 offset:688
	v_fma_f64 v[63:64], v[63:64], v[67:68], v[95:96]
	v_fma_f64 v[61:62], v[61:62], v[67:68], -v[69:70]
	v_add_f64_e32 v[2:3], v[2:3], v[59:60]
	v_add_f64_e32 v[10:11], v[65:66], v[10:11]
	s_wait_loadcnt_dscnt 0x301
	v_mul_f64_e32 v[59:60], v[6:7], v[73:74]
	v_mul_f64_e32 v[65:66], v[8:9], v[73:74]
	s_wait_loadcnt_dscnt 0x200
	v_mul_f64_e32 v[67:68], v[87:88], v[77:78]
	v_mul_f64_e32 v[69:70], v[89:90], v[77:78]
	v_add_f64_e32 v[2:3], v[2:3], v[91:92]
	v_add_f64_e32 v[10:11], v[10:11], v[97:98]
	v_fma_f64 v[59:60], v[8:9], v[71:72], v[59:60]
	v_fma_f64 v[65:66], v[6:7], v[71:72], -v[65:66]
	v_fma_f64 v[67:68], v[89:90], v[75:76], v[67:68]
	v_fma_f64 v[69:70], v[87:88], v[75:76], -v[69:70]
	v_add_f64_e32 v[61:62], v[2:3], v[61:62]
	v_add_f64_e32 v[10:11], v[10:11], v[63:64]
	ds_load_b128 v[6:9], v1 offset:704
	ds_load_b128 v[1:4], v1 offset:720
	s_wait_loadcnt_dscnt 0x101
	v_mul_f64_e32 v[63:64], v[6:7], v[81:82]
	v_mul_f64_e32 v[71:72], v[8:9], v[81:82]
	v_add_f64_e32 v[61:62], v[61:62], v[65:66]
	v_add_f64_e32 v[10:11], v[10:11], v[59:60]
	s_wait_loadcnt_dscnt 0x0
	v_mul_f64_e32 v[59:60], v[1:2], v[85:86]
	v_mul_f64_e32 v[65:66], v[3:4], v[85:86]
	v_fma_f64 v[8:9], v[8:9], v[79:80], v[63:64]
	v_fma_f64 v[6:7], v[6:7], v[79:80], -v[71:72]
	v_add_f64_e32 v[61:62], v[61:62], v[69:70]
	v_add_f64_e32 v[10:11], v[10:11], v[67:68]
	v_fma_f64 v[3:4], v[3:4], v[83:84], v[59:60]
	v_fma_f64 v[1:2], v[1:2], v[83:84], -v[65:66]
	s_delay_alu instid0(VALU_DEP_4) | instskip(NEXT) | instid1(VALU_DEP_4)
	v_add_f64_e32 v[6:7], v[61:62], v[6:7]
	v_add_f64_e32 v[8:9], v[10:11], v[8:9]
	s_delay_alu instid0(VALU_DEP_2) | instskip(NEXT) | instid1(VALU_DEP_2)
	v_add_f64_e32 v[1:2], v[6:7], v[1:2]
	v_add_f64_e32 v[3:4], v[8:9], v[3:4]
	s_delay_alu instid0(VALU_DEP_2) | instskip(NEXT) | instid1(VALU_DEP_2)
	v_add_f64_e64 v[1:2], v[99:100], -v[1:2]
	v_add_f64_e64 v[3:4], v[101:102], -v[3:4]
	scratch_store_b128 off, v[1:4], off offset:80
	v_cmpx_lt_u32_e32 3, v0
	s_cbranch_execz .LBB86_145
; %bb.144:
	scratch_load_b128 v[1:4], off, s19
	v_mov_b32_e32 v6, 0
	s_delay_alu instid0(VALU_DEP_1)
	v_dual_mov_b32 v7, v6 :: v_dual_mov_b32 v8, v6
	v_mov_b32_e32 v9, v6
	scratch_store_b128 off, v[6:9], off offset:64
	s_wait_loadcnt 0x0
	ds_store_b128 v5, v[1:4]
.LBB86_145:
	s_wait_alu 0xfffe
	s_or_b32 exec_lo, exec_lo, s0
	s_wait_storecnt_dscnt 0x0
	s_barrier_signal -1
	s_barrier_wait -1
	global_inv scope:SCOPE_SE
	s_clause 0x7
	scratch_load_b128 v[6:9], off, off offset:80
	scratch_load_b128 v[59:62], off, off offset:96
	;; [unrolled: 1-line block ×8, first 2 shown]
	v_mov_b32_e32 v1, 0
	s_mov_b32 s0, exec_lo
	ds_load_b128 v[87:90], v1 offset:432
	s_clause 0x1
	scratch_load_b128 v[91:94], off, off offset:208
	scratch_load_b128 v[95:98], off, off offset:64
	ds_load_b128 v[99:102], v1 offset:448
	ds_load_b128 v[107:110], v1 offset:480
	s_wait_loadcnt_dscnt 0x902
	v_mul_f64_e32 v[2:3], v[89:90], v[8:9]
	v_mul_f64_e32 v[103:104], v[87:88], v[8:9]
	scratch_load_b128 v[8:11], off, off offset:224
	v_fma_f64 v[2:3], v[87:88], v[6:7], -v[2:3]
	v_fma_f64 v[6:7], v[89:90], v[6:7], v[103:104]
	ds_load_b128 v[87:90], v1 offset:464
	s_wait_loadcnt_dscnt 0x902
	v_mul_f64_e32 v[111:112], v[99:100], v[61:62]
	v_mul_f64_e32 v[61:62], v[101:102], v[61:62]
	scratch_load_b128 v[103:106], off, off offset:240
	s_wait_loadcnt_dscnt 0x900
	v_mul_f64_e32 v[113:114], v[87:88], v[65:66]
	v_mul_f64_e32 v[65:66], v[89:90], v[65:66]
	v_add_f64_e32 v[2:3], 0, v[2:3]
	v_add_f64_e32 v[6:7], 0, v[6:7]
	v_fma_f64 v[101:102], v[101:102], v[59:60], v[111:112]
	v_fma_f64 v[99:100], v[99:100], v[59:60], -v[61:62]
	scratch_load_b128 v[59:62], off, off offset:256
	v_fma_f64 v[113:114], v[89:90], v[63:64], v[113:114]
	v_fma_f64 v[115:116], v[87:88], v[63:64], -v[65:66]
	ds_load_b128 v[63:66], v1 offset:496
	s_wait_loadcnt 0x9
	v_mul_f64_e32 v[111:112], v[107:108], v[69:70]
	v_mul_f64_e32 v[69:70], v[109:110], v[69:70]
	scratch_load_b128 v[87:90], off, off offset:272
	v_add_f64_e32 v[6:7], v[6:7], v[101:102]
	v_add_f64_e32 v[2:3], v[2:3], v[99:100]
	ds_load_b128 v[99:102], v1 offset:512
	s_wait_loadcnt_dscnt 0x901
	v_mul_f64_e32 v[117:118], v[63:64], v[73:74]
	v_mul_f64_e32 v[73:74], v[65:66], v[73:74]
	v_fma_f64 v[109:110], v[109:110], v[67:68], v[111:112]
	v_fma_f64 v[107:108], v[107:108], v[67:68], -v[69:70]
	scratch_load_b128 v[67:70], off, off offset:288
	v_add_f64_e32 v[6:7], v[6:7], v[113:114]
	v_add_f64_e32 v[2:3], v[2:3], v[115:116]
	v_fma_f64 v[113:114], v[65:66], v[71:72], v[117:118]
	v_fma_f64 v[115:116], v[63:64], v[71:72], -v[73:74]
	ds_load_b128 v[63:66], v1 offset:528
	s_wait_loadcnt_dscnt 0x901
	v_mul_f64_e32 v[111:112], v[99:100], v[77:78]
	v_mul_f64_e32 v[77:78], v[101:102], v[77:78]
	scratch_load_b128 v[71:74], off, off offset:304
	s_wait_loadcnt_dscnt 0x900
	v_mul_f64_e32 v[117:118], v[63:64], v[81:82]
	v_mul_f64_e32 v[81:82], v[65:66], v[81:82]
	v_add_f64_e32 v[6:7], v[6:7], v[109:110]
	v_add_f64_e32 v[2:3], v[2:3], v[107:108]
	ds_load_b128 v[107:110], v1 offset:544
	v_fma_f64 v[101:102], v[101:102], v[75:76], v[111:112]
	v_fma_f64 v[99:100], v[99:100], v[75:76], -v[77:78]
	scratch_load_b128 v[75:78], off, off offset:320
	v_add_f64_e32 v[6:7], v[6:7], v[113:114]
	v_add_f64_e32 v[2:3], v[2:3], v[115:116]
	v_fma_f64 v[113:114], v[65:66], v[79:80], v[117:118]
	v_fma_f64 v[115:116], v[63:64], v[79:80], -v[81:82]
	ds_load_b128 v[63:66], v1 offset:560
	s_wait_loadcnt_dscnt 0x901
	v_mul_f64_e32 v[111:112], v[107:108], v[85:86]
	v_mul_f64_e32 v[85:86], v[109:110], v[85:86]
	scratch_load_b128 v[79:82], off, off offset:336
	s_wait_loadcnt_dscnt 0x900
	v_mul_f64_e32 v[117:118], v[63:64], v[93:94]
	v_mul_f64_e32 v[93:94], v[65:66], v[93:94]
	v_add_f64_e32 v[6:7], v[6:7], v[101:102]
	v_add_f64_e32 v[2:3], v[2:3], v[99:100]
	ds_load_b128 v[99:102], v1 offset:576
	v_fma_f64 v[109:110], v[109:110], v[83:84], v[111:112]
	v_fma_f64 v[107:108], v[107:108], v[83:84], -v[85:86]
	scratch_load_b128 v[83:86], off, off offset:352
	v_add_f64_e32 v[6:7], v[6:7], v[113:114]
	v_add_f64_e32 v[2:3], v[2:3], v[115:116]
	v_fma_f64 v[113:114], v[65:66], v[91:92], v[117:118]
	v_fma_f64 v[115:116], v[63:64], v[91:92], -v[93:94]
	ds_load_b128 v[63:66], v1 offset:592
	scratch_load_b128 v[91:94], off, off offset:368
	s_wait_loadcnt_dscnt 0x901
	v_mul_f64_e32 v[111:112], v[99:100], v[10:11]
	v_mul_f64_e32 v[10:11], v[101:102], v[10:11]
	v_add_f64_e32 v[6:7], v[6:7], v[109:110]
	v_add_f64_e32 v[2:3], v[2:3], v[107:108]
	ds_load_b128 v[107:110], v1 offset:608
	v_fma_f64 v[101:102], v[101:102], v[8:9], v[111:112]
	v_fma_f64 v[8:9], v[99:100], v[8:9], -v[10:11]
	s_wait_loadcnt_dscnt 0x801
	v_mul_f64_e32 v[117:118], v[63:64], v[105:106]
	v_mul_f64_e32 v[105:106], v[65:66], v[105:106]
	v_add_f64_e32 v[6:7], v[6:7], v[113:114]
	v_add_f64_e32 v[2:3], v[2:3], v[115:116]
	s_wait_loadcnt_dscnt 0x700
	v_mul_f64_e32 v[10:11], v[107:108], v[61:62]
	v_mul_f64_e32 v[99:100], v[109:110], v[61:62]
	v_fma_f64 v[65:66], v[65:66], v[103:104], v[117:118]
	v_fma_f64 v[103:104], v[63:64], v[103:104], -v[105:106]
	v_add_f64_e32 v[101:102], v[6:7], v[101:102]
	v_add_f64_e32 v[2:3], v[2:3], v[8:9]
	ds_load_b128 v[6:9], v1 offset:624
	ds_load_b128 v[61:64], v1 offset:640
	v_fma_f64 v[10:11], v[109:110], v[59:60], v[10:11]
	v_fma_f64 v[59:60], v[107:108], v[59:60], -v[99:100]
	s_wait_loadcnt_dscnt 0x601
	v_mul_f64_e32 v[105:106], v[6:7], v[89:90]
	v_mul_f64_e32 v[89:90], v[8:9], v[89:90]
	v_add_f64_e32 v[65:66], v[101:102], v[65:66]
	v_add_f64_e32 v[2:3], v[2:3], v[103:104]
	s_wait_loadcnt_dscnt 0x500
	v_mul_f64_e32 v[99:100], v[61:62], v[69:70]
	v_mul_f64_e32 v[69:70], v[63:64], v[69:70]
	v_fma_f64 v[101:102], v[8:9], v[87:88], v[105:106]
	v_fma_f64 v[103:104], v[6:7], v[87:88], -v[89:90]
	ds_load_b128 v[6:9], v1 offset:656
	ds_load_b128 v[87:90], v1 offset:672
	v_add_f64_e32 v[10:11], v[65:66], v[10:11]
	v_add_f64_e32 v[2:3], v[2:3], v[59:60]
	v_fma_f64 v[63:64], v[63:64], v[67:68], v[99:100]
	v_fma_f64 v[61:62], v[61:62], v[67:68], -v[69:70]
	s_wait_loadcnt_dscnt 0x401
	v_mul_f64_e32 v[59:60], v[6:7], v[73:74]
	v_mul_f64_e32 v[65:66], v[8:9], v[73:74]
	s_wait_loadcnt_dscnt 0x300
	v_mul_f64_e32 v[67:68], v[87:88], v[77:78]
	v_mul_f64_e32 v[69:70], v[89:90], v[77:78]
	v_add_f64_e32 v[10:11], v[10:11], v[101:102]
	v_add_f64_e32 v[2:3], v[2:3], v[103:104]
	v_fma_f64 v[73:74], v[8:9], v[71:72], v[59:60]
	v_fma_f64 v[65:66], v[6:7], v[71:72], -v[65:66]
	v_fma_f64 v[67:68], v[89:90], v[75:76], v[67:68]
	v_fma_f64 v[69:70], v[87:88], v[75:76], -v[69:70]
	v_add_f64_e32 v[10:11], v[10:11], v[63:64]
	v_add_f64_e32 v[2:3], v[2:3], v[61:62]
	ds_load_b128 v[6:9], v1 offset:688
	ds_load_b128 v[59:62], v1 offset:704
	s_wait_loadcnt_dscnt 0x201
	v_mul_f64_e32 v[63:64], v[6:7], v[81:82]
	v_mul_f64_e32 v[71:72], v[8:9], v[81:82]
	v_add_f64_e32 v[10:11], v[10:11], v[73:74]
	v_add_f64_e32 v[2:3], v[2:3], v[65:66]
	s_wait_loadcnt_dscnt 0x100
	v_mul_f64_e32 v[65:66], v[59:60], v[85:86]
	v_mul_f64_e32 v[73:74], v[61:62], v[85:86]
	v_fma_f64 v[63:64], v[8:9], v[79:80], v[63:64]
	v_fma_f64 v[71:72], v[6:7], v[79:80], -v[71:72]
	ds_load_b128 v[6:9], v1 offset:720
	v_add_f64_e32 v[10:11], v[10:11], v[67:68]
	v_add_f64_e32 v[2:3], v[2:3], v[69:70]
	v_fma_f64 v[61:62], v[61:62], v[83:84], v[65:66]
	v_fma_f64 v[59:60], v[59:60], v[83:84], -v[73:74]
	s_wait_loadcnt_dscnt 0x0
	v_mul_f64_e32 v[67:68], v[6:7], v[93:94]
	v_mul_f64_e32 v[69:70], v[8:9], v[93:94]
	v_add_f64_e32 v[10:11], v[10:11], v[63:64]
	v_add_f64_e32 v[2:3], v[2:3], v[71:72]
	s_delay_alu instid0(VALU_DEP_4) | instskip(NEXT) | instid1(VALU_DEP_4)
	v_fma_f64 v[8:9], v[8:9], v[91:92], v[67:68]
	v_fma_f64 v[6:7], v[6:7], v[91:92], -v[69:70]
	s_delay_alu instid0(VALU_DEP_4) | instskip(NEXT) | instid1(VALU_DEP_4)
	v_add_f64_e32 v[10:11], v[10:11], v[61:62]
	v_add_f64_e32 v[2:3], v[2:3], v[59:60]
	s_delay_alu instid0(VALU_DEP_2) | instskip(NEXT) | instid1(VALU_DEP_2)
	v_add_f64_e32 v[8:9], v[10:11], v[8:9]
	v_add_f64_e32 v[2:3], v[2:3], v[6:7]
	s_delay_alu instid0(VALU_DEP_2) | instskip(NEXT) | instid1(VALU_DEP_2)
	v_add_f64_e64 v[8:9], v[97:98], -v[8:9]
	v_add_f64_e64 v[6:7], v[95:96], -v[2:3]
	scratch_store_b128 off, v[6:9], off offset:64
	v_cmpx_lt_u32_e32 2, v0
	s_cbranch_execz .LBB86_147
; %bb.146:
	scratch_load_b128 v[6:9], off, s29
	v_dual_mov_b32 v2, v1 :: v_dual_mov_b32 v3, v1
	v_mov_b32_e32 v4, v1
	scratch_store_b128 off, v[1:4], off offset:48
	s_wait_loadcnt 0x0
	ds_store_b128 v5, v[6:9]
.LBB86_147:
	s_wait_alu 0xfffe
	s_or_b32 exec_lo, exec_lo, s0
	s_wait_storecnt_dscnt 0x0
	s_barrier_signal -1
	s_barrier_wait -1
	global_inv scope:SCOPE_SE
	s_clause 0x8
	scratch_load_b128 v[6:9], off, off offset:64
	scratch_load_b128 v[59:62], off, off offset:80
	;; [unrolled: 1-line block ×9, first 2 shown]
	ds_load_b128 v[91:94], v1 offset:416
	ds_load_b128 v[95:98], v1 offset:432
	scratch_load_b128 v[99:102], off, off offset:48
	s_mov_b32 s0, exec_lo
	ds_load_b128 v[107:110], v1 offset:464
	s_wait_loadcnt_dscnt 0x902
	v_mul_f64_e32 v[2:3], v[93:94], v[8:9]
	v_mul_f64_e32 v[103:104], v[91:92], v[8:9]
	scratch_load_b128 v[8:11], off, off offset:208
	s_wait_loadcnt_dscnt 0x901
	v_mul_f64_e32 v[111:112], v[95:96], v[61:62]
	v_mul_f64_e32 v[61:62], v[97:98], v[61:62]
	v_fma_f64 v[2:3], v[91:92], v[6:7], -v[2:3]
	v_fma_f64 v[6:7], v[93:94], v[6:7], v[103:104]
	ds_load_b128 v[91:94], v1 offset:448
	scratch_load_b128 v[103:106], off, off offset:224
	v_fma_f64 v[97:98], v[97:98], v[59:60], v[111:112]
	v_fma_f64 v[95:96], v[95:96], v[59:60], -v[61:62]
	scratch_load_b128 v[59:62], off, off offset:240
	s_wait_loadcnt_dscnt 0x901
	v_mul_f64_e32 v[111:112], v[107:108], v[69:70]
	v_mul_f64_e32 v[69:70], v[109:110], v[69:70]
	s_wait_dscnt 0x0
	v_mul_f64_e32 v[113:114], v[91:92], v[65:66]
	v_mul_f64_e32 v[65:66], v[93:94], v[65:66]
	v_add_f64_e32 v[2:3], 0, v[2:3]
	v_add_f64_e32 v[6:7], 0, v[6:7]
	v_fma_f64 v[109:110], v[109:110], v[67:68], v[111:112]
	v_fma_f64 v[107:108], v[107:108], v[67:68], -v[69:70]
	scratch_load_b128 v[67:70], off, off offset:272
	v_fma_f64 v[113:114], v[93:94], v[63:64], v[113:114]
	v_fma_f64 v[115:116], v[91:92], v[63:64], -v[65:66]
	ds_load_b128 v[63:66], v1 offset:480
	scratch_load_b128 v[91:94], off, off offset:256
	v_add_f64_e32 v[2:3], v[2:3], v[95:96]
	v_add_f64_e32 v[6:7], v[6:7], v[97:98]
	ds_load_b128 v[95:98], v1 offset:496
	s_wait_loadcnt_dscnt 0xa01
	v_mul_f64_e32 v[117:118], v[63:64], v[73:74]
	v_mul_f64_e32 v[73:74], v[65:66], v[73:74]
	s_wait_loadcnt_dscnt 0x900
	v_mul_f64_e32 v[111:112], v[95:96], v[77:78]
	v_mul_f64_e32 v[77:78], v[97:98], v[77:78]
	v_add_f64_e32 v[2:3], v[2:3], v[115:116]
	v_add_f64_e32 v[6:7], v[6:7], v[113:114]
	v_fma_f64 v[113:114], v[65:66], v[71:72], v[117:118]
	v_fma_f64 v[115:116], v[63:64], v[71:72], -v[73:74]
	ds_load_b128 v[63:66], v1 offset:512
	scratch_load_b128 v[71:74], off, off offset:288
	v_fma_f64 v[97:98], v[97:98], v[75:76], v[111:112]
	v_fma_f64 v[95:96], v[95:96], v[75:76], -v[77:78]
	scratch_load_b128 v[75:78], off, off offset:304
	v_add_f64_e32 v[2:3], v[2:3], v[107:108]
	v_add_f64_e32 v[6:7], v[6:7], v[109:110]
	ds_load_b128 v[107:110], v1 offset:528
	s_wait_loadcnt_dscnt 0xa01
	v_mul_f64_e32 v[117:118], v[63:64], v[81:82]
	v_mul_f64_e32 v[81:82], v[65:66], v[81:82]
	s_wait_loadcnt_dscnt 0x900
	v_mul_f64_e32 v[111:112], v[107:108], v[85:86]
	v_mul_f64_e32 v[85:86], v[109:110], v[85:86]
	v_add_f64_e32 v[2:3], v[2:3], v[115:116]
	v_add_f64_e32 v[6:7], v[6:7], v[113:114]
	v_fma_f64 v[113:114], v[65:66], v[79:80], v[117:118]
	v_fma_f64 v[115:116], v[63:64], v[79:80], -v[81:82]
	ds_load_b128 v[63:66], v1 offset:544
	scratch_load_b128 v[79:82], off, off offset:320
	v_fma_f64 v[109:110], v[109:110], v[83:84], v[111:112]
	v_fma_f64 v[107:108], v[107:108], v[83:84], -v[85:86]
	scratch_load_b128 v[83:86], off, off offset:336
	v_add_f64_e32 v[2:3], v[2:3], v[95:96]
	v_add_f64_e32 v[6:7], v[6:7], v[97:98]
	ds_load_b128 v[95:98], v1 offset:560
	s_wait_loadcnt_dscnt 0xa01
	v_mul_f64_e32 v[117:118], v[63:64], v[89:90]
	v_mul_f64_e32 v[89:90], v[65:66], v[89:90]
	v_add_f64_e32 v[2:3], v[2:3], v[115:116]
	v_add_f64_e32 v[6:7], v[6:7], v[113:114]
	s_delay_alu instid0(VALU_DEP_4) | instskip(NEXT) | instid1(VALU_DEP_4)
	v_fma_f64 v[113:114], v[65:66], v[87:88], v[117:118]
	v_fma_f64 v[115:116], v[63:64], v[87:88], -v[89:90]
	ds_load_b128 v[63:66], v1 offset:576
	scratch_load_b128 v[87:90], off, off offset:352
	s_wait_loadcnt_dscnt 0x901
	v_mul_f64_e32 v[111:112], v[95:96], v[10:11]
	v_mul_f64_e32 v[10:11], v[97:98], v[10:11]
	v_add_f64_e32 v[2:3], v[2:3], v[107:108]
	v_add_f64_e32 v[6:7], v[6:7], v[109:110]
	ds_load_b128 v[107:110], v1 offset:592
	v_fma_f64 v[97:98], v[97:98], v[8:9], v[111:112]
	s_wait_loadcnt_dscnt 0x801
	v_mul_f64_e32 v[117:118], v[63:64], v[105:106]
	v_mul_f64_e32 v[105:106], v[65:66], v[105:106]
	v_fma_f64 v[10:11], v[95:96], v[8:9], -v[10:11]
	s_wait_loadcnt_dscnt 0x700
	v_mul_f64_e32 v[111:112], v[107:108], v[61:62]
	v_add_f64_e32 v[2:3], v[2:3], v[115:116]
	v_add_f64_e32 v[95:96], v[6:7], v[113:114]
	scratch_load_b128 v[6:9], off, off offset:368
	v_mul_f64_e32 v[113:114], v[109:110], v[61:62]
	v_fma_f64 v[65:66], v[65:66], v[103:104], v[117:118]
	v_fma_f64 v[103:104], v[63:64], v[103:104], -v[105:106]
	v_fma_f64 v[109:110], v[109:110], v[59:60], v[111:112]
	v_add_f64_e32 v[2:3], v[2:3], v[10:11]
	v_add_f64_e32 v[10:11], v[95:96], v[97:98]
	ds_load_b128 v[61:64], v1 offset:608
	ds_load_b128 v[95:98], v1 offset:624
	v_fma_f64 v[59:60], v[107:108], v[59:60], -v[113:114]
	s_wait_loadcnt_dscnt 0x601
	v_mul_f64_e32 v[105:106], v[61:62], v[93:94]
	v_mul_f64_e32 v[93:94], v[63:64], v[93:94]
	v_add_f64_e32 v[2:3], v[2:3], v[103:104]
	v_add_f64_e32 v[10:11], v[10:11], v[65:66]
	s_wait_dscnt 0x0
	v_mul_f64_e32 v[103:104], v[95:96], v[69:70]
	v_mul_f64_e32 v[69:70], v[97:98], v[69:70]
	v_fma_f64 v[105:106], v[63:64], v[91:92], v[105:106]
	v_fma_f64 v[91:92], v[61:62], v[91:92], -v[93:94]
	v_add_f64_e32 v[2:3], v[2:3], v[59:60]
	v_add_f64_e32 v[10:11], v[10:11], v[109:110]
	ds_load_b128 v[59:62], v1 offset:640
	ds_load_b128 v[63:66], v1 offset:656
	v_fma_f64 v[97:98], v[97:98], v[67:68], v[103:104]
	v_fma_f64 v[67:68], v[95:96], v[67:68], -v[69:70]
	s_wait_loadcnt_dscnt 0x501
	v_mul_f64_e32 v[93:94], v[59:60], v[73:74]
	v_mul_f64_e32 v[73:74], v[61:62], v[73:74]
	v_add_f64_e32 v[2:3], v[2:3], v[91:92]
	v_add_f64_e32 v[10:11], v[10:11], v[105:106]
	s_wait_loadcnt_dscnt 0x400
	v_mul_f64_e32 v[91:92], v[63:64], v[77:78]
	v_mul_f64_e32 v[77:78], v[65:66], v[77:78]
	v_fma_f64 v[93:94], v[61:62], v[71:72], v[93:94]
	v_fma_f64 v[71:72], v[59:60], v[71:72], -v[73:74]
	v_add_f64_e32 v[2:3], v[2:3], v[67:68]
	v_add_f64_e32 v[10:11], v[10:11], v[97:98]
	ds_load_b128 v[59:62], v1 offset:672
	ds_load_b128 v[67:70], v1 offset:688
	v_fma_f64 v[65:66], v[65:66], v[75:76], v[91:92]
	v_fma_f64 v[63:64], v[63:64], v[75:76], -v[77:78]
	s_wait_loadcnt_dscnt 0x301
	v_mul_f64_e32 v[73:74], v[59:60], v[81:82]
	v_mul_f64_e32 v[81:82], v[61:62], v[81:82]
	s_wait_loadcnt_dscnt 0x200
	v_mul_f64_e32 v[75:76], v[69:70], v[85:86]
	v_add_f64_e32 v[2:3], v[2:3], v[71:72]
	v_add_f64_e32 v[10:11], v[10:11], v[93:94]
	v_mul_f64_e32 v[71:72], v[67:68], v[85:86]
	v_fma_f64 v[73:74], v[61:62], v[79:80], v[73:74]
	v_fma_f64 v[77:78], v[59:60], v[79:80], -v[81:82]
	v_fma_f64 v[67:68], v[67:68], v[83:84], -v[75:76]
	v_add_f64_e32 v[63:64], v[2:3], v[63:64]
	v_add_f64_e32 v[10:11], v[10:11], v[65:66]
	ds_load_b128 v[59:62], v1 offset:704
	ds_load_b128 v[1:4], v1 offset:720
	v_fma_f64 v[69:70], v[69:70], v[83:84], v[71:72]
	s_wait_loadcnt_dscnt 0x101
	v_mul_f64_e32 v[65:66], v[59:60], v[89:90]
	v_mul_f64_e32 v[79:80], v[61:62], v[89:90]
	v_add_f64_e32 v[63:64], v[63:64], v[77:78]
	v_add_f64_e32 v[10:11], v[10:11], v[73:74]
	s_wait_loadcnt_dscnt 0x0
	v_mul_f64_e32 v[71:72], v[1:2], v[8:9]
	v_mul_f64_e32 v[8:9], v[3:4], v[8:9]
	v_fma_f64 v[61:62], v[61:62], v[87:88], v[65:66]
	v_fma_f64 v[59:60], v[59:60], v[87:88], -v[79:80]
	v_add_f64_e32 v[63:64], v[63:64], v[67:68]
	v_add_f64_e32 v[10:11], v[10:11], v[69:70]
	v_fma_f64 v[3:4], v[3:4], v[6:7], v[71:72]
	v_fma_f64 v[1:2], v[1:2], v[6:7], -v[8:9]
	s_delay_alu instid0(VALU_DEP_4) | instskip(NEXT) | instid1(VALU_DEP_4)
	v_add_f64_e32 v[6:7], v[63:64], v[59:60]
	v_add_f64_e32 v[8:9], v[10:11], v[61:62]
	s_delay_alu instid0(VALU_DEP_2) | instskip(NEXT) | instid1(VALU_DEP_2)
	v_add_f64_e32 v[1:2], v[6:7], v[1:2]
	v_add_f64_e32 v[3:4], v[8:9], v[3:4]
	s_delay_alu instid0(VALU_DEP_2) | instskip(NEXT) | instid1(VALU_DEP_2)
	v_add_f64_e64 v[1:2], v[99:100], -v[1:2]
	v_add_f64_e64 v[3:4], v[101:102], -v[3:4]
	scratch_store_b128 off, v[1:4], off offset:48
	v_cmpx_lt_u32_e32 1, v0
	s_cbranch_execz .LBB86_149
; %bb.148:
	scratch_load_b128 v[1:4], off, s30
	v_mov_b32_e32 v6, 0
	s_delay_alu instid0(VALU_DEP_1)
	v_dual_mov_b32 v7, v6 :: v_dual_mov_b32 v8, v6
	v_mov_b32_e32 v9, v6
	scratch_store_b128 off, v[6:9], off offset:32
	s_wait_loadcnt 0x0
	ds_store_b128 v5, v[1:4]
.LBB86_149:
	s_wait_alu 0xfffe
	s_or_b32 exec_lo, exec_lo, s0
	s_wait_storecnt_dscnt 0x0
	s_barrier_signal -1
	s_barrier_wait -1
	global_inv scope:SCOPE_SE
	s_clause 0x7
	scratch_load_b128 v[6:9], off, off offset:48
	scratch_load_b128 v[59:62], off, off offset:64
	;; [unrolled: 1-line block ×8, first 2 shown]
	v_mov_b32_e32 v1, 0
	s_mov_b32 s0, exec_lo
	ds_load_b128 v[87:90], v1 offset:400
	s_clause 0x1
	scratch_load_b128 v[91:94], off, off offset:176
	scratch_load_b128 v[95:98], off, off offset:32
	ds_load_b128 v[99:102], v1 offset:416
	ds_load_b128 v[107:110], v1 offset:448
	s_wait_loadcnt_dscnt 0x902
	v_mul_f64_e32 v[2:3], v[89:90], v[8:9]
	v_mul_f64_e32 v[103:104], v[87:88], v[8:9]
	scratch_load_b128 v[8:11], off, off offset:192
	v_fma_f64 v[2:3], v[87:88], v[6:7], -v[2:3]
	v_fma_f64 v[6:7], v[89:90], v[6:7], v[103:104]
	ds_load_b128 v[87:90], v1 offset:432
	s_wait_loadcnt_dscnt 0x902
	v_mul_f64_e32 v[111:112], v[99:100], v[61:62]
	v_mul_f64_e32 v[61:62], v[101:102], v[61:62]
	scratch_load_b128 v[103:106], off, off offset:208
	s_wait_loadcnt_dscnt 0x900
	v_mul_f64_e32 v[113:114], v[87:88], v[65:66]
	v_mul_f64_e32 v[65:66], v[89:90], v[65:66]
	v_add_f64_e32 v[2:3], 0, v[2:3]
	v_add_f64_e32 v[6:7], 0, v[6:7]
	v_fma_f64 v[101:102], v[101:102], v[59:60], v[111:112]
	v_fma_f64 v[99:100], v[99:100], v[59:60], -v[61:62]
	scratch_load_b128 v[59:62], off, off offset:224
	v_fma_f64 v[113:114], v[89:90], v[63:64], v[113:114]
	v_fma_f64 v[115:116], v[87:88], v[63:64], -v[65:66]
	ds_load_b128 v[63:66], v1 offset:464
	s_wait_loadcnt 0x9
	v_mul_f64_e32 v[111:112], v[107:108], v[69:70]
	v_mul_f64_e32 v[69:70], v[109:110], v[69:70]
	scratch_load_b128 v[87:90], off, off offset:240
	v_add_f64_e32 v[6:7], v[6:7], v[101:102]
	v_add_f64_e32 v[2:3], v[2:3], v[99:100]
	ds_load_b128 v[99:102], v1 offset:480
	s_wait_loadcnt_dscnt 0x901
	v_mul_f64_e32 v[117:118], v[63:64], v[73:74]
	v_mul_f64_e32 v[73:74], v[65:66], v[73:74]
	v_fma_f64 v[109:110], v[109:110], v[67:68], v[111:112]
	v_fma_f64 v[107:108], v[107:108], v[67:68], -v[69:70]
	scratch_load_b128 v[67:70], off, off offset:256
	v_add_f64_e32 v[6:7], v[6:7], v[113:114]
	v_add_f64_e32 v[2:3], v[2:3], v[115:116]
	v_fma_f64 v[113:114], v[65:66], v[71:72], v[117:118]
	v_fma_f64 v[115:116], v[63:64], v[71:72], -v[73:74]
	ds_load_b128 v[63:66], v1 offset:496
	s_wait_loadcnt_dscnt 0x901
	v_mul_f64_e32 v[111:112], v[99:100], v[77:78]
	v_mul_f64_e32 v[77:78], v[101:102], v[77:78]
	scratch_load_b128 v[71:74], off, off offset:272
	s_wait_loadcnt_dscnt 0x900
	v_mul_f64_e32 v[117:118], v[63:64], v[81:82]
	v_mul_f64_e32 v[81:82], v[65:66], v[81:82]
	v_add_f64_e32 v[6:7], v[6:7], v[109:110]
	v_add_f64_e32 v[2:3], v[2:3], v[107:108]
	ds_load_b128 v[107:110], v1 offset:512
	v_fma_f64 v[101:102], v[101:102], v[75:76], v[111:112]
	v_fma_f64 v[99:100], v[99:100], v[75:76], -v[77:78]
	scratch_load_b128 v[75:78], off, off offset:288
	v_add_f64_e32 v[6:7], v[6:7], v[113:114]
	v_add_f64_e32 v[2:3], v[2:3], v[115:116]
	v_fma_f64 v[113:114], v[65:66], v[79:80], v[117:118]
	v_fma_f64 v[115:116], v[63:64], v[79:80], -v[81:82]
	ds_load_b128 v[63:66], v1 offset:528
	s_wait_loadcnt_dscnt 0x901
	v_mul_f64_e32 v[111:112], v[107:108], v[85:86]
	v_mul_f64_e32 v[85:86], v[109:110], v[85:86]
	scratch_load_b128 v[79:82], off, off offset:304
	s_wait_loadcnt_dscnt 0x900
	v_mul_f64_e32 v[117:118], v[63:64], v[93:94]
	v_mul_f64_e32 v[93:94], v[65:66], v[93:94]
	v_add_f64_e32 v[6:7], v[6:7], v[101:102]
	v_add_f64_e32 v[2:3], v[2:3], v[99:100]
	ds_load_b128 v[99:102], v1 offset:544
	v_fma_f64 v[109:110], v[109:110], v[83:84], v[111:112]
	v_fma_f64 v[107:108], v[107:108], v[83:84], -v[85:86]
	scratch_load_b128 v[83:86], off, off offset:320
	v_add_f64_e32 v[6:7], v[6:7], v[113:114]
	v_add_f64_e32 v[2:3], v[2:3], v[115:116]
	v_fma_f64 v[113:114], v[65:66], v[91:92], v[117:118]
	v_fma_f64 v[115:116], v[63:64], v[91:92], -v[93:94]
	ds_load_b128 v[63:66], v1 offset:560
	scratch_load_b128 v[91:94], off, off offset:336
	s_wait_loadcnt_dscnt 0x901
	v_mul_f64_e32 v[111:112], v[99:100], v[10:11]
	v_mul_f64_e32 v[10:11], v[101:102], v[10:11]
	v_add_f64_e32 v[6:7], v[6:7], v[109:110]
	v_add_f64_e32 v[2:3], v[2:3], v[107:108]
	ds_load_b128 v[107:110], v1 offset:576
	v_fma_f64 v[101:102], v[101:102], v[8:9], v[111:112]
	v_fma_f64 v[10:11], v[99:100], v[8:9], -v[10:11]
	s_wait_loadcnt_dscnt 0x801
	v_mul_f64_e32 v[117:118], v[63:64], v[105:106]
	v_mul_f64_e32 v[105:106], v[65:66], v[105:106]
	v_add_f64_e32 v[99:100], v[6:7], v[113:114]
	v_add_f64_e32 v[2:3], v[2:3], v[115:116]
	scratch_load_b128 v[6:9], off, off offset:352
	v_fma_f64 v[65:66], v[65:66], v[103:104], v[117:118]
	v_fma_f64 v[115:116], v[63:64], v[103:104], -v[105:106]
	ds_load_b128 v[103:106], v1 offset:608
	s_wait_loadcnt_dscnt 0x801
	v_mul_f64_e32 v[111:112], v[107:108], v[61:62]
	v_mul_f64_e32 v[113:114], v[109:110], v[61:62]
	ds_load_b128 v[61:64], v1 offset:592
	v_add_f64_e32 v[2:3], v[2:3], v[10:11]
	v_add_f64_e32 v[10:11], v[99:100], v[101:102]
	scratch_load_b128 v[99:102], off, off offset:368
	s_wait_loadcnt_dscnt 0x800
	v_mul_f64_e32 v[117:118], v[61:62], v[89:90]
	v_mul_f64_e32 v[89:90], v[63:64], v[89:90]
	v_fma_f64 v[109:110], v[109:110], v[59:60], v[111:112]
	v_fma_f64 v[59:60], v[107:108], v[59:60], -v[113:114]
	v_add_f64_e32 v[2:3], v[2:3], v[115:116]
	v_add_f64_e32 v[10:11], v[10:11], v[65:66]
	s_wait_loadcnt 0x7
	v_mul_f64_e32 v[107:108], v[103:104], v[69:70]
	v_mul_f64_e32 v[69:70], v[105:106], v[69:70]
	v_fma_f64 v[111:112], v[63:64], v[87:88], v[117:118]
	v_fma_f64 v[87:88], v[61:62], v[87:88], -v[89:90]
	v_add_f64_e32 v[2:3], v[2:3], v[59:60]
	v_add_f64_e32 v[10:11], v[10:11], v[109:110]
	ds_load_b128 v[59:62], v1 offset:624
	ds_load_b128 v[63:66], v1 offset:640
	v_fma_f64 v[105:106], v[105:106], v[67:68], v[107:108]
	v_fma_f64 v[67:68], v[103:104], v[67:68], -v[69:70]
	s_wait_loadcnt_dscnt 0x601
	v_mul_f64_e32 v[89:90], v[59:60], v[73:74]
	v_mul_f64_e32 v[73:74], v[61:62], v[73:74]
	v_add_f64_e32 v[2:3], v[2:3], v[87:88]
	v_add_f64_e32 v[10:11], v[10:11], v[111:112]
	s_wait_loadcnt_dscnt 0x500
	v_mul_f64_e32 v[87:88], v[63:64], v[77:78]
	v_mul_f64_e32 v[77:78], v[65:66], v[77:78]
	v_fma_f64 v[89:90], v[61:62], v[71:72], v[89:90]
	v_fma_f64 v[71:72], v[59:60], v[71:72], -v[73:74]
	v_add_f64_e32 v[2:3], v[2:3], v[67:68]
	v_add_f64_e32 v[10:11], v[10:11], v[105:106]
	ds_load_b128 v[59:62], v1 offset:656
	ds_load_b128 v[67:70], v1 offset:672
	v_fma_f64 v[65:66], v[65:66], v[75:76], v[87:88]
	v_fma_f64 v[63:64], v[63:64], v[75:76], -v[77:78]
	s_wait_loadcnt_dscnt 0x401
	v_mul_f64_e32 v[73:74], v[59:60], v[81:82]
	v_mul_f64_e32 v[81:82], v[61:62], v[81:82]
	s_wait_loadcnt_dscnt 0x300
	v_mul_f64_e32 v[75:76], v[69:70], v[85:86]
	v_add_f64_e32 v[2:3], v[2:3], v[71:72]
	v_add_f64_e32 v[10:11], v[10:11], v[89:90]
	v_mul_f64_e32 v[71:72], v[67:68], v[85:86]
	v_fma_f64 v[73:74], v[61:62], v[79:80], v[73:74]
	v_fma_f64 v[77:78], v[59:60], v[79:80], -v[81:82]
	v_fma_f64 v[67:68], v[67:68], v[83:84], -v[75:76]
	v_add_f64_e32 v[2:3], v[2:3], v[63:64]
	v_add_f64_e32 v[10:11], v[10:11], v[65:66]
	ds_load_b128 v[59:62], v1 offset:688
	ds_load_b128 v[63:66], v1 offset:704
	v_fma_f64 v[69:70], v[69:70], v[83:84], v[71:72]
	s_wait_loadcnt_dscnt 0x201
	v_mul_f64_e32 v[79:80], v[59:60], v[93:94]
	v_mul_f64_e32 v[81:82], v[61:62], v[93:94]
	v_add_f64_e32 v[2:3], v[2:3], v[77:78]
	v_add_f64_e32 v[10:11], v[10:11], v[73:74]
	s_wait_loadcnt_dscnt 0x100
	v_mul_f64_e32 v[71:72], v[63:64], v[8:9]
	v_mul_f64_e32 v[73:74], v[65:66], v[8:9]
	v_fma_f64 v[61:62], v[61:62], v[91:92], v[79:80]
	v_fma_f64 v[59:60], v[59:60], v[91:92], -v[81:82]
	v_add_f64_e32 v[2:3], v[2:3], v[67:68]
	v_add_f64_e32 v[67:68], v[10:11], v[69:70]
	ds_load_b128 v[8:11], v1 offset:720
	v_fma_f64 v[65:66], v[65:66], v[6:7], v[71:72]
	v_fma_f64 v[6:7], v[63:64], v[6:7], -v[73:74]
	s_wait_loadcnt_dscnt 0x0
	v_mul_f64_e32 v[69:70], v[8:9], v[101:102]
	v_mul_f64_e32 v[75:76], v[10:11], v[101:102]
	v_add_f64_e32 v[2:3], v[2:3], v[59:60]
	v_add_f64_e32 v[59:60], v[67:68], v[61:62]
	s_delay_alu instid0(VALU_DEP_4) | instskip(NEXT) | instid1(VALU_DEP_4)
	v_fma_f64 v[10:11], v[10:11], v[99:100], v[69:70]
	v_fma_f64 v[8:9], v[8:9], v[99:100], -v[75:76]
	s_delay_alu instid0(VALU_DEP_4) | instskip(NEXT) | instid1(VALU_DEP_4)
	v_add_f64_e32 v[2:3], v[2:3], v[6:7]
	v_add_f64_e32 v[6:7], v[59:60], v[65:66]
	s_delay_alu instid0(VALU_DEP_2) | instskip(NEXT) | instid1(VALU_DEP_2)
	v_add_f64_e32 v[2:3], v[2:3], v[8:9]
	v_add_f64_e32 v[8:9], v[6:7], v[10:11]
	s_delay_alu instid0(VALU_DEP_2) | instskip(NEXT) | instid1(VALU_DEP_2)
	v_add_f64_e64 v[6:7], v[95:96], -v[2:3]
	v_add_f64_e64 v[8:9], v[97:98], -v[8:9]
	scratch_store_b128 off, v[6:9], off offset:32
	v_cmpx_ne_u32_e32 0, v0
	s_cbranch_execz .LBB86_151
; %bb.150:
	scratch_load_b128 v[6:9], off, off offset:16
	v_dual_mov_b32 v2, v1 :: v_dual_mov_b32 v3, v1
	v_mov_b32_e32 v4, v1
	scratch_store_b128 off, v[1:4], off offset:16
	s_wait_loadcnt 0x0
	ds_store_b128 v5, v[6:9]
.LBB86_151:
	s_wait_alu 0xfffe
	s_or_b32 exec_lo, exec_lo, s0
	s_wait_storecnt_dscnt 0x0
	s_barrier_signal -1
	s_barrier_wait -1
	global_inv scope:SCOPE_SE
	s_clause 0x8
	scratch_load_b128 v[2:5], off, off offset:32
	scratch_load_b128 v[6:9], off, off offset:48
	;; [unrolled: 1-line block ×9, first 2 shown]
	ds_load_b128 v[87:90], v1 offset:384
	ds_load_b128 v[91:94], v1 offset:400
	s_clause 0x1
	scratch_load_b128 v[95:98], off, off offset:16
	scratch_load_b128 v[99:102], off, off offset:176
	s_and_b32 vcc_lo, exec_lo, s12
	s_wait_loadcnt_dscnt 0xa01
	v_mul_f64_e32 v[10:11], v[89:90], v[4:5]
	v_mul_f64_e32 v[4:5], v[87:88], v[4:5]
	s_wait_loadcnt_dscnt 0x900
	v_mul_f64_e32 v[103:104], v[91:92], v[8:9]
	v_mul_f64_e32 v[105:106], v[93:94], v[8:9]
	s_delay_alu instid0(VALU_DEP_4) | instskip(NEXT) | instid1(VALU_DEP_4)
	v_fma_f64 v[107:108], v[87:88], v[2:3], -v[10:11]
	v_fma_f64 v[109:110], v[89:90], v[2:3], v[4:5]
	ds_load_b128 v[2:5], v1 offset:416
	ds_load_b128 v[87:90], v1 offset:432
	scratch_load_b128 v[8:11], off, off offset:192
	v_fma_f64 v[103:104], v[93:94], v[6:7], v[103:104]
	v_fma_f64 v[6:7], v[91:92], v[6:7], -v[105:106]
	scratch_load_b128 v[91:94], off, off offset:208
	s_wait_loadcnt_dscnt 0xa01
	v_mul_f64_e32 v[111:112], v[2:3], v[61:62]
	v_mul_f64_e32 v[61:62], v[4:5], v[61:62]
	v_add_f64_e32 v[105:106], 0, v[107:108]
	v_add_f64_e32 v[107:108], 0, v[109:110]
	s_wait_loadcnt_dscnt 0x900
	v_mul_f64_e32 v[109:110], v[87:88], v[65:66]
	v_mul_f64_e32 v[65:66], v[89:90], v[65:66]
	v_fma_f64 v[111:112], v[4:5], v[59:60], v[111:112]
	v_fma_f64 v[113:114], v[2:3], v[59:60], -v[61:62]
	ds_load_b128 v[2:5], v1 offset:448
	scratch_load_b128 v[59:62], off, off offset:224
	v_add_f64_e32 v[6:7], v[105:106], v[6:7]
	v_add_f64_e32 v[107:108], v[107:108], v[103:104]
	ds_load_b128 v[103:106], v1 offset:464
	v_fma_f64 v[89:90], v[89:90], v[63:64], v[109:110]
	v_fma_f64 v[87:88], v[87:88], v[63:64], -v[65:66]
	scratch_load_b128 v[63:66], off, off offset:240
	s_wait_loadcnt_dscnt 0xa01
	v_mul_f64_e32 v[115:116], v[2:3], v[69:70]
	v_mul_f64_e32 v[69:70], v[4:5], v[69:70]
	s_wait_loadcnt_dscnt 0x900
	v_mul_f64_e32 v[109:110], v[103:104], v[73:74]
	v_mul_f64_e32 v[73:74], v[105:106], v[73:74]
	v_add_f64_e32 v[6:7], v[6:7], v[113:114]
	v_add_f64_e32 v[107:108], v[107:108], v[111:112]
	v_fma_f64 v[111:112], v[4:5], v[67:68], v[115:116]
	v_fma_f64 v[113:114], v[2:3], v[67:68], -v[69:70]
	ds_load_b128 v[2:5], v1 offset:480
	scratch_load_b128 v[67:70], off, off offset:256
	v_fma_f64 v[105:106], v[105:106], v[71:72], v[109:110]
	v_fma_f64 v[103:104], v[103:104], v[71:72], -v[73:74]
	scratch_load_b128 v[71:74], off, off offset:272
	v_add_f64_e32 v[6:7], v[6:7], v[87:88]
	v_add_f64_e32 v[107:108], v[107:108], v[89:90]
	ds_load_b128 v[87:90], v1 offset:496
	s_wait_loadcnt_dscnt 0xa01
	v_mul_f64_e32 v[115:116], v[2:3], v[77:78]
	v_mul_f64_e32 v[77:78], v[4:5], v[77:78]
	s_wait_loadcnt_dscnt 0x900
	v_mul_f64_e32 v[109:110], v[87:88], v[81:82]
	v_mul_f64_e32 v[81:82], v[89:90], v[81:82]
	v_add_f64_e32 v[6:7], v[6:7], v[113:114]
	v_add_f64_e32 v[107:108], v[107:108], v[111:112]
	v_fma_f64 v[111:112], v[4:5], v[75:76], v[115:116]
	v_fma_f64 v[113:114], v[2:3], v[75:76], -v[77:78]
	ds_load_b128 v[2:5], v1 offset:512
	scratch_load_b128 v[75:78], off, off offset:288
	v_fma_f64 v[89:90], v[89:90], v[79:80], v[109:110]
	v_fma_f64 v[87:88], v[87:88], v[79:80], -v[81:82]
	scratch_load_b128 v[79:82], off, off offset:304
	v_add_f64_e32 v[6:7], v[6:7], v[103:104]
	v_add_f64_e32 v[107:108], v[107:108], v[105:106]
	ds_load_b128 v[103:106], v1 offset:528
	;; [unrolled: 18-line block ×3, first 2 shown]
	s_wait_loadcnt_dscnt 0x901
	v_mul_f64_e32 v[115:116], v[2:3], v[10:11]
	v_mul_f64_e32 v[10:11], v[4:5], v[10:11]
	s_wait_loadcnt_dscnt 0x800
	v_mul_f64_e32 v[109:110], v[87:88], v[93:94]
	v_mul_f64_e32 v[93:94], v[89:90], v[93:94]
	v_add_f64_e32 v[6:7], v[6:7], v[113:114]
	v_add_f64_e32 v[107:108], v[107:108], v[111:112]
	v_fma_f64 v[111:112], v[4:5], v[8:9], v[115:116]
	v_fma_f64 v[10:11], v[2:3], v[8:9], -v[10:11]
	ds_load_b128 v[2:5], v1 offset:576
	v_fma_f64 v[109:110], v[89:90], v[91:92], v[109:110]
	v_fma_f64 v[91:92], v[87:88], v[91:92], -v[93:94]
	scratch_load_b128 v[87:90], off, off offset:368
	v_add_f64_e32 v[113:114], v[6:7], v[103:104]
	v_add_f64_e32 v[107:108], v[107:108], v[105:106]
	scratch_load_b128 v[6:9], off, off offset:352
	ds_load_b128 v[103:106], v1 offset:592
	s_wait_loadcnt_dscnt 0x901
	v_mul_f64_e32 v[115:116], v[2:3], v[61:62]
	v_mul_f64_e32 v[61:62], v[4:5], v[61:62]
	v_add_f64_e32 v[10:11], v[113:114], v[10:11]
	v_add_f64_e32 v[93:94], v[107:108], v[111:112]
	s_wait_loadcnt_dscnt 0x800
	v_mul_f64_e32 v[107:108], v[103:104], v[65:66]
	v_mul_f64_e32 v[65:66], v[105:106], v[65:66]
	v_fma_f64 v[111:112], v[4:5], v[59:60], v[115:116]
	v_fma_f64 v[113:114], v[2:3], v[59:60], -v[61:62]
	ds_load_b128 v[2:5], v1 offset:608
	ds_load_b128 v[59:62], v1 offset:624
	v_add_f64_e32 v[10:11], v[10:11], v[91:92]
	v_add_f64_e32 v[91:92], v[93:94], v[109:110]
	s_wait_loadcnt_dscnt 0x701
	v_mul_f64_e32 v[93:94], v[2:3], v[69:70]
	v_mul_f64_e32 v[69:70], v[4:5], v[69:70]
	v_fma_f64 v[105:106], v[105:106], v[63:64], v[107:108]
	v_fma_f64 v[63:64], v[103:104], v[63:64], -v[65:66]
	v_add_f64_e32 v[10:11], v[10:11], v[113:114]
	v_add_f64_e32 v[65:66], v[91:92], v[111:112]
	s_wait_loadcnt_dscnt 0x600
	v_mul_f64_e32 v[91:92], v[59:60], v[73:74]
	v_mul_f64_e32 v[73:74], v[61:62], v[73:74]
	v_fma_f64 v[93:94], v[4:5], v[67:68], v[93:94]
	v_fma_f64 v[67:68], v[2:3], v[67:68], -v[69:70]
	v_add_f64_e32 v[10:11], v[10:11], v[63:64]
	v_add_f64_e32 v[69:70], v[65:66], v[105:106]
	ds_load_b128 v[2:5], v1 offset:640
	ds_load_b128 v[63:66], v1 offset:656
	v_fma_f64 v[61:62], v[61:62], v[71:72], v[91:92]
	v_fma_f64 v[59:60], v[59:60], v[71:72], -v[73:74]
	s_wait_loadcnt_dscnt 0x501
	v_mul_f64_e32 v[103:104], v[2:3], v[77:78]
	v_mul_f64_e32 v[77:78], v[4:5], v[77:78]
	s_wait_loadcnt_dscnt 0x400
	v_mul_f64_e32 v[71:72], v[65:66], v[81:82]
	v_add_f64_e32 v[10:11], v[10:11], v[67:68]
	v_add_f64_e32 v[67:68], v[69:70], v[93:94]
	v_mul_f64_e32 v[69:70], v[63:64], v[81:82]
	v_fma_f64 v[73:74], v[4:5], v[75:76], v[103:104]
	v_fma_f64 v[75:76], v[2:3], v[75:76], -v[77:78]
	v_fma_f64 v[63:64], v[63:64], v[79:80], -v[71:72]
	v_add_f64_e32 v[10:11], v[10:11], v[59:60]
	v_add_f64_e32 v[67:68], v[67:68], v[61:62]
	ds_load_b128 v[2:5], v1 offset:672
	ds_load_b128 v[59:62], v1 offset:688
	v_fma_f64 v[65:66], v[65:66], v[79:80], v[69:70]
	s_wait_loadcnt_dscnt 0x301
	v_mul_f64_e32 v[77:78], v[2:3], v[85:86]
	v_mul_f64_e32 v[81:82], v[4:5], v[85:86]
	s_wait_loadcnt_dscnt 0x200
	v_mul_f64_e32 v[69:70], v[59:60], v[101:102]
	v_mul_f64_e32 v[71:72], v[61:62], v[101:102]
	v_add_f64_e32 v[10:11], v[10:11], v[75:76]
	v_add_f64_e32 v[67:68], v[67:68], v[73:74]
	v_fma_f64 v[73:74], v[4:5], v[83:84], v[77:78]
	v_fma_f64 v[75:76], v[2:3], v[83:84], -v[81:82]
	v_fma_f64 v[61:62], v[61:62], v[99:100], v[69:70]
	v_fma_f64 v[59:60], v[59:60], v[99:100], -v[71:72]
	v_add_f64_e32 v[10:11], v[10:11], v[63:64]
	v_add_f64_e32 v[67:68], v[67:68], v[65:66]
	ds_load_b128 v[2:5], v1 offset:704
	ds_load_b128 v[63:66], v1 offset:720
	s_wait_loadcnt_dscnt 0x1
	v_mul_f64_e32 v[0:1], v[2:3], v[8:9]
	v_mul_f64_e32 v[8:9], v[4:5], v[8:9]
	s_wait_dscnt 0x0
	v_mul_f64_e32 v[69:70], v[63:64], v[89:90]
	v_mul_f64_e32 v[71:72], v[65:66], v[89:90]
	v_add_f64_e32 v[10:11], v[10:11], v[75:76]
	v_add_f64_e32 v[67:68], v[67:68], v[73:74]
	v_fma_f64 v[0:1], v[4:5], v[6:7], v[0:1]
	v_fma_f64 v[2:3], v[2:3], v[6:7], -v[8:9]
	v_fma_f64 v[8:9], v[65:66], v[87:88], v[69:70]
	v_add_f64_e32 v[4:5], v[10:11], v[59:60]
	v_add_f64_e32 v[6:7], v[67:68], v[61:62]
	v_fma_f64 v[10:11], v[63:64], v[87:88], -v[71:72]
	s_delay_alu instid0(VALU_DEP_3) | instskip(NEXT) | instid1(VALU_DEP_3)
	v_add_f64_e32 v[2:3], v[4:5], v[2:3]
	v_add_f64_e32 v[0:1], v[6:7], v[0:1]
	s_delay_alu instid0(VALU_DEP_2) | instskip(NEXT) | instid1(VALU_DEP_2)
	v_add_f64_e32 v[2:3], v[2:3], v[10:11]
	v_add_f64_e32 v[4:5], v[0:1], v[8:9]
	s_delay_alu instid0(VALU_DEP_2) | instskip(NEXT) | instid1(VALU_DEP_2)
	v_add_f64_e64 v[0:1], v[95:96], -v[2:3]
	v_add_f64_e64 v[2:3], v[97:98], -v[4:5]
	scratch_store_b128 off, v[0:3], off offset:16
	s_wait_alu 0xfffe
	s_cbranch_vccz .LBB86_196
; %bb.152:
	v_mov_b32_e32 v0, 0
	global_load_b32 v1, v0, s[2:3] offset:84
	s_wait_loadcnt 0x0
	v_cmp_ne_u32_e32 vcc_lo, 22, v1
	s_cbranch_vccz .LBB86_154
; %bb.153:
	v_lshlrev_b32_e32 v1, 4, v1
	s_delay_alu instid0(VALU_DEP_1)
	v_add_nc_u32_e32 v9, 16, v1
	s_clause 0x1
	scratch_load_b128 v[1:4], v9, off offset:-16
	scratch_load_b128 v[5:8], off, s28
	s_wait_loadcnt 0x1
	scratch_store_b128 off, v[1:4], s28
	s_wait_loadcnt 0x0
	scratch_store_b128 v9, v[5:8], off offset:-16
.LBB86_154:
	global_load_b32 v0, v0, s[2:3] offset:80
	s_wait_loadcnt 0x0
	v_cmp_eq_u32_e32 vcc_lo, 21, v0
	s_cbranch_vccnz .LBB86_156
; %bb.155:
	v_lshlrev_b32_e32 v0, 4, v0
	s_delay_alu instid0(VALU_DEP_1)
	v_add_nc_u32_e32 v8, 16, v0
	s_clause 0x1
	scratch_load_b128 v[0:3], v8, off offset:-16
	scratch_load_b128 v[4:7], off, s17
	s_wait_loadcnt 0x1
	scratch_store_b128 off, v[0:3], s17
	s_wait_loadcnt 0x0
	scratch_store_b128 v8, v[4:7], off offset:-16
.LBB86_156:
	v_mov_b32_e32 v0, 0
	global_load_b32 v1, v0, s[2:3] offset:76
	s_wait_loadcnt 0x0
	v_cmp_eq_u32_e32 vcc_lo, 20, v1
	s_cbranch_vccnz .LBB86_158
; %bb.157:
	v_lshlrev_b32_e32 v1, 4, v1
	s_delay_alu instid0(VALU_DEP_1)
	v_add_nc_u32_e32 v9, 16, v1
	s_clause 0x1
	scratch_load_b128 v[1:4], v9, off offset:-16
	scratch_load_b128 v[5:8], off, s27
	s_wait_loadcnt 0x1
	scratch_store_b128 off, v[1:4], s27
	s_wait_loadcnt 0x0
	scratch_store_b128 v9, v[5:8], off offset:-16
.LBB86_158:
	global_load_b32 v0, v0, s[2:3] offset:72
	s_wait_loadcnt 0x0
	v_cmp_eq_u32_e32 vcc_lo, 19, v0
	s_cbranch_vccnz .LBB86_160
; %bb.159:
	v_lshlrev_b32_e32 v0, 4, v0
	s_delay_alu instid0(VALU_DEP_1)
	v_add_nc_u32_e32 v8, 16, v0
	s_clause 0x1
	scratch_load_b128 v[0:3], v8, off offset:-16
	scratch_load_b128 v[4:7], off, s16
	s_wait_loadcnt 0x1
	scratch_store_b128 off, v[0:3], s16
	s_wait_loadcnt 0x0
	scratch_store_b128 v8, v[4:7], off offset:-16
.LBB86_160:
	v_mov_b32_e32 v0, 0
	global_load_b32 v1, v0, s[2:3] offset:68
	s_wait_loadcnt 0x0
	v_cmp_eq_u32_e32 vcc_lo, 18, v1
	s_cbranch_vccnz .LBB86_162
; %bb.161:
	v_lshlrev_b32_e32 v1, 4, v1
	s_delay_alu instid0(VALU_DEP_1)
	v_add_nc_u32_e32 v9, 16, v1
	s_clause 0x1
	scratch_load_b128 v[1:4], v9, off offset:-16
	scratch_load_b128 v[5:8], off, s26
	s_wait_loadcnt 0x1
	scratch_store_b128 off, v[1:4], s26
	s_wait_loadcnt 0x0
	scratch_store_b128 v9, v[5:8], off offset:-16
.LBB86_162:
	global_load_b32 v0, v0, s[2:3] offset:64
	s_wait_loadcnt 0x0
	v_cmp_eq_u32_e32 vcc_lo, 17, v0
	s_cbranch_vccnz .LBB86_164
; %bb.163:
	v_lshlrev_b32_e32 v0, 4, v0
	s_delay_alu instid0(VALU_DEP_1)
	v_add_nc_u32_e32 v8, 16, v0
	s_clause 0x1
	scratch_load_b128 v[0:3], v8, off offset:-16
	scratch_load_b128 v[4:7], off, s15
	s_wait_loadcnt 0x1
	scratch_store_b128 off, v[0:3], s15
	s_wait_loadcnt 0x0
	scratch_store_b128 v8, v[4:7], off offset:-16
.LBB86_164:
	v_mov_b32_e32 v0, 0
	global_load_b32 v1, v0, s[2:3] offset:60
	s_wait_loadcnt 0x0
	v_cmp_eq_u32_e32 vcc_lo, 16, v1
	s_cbranch_vccnz .LBB86_166
; %bb.165:
	v_lshlrev_b32_e32 v1, 4, v1
	s_delay_alu instid0(VALU_DEP_1)
	v_add_nc_u32_e32 v9, 16, v1
	s_clause 0x1
	scratch_load_b128 v[1:4], v9, off offset:-16
	scratch_load_b128 v[5:8], off, s25
	s_wait_loadcnt 0x1
	scratch_store_b128 off, v[1:4], s25
	s_wait_loadcnt 0x0
	scratch_store_b128 v9, v[5:8], off offset:-16
.LBB86_166:
	global_load_b32 v0, v0, s[2:3] offset:56
	s_wait_loadcnt 0x0
	v_cmp_eq_u32_e32 vcc_lo, 15, v0
	s_cbranch_vccnz .LBB86_168
; %bb.167:
	v_lshlrev_b32_e32 v0, 4, v0
	s_delay_alu instid0(VALU_DEP_1)
	v_add_nc_u32_e32 v8, 16, v0
	s_clause 0x1
	scratch_load_b128 v[0:3], v8, off offset:-16
	scratch_load_b128 v[4:7], off, s14
	s_wait_loadcnt 0x1
	scratch_store_b128 off, v[0:3], s14
	s_wait_loadcnt 0x0
	scratch_store_b128 v8, v[4:7], off offset:-16
.LBB86_168:
	v_mov_b32_e32 v0, 0
	global_load_b32 v1, v0, s[2:3] offset:52
	s_wait_loadcnt 0x0
	v_cmp_eq_u32_e32 vcc_lo, 14, v1
	s_cbranch_vccnz .LBB86_170
; %bb.169:
	v_lshlrev_b32_e32 v1, 4, v1
	s_delay_alu instid0(VALU_DEP_1)
	v_add_nc_u32_e32 v9, 16, v1
	s_clause 0x1
	scratch_load_b128 v[1:4], v9, off offset:-16
	scratch_load_b128 v[5:8], off, s24
	s_wait_loadcnt 0x1
	scratch_store_b128 off, v[1:4], s24
	s_wait_loadcnt 0x0
	scratch_store_b128 v9, v[5:8], off offset:-16
.LBB86_170:
	global_load_b32 v0, v0, s[2:3] offset:48
	s_wait_loadcnt 0x0
	v_cmp_eq_u32_e32 vcc_lo, 13, v0
	s_cbranch_vccnz .LBB86_172
; %bb.171:
	v_lshlrev_b32_e32 v0, 4, v0
	s_delay_alu instid0(VALU_DEP_1)
	v_add_nc_u32_e32 v8, 16, v0
	s_clause 0x1
	scratch_load_b128 v[0:3], v8, off offset:-16
	scratch_load_b128 v[4:7], off, s13
	s_wait_loadcnt 0x1
	scratch_store_b128 off, v[0:3], s13
	s_wait_loadcnt 0x0
	scratch_store_b128 v8, v[4:7], off offset:-16
.LBB86_172:
	v_mov_b32_e32 v0, 0
	global_load_b32 v1, v0, s[2:3] offset:44
	s_wait_loadcnt 0x0
	v_cmp_eq_u32_e32 vcc_lo, 12, v1
	s_cbranch_vccnz .LBB86_174
; %bb.173:
	v_lshlrev_b32_e32 v1, 4, v1
	s_delay_alu instid0(VALU_DEP_1)
	v_add_nc_u32_e32 v9, 16, v1
	s_clause 0x1
	scratch_load_b128 v[1:4], v9, off offset:-16
	scratch_load_b128 v[5:8], off, s23
	s_wait_loadcnt 0x1
	scratch_store_b128 off, v[1:4], s23
	s_wait_loadcnt 0x0
	scratch_store_b128 v9, v[5:8], off offset:-16
.LBB86_174:
	global_load_b32 v0, v0, s[2:3] offset:40
	s_wait_loadcnt 0x0
	v_cmp_eq_u32_e32 vcc_lo, 11, v0
	s_cbranch_vccnz .LBB86_176
; %bb.175:
	v_lshlrev_b32_e32 v0, 4, v0
	s_delay_alu instid0(VALU_DEP_1)
	v_add_nc_u32_e32 v8, 16, v0
	s_clause 0x1
	scratch_load_b128 v[0:3], v8, off offset:-16
	scratch_load_b128 v[4:7], off, s11
	s_wait_loadcnt 0x1
	scratch_store_b128 off, v[0:3], s11
	s_wait_loadcnt 0x0
	scratch_store_b128 v8, v[4:7], off offset:-16
.LBB86_176:
	v_mov_b32_e32 v0, 0
	global_load_b32 v1, v0, s[2:3] offset:36
	s_wait_loadcnt 0x0
	v_cmp_eq_u32_e32 vcc_lo, 10, v1
	s_cbranch_vccnz .LBB86_178
; %bb.177:
	v_lshlrev_b32_e32 v1, 4, v1
	s_delay_alu instid0(VALU_DEP_1)
	v_add_nc_u32_e32 v9, 16, v1
	s_clause 0x1
	scratch_load_b128 v[1:4], v9, off offset:-16
	scratch_load_b128 v[5:8], off, s22
	s_wait_loadcnt 0x1
	scratch_store_b128 off, v[1:4], s22
	s_wait_loadcnt 0x0
	scratch_store_b128 v9, v[5:8], off offset:-16
.LBB86_178:
	global_load_b32 v0, v0, s[2:3] offset:32
	s_wait_loadcnt 0x0
	v_cmp_eq_u32_e32 vcc_lo, 9, v0
	s_cbranch_vccnz .LBB86_180
; %bb.179:
	v_lshlrev_b32_e32 v0, 4, v0
	s_delay_alu instid0(VALU_DEP_1)
	v_add_nc_u32_e32 v8, 16, v0
	s_clause 0x1
	scratch_load_b128 v[0:3], v8, off offset:-16
	scratch_load_b128 v[4:7], off, s10
	s_wait_loadcnt 0x1
	scratch_store_b128 off, v[0:3], s10
	s_wait_loadcnt 0x0
	scratch_store_b128 v8, v[4:7], off offset:-16
.LBB86_180:
	v_mov_b32_e32 v0, 0
	global_load_b32 v1, v0, s[2:3] offset:28
	s_wait_loadcnt 0x0
	v_cmp_eq_u32_e32 vcc_lo, 8, v1
	s_cbranch_vccnz .LBB86_182
; %bb.181:
	v_lshlrev_b32_e32 v1, 4, v1
	s_delay_alu instid0(VALU_DEP_1)
	v_add_nc_u32_e32 v9, 16, v1
	s_clause 0x1
	scratch_load_b128 v[1:4], v9, off offset:-16
	scratch_load_b128 v[5:8], off, s21
	s_wait_loadcnt 0x1
	scratch_store_b128 off, v[1:4], s21
	s_wait_loadcnt 0x0
	scratch_store_b128 v9, v[5:8], off offset:-16
.LBB86_182:
	global_load_b32 v0, v0, s[2:3] offset:24
	s_wait_loadcnt 0x0
	v_cmp_eq_u32_e32 vcc_lo, 7, v0
	s_cbranch_vccnz .LBB86_184
; %bb.183:
	v_lshlrev_b32_e32 v0, 4, v0
	s_delay_alu instid0(VALU_DEP_1)
	v_add_nc_u32_e32 v8, 16, v0
	s_clause 0x1
	scratch_load_b128 v[0:3], v8, off offset:-16
	scratch_load_b128 v[4:7], off, s5
	s_wait_loadcnt 0x1
	scratch_store_b128 off, v[0:3], s5
	s_wait_loadcnt 0x0
	scratch_store_b128 v8, v[4:7], off offset:-16
.LBB86_184:
	v_mov_b32_e32 v0, 0
	global_load_b32 v1, v0, s[2:3] offset:20
	s_wait_loadcnt 0x0
	v_cmp_eq_u32_e32 vcc_lo, 6, v1
	s_cbranch_vccnz .LBB86_186
; %bb.185:
	v_lshlrev_b32_e32 v1, 4, v1
	s_delay_alu instid0(VALU_DEP_1)
	v_add_nc_u32_e32 v9, 16, v1
	s_clause 0x1
	scratch_load_b128 v[1:4], v9, off offset:-16
	scratch_load_b128 v[5:8], off, s20
	s_wait_loadcnt 0x1
	scratch_store_b128 off, v[1:4], s20
	s_wait_loadcnt 0x0
	scratch_store_b128 v9, v[5:8], off offset:-16
.LBB86_186:
	global_load_b32 v0, v0, s[2:3] offset:16
	s_wait_loadcnt 0x0
	v_cmp_eq_u32_e32 vcc_lo, 5, v0
	s_cbranch_vccnz .LBB86_188
; %bb.187:
	v_lshlrev_b32_e32 v0, 4, v0
	s_delay_alu instid0(VALU_DEP_1)
	v_add_nc_u32_e32 v8, 16, v0
	s_clause 0x1
	scratch_load_b128 v[0:3], v8, off offset:-16
	scratch_load_b128 v[4:7], off, s4
	s_wait_loadcnt 0x1
	scratch_store_b128 off, v[0:3], s4
	s_wait_loadcnt 0x0
	scratch_store_b128 v8, v[4:7], off offset:-16
.LBB86_188:
	v_mov_b32_e32 v0, 0
	global_load_b32 v1, v0, s[2:3] offset:12
	s_wait_loadcnt 0x0
	v_cmp_eq_u32_e32 vcc_lo, 4, v1
	s_cbranch_vccnz .LBB86_190
; %bb.189:
	v_lshlrev_b32_e32 v1, 4, v1
	s_delay_alu instid0(VALU_DEP_1)
	v_add_nc_u32_e32 v9, 16, v1
	s_clause 0x1
	scratch_load_b128 v[1:4], v9, off offset:-16
	scratch_load_b128 v[5:8], off, s19
	s_wait_loadcnt 0x1
	scratch_store_b128 off, v[1:4], s19
	s_wait_loadcnt 0x0
	scratch_store_b128 v9, v[5:8], off offset:-16
.LBB86_190:
	global_load_b32 v0, v0, s[2:3] offset:8
	s_wait_loadcnt 0x0
	v_cmp_eq_u32_e32 vcc_lo, 3, v0
	s_cbranch_vccnz .LBB86_192
; %bb.191:
	v_lshlrev_b32_e32 v0, 4, v0
	s_delay_alu instid0(VALU_DEP_1)
	v_add_nc_u32_e32 v8, 16, v0
	s_clause 0x1
	scratch_load_b128 v[0:3], v8, off offset:-16
	scratch_load_b128 v[4:7], off, s29
	s_wait_loadcnt 0x1
	scratch_store_b128 off, v[0:3], s29
	s_wait_loadcnt 0x0
	scratch_store_b128 v8, v[4:7], off offset:-16
.LBB86_192:
	v_mov_b32_e32 v0, 0
	global_load_b32 v1, v0, s[2:3] offset:4
	s_wait_loadcnt 0x0
	v_cmp_eq_u32_e32 vcc_lo, 2, v1
	s_cbranch_vccnz .LBB86_194
; %bb.193:
	v_lshlrev_b32_e32 v1, 4, v1
	s_delay_alu instid0(VALU_DEP_1)
	v_add_nc_u32_e32 v9, 16, v1
	s_clause 0x1
	scratch_load_b128 v[1:4], v9, off offset:-16
	scratch_load_b128 v[5:8], off, s30
	s_wait_loadcnt 0x1
	scratch_store_b128 off, v[1:4], s30
	s_wait_loadcnt 0x0
	scratch_store_b128 v9, v[5:8], off offset:-16
.LBB86_194:
	global_load_b32 v0, v0, s[2:3]
	s_wait_loadcnt 0x0
	v_cmp_eq_u32_e32 vcc_lo, 1, v0
	s_cbranch_vccnz .LBB86_196
; %bb.195:
	v_lshlrev_b32_e32 v0, 4, v0
	s_delay_alu instid0(VALU_DEP_1)
	v_add_nc_u32_e32 v8, 16, v0
	scratch_load_b128 v[0:3], v8, off offset:-16
	scratch_load_b128 v[4:7], off, off offset:16
	s_wait_loadcnt 0x1
	scratch_store_b128 off, v[0:3], off offset:16
	s_wait_loadcnt 0x0
	scratch_store_b128 v8, v[4:7], off offset:-16
.LBB86_196:
	scratch_load_b128 v[0:3], off, off offset:16
	s_wait_loadcnt 0x0
	flat_store_b128 v[13:14], v[0:3]
	scratch_load_b128 v[0:3], off, s30
	s_wait_loadcnt 0x0
	flat_store_b128 v[15:16], v[0:3]
	scratch_load_b128 v[0:3], off, s29
	;; [unrolled: 3-line block ×22, first 2 shown]
	s_wait_loadcnt 0x0
	flat_store_b128 v[57:58], v[0:3]
	s_nop 0
	s_sendmsg sendmsg(MSG_DEALLOC_VGPRS)
	s_endpgm
	.section	.rodata,"a",@progbits
	.p2align	6, 0x0
	.amdhsa_kernel _ZN9rocsolver6v33100L18getri_kernel_smallILi23E19rocblas_complex_numIdEPKPS3_EEvT1_iilPiilS8_bb
		.amdhsa_group_segment_fixed_size 744
		.amdhsa_private_segment_fixed_size 400
		.amdhsa_kernarg_size 60
		.amdhsa_user_sgpr_count 2
		.amdhsa_user_sgpr_dispatch_ptr 0
		.amdhsa_user_sgpr_queue_ptr 0
		.amdhsa_user_sgpr_kernarg_segment_ptr 1
		.amdhsa_user_sgpr_dispatch_id 0
		.amdhsa_user_sgpr_private_segment_size 0
		.amdhsa_wavefront_size32 1
		.amdhsa_uses_dynamic_stack 0
		.amdhsa_enable_private_segment 1
		.amdhsa_system_sgpr_workgroup_id_x 1
		.amdhsa_system_sgpr_workgroup_id_y 0
		.amdhsa_system_sgpr_workgroup_id_z 0
		.amdhsa_system_sgpr_workgroup_info 0
		.amdhsa_system_vgpr_workitem_id 0
		.amdhsa_next_free_vgpr 119
		.amdhsa_next_free_sgpr 36
		.amdhsa_reserve_vcc 1
		.amdhsa_float_round_mode_32 0
		.amdhsa_float_round_mode_16_64 0
		.amdhsa_float_denorm_mode_32 3
		.amdhsa_float_denorm_mode_16_64 3
		.amdhsa_fp16_overflow 0
		.amdhsa_workgroup_processor_mode 1
		.amdhsa_memory_ordered 1
		.amdhsa_forward_progress 1
		.amdhsa_inst_pref_size 234
		.amdhsa_round_robin_scheduling 0
		.amdhsa_exception_fp_ieee_invalid_op 0
		.amdhsa_exception_fp_denorm_src 0
		.amdhsa_exception_fp_ieee_div_zero 0
		.amdhsa_exception_fp_ieee_overflow 0
		.amdhsa_exception_fp_ieee_underflow 0
		.amdhsa_exception_fp_ieee_inexact 0
		.amdhsa_exception_int_div_zero 0
	.end_amdhsa_kernel
	.section	.text._ZN9rocsolver6v33100L18getri_kernel_smallILi23E19rocblas_complex_numIdEPKPS3_EEvT1_iilPiilS8_bb,"axG",@progbits,_ZN9rocsolver6v33100L18getri_kernel_smallILi23E19rocblas_complex_numIdEPKPS3_EEvT1_iilPiilS8_bb,comdat
.Lfunc_end86:
	.size	_ZN9rocsolver6v33100L18getri_kernel_smallILi23E19rocblas_complex_numIdEPKPS3_EEvT1_iilPiilS8_bb, .Lfunc_end86-_ZN9rocsolver6v33100L18getri_kernel_smallILi23E19rocblas_complex_numIdEPKPS3_EEvT1_iilPiilS8_bb
                                        ; -- End function
	.set _ZN9rocsolver6v33100L18getri_kernel_smallILi23E19rocblas_complex_numIdEPKPS3_EEvT1_iilPiilS8_bb.num_vgpr, 119
	.set _ZN9rocsolver6v33100L18getri_kernel_smallILi23E19rocblas_complex_numIdEPKPS3_EEvT1_iilPiilS8_bb.num_agpr, 0
	.set _ZN9rocsolver6v33100L18getri_kernel_smallILi23E19rocblas_complex_numIdEPKPS3_EEvT1_iilPiilS8_bb.numbered_sgpr, 36
	.set _ZN9rocsolver6v33100L18getri_kernel_smallILi23E19rocblas_complex_numIdEPKPS3_EEvT1_iilPiilS8_bb.num_named_barrier, 0
	.set _ZN9rocsolver6v33100L18getri_kernel_smallILi23E19rocblas_complex_numIdEPKPS3_EEvT1_iilPiilS8_bb.private_seg_size, 400
	.set _ZN9rocsolver6v33100L18getri_kernel_smallILi23E19rocblas_complex_numIdEPKPS3_EEvT1_iilPiilS8_bb.uses_vcc, 1
	.set _ZN9rocsolver6v33100L18getri_kernel_smallILi23E19rocblas_complex_numIdEPKPS3_EEvT1_iilPiilS8_bb.uses_flat_scratch, 1
	.set _ZN9rocsolver6v33100L18getri_kernel_smallILi23E19rocblas_complex_numIdEPKPS3_EEvT1_iilPiilS8_bb.has_dyn_sized_stack, 0
	.set _ZN9rocsolver6v33100L18getri_kernel_smallILi23E19rocblas_complex_numIdEPKPS3_EEvT1_iilPiilS8_bb.has_recursion, 0
	.set _ZN9rocsolver6v33100L18getri_kernel_smallILi23E19rocblas_complex_numIdEPKPS3_EEvT1_iilPiilS8_bb.has_indirect_call, 0
	.section	.AMDGPU.csdata,"",@progbits
; Kernel info:
; codeLenInByte = 29928
; TotalNumSgprs: 38
; NumVgprs: 119
; ScratchSize: 400
; MemoryBound: 0
; FloatMode: 240
; IeeeMode: 1
; LDSByteSize: 744 bytes/workgroup (compile time only)
; SGPRBlocks: 0
; VGPRBlocks: 14
; NumSGPRsForWavesPerEU: 38
; NumVGPRsForWavesPerEU: 119
; Occupancy: 12
; WaveLimiterHint : 1
; COMPUTE_PGM_RSRC2:SCRATCH_EN: 1
; COMPUTE_PGM_RSRC2:USER_SGPR: 2
; COMPUTE_PGM_RSRC2:TRAP_HANDLER: 0
; COMPUTE_PGM_RSRC2:TGID_X_EN: 1
; COMPUTE_PGM_RSRC2:TGID_Y_EN: 0
; COMPUTE_PGM_RSRC2:TGID_Z_EN: 0
; COMPUTE_PGM_RSRC2:TIDIG_COMP_CNT: 0
	.section	.text._ZN9rocsolver6v33100L18getri_kernel_smallILi24E19rocblas_complex_numIdEPKPS3_EEvT1_iilPiilS8_bb,"axG",@progbits,_ZN9rocsolver6v33100L18getri_kernel_smallILi24E19rocblas_complex_numIdEPKPS3_EEvT1_iilPiilS8_bb,comdat
	.globl	_ZN9rocsolver6v33100L18getri_kernel_smallILi24E19rocblas_complex_numIdEPKPS3_EEvT1_iilPiilS8_bb ; -- Begin function _ZN9rocsolver6v33100L18getri_kernel_smallILi24E19rocblas_complex_numIdEPKPS3_EEvT1_iilPiilS8_bb
	.p2align	8
	.type	_ZN9rocsolver6v33100L18getri_kernel_smallILi24E19rocblas_complex_numIdEPKPS3_EEvT1_iilPiilS8_bb,@function
_ZN9rocsolver6v33100L18getri_kernel_smallILi24E19rocblas_complex_numIdEPKPS3_EEvT1_iilPiilS8_bb: ; @_ZN9rocsolver6v33100L18getri_kernel_smallILi24E19rocblas_complex_numIdEPKPS3_EEvT1_iilPiilS8_bb
; %bb.0:
	s_mov_b32 s2, exec_lo
	v_cmpx_gt_u32_e32 24, v0
	s_cbranch_execz .LBB87_110
; %bb.1:
	s_clause 0x1
	s_load_b32 s13, s[0:1], 0x38
	s_load_b64 s[2:3], s[0:1], 0x0
	s_mov_b32 s8, ttmp9
	s_load_b128 s[4:7], s[0:1], 0x28
	s_wait_kmcnt 0x0
	s_bitcmp1_b32 s13, 8
	s_cselect_b32 s12, -1, 0
	s_ashr_i32 s9, ttmp9, 31
	s_delay_alu instid0(SALU_CYCLE_1) | instskip(NEXT) | instid1(SALU_CYCLE_1)
	s_lshl_b64 s[10:11], s[8:9], 3
	s_add_nc_u64 s[2:3], s[2:3], s[10:11]
	s_load_b64 s[10:11], s[2:3], 0x0
	s_bfe_u32 s2, s13, 0x10008
	s_delay_alu instid0(SALU_CYCLE_1)
	s_cmp_eq_u32 s2, 0
                                        ; implicit-def: $sgpr2_sgpr3
	s_cbranch_scc1 .LBB87_3
; %bb.2:
	s_load_b96 s[16:18], s[0:1], 0x18
	s_mul_u64 s[2:3], s[4:5], s[8:9]
	s_delay_alu instid0(SALU_CYCLE_1)
	s_lshl_b64 s[2:3], s[2:3], 2
	s_wait_kmcnt 0x0
	s_ashr_i32 s5, s18, 31
	s_mov_b32 s4, s18
	s_add_nc_u64 s[2:3], s[16:17], s[2:3]
	s_lshl_b64 s[4:5], s[4:5], 2
	s_delay_alu instid0(SALU_CYCLE_1)
	s_add_nc_u64 s[2:3], s[2:3], s[4:5]
.LBB87_3:
	s_clause 0x1
	s_load_b64 s[4:5], s[0:1], 0x8
	s_load_b32 s33, s[0:1], 0x38
	v_lshlrev_b32_e32 v61, 4, v0
	s_mov_b32 s31, 32
	s_mov_b32 s30, 48
	;; [unrolled: 1-line block ×3, first 2 shown]
	s_movk_i32 s20, 0x50
	s_wait_kmcnt 0x0
	s_ashr_i32 s1, s4, 31
	s_mov_b32 s0, s4
	v_add3_u32 v5, s5, s5, v0
	s_lshl_b64 s[0:1], s[0:1], 4
	s_delay_alu instid0(SALU_CYCLE_1)
	s_add_nc_u64 s[0:1], s[10:11], s[0:1]
	s_ashr_i32 s11, s5, 31
	v_add_co_u32 v13, s4, s0, v61
	s_wait_alu 0xf1ff
	v_add_co_ci_u32_e64 v14, null, s1, 0, s4
	s_mov_b32 s10, s5
	v_ashrrev_i32_e32 v6, 31, v5
	s_lshl_b64 s[10:11], s[10:11], 4
	flat_load_b128 v[1:4], v[13:14]
	v_add_co_u32 v15, vcc_lo, v13, s10
	s_delay_alu instid0(VALU_DEP_1) | instskip(SKIP_2) | instid1(VALU_DEP_2)
	v_add_co_ci_u32_e64 v16, null, s11, v14, vcc_lo
	v_lshlrev_b64_e32 v[6:7], 4, v[5:6]
	v_add_nc_u32_e32 v5, s5, v5
	v_add_co_u32 v17, vcc_lo, s0, v6
	s_wait_alu 0xfffd
	s_delay_alu instid0(VALU_DEP_3) | instskip(NEXT) | instid1(VALU_DEP_3)
	v_add_co_ci_u32_e64 v18, null, s1, v7, vcc_lo
	v_ashrrev_i32_e32 v6, 31, v5
	s_delay_alu instid0(VALU_DEP_1) | instskip(SKIP_1) | instid1(VALU_DEP_2)
	v_lshlrev_b64_e32 v[6:7], 4, v[5:6]
	v_add_nc_u32_e32 v5, s5, v5
	v_add_co_u32 v19, vcc_lo, s0, v6
	s_wait_alu 0xfffd
	s_delay_alu instid0(VALU_DEP_3) | instskip(NEXT) | instid1(VALU_DEP_3)
	v_add_co_ci_u32_e64 v20, null, s1, v7, vcc_lo
	v_ashrrev_i32_e32 v6, 31, v5
	s_delay_alu instid0(VALU_DEP_1) | instskip(SKIP_1) | instid1(VALU_DEP_2)
	;; [unrolled: 8-line block ×20, first 2 shown]
	v_lshlrev_b64_e32 v[6:7], 4, v[5:6]
	v_add_nc_u32_e32 v5, s5, v5
	v_add_co_u32 v57, vcc_lo, s0, v6
	s_wait_alu 0xfffd
	s_delay_alu instid0(VALU_DEP_3) | instskip(NEXT) | instid1(VALU_DEP_3)
	v_add_co_ci_u32_e64 v58, null, s1, v7, vcc_lo
	v_ashrrev_i32_e32 v6, 31, v5
	s_delay_alu instid0(VALU_DEP_1)
	v_lshlrev_b64_e32 v[5:6], 4, v[5:6]
	s_wait_loadcnt_dscnt 0x0
	scratch_store_b128 off, v[1:4], off offset:16
	flat_load_b128 v[1:4], v[15:16]
	v_add_co_u32 v59, vcc_lo, s0, v5
	s_wait_alu 0xfffd
	v_add_co_ci_u32_e64 v60, null, s1, v6, vcc_lo
	s_movk_i32 s0, 0x50
	s_movk_i32 s1, 0x70
	s_wait_alu 0xfffe
	s_add_co_i32 s4, s0, 16
	s_movk_i32 s0, 0x60
	s_add_co_i32 s5, s1, 16
	s_wait_alu 0xfffe
	s_add_co_i32 s21, s0, 16
	s_movk_i32 s0, 0x80
	s_movk_i32 s1, 0x90
	s_wait_alu 0xfffe
	s_add_co_i32 s22, s0, 16
	s_add_co_i32 s10, s1, 16
	s_movk_i32 s0, 0xa0
	s_movk_i32 s1, 0xb0
	s_wait_alu 0xfffe
	s_add_co_i32 s23, s0, 16
	;; [unrolled: 5-line block ×8, first 2 shown]
	s_add_co_i32 s18, s1, 16
	s_bitcmp0_b32 s33, 0
	s_mov_b32 s1, -1
	s_wait_loadcnt_dscnt 0x0
	scratch_store_b128 off, v[1:4], off offset:32
	flat_load_b128 v[1:4], v[17:18]
	s_wait_loadcnt_dscnt 0x0
	scratch_store_b128 off, v[1:4], off offset:48
	flat_load_b128 v[1:4], v[19:20]
	;; [unrolled: 3-line block ×22, first 2 shown]
	s_wait_loadcnt_dscnt 0x0
	scratch_store_b128 off, v[1:4], off offset:384
	s_cbranch_scc1 .LBB87_108
; %bb.4:
	v_cmp_eq_u32_e64 s0, 0, v0
	s_and_saveexec_b32 s1, s0
; %bb.5:
	v_mov_b32_e32 v1, 0
	ds_store_b32 v1, v1 offset:768
; %bb.6:
	s_wait_alu 0xfffe
	s_or_b32 exec_lo, exec_lo, s1
	s_wait_storecnt_dscnt 0x0
	s_barrier_signal -1
	s_barrier_wait -1
	global_inv scope:SCOPE_SE
	scratch_load_b128 v[1:4], v61, off offset:16
	s_wait_loadcnt 0x0
	v_cmp_eq_f64_e32 vcc_lo, 0, v[1:2]
	v_cmp_eq_f64_e64 s1, 0, v[3:4]
	s_and_b32 s1, vcc_lo, s1
	s_wait_alu 0xfffe
	s_and_saveexec_b32 s33, s1
	s_cbranch_execz .LBB87_10
; %bb.7:
	v_mov_b32_e32 v1, 0
	s_mov_b32 s34, 0
	ds_load_b32 v2, v1 offset:768
	s_wait_dscnt 0x0
	v_readfirstlane_b32 s1, v2
	v_add_nc_u32_e32 v2, 1, v0
	s_cmp_eq_u32 s1, 0
	s_delay_alu instid0(VALU_DEP_1) | instskip(SKIP_1) | instid1(SALU_CYCLE_1)
	v_cmp_gt_i32_e32 vcc_lo, s1, v2
	s_cselect_b32 s35, -1, 0
	s_or_b32 s35, s35, vcc_lo
	s_delay_alu instid0(SALU_CYCLE_1)
	s_and_b32 exec_lo, exec_lo, s35
	s_cbranch_execz .LBB87_10
; %bb.8:
	v_mov_b32_e32 v3, s1
.LBB87_9:                               ; =>This Inner Loop Header: Depth=1
	ds_cmpstore_rtn_b32 v3, v1, v2, v3 offset:768
	s_wait_dscnt 0x0
	v_cmp_ne_u32_e32 vcc_lo, 0, v3
	v_cmp_le_i32_e64 s1, v3, v2
	s_and_b32 s1, vcc_lo, s1
	s_wait_alu 0xfffe
	s_and_b32 s1, exec_lo, s1
	s_wait_alu 0xfffe
	s_or_b32 s34, s1, s34
	s_delay_alu instid0(SALU_CYCLE_1)
	s_and_not1_b32 exec_lo, exec_lo, s34
	s_cbranch_execnz .LBB87_9
.LBB87_10:
	s_or_b32 exec_lo, exec_lo, s33
	v_mov_b32_e32 v1, 0
	s_barrier_signal -1
	s_barrier_wait -1
	global_inv scope:SCOPE_SE
	ds_load_b32 v2, v1 offset:768
	s_and_saveexec_b32 s1, s0
	s_cbranch_execz .LBB87_12
; %bb.11:
	s_lshl_b64 s[34:35], s[8:9], 2
	s_delay_alu instid0(SALU_CYCLE_1)
	s_add_nc_u64 s[34:35], s[6:7], s[34:35]
	s_wait_dscnt 0x0
	global_store_b32 v1, v2, s[34:35]
.LBB87_12:
	s_wait_alu 0xfffe
	s_or_b32 exec_lo, exec_lo, s1
	s_wait_dscnt 0x0
	v_cmp_ne_u32_e32 vcc_lo, 0, v2
	s_mov_b32 s1, 0
	s_cbranch_vccnz .LBB87_108
; %bb.13:
	v_add_nc_u32_e32 v62, 16, v61
                                        ; implicit-def: $vgpr1_vgpr2
                                        ; implicit-def: $vgpr9_vgpr10
	scratch_load_b128 v[5:8], v62, off
	s_wait_loadcnt 0x0
	v_cmp_ngt_f64_e64 s1, |v[5:6]|, |v[7:8]|
	s_wait_alu 0xfffe
	s_and_saveexec_b32 s33, s1
	s_delay_alu instid0(SALU_CYCLE_1)
	s_xor_b32 s1, exec_lo, s33
	s_cbranch_execz .LBB87_15
; %bb.14:
	v_div_scale_f64 v[1:2], null, v[7:8], v[7:8], v[5:6]
	v_div_scale_f64 v[11:12], vcc_lo, v[5:6], v[7:8], v[5:6]
	s_delay_alu instid0(VALU_DEP_2) | instskip(NEXT) | instid1(TRANS32_DEP_1)
	v_rcp_f64_e32 v[3:4], v[1:2]
	v_fma_f64 v[9:10], -v[1:2], v[3:4], 1.0
	s_delay_alu instid0(VALU_DEP_1) | instskip(NEXT) | instid1(VALU_DEP_1)
	v_fma_f64 v[3:4], v[3:4], v[9:10], v[3:4]
	v_fma_f64 v[9:10], -v[1:2], v[3:4], 1.0
	s_delay_alu instid0(VALU_DEP_1) | instskip(NEXT) | instid1(VALU_DEP_1)
	v_fma_f64 v[3:4], v[3:4], v[9:10], v[3:4]
	v_mul_f64_e32 v[9:10], v[11:12], v[3:4]
	s_delay_alu instid0(VALU_DEP_1) | instskip(SKIP_1) | instid1(VALU_DEP_1)
	v_fma_f64 v[1:2], -v[1:2], v[9:10], v[11:12]
	s_wait_alu 0xfffd
	v_div_fmas_f64 v[1:2], v[1:2], v[3:4], v[9:10]
	s_delay_alu instid0(VALU_DEP_1) | instskip(NEXT) | instid1(VALU_DEP_1)
	v_div_fixup_f64 v[1:2], v[1:2], v[7:8], v[5:6]
	v_fma_f64 v[3:4], v[5:6], v[1:2], v[7:8]
	s_delay_alu instid0(VALU_DEP_1) | instskip(SKIP_1) | instid1(VALU_DEP_2)
	v_div_scale_f64 v[5:6], null, v[3:4], v[3:4], 1.0
	v_div_scale_f64 v[11:12], vcc_lo, 1.0, v[3:4], 1.0
	v_rcp_f64_e32 v[7:8], v[5:6]
	s_delay_alu instid0(TRANS32_DEP_1) | instskip(NEXT) | instid1(VALU_DEP_1)
	v_fma_f64 v[9:10], -v[5:6], v[7:8], 1.0
	v_fma_f64 v[7:8], v[7:8], v[9:10], v[7:8]
	s_delay_alu instid0(VALU_DEP_1) | instskip(NEXT) | instid1(VALU_DEP_1)
	v_fma_f64 v[9:10], -v[5:6], v[7:8], 1.0
	v_fma_f64 v[7:8], v[7:8], v[9:10], v[7:8]
	s_delay_alu instid0(VALU_DEP_1) | instskip(NEXT) | instid1(VALU_DEP_1)
	v_mul_f64_e32 v[9:10], v[11:12], v[7:8]
	v_fma_f64 v[5:6], -v[5:6], v[9:10], v[11:12]
	s_wait_alu 0xfffd
	s_delay_alu instid0(VALU_DEP_1) | instskip(NEXT) | instid1(VALU_DEP_1)
	v_div_fmas_f64 v[5:6], v[5:6], v[7:8], v[9:10]
	v_div_fixup_f64 v[3:4], v[5:6], v[3:4], 1.0
                                        ; implicit-def: $vgpr5_vgpr6
	s_delay_alu instid0(VALU_DEP_1) | instskip(SKIP_1) | instid1(VALU_DEP_2)
	v_mul_f64_e32 v[1:2], v[1:2], v[3:4]
	v_xor_b32_e32 v4, 0x80000000, v4
	v_xor_b32_e32 v10, 0x80000000, v2
	s_delay_alu instid0(VALU_DEP_3)
	v_mov_b32_e32 v9, v1
.LBB87_15:
	s_wait_alu 0xfffe
	s_and_not1_saveexec_b32 s1, s1
	s_cbranch_execz .LBB87_17
; %bb.16:
	v_div_scale_f64 v[1:2], null, v[5:6], v[5:6], v[7:8]
	v_div_scale_f64 v[11:12], vcc_lo, v[7:8], v[5:6], v[7:8]
	s_delay_alu instid0(VALU_DEP_2) | instskip(NEXT) | instid1(TRANS32_DEP_1)
	v_rcp_f64_e32 v[3:4], v[1:2]
	v_fma_f64 v[9:10], -v[1:2], v[3:4], 1.0
	s_delay_alu instid0(VALU_DEP_1) | instskip(NEXT) | instid1(VALU_DEP_1)
	v_fma_f64 v[3:4], v[3:4], v[9:10], v[3:4]
	v_fma_f64 v[9:10], -v[1:2], v[3:4], 1.0
	s_delay_alu instid0(VALU_DEP_1) | instskip(NEXT) | instid1(VALU_DEP_1)
	v_fma_f64 v[3:4], v[3:4], v[9:10], v[3:4]
	v_mul_f64_e32 v[9:10], v[11:12], v[3:4]
	s_delay_alu instid0(VALU_DEP_1) | instskip(SKIP_1) | instid1(VALU_DEP_1)
	v_fma_f64 v[1:2], -v[1:2], v[9:10], v[11:12]
	s_wait_alu 0xfffd
	v_div_fmas_f64 v[1:2], v[1:2], v[3:4], v[9:10]
	s_delay_alu instid0(VALU_DEP_1) | instskip(NEXT) | instid1(VALU_DEP_1)
	v_div_fixup_f64 v[3:4], v[1:2], v[5:6], v[7:8]
	v_fma_f64 v[1:2], v[7:8], v[3:4], v[5:6]
	s_delay_alu instid0(VALU_DEP_1) | instskip(NEXT) | instid1(VALU_DEP_1)
	v_div_scale_f64 v[5:6], null, v[1:2], v[1:2], 1.0
	v_rcp_f64_e32 v[7:8], v[5:6]
	s_delay_alu instid0(TRANS32_DEP_1) | instskip(NEXT) | instid1(VALU_DEP_1)
	v_fma_f64 v[9:10], -v[5:6], v[7:8], 1.0
	v_fma_f64 v[7:8], v[7:8], v[9:10], v[7:8]
	s_delay_alu instid0(VALU_DEP_1) | instskip(NEXT) | instid1(VALU_DEP_1)
	v_fma_f64 v[9:10], -v[5:6], v[7:8], 1.0
	v_fma_f64 v[7:8], v[7:8], v[9:10], v[7:8]
	v_div_scale_f64 v[9:10], vcc_lo, 1.0, v[1:2], 1.0
	s_delay_alu instid0(VALU_DEP_1) | instskip(NEXT) | instid1(VALU_DEP_1)
	v_mul_f64_e32 v[11:12], v[9:10], v[7:8]
	v_fma_f64 v[5:6], -v[5:6], v[11:12], v[9:10]
	s_wait_alu 0xfffd
	s_delay_alu instid0(VALU_DEP_1) | instskip(NEXT) | instid1(VALU_DEP_1)
	v_div_fmas_f64 v[5:6], v[5:6], v[7:8], v[11:12]
	v_div_fixup_f64 v[1:2], v[5:6], v[1:2], 1.0
	s_delay_alu instid0(VALU_DEP_1)
	v_mul_f64_e64 v[3:4], v[3:4], -v[1:2]
	v_xor_b32_e32 v10, 0x80000000, v2
	v_mov_b32_e32 v9, v1
.LBB87_17:
	s_wait_alu 0xfffe
	s_or_b32 exec_lo, exec_lo, s1
	scratch_store_b128 v62, v[1:4], off
	scratch_load_b128 v[63:66], off, s31
	v_xor_b32_e32 v12, 0x80000000, v4
	v_mov_b32_e32 v11, v3
	v_add_nc_u32_e32 v5, 0x180, v61
	ds_store_b128 v61, v[9:12]
	s_wait_loadcnt 0x0
	ds_store_b128 v61, v[63:66] offset:384
	s_wait_storecnt_dscnt 0x0
	s_barrier_signal -1
	s_barrier_wait -1
	global_inv scope:SCOPE_SE
	s_and_saveexec_b32 s1, s0
	s_cbranch_execz .LBB87_19
; %bb.18:
	scratch_load_b128 v[1:4], v62, off
	ds_load_b128 v[6:9], v5
	v_mov_b32_e32 v10, 0
	ds_load_b128 v[63:66], v10 offset:16
	s_wait_loadcnt_dscnt 0x1
	v_mul_f64_e32 v[10:11], v[6:7], v[3:4]
	v_mul_f64_e32 v[3:4], v[8:9], v[3:4]
	s_delay_alu instid0(VALU_DEP_2) | instskip(NEXT) | instid1(VALU_DEP_2)
	v_fma_f64 v[8:9], v[8:9], v[1:2], v[10:11]
	v_fma_f64 v[1:2], v[6:7], v[1:2], -v[3:4]
	s_delay_alu instid0(VALU_DEP_2) | instskip(NEXT) | instid1(VALU_DEP_2)
	v_add_f64_e32 v[3:4], 0, v[8:9]
	v_add_f64_e32 v[1:2], 0, v[1:2]
	s_wait_dscnt 0x0
	s_delay_alu instid0(VALU_DEP_2) | instskip(NEXT) | instid1(VALU_DEP_2)
	v_mul_f64_e32 v[6:7], v[3:4], v[65:66]
	v_mul_f64_e32 v[8:9], v[1:2], v[65:66]
	s_delay_alu instid0(VALU_DEP_2) | instskip(NEXT) | instid1(VALU_DEP_2)
	v_fma_f64 v[1:2], v[1:2], v[63:64], -v[6:7]
	v_fma_f64 v[3:4], v[3:4], v[63:64], v[8:9]
	scratch_store_b128 off, v[1:4], off offset:32
.LBB87_19:
	s_wait_alu 0xfffe
	s_or_b32 exec_lo, exec_lo, s1
	s_wait_loadcnt 0x0
	s_wait_storecnt 0x0
	s_barrier_signal -1
	s_barrier_wait -1
	global_inv scope:SCOPE_SE
	scratch_load_b128 v[1:4], off, s30
	s_mov_b32 s1, exec_lo
	s_wait_loadcnt 0x0
	ds_store_b128 v5, v[1:4]
	s_wait_dscnt 0x0
	s_barrier_signal -1
	s_barrier_wait -1
	global_inv scope:SCOPE_SE
	v_cmpx_gt_u32_e32 2, v0
	s_cbranch_execz .LBB87_23
; %bb.20:
	scratch_load_b128 v[1:4], v62, off
	ds_load_b128 v[6:9], v5
	s_wait_loadcnt_dscnt 0x0
	v_mul_f64_e32 v[10:11], v[8:9], v[3:4]
	v_mul_f64_e32 v[3:4], v[6:7], v[3:4]
	s_delay_alu instid0(VALU_DEP_2) | instskip(NEXT) | instid1(VALU_DEP_2)
	v_fma_f64 v[6:7], v[6:7], v[1:2], -v[10:11]
	v_fma_f64 v[3:4], v[8:9], v[1:2], v[3:4]
	s_delay_alu instid0(VALU_DEP_2) | instskip(NEXT) | instid1(VALU_DEP_2)
	v_add_f64_e32 v[1:2], 0, v[6:7]
	v_add_f64_e32 v[3:4], 0, v[3:4]
	s_and_saveexec_b32 s33, s0
	s_cbranch_execz .LBB87_22
; %bb.21:
	scratch_load_b128 v[6:9], off, off offset:32
	v_mov_b32_e32 v10, 0
	ds_load_b128 v[63:66], v10 offset:400
	s_wait_loadcnt_dscnt 0x0
	v_mul_f64_e32 v[10:11], v[63:64], v[8:9]
	v_mul_f64_e32 v[8:9], v[65:66], v[8:9]
	s_delay_alu instid0(VALU_DEP_2) | instskip(NEXT) | instid1(VALU_DEP_2)
	v_fma_f64 v[10:11], v[65:66], v[6:7], v[10:11]
	v_fma_f64 v[6:7], v[63:64], v[6:7], -v[8:9]
	s_delay_alu instid0(VALU_DEP_2) | instskip(NEXT) | instid1(VALU_DEP_2)
	v_add_f64_e32 v[3:4], v[3:4], v[10:11]
	v_add_f64_e32 v[1:2], v[1:2], v[6:7]
.LBB87_22:
	s_or_b32 exec_lo, exec_lo, s33
	v_mov_b32_e32 v6, 0
	ds_load_b128 v[6:9], v6 offset:32
	s_wait_dscnt 0x0
	v_mul_f64_e32 v[10:11], v[3:4], v[8:9]
	v_mul_f64_e32 v[8:9], v[1:2], v[8:9]
	s_delay_alu instid0(VALU_DEP_2) | instskip(NEXT) | instid1(VALU_DEP_2)
	v_fma_f64 v[1:2], v[1:2], v[6:7], -v[10:11]
	v_fma_f64 v[3:4], v[3:4], v[6:7], v[8:9]
	scratch_store_b128 off, v[1:4], off offset:48
.LBB87_23:
	s_wait_alu 0xfffe
	s_or_b32 exec_lo, exec_lo, s1
	s_wait_loadcnt 0x0
	s_wait_storecnt 0x0
	s_barrier_signal -1
	s_barrier_wait -1
	global_inv scope:SCOPE_SE
	scratch_load_b128 v[1:4], off, s19
	v_add_nc_u32_e32 v6, -1, v0
	s_mov_b32 s0, exec_lo
	s_wait_loadcnt 0x0
	ds_store_b128 v5, v[1:4]
	s_wait_dscnt 0x0
	s_barrier_signal -1
	s_barrier_wait -1
	global_inv scope:SCOPE_SE
	v_cmpx_gt_u32_e32 3, v0
	s_cbranch_execz .LBB87_27
; %bb.24:
	v_dual_mov_b32 v1, 0 :: v_dual_add_nc_u32 v8, 0x180, v61
	v_mov_b32_e32 v3, 0
	v_dual_mov_b32 v2, 0 :: v_dual_add_nc_u32 v7, -1, v0
	v_mov_b32_e32 v4, 0
	v_or_b32_e32 v9, 8, v62
	s_mov_b32 s1, 0
.LBB87_25:                              ; =>This Inner Loop Header: Depth=1
	scratch_load_b128 v[63:66], v9, off offset:-8
	ds_load_b128 v[67:70], v8
	v_add_nc_u32_e32 v7, 1, v7
	v_add_nc_u32_e32 v8, 16, v8
	v_add_nc_u32_e32 v9, 16, v9
	s_delay_alu instid0(VALU_DEP_3)
	v_cmp_lt_u32_e32 vcc_lo, 1, v7
	s_wait_alu 0xfffe
	s_or_b32 s1, vcc_lo, s1
	s_wait_loadcnt_dscnt 0x0
	v_mul_f64_e32 v[10:11], v[69:70], v[65:66]
	v_mul_f64_e32 v[65:66], v[67:68], v[65:66]
	s_delay_alu instid0(VALU_DEP_2) | instskip(NEXT) | instid1(VALU_DEP_2)
	v_fma_f64 v[10:11], v[67:68], v[63:64], -v[10:11]
	v_fma_f64 v[63:64], v[69:70], v[63:64], v[65:66]
	s_delay_alu instid0(VALU_DEP_2) | instskip(NEXT) | instid1(VALU_DEP_2)
	v_add_f64_e32 v[3:4], v[3:4], v[10:11]
	v_add_f64_e32 v[1:2], v[1:2], v[63:64]
	s_wait_alu 0xfffe
	s_and_not1_b32 exec_lo, exec_lo, s1
	s_cbranch_execnz .LBB87_25
; %bb.26:
	s_or_b32 exec_lo, exec_lo, s1
	v_mov_b32_e32 v7, 0
	ds_load_b128 v[7:10], v7 offset:48
	s_wait_dscnt 0x0
	v_mul_f64_e32 v[11:12], v[1:2], v[9:10]
	v_mul_f64_e32 v[63:64], v[3:4], v[9:10]
	s_delay_alu instid0(VALU_DEP_2) | instskip(NEXT) | instid1(VALU_DEP_2)
	v_fma_f64 v[9:10], v[3:4], v[7:8], -v[11:12]
	v_fma_f64 v[11:12], v[1:2], v[7:8], v[63:64]
	scratch_store_b128 off, v[9:12], off offset:64
.LBB87_27:
	s_wait_alu 0xfffe
	s_or_b32 exec_lo, exec_lo, s0
	s_wait_loadcnt 0x0
	s_wait_storecnt 0x0
	s_barrier_signal -1
	s_barrier_wait -1
	global_inv scope:SCOPE_SE
	scratch_load_b128 v[1:4], off, s20
	s_mov_b32 s0, exec_lo
	s_wait_loadcnt 0x0
	ds_store_b128 v5, v[1:4]
	s_wait_dscnt 0x0
	s_barrier_signal -1
	s_barrier_wait -1
	global_inv scope:SCOPE_SE
	v_cmpx_gt_u32_e32 4, v0
	s_cbranch_execz .LBB87_31
; %bb.28:
	v_dual_mov_b32 v1, 0 :: v_dual_add_nc_u32 v8, 0x180, v61
	v_mov_b32_e32 v3, 0
	v_dual_mov_b32 v2, 0 :: v_dual_add_nc_u32 v7, -1, v0
	v_mov_b32_e32 v4, 0
	v_or_b32_e32 v9, 8, v62
	s_mov_b32 s1, 0
.LBB87_29:                              ; =>This Inner Loop Header: Depth=1
	scratch_load_b128 v[63:66], v9, off offset:-8
	ds_load_b128 v[67:70], v8
	v_add_nc_u32_e32 v7, 1, v7
	v_add_nc_u32_e32 v8, 16, v8
	v_add_nc_u32_e32 v9, 16, v9
	s_delay_alu instid0(VALU_DEP_3)
	v_cmp_lt_u32_e32 vcc_lo, 2, v7
	s_wait_alu 0xfffe
	s_or_b32 s1, vcc_lo, s1
	s_wait_loadcnt_dscnt 0x0
	v_mul_f64_e32 v[10:11], v[69:70], v[65:66]
	v_mul_f64_e32 v[65:66], v[67:68], v[65:66]
	s_delay_alu instid0(VALU_DEP_2) | instskip(NEXT) | instid1(VALU_DEP_2)
	v_fma_f64 v[10:11], v[67:68], v[63:64], -v[10:11]
	v_fma_f64 v[63:64], v[69:70], v[63:64], v[65:66]
	s_delay_alu instid0(VALU_DEP_2) | instskip(NEXT) | instid1(VALU_DEP_2)
	v_add_f64_e32 v[3:4], v[3:4], v[10:11]
	v_add_f64_e32 v[1:2], v[1:2], v[63:64]
	s_wait_alu 0xfffe
	s_and_not1_b32 exec_lo, exec_lo, s1
	s_cbranch_execnz .LBB87_29
; %bb.30:
	s_or_b32 exec_lo, exec_lo, s1
	v_mov_b32_e32 v7, 0
	ds_load_b128 v[7:10], v7 offset:64
	s_wait_dscnt 0x0
	v_mul_f64_e32 v[11:12], v[1:2], v[9:10]
	v_mul_f64_e32 v[63:64], v[3:4], v[9:10]
	s_delay_alu instid0(VALU_DEP_2) | instskip(NEXT) | instid1(VALU_DEP_2)
	v_fma_f64 v[9:10], v[3:4], v[7:8], -v[11:12]
	v_fma_f64 v[11:12], v[1:2], v[7:8], v[63:64]
	scratch_store_b128 off, v[9:12], off offset:80
.LBB87_31:
	s_wait_alu 0xfffe
	s_or_b32 exec_lo, exec_lo, s0
	s_wait_loadcnt 0x0
	s_wait_storecnt 0x0
	s_barrier_signal -1
	s_barrier_wait -1
	global_inv scope:SCOPE_SE
	scratch_load_b128 v[1:4], off, s4
	;; [unrolled: 58-line block ×19, first 2 shown]
	s_mov_b32 s0, exec_lo
	s_wait_loadcnt 0x0
	ds_store_b128 v5, v[1:4]
	s_wait_dscnt 0x0
	s_barrier_signal -1
	s_barrier_wait -1
	global_inv scope:SCOPE_SE
	v_cmpx_gt_u32_e32 22, v0
	s_cbranch_execz .LBB87_103
; %bb.100:
	v_dual_mov_b32 v1, 0 :: v_dual_add_nc_u32 v8, 0x180, v61
	v_mov_b32_e32 v3, 0
	v_dual_mov_b32 v2, 0 :: v_dual_add_nc_u32 v7, -1, v0
	v_mov_b32_e32 v4, 0
	v_or_b32_e32 v9, 8, v62
	s_mov_b32 s1, 0
.LBB87_101:                             ; =>This Inner Loop Header: Depth=1
	scratch_load_b128 v[63:66], v9, off offset:-8
	ds_load_b128 v[67:70], v8
	v_add_nc_u32_e32 v7, 1, v7
	v_add_nc_u32_e32 v8, 16, v8
	;; [unrolled: 1-line block ×3, first 2 shown]
	s_delay_alu instid0(VALU_DEP_3)
	v_cmp_lt_u32_e32 vcc_lo, 20, v7
	s_wait_alu 0xfffe
	s_or_b32 s1, vcc_lo, s1
	s_wait_loadcnt_dscnt 0x0
	v_mul_f64_e32 v[10:11], v[69:70], v[65:66]
	v_mul_f64_e32 v[65:66], v[67:68], v[65:66]
	s_delay_alu instid0(VALU_DEP_2) | instskip(NEXT) | instid1(VALU_DEP_2)
	v_fma_f64 v[10:11], v[67:68], v[63:64], -v[10:11]
	v_fma_f64 v[63:64], v[69:70], v[63:64], v[65:66]
	s_delay_alu instid0(VALU_DEP_2) | instskip(NEXT) | instid1(VALU_DEP_2)
	v_add_f64_e32 v[3:4], v[3:4], v[10:11]
	v_add_f64_e32 v[1:2], v[1:2], v[63:64]
	s_wait_alu 0xfffe
	s_and_not1_b32 exec_lo, exec_lo, s1
	s_cbranch_execnz .LBB87_101
; %bb.102:
	s_or_b32 exec_lo, exec_lo, s1
	v_mov_b32_e32 v7, 0
	ds_load_b128 v[7:10], v7 offset:352
	s_wait_dscnt 0x0
	v_mul_f64_e32 v[11:12], v[1:2], v[9:10]
	v_mul_f64_e32 v[63:64], v[3:4], v[9:10]
	s_delay_alu instid0(VALU_DEP_2) | instskip(NEXT) | instid1(VALU_DEP_2)
	v_fma_f64 v[9:10], v[3:4], v[7:8], -v[11:12]
	v_fma_f64 v[11:12], v[1:2], v[7:8], v[63:64]
	scratch_store_b128 off, v[9:12], off offset:368
.LBB87_103:
	s_wait_alu 0xfffe
	s_or_b32 exec_lo, exec_lo, s0
	s_wait_loadcnt 0x0
	s_wait_storecnt 0x0
	s_barrier_signal -1
	s_barrier_wait -1
	global_inv scope:SCOPE_SE
	scratch_load_b128 v[1:4], off, s18
	s_mov_b32 s0, exec_lo
	s_wait_loadcnt 0x0
	ds_store_b128 v5, v[1:4]
	s_wait_dscnt 0x0
	s_barrier_signal -1
	s_barrier_wait -1
	global_inv scope:SCOPE_SE
	v_cmpx_ne_u32_e32 23, v0
	s_cbranch_execz .LBB87_107
; %bb.104:
	v_mov_b32_e32 v1, 0
	v_dual_mov_b32 v2, 0 :: v_dual_mov_b32 v3, 0
	v_mov_b32_e32 v4, 0
	v_or_b32_e32 v7, 8, v62
	s_mov_b32 s1, 0
.LBB87_105:                             ; =>This Inner Loop Header: Depth=1
	scratch_load_b128 v[8:11], v7, off offset:-8
	ds_load_b128 v[61:64], v5
	v_add_nc_u32_e32 v6, 1, v6
	v_add_nc_u32_e32 v5, 16, v5
	;; [unrolled: 1-line block ×3, first 2 shown]
	s_delay_alu instid0(VALU_DEP_3)
	v_cmp_lt_u32_e32 vcc_lo, 21, v6
	s_wait_alu 0xfffe
	s_or_b32 s1, vcc_lo, s1
	s_wait_loadcnt_dscnt 0x0
	v_mul_f64_e32 v[65:66], v[63:64], v[10:11]
	v_mul_f64_e32 v[10:11], v[61:62], v[10:11]
	s_delay_alu instid0(VALU_DEP_2) | instskip(NEXT) | instid1(VALU_DEP_2)
	v_fma_f64 v[61:62], v[61:62], v[8:9], -v[65:66]
	v_fma_f64 v[8:9], v[63:64], v[8:9], v[10:11]
	s_delay_alu instid0(VALU_DEP_2) | instskip(NEXT) | instid1(VALU_DEP_2)
	v_add_f64_e32 v[3:4], v[3:4], v[61:62]
	v_add_f64_e32 v[1:2], v[1:2], v[8:9]
	s_wait_alu 0xfffe
	s_and_not1_b32 exec_lo, exec_lo, s1
	s_cbranch_execnz .LBB87_105
; %bb.106:
	s_or_b32 exec_lo, exec_lo, s1
	v_mov_b32_e32 v5, 0
	ds_load_b128 v[5:8], v5 offset:368
	s_wait_dscnt 0x0
	v_mul_f64_e32 v[9:10], v[1:2], v[7:8]
	v_mul_f64_e32 v[7:8], v[3:4], v[7:8]
	s_delay_alu instid0(VALU_DEP_2) | instskip(NEXT) | instid1(VALU_DEP_2)
	v_fma_f64 v[3:4], v[3:4], v[5:6], -v[9:10]
	v_fma_f64 v[5:6], v[1:2], v[5:6], v[7:8]
	scratch_store_b128 off, v[3:6], off offset:384
.LBB87_107:
	s_wait_alu 0xfffe
	s_or_b32 exec_lo, exec_lo, s0
	s_mov_b32 s1, -1
	s_wait_loadcnt 0x0
	s_wait_storecnt 0x0
	s_barrier_signal -1
	s_barrier_wait -1
	global_inv scope:SCOPE_SE
.LBB87_108:
	s_wait_alu 0xfffe
	s_and_b32 vcc_lo, exec_lo, s1
	s_wait_alu 0xfffe
	s_cbranch_vccz .LBB87_110
; %bb.109:
	v_mov_b32_e32 v1, 0
	s_lshl_b64 s[0:1], s[8:9], 2
	s_wait_alu 0xfffe
	s_add_nc_u64 s[0:1], s[6:7], s[0:1]
	global_load_b32 v1, v1, s[0:1]
	s_wait_loadcnt 0x0
	v_cmp_ne_u32_e32 vcc_lo, 0, v1
	s_cbranch_vccz .LBB87_111
.LBB87_110:
	s_nop 0
	s_sendmsg sendmsg(MSG_DEALLOC_VGPRS)
	s_endpgm
.LBB87_111:
	v_lshl_add_u32 v5, v0, 4, 0x180
	s_mov_b32 s0, exec_lo
	v_cmpx_eq_u32_e32 23, v0
	s_cbranch_execz .LBB87_113
; %bb.112:
	scratch_load_b128 v[1:4], off, s29
	v_mov_b32_e32 v6, 0
	s_delay_alu instid0(VALU_DEP_1)
	v_dual_mov_b32 v7, v6 :: v_dual_mov_b32 v8, v6
	v_mov_b32_e32 v9, v6
	scratch_store_b128 off, v[6:9], off offset:368
	s_wait_loadcnt 0x0
	ds_store_b128 v5, v[1:4]
.LBB87_113:
	s_wait_alu 0xfffe
	s_or_b32 exec_lo, exec_lo, s0
	s_wait_storecnt_dscnt 0x0
	s_barrier_signal -1
	s_barrier_wait -1
	global_inv scope:SCOPE_SE
	s_clause 0x1
	scratch_load_b128 v[6:9], off, off offset:384
	scratch_load_b128 v[61:64], off, off offset:368
	v_mov_b32_e32 v1, 0
	s_mov_b32 s0, exec_lo
	ds_load_b128 v[65:68], v1 offset:752
	s_wait_loadcnt_dscnt 0x100
	v_mul_f64_e32 v[2:3], v[67:68], v[8:9]
	v_mul_f64_e32 v[8:9], v[65:66], v[8:9]
	s_delay_alu instid0(VALU_DEP_2) | instskip(NEXT) | instid1(VALU_DEP_2)
	v_fma_f64 v[2:3], v[65:66], v[6:7], -v[2:3]
	v_fma_f64 v[6:7], v[67:68], v[6:7], v[8:9]
	s_delay_alu instid0(VALU_DEP_2) | instskip(NEXT) | instid1(VALU_DEP_2)
	v_add_f64_e32 v[2:3], 0, v[2:3]
	v_add_f64_e32 v[8:9], 0, v[6:7]
	s_wait_loadcnt 0x0
	s_delay_alu instid0(VALU_DEP_2) | instskip(NEXT) | instid1(VALU_DEP_2)
	v_add_f64_e64 v[6:7], v[61:62], -v[2:3]
	v_add_f64_e64 v[8:9], v[63:64], -v[8:9]
	scratch_store_b128 off, v[6:9], off offset:368
	v_cmpx_lt_u32_e32 21, v0
	s_cbranch_execz .LBB87_115
; %bb.114:
	scratch_load_b128 v[6:9], off, s17
	v_dual_mov_b32 v2, v1 :: v_dual_mov_b32 v3, v1
	v_mov_b32_e32 v4, v1
	scratch_store_b128 off, v[1:4], off offset:352
	s_wait_loadcnt 0x0
	ds_store_b128 v5, v[6:9]
.LBB87_115:
	s_wait_alu 0xfffe
	s_or_b32 exec_lo, exec_lo, s0
	s_wait_storecnt_dscnt 0x0
	s_barrier_signal -1
	s_barrier_wait -1
	global_inv scope:SCOPE_SE
	s_clause 0x2
	scratch_load_b128 v[6:9], off, off offset:368
	scratch_load_b128 v[61:64], off, off offset:384
	;; [unrolled: 1-line block ×3, first 2 shown]
	ds_load_b128 v[69:72], v1 offset:736
	ds_load_b128 v[1:4], v1 offset:752
	s_mov_b32 s0, exec_lo
	s_wait_loadcnt_dscnt 0x201
	v_mul_f64_e32 v[10:11], v[71:72], v[8:9]
	v_mul_f64_e32 v[8:9], v[69:70], v[8:9]
	s_wait_loadcnt_dscnt 0x100
	v_mul_f64_e32 v[73:74], v[1:2], v[63:64]
	v_mul_f64_e32 v[63:64], v[3:4], v[63:64]
	s_delay_alu instid0(VALU_DEP_4) | instskip(NEXT) | instid1(VALU_DEP_4)
	v_fma_f64 v[10:11], v[69:70], v[6:7], -v[10:11]
	v_fma_f64 v[6:7], v[71:72], v[6:7], v[8:9]
	s_delay_alu instid0(VALU_DEP_4) | instskip(NEXT) | instid1(VALU_DEP_4)
	v_fma_f64 v[3:4], v[3:4], v[61:62], v[73:74]
	v_fma_f64 v[1:2], v[1:2], v[61:62], -v[63:64]
	s_delay_alu instid0(VALU_DEP_4) | instskip(NEXT) | instid1(VALU_DEP_4)
	v_add_f64_e32 v[8:9], 0, v[10:11]
	v_add_f64_e32 v[6:7], 0, v[6:7]
	s_delay_alu instid0(VALU_DEP_2) | instskip(NEXT) | instid1(VALU_DEP_2)
	v_add_f64_e32 v[1:2], v[8:9], v[1:2]
	v_add_f64_e32 v[3:4], v[6:7], v[3:4]
	s_wait_loadcnt 0x0
	s_delay_alu instid0(VALU_DEP_2) | instskip(NEXT) | instid1(VALU_DEP_2)
	v_add_f64_e64 v[1:2], v[65:66], -v[1:2]
	v_add_f64_e64 v[3:4], v[67:68], -v[3:4]
	scratch_store_b128 off, v[1:4], off offset:352
	v_cmpx_lt_u32_e32 20, v0
	s_cbranch_execz .LBB87_117
; %bb.116:
	scratch_load_b128 v[1:4], off, s28
	v_mov_b32_e32 v6, 0
	s_delay_alu instid0(VALU_DEP_1)
	v_dual_mov_b32 v7, v6 :: v_dual_mov_b32 v8, v6
	v_mov_b32_e32 v9, v6
	scratch_store_b128 off, v[6:9], off offset:336
	s_wait_loadcnt 0x0
	ds_store_b128 v5, v[1:4]
.LBB87_117:
	s_wait_alu 0xfffe
	s_or_b32 exec_lo, exec_lo, s0
	s_wait_storecnt_dscnt 0x0
	s_barrier_signal -1
	s_barrier_wait -1
	global_inv scope:SCOPE_SE
	s_clause 0x3
	scratch_load_b128 v[6:9], off, off offset:352
	scratch_load_b128 v[61:64], off, off offset:368
	;; [unrolled: 1-line block ×4, first 2 shown]
	v_mov_b32_e32 v1, 0
	ds_load_b128 v[73:76], v1 offset:720
	ds_load_b128 v[77:80], v1 offset:736
	s_mov_b32 s0, exec_lo
	s_wait_loadcnt_dscnt 0x301
	v_mul_f64_e32 v[2:3], v[75:76], v[8:9]
	v_mul_f64_e32 v[8:9], v[73:74], v[8:9]
	s_wait_loadcnt_dscnt 0x200
	v_mul_f64_e32 v[10:11], v[77:78], v[63:64]
	v_mul_f64_e32 v[63:64], v[79:80], v[63:64]
	s_delay_alu instid0(VALU_DEP_4) | instskip(NEXT) | instid1(VALU_DEP_4)
	v_fma_f64 v[2:3], v[73:74], v[6:7], -v[2:3]
	v_fma_f64 v[73:74], v[75:76], v[6:7], v[8:9]
	ds_load_b128 v[6:9], v1 offset:752
	v_fma_f64 v[10:11], v[79:80], v[61:62], v[10:11]
	v_fma_f64 v[61:62], v[77:78], v[61:62], -v[63:64]
	s_wait_loadcnt_dscnt 0x100
	v_mul_f64_e32 v[75:76], v[6:7], v[67:68]
	v_mul_f64_e32 v[67:68], v[8:9], v[67:68]
	v_add_f64_e32 v[2:3], 0, v[2:3]
	v_add_f64_e32 v[63:64], 0, v[73:74]
	s_delay_alu instid0(VALU_DEP_4) | instskip(NEXT) | instid1(VALU_DEP_4)
	v_fma_f64 v[8:9], v[8:9], v[65:66], v[75:76]
	v_fma_f64 v[6:7], v[6:7], v[65:66], -v[67:68]
	s_delay_alu instid0(VALU_DEP_4) | instskip(NEXT) | instid1(VALU_DEP_4)
	v_add_f64_e32 v[2:3], v[2:3], v[61:62]
	v_add_f64_e32 v[10:11], v[63:64], v[10:11]
	s_delay_alu instid0(VALU_DEP_2) | instskip(NEXT) | instid1(VALU_DEP_2)
	v_add_f64_e32 v[2:3], v[2:3], v[6:7]
	v_add_f64_e32 v[8:9], v[10:11], v[8:9]
	s_wait_loadcnt 0x0
	s_delay_alu instid0(VALU_DEP_2) | instskip(NEXT) | instid1(VALU_DEP_2)
	v_add_f64_e64 v[6:7], v[69:70], -v[2:3]
	v_add_f64_e64 v[8:9], v[71:72], -v[8:9]
	scratch_store_b128 off, v[6:9], off offset:336
	v_cmpx_lt_u32_e32 19, v0
	s_cbranch_execz .LBB87_119
; %bb.118:
	scratch_load_b128 v[6:9], off, s16
	v_dual_mov_b32 v2, v1 :: v_dual_mov_b32 v3, v1
	v_mov_b32_e32 v4, v1
	scratch_store_b128 off, v[1:4], off offset:320
	s_wait_loadcnt 0x0
	ds_store_b128 v5, v[6:9]
.LBB87_119:
	s_wait_alu 0xfffe
	s_or_b32 exec_lo, exec_lo, s0
	s_wait_storecnt_dscnt 0x0
	s_barrier_signal -1
	s_barrier_wait -1
	global_inv scope:SCOPE_SE
	s_clause 0x4
	scratch_load_b128 v[6:9], off, off offset:336
	scratch_load_b128 v[61:64], off, off offset:352
	;; [unrolled: 1-line block ×5, first 2 shown]
	ds_load_b128 v[77:80], v1 offset:704
	ds_load_b128 v[81:84], v1 offset:720
	s_mov_b32 s0, exec_lo
	s_wait_loadcnt_dscnt 0x401
	v_mul_f64_e32 v[2:3], v[79:80], v[8:9]
	v_mul_f64_e32 v[8:9], v[77:78], v[8:9]
	s_wait_loadcnt_dscnt 0x300
	v_mul_f64_e32 v[10:11], v[81:82], v[63:64]
	v_mul_f64_e32 v[63:64], v[83:84], v[63:64]
	s_delay_alu instid0(VALU_DEP_4) | instskip(NEXT) | instid1(VALU_DEP_4)
	v_fma_f64 v[77:78], v[77:78], v[6:7], -v[2:3]
	v_fma_f64 v[79:80], v[79:80], v[6:7], v[8:9]
	ds_load_b128 v[6:9], v1 offset:736
	ds_load_b128 v[1:4], v1 offset:752
	v_fma_f64 v[10:11], v[83:84], v[61:62], v[10:11]
	v_fma_f64 v[61:62], v[81:82], v[61:62], -v[63:64]
	s_wait_loadcnt_dscnt 0x201
	v_mul_f64_e32 v[85:86], v[6:7], v[67:68]
	v_mul_f64_e32 v[67:68], v[8:9], v[67:68]
	v_add_f64_e32 v[63:64], 0, v[77:78]
	v_add_f64_e32 v[77:78], 0, v[79:80]
	s_wait_loadcnt_dscnt 0x100
	v_mul_f64_e32 v[79:80], v[1:2], v[71:72]
	v_mul_f64_e32 v[71:72], v[3:4], v[71:72]
	v_fma_f64 v[8:9], v[8:9], v[65:66], v[85:86]
	v_fma_f64 v[6:7], v[6:7], v[65:66], -v[67:68]
	v_add_f64_e32 v[61:62], v[63:64], v[61:62]
	v_add_f64_e32 v[10:11], v[77:78], v[10:11]
	v_fma_f64 v[3:4], v[3:4], v[69:70], v[79:80]
	v_fma_f64 v[1:2], v[1:2], v[69:70], -v[71:72]
	s_delay_alu instid0(VALU_DEP_4) | instskip(NEXT) | instid1(VALU_DEP_4)
	v_add_f64_e32 v[6:7], v[61:62], v[6:7]
	v_add_f64_e32 v[8:9], v[10:11], v[8:9]
	s_delay_alu instid0(VALU_DEP_2) | instskip(NEXT) | instid1(VALU_DEP_2)
	v_add_f64_e32 v[1:2], v[6:7], v[1:2]
	v_add_f64_e32 v[3:4], v[8:9], v[3:4]
	s_wait_loadcnt 0x0
	s_delay_alu instid0(VALU_DEP_2) | instskip(NEXT) | instid1(VALU_DEP_2)
	v_add_f64_e64 v[1:2], v[73:74], -v[1:2]
	v_add_f64_e64 v[3:4], v[75:76], -v[3:4]
	scratch_store_b128 off, v[1:4], off offset:320
	v_cmpx_lt_u32_e32 18, v0
	s_cbranch_execz .LBB87_121
; %bb.120:
	scratch_load_b128 v[1:4], off, s27
	v_mov_b32_e32 v6, 0
	s_delay_alu instid0(VALU_DEP_1)
	v_dual_mov_b32 v7, v6 :: v_dual_mov_b32 v8, v6
	v_mov_b32_e32 v9, v6
	scratch_store_b128 off, v[6:9], off offset:304
	s_wait_loadcnt 0x0
	ds_store_b128 v5, v[1:4]
.LBB87_121:
	s_wait_alu 0xfffe
	s_or_b32 exec_lo, exec_lo, s0
	s_wait_storecnt_dscnt 0x0
	s_barrier_signal -1
	s_barrier_wait -1
	global_inv scope:SCOPE_SE
	s_clause 0x5
	scratch_load_b128 v[6:9], off, off offset:320
	scratch_load_b128 v[61:64], off, off offset:336
	;; [unrolled: 1-line block ×6, first 2 shown]
	v_mov_b32_e32 v1, 0
	ds_load_b128 v[81:84], v1 offset:688
	ds_load_b128 v[85:88], v1 offset:704
	s_mov_b32 s0, exec_lo
	s_wait_loadcnt_dscnt 0x501
	v_mul_f64_e32 v[2:3], v[83:84], v[8:9]
	v_mul_f64_e32 v[8:9], v[81:82], v[8:9]
	s_wait_loadcnt_dscnt 0x400
	v_mul_f64_e32 v[10:11], v[85:86], v[63:64]
	v_mul_f64_e32 v[63:64], v[87:88], v[63:64]
	s_delay_alu instid0(VALU_DEP_4) | instskip(NEXT) | instid1(VALU_DEP_4)
	v_fma_f64 v[2:3], v[81:82], v[6:7], -v[2:3]
	v_fma_f64 v[89:90], v[83:84], v[6:7], v[8:9]
	ds_load_b128 v[6:9], v1 offset:720
	ds_load_b128 v[81:84], v1 offset:736
	v_fma_f64 v[10:11], v[87:88], v[61:62], v[10:11]
	v_fma_f64 v[61:62], v[85:86], v[61:62], -v[63:64]
	s_wait_loadcnt_dscnt 0x301
	v_mul_f64_e32 v[91:92], v[6:7], v[67:68]
	v_mul_f64_e32 v[67:68], v[8:9], v[67:68]
	s_wait_loadcnt_dscnt 0x200
	v_mul_f64_e32 v[85:86], v[81:82], v[71:72]
	v_mul_f64_e32 v[71:72], v[83:84], v[71:72]
	v_add_f64_e32 v[2:3], 0, v[2:3]
	v_add_f64_e32 v[63:64], 0, v[89:90]
	v_fma_f64 v[87:88], v[8:9], v[65:66], v[91:92]
	v_fma_f64 v[65:66], v[6:7], v[65:66], -v[67:68]
	ds_load_b128 v[6:9], v1 offset:752
	v_fma_f64 v[67:68], v[83:84], v[69:70], v[85:86]
	v_fma_f64 v[69:70], v[81:82], v[69:70], -v[71:72]
	v_add_f64_e32 v[2:3], v[2:3], v[61:62]
	v_add_f64_e32 v[10:11], v[63:64], v[10:11]
	s_wait_loadcnt_dscnt 0x100
	v_mul_f64_e32 v[61:62], v[6:7], v[75:76]
	v_mul_f64_e32 v[63:64], v[8:9], v[75:76]
	s_delay_alu instid0(VALU_DEP_4) | instskip(NEXT) | instid1(VALU_DEP_4)
	v_add_f64_e32 v[2:3], v[2:3], v[65:66]
	v_add_f64_e32 v[10:11], v[10:11], v[87:88]
	s_delay_alu instid0(VALU_DEP_4) | instskip(NEXT) | instid1(VALU_DEP_4)
	v_fma_f64 v[8:9], v[8:9], v[73:74], v[61:62]
	v_fma_f64 v[6:7], v[6:7], v[73:74], -v[63:64]
	s_delay_alu instid0(VALU_DEP_4) | instskip(NEXT) | instid1(VALU_DEP_4)
	v_add_f64_e32 v[2:3], v[2:3], v[69:70]
	v_add_f64_e32 v[10:11], v[10:11], v[67:68]
	s_delay_alu instid0(VALU_DEP_2) | instskip(NEXT) | instid1(VALU_DEP_2)
	v_add_f64_e32 v[2:3], v[2:3], v[6:7]
	v_add_f64_e32 v[8:9], v[10:11], v[8:9]
	s_wait_loadcnt 0x0
	s_delay_alu instid0(VALU_DEP_2) | instskip(NEXT) | instid1(VALU_DEP_2)
	v_add_f64_e64 v[6:7], v[77:78], -v[2:3]
	v_add_f64_e64 v[8:9], v[79:80], -v[8:9]
	scratch_store_b128 off, v[6:9], off offset:304
	v_cmpx_lt_u32_e32 17, v0
	s_cbranch_execz .LBB87_123
; %bb.122:
	scratch_load_b128 v[6:9], off, s15
	v_dual_mov_b32 v2, v1 :: v_dual_mov_b32 v3, v1
	v_mov_b32_e32 v4, v1
	scratch_store_b128 off, v[1:4], off offset:288
	s_wait_loadcnt 0x0
	ds_store_b128 v5, v[6:9]
.LBB87_123:
	s_wait_alu 0xfffe
	s_or_b32 exec_lo, exec_lo, s0
	s_wait_storecnt_dscnt 0x0
	s_barrier_signal -1
	s_barrier_wait -1
	global_inv scope:SCOPE_SE
	s_clause 0x5
	scratch_load_b128 v[6:9], off, off offset:304
	scratch_load_b128 v[61:64], off, off offset:320
	;; [unrolled: 1-line block ×6, first 2 shown]
	ds_load_b128 v[81:84], v1 offset:672
	ds_load_b128 v[89:92], v1 offset:688
	scratch_load_b128 v[85:88], off, off offset:288
	s_mov_b32 s0, exec_lo
	s_wait_loadcnt_dscnt 0x601
	v_mul_f64_e32 v[2:3], v[83:84], v[8:9]
	v_mul_f64_e32 v[8:9], v[81:82], v[8:9]
	s_wait_loadcnt_dscnt 0x500
	v_mul_f64_e32 v[10:11], v[89:90], v[63:64]
	v_mul_f64_e32 v[63:64], v[91:92], v[63:64]
	s_delay_alu instid0(VALU_DEP_4) | instskip(NEXT) | instid1(VALU_DEP_4)
	v_fma_f64 v[2:3], v[81:82], v[6:7], -v[2:3]
	v_fma_f64 v[93:94], v[83:84], v[6:7], v[8:9]
	ds_load_b128 v[6:9], v1 offset:704
	ds_load_b128 v[81:84], v1 offset:720
	v_fma_f64 v[10:11], v[91:92], v[61:62], v[10:11]
	v_fma_f64 v[61:62], v[89:90], v[61:62], -v[63:64]
	s_wait_loadcnt_dscnt 0x401
	v_mul_f64_e32 v[95:96], v[6:7], v[67:68]
	v_mul_f64_e32 v[67:68], v[8:9], v[67:68]
	s_wait_loadcnt_dscnt 0x300
	v_mul_f64_e32 v[89:90], v[81:82], v[71:72]
	v_mul_f64_e32 v[71:72], v[83:84], v[71:72]
	v_add_f64_e32 v[2:3], 0, v[2:3]
	v_add_f64_e32 v[63:64], 0, v[93:94]
	v_fma_f64 v[91:92], v[8:9], v[65:66], v[95:96]
	v_fma_f64 v[65:66], v[6:7], v[65:66], -v[67:68]
	s_delay_alu instid0(VALU_DEP_4) | instskip(NEXT) | instid1(VALU_DEP_4)
	v_add_f64_e32 v[61:62], v[2:3], v[61:62]
	v_add_f64_e32 v[10:11], v[63:64], v[10:11]
	ds_load_b128 v[6:9], v1 offset:736
	ds_load_b128 v[1:4], v1 offset:752
	s_wait_loadcnt_dscnt 0x201
	v_mul_f64_e32 v[63:64], v[6:7], v[75:76]
	v_mul_f64_e32 v[67:68], v[8:9], v[75:76]
	v_fma_f64 v[75:76], v[83:84], v[69:70], v[89:90]
	v_fma_f64 v[69:70], v[81:82], v[69:70], -v[71:72]
	s_wait_loadcnt_dscnt 0x100
	v_mul_f64_e32 v[71:72], v[3:4], v[79:80]
	v_add_f64_e32 v[61:62], v[61:62], v[65:66]
	v_add_f64_e32 v[10:11], v[10:11], v[91:92]
	v_mul_f64_e32 v[65:66], v[1:2], v[79:80]
	v_fma_f64 v[8:9], v[8:9], v[73:74], v[63:64]
	v_fma_f64 v[6:7], v[6:7], v[73:74], -v[67:68]
	v_fma_f64 v[1:2], v[1:2], v[77:78], -v[71:72]
	v_add_f64_e32 v[61:62], v[61:62], v[69:70]
	v_add_f64_e32 v[10:11], v[10:11], v[75:76]
	v_fma_f64 v[3:4], v[3:4], v[77:78], v[65:66]
	s_delay_alu instid0(VALU_DEP_3) | instskip(NEXT) | instid1(VALU_DEP_3)
	v_add_f64_e32 v[6:7], v[61:62], v[6:7]
	v_add_f64_e32 v[8:9], v[10:11], v[8:9]
	s_delay_alu instid0(VALU_DEP_2) | instskip(NEXT) | instid1(VALU_DEP_2)
	v_add_f64_e32 v[1:2], v[6:7], v[1:2]
	v_add_f64_e32 v[3:4], v[8:9], v[3:4]
	s_wait_loadcnt 0x0
	s_delay_alu instid0(VALU_DEP_2) | instskip(NEXT) | instid1(VALU_DEP_2)
	v_add_f64_e64 v[1:2], v[85:86], -v[1:2]
	v_add_f64_e64 v[3:4], v[87:88], -v[3:4]
	scratch_store_b128 off, v[1:4], off offset:288
	v_cmpx_lt_u32_e32 16, v0
	s_cbranch_execz .LBB87_125
; %bb.124:
	scratch_load_b128 v[1:4], off, s26
	v_mov_b32_e32 v6, 0
	s_delay_alu instid0(VALU_DEP_1)
	v_dual_mov_b32 v7, v6 :: v_dual_mov_b32 v8, v6
	v_mov_b32_e32 v9, v6
	scratch_store_b128 off, v[6:9], off offset:272
	s_wait_loadcnt 0x0
	ds_store_b128 v5, v[1:4]
.LBB87_125:
	s_wait_alu 0xfffe
	s_or_b32 exec_lo, exec_lo, s0
	s_wait_storecnt_dscnt 0x0
	s_barrier_signal -1
	s_barrier_wait -1
	global_inv scope:SCOPE_SE
	s_clause 0x6
	scratch_load_b128 v[6:9], off, off offset:288
	scratch_load_b128 v[61:64], off, off offset:304
	;; [unrolled: 1-line block ×7, first 2 shown]
	v_mov_b32_e32 v1, 0
	scratch_load_b128 v[89:92], off, off offset:272
	s_mov_b32 s0, exec_lo
	ds_load_b128 v[85:88], v1 offset:656
	ds_load_b128 v[93:96], v1 offset:672
	s_wait_loadcnt_dscnt 0x701
	v_mul_f64_e32 v[2:3], v[87:88], v[8:9]
	v_mul_f64_e32 v[8:9], v[85:86], v[8:9]
	s_wait_loadcnt_dscnt 0x600
	v_mul_f64_e32 v[10:11], v[93:94], v[63:64]
	v_mul_f64_e32 v[63:64], v[95:96], v[63:64]
	s_delay_alu instid0(VALU_DEP_4) | instskip(NEXT) | instid1(VALU_DEP_4)
	v_fma_f64 v[2:3], v[85:86], v[6:7], -v[2:3]
	v_fma_f64 v[97:98], v[87:88], v[6:7], v[8:9]
	ds_load_b128 v[6:9], v1 offset:688
	ds_load_b128 v[85:88], v1 offset:704
	v_fma_f64 v[10:11], v[95:96], v[61:62], v[10:11]
	v_fma_f64 v[61:62], v[93:94], v[61:62], -v[63:64]
	s_wait_loadcnt_dscnt 0x501
	v_mul_f64_e32 v[99:100], v[6:7], v[67:68]
	v_mul_f64_e32 v[67:68], v[8:9], v[67:68]
	s_wait_loadcnt_dscnt 0x400
	v_mul_f64_e32 v[93:94], v[85:86], v[71:72]
	v_mul_f64_e32 v[71:72], v[87:88], v[71:72]
	v_add_f64_e32 v[2:3], 0, v[2:3]
	v_add_f64_e32 v[63:64], 0, v[97:98]
	v_fma_f64 v[95:96], v[8:9], v[65:66], v[99:100]
	v_fma_f64 v[65:66], v[6:7], v[65:66], -v[67:68]
	v_fma_f64 v[87:88], v[87:88], v[69:70], v[93:94]
	v_fma_f64 v[69:70], v[85:86], v[69:70], -v[71:72]
	v_add_f64_e32 v[2:3], v[2:3], v[61:62]
	v_add_f64_e32 v[10:11], v[63:64], v[10:11]
	ds_load_b128 v[6:9], v1 offset:720
	ds_load_b128 v[61:64], v1 offset:736
	s_wait_loadcnt_dscnt 0x301
	v_mul_f64_e32 v[67:68], v[6:7], v[75:76]
	v_mul_f64_e32 v[75:76], v[8:9], v[75:76]
	s_wait_loadcnt_dscnt 0x200
	v_mul_f64_e32 v[71:72], v[63:64], v[79:80]
	v_add_f64_e32 v[2:3], v[2:3], v[65:66]
	v_add_f64_e32 v[10:11], v[10:11], v[95:96]
	v_mul_f64_e32 v[65:66], v[61:62], v[79:80]
	v_fma_f64 v[67:68], v[8:9], v[73:74], v[67:68]
	v_fma_f64 v[73:74], v[6:7], v[73:74], -v[75:76]
	ds_load_b128 v[6:9], v1 offset:752
	v_fma_f64 v[61:62], v[61:62], v[77:78], -v[71:72]
	v_add_f64_e32 v[2:3], v[2:3], v[69:70]
	v_add_f64_e32 v[10:11], v[10:11], v[87:88]
	v_fma_f64 v[63:64], v[63:64], v[77:78], v[65:66]
	s_wait_loadcnt_dscnt 0x100
	v_mul_f64_e32 v[69:70], v[6:7], v[83:84]
	v_mul_f64_e32 v[75:76], v[8:9], v[83:84]
	v_add_f64_e32 v[2:3], v[2:3], v[73:74]
	v_add_f64_e32 v[10:11], v[10:11], v[67:68]
	s_delay_alu instid0(VALU_DEP_4) | instskip(NEXT) | instid1(VALU_DEP_4)
	v_fma_f64 v[8:9], v[8:9], v[81:82], v[69:70]
	v_fma_f64 v[6:7], v[6:7], v[81:82], -v[75:76]
	s_delay_alu instid0(VALU_DEP_4) | instskip(NEXT) | instid1(VALU_DEP_4)
	v_add_f64_e32 v[2:3], v[2:3], v[61:62]
	v_add_f64_e32 v[10:11], v[10:11], v[63:64]
	s_delay_alu instid0(VALU_DEP_2) | instskip(NEXT) | instid1(VALU_DEP_2)
	v_add_f64_e32 v[2:3], v[2:3], v[6:7]
	v_add_f64_e32 v[8:9], v[10:11], v[8:9]
	s_wait_loadcnt 0x0
	s_delay_alu instid0(VALU_DEP_2) | instskip(NEXT) | instid1(VALU_DEP_2)
	v_add_f64_e64 v[6:7], v[89:90], -v[2:3]
	v_add_f64_e64 v[8:9], v[91:92], -v[8:9]
	scratch_store_b128 off, v[6:9], off offset:272
	v_cmpx_lt_u32_e32 15, v0
	s_cbranch_execz .LBB87_127
; %bb.126:
	scratch_load_b128 v[6:9], off, s14
	v_dual_mov_b32 v2, v1 :: v_dual_mov_b32 v3, v1
	v_mov_b32_e32 v4, v1
	scratch_store_b128 off, v[1:4], off offset:256
	s_wait_loadcnt 0x0
	ds_store_b128 v5, v[6:9]
.LBB87_127:
	s_wait_alu 0xfffe
	s_or_b32 exec_lo, exec_lo, s0
	s_wait_storecnt_dscnt 0x0
	s_barrier_signal -1
	s_barrier_wait -1
	global_inv scope:SCOPE_SE
	s_clause 0x7
	scratch_load_b128 v[6:9], off, off offset:272
	scratch_load_b128 v[61:64], off, off offset:288
	;; [unrolled: 1-line block ×8, first 2 shown]
	ds_load_b128 v[89:92], v1 offset:640
	ds_load_b128 v[93:96], v1 offset:656
	scratch_load_b128 v[97:100], off, off offset:256
	s_mov_b32 s0, exec_lo
	s_wait_loadcnt_dscnt 0x801
	v_mul_f64_e32 v[2:3], v[91:92], v[8:9]
	v_mul_f64_e32 v[8:9], v[89:90], v[8:9]
	s_wait_loadcnt_dscnt 0x700
	v_mul_f64_e32 v[10:11], v[93:94], v[63:64]
	v_mul_f64_e32 v[63:64], v[95:96], v[63:64]
	s_delay_alu instid0(VALU_DEP_4) | instskip(NEXT) | instid1(VALU_DEP_4)
	v_fma_f64 v[2:3], v[89:90], v[6:7], -v[2:3]
	v_fma_f64 v[101:102], v[91:92], v[6:7], v[8:9]
	ds_load_b128 v[6:9], v1 offset:672
	ds_load_b128 v[89:92], v1 offset:688
	v_fma_f64 v[10:11], v[95:96], v[61:62], v[10:11]
	v_fma_f64 v[61:62], v[93:94], v[61:62], -v[63:64]
	s_wait_loadcnt_dscnt 0x601
	v_mul_f64_e32 v[103:104], v[6:7], v[67:68]
	v_mul_f64_e32 v[67:68], v[8:9], v[67:68]
	s_wait_loadcnt_dscnt 0x500
	v_mul_f64_e32 v[93:94], v[89:90], v[71:72]
	v_mul_f64_e32 v[71:72], v[91:92], v[71:72]
	v_add_f64_e32 v[2:3], 0, v[2:3]
	v_add_f64_e32 v[63:64], 0, v[101:102]
	v_fma_f64 v[95:96], v[8:9], v[65:66], v[103:104]
	v_fma_f64 v[65:66], v[6:7], v[65:66], -v[67:68]
	v_fma_f64 v[91:92], v[91:92], v[69:70], v[93:94]
	v_fma_f64 v[69:70], v[89:90], v[69:70], -v[71:72]
	v_add_f64_e32 v[2:3], v[2:3], v[61:62]
	v_add_f64_e32 v[10:11], v[63:64], v[10:11]
	ds_load_b128 v[6:9], v1 offset:704
	ds_load_b128 v[61:64], v1 offset:720
	s_wait_loadcnt_dscnt 0x401
	v_mul_f64_e32 v[67:68], v[6:7], v[75:76]
	v_mul_f64_e32 v[75:76], v[8:9], v[75:76]
	s_wait_loadcnt_dscnt 0x300
	v_mul_f64_e32 v[71:72], v[63:64], v[79:80]
	v_add_f64_e32 v[2:3], v[2:3], v[65:66]
	v_add_f64_e32 v[10:11], v[10:11], v[95:96]
	v_mul_f64_e32 v[65:66], v[61:62], v[79:80]
	v_fma_f64 v[67:68], v[8:9], v[73:74], v[67:68]
	v_fma_f64 v[73:74], v[6:7], v[73:74], -v[75:76]
	v_fma_f64 v[61:62], v[61:62], v[77:78], -v[71:72]
	v_add_f64_e32 v[69:70], v[2:3], v[69:70]
	v_add_f64_e32 v[10:11], v[10:11], v[91:92]
	ds_load_b128 v[6:9], v1 offset:736
	ds_load_b128 v[1:4], v1 offset:752
	v_fma_f64 v[63:64], v[63:64], v[77:78], v[65:66]
	s_wait_loadcnt_dscnt 0x201
	v_mul_f64_e32 v[75:76], v[6:7], v[83:84]
	v_mul_f64_e32 v[79:80], v[8:9], v[83:84]
	v_add_f64_e32 v[65:66], v[69:70], v[73:74]
	v_add_f64_e32 v[10:11], v[10:11], v[67:68]
	s_wait_loadcnt_dscnt 0x100
	v_mul_f64_e32 v[67:68], v[1:2], v[87:88]
	v_mul_f64_e32 v[69:70], v[3:4], v[87:88]
	v_fma_f64 v[8:9], v[8:9], v[81:82], v[75:76]
	v_fma_f64 v[6:7], v[6:7], v[81:82], -v[79:80]
	v_add_f64_e32 v[61:62], v[65:66], v[61:62]
	v_add_f64_e32 v[10:11], v[10:11], v[63:64]
	v_fma_f64 v[3:4], v[3:4], v[85:86], v[67:68]
	v_fma_f64 v[1:2], v[1:2], v[85:86], -v[69:70]
	s_delay_alu instid0(VALU_DEP_4) | instskip(NEXT) | instid1(VALU_DEP_4)
	v_add_f64_e32 v[6:7], v[61:62], v[6:7]
	v_add_f64_e32 v[8:9], v[10:11], v[8:9]
	s_delay_alu instid0(VALU_DEP_2) | instskip(NEXT) | instid1(VALU_DEP_2)
	v_add_f64_e32 v[1:2], v[6:7], v[1:2]
	v_add_f64_e32 v[3:4], v[8:9], v[3:4]
	s_wait_loadcnt 0x0
	s_delay_alu instid0(VALU_DEP_2) | instskip(NEXT) | instid1(VALU_DEP_2)
	v_add_f64_e64 v[1:2], v[97:98], -v[1:2]
	v_add_f64_e64 v[3:4], v[99:100], -v[3:4]
	scratch_store_b128 off, v[1:4], off offset:256
	v_cmpx_lt_u32_e32 14, v0
	s_cbranch_execz .LBB87_129
; %bb.128:
	scratch_load_b128 v[1:4], off, s25
	v_mov_b32_e32 v6, 0
	s_delay_alu instid0(VALU_DEP_1)
	v_dual_mov_b32 v7, v6 :: v_dual_mov_b32 v8, v6
	v_mov_b32_e32 v9, v6
	scratch_store_b128 off, v[6:9], off offset:240
	s_wait_loadcnt 0x0
	ds_store_b128 v5, v[1:4]
.LBB87_129:
	s_wait_alu 0xfffe
	s_or_b32 exec_lo, exec_lo, s0
	s_wait_storecnt_dscnt 0x0
	s_barrier_signal -1
	s_barrier_wait -1
	global_inv scope:SCOPE_SE
	s_clause 0x7
	scratch_load_b128 v[6:9], off, off offset:256
	scratch_load_b128 v[61:64], off, off offset:272
	;; [unrolled: 1-line block ×8, first 2 shown]
	v_mov_b32_e32 v1, 0
	s_mov_b32 s0, exec_lo
	ds_load_b128 v[89:92], v1 offset:624
	s_clause 0x1
	scratch_load_b128 v[93:96], off, off offset:384
	scratch_load_b128 v[97:100], off, off offset:240
	ds_load_b128 v[101:104], v1 offset:640
	s_wait_loadcnt_dscnt 0x901
	v_mul_f64_e32 v[2:3], v[91:92], v[8:9]
	v_mul_f64_e32 v[8:9], v[89:90], v[8:9]
	s_wait_loadcnt_dscnt 0x800
	v_mul_f64_e32 v[10:11], v[101:102], v[63:64]
	v_mul_f64_e32 v[63:64], v[103:104], v[63:64]
	s_delay_alu instid0(VALU_DEP_4) | instskip(NEXT) | instid1(VALU_DEP_4)
	v_fma_f64 v[2:3], v[89:90], v[6:7], -v[2:3]
	v_fma_f64 v[105:106], v[91:92], v[6:7], v[8:9]
	ds_load_b128 v[6:9], v1 offset:656
	ds_load_b128 v[89:92], v1 offset:672
	v_fma_f64 v[10:11], v[103:104], v[61:62], v[10:11]
	v_fma_f64 v[61:62], v[101:102], v[61:62], -v[63:64]
	s_wait_loadcnt_dscnt 0x701
	v_mul_f64_e32 v[107:108], v[6:7], v[67:68]
	v_mul_f64_e32 v[67:68], v[8:9], v[67:68]
	s_wait_loadcnt_dscnt 0x600
	v_mul_f64_e32 v[101:102], v[89:90], v[71:72]
	v_mul_f64_e32 v[71:72], v[91:92], v[71:72]
	v_add_f64_e32 v[2:3], 0, v[2:3]
	v_add_f64_e32 v[63:64], 0, v[105:106]
	v_fma_f64 v[103:104], v[8:9], v[65:66], v[107:108]
	v_fma_f64 v[65:66], v[6:7], v[65:66], -v[67:68]
	v_fma_f64 v[91:92], v[91:92], v[69:70], v[101:102]
	v_fma_f64 v[69:70], v[89:90], v[69:70], -v[71:72]
	v_add_f64_e32 v[2:3], v[2:3], v[61:62]
	v_add_f64_e32 v[10:11], v[63:64], v[10:11]
	ds_load_b128 v[6:9], v1 offset:688
	ds_load_b128 v[61:64], v1 offset:704
	s_wait_loadcnt_dscnt 0x501
	v_mul_f64_e32 v[67:68], v[6:7], v[75:76]
	v_mul_f64_e32 v[75:76], v[8:9], v[75:76]
	s_wait_loadcnt_dscnt 0x400
	v_mul_f64_e32 v[71:72], v[61:62], v[79:80]
	v_mul_f64_e32 v[79:80], v[63:64], v[79:80]
	v_add_f64_e32 v[2:3], v[2:3], v[65:66]
	v_add_f64_e32 v[10:11], v[10:11], v[103:104]
	v_fma_f64 v[89:90], v[8:9], v[73:74], v[67:68]
	v_fma_f64 v[73:74], v[6:7], v[73:74], -v[75:76]
	ds_load_b128 v[6:9], v1 offset:720
	ds_load_b128 v[65:68], v1 offset:736
	v_fma_f64 v[63:64], v[63:64], v[77:78], v[71:72]
	v_fma_f64 v[61:62], v[61:62], v[77:78], -v[79:80]
	v_add_f64_e32 v[2:3], v[2:3], v[69:70]
	v_add_f64_e32 v[10:11], v[10:11], v[91:92]
	s_wait_loadcnt_dscnt 0x301
	v_mul_f64_e32 v[69:70], v[6:7], v[83:84]
	v_mul_f64_e32 v[75:76], v[8:9], v[83:84]
	s_wait_loadcnt_dscnt 0x200
	v_mul_f64_e32 v[71:72], v[65:66], v[87:88]
	v_add_f64_e32 v[2:3], v[2:3], v[73:74]
	v_add_f64_e32 v[10:11], v[10:11], v[89:90]
	v_mul_f64_e32 v[73:74], v[67:68], v[87:88]
	v_fma_f64 v[69:70], v[8:9], v[81:82], v[69:70]
	v_fma_f64 v[75:76], v[6:7], v[81:82], -v[75:76]
	ds_load_b128 v[6:9], v1 offset:752
	v_fma_f64 v[67:68], v[67:68], v[85:86], v[71:72]
	v_add_f64_e32 v[2:3], v[2:3], v[61:62]
	v_add_f64_e32 v[10:11], v[10:11], v[63:64]
	s_wait_loadcnt_dscnt 0x100
	v_mul_f64_e32 v[61:62], v[6:7], v[95:96]
	v_mul_f64_e32 v[63:64], v[8:9], v[95:96]
	v_fma_f64 v[65:66], v[65:66], v[85:86], -v[73:74]
	v_add_f64_e32 v[2:3], v[2:3], v[75:76]
	v_add_f64_e32 v[10:11], v[10:11], v[69:70]
	v_fma_f64 v[8:9], v[8:9], v[93:94], v[61:62]
	v_fma_f64 v[6:7], v[6:7], v[93:94], -v[63:64]
	s_delay_alu instid0(VALU_DEP_4) | instskip(NEXT) | instid1(VALU_DEP_4)
	v_add_f64_e32 v[2:3], v[2:3], v[65:66]
	v_add_f64_e32 v[10:11], v[10:11], v[67:68]
	s_delay_alu instid0(VALU_DEP_2) | instskip(NEXT) | instid1(VALU_DEP_2)
	v_add_f64_e32 v[2:3], v[2:3], v[6:7]
	v_add_f64_e32 v[8:9], v[10:11], v[8:9]
	s_wait_loadcnt 0x0
	s_delay_alu instid0(VALU_DEP_2) | instskip(NEXT) | instid1(VALU_DEP_2)
	v_add_f64_e64 v[6:7], v[97:98], -v[2:3]
	v_add_f64_e64 v[8:9], v[99:100], -v[8:9]
	scratch_store_b128 off, v[6:9], off offset:240
	v_cmpx_lt_u32_e32 13, v0
	s_cbranch_execz .LBB87_131
; %bb.130:
	scratch_load_b128 v[6:9], off, s13
	v_dual_mov_b32 v2, v1 :: v_dual_mov_b32 v3, v1
	v_mov_b32_e32 v4, v1
	scratch_store_b128 off, v[1:4], off offset:224
	s_wait_loadcnt 0x0
	ds_store_b128 v5, v[6:9]
.LBB87_131:
	s_wait_alu 0xfffe
	s_or_b32 exec_lo, exec_lo, s0
	s_wait_storecnt_dscnt 0x0
	s_barrier_signal -1
	s_barrier_wait -1
	global_inv scope:SCOPE_SE
	s_clause 0x8
	scratch_load_b128 v[6:9], off, off offset:240
	scratch_load_b128 v[61:64], off, off offset:256
	scratch_load_b128 v[65:68], off, off offset:272
	scratch_load_b128 v[69:72], off, off offset:288
	scratch_load_b128 v[73:76], off, off offset:304
	scratch_load_b128 v[77:80], off, off offset:320
	scratch_load_b128 v[81:84], off, off offset:336
	scratch_load_b128 v[85:88], off, off offset:352
	scratch_load_b128 v[89:92], off, off offset:368
	ds_load_b128 v[93:96], v1 offset:608
	ds_load_b128 v[97:100], v1 offset:624
	scratch_load_b128 v[101:104], off, off offset:224
	s_mov_b32 s0, exec_lo
	s_wait_loadcnt_dscnt 0x901
	v_mul_f64_e32 v[2:3], v[95:96], v[8:9]
	v_mul_f64_e32 v[105:106], v[93:94], v[8:9]
	scratch_load_b128 v[8:11], off, off offset:384
	s_wait_loadcnt_dscnt 0x900
	v_mul_f64_e32 v[109:110], v[97:98], v[63:64]
	v_mul_f64_e32 v[63:64], v[99:100], v[63:64]
	v_fma_f64 v[2:3], v[93:94], v[6:7], -v[2:3]
	v_fma_f64 v[6:7], v[95:96], v[6:7], v[105:106]
	ds_load_b128 v[93:96], v1 offset:640
	ds_load_b128 v[105:108], v1 offset:656
	v_fma_f64 v[99:100], v[99:100], v[61:62], v[109:110]
	v_fma_f64 v[61:62], v[97:98], v[61:62], -v[63:64]
	s_wait_loadcnt_dscnt 0x801
	v_mul_f64_e32 v[111:112], v[93:94], v[67:68]
	v_mul_f64_e32 v[67:68], v[95:96], v[67:68]
	s_wait_loadcnt_dscnt 0x700
	v_mul_f64_e32 v[97:98], v[105:106], v[71:72]
	v_mul_f64_e32 v[71:72], v[107:108], v[71:72]
	v_add_f64_e32 v[2:3], 0, v[2:3]
	v_add_f64_e32 v[6:7], 0, v[6:7]
	v_fma_f64 v[95:96], v[95:96], v[65:66], v[111:112]
	v_fma_f64 v[93:94], v[93:94], v[65:66], -v[67:68]
	v_fma_f64 v[97:98], v[107:108], v[69:70], v[97:98]
	v_fma_f64 v[69:70], v[105:106], v[69:70], -v[71:72]
	v_add_f64_e32 v[2:3], v[2:3], v[61:62]
	v_add_f64_e32 v[6:7], v[6:7], v[99:100]
	ds_load_b128 v[61:64], v1 offset:672
	ds_load_b128 v[65:68], v1 offset:688
	s_wait_loadcnt_dscnt 0x601
	v_mul_f64_e32 v[99:100], v[61:62], v[75:76]
	v_mul_f64_e32 v[75:76], v[63:64], v[75:76]
	v_add_f64_e32 v[2:3], v[2:3], v[93:94]
	v_add_f64_e32 v[6:7], v[6:7], v[95:96]
	s_wait_loadcnt_dscnt 0x500
	v_mul_f64_e32 v[93:94], v[65:66], v[79:80]
	v_mul_f64_e32 v[79:80], v[67:68], v[79:80]
	v_fma_f64 v[95:96], v[63:64], v[73:74], v[99:100]
	v_fma_f64 v[73:74], v[61:62], v[73:74], -v[75:76]
	v_add_f64_e32 v[2:3], v[2:3], v[69:70]
	v_add_f64_e32 v[6:7], v[6:7], v[97:98]
	ds_load_b128 v[61:64], v1 offset:704
	ds_load_b128 v[69:72], v1 offset:720
	v_fma_f64 v[67:68], v[67:68], v[77:78], v[93:94]
	v_fma_f64 v[65:66], v[65:66], v[77:78], -v[79:80]
	s_wait_loadcnt_dscnt 0x401
	v_mul_f64_e32 v[75:76], v[61:62], v[83:84]
	v_mul_f64_e32 v[83:84], v[63:64], v[83:84]
	s_wait_loadcnt_dscnt 0x300
	v_mul_f64_e32 v[77:78], v[71:72], v[87:88]
	v_add_f64_e32 v[2:3], v[2:3], v[73:74]
	v_add_f64_e32 v[6:7], v[6:7], v[95:96]
	v_mul_f64_e32 v[73:74], v[69:70], v[87:88]
	v_fma_f64 v[75:76], v[63:64], v[81:82], v[75:76]
	v_fma_f64 v[79:80], v[61:62], v[81:82], -v[83:84]
	v_fma_f64 v[69:70], v[69:70], v[85:86], -v[77:78]
	v_add_f64_e32 v[65:66], v[2:3], v[65:66]
	v_add_f64_e32 v[6:7], v[6:7], v[67:68]
	ds_load_b128 v[61:64], v1 offset:736
	ds_load_b128 v[1:4], v1 offset:752
	v_fma_f64 v[71:72], v[71:72], v[85:86], v[73:74]
	s_wait_loadcnt_dscnt 0x201
	v_mul_f64_e32 v[67:68], v[61:62], v[91:92]
	v_mul_f64_e32 v[81:82], v[63:64], v[91:92]
	v_add_f64_e32 v[65:66], v[65:66], v[79:80]
	v_add_f64_e32 v[6:7], v[6:7], v[75:76]
	s_wait_loadcnt_dscnt 0x0
	v_mul_f64_e32 v[73:74], v[1:2], v[10:11]
	v_mul_f64_e32 v[10:11], v[3:4], v[10:11]
	v_fma_f64 v[63:64], v[63:64], v[89:90], v[67:68]
	v_fma_f64 v[61:62], v[61:62], v[89:90], -v[81:82]
	v_add_f64_e32 v[65:66], v[65:66], v[69:70]
	v_add_f64_e32 v[6:7], v[6:7], v[71:72]
	v_fma_f64 v[3:4], v[3:4], v[8:9], v[73:74]
	v_fma_f64 v[1:2], v[1:2], v[8:9], -v[10:11]
	s_delay_alu instid0(VALU_DEP_4) | instskip(NEXT) | instid1(VALU_DEP_4)
	v_add_f64_e32 v[8:9], v[65:66], v[61:62]
	v_add_f64_e32 v[6:7], v[6:7], v[63:64]
	s_delay_alu instid0(VALU_DEP_2) | instskip(NEXT) | instid1(VALU_DEP_2)
	v_add_f64_e32 v[1:2], v[8:9], v[1:2]
	v_add_f64_e32 v[3:4], v[6:7], v[3:4]
	s_delay_alu instid0(VALU_DEP_2) | instskip(NEXT) | instid1(VALU_DEP_2)
	v_add_f64_e64 v[1:2], v[101:102], -v[1:2]
	v_add_f64_e64 v[3:4], v[103:104], -v[3:4]
	scratch_store_b128 off, v[1:4], off offset:224
	v_cmpx_lt_u32_e32 12, v0
	s_cbranch_execz .LBB87_133
; %bb.132:
	scratch_load_b128 v[1:4], off, s24
	v_mov_b32_e32 v6, 0
	s_delay_alu instid0(VALU_DEP_1)
	v_dual_mov_b32 v7, v6 :: v_dual_mov_b32 v8, v6
	v_mov_b32_e32 v9, v6
	scratch_store_b128 off, v[6:9], off offset:208
	s_wait_loadcnt 0x0
	ds_store_b128 v5, v[1:4]
.LBB87_133:
	s_wait_alu 0xfffe
	s_or_b32 exec_lo, exec_lo, s0
	s_wait_storecnt_dscnt 0x0
	s_barrier_signal -1
	s_barrier_wait -1
	global_inv scope:SCOPE_SE
	s_clause 0x7
	scratch_load_b128 v[6:9], off, off offset:224
	scratch_load_b128 v[61:64], off, off offset:240
	scratch_load_b128 v[65:68], off, off offset:256
	scratch_load_b128 v[69:72], off, off offset:272
	scratch_load_b128 v[73:76], off, off offset:288
	scratch_load_b128 v[77:80], off, off offset:304
	scratch_load_b128 v[81:84], off, off offset:320
	scratch_load_b128 v[85:88], off, off offset:336
	v_mov_b32_e32 v1, 0
	s_mov_b32 s0, exec_lo
	ds_load_b128 v[89:92], v1 offset:592
	s_clause 0x1
	scratch_load_b128 v[93:96], off, off offset:352
	scratch_load_b128 v[97:100], off, off offset:208
	ds_load_b128 v[101:104], v1 offset:608
	ds_load_b128 v[109:112], v1 offset:640
	s_wait_loadcnt_dscnt 0x902
	v_mul_f64_e32 v[2:3], v[91:92], v[8:9]
	v_mul_f64_e32 v[105:106], v[89:90], v[8:9]
	scratch_load_b128 v[8:11], off, off offset:368
	v_fma_f64 v[2:3], v[89:90], v[6:7], -v[2:3]
	v_fma_f64 v[6:7], v[91:92], v[6:7], v[105:106]
	ds_load_b128 v[89:92], v1 offset:624
	s_wait_loadcnt_dscnt 0x902
	v_mul_f64_e32 v[113:114], v[101:102], v[63:64]
	v_mul_f64_e32 v[63:64], v[103:104], v[63:64]
	scratch_load_b128 v[105:108], off, off offset:384
	s_wait_loadcnt_dscnt 0x900
	v_mul_f64_e32 v[115:116], v[89:90], v[67:68]
	v_mul_f64_e32 v[67:68], v[91:92], v[67:68]
	v_add_f64_e32 v[2:3], 0, v[2:3]
	v_add_f64_e32 v[6:7], 0, v[6:7]
	v_fma_f64 v[103:104], v[103:104], v[61:62], v[113:114]
	v_fma_f64 v[61:62], v[101:102], v[61:62], -v[63:64]
	s_wait_loadcnt 0x8
	v_mul_f64_e32 v[101:102], v[109:110], v[71:72]
	v_mul_f64_e32 v[71:72], v[111:112], v[71:72]
	v_fma_f64 v[91:92], v[91:92], v[65:66], v[115:116]
	v_fma_f64 v[89:90], v[89:90], v[65:66], -v[67:68]
	v_add_f64_e32 v[6:7], v[6:7], v[103:104]
	v_add_f64_e32 v[2:3], v[2:3], v[61:62]
	ds_load_b128 v[61:64], v1 offset:656
	ds_load_b128 v[65:68], v1 offset:672
	v_fma_f64 v[101:102], v[111:112], v[69:70], v[101:102]
	v_fma_f64 v[69:70], v[109:110], v[69:70], -v[71:72]
	s_wait_loadcnt_dscnt 0x701
	v_mul_f64_e32 v[103:104], v[61:62], v[75:76]
	v_mul_f64_e32 v[75:76], v[63:64], v[75:76]
	v_add_f64_e32 v[6:7], v[6:7], v[91:92]
	v_add_f64_e32 v[2:3], v[2:3], v[89:90]
	s_wait_loadcnt_dscnt 0x600
	v_mul_f64_e32 v[89:90], v[65:66], v[79:80]
	v_mul_f64_e32 v[79:80], v[67:68], v[79:80]
	v_fma_f64 v[91:92], v[63:64], v[73:74], v[103:104]
	v_fma_f64 v[73:74], v[61:62], v[73:74], -v[75:76]
	v_add_f64_e32 v[6:7], v[6:7], v[101:102]
	v_add_f64_e32 v[2:3], v[2:3], v[69:70]
	ds_load_b128 v[61:64], v1 offset:688
	ds_load_b128 v[69:72], v1 offset:704
	v_fma_f64 v[67:68], v[67:68], v[77:78], v[89:90]
	v_fma_f64 v[65:66], v[65:66], v[77:78], -v[79:80]
	s_wait_loadcnt_dscnt 0x501
	v_mul_f64_e32 v[75:76], v[61:62], v[83:84]
	v_mul_f64_e32 v[83:84], v[63:64], v[83:84]
	s_wait_loadcnt_dscnt 0x400
	v_mul_f64_e32 v[77:78], v[71:72], v[87:88]
	v_add_f64_e32 v[6:7], v[6:7], v[91:92]
	v_add_f64_e32 v[2:3], v[2:3], v[73:74]
	v_mul_f64_e32 v[73:74], v[69:70], v[87:88]
	v_fma_f64 v[75:76], v[63:64], v[81:82], v[75:76]
	v_fma_f64 v[79:80], v[61:62], v[81:82], -v[83:84]
	v_fma_f64 v[69:70], v[69:70], v[85:86], -v[77:78]
	v_add_f64_e32 v[6:7], v[6:7], v[67:68]
	v_add_f64_e32 v[2:3], v[2:3], v[65:66]
	ds_load_b128 v[61:64], v1 offset:720
	ds_load_b128 v[65:68], v1 offset:736
	v_fma_f64 v[71:72], v[71:72], v[85:86], v[73:74]
	s_wait_loadcnt_dscnt 0x301
	v_mul_f64_e32 v[81:82], v[61:62], v[95:96]
	v_mul_f64_e32 v[83:84], v[63:64], v[95:96]
	v_add_f64_e32 v[6:7], v[6:7], v[75:76]
	v_add_f64_e32 v[2:3], v[2:3], v[79:80]
	s_wait_loadcnt_dscnt 0x100
	v_mul_f64_e32 v[73:74], v[65:66], v[10:11]
	v_mul_f64_e32 v[10:11], v[67:68], v[10:11]
	v_fma_f64 v[75:76], v[63:64], v[93:94], v[81:82]
	v_fma_f64 v[77:78], v[61:62], v[93:94], -v[83:84]
	ds_load_b128 v[61:64], v1 offset:752
	v_add_f64_e32 v[6:7], v[6:7], v[71:72]
	v_add_f64_e32 v[2:3], v[2:3], v[69:70]
	v_fma_f64 v[67:68], v[67:68], v[8:9], v[73:74]
	v_fma_f64 v[8:9], v[65:66], v[8:9], -v[10:11]
	s_wait_loadcnt_dscnt 0x0
	v_mul_f64_e32 v[69:70], v[61:62], v[107:108]
	v_mul_f64_e32 v[71:72], v[63:64], v[107:108]
	v_add_f64_e32 v[6:7], v[6:7], v[75:76]
	v_add_f64_e32 v[2:3], v[2:3], v[77:78]
	s_delay_alu instid0(VALU_DEP_4) | instskip(NEXT) | instid1(VALU_DEP_4)
	v_fma_f64 v[10:11], v[63:64], v[105:106], v[69:70]
	v_fma_f64 v[61:62], v[61:62], v[105:106], -v[71:72]
	s_delay_alu instid0(VALU_DEP_4) | instskip(NEXT) | instid1(VALU_DEP_4)
	v_add_f64_e32 v[6:7], v[6:7], v[67:68]
	v_add_f64_e32 v[2:3], v[2:3], v[8:9]
	s_delay_alu instid0(VALU_DEP_2) | instskip(NEXT) | instid1(VALU_DEP_2)
	v_add_f64_e32 v[8:9], v[6:7], v[10:11]
	v_add_f64_e32 v[2:3], v[2:3], v[61:62]
	s_delay_alu instid0(VALU_DEP_2) | instskip(NEXT) | instid1(VALU_DEP_2)
	v_add_f64_e64 v[8:9], v[99:100], -v[8:9]
	v_add_f64_e64 v[6:7], v[97:98], -v[2:3]
	scratch_store_b128 off, v[6:9], off offset:208
	v_cmpx_lt_u32_e32 11, v0
	s_cbranch_execz .LBB87_135
; %bb.134:
	scratch_load_b128 v[6:9], off, s11
	v_dual_mov_b32 v2, v1 :: v_dual_mov_b32 v3, v1
	v_mov_b32_e32 v4, v1
	scratch_store_b128 off, v[1:4], off offset:192
	s_wait_loadcnt 0x0
	ds_store_b128 v5, v[6:9]
.LBB87_135:
	s_wait_alu 0xfffe
	s_or_b32 exec_lo, exec_lo, s0
	s_wait_storecnt_dscnt 0x0
	s_barrier_signal -1
	s_barrier_wait -1
	global_inv scope:SCOPE_SE
	s_clause 0x8
	scratch_load_b128 v[6:9], off, off offset:208
	scratch_load_b128 v[61:64], off, off offset:224
	;; [unrolled: 1-line block ×9, first 2 shown]
	ds_load_b128 v[93:96], v1 offset:576
	ds_load_b128 v[97:100], v1 offset:592
	scratch_load_b128 v[101:104], off, off offset:192
	s_mov_b32 s0, exec_lo
	ds_load_b128 v[109:112], v1 offset:624
	s_wait_loadcnt_dscnt 0x902
	v_mul_f64_e32 v[2:3], v[95:96], v[8:9]
	v_mul_f64_e32 v[105:106], v[93:94], v[8:9]
	scratch_load_b128 v[8:11], off, off offset:352
	s_wait_loadcnt_dscnt 0x901
	v_mul_f64_e32 v[113:114], v[97:98], v[63:64]
	v_mul_f64_e32 v[63:64], v[99:100], v[63:64]
	v_fma_f64 v[2:3], v[93:94], v[6:7], -v[2:3]
	v_fma_f64 v[6:7], v[95:96], v[6:7], v[105:106]
	ds_load_b128 v[93:96], v1 offset:608
	scratch_load_b128 v[105:108], off, off offset:368
	v_fma_f64 v[99:100], v[99:100], v[61:62], v[113:114]
	v_fma_f64 v[97:98], v[97:98], v[61:62], -v[63:64]
	scratch_load_b128 v[61:64], off, off offset:384
	s_wait_loadcnt_dscnt 0x901
	v_mul_f64_e32 v[113:114], v[109:110], v[71:72]
	v_mul_f64_e32 v[71:72], v[111:112], v[71:72]
	s_wait_dscnt 0x0
	v_mul_f64_e32 v[115:116], v[93:94], v[67:68]
	v_mul_f64_e32 v[67:68], v[95:96], v[67:68]
	v_add_f64_e32 v[2:3], 0, v[2:3]
	v_add_f64_e32 v[6:7], 0, v[6:7]
	s_delay_alu instid0(VALU_DEP_4) | instskip(NEXT) | instid1(VALU_DEP_4)
	v_fma_f64 v[115:116], v[95:96], v[65:66], v[115:116]
	v_fma_f64 v[117:118], v[93:94], v[65:66], -v[67:68]
	ds_load_b128 v[65:68], v1 offset:640
	ds_load_b128 v[93:96], v1 offset:656
	v_add_f64_e32 v[2:3], v[2:3], v[97:98]
	v_add_f64_e32 v[6:7], v[6:7], v[99:100]
	v_fma_f64 v[99:100], v[111:112], v[69:70], v[113:114]
	v_fma_f64 v[69:70], v[109:110], v[69:70], -v[71:72]
	s_wait_loadcnt_dscnt 0x801
	v_mul_f64_e32 v[97:98], v[65:66], v[75:76]
	v_mul_f64_e32 v[75:76], v[67:68], v[75:76]
	s_wait_loadcnt_dscnt 0x700
	v_mul_f64_e32 v[109:110], v[93:94], v[79:80]
	v_mul_f64_e32 v[79:80], v[95:96], v[79:80]
	v_add_f64_e32 v[2:3], v[2:3], v[117:118]
	v_add_f64_e32 v[6:7], v[6:7], v[115:116]
	v_fma_f64 v[97:98], v[67:68], v[73:74], v[97:98]
	v_fma_f64 v[73:74], v[65:66], v[73:74], -v[75:76]
	v_fma_f64 v[95:96], v[95:96], v[77:78], v[109:110]
	v_fma_f64 v[77:78], v[93:94], v[77:78], -v[79:80]
	v_add_f64_e32 v[2:3], v[2:3], v[69:70]
	v_add_f64_e32 v[6:7], v[6:7], v[99:100]
	ds_load_b128 v[65:68], v1 offset:672
	ds_load_b128 v[69:72], v1 offset:688
	s_wait_loadcnt_dscnt 0x601
	v_mul_f64_e32 v[75:76], v[65:66], v[83:84]
	v_mul_f64_e32 v[83:84], v[67:68], v[83:84]
	s_wait_loadcnt_dscnt 0x500
	v_mul_f64_e32 v[79:80], v[69:70], v[87:88]
	v_mul_f64_e32 v[87:88], v[71:72], v[87:88]
	v_add_f64_e32 v[2:3], v[2:3], v[73:74]
	v_add_f64_e32 v[6:7], v[6:7], v[97:98]
	v_fma_f64 v[93:94], v[67:68], v[81:82], v[75:76]
	v_fma_f64 v[81:82], v[65:66], v[81:82], -v[83:84]
	ds_load_b128 v[65:68], v1 offset:704
	ds_load_b128 v[73:76], v1 offset:720
	v_fma_f64 v[71:72], v[71:72], v[85:86], v[79:80]
	v_fma_f64 v[69:70], v[69:70], v[85:86], -v[87:88]
	v_add_f64_e32 v[2:3], v[2:3], v[77:78]
	v_add_f64_e32 v[6:7], v[6:7], v[95:96]
	s_wait_loadcnt_dscnt 0x401
	v_mul_f64_e32 v[77:78], v[65:66], v[91:92]
	v_mul_f64_e32 v[83:84], v[67:68], v[91:92]
	s_delay_alu instid0(VALU_DEP_4) | instskip(NEXT) | instid1(VALU_DEP_4)
	v_add_f64_e32 v[2:3], v[2:3], v[81:82]
	v_add_f64_e32 v[6:7], v[6:7], v[93:94]
	s_delay_alu instid0(VALU_DEP_4) | instskip(NEXT) | instid1(VALU_DEP_4)
	v_fma_f64 v[77:78], v[67:68], v[89:90], v[77:78]
	v_fma_f64 v[81:82], v[65:66], v[89:90], -v[83:84]
	s_wait_loadcnt_dscnt 0x200
	v_mul_f64_e32 v[79:80], v[73:74], v[10:11]
	v_mul_f64_e32 v[10:11], v[75:76], v[10:11]
	v_add_f64_e32 v[69:70], v[2:3], v[69:70]
	v_add_f64_e32 v[6:7], v[6:7], v[71:72]
	ds_load_b128 v[65:68], v1 offset:736
	ds_load_b128 v[1:4], v1 offset:752
	v_fma_f64 v[75:76], v[75:76], v[8:9], v[79:80]
	v_fma_f64 v[8:9], v[73:74], v[8:9], -v[10:11]
	s_wait_loadcnt_dscnt 0x101
	v_mul_f64_e32 v[71:72], v[65:66], v[107:108]
	v_mul_f64_e32 v[83:84], v[67:68], v[107:108]
	v_add_f64_e32 v[10:11], v[69:70], v[81:82]
	v_add_f64_e32 v[6:7], v[6:7], v[77:78]
	s_wait_loadcnt_dscnt 0x0
	v_mul_f64_e32 v[69:70], v[1:2], v[63:64]
	v_mul_f64_e32 v[63:64], v[3:4], v[63:64]
	v_fma_f64 v[67:68], v[67:68], v[105:106], v[71:72]
	v_fma_f64 v[65:66], v[65:66], v[105:106], -v[83:84]
	v_add_f64_e32 v[8:9], v[10:11], v[8:9]
	v_add_f64_e32 v[6:7], v[6:7], v[75:76]
	v_fma_f64 v[3:4], v[3:4], v[61:62], v[69:70]
	v_fma_f64 v[1:2], v[1:2], v[61:62], -v[63:64]
	s_delay_alu instid0(VALU_DEP_4) | instskip(NEXT) | instid1(VALU_DEP_4)
	v_add_f64_e32 v[8:9], v[8:9], v[65:66]
	v_add_f64_e32 v[6:7], v[6:7], v[67:68]
	s_delay_alu instid0(VALU_DEP_2) | instskip(NEXT) | instid1(VALU_DEP_2)
	v_add_f64_e32 v[1:2], v[8:9], v[1:2]
	v_add_f64_e32 v[3:4], v[6:7], v[3:4]
	s_delay_alu instid0(VALU_DEP_2) | instskip(NEXT) | instid1(VALU_DEP_2)
	v_add_f64_e64 v[1:2], v[101:102], -v[1:2]
	v_add_f64_e64 v[3:4], v[103:104], -v[3:4]
	scratch_store_b128 off, v[1:4], off offset:192
	v_cmpx_lt_u32_e32 10, v0
	s_cbranch_execz .LBB87_137
; %bb.136:
	scratch_load_b128 v[1:4], off, s23
	v_mov_b32_e32 v6, 0
	s_delay_alu instid0(VALU_DEP_1)
	v_dual_mov_b32 v7, v6 :: v_dual_mov_b32 v8, v6
	v_mov_b32_e32 v9, v6
	scratch_store_b128 off, v[6:9], off offset:176
	s_wait_loadcnt 0x0
	ds_store_b128 v5, v[1:4]
.LBB87_137:
	s_wait_alu 0xfffe
	s_or_b32 exec_lo, exec_lo, s0
	s_wait_storecnt_dscnt 0x0
	s_barrier_signal -1
	s_barrier_wait -1
	global_inv scope:SCOPE_SE
	s_clause 0x7
	scratch_load_b128 v[6:9], off, off offset:192
	scratch_load_b128 v[61:64], off, off offset:208
	;; [unrolled: 1-line block ×8, first 2 shown]
	v_mov_b32_e32 v1, 0
	s_mov_b32 s0, exec_lo
	ds_load_b128 v[89:92], v1 offset:560
	s_clause 0x1
	scratch_load_b128 v[93:96], off, off offset:320
	scratch_load_b128 v[97:100], off, off offset:176
	ds_load_b128 v[101:104], v1 offset:576
	ds_load_b128 v[109:112], v1 offset:608
	s_wait_loadcnt_dscnt 0x902
	v_mul_f64_e32 v[2:3], v[91:92], v[8:9]
	v_mul_f64_e32 v[105:106], v[89:90], v[8:9]
	scratch_load_b128 v[8:11], off, off offset:336
	v_fma_f64 v[2:3], v[89:90], v[6:7], -v[2:3]
	v_fma_f64 v[6:7], v[91:92], v[6:7], v[105:106]
	ds_load_b128 v[89:92], v1 offset:592
	s_wait_loadcnt_dscnt 0x902
	v_mul_f64_e32 v[113:114], v[101:102], v[63:64]
	v_mul_f64_e32 v[63:64], v[103:104], v[63:64]
	scratch_load_b128 v[105:108], off, off offset:352
	s_wait_loadcnt_dscnt 0x900
	v_mul_f64_e32 v[115:116], v[89:90], v[67:68]
	v_mul_f64_e32 v[67:68], v[91:92], v[67:68]
	v_add_f64_e32 v[2:3], 0, v[2:3]
	v_add_f64_e32 v[6:7], 0, v[6:7]
	v_fma_f64 v[103:104], v[103:104], v[61:62], v[113:114]
	v_fma_f64 v[101:102], v[101:102], v[61:62], -v[63:64]
	scratch_load_b128 v[61:64], off, off offset:368
	v_fma_f64 v[115:116], v[91:92], v[65:66], v[115:116]
	v_fma_f64 v[117:118], v[89:90], v[65:66], -v[67:68]
	ds_load_b128 v[65:68], v1 offset:624
	s_wait_loadcnt 0x9
	v_mul_f64_e32 v[113:114], v[109:110], v[71:72]
	v_mul_f64_e32 v[71:72], v[111:112], v[71:72]
	scratch_load_b128 v[89:92], off, off offset:384
	v_add_f64_e32 v[6:7], v[6:7], v[103:104]
	v_add_f64_e32 v[2:3], v[2:3], v[101:102]
	ds_load_b128 v[101:104], v1 offset:640
	s_wait_loadcnt_dscnt 0x901
	v_mul_f64_e32 v[119:120], v[65:66], v[75:76]
	v_mul_f64_e32 v[75:76], v[67:68], v[75:76]
	v_fma_f64 v[111:112], v[111:112], v[69:70], v[113:114]
	v_fma_f64 v[69:70], v[109:110], v[69:70], -v[71:72]
	s_wait_loadcnt_dscnt 0x800
	v_mul_f64_e32 v[109:110], v[101:102], v[79:80]
	v_mul_f64_e32 v[79:80], v[103:104], v[79:80]
	v_add_f64_e32 v[6:7], v[6:7], v[115:116]
	v_add_f64_e32 v[2:3], v[2:3], v[117:118]
	v_fma_f64 v[113:114], v[67:68], v[73:74], v[119:120]
	v_fma_f64 v[73:74], v[65:66], v[73:74], -v[75:76]
	v_fma_f64 v[103:104], v[103:104], v[77:78], v[109:110]
	v_fma_f64 v[77:78], v[101:102], v[77:78], -v[79:80]
	v_add_f64_e32 v[6:7], v[6:7], v[111:112]
	v_add_f64_e32 v[2:3], v[2:3], v[69:70]
	ds_load_b128 v[65:68], v1 offset:656
	ds_load_b128 v[69:72], v1 offset:672
	s_wait_loadcnt_dscnt 0x701
	v_mul_f64_e32 v[75:76], v[65:66], v[83:84]
	v_mul_f64_e32 v[83:84], v[67:68], v[83:84]
	s_wait_loadcnt_dscnt 0x600
	v_mul_f64_e32 v[79:80], v[69:70], v[87:88]
	v_mul_f64_e32 v[87:88], v[71:72], v[87:88]
	v_add_f64_e32 v[6:7], v[6:7], v[113:114]
	v_add_f64_e32 v[2:3], v[2:3], v[73:74]
	v_fma_f64 v[101:102], v[67:68], v[81:82], v[75:76]
	v_fma_f64 v[81:82], v[65:66], v[81:82], -v[83:84]
	ds_load_b128 v[65:68], v1 offset:688
	ds_load_b128 v[73:76], v1 offset:704
	v_fma_f64 v[71:72], v[71:72], v[85:86], v[79:80]
	v_fma_f64 v[69:70], v[69:70], v[85:86], -v[87:88]
	v_add_f64_e32 v[6:7], v[6:7], v[103:104]
	v_add_f64_e32 v[2:3], v[2:3], v[77:78]
	s_wait_loadcnt_dscnt 0x501
	v_mul_f64_e32 v[77:78], v[65:66], v[95:96]
	v_mul_f64_e32 v[83:84], v[67:68], v[95:96]
	s_delay_alu instid0(VALU_DEP_4) | instskip(NEXT) | instid1(VALU_DEP_4)
	v_add_f64_e32 v[6:7], v[6:7], v[101:102]
	v_add_f64_e32 v[2:3], v[2:3], v[81:82]
	s_delay_alu instid0(VALU_DEP_4) | instskip(NEXT) | instid1(VALU_DEP_4)
	v_fma_f64 v[77:78], v[67:68], v[93:94], v[77:78]
	v_fma_f64 v[81:82], v[65:66], v[93:94], -v[83:84]
	s_wait_loadcnt_dscnt 0x300
	v_mul_f64_e32 v[79:80], v[73:74], v[10:11]
	v_mul_f64_e32 v[10:11], v[75:76], v[10:11]
	v_add_f64_e32 v[6:7], v[6:7], v[71:72]
	v_add_f64_e32 v[2:3], v[2:3], v[69:70]
	ds_load_b128 v[65:68], v1 offset:720
	ds_load_b128 v[69:72], v1 offset:736
	v_fma_f64 v[75:76], v[75:76], v[8:9], v[79:80]
	v_fma_f64 v[8:9], v[73:74], v[8:9], -v[10:11]
	s_wait_loadcnt_dscnt 0x201
	v_mul_f64_e32 v[83:84], v[65:66], v[107:108]
	v_mul_f64_e32 v[85:86], v[67:68], v[107:108]
	v_add_f64_e32 v[6:7], v[6:7], v[77:78]
	v_add_f64_e32 v[2:3], v[2:3], v[81:82]
	s_wait_loadcnt_dscnt 0x100
	v_mul_f64_e32 v[10:11], v[69:70], v[63:64]
	v_mul_f64_e32 v[63:64], v[71:72], v[63:64]
	v_fma_f64 v[67:68], v[67:68], v[105:106], v[83:84]
	v_fma_f64 v[65:66], v[65:66], v[105:106], -v[85:86]
	v_add_f64_e32 v[73:74], v[6:7], v[75:76]
	v_add_f64_e32 v[2:3], v[2:3], v[8:9]
	ds_load_b128 v[6:9], v1 offset:752
	v_fma_f64 v[10:11], v[71:72], v[61:62], v[10:11]
	v_fma_f64 v[61:62], v[69:70], v[61:62], -v[63:64]
	s_wait_loadcnt_dscnt 0x0
	v_mul_f64_e32 v[75:76], v[6:7], v[91:92]
	v_mul_f64_e32 v[77:78], v[8:9], v[91:92]
	v_add_f64_e32 v[63:64], v[73:74], v[67:68]
	v_add_f64_e32 v[2:3], v[2:3], v[65:66]
	s_delay_alu instid0(VALU_DEP_4) | instskip(NEXT) | instid1(VALU_DEP_4)
	v_fma_f64 v[8:9], v[8:9], v[89:90], v[75:76]
	v_fma_f64 v[6:7], v[6:7], v[89:90], -v[77:78]
	s_delay_alu instid0(VALU_DEP_4) | instskip(NEXT) | instid1(VALU_DEP_4)
	v_add_f64_e32 v[10:11], v[63:64], v[10:11]
	v_add_f64_e32 v[2:3], v[2:3], v[61:62]
	s_delay_alu instid0(VALU_DEP_2) | instskip(NEXT) | instid1(VALU_DEP_2)
	v_add_f64_e32 v[8:9], v[10:11], v[8:9]
	v_add_f64_e32 v[2:3], v[2:3], v[6:7]
	s_delay_alu instid0(VALU_DEP_2) | instskip(NEXT) | instid1(VALU_DEP_2)
	v_add_f64_e64 v[8:9], v[99:100], -v[8:9]
	v_add_f64_e64 v[6:7], v[97:98], -v[2:3]
	scratch_store_b128 off, v[6:9], off offset:176
	v_cmpx_lt_u32_e32 9, v0
	s_cbranch_execz .LBB87_139
; %bb.138:
	scratch_load_b128 v[6:9], off, s10
	v_dual_mov_b32 v2, v1 :: v_dual_mov_b32 v3, v1
	v_mov_b32_e32 v4, v1
	scratch_store_b128 off, v[1:4], off offset:160
	s_wait_loadcnt 0x0
	ds_store_b128 v5, v[6:9]
.LBB87_139:
	s_wait_alu 0xfffe
	s_or_b32 exec_lo, exec_lo, s0
	s_wait_storecnt_dscnt 0x0
	s_barrier_signal -1
	s_barrier_wait -1
	global_inv scope:SCOPE_SE
	s_clause 0x8
	scratch_load_b128 v[6:9], off, off offset:176
	scratch_load_b128 v[61:64], off, off offset:192
	;; [unrolled: 1-line block ×9, first 2 shown]
	ds_load_b128 v[93:96], v1 offset:544
	ds_load_b128 v[97:100], v1 offset:560
	scratch_load_b128 v[101:104], off, off offset:160
	s_mov_b32 s0, exec_lo
	ds_load_b128 v[109:112], v1 offset:592
	s_wait_loadcnt_dscnt 0x902
	v_mul_f64_e32 v[2:3], v[95:96], v[8:9]
	v_mul_f64_e32 v[105:106], v[93:94], v[8:9]
	scratch_load_b128 v[8:11], off, off offset:320
	s_wait_loadcnt_dscnt 0x901
	v_mul_f64_e32 v[113:114], v[97:98], v[63:64]
	v_mul_f64_e32 v[63:64], v[99:100], v[63:64]
	v_fma_f64 v[2:3], v[93:94], v[6:7], -v[2:3]
	v_fma_f64 v[6:7], v[95:96], v[6:7], v[105:106]
	ds_load_b128 v[93:96], v1 offset:576
	scratch_load_b128 v[105:108], off, off offset:336
	v_fma_f64 v[99:100], v[99:100], v[61:62], v[113:114]
	v_fma_f64 v[97:98], v[97:98], v[61:62], -v[63:64]
	scratch_load_b128 v[61:64], off, off offset:352
	s_wait_loadcnt_dscnt 0x901
	v_mul_f64_e32 v[113:114], v[109:110], v[71:72]
	v_mul_f64_e32 v[71:72], v[111:112], v[71:72]
	s_wait_dscnt 0x0
	v_mul_f64_e32 v[115:116], v[93:94], v[67:68]
	v_mul_f64_e32 v[67:68], v[95:96], v[67:68]
	v_add_f64_e32 v[2:3], 0, v[2:3]
	v_add_f64_e32 v[6:7], 0, v[6:7]
	v_fma_f64 v[111:112], v[111:112], v[69:70], v[113:114]
	v_fma_f64 v[109:110], v[109:110], v[69:70], -v[71:72]
	scratch_load_b128 v[69:72], off, off offset:384
	v_fma_f64 v[115:116], v[95:96], v[65:66], v[115:116]
	v_fma_f64 v[117:118], v[93:94], v[65:66], -v[67:68]
	ds_load_b128 v[65:68], v1 offset:608
	scratch_load_b128 v[93:96], off, off offset:368
	v_add_f64_e32 v[2:3], v[2:3], v[97:98]
	v_add_f64_e32 v[6:7], v[6:7], v[99:100]
	ds_load_b128 v[97:100], v1 offset:624
	s_wait_loadcnt_dscnt 0xa01
	v_mul_f64_e32 v[119:120], v[65:66], v[75:76]
	v_mul_f64_e32 v[75:76], v[67:68], v[75:76]
	s_wait_loadcnt_dscnt 0x900
	v_mul_f64_e32 v[113:114], v[97:98], v[79:80]
	v_mul_f64_e32 v[79:80], v[99:100], v[79:80]
	v_add_f64_e32 v[2:3], v[2:3], v[117:118]
	v_add_f64_e32 v[6:7], v[6:7], v[115:116]
	v_fma_f64 v[115:116], v[67:68], v[73:74], v[119:120]
	v_fma_f64 v[117:118], v[65:66], v[73:74], -v[75:76]
	ds_load_b128 v[65:68], v1 offset:640
	ds_load_b128 v[73:76], v1 offset:656
	v_fma_f64 v[99:100], v[99:100], v[77:78], v[113:114]
	v_fma_f64 v[77:78], v[97:98], v[77:78], -v[79:80]
	s_wait_loadcnt_dscnt 0x700
	v_mul_f64_e32 v[97:98], v[73:74], v[87:88]
	v_mul_f64_e32 v[87:88], v[75:76], v[87:88]
	v_add_f64_e32 v[2:3], v[2:3], v[109:110]
	v_add_f64_e32 v[6:7], v[6:7], v[111:112]
	v_mul_f64_e32 v[109:110], v[65:66], v[83:84]
	v_mul_f64_e32 v[83:84], v[67:68], v[83:84]
	v_fma_f64 v[75:76], v[75:76], v[85:86], v[97:98]
	v_fma_f64 v[73:74], v[73:74], v[85:86], -v[87:88]
	v_add_f64_e32 v[2:3], v[2:3], v[117:118]
	v_add_f64_e32 v[6:7], v[6:7], v[115:116]
	v_fma_f64 v[109:110], v[67:68], v[81:82], v[109:110]
	v_fma_f64 v[81:82], v[65:66], v[81:82], -v[83:84]
	s_delay_alu instid0(VALU_DEP_4) | instskip(NEXT) | instid1(VALU_DEP_4)
	v_add_f64_e32 v[2:3], v[2:3], v[77:78]
	v_add_f64_e32 v[6:7], v[6:7], v[99:100]
	ds_load_b128 v[65:68], v1 offset:672
	ds_load_b128 v[77:80], v1 offset:688
	s_wait_loadcnt_dscnt 0x601
	v_mul_f64_e32 v[83:84], v[65:66], v[91:92]
	v_mul_f64_e32 v[91:92], v[67:68], v[91:92]
	v_add_f64_e32 v[2:3], v[2:3], v[81:82]
	v_add_f64_e32 v[6:7], v[6:7], v[109:110]
	s_wait_loadcnt_dscnt 0x400
	v_mul_f64_e32 v[81:82], v[77:78], v[10:11]
	v_mul_f64_e32 v[10:11], v[79:80], v[10:11]
	v_fma_f64 v[83:84], v[67:68], v[89:90], v[83:84]
	v_fma_f64 v[85:86], v[65:66], v[89:90], -v[91:92]
	v_add_f64_e32 v[2:3], v[2:3], v[73:74]
	v_add_f64_e32 v[6:7], v[6:7], v[75:76]
	ds_load_b128 v[65:68], v1 offset:704
	ds_load_b128 v[73:76], v1 offset:720
	v_fma_f64 v[79:80], v[79:80], v[8:9], v[81:82]
	v_fma_f64 v[8:9], v[77:78], v[8:9], -v[10:11]
	s_wait_loadcnt_dscnt 0x301
	v_mul_f64_e32 v[87:88], v[65:66], v[107:108]
	v_mul_f64_e32 v[89:90], v[67:68], v[107:108]
	s_wait_loadcnt_dscnt 0x200
	v_mul_f64_e32 v[10:11], v[73:74], v[63:64]
	v_mul_f64_e32 v[63:64], v[75:76], v[63:64]
	v_add_f64_e32 v[2:3], v[2:3], v[85:86]
	v_add_f64_e32 v[6:7], v[6:7], v[83:84]
	v_fma_f64 v[67:68], v[67:68], v[105:106], v[87:88]
	v_fma_f64 v[65:66], v[65:66], v[105:106], -v[89:90]
	v_fma_f64 v[10:11], v[75:76], v[61:62], v[10:11]
	v_fma_f64 v[61:62], v[73:74], v[61:62], -v[63:64]
	v_add_f64_e32 v[77:78], v[2:3], v[8:9]
	v_add_f64_e32 v[79:80], v[6:7], v[79:80]
	ds_load_b128 v[6:9], v1 offset:736
	ds_load_b128 v[1:4], v1 offset:752
	s_wait_loadcnt_dscnt 0x1
	v_mul_f64_e32 v[81:82], v[6:7], v[95:96]
	v_mul_f64_e32 v[83:84], v[8:9], v[95:96]
	v_add_f64_e32 v[63:64], v[77:78], v[65:66]
	v_add_f64_e32 v[65:66], v[79:80], v[67:68]
	s_wait_dscnt 0x0
	v_mul_f64_e32 v[67:68], v[1:2], v[71:72]
	v_mul_f64_e32 v[71:72], v[3:4], v[71:72]
	v_fma_f64 v[8:9], v[8:9], v[93:94], v[81:82]
	v_fma_f64 v[6:7], v[6:7], v[93:94], -v[83:84]
	v_add_f64_e32 v[61:62], v[63:64], v[61:62]
	v_add_f64_e32 v[10:11], v[65:66], v[10:11]
	v_fma_f64 v[3:4], v[3:4], v[69:70], v[67:68]
	v_fma_f64 v[1:2], v[1:2], v[69:70], -v[71:72]
	s_delay_alu instid0(VALU_DEP_4) | instskip(NEXT) | instid1(VALU_DEP_4)
	v_add_f64_e32 v[6:7], v[61:62], v[6:7]
	v_add_f64_e32 v[8:9], v[10:11], v[8:9]
	s_delay_alu instid0(VALU_DEP_2) | instskip(NEXT) | instid1(VALU_DEP_2)
	v_add_f64_e32 v[1:2], v[6:7], v[1:2]
	v_add_f64_e32 v[3:4], v[8:9], v[3:4]
	s_delay_alu instid0(VALU_DEP_2) | instskip(NEXT) | instid1(VALU_DEP_2)
	v_add_f64_e64 v[1:2], v[101:102], -v[1:2]
	v_add_f64_e64 v[3:4], v[103:104], -v[3:4]
	scratch_store_b128 off, v[1:4], off offset:160
	v_cmpx_lt_u32_e32 8, v0
	s_cbranch_execz .LBB87_141
; %bb.140:
	scratch_load_b128 v[1:4], off, s22
	v_mov_b32_e32 v6, 0
	s_delay_alu instid0(VALU_DEP_1)
	v_dual_mov_b32 v7, v6 :: v_dual_mov_b32 v8, v6
	v_mov_b32_e32 v9, v6
	scratch_store_b128 off, v[6:9], off offset:144
	s_wait_loadcnt 0x0
	ds_store_b128 v5, v[1:4]
.LBB87_141:
	s_wait_alu 0xfffe
	s_or_b32 exec_lo, exec_lo, s0
	s_wait_storecnt_dscnt 0x0
	s_barrier_signal -1
	s_barrier_wait -1
	global_inv scope:SCOPE_SE
	s_clause 0x7
	scratch_load_b128 v[6:9], off, off offset:160
	scratch_load_b128 v[61:64], off, off offset:176
	;; [unrolled: 1-line block ×8, first 2 shown]
	v_mov_b32_e32 v1, 0
	s_mov_b32 s0, exec_lo
	ds_load_b128 v[89:92], v1 offset:528
	s_clause 0x1
	scratch_load_b128 v[93:96], off, off offset:288
	scratch_load_b128 v[97:100], off, off offset:144
	ds_load_b128 v[101:104], v1 offset:544
	ds_load_b128 v[109:112], v1 offset:576
	s_wait_loadcnt_dscnt 0x902
	v_mul_f64_e32 v[2:3], v[91:92], v[8:9]
	v_mul_f64_e32 v[105:106], v[89:90], v[8:9]
	scratch_load_b128 v[8:11], off, off offset:304
	v_fma_f64 v[2:3], v[89:90], v[6:7], -v[2:3]
	v_fma_f64 v[6:7], v[91:92], v[6:7], v[105:106]
	ds_load_b128 v[89:92], v1 offset:560
	s_wait_loadcnt_dscnt 0x902
	v_mul_f64_e32 v[113:114], v[101:102], v[63:64]
	v_mul_f64_e32 v[63:64], v[103:104], v[63:64]
	scratch_load_b128 v[105:108], off, off offset:320
	s_wait_loadcnt_dscnt 0x900
	v_mul_f64_e32 v[115:116], v[89:90], v[67:68]
	v_mul_f64_e32 v[67:68], v[91:92], v[67:68]
	v_add_f64_e32 v[2:3], 0, v[2:3]
	v_add_f64_e32 v[6:7], 0, v[6:7]
	v_fma_f64 v[103:104], v[103:104], v[61:62], v[113:114]
	v_fma_f64 v[101:102], v[101:102], v[61:62], -v[63:64]
	scratch_load_b128 v[61:64], off, off offset:336
	v_fma_f64 v[115:116], v[91:92], v[65:66], v[115:116]
	v_fma_f64 v[117:118], v[89:90], v[65:66], -v[67:68]
	ds_load_b128 v[65:68], v1 offset:592
	s_wait_loadcnt 0x9
	v_mul_f64_e32 v[113:114], v[109:110], v[71:72]
	v_mul_f64_e32 v[71:72], v[111:112], v[71:72]
	scratch_load_b128 v[89:92], off, off offset:352
	v_add_f64_e32 v[6:7], v[6:7], v[103:104]
	v_add_f64_e32 v[2:3], v[2:3], v[101:102]
	ds_load_b128 v[101:104], v1 offset:608
	s_wait_loadcnt_dscnt 0x901
	v_mul_f64_e32 v[119:120], v[65:66], v[75:76]
	v_mul_f64_e32 v[75:76], v[67:68], v[75:76]
	v_fma_f64 v[111:112], v[111:112], v[69:70], v[113:114]
	v_fma_f64 v[109:110], v[109:110], v[69:70], -v[71:72]
	scratch_load_b128 v[69:72], off, off offset:368
	v_add_f64_e32 v[6:7], v[6:7], v[115:116]
	v_add_f64_e32 v[2:3], v[2:3], v[117:118]
	v_fma_f64 v[115:116], v[67:68], v[73:74], v[119:120]
	v_fma_f64 v[117:118], v[65:66], v[73:74], -v[75:76]
	ds_load_b128 v[65:68], v1 offset:624
	s_wait_loadcnt_dscnt 0x901
	v_mul_f64_e32 v[113:114], v[101:102], v[79:80]
	v_mul_f64_e32 v[79:80], v[103:104], v[79:80]
	scratch_load_b128 v[73:76], off, off offset:384
	s_wait_loadcnt_dscnt 0x900
	v_mul_f64_e32 v[119:120], v[65:66], v[83:84]
	v_mul_f64_e32 v[83:84], v[67:68], v[83:84]
	v_add_f64_e32 v[6:7], v[6:7], v[111:112]
	v_add_f64_e32 v[2:3], v[2:3], v[109:110]
	ds_load_b128 v[109:112], v1 offset:640
	v_fma_f64 v[103:104], v[103:104], v[77:78], v[113:114]
	v_fma_f64 v[77:78], v[101:102], v[77:78], -v[79:80]
	s_wait_loadcnt_dscnt 0x800
	v_mul_f64_e32 v[101:102], v[109:110], v[87:88]
	v_mul_f64_e32 v[87:88], v[111:112], v[87:88]
	v_fma_f64 v[113:114], v[67:68], v[81:82], v[119:120]
	v_fma_f64 v[81:82], v[65:66], v[81:82], -v[83:84]
	v_add_f64_e32 v[6:7], v[6:7], v[115:116]
	v_add_f64_e32 v[2:3], v[2:3], v[117:118]
	v_fma_f64 v[101:102], v[111:112], v[85:86], v[101:102]
	v_fma_f64 v[85:86], v[109:110], v[85:86], -v[87:88]
	s_delay_alu instid0(VALU_DEP_4) | instskip(NEXT) | instid1(VALU_DEP_4)
	v_add_f64_e32 v[6:7], v[6:7], v[103:104]
	v_add_f64_e32 v[2:3], v[2:3], v[77:78]
	ds_load_b128 v[65:68], v1 offset:656
	ds_load_b128 v[77:80], v1 offset:672
	s_wait_loadcnt_dscnt 0x701
	v_mul_f64_e32 v[83:84], v[65:66], v[95:96]
	v_mul_f64_e32 v[95:96], v[67:68], v[95:96]
	v_add_f64_e32 v[6:7], v[6:7], v[113:114]
	v_add_f64_e32 v[2:3], v[2:3], v[81:82]
	s_wait_loadcnt_dscnt 0x500
	v_mul_f64_e32 v[87:88], v[77:78], v[10:11]
	v_mul_f64_e32 v[10:11], v[79:80], v[10:11]
	v_fma_f64 v[103:104], v[67:68], v[93:94], v[83:84]
	v_fma_f64 v[93:94], v[65:66], v[93:94], -v[95:96]
	ds_load_b128 v[65:68], v1 offset:688
	ds_load_b128 v[81:84], v1 offset:704
	v_add_f64_e32 v[6:7], v[6:7], v[101:102]
	v_add_f64_e32 v[2:3], v[2:3], v[85:86]
	v_fma_f64 v[79:80], v[79:80], v[8:9], v[87:88]
	v_fma_f64 v[8:9], v[77:78], v[8:9], -v[10:11]
	s_wait_loadcnt_dscnt 0x401
	v_mul_f64_e32 v[85:86], v[65:66], v[107:108]
	v_mul_f64_e32 v[95:96], v[67:68], v[107:108]
	v_add_f64_e32 v[6:7], v[6:7], v[103:104]
	v_add_f64_e32 v[2:3], v[2:3], v[93:94]
	s_wait_loadcnt_dscnt 0x300
	v_mul_f64_e32 v[10:11], v[81:82], v[63:64]
	v_mul_f64_e32 v[77:78], v[83:84], v[63:64]
	v_fma_f64 v[67:68], v[67:68], v[105:106], v[85:86]
	v_fma_f64 v[85:86], v[65:66], v[105:106], -v[95:96]
	v_add_f64_e32 v[79:80], v[6:7], v[79:80]
	v_add_f64_e32 v[2:3], v[2:3], v[8:9]
	ds_load_b128 v[6:9], v1 offset:720
	ds_load_b128 v[63:66], v1 offset:736
	v_fma_f64 v[10:11], v[83:84], v[61:62], v[10:11]
	v_fma_f64 v[61:62], v[81:82], v[61:62], -v[77:78]
	s_wait_loadcnt_dscnt 0x201
	v_mul_f64_e32 v[87:88], v[6:7], v[91:92]
	v_mul_f64_e32 v[91:92], v[8:9], v[91:92]
	v_add_f64_e32 v[67:68], v[79:80], v[67:68]
	v_add_f64_e32 v[2:3], v[2:3], v[85:86]
	s_wait_loadcnt_dscnt 0x100
	v_mul_f64_e32 v[77:78], v[63:64], v[71:72]
	v_mul_f64_e32 v[71:72], v[65:66], v[71:72]
	v_fma_f64 v[79:80], v[8:9], v[89:90], v[87:88]
	v_fma_f64 v[81:82], v[6:7], v[89:90], -v[91:92]
	ds_load_b128 v[6:9], v1 offset:752
	v_add_f64_e32 v[10:11], v[67:68], v[10:11]
	v_add_f64_e32 v[2:3], v[2:3], v[61:62]
	v_fma_f64 v[65:66], v[65:66], v[69:70], v[77:78]
	v_fma_f64 v[63:64], v[63:64], v[69:70], -v[71:72]
	s_wait_loadcnt_dscnt 0x0
	v_mul_f64_e32 v[61:62], v[6:7], v[75:76]
	v_mul_f64_e32 v[67:68], v[8:9], v[75:76]
	v_add_f64_e32 v[10:11], v[10:11], v[79:80]
	v_add_f64_e32 v[2:3], v[2:3], v[81:82]
	s_delay_alu instid0(VALU_DEP_4) | instskip(NEXT) | instid1(VALU_DEP_4)
	v_fma_f64 v[8:9], v[8:9], v[73:74], v[61:62]
	v_fma_f64 v[6:7], v[6:7], v[73:74], -v[67:68]
	s_delay_alu instid0(VALU_DEP_4) | instskip(NEXT) | instid1(VALU_DEP_4)
	v_add_f64_e32 v[10:11], v[10:11], v[65:66]
	v_add_f64_e32 v[2:3], v[2:3], v[63:64]
	s_delay_alu instid0(VALU_DEP_2) | instskip(NEXT) | instid1(VALU_DEP_2)
	v_add_f64_e32 v[8:9], v[10:11], v[8:9]
	v_add_f64_e32 v[2:3], v[2:3], v[6:7]
	s_delay_alu instid0(VALU_DEP_2) | instskip(NEXT) | instid1(VALU_DEP_2)
	v_add_f64_e64 v[8:9], v[99:100], -v[8:9]
	v_add_f64_e64 v[6:7], v[97:98], -v[2:3]
	scratch_store_b128 off, v[6:9], off offset:144
	v_cmpx_lt_u32_e32 7, v0
	s_cbranch_execz .LBB87_143
; %bb.142:
	scratch_load_b128 v[6:9], off, s5
	v_dual_mov_b32 v2, v1 :: v_dual_mov_b32 v3, v1
	v_mov_b32_e32 v4, v1
	scratch_store_b128 off, v[1:4], off offset:128
	s_wait_loadcnt 0x0
	ds_store_b128 v5, v[6:9]
.LBB87_143:
	s_wait_alu 0xfffe
	s_or_b32 exec_lo, exec_lo, s0
	s_wait_storecnt_dscnt 0x0
	s_barrier_signal -1
	s_barrier_wait -1
	global_inv scope:SCOPE_SE
	s_clause 0x8
	scratch_load_b128 v[6:9], off, off offset:144
	scratch_load_b128 v[61:64], off, off offset:160
	;; [unrolled: 1-line block ×9, first 2 shown]
	ds_load_b128 v[93:96], v1 offset:512
	ds_load_b128 v[97:100], v1 offset:528
	scratch_load_b128 v[101:104], off, off offset:128
	s_mov_b32 s0, exec_lo
	ds_load_b128 v[109:112], v1 offset:560
	s_wait_loadcnt_dscnt 0x902
	v_mul_f64_e32 v[2:3], v[95:96], v[8:9]
	v_mul_f64_e32 v[105:106], v[93:94], v[8:9]
	scratch_load_b128 v[8:11], off, off offset:288
	s_wait_loadcnt_dscnt 0x901
	v_mul_f64_e32 v[113:114], v[97:98], v[63:64]
	v_mul_f64_e32 v[63:64], v[99:100], v[63:64]
	v_fma_f64 v[2:3], v[93:94], v[6:7], -v[2:3]
	v_fma_f64 v[6:7], v[95:96], v[6:7], v[105:106]
	ds_load_b128 v[93:96], v1 offset:544
	scratch_load_b128 v[105:108], off, off offset:304
	v_fma_f64 v[99:100], v[99:100], v[61:62], v[113:114]
	v_fma_f64 v[97:98], v[97:98], v[61:62], -v[63:64]
	scratch_load_b128 v[61:64], off, off offset:320
	s_wait_loadcnt_dscnt 0x901
	v_mul_f64_e32 v[113:114], v[109:110], v[71:72]
	v_mul_f64_e32 v[71:72], v[111:112], v[71:72]
	s_wait_dscnt 0x0
	v_mul_f64_e32 v[115:116], v[93:94], v[67:68]
	v_mul_f64_e32 v[67:68], v[95:96], v[67:68]
	v_add_f64_e32 v[2:3], 0, v[2:3]
	v_add_f64_e32 v[6:7], 0, v[6:7]
	v_fma_f64 v[111:112], v[111:112], v[69:70], v[113:114]
	v_fma_f64 v[109:110], v[109:110], v[69:70], -v[71:72]
	scratch_load_b128 v[69:72], off, off offset:352
	v_fma_f64 v[115:116], v[95:96], v[65:66], v[115:116]
	v_fma_f64 v[117:118], v[93:94], v[65:66], -v[67:68]
	ds_load_b128 v[65:68], v1 offset:576
	scratch_load_b128 v[93:96], off, off offset:336
	v_add_f64_e32 v[2:3], v[2:3], v[97:98]
	v_add_f64_e32 v[6:7], v[6:7], v[99:100]
	ds_load_b128 v[97:100], v1 offset:592
	s_wait_loadcnt_dscnt 0xa01
	v_mul_f64_e32 v[119:120], v[65:66], v[75:76]
	v_mul_f64_e32 v[75:76], v[67:68], v[75:76]
	s_wait_loadcnt_dscnt 0x900
	v_mul_f64_e32 v[113:114], v[97:98], v[79:80]
	v_mul_f64_e32 v[79:80], v[99:100], v[79:80]
	v_add_f64_e32 v[2:3], v[2:3], v[117:118]
	v_add_f64_e32 v[6:7], v[6:7], v[115:116]
	v_fma_f64 v[115:116], v[67:68], v[73:74], v[119:120]
	v_fma_f64 v[117:118], v[65:66], v[73:74], -v[75:76]
	ds_load_b128 v[65:68], v1 offset:608
	scratch_load_b128 v[73:76], off, off offset:368
	v_fma_f64 v[99:100], v[99:100], v[77:78], v[113:114]
	v_fma_f64 v[97:98], v[97:98], v[77:78], -v[79:80]
	scratch_load_b128 v[77:80], off, off offset:384
	v_add_f64_e32 v[2:3], v[2:3], v[109:110]
	v_add_f64_e32 v[6:7], v[6:7], v[111:112]
	ds_load_b128 v[109:112], v1 offset:624
	s_wait_loadcnt_dscnt 0xa01
	v_mul_f64_e32 v[119:120], v[65:66], v[83:84]
	v_mul_f64_e32 v[83:84], v[67:68], v[83:84]
	s_wait_loadcnt_dscnt 0x900
	v_mul_f64_e32 v[113:114], v[109:110], v[87:88]
	v_mul_f64_e32 v[87:88], v[111:112], v[87:88]
	v_add_f64_e32 v[2:3], v[2:3], v[117:118]
	v_add_f64_e32 v[6:7], v[6:7], v[115:116]
	v_fma_f64 v[115:116], v[67:68], v[81:82], v[119:120]
	v_fma_f64 v[117:118], v[65:66], v[81:82], -v[83:84]
	ds_load_b128 v[65:68], v1 offset:640
	ds_load_b128 v[81:84], v1 offset:656
	v_add_f64_e32 v[2:3], v[2:3], v[97:98]
	v_add_f64_e32 v[6:7], v[6:7], v[99:100]
	s_wait_loadcnt_dscnt 0x801
	v_mul_f64_e32 v[97:98], v[65:66], v[91:92]
	v_mul_f64_e32 v[91:92], v[67:68], v[91:92]
	v_fma_f64 v[99:100], v[111:112], v[85:86], v[113:114]
	v_fma_f64 v[85:86], v[109:110], v[85:86], -v[87:88]
	v_add_f64_e32 v[2:3], v[2:3], v[117:118]
	v_add_f64_e32 v[6:7], v[6:7], v[115:116]
	v_fma_f64 v[97:98], v[67:68], v[89:90], v[97:98]
	v_fma_f64 v[89:90], v[65:66], v[89:90], -v[91:92]
	s_wait_loadcnt_dscnt 0x600
	v_mul_f64_e32 v[109:110], v[81:82], v[10:11]
	v_mul_f64_e32 v[10:11], v[83:84], v[10:11]
	v_add_f64_e32 v[2:3], v[2:3], v[85:86]
	v_add_f64_e32 v[6:7], v[6:7], v[99:100]
	ds_load_b128 v[65:68], v1 offset:672
	ds_load_b128 v[85:88], v1 offset:688
	v_fma_f64 v[83:84], v[83:84], v[8:9], v[109:110]
	v_fma_f64 v[8:9], v[81:82], v[8:9], -v[10:11]
	s_wait_loadcnt_dscnt 0x501
	v_mul_f64_e32 v[91:92], v[65:66], v[107:108]
	v_mul_f64_e32 v[99:100], v[67:68], v[107:108]
	s_wait_loadcnt_dscnt 0x400
	v_mul_f64_e32 v[10:11], v[85:86], v[63:64]
	v_mul_f64_e32 v[81:82], v[87:88], v[63:64]
	v_add_f64_e32 v[2:3], v[2:3], v[89:90]
	v_add_f64_e32 v[6:7], v[6:7], v[97:98]
	v_fma_f64 v[67:68], v[67:68], v[105:106], v[91:92]
	v_fma_f64 v[89:90], v[65:66], v[105:106], -v[99:100]
	v_fma_f64 v[10:11], v[87:88], v[61:62], v[10:11]
	v_fma_f64 v[61:62], v[85:86], v[61:62], -v[81:82]
	v_add_f64_e32 v[2:3], v[2:3], v[8:9]
	v_add_f64_e32 v[83:84], v[6:7], v[83:84]
	ds_load_b128 v[6:9], v1 offset:704
	ds_load_b128 v[63:66], v1 offset:720
	s_wait_loadcnt_dscnt 0x201
	v_mul_f64_e32 v[91:92], v[6:7], v[95:96]
	v_mul_f64_e32 v[95:96], v[8:9], v[95:96]
	s_wait_dscnt 0x0
	v_mul_f64_e32 v[81:82], v[63:64], v[71:72]
	v_mul_f64_e32 v[71:72], v[65:66], v[71:72]
	v_add_f64_e32 v[2:3], v[2:3], v[89:90]
	v_add_f64_e32 v[67:68], v[83:84], v[67:68]
	v_fma_f64 v[83:84], v[8:9], v[93:94], v[91:92]
	v_fma_f64 v[85:86], v[6:7], v[93:94], -v[95:96]
	v_fma_f64 v[65:66], v[65:66], v[69:70], v[81:82]
	v_fma_f64 v[63:64], v[63:64], v[69:70], -v[71:72]
	v_add_f64_e32 v[61:62], v[2:3], v[61:62]
	v_add_f64_e32 v[10:11], v[67:68], v[10:11]
	ds_load_b128 v[6:9], v1 offset:736
	ds_load_b128 v[1:4], v1 offset:752
	s_wait_loadcnt_dscnt 0x101
	v_mul_f64_e32 v[67:68], v[6:7], v[75:76]
	v_mul_f64_e32 v[75:76], v[8:9], v[75:76]
	s_wait_loadcnt_dscnt 0x0
	v_mul_f64_e32 v[69:70], v[1:2], v[79:80]
	v_mul_f64_e32 v[71:72], v[3:4], v[79:80]
	v_add_f64_e32 v[61:62], v[61:62], v[85:86]
	v_add_f64_e32 v[10:11], v[10:11], v[83:84]
	v_fma_f64 v[8:9], v[8:9], v[73:74], v[67:68]
	v_fma_f64 v[6:7], v[6:7], v[73:74], -v[75:76]
	v_fma_f64 v[3:4], v[3:4], v[77:78], v[69:70]
	v_fma_f64 v[1:2], v[1:2], v[77:78], -v[71:72]
	v_add_f64_e32 v[61:62], v[61:62], v[63:64]
	v_add_f64_e32 v[10:11], v[10:11], v[65:66]
	s_delay_alu instid0(VALU_DEP_2) | instskip(NEXT) | instid1(VALU_DEP_2)
	v_add_f64_e32 v[6:7], v[61:62], v[6:7]
	v_add_f64_e32 v[8:9], v[10:11], v[8:9]
	s_delay_alu instid0(VALU_DEP_2) | instskip(NEXT) | instid1(VALU_DEP_2)
	;; [unrolled: 3-line block ×3, first 2 shown]
	v_add_f64_e64 v[1:2], v[101:102], -v[1:2]
	v_add_f64_e64 v[3:4], v[103:104], -v[3:4]
	scratch_store_b128 off, v[1:4], off offset:128
	v_cmpx_lt_u32_e32 6, v0
	s_cbranch_execz .LBB87_145
; %bb.144:
	scratch_load_b128 v[1:4], off, s21
	v_mov_b32_e32 v6, 0
	s_delay_alu instid0(VALU_DEP_1)
	v_dual_mov_b32 v7, v6 :: v_dual_mov_b32 v8, v6
	v_mov_b32_e32 v9, v6
	scratch_store_b128 off, v[6:9], off offset:112
	s_wait_loadcnt 0x0
	ds_store_b128 v5, v[1:4]
.LBB87_145:
	s_wait_alu 0xfffe
	s_or_b32 exec_lo, exec_lo, s0
	s_wait_storecnt_dscnt 0x0
	s_barrier_signal -1
	s_barrier_wait -1
	global_inv scope:SCOPE_SE
	s_clause 0x7
	scratch_load_b128 v[6:9], off, off offset:128
	scratch_load_b128 v[61:64], off, off offset:144
	;; [unrolled: 1-line block ×8, first 2 shown]
	v_mov_b32_e32 v1, 0
	s_mov_b32 s0, exec_lo
	ds_load_b128 v[89:92], v1 offset:496
	s_clause 0x1
	scratch_load_b128 v[93:96], off, off offset:256
	scratch_load_b128 v[97:100], off, off offset:112
	ds_load_b128 v[101:104], v1 offset:512
	ds_load_b128 v[109:112], v1 offset:544
	s_wait_loadcnt_dscnt 0x902
	v_mul_f64_e32 v[2:3], v[91:92], v[8:9]
	v_mul_f64_e32 v[105:106], v[89:90], v[8:9]
	scratch_load_b128 v[8:11], off, off offset:272
	v_fma_f64 v[2:3], v[89:90], v[6:7], -v[2:3]
	v_fma_f64 v[6:7], v[91:92], v[6:7], v[105:106]
	ds_load_b128 v[89:92], v1 offset:528
	s_wait_loadcnt_dscnt 0x902
	v_mul_f64_e32 v[113:114], v[101:102], v[63:64]
	v_mul_f64_e32 v[63:64], v[103:104], v[63:64]
	scratch_load_b128 v[105:108], off, off offset:288
	s_wait_loadcnt_dscnt 0x900
	v_mul_f64_e32 v[115:116], v[89:90], v[67:68]
	v_mul_f64_e32 v[67:68], v[91:92], v[67:68]
	v_add_f64_e32 v[2:3], 0, v[2:3]
	v_add_f64_e32 v[6:7], 0, v[6:7]
	v_fma_f64 v[103:104], v[103:104], v[61:62], v[113:114]
	v_fma_f64 v[101:102], v[101:102], v[61:62], -v[63:64]
	scratch_load_b128 v[61:64], off, off offset:304
	v_fma_f64 v[115:116], v[91:92], v[65:66], v[115:116]
	v_fma_f64 v[117:118], v[89:90], v[65:66], -v[67:68]
	ds_load_b128 v[65:68], v1 offset:560
	s_wait_loadcnt 0x9
	v_mul_f64_e32 v[113:114], v[109:110], v[71:72]
	v_mul_f64_e32 v[71:72], v[111:112], v[71:72]
	scratch_load_b128 v[89:92], off, off offset:320
	v_add_f64_e32 v[6:7], v[6:7], v[103:104]
	v_add_f64_e32 v[2:3], v[2:3], v[101:102]
	ds_load_b128 v[101:104], v1 offset:576
	s_wait_loadcnt_dscnt 0x901
	v_mul_f64_e32 v[119:120], v[65:66], v[75:76]
	v_mul_f64_e32 v[75:76], v[67:68], v[75:76]
	v_fma_f64 v[111:112], v[111:112], v[69:70], v[113:114]
	v_fma_f64 v[109:110], v[109:110], v[69:70], -v[71:72]
	scratch_load_b128 v[69:72], off, off offset:336
	v_add_f64_e32 v[6:7], v[6:7], v[115:116]
	v_add_f64_e32 v[2:3], v[2:3], v[117:118]
	v_fma_f64 v[115:116], v[67:68], v[73:74], v[119:120]
	v_fma_f64 v[117:118], v[65:66], v[73:74], -v[75:76]
	ds_load_b128 v[65:68], v1 offset:592
	s_wait_loadcnt_dscnt 0x901
	v_mul_f64_e32 v[113:114], v[101:102], v[79:80]
	v_mul_f64_e32 v[79:80], v[103:104], v[79:80]
	scratch_load_b128 v[73:76], off, off offset:352
	s_wait_loadcnt_dscnt 0x900
	v_mul_f64_e32 v[119:120], v[65:66], v[83:84]
	v_mul_f64_e32 v[83:84], v[67:68], v[83:84]
	v_add_f64_e32 v[6:7], v[6:7], v[111:112]
	v_add_f64_e32 v[2:3], v[2:3], v[109:110]
	ds_load_b128 v[109:112], v1 offset:608
	v_fma_f64 v[103:104], v[103:104], v[77:78], v[113:114]
	v_fma_f64 v[101:102], v[101:102], v[77:78], -v[79:80]
	scratch_load_b128 v[77:80], off, off offset:368
	v_add_f64_e32 v[6:7], v[6:7], v[115:116]
	v_add_f64_e32 v[2:3], v[2:3], v[117:118]
	v_fma_f64 v[115:116], v[67:68], v[81:82], v[119:120]
	v_fma_f64 v[117:118], v[65:66], v[81:82], -v[83:84]
	ds_load_b128 v[65:68], v1 offset:624
	s_wait_loadcnt_dscnt 0x901
	v_mul_f64_e32 v[113:114], v[109:110], v[87:88]
	v_mul_f64_e32 v[87:88], v[111:112], v[87:88]
	scratch_load_b128 v[81:84], off, off offset:384
	s_wait_loadcnt_dscnt 0x900
	v_mul_f64_e32 v[119:120], v[65:66], v[95:96]
	v_mul_f64_e32 v[95:96], v[67:68], v[95:96]
	v_add_f64_e32 v[6:7], v[6:7], v[103:104]
	v_add_f64_e32 v[2:3], v[2:3], v[101:102]
	ds_load_b128 v[101:104], v1 offset:640
	v_fma_f64 v[111:112], v[111:112], v[85:86], v[113:114]
	v_fma_f64 v[85:86], v[109:110], v[85:86], -v[87:88]
	v_fma_f64 v[113:114], v[67:68], v[93:94], v[119:120]
	v_fma_f64 v[93:94], v[65:66], v[93:94], -v[95:96]
	v_add_f64_e32 v[6:7], v[6:7], v[115:116]
	v_add_f64_e32 v[2:3], v[2:3], v[117:118]
	s_wait_loadcnt_dscnt 0x700
	v_mul_f64_e32 v[109:110], v[101:102], v[10:11]
	v_mul_f64_e32 v[10:11], v[103:104], v[10:11]
	s_delay_alu instid0(VALU_DEP_4) | instskip(NEXT) | instid1(VALU_DEP_4)
	v_add_f64_e32 v[6:7], v[6:7], v[111:112]
	v_add_f64_e32 v[2:3], v[2:3], v[85:86]
	ds_load_b128 v[65:68], v1 offset:656
	ds_load_b128 v[85:88], v1 offset:672
	v_fma_f64 v[103:104], v[103:104], v[8:9], v[109:110]
	v_fma_f64 v[8:9], v[101:102], v[8:9], -v[10:11]
	s_wait_loadcnt_dscnt 0x601
	v_mul_f64_e32 v[95:96], v[65:66], v[107:108]
	v_mul_f64_e32 v[107:108], v[67:68], v[107:108]
	v_add_f64_e32 v[6:7], v[6:7], v[113:114]
	v_add_f64_e32 v[2:3], v[2:3], v[93:94]
	s_wait_loadcnt_dscnt 0x500
	v_mul_f64_e32 v[10:11], v[85:86], v[63:64]
	v_mul_f64_e32 v[93:94], v[87:88], v[63:64]
	v_fma_f64 v[67:68], v[67:68], v[105:106], v[95:96]
	v_fma_f64 v[95:96], v[65:66], v[105:106], -v[107:108]
	v_add_f64_e32 v[101:102], v[6:7], v[103:104]
	v_add_f64_e32 v[2:3], v[2:3], v[8:9]
	ds_load_b128 v[6:9], v1 offset:688
	ds_load_b128 v[63:66], v1 offset:704
	v_fma_f64 v[10:11], v[87:88], v[61:62], v[10:11]
	v_fma_f64 v[61:62], v[85:86], v[61:62], -v[93:94]
	s_wait_loadcnt_dscnt 0x401
	v_mul_f64_e32 v[103:104], v[6:7], v[91:92]
	v_mul_f64_e32 v[91:92], v[8:9], v[91:92]
	v_add_f64_e32 v[67:68], v[101:102], v[67:68]
	v_add_f64_e32 v[2:3], v[2:3], v[95:96]
	s_wait_loadcnt_dscnt 0x300
	v_mul_f64_e32 v[93:94], v[63:64], v[71:72]
	v_mul_f64_e32 v[71:72], v[65:66], v[71:72]
	v_fma_f64 v[95:96], v[8:9], v[89:90], v[103:104]
	v_fma_f64 v[89:90], v[6:7], v[89:90], -v[91:92]
	ds_load_b128 v[6:9], v1 offset:720
	ds_load_b128 v[85:88], v1 offset:736
	v_add_f64_e32 v[10:11], v[67:68], v[10:11]
	v_add_f64_e32 v[2:3], v[2:3], v[61:62]
	v_fma_f64 v[65:66], v[65:66], v[69:70], v[93:94]
	v_fma_f64 v[63:64], v[63:64], v[69:70], -v[71:72]
	s_wait_loadcnt_dscnt 0x201
	v_mul_f64_e32 v[61:62], v[6:7], v[75:76]
	v_mul_f64_e32 v[67:68], v[8:9], v[75:76]
	s_wait_loadcnt_dscnt 0x100
	v_mul_f64_e32 v[69:70], v[85:86], v[79:80]
	v_mul_f64_e32 v[71:72], v[87:88], v[79:80]
	v_add_f64_e32 v[10:11], v[10:11], v[95:96]
	v_add_f64_e32 v[2:3], v[2:3], v[89:90]
	v_fma_f64 v[61:62], v[8:9], v[73:74], v[61:62]
	v_fma_f64 v[67:68], v[6:7], v[73:74], -v[67:68]
	ds_load_b128 v[6:9], v1 offset:752
	v_fma_f64 v[69:70], v[87:88], v[77:78], v[69:70]
	v_fma_f64 v[71:72], v[85:86], v[77:78], -v[71:72]
	v_add_f64_e32 v[10:11], v[10:11], v[65:66]
	v_add_f64_e32 v[2:3], v[2:3], v[63:64]
	s_wait_loadcnt_dscnt 0x0
	v_mul_f64_e32 v[63:64], v[6:7], v[83:84]
	v_mul_f64_e32 v[65:66], v[8:9], v[83:84]
	s_delay_alu instid0(VALU_DEP_4) | instskip(NEXT) | instid1(VALU_DEP_4)
	v_add_f64_e32 v[10:11], v[10:11], v[61:62]
	v_add_f64_e32 v[2:3], v[2:3], v[67:68]
	s_delay_alu instid0(VALU_DEP_4) | instskip(NEXT) | instid1(VALU_DEP_4)
	v_fma_f64 v[8:9], v[8:9], v[81:82], v[63:64]
	v_fma_f64 v[6:7], v[6:7], v[81:82], -v[65:66]
	s_delay_alu instid0(VALU_DEP_4) | instskip(NEXT) | instid1(VALU_DEP_4)
	v_add_f64_e32 v[10:11], v[10:11], v[69:70]
	v_add_f64_e32 v[2:3], v[2:3], v[71:72]
	s_delay_alu instid0(VALU_DEP_2) | instskip(NEXT) | instid1(VALU_DEP_2)
	v_add_f64_e32 v[8:9], v[10:11], v[8:9]
	v_add_f64_e32 v[2:3], v[2:3], v[6:7]
	s_delay_alu instid0(VALU_DEP_2) | instskip(NEXT) | instid1(VALU_DEP_2)
	v_add_f64_e64 v[8:9], v[99:100], -v[8:9]
	v_add_f64_e64 v[6:7], v[97:98], -v[2:3]
	scratch_store_b128 off, v[6:9], off offset:112
	v_cmpx_lt_u32_e32 5, v0
	s_cbranch_execz .LBB87_147
; %bb.146:
	scratch_load_b128 v[6:9], off, s4
	v_dual_mov_b32 v2, v1 :: v_dual_mov_b32 v3, v1
	v_mov_b32_e32 v4, v1
	scratch_store_b128 off, v[1:4], off offset:96
	s_wait_loadcnt 0x0
	ds_store_b128 v5, v[6:9]
.LBB87_147:
	s_wait_alu 0xfffe
	s_or_b32 exec_lo, exec_lo, s0
	s_wait_storecnt_dscnt 0x0
	s_barrier_signal -1
	s_barrier_wait -1
	global_inv scope:SCOPE_SE
	s_clause 0x8
	scratch_load_b128 v[6:9], off, off offset:112
	scratch_load_b128 v[61:64], off, off offset:128
	;; [unrolled: 1-line block ×9, first 2 shown]
	ds_load_b128 v[93:96], v1 offset:480
	ds_load_b128 v[97:100], v1 offset:496
	scratch_load_b128 v[101:104], off, off offset:96
	s_mov_b32 s0, exec_lo
	ds_load_b128 v[109:112], v1 offset:528
	s_wait_loadcnt_dscnt 0x902
	v_mul_f64_e32 v[2:3], v[95:96], v[8:9]
	v_mul_f64_e32 v[105:106], v[93:94], v[8:9]
	scratch_load_b128 v[8:11], off, off offset:256
	s_wait_loadcnt_dscnt 0x901
	v_mul_f64_e32 v[113:114], v[97:98], v[63:64]
	v_mul_f64_e32 v[63:64], v[99:100], v[63:64]
	v_fma_f64 v[2:3], v[93:94], v[6:7], -v[2:3]
	v_fma_f64 v[6:7], v[95:96], v[6:7], v[105:106]
	ds_load_b128 v[93:96], v1 offset:512
	scratch_load_b128 v[105:108], off, off offset:272
	v_fma_f64 v[99:100], v[99:100], v[61:62], v[113:114]
	v_fma_f64 v[97:98], v[97:98], v[61:62], -v[63:64]
	scratch_load_b128 v[61:64], off, off offset:288
	s_wait_loadcnt_dscnt 0x901
	v_mul_f64_e32 v[113:114], v[109:110], v[71:72]
	v_mul_f64_e32 v[71:72], v[111:112], v[71:72]
	s_wait_dscnt 0x0
	v_mul_f64_e32 v[115:116], v[93:94], v[67:68]
	v_mul_f64_e32 v[67:68], v[95:96], v[67:68]
	v_add_f64_e32 v[2:3], 0, v[2:3]
	v_add_f64_e32 v[6:7], 0, v[6:7]
	v_fma_f64 v[111:112], v[111:112], v[69:70], v[113:114]
	v_fma_f64 v[109:110], v[109:110], v[69:70], -v[71:72]
	scratch_load_b128 v[69:72], off, off offset:320
	v_fma_f64 v[115:116], v[95:96], v[65:66], v[115:116]
	v_fma_f64 v[117:118], v[93:94], v[65:66], -v[67:68]
	ds_load_b128 v[65:68], v1 offset:544
	scratch_load_b128 v[93:96], off, off offset:304
	v_add_f64_e32 v[2:3], v[2:3], v[97:98]
	v_add_f64_e32 v[6:7], v[6:7], v[99:100]
	ds_load_b128 v[97:100], v1 offset:560
	s_wait_loadcnt_dscnt 0xa01
	v_mul_f64_e32 v[119:120], v[65:66], v[75:76]
	v_mul_f64_e32 v[75:76], v[67:68], v[75:76]
	s_wait_loadcnt_dscnt 0x900
	v_mul_f64_e32 v[113:114], v[97:98], v[79:80]
	v_mul_f64_e32 v[79:80], v[99:100], v[79:80]
	v_add_f64_e32 v[2:3], v[2:3], v[117:118]
	v_add_f64_e32 v[6:7], v[6:7], v[115:116]
	v_fma_f64 v[115:116], v[67:68], v[73:74], v[119:120]
	v_fma_f64 v[117:118], v[65:66], v[73:74], -v[75:76]
	ds_load_b128 v[65:68], v1 offset:576
	scratch_load_b128 v[73:76], off, off offset:336
	v_fma_f64 v[99:100], v[99:100], v[77:78], v[113:114]
	v_fma_f64 v[97:98], v[97:98], v[77:78], -v[79:80]
	scratch_load_b128 v[77:80], off, off offset:352
	v_add_f64_e32 v[2:3], v[2:3], v[109:110]
	v_add_f64_e32 v[6:7], v[6:7], v[111:112]
	ds_load_b128 v[109:112], v1 offset:592
	s_wait_loadcnt_dscnt 0xa01
	v_mul_f64_e32 v[119:120], v[65:66], v[83:84]
	v_mul_f64_e32 v[83:84], v[67:68], v[83:84]
	s_wait_loadcnt_dscnt 0x900
	v_mul_f64_e32 v[113:114], v[109:110], v[87:88]
	v_mul_f64_e32 v[87:88], v[111:112], v[87:88]
	v_add_f64_e32 v[2:3], v[2:3], v[117:118]
	v_add_f64_e32 v[6:7], v[6:7], v[115:116]
	v_fma_f64 v[115:116], v[67:68], v[81:82], v[119:120]
	v_fma_f64 v[117:118], v[65:66], v[81:82], -v[83:84]
	ds_load_b128 v[65:68], v1 offset:608
	scratch_load_b128 v[81:84], off, off offset:368
	v_fma_f64 v[111:112], v[111:112], v[85:86], v[113:114]
	v_fma_f64 v[109:110], v[109:110], v[85:86], -v[87:88]
	scratch_load_b128 v[85:88], off, off offset:384
	v_add_f64_e32 v[2:3], v[2:3], v[97:98]
	v_add_f64_e32 v[6:7], v[6:7], v[99:100]
	ds_load_b128 v[97:100], v1 offset:624
	s_wait_loadcnt_dscnt 0xa01
	v_mul_f64_e32 v[119:120], v[65:66], v[91:92]
	v_mul_f64_e32 v[91:92], v[67:68], v[91:92]
	v_add_f64_e32 v[2:3], v[2:3], v[117:118]
	v_add_f64_e32 v[6:7], v[6:7], v[115:116]
	s_delay_alu instid0(VALU_DEP_4) | instskip(NEXT) | instid1(VALU_DEP_4)
	v_fma_f64 v[115:116], v[67:68], v[89:90], v[119:120]
	v_fma_f64 v[117:118], v[65:66], v[89:90], -v[91:92]
	ds_load_b128 v[65:68], v1 offset:640
	ds_load_b128 v[89:92], v1 offset:656
	s_wait_loadcnt_dscnt 0x802
	v_mul_f64_e32 v[113:114], v[97:98], v[10:11]
	v_mul_f64_e32 v[10:11], v[99:100], v[10:11]
	v_add_f64_e32 v[2:3], v[2:3], v[109:110]
	v_add_f64_e32 v[6:7], v[6:7], v[111:112]
	s_delay_alu instid0(VALU_DEP_4)
	v_fma_f64 v[99:100], v[99:100], v[8:9], v[113:114]
	s_wait_loadcnt_dscnt 0x701
	v_mul_f64_e32 v[109:110], v[65:66], v[107:108]
	v_mul_f64_e32 v[107:108], v[67:68], v[107:108]
	v_fma_f64 v[8:9], v[97:98], v[8:9], -v[10:11]
	s_wait_loadcnt_dscnt 0x600
	v_mul_f64_e32 v[10:11], v[89:90], v[63:64]
	v_mul_f64_e32 v[97:98], v[91:92], v[63:64]
	v_add_f64_e32 v[2:3], v[2:3], v[117:118]
	v_add_f64_e32 v[6:7], v[6:7], v[115:116]
	v_fma_f64 v[67:68], v[67:68], v[105:106], v[109:110]
	v_fma_f64 v[105:106], v[65:66], v[105:106], -v[107:108]
	v_fma_f64 v[10:11], v[91:92], v[61:62], v[10:11]
	v_fma_f64 v[61:62], v[89:90], v[61:62], -v[97:98]
	v_add_f64_e32 v[2:3], v[2:3], v[8:9]
	v_add_f64_e32 v[99:100], v[6:7], v[99:100]
	ds_load_b128 v[6:9], v1 offset:672
	ds_load_b128 v[63:66], v1 offset:688
	s_wait_loadcnt_dscnt 0x401
	v_mul_f64_e32 v[107:108], v[6:7], v[95:96]
	v_mul_f64_e32 v[95:96], v[8:9], v[95:96]
	s_wait_dscnt 0x0
	v_mul_f64_e32 v[97:98], v[63:64], v[71:72]
	v_mul_f64_e32 v[71:72], v[65:66], v[71:72]
	v_add_f64_e32 v[2:3], v[2:3], v[105:106]
	v_add_f64_e32 v[67:68], v[99:100], v[67:68]
	v_fma_f64 v[99:100], v[8:9], v[93:94], v[107:108]
	v_fma_f64 v[93:94], v[6:7], v[93:94], -v[95:96]
	ds_load_b128 v[6:9], v1 offset:704
	ds_load_b128 v[89:92], v1 offset:720
	v_fma_f64 v[65:66], v[65:66], v[69:70], v[97:98]
	v_fma_f64 v[63:64], v[63:64], v[69:70], -v[71:72]
	v_add_f64_e32 v[2:3], v[2:3], v[61:62]
	v_add_f64_e32 v[10:11], v[67:68], v[10:11]
	s_wait_loadcnt_dscnt 0x301
	v_mul_f64_e32 v[61:62], v[6:7], v[75:76]
	v_mul_f64_e32 v[67:68], v[8:9], v[75:76]
	s_wait_loadcnt_dscnt 0x200
	v_mul_f64_e32 v[69:70], v[89:90], v[79:80]
	v_mul_f64_e32 v[71:72], v[91:92], v[79:80]
	v_add_f64_e32 v[2:3], v[2:3], v[93:94]
	v_add_f64_e32 v[10:11], v[10:11], v[99:100]
	v_fma_f64 v[61:62], v[8:9], v[73:74], v[61:62]
	v_fma_f64 v[67:68], v[6:7], v[73:74], -v[67:68]
	v_fma_f64 v[69:70], v[91:92], v[77:78], v[69:70]
	v_fma_f64 v[71:72], v[89:90], v[77:78], -v[71:72]
	v_add_f64_e32 v[63:64], v[2:3], v[63:64]
	v_add_f64_e32 v[10:11], v[10:11], v[65:66]
	ds_load_b128 v[6:9], v1 offset:736
	ds_load_b128 v[1:4], v1 offset:752
	s_wait_loadcnt_dscnt 0x101
	v_mul_f64_e32 v[65:66], v[6:7], v[83:84]
	v_mul_f64_e32 v[73:74], v[8:9], v[83:84]
	v_add_f64_e32 v[63:64], v[63:64], v[67:68]
	v_add_f64_e32 v[10:11], v[10:11], v[61:62]
	s_wait_loadcnt_dscnt 0x0
	v_mul_f64_e32 v[61:62], v[1:2], v[87:88]
	v_mul_f64_e32 v[67:68], v[3:4], v[87:88]
	v_fma_f64 v[8:9], v[8:9], v[81:82], v[65:66]
	v_fma_f64 v[6:7], v[6:7], v[81:82], -v[73:74]
	v_add_f64_e32 v[63:64], v[63:64], v[71:72]
	v_add_f64_e32 v[10:11], v[10:11], v[69:70]
	v_fma_f64 v[3:4], v[3:4], v[85:86], v[61:62]
	v_fma_f64 v[1:2], v[1:2], v[85:86], -v[67:68]
	s_delay_alu instid0(VALU_DEP_4) | instskip(NEXT) | instid1(VALU_DEP_4)
	v_add_f64_e32 v[6:7], v[63:64], v[6:7]
	v_add_f64_e32 v[8:9], v[10:11], v[8:9]
	s_delay_alu instid0(VALU_DEP_2) | instskip(NEXT) | instid1(VALU_DEP_2)
	v_add_f64_e32 v[1:2], v[6:7], v[1:2]
	v_add_f64_e32 v[3:4], v[8:9], v[3:4]
	s_delay_alu instid0(VALU_DEP_2) | instskip(NEXT) | instid1(VALU_DEP_2)
	v_add_f64_e64 v[1:2], v[101:102], -v[1:2]
	v_add_f64_e64 v[3:4], v[103:104], -v[3:4]
	scratch_store_b128 off, v[1:4], off offset:96
	v_cmpx_lt_u32_e32 4, v0
	s_cbranch_execz .LBB87_149
; %bb.148:
	scratch_load_b128 v[1:4], off, s20
	v_mov_b32_e32 v6, 0
	s_delay_alu instid0(VALU_DEP_1)
	v_dual_mov_b32 v7, v6 :: v_dual_mov_b32 v8, v6
	v_mov_b32_e32 v9, v6
	scratch_store_b128 off, v[6:9], off offset:80
	s_wait_loadcnt 0x0
	ds_store_b128 v5, v[1:4]
.LBB87_149:
	s_wait_alu 0xfffe
	s_or_b32 exec_lo, exec_lo, s0
	s_wait_storecnt_dscnt 0x0
	s_barrier_signal -1
	s_barrier_wait -1
	global_inv scope:SCOPE_SE
	s_clause 0x7
	scratch_load_b128 v[6:9], off, off offset:96
	scratch_load_b128 v[61:64], off, off offset:112
	;; [unrolled: 1-line block ×8, first 2 shown]
	v_mov_b32_e32 v1, 0
	s_mov_b32 s0, exec_lo
	ds_load_b128 v[89:92], v1 offset:464
	s_clause 0x1
	scratch_load_b128 v[93:96], off, off offset:224
	scratch_load_b128 v[97:100], off, off offset:80
	ds_load_b128 v[101:104], v1 offset:480
	ds_load_b128 v[109:112], v1 offset:512
	s_wait_loadcnt_dscnt 0x902
	v_mul_f64_e32 v[2:3], v[91:92], v[8:9]
	v_mul_f64_e32 v[105:106], v[89:90], v[8:9]
	scratch_load_b128 v[8:11], off, off offset:240
	v_fma_f64 v[2:3], v[89:90], v[6:7], -v[2:3]
	v_fma_f64 v[6:7], v[91:92], v[6:7], v[105:106]
	ds_load_b128 v[89:92], v1 offset:496
	s_wait_loadcnt_dscnt 0x902
	v_mul_f64_e32 v[113:114], v[101:102], v[63:64]
	v_mul_f64_e32 v[63:64], v[103:104], v[63:64]
	scratch_load_b128 v[105:108], off, off offset:256
	s_wait_loadcnt_dscnt 0x900
	v_mul_f64_e32 v[115:116], v[89:90], v[67:68]
	v_mul_f64_e32 v[67:68], v[91:92], v[67:68]
	v_add_f64_e32 v[2:3], 0, v[2:3]
	v_add_f64_e32 v[6:7], 0, v[6:7]
	v_fma_f64 v[103:104], v[103:104], v[61:62], v[113:114]
	v_fma_f64 v[101:102], v[101:102], v[61:62], -v[63:64]
	scratch_load_b128 v[61:64], off, off offset:272
	v_fma_f64 v[115:116], v[91:92], v[65:66], v[115:116]
	v_fma_f64 v[117:118], v[89:90], v[65:66], -v[67:68]
	ds_load_b128 v[65:68], v1 offset:528
	s_wait_loadcnt 0x9
	v_mul_f64_e32 v[113:114], v[109:110], v[71:72]
	v_mul_f64_e32 v[71:72], v[111:112], v[71:72]
	scratch_load_b128 v[89:92], off, off offset:288
	v_add_f64_e32 v[6:7], v[6:7], v[103:104]
	v_add_f64_e32 v[2:3], v[2:3], v[101:102]
	ds_load_b128 v[101:104], v1 offset:544
	s_wait_loadcnt_dscnt 0x901
	v_mul_f64_e32 v[119:120], v[65:66], v[75:76]
	v_mul_f64_e32 v[75:76], v[67:68], v[75:76]
	v_fma_f64 v[111:112], v[111:112], v[69:70], v[113:114]
	v_fma_f64 v[109:110], v[109:110], v[69:70], -v[71:72]
	scratch_load_b128 v[69:72], off, off offset:304
	v_add_f64_e32 v[6:7], v[6:7], v[115:116]
	v_add_f64_e32 v[2:3], v[2:3], v[117:118]
	v_fma_f64 v[115:116], v[67:68], v[73:74], v[119:120]
	v_fma_f64 v[117:118], v[65:66], v[73:74], -v[75:76]
	ds_load_b128 v[65:68], v1 offset:560
	s_wait_loadcnt_dscnt 0x901
	v_mul_f64_e32 v[113:114], v[101:102], v[79:80]
	v_mul_f64_e32 v[79:80], v[103:104], v[79:80]
	scratch_load_b128 v[73:76], off, off offset:320
	s_wait_loadcnt_dscnt 0x900
	v_mul_f64_e32 v[119:120], v[65:66], v[83:84]
	v_mul_f64_e32 v[83:84], v[67:68], v[83:84]
	v_add_f64_e32 v[6:7], v[6:7], v[111:112]
	v_add_f64_e32 v[2:3], v[2:3], v[109:110]
	ds_load_b128 v[109:112], v1 offset:576
	v_fma_f64 v[103:104], v[103:104], v[77:78], v[113:114]
	v_fma_f64 v[101:102], v[101:102], v[77:78], -v[79:80]
	scratch_load_b128 v[77:80], off, off offset:336
	v_add_f64_e32 v[6:7], v[6:7], v[115:116]
	v_add_f64_e32 v[2:3], v[2:3], v[117:118]
	v_fma_f64 v[115:116], v[67:68], v[81:82], v[119:120]
	v_fma_f64 v[117:118], v[65:66], v[81:82], -v[83:84]
	ds_load_b128 v[65:68], v1 offset:592
	s_wait_loadcnt_dscnt 0x901
	v_mul_f64_e32 v[113:114], v[109:110], v[87:88]
	v_mul_f64_e32 v[87:88], v[111:112], v[87:88]
	scratch_load_b128 v[81:84], off, off offset:352
	s_wait_loadcnt_dscnt 0x900
	v_mul_f64_e32 v[119:120], v[65:66], v[95:96]
	v_mul_f64_e32 v[95:96], v[67:68], v[95:96]
	v_add_f64_e32 v[6:7], v[6:7], v[103:104]
	v_add_f64_e32 v[2:3], v[2:3], v[101:102]
	ds_load_b128 v[101:104], v1 offset:608
	v_fma_f64 v[111:112], v[111:112], v[85:86], v[113:114]
	v_fma_f64 v[109:110], v[109:110], v[85:86], -v[87:88]
	scratch_load_b128 v[85:88], off, off offset:368
	v_add_f64_e32 v[6:7], v[6:7], v[115:116]
	v_add_f64_e32 v[2:3], v[2:3], v[117:118]
	v_fma_f64 v[115:116], v[67:68], v[93:94], v[119:120]
	v_fma_f64 v[117:118], v[65:66], v[93:94], -v[95:96]
	ds_load_b128 v[65:68], v1 offset:624
	scratch_load_b128 v[93:96], off, off offset:384
	s_wait_loadcnt_dscnt 0x901
	v_mul_f64_e32 v[113:114], v[101:102], v[10:11]
	v_mul_f64_e32 v[10:11], v[103:104], v[10:11]
	v_add_f64_e32 v[6:7], v[6:7], v[111:112]
	v_add_f64_e32 v[2:3], v[2:3], v[109:110]
	ds_load_b128 v[109:112], v1 offset:640
	v_fma_f64 v[103:104], v[103:104], v[8:9], v[113:114]
	v_fma_f64 v[8:9], v[101:102], v[8:9], -v[10:11]
	s_wait_loadcnt_dscnt 0x801
	v_mul_f64_e32 v[119:120], v[65:66], v[107:108]
	v_mul_f64_e32 v[107:108], v[67:68], v[107:108]
	v_add_f64_e32 v[6:7], v[6:7], v[115:116]
	v_add_f64_e32 v[2:3], v[2:3], v[117:118]
	s_wait_loadcnt_dscnt 0x700
	v_mul_f64_e32 v[10:11], v[109:110], v[63:64]
	v_mul_f64_e32 v[101:102], v[111:112], v[63:64]
	v_fma_f64 v[67:68], v[67:68], v[105:106], v[119:120]
	v_fma_f64 v[105:106], v[65:66], v[105:106], -v[107:108]
	v_add_f64_e32 v[103:104], v[6:7], v[103:104]
	v_add_f64_e32 v[2:3], v[2:3], v[8:9]
	ds_load_b128 v[6:9], v1 offset:656
	ds_load_b128 v[63:66], v1 offset:672
	v_fma_f64 v[10:11], v[111:112], v[61:62], v[10:11]
	v_fma_f64 v[61:62], v[109:110], v[61:62], -v[101:102]
	s_wait_loadcnt_dscnt 0x601
	v_mul_f64_e32 v[107:108], v[6:7], v[91:92]
	v_mul_f64_e32 v[91:92], v[8:9], v[91:92]
	v_add_f64_e32 v[67:68], v[103:104], v[67:68]
	v_add_f64_e32 v[2:3], v[2:3], v[105:106]
	s_wait_loadcnt_dscnt 0x500
	v_mul_f64_e32 v[101:102], v[63:64], v[71:72]
	v_mul_f64_e32 v[71:72], v[65:66], v[71:72]
	v_fma_f64 v[103:104], v[8:9], v[89:90], v[107:108]
	v_fma_f64 v[105:106], v[6:7], v[89:90], -v[91:92]
	ds_load_b128 v[6:9], v1 offset:688
	ds_load_b128 v[89:92], v1 offset:704
	v_add_f64_e32 v[10:11], v[67:68], v[10:11]
	v_add_f64_e32 v[2:3], v[2:3], v[61:62]
	v_fma_f64 v[65:66], v[65:66], v[69:70], v[101:102]
	v_fma_f64 v[63:64], v[63:64], v[69:70], -v[71:72]
	s_wait_loadcnt_dscnt 0x401
	v_mul_f64_e32 v[61:62], v[6:7], v[75:76]
	v_mul_f64_e32 v[67:68], v[8:9], v[75:76]
	s_wait_loadcnt_dscnt 0x300
	v_mul_f64_e32 v[69:70], v[89:90], v[79:80]
	v_mul_f64_e32 v[71:72], v[91:92], v[79:80]
	v_add_f64_e32 v[10:11], v[10:11], v[103:104]
	v_add_f64_e32 v[2:3], v[2:3], v[105:106]
	v_fma_f64 v[75:76], v[8:9], v[73:74], v[61:62]
	v_fma_f64 v[67:68], v[6:7], v[73:74], -v[67:68]
	v_fma_f64 v[69:70], v[91:92], v[77:78], v[69:70]
	v_fma_f64 v[71:72], v[89:90], v[77:78], -v[71:72]
	v_add_f64_e32 v[10:11], v[10:11], v[65:66]
	v_add_f64_e32 v[2:3], v[2:3], v[63:64]
	ds_load_b128 v[6:9], v1 offset:720
	ds_load_b128 v[61:64], v1 offset:736
	s_wait_loadcnt_dscnt 0x201
	v_mul_f64_e32 v[65:66], v[6:7], v[83:84]
	v_mul_f64_e32 v[73:74], v[8:9], v[83:84]
	v_add_f64_e32 v[10:11], v[10:11], v[75:76]
	v_add_f64_e32 v[2:3], v[2:3], v[67:68]
	s_wait_loadcnt_dscnt 0x100
	v_mul_f64_e32 v[67:68], v[61:62], v[87:88]
	v_mul_f64_e32 v[75:76], v[63:64], v[87:88]
	v_fma_f64 v[65:66], v[8:9], v[81:82], v[65:66]
	v_fma_f64 v[73:74], v[6:7], v[81:82], -v[73:74]
	ds_load_b128 v[6:9], v1 offset:752
	v_add_f64_e32 v[10:11], v[10:11], v[69:70]
	v_add_f64_e32 v[2:3], v[2:3], v[71:72]
	v_fma_f64 v[63:64], v[63:64], v[85:86], v[67:68]
	v_fma_f64 v[61:62], v[61:62], v[85:86], -v[75:76]
	s_wait_loadcnt_dscnt 0x0
	v_mul_f64_e32 v[69:70], v[6:7], v[95:96]
	v_mul_f64_e32 v[71:72], v[8:9], v[95:96]
	v_add_f64_e32 v[10:11], v[10:11], v[65:66]
	v_add_f64_e32 v[2:3], v[2:3], v[73:74]
	s_delay_alu instid0(VALU_DEP_4) | instskip(NEXT) | instid1(VALU_DEP_4)
	v_fma_f64 v[8:9], v[8:9], v[93:94], v[69:70]
	v_fma_f64 v[6:7], v[6:7], v[93:94], -v[71:72]
	s_delay_alu instid0(VALU_DEP_4) | instskip(NEXT) | instid1(VALU_DEP_4)
	v_add_f64_e32 v[10:11], v[10:11], v[63:64]
	v_add_f64_e32 v[2:3], v[2:3], v[61:62]
	s_delay_alu instid0(VALU_DEP_2) | instskip(NEXT) | instid1(VALU_DEP_2)
	v_add_f64_e32 v[8:9], v[10:11], v[8:9]
	v_add_f64_e32 v[2:3], v[2:3], v[6:7]
	s_delay_alu instid0(VALU_DEP_2) | instskip(NEXT) | instid1(VALU_DEP_2)
	v_add_f64_e64 v[8:9], v[99:100], -v[8:9]
	v_add_f64_e64 v[6:7], v[97:98], -v[2:3]
	scratch_store_b128 off, v[6:9], off offset:80
	v_cmpx_lt_u32_e32 3, v0
	s_cbranch_execz .LBB87_151
; %bb.150:
	scratch_load_b128 v[6:9], off, s19
	v_dual_mov_b32 v2, v1 :: v_dual_mov_b32 v3, v1
	v_mov_b32_e32 v4, v1
	scratch_store_b128 off, v[1:4], off offset:64
	s_wait_loadcnt 0x0
	ds_store_b128 v5, v[6:9]
.LBB87_151:
	s_wait_alu 0xfffe
	s_or_b32 exec_lo, exec_lo, s0
	s_wait_storecnt_dscnt 0x0
	s_barrier_signal -1
	s_barrier_wait -1
	global_inv scope:SCOPE_SE
	s_clause 0x8
	scratch_load_b128 v[6:9], off, off offset:80
	scratch_load_b128 v[61:64], off, off offset:96
	;; [unrolled: 1-line block ×9, first 2 shown]
	ds_load_b128 v[93:96], v1 offset:448
	ds_load_b128 v[97:100], v1 offset:464
	scratch_load_b128 v[101:104], off, off offset:64
	s_mov_b32 s0, exec_lo
	ds_load_b128 v[109:112], v1 offset:496
	s_wait_loadcnt_dscnt 0x902
	v_mul_f64_e32 v[2:3], v[95:96], v[8:9]
	v_mul_f64_e32 v[105:106], v[93:94], v[8:9]
	scratch_load_b128 v[8:11], off, off offset:224
	s_wait_loadcnt_dscnt 0x901
	v_mul_f64_e32 v[113:114], v[97:98], v[63:64]
	v_mul_f64_e32 v[63:64], v[99:100], v[63:64]
	v_fma_f64 v[2:3], v[93:94], v[6:7], -v[2:3]
	v_fma_f64 v[6:7], v[95:96], v[6:7], v[105:106]
	ds_load_b128 v[93:96], v1 offset:480
	scratch_load_b128 v[105:108], off, off offset:240
	v_fma_f64 v[99:100], v[99:100], v[61:62], v[113:114]
	v_fma_f64 v[97:98], v[97:98], v[61:62], -v[63:64]
	scratch_load_b128 v[61:64], off, off offset:256
	s_wait_loadcnt_dscnt 0x901
	v_mul_f64_e32 v[113:114], v[109:110], v[71:72]
	v_mul_f64_e32 v[71:72], v[111:112], v[71:72]
	s_wait_dscnt 0x0
	v_mul_f64_e32 v[115:116], v[93:94], v[67:68]
	v_mul_f64_e32 v[67:68], v[95:96], v[67:68]
	v_add_f64_e32 v[2:3], 0, v[2:3]
	v_add_f64_e32 v[6:7], 0, v[6:7]
	v_fma_f64 v[111:112], v[111:112], v[69:70], v[113:114]
	v_fma_f64 v[109:110], v[109:110], v[69:70], -v[71:72]
	scratch_load_b128 v[69:72], off, off offset:288
	v_fma_f64 v[115:116], v[95:96], v[65:66], v[115:116]
	v_fma_f64 v[117:118], v[93:94], v[65:66], -v[67:68]
	ds_load_b128 v[65:68], v1 offset:512
	scratch_load_b128 v[93:96], off, off offset:272
	v_add_f64_e32 v[2:3], v[2:3], v[97:98]
	v_add_f64_e32 v[6:7], v[6:7], v[99:100]
	ds_load_b128 v[97:100], v1 offset:528
	s_wait_loadcnt_dscnt 0xa01
	v_mul_f64_e32 v[119:120], v[65:66], v[75:76]
	v_mul_f64_e32 v[75:76], v[67:68], v[75:76]
	s_wait_loadcnt_dscnt 0x900
	v_mul_f64_e32 v[113:114], v[97:98], v[79:80]
	v_mul_f64_e32 v[79:80], v[99:100], v[79:80]
	v_add_f64_e32 v[2:3], v[2:3], v[117:118]
	v_add_f64_e32 v[6:7], v[6:7], v[115:116]
	v_fma_f64 v[115:116], v[67:68], v[73:74], v[119:120]
	v_fma_f64 v[117:118], v[65:66], v[73:74], -v[75:76]
	ds_load_b128 v[65:68], v1 offset:544
	scratch_load_b128 v[73:76], off, off offset:304
	v_fma_f64 v[99:100], v[99:100], v[77:78], v[113:114]
	v_fma_f64 v[97:98], v[97:98], v[77:78], -v[79:80]
	scratch_load_b128 v[77:80], off, off offset:320
	v_add_f64_e32 v[2:3], v[2:3], v[109:110]
	v_add_f64_e32 v[6:7], v[6:7], v[111:112]
	ds_load_b128 v[109:112], v1 offset:560
	s_wait_loadcnt_dscnt 0xa01
	v_mul_f64_e32 v[119:120], v[65:66], v[83:84]
	v_mul_f64_e32 v[83:84], v[67:68], v[83:84]
	s_wait_loadcnt_dscnt 0x900
	v_mul_f64_e32 v[113:114], v[109:110], v[87:88]
	v_mul_f64_e32 v[87:88], v[111:112], v[87:88]
	v_add_f64_e32 v[2:3], v[2:3], v[117:118]
	v_add_f64_e32 v[6:7], v[6:7], v[115:116]
	v_fma_f64 v[115:116], v[67:68], v[81:82], v[119:120]
	v_fma_f64 v[117:118], v[65:66], v[81:82], -v[83:84]
	ds_load_b128 v[65:68], v1 offset:576
	scratch_load_b128 v[81:84], off, off offset:336
	v_fma_f64 v[111:112], v[111:112], v[85:86], v[113:114]
	v_fma_f64 v[109:110], v[109:110], v[85:86], -v[87:88]
	scratch_load_b128 v[85:88], off, off offset:352
	v_add_f64_e32 v[2:3], v[2:3], v[97:98]
	v_add_f64_e32 v[6:7], v[6:7], v[99:100]
	ds_load_b128 v[97:100], v1 offset:592
	s_wait_loadcnt_dscnt 0xa01
	v_mul_f64_e32 v[119:120], v[65:66], v[91:92]
	v_mul_f64_e32 v[91:92], v[67:68], v[91:92]
	v_add_f64_e32 v[2:3], v[2:3], v[117:118]
	v_add_f64_e32 v[6:7], v[6:7], v[115:116]
	s_delay_alu instid0(VALU_DEP_4) | instskip(NEXT) | instid1(VALU_DEP_4)
	v_fma_f64 v[115:116], v[67:68], v[89:90], v[119:120]
	v_fma_f64 v[117:118], v[65:66], v[89:90], -v[91:92]
	ds_load_b128 v[65:68], v1 offset:608
	scratch_load_b128 v[89:92], off, off offset:368
	s_wait_loadcnt_dscnt 0x901
	v_mul_f64_e32 v[113:114], v[97:98], v[10:11]
	v_mul_f64_e32 v[10:11], v[99:100], v[10:11]
	v_add_f64_e32 v[2:3], v[2:3], v[109:110]
	v_add_f64_e32 v[6:7], v[6:7], v[111:112]
	ds_load_b128 v[109:112], v1 offset:624
	v_fma_f64 v[99:100], v[99:100], v[8:9], v[113:114]
	s_wait_loadcnt_dscnt 0x801
	v_mul_f64_e32 v[119:120], v[65:66], v[107:108]
	v_mul_f64_e32 v[107:108], v[67:68], v[107:108]
	v_fma_f64 v[10:11], v[97:98], v[8:9], -v[10:11]
	s_wait_loadcnt_dscnt 0x700
	v_mul_f64_e32 v[113:114], v[109:110], v[63:64]
	v_add_f64_e32 v[2:3], v[2:3], v[117:118]
	v_add_f64_e32 v[97:98], v[6:7], v[115:116]
	scratch_load_b128 v[6:9], off, off offset:384
	v_mul_f64_e32 v[115:116], v[111:112], v[63:64]
	v_fma_f64 v[67:68], v[67:68], v[105:106], v[119:120]
	v_fma_f64 v[105:106], v[65:66], v[105:106], -v[107:108]
	v_fma_f64 v[111:112], v[111:112], v[61:62], v[113:114]
	v_add_f64_e32 v[2:3], v[2:3], v[10:11]
	v_add_f64_e32 v[10:11], v[97:98], v[99:100]
	ds_load_b128 v[63:66], v1 offset:640
	ds_load_b128 v[97:100], v1 offset:656
	v_fma_f64 v[61:62], v[109:110], v[61:62], -v[115:116]
	s_wait_loadcnt_dscnt 0x601
	v_mul_f64_e32 v[107:108], v[63:64], v[95:96]
	v_mul_f64_e32 v[95:96], v[65:66], v[95:96]
	v_add_f64_e32 v[2:3], v[2:3], v[105:106]
	v_add_f64_e32 v[10:11], v[10:11], v[67:68]
	s_wait_dscnt 0x0
	v_mul_f64_e32 v[105:106], v[97:98], v[71:72]
	v_mul_f64_e32 v[71:72], v[99:100], v[71:72]
	v_fma_f64 v[107:108], v[65:66], v[93:94], v[107:108]
	v_fma_f64 v[93:94], v[63:64], v[93:94], -v[95:96]
	v_add_f64_e32 v[2:3], v[2:3], v[61:62]
	v_add_f64_e32 v[10:11], v[10:11], v[111:112]
	ds_load_b128 v[61:64], v1 offset:672
	ds_load_b128 v[65:68], v1 offset:688
	v_fma_f64 v[99:100], v[99:100], v[69:70], v[105:106]
	v_fma_f64 v[69:70], v[97:98], v[69:70], -v[71:72]
	s_wait_loadcnt_dscnt 0x501
	v_mul_f64_e32 v[95:96], v[61:62], v[75:76]
	v_mul_f64_e32 v[75:76], v[63:64], v[75:76]
	v_add_f64_e32 v[2:3], v[2:3], v[93:94]
	v_add_f64_e32 v[10:11], v[10:11], v[107:108]
	s_wait_loadcnt_dscnt 0x400
	v_mul_f64_e32 v[93:94], v[65:66], v[79:80]
	v_mul_f64_e32 v[79:80], v[67:68], v[79:80]
	v_fma_f64 v[95:96], v[63:64], v[73:74], v[95:96]
	v_fma_f64 v[73:74], v[61:62], v[73:74], -v[75:76]
	v_add_f64_e32 v[2:3], v[2:3], v[69:70]
	v_add_f64_e32 v[10:11], v[10:11], v[99:100]
	ds_load_b128 v[61:64], v1 offset:704
	ds_load_b128 v[69:72], v1 offset:720
	v_fma_f64 v[67:68], v[67:68], v[77:78], v[93:94]
	v_fma_f64 v[65:66], v[65:66], v[77:78], -v[79:80]
	s_wait_loadcnt_dscnt 0x301
	v_mul_f64_e32 v[75:76], v[61:62], v[83:84]
	v_mul_f64_e32 v[83:84], v[63:64], v[83:84]
	s_wait_loadcnt_dscnt 0x200
	v_mul_f64_e32 v[77:78], v[71:72], v[87:88]
	v_add_f64_e32 v[2:3], v[2:3], v[73:74]
	v_add_f64_e32 v[10:11], v[10:11], v[95:96]
	v_mul_f64_e32 v[73:74], v[69:70], v[87:88]
	v_fma_f64 v[75:76], v[63:64], v[81:82], v[75:76]
	v_fma_f64 v[79:80], v[61:62], v[81:82], -v[83:84]
	v_fma_f64 v[69:70], v[69:70], v[85:86], -v[77:78]
	v_add_f64_e32 v[65:66], v[2:3], v[65:66]
	v_add_f64_e32 v[10:11], v[10:11], v[67:68]
	ds_load_b128 v[61:64], v1 offset:736
	ds_load_b128 v[1:4], v1 offset:752
	v_fma_f64 v[71:72], v[71:72], v[85:86], v[73:74]
	s_wait_loadcnt_dscnt 0x101
	v_mul_f64_e32 v[67:68], v[61:62], v[91:92]
	v_mul_f64_e32 v[81:82], v[63:64], v[91:92]
	v_add_f64_e32 v[65:66], v[65:66], v[79:80]
	v_add_f64_e32 v[10:11], v[10:11], v[75:76]
	s_wait_loadcnt_dscnt 0x0
	v_mul_f64_e32 v[73:74], v[1:2], v[8:9]
	v_mul_f64_e32 v[8:9], v[3:4], v[8:9]
	v_fma_f64 v[63:64], v[63:64], v[89:90], v[67:68]
	v_fma_f64 v[61:62], v[61:62], v[89:90], -v[81:82]
	v_add_f64_e32 v[65:66], v[65:66], v[69:70]
	v_add_f64_e32 v[10:11], v[10:11], v[71:72]
	v_fma_f64 v[3:4], v[3:4], v[6:7], v[73:74]
	v_fma_f64 v[1:2], v[1:2], v[6:7], -v[8:9]
	s_delay_alu instid0(VALU_DEP_4) | instskip(NEXT) | instid1(VALU_DEP_4)
	v_add_f64_e32 v[6:7], v[65:66], v[61:62]
	v_add_f64_e32 v[8:9], v[10:11], v[63:64]
	s_delay_alu instid0(VALU_DEP_2) | instskip(NEXT) | instid1(VALU_DEP_2)
	v_add_f64_e32 v[1:2], v[6:7], v[1:2]
	v_add_f64_e32 v[3:4], v[8:9], v[3:4]
	s_delay_alu instid0(VALU_DEP_2) | instskip(NEXT) | instid1(VALU_DEP_2)
	v_add_f64_e64 v[1:2], v[101:102], -v[1:2]
	v_add_f64_e64 v[3:4], v[103:104], -v[3:4]
	scratch_store_b128 off, v[1:4], off offset:64
	v_cmpx_lt_u32_e32 2, v0
	s_cbranch_execz .LBB87_153
; %bb.152:
	scratch_load_b128 v[1:4], off, s30
	v_mov_b32_e32 v6, 0
	s_delay_alu instid0(VALU_DEP_1)
	v_dual_mov_b32 v7, v6 :: v_dual_mov_b32 v8, v6
	v_mov_b32_e32 v9, v6
	scratch_store_b128 off, v[6:9], off offset:48
	s_wait_loadcnt 0x0
	ds_store_b128 v5, v[1:4]
.LBB87_153:
	s_wait_alu 0xfffe
	s_or_b32 exec_lo, exec_lo, s0
	s_wait_storecnt_dscnt 0x0
	s_barrier_signal -1
	s_barrier_wait -1
	global_inv scope:SCOPE_SE
	s_clause 0x7
	scratch_load_b128 v[6:9], off, off offset:64
	scratch_load_b128 v[61:64], off, off offset:80
	;; [unrolled: 1-line block ×8, first 2 shown]
	v_mov_b32_e32 v1, 0
	s_mov_b32 s0, exec_lo
	ds_load_b128 v[89:92], v1 offset:432
	s_clause 0x1
	scratch_load_b128 v[93:96], off, off offset:192
	scratch_load_b128 v[97:100], off, off offset:48
	ds_load_b128 v[101:104], v1 offset:448
	ds_load_b128 v[109:112], v1 offset:480
	s_wait_loadcnt_dscnt 0x902
	v_mul_f64_e32 v[2:3], v[91:92], v[8:9]
	v_mul_f64_e32 v[105:106], v[89:90], v[8:9]
	scratch_load_b128 v[8:11], off, off offset:208
	v_fma_f64 v[2:3], v[89:90], v[6:7], -v[2:3]
	v_fma_f64 v[6:7], v[91:92], v[6:7], v[105:106]
	ds_load_b128 v[89:92], v1 offset:464
	s_wait_loadcnt_dscnt 0x902
	v_mul_f64_e32 v[113:114], v[101:102], v[63:64]
	v_mul_f64_e32 v[63:64], v[103:104], v[63:64]
	scratch_load_b128 v[105:108], off, off offset:224
	s_wait_loadcnt_dscnt 0x900
	v_mul_f64_e32 v[115:116], v[89:90], v[67:68]
	v_mul_f64_e32 v[67:68], v[91:92], v[67:68]
	v_add_f64_e32 v[2:3], 0, v[2:3]
	v_add_f64_e32 v[6:7], 0, v[6:7]
	v_fma_f64 v[103:104], v[103:104], v[61:62], v[113:114]
	v_fma_f64 v[101:102], v[101:102], v[61:62], -v[63:64]
	scratch_load_b128 v[61:64], off, off offset:240
	v_fma_f64 v[115:116], v[91:92], v[65:66], v[115:116]
	v_fma_f64 v[117:118], v[89:90], v[65:66], -v[67:68]
	ds_load_b128 v[65:68], v1 offset:496
	s_wait_loadcnt 0x9
	v_mul_f64_e32 v[113:114], v[109:110], v[71:72]
	v_mul_f64_e32 v[71:72], v[111:112], v[71:72]
	scratch_load_b128 v[89:92], off, off offset:256
	v_add_f64_e32 v[6:7], v[6:7], v[103:104]
	v_add_f64_e32 v[2:3], v[2:3], v[101:102]
	ds_load_b128 v[101:104], v1 offset:512
	s_wait_loadcnt_dscnt 0x901
	v_mul_f64_e32 v[119:120], v[65:66], v[75:76]
	v_mul_f64_e32 v[75:76], v[67:68], v[75:76]
	v_fma_f64 v[111:112], v[111:112], v[69:70], v[113:114]
	v_fma_f64 v[109:110], v[109:110], v[69:70], -v[71:72]
	scratch_load_b128 v[69:72], off, off offset:272
	v_add_f64_e32 v[6:7], v[6:7], v[115:116]
	v_add_f64_e32 v[2:3], v[2:3], v[117:118]
	v_fma_f64 v[115:116], v[67:68], v[73:74], v[119:120]
	v_fma_f64 v[117:118], v[65:66], v[73:74], -v[75:76]
	ds_load_b128 v[65:68], v1 offset:528
	s_wait_loadcnt_dscnt 0x901
	v_mul_f64_e32 v[113:114], v[101:102], v[79:80]
	v_mul_f64_e32 v[79:80], v[103:104], v[79:80]
	scratch_load_b128 v[73:76], off, off offset:288
	s_wait_loadcnt_dscnt 0x900
	v_mul_f64_e32 v[119:120], v[65:66], v[83:84]
	v_mul_f64_e32 v[83:84], v[67:68], v[83:84]
	v_add_f64_e32 v[6:7], v[6:7], v[111:112]
	v_add_f64_e32 v[2:3], v[2:3], v[109:110]
	ds_load_b128 v[109:112], v1 offset:544
	v_fma_f64 v[103:104], v[103:104], v[77:78], v[113:114]
	v_fma_f64 v[101:102], v[101:102], v[77:78], -v[79:80]
	scratch_load_b128 v[77:80], off, off offset:304
	v_add_f64_e32 v[6:7], v[6:7], v[115:116]
	v_add_f64_e32 v[2:3], v[2:3], v[117:118]
	v_fma_f64 v[115:116], v[67:68], v[81:82], v[119:120]
	v_fma_f64 v[117:118], v[65:66], v[81:82], -v[83:84]
	ds_load_b128 v[65:68], v1 offset:560
	s_wait_loadcnt_dscnt 0x901
	v_mul_f64_e32 v[113:114], v[109:110], v[87:88]
	v_mul_f64_e32 v[87:88], v[111:112], v[87:88]
	scratch_load_b128 v[81:84], off, off offset:320
	s_wait_loadcnt_dscnt 0x900
	v_mul_f64_e32 v[119:120], v[65:66], v[95:96]
	v_mul_f64_e32 v[95:96], v[67:68], v[95:96]
	v_add_f64_e32 v[6:7], v[6:7], v[103:104]
	v_add_f64_e32 v[2:3], v[2:3], v[101:102]
	ds_load_b128 v[101:104], v1 offset:576
	v_fma_f64 v[111:112], v[111:112], v[85:86], v[113:114]
	v_fma_f64 v[109:110], v[109:110], v[85:86], -v[87:88]
	scratch_load_b128 v[85:88], off, off offset:336
	v_add_f64_e32 v[6:7], v[6:7], v[115:116]
	v_add_f64_e32 v[2:3], v[2:3], v[117:118]
	v_fma_f64 v[115:116], v[67:68], v[93:94], v[119:120]
	v_fma_f64 v[117:118], v[65:66], v[93:94], -v[95:96]
	ds_load_b128 v[65:68], v1 offset:592
	scratch_load_b128 v[93:96], off, off offset:352
	s_wait_loadcnt_dscnt 0x901
	v_mul_f64_e32 v[113:114], v[101:102], v[10:11]
	v_mul_f64_e32 v[10:11], v[103:104], v[10:11]
	v_add_f64_e32 v[6:7], v[6:7], v[111:112]
	v_add_f64_e32 v[2:3], v[2:3], v[109:110]
	ds_load_b128 v[109:112], v1 offset:608
	v_fma_f64 v[103:104], v[103:104], v[8:9], v[113:114]
	v_fma_f64 v[10:11], v[101:102], v[8:9], -v[10:11]
	s_wait_loadcnt_dscnt 0x801
	v_mul_f64_e32 v[119:120], v[65:66], v[107:108]
	v_mul_f64_e32 v[107:108], v[67:68], v[107:108]
	v_add_f64_e32 v[101:102], v[6:7], v[115:116]
	v_add_f64_e32 v[2:3], v[2:3], v[117:118]
	scratch_load_b128 v[6:9], off, off offset:368
	v_fma_f64 v[67:68], v[67:68], v[105:106], v[119:120]
	v_fma_f64 v[117:118], v[65:66], v[105:106], -v[107:108]
	ds_load_b128 v[105:108], v1 offset:640
	s_wait_loadcnt_dscnt 0x801
	v_mul_f64_e32 v[113:114], v[109:110], v[63:64]
	v_mul_f64_e32 v[115:116], v[111:112], v[63:64]
	ds_load_b128 v[63:66], v1 offset:624
	v_add_f64_e32 v[2:3], v[2:3], v[10:11]
	v_add_f64_e32 v[10:11], v[101:102], v[103:104]
	scratch_load_b128 v[101:104], off, off offset:384
	s_wait_loadcnt_dscnt 0x800
	v_mul_f64_e32 v[119:120], v[63:64], v[91:92]
	v_mul_f64_e32 v[91:92], v[65:66], v[91:92]
	v_fma_f64 v[111:112], v[111:112], v[61:62], v[113:114]
	v_fma_f64 v[61:62], v[109:110], v[61:62], -v[115:116]
	v_add_f64_e32 v[2:3], v[2:3], v[117:118]
	v_add_f64_e32 v[10:11], v[10:11], v[67:68]
	s_wait_loadcnt 0x7
	v_mul_f64_e32 v[109:110], v[105:106], v[71:72]
	v_mul_f64_e32 v[71:72], v[107:108], v[71:72]
	v_fma_f64 v[113:114], v[65:66], v[89:90], v[119:120]
	v_fma_f64 v[89:90], v[63:64], v[89:90], -v[91:92]
	v_add_f64_e32 v[2:3], v[2:3], v[61:62]
	v_add_f64_e32 v[10:11], v[10:11], v[111:112]
	ds_load_b128 v[61:64], v1 offset:656
	ds_load_b128 v[65:68], v1 offset:672
	v_fma_f64 v[107:108], v[107:108], v[69:70], v[109:110]
	v_fma_f64 v[69:70], v[105:106], v[69:70], -v[71:72]
	s_wait_loadcnt_dscnt 0x601
	v_mul_f64_e32 v[91:92], v[61:62], v[75:76]
	v_mul_f64_e32 v[75:76], v[63:64], v[75:76]
	v_add_f64_e32 v[2:3], v[2:3], v[89:90]
	v_add_f64_e32 v[10:11], v[10:11], v[113:114]
	s_wait_loadcnt_dscnt 0x500
	v_mul_f64_e32 v[89:90], v[65:66], v[79:80]
	v_mul_f64_e32 v[79:80], v[67:68], v[79:80]
	v_fma_f64 v[91:92], v[63:64], v[73:74], v[91:92]
	v_fma_f64 v[73:74], v[61:62], v[73:74], -v[75:76]
	v_add_f64_e32 v[2:3], v[2:3], v[69:70]
	v_add_f64_e32 v[10:11], v[10:11], v[107:108]
	ds_load_b128 v[61:64], v1 offset:688
	ds_load_b128 v[69:72], v1 offset:704
	v_fma_f64 v[67:68], v[67:68], v[77:78], v[89:90]
	v_fma_f64 v[65:66], v[65:66], v[77:78], -v[79:80]
	s_wait_loadcnt_dscnt 0x401
	v_mul_f64_e32 v[75:76], v[61:62], v[83:84]
	v_mul_f64_e32 v[83:84], v[63:64], v[83:84]
	s_wait_loadcnt_dscnt 0x300
	v_mul_f64_e32 v[77:78], v[71:72], v[87:88]
	v_add_f64_e32 v[2:3], v[2:3], v[73:74]
	v_add_f64_e32 v[10:11], v[10:11], v[91:92]
	v_mul_f64_e32 v[73:74], v[69:70], v[87:88]
	v_fma_f64 v[75:76], v[63:64], v[81:82], v[75:76]
	v_fma_f64 v[79:80], v[61:62], v[81:82], -v[83:84]
	v_fma_f64 v[69:70], v[69:70], v[85:86], -v[77:78]
	v_add_f64_e32 v[2:3], v[2:3], v[65:66]
	v_add_f64_e32 v[10:11], v[10:11], v[67:68]
	ds_load_b128 v[61:64], v1 offset:720
	ds_load_b128 v[65:68], v1 offset:736
	v_fma_f64 v[71:72], v[71:72], v[85:86], v[73:74]
	s_wait_loadcnt_dscnt 0x201
	v_mul_f64_e32 v[81:82], v[61:62], v[95:96]
	v_mul_f64_e32 v[83:84], v[63:64], v[95:96]
	v_add_f64_e32 v[2:3], v[2:3], v[79:80]
	v_add_f64_e32 v[10:11], v[10:11], v[75:76]
	s_wait_loadcnt_dscnt 0x100
	v_mul_f64_e32 v[73:74], v[65:66], v[8:9]
	v_mul_f64_e32 v[75:76], v[67:68], v[8:9]
	v_fma_f64 v[63:64], v[63:64], v[93:94], v[81:82]
	v_fma_f64 v[61:62], v[61:62], v[93:94], -v[83:84]
	v_add_f64_e32 v[2:3], v[2:3], v[69:70]
	v_add_f64_e32 v[69:70], v[10:11], v[71:72]
	ds_load_b128 v[8:11], v1 offset:752
	v_fma_f64 v[67:68], v[67:68], v[6:7], v[73:74]
	v_fma_f64 v[6:7], v[65:66], v[6:7], -v[75:76]
	s_wait_loadcnt_dscnt 0x0
	v_mul_f64_e32 v[71:72], v[8:9], v[103:104]
	v_mul_f64_e32 v[77:78], v[10:11], v[103:104]
	v_add_f64_e32 v[2:3], v[2:3], v[61:62]
	v_add_f64_e32 v[61:62], v[69:70], v[63:64]
	s_delay_alu instid0(VALU_DEP_4) | instskip(NEXT) | instid1(VALU_DEP_4)
	v_fma_f64 v[10:11], v[10:11], v[101:102], v[71:72]
	v_fma_f64 v[8:9], v[8:9], v[101:102], -v[77:78]
	s_delay_alu instid0(VALU_DEP_4) | instskip(NEXT) | instid1(VALU_DEP_4)
	v_add_f64_e32 v[2:3], v[2:3], v[6:7]
	v_add_f64_e32 v[6:7], v[61:62], v[67:68]
	s_delay_alu instid0(VALU_DEP_2) | instskip(NEXT) | instid1(VALU_DEP_2)
	v_add_f64_e32 v[2:3], v[2:3], v[8:9]
	v_add_f64_e32 v[8:9], v[6:7], v[10:11]
	s_delay_alu instid0(VALU_DEP_2) | instskip(NEXT) | instid1(VALU_DEP_2)
	v_add_f64_e64 v[6:7], v[97:98], -v[2:3]
	v_add_f64_e64 v[8:9], v[99:100], -v[8:9]
	scratch_store_b128 off, v[6:9], off offset:48
	v_cmpx_lt_u32_e32 1, v0
	s_cbranch_execz .LBB87_155
; %bb.154:
	scratch_load_b128 v[6:9], off, s31
	v_dual_mov_b32 v2, v1 :: v_dual_mov_b32 v3, v1
	v_mov_b32_e32 v4, v1
	scratch_store_b128 off, v[1:4], off offset:32
	s_wait_loadcnt 0x0
	ds_store_b128 v5, v[6:9]
.LBB87_155:
	s_wait_alu 0xfffe
	s_or_b32 exec_lo, exec_lo, s0
	s_wait_storecnt_dscnt 0x0
	s_barrier_signal -1
	s_barrier_wait -1
	global_inv scope:SCOPE_SE
	s_clause 0x8
	scratch_load_b128 v[6:9], off, off offset:48
	scratch_load_b128 v[61:64], off, off offset:64
	;; [unrolled: 1-line block ×9, first 2 shown]
	ds_load_b128 v[93:96], v1 offset:416
	ds_load_b128 v[97:100], v1 offset:432
	scratch_load_b128 v[101:104], off, off offset:32
	s_mov_b32 s0, exec_lo
	ds_load_b128 v[109:112], v1 offset:464
	s_wait_loadcnt_dscnt 0x902
	v_mul_f64_e32 v[2:3], v[95:96], v[8:9]
	v_mul_f64_e32 v[105:106], v[93:94], v[8:9]
	scratch_load_b128 v[8:11], off, off offset:192
	s_wait_loadcnt_dscnt 0x901
	v_mul_f64_e32 v[113:114], v[97:98], v[63:64]
	v_mul_f64_e32 v[63:64], v[99:100], v[63:64]
	v_fma_f64 v[2:3], v[93:94], v[6:7], -v[2:3]
	v_fma_f64 v[6:7], v[95:96], v[6:7], v[105:106]
	ds_load_b128 v[93:96], v1 offset:448
	scratch_load_b128 v[105:108], off, off offset:208
	v_fma_f64 v[99:100], v[99:100], v[61:62], v[113:114]
	v_fma_f64 v[97:98], v[97:98], v[61:62], -v[63:64]
	scratch_load_b128 v[61:64], off, off offset:224
	s_wait_loadcnt_dscnt 0x901
	v_mul_f64_e32 v[113:114], v[109:110], v[71:72]
	v_mul_f64_e32 v[71:72], v[111:112], v[71:72]
	s_wait_dscnt 0x0
	v_mul_f64_e32 v[115:116], v[93:94], v[67:68]
	v_mul_f64_e32 v[67:68], v[95:96], v[67:68]
	v_add_f64_e32 v[2:3], 0, v[2:3]
	v_add_f64_e32 v[6:7], 0, v[6:7]
	v_fma_f64 v[111:112], v[111:112], v[69:70], v[113:114]
	v_fma_f64 v[109:110], v[109:110], v[69:70], -v[71:72]
	scratch_load_b128 v[69:72], off, off offset:256
	v_fma_f64 v[115:116], v[95:96], v[65:66], v[115:116]
	v_fma_f64 v[117:118], v[93:94], v[65:66], -v[67:68]
	ds_load_b128 v[65:68], v1 offset:480
	scratch_load_b128 v[93:96], off, off offset:240
	v_add_f64_e32 v[2:3], v[2:3], v[97:98]
	v_add_f64_e32 v[6:7], v[6:7], v[99:100]
	ds_load_b128 v[97:100], v1 offset:496
	s_wait_loadcnt_dscnt 0xa01
	v_mul_f64_e32 v[119:120], v[65:66], v[75:76]
	v_mul_f64_e32 v[75:76], v[67:68], v[75:76]
	s_wait_loadcnt_dscnt 0x900
	v_mul_f64_e32 v[113:114], v[97:98], v[79:80]
	v_mul_f64_e32 v[79:80], v[99:100], v[79:80]
	v_add_f64_e32 v[2:3], v[2:3], v[117:118]
	v_add_f64_e32 v[6:7], v[6:7], v[115:116]
	v_fma_f64 v[115:116], v[67:68], v[73:74], v[119:120]
	v_fma_f64 v[117:118], v[65:66], v[73:74], -v[75:76]
	ds_load_b128 v[65:68], v1 offset:512
	scratch_load_b128 v[73:76], off, off offset:272
	v_fma_f64 v[99:100], v[99:100], v[77:78], v[113:114]
	v_fma_f64 v[97:98], v[97:98], v[77:78], -v[79:80]
	scratch_load_b128 v[77:80], off, off offset:288
	v_add_f64_e32 v[2:3], v[2:3], v[109:110]
	v_add_f64_e32 v[6:7], v[6:7], v[111:112]
	ds_load_b128 v[109:112], v1 offset:528
	s_wait_loadcnt_dscnt 0xa01
	v_mul_f64_e32 v[119:120], v[65:66], v[83:84]
	v_mul_f64_e32 v[83:84], v[67:68], v[83:84]
	s_wait_loadcnt_dscnt 0x900
	v_mul_f64_e32 v[113:114], v[109:110], v[87:88]
	v_mul_f64_e32 v[87:88], v[111:112], v[87:88]
	v_add_f64_e32 v[2:3], v[2:3], v[117:118]
	v_add_f64_e32 v[6:7], v[6:7], v[115:116]
	v_fma_f64 v[115:116], v[67:68], v[81:82], v[119:120]
	v_fma_f64 v[117:118], v[65:66], v[81:82], -v[83:84]
	ds_load_b128 v[65:68], v1 offset:544
	scratch_load_b128 v[81:84], off, off offset:304
	v_fma_f64 v[111:112], v[111:112], v[85:86], v[113:114]
	v_fma_f64 v[109:110], v[109:110], v[85:86], -v[87:88]
	scratch_load_b128 v[85:88], off, off offset:320
	v_add_f64_e32 v[2:3], v[2:3], v[97:98]
	v_add_f64_e32 v[6:7], v[6:7], v[99:100]
	ds_load_b128 v[97:100], v1 offset:560
	s_wait_loadcnt_dscnt 0xa01
	v_mul_f64_e32 v[119:120], v[65:66], v[91:92]
	v_mul_f64_e32 v[91:92], v[67:68], v[91:92]
	v_add_f64_e32 v[2:3], v[2:3], v[117:118]
	v_add_f64_e32 v[6:7], v[6:7], v[115:116]
	s_delay_alu instid0(VALU_DEP_4) | instskip(NEXT) | instid1(VALU_DEP_4)
	v_fma_f64 v[115:116], v[67:68], v[89:90], v[119:120]
	v_fma_f64 v[117:118], v[65:66], v[89:90], -v[91:92]
	ds_load_b128 v[65:68], v1 offset:576
	scratch_load_b128 v[89:92], off, off offset:336
	s_wait_loadcnt_dscnt 0x901
	v_mul_f64_e32 v[113:114], v[97:98], v[10:11]
	v_mul_f64_e32 v[10:11], v[99:100], v[10:11]
	v_add_f64_e32 v[2:3], v[2:3], v[109:110]
	v_add_f64_e32 v[6:7], v[6:7], v[111:112]
	ds_load_b128 v[109:112], v1 offset:592
	v_fma_f64 v[99:100], v[99:100], v[8:9], v[113:114]
	s_wait_loadcnt_dscnt 0x801
	v_mul_f64_e32 v[119:120], v[65:66], v[107:108]
	v_mul_f64_e32 v[107:108], v[67:68], v[107:108]
	v_fma_f64 v[10:11], v[97:98], v[8:9], -v[10:11]
	s_wait_loadcnt_dscnt 0x700
	v_mul_f64_e32 v[113:114], v[109:110], v[63:64]
	v_add_f64_e32 v[2:3], v[2:3], v[117:118]
	v_add_f64_e32 v[97:98], v[6:7], v[115:116]
	scratch_load_b128 v[6:9], off, off offset:352
	v_mul_f64_e32 v[115:116], v[111:112], v[63:64]
	v_fma_f64 v[67:68], v[67:68], v[105:106], v[119:120]
	v_fma_f64 v[117:118], v[65:66], v[105:106], -v[107:108]
	ds_load_b128 v[63:66], v1 offset:608
	ds_load_b128 v[105:108], v1 offset:624
	v_fma_f64 v[113:114], v[111:112], v[61:62], v[113:114]
	v_add_f64_e32 v[2:3], v[2:3], v[10:11]
	v_add_f64_e32 v[10:11], v[97:98], v[99:100]
	scratch_load_b128 v[97:100], off, off offset:368
	s_wait_loadcnt_dscnt 0x701
	v_mul_f64_e32 v[119:120], v[63:64], v[95:96]
	v_mul_f64_e32 v[95:96], v[65:66], v[95:96]
	v_fma_f64 v[61:62], v[109:110], v[61:62], -v[115:116]
	scratch_load_b128 v[109:112], off, off offset:384
	s_wait_dscnt 0x0
	v_mul_f64_e32 v[115:116], v[105:106], v[71:72]
	v_mul_f64_e32 v[71:72], v[107:108], v[71:72]
	v_add_f64_e32 v[2:3], v[2:3], v[117:118]
	v_add_f64_e32 v[10:11], v[10:11], v[67:68]
	v_fma_f64 v[117:118], v[65:66], v[93:94], v[119:120]
	v_fma_f64 v[93:94], v[63:64], v[93:94], -v[95:96]
	v_fma_f64 v[107:108], v[107:108], v[69:70], v[115:116]
	v_fma_f64 v[69:70], v[105:106], v[69:70], -v[71:72]
	v_add_f64_e32 v[2:3], v[2:3], v[61:62]
	v_add_f64_e32 v[10:11], v[10:11], v[113:114]
	ds_load_b128 v[61:64], v1 offset:640
	ds_load_b128 v[65:68], v1 offset:656
	s_wait_loadcnt_dscnt 0x701
	v_mul_f64_e32 v[95:96], v[61:62], v[75:76]
	v_mul_f64_e32 v[75:76], v[63:64], v[75:76]
	v_add_f64_e32 v[2:3], v[2:3], v[93:94]
	v_add_f64_e32 v[10:11], v[10:11], v[117:118]
	s_wait_loadcnt_dscnt 0x600
	v_mul_f64_e32 v[93:94], v[65:66], v[79:80]
	v_mul_f64_e32 v[79:80], v[67:68], v[79:80]
	v_fma_f64 v[95:96], v[63:64], v[73:74], v[95:96]
	v_fma_f64 v[73:74], v[61:62], v[73:74], -v[75:76]
	v_add_f64_e32 v[2:3], v[2:3], v[69:70]
	v_add_f64_e32 v[10:11], v[10:11], v[107:108]
	ds_load_b128 v[61:64], v1 offset:672
	ds_load_b128 v[69:72], v1 offset:688
	v_fma_f64 v[67:68], v[67:68], v[77:78], v[93:94]
	v_fma_f64 v[65:66], v[65:66], v[77:78], -v[79:80]
	s_wait_loadcnt_dscnt 0x501
	v_mul_f64_e32 v[75:76], v[61:62], v[83:84]
	v_mul_f64_e32 v[83:84], v[63:64], v[83:84]
	s_wait_loadcnt_dscnt 0x400
	v_mul_f64_e32 v[77:78], v[71:72], v[87:88]
	v_add_f64_e32 v[2:3], v[2:3], v[73:74]
	v_add_f64_e32 v[10:11], v[10:11], v[95:96]
	v_mul_f64_e32 v[73:74], v[69:70], v[87:88]
	v_fma_f64 v[75:76], v[63:64], v[81:82], v[75:76]
	v_fma_f64 v[79:80], v[61:62], v[81:82], -v[83:84]
	v_fma_f64 v[69:70], v[69:70], v[85:86], -v[77:78]
	v_add_f64_e32 v[2:3], v[2:3], v[65:66]
	v_add_f64_e32 v[10:11], v[10:11], v[67:68]
	ds_load_b128 v[61:64], v1 offset:704
	ds_load_b128 v[65:68], v1 offset:720
	v_fma_f64 v[71:72], v[71:72], v[85:86], v[73:74]
	s_wait_loadcnt_dscnt 0x301
	v_mul_f64_e32 v[81:82], v[61:62], v[91:92]
	v_mul_f64_e32 v[83:84], v[63:64], v[91:92]
	v_add_f64_e32 v[2:3], v[2:3], v[79:80]
	v_add_f64_e32 v[10:11], v[10:11], v[75:76]
	s_wait_loadcnt_dscnt 0x200
	v_mul_f64_e32 v[73:74], v[65:66], v[8:9]
	v_mul_f64_e32 v[75:76], v[67:68], v[8:9]
	v_fma_f64 v[63:64], v[63:64], v[89:90], v[81:82]
	v_fma_f64 v[61:62], v[61:62], v[89:90], -v[83:84]
	v_add_f64_e32 v[69:70], v[2:3], v[69:70]
	v_add_f64_e32 v[71:72], v[10:11], v[71:72]
	ds_load_b128 v[8:11], v1 offset:736
	ds_load_b128 v[1:4], v1 offset:752
	v_fma_f64 v[67:68], v[67:68], v[6:7], v[73:74]
	v_fma_f64 v[6:7], v[65:66], v[6:7], -v[75:76]
	s_wait_loadcnt_dscnt 0x101
	v_mul_f64_e32 v[77:78], v[8:9], v[99:100]
	v_mul_f64_e32 v[79:80], v[10:11], v[99:100]
	s_wait_loadcnt_dscnt 0x0
	v_mul_f64_e32 v[65:66], v[1:2], v[111:112]
	v_add_f64_e32 v[61:62], v[69:70], v[61:62]
	v_add_f64_e32 v[63:64], v[71:72], v[63:64]
	v_mul_f64_e32 v[69:70], v[3:4], v[111:112]
	v_fma_f64 v[10:11], v[10:11], v[97:98], v[77:78]
	v_fma_f64 v[8:9], v[8:9], v[97:98], -v[79:80]
	v_fma_f64 v[3:4], v[3:4], v[109:110], v[65:66]
	v_add_f64_e32 v[6:7], v[61:62], v[6:7]
	v_add_f64_e32 v[61:62], v[63:64], v[67:68]
	v_fma_f64 v[1:2], v[1:2], v[109:110], -v[69:70]
	s_delay_alu instid0(VALU_DEP_3) | instskip(NEXT) | instid1(VALU_DEP_3)
	v_add_f64_e32 v[6:7], v[6:7], v[8:9]
	v_add_f64_e32 v[8:9], v[61:62], v[10:11]
	s_delay_alu instid0(VALU_DEP_2) | instskip(NEXT) | instid1(VALU_DEP_2)
	v_add_f64_e32 v[1:2], v[6:7], v[1:2]
	v_add_f64_e32 v[3:4], v[8:9], v[3:4]
	s_delay_alu instid0(VALU_DEP_2) | instskip(NEXT) | instid1(VALU_DEP_2)
	v_add_f64_e64 v[1:2], v[101:102], -v[1:2]
	v_add_f64_e64 v[3:4], v[103:104], -v[3:4]
	scratch_store_b128 off, v[1:4], off offset:32
	v_cmpx_ne_u32_e32 0, v0
	s_cbranch_execz .LBB87_157
; %bb.156:
	scratch_load_b128 v[0:3], off, off offset:16
	v_mov_b32_e32 v6, 0
	s_delay_alu instid0(VALU_DEP_1)
	v_dual_mov_b32 v7, v6 :: v_dual_mov_b32 v8, v6
	v_mov_b32_e32 v9, v6
	scratch_store_b128 off, v[6:9], off offset:16
	s_wait_loadcnt 0x0
	ds_store_b128 v5, v[0:3]
.LBB87_157:
	s_wait_alu 0xfffe
	s_or_b32 exec_lo, exec_lo, s0
	s_wait_storecnt_dscnt 0x0
	s_barrier_signal -1
	s_barrier_wait -1
	global_inv scope:SCOPE_SE
	s_clause 0x7
	scratch_load_b128 v[1:4], off, off offset:32
	scratch_load_b128 v[5:8], off, off offset:48
	;; [unrolled: 1-line block ×8, first 2 shown]
	v_mov_b32_e32 v0, 0
	s_and_b32 vcc_lo, exec_lo, s12
	ds_load_b128 v[81:84], v0 offset:400
	s_clause 0x1
	scratch_load_b128 v[85:88], off, off offset:160
	scratch_load_b128 v[89:92], off, off offset:16
	ds_load_b128 v[93:96], v0 offset:416
	scratch_load_b128 v[97:100], off, off offset:176
	s_wait_loadcnt_dscnt 0xa01
	v_mul_f64_e32 v[101:102], v[83:84], v[3:4]
	v_mul_f64_e32 v[3:4], v[81:82], v[3:4]
	s_delay_alu instid0(VALU_DEP_2) | instskip(NEXT) | instid1(VALU_DEP_2)
	v_fma_f64 v[107:108], v[81:82], v[1:2], -v[101:102]
	v_fma_f64 v[109:110], v[83:84], v[1:2], v[3:4]
	ds_load_b128 v[1:4], v0 offset:432
	s_wait_loadcnt_dscnt 0x901
	v_mul_f64_e32 v[105:106], v[93:94], v[7:8]
	v_mul_f64_e32 v[7:8], v[95:96], v[7:8]
	scratch_load_b128 v[81:84], off, off offset:192
	ds_load_b128 v[101:104], v0 offset:448
	s_wait_loadcnt_dscnt 0x901
	v_mul_f64_e32 v[111:112], v[1:2], v[11:12]
	v_mul_f64_e32 v[11:12], v[3:4], v[11:12]
	v_fma_f64 v[95:96], v[95:96], v[5:6], v[105:106]
	v_fma_f64 v[93:94], v[93:94], v[5:6], -v[7:8]
	v_add_f64_e32 v[105:106], 0, v[107:108]
	v_add_f64_e32 v[107:108], 0, v[109:110]
	scratch_load_b128 v[5:8], off, off offset:208
	v_fma_f64 v[111:112], v[3:4], v[9:10], v[111:112]
	v_fma_f64 v[113:114], v[1:2], v[9:10], -v[11:12]
	ds_load_b128 v[1:4], v0 offset:464
	s_wait_loadcnt_dscnt 0x901
	v_mul_f64_e32 v[109:110], v[101:102], v[63:64]
	v_mul_f64_e32 v[63:64], v[103:104], v[63:64]
	scratch_load_b128 v[9:12], off, off offset:224
	v_add_f64_e32 v[105:106], v[105:106], v[93:94]
	v_add_f64_e32 v[107:108], v[107:108], v[95:96]
	s_wait_loadcnt_dscnt 0x900
	v_mul_f64_e32 v[115:116], v[1:2], v[67:68]
	v_mul_f64_e32 v[67:68], v[3:4], v[67:68]
	ds_load_b128 v[93:96], v0 offset:480
	v_fma_f64 v[103:104], v[103:104], v[61:62], v[109:110]
	v_fma_f64 v[101:102], v[101:102], v[61:62], -v[63:64]
	scratch_load_b128 v[61:64], off, off offset:240
	v_add_f64_e32 v[105:106], v[105:106], v[113:114]
	v_add_f64_e32 v[107:108], v[107:108], v[111:112]
	v_fma_f64 v[111:112], v[3:4], v[65:66], v[115:116]
	v_fma_f64 v[113:114], v[1:2], v[65:66], -v[67:68]
	ds_load_b128 v[1:4], v0 offset:496
	s_wait_loadcnt_dscnt 0x901
	v_mul_f64_e32 v[109:110], v[93:94], v[71:72]
	v_mul_f64_e32 v[71:72], v[95:96], v[71:72]
	scratch_load_b128 v[65:68], off, off offset:256
	s_wait_loadcnt_dscnt 0x900
	v_mul_f64_e32 v[115:116], v[1:2], v[75:76]
	v_mul_f64_e32 v[75:76], v[3:4], v[75:76]
	v_add_f64_e32 v[105:106], v[105:106], v[101:102]
	v_add_f64_e32 v[107:108], v[107:108], v[103:104]
	ds_load_b128 v[101:104], v0 offset:512
	v_fma_f64 v[95:96], v[95:96], v[69:70], v[109:110]
	v_fma_f64 v[93:94], v[93:94], v[69:70], -v[71:72]
	scratch_load_b128 v[69:72], off, off offset:272
	v_add_f64_e32 v[105:106], v[105:106], v[113:114]
	v_add_f64_e32 v[107:108], v[107:108], v[111:112]
	v_fma_f64 v[111:112], v[3:4], v[73:74], v[115:116]
	v_fma_f64 v[113:114], v[1:2], v[73:74], -v[75:76]
	ds_load_b128 v[1:4], v0 offset:528
	s_wait_loadcnt_dscnt 0x901
	v_mul_f64_e32 v[109:110], v[101:102], v[79:80]
	v_mul_f64_e32 v[79:80], v[103:104], v[79:80]
	scratch_load_b128 v[73:76], off, off offset:288
	s_wait_loadcnt_dscnt 0x900
	v_mul_f64_e32 v[115:116], v[1:2], v[87:88]
	v_mul_f64_e32 v[87:88], v[3:4], v[87:88]
	v_add_f64_e32 v[105:106], v[105:106], v[93:94]
	v_add_f64_e32 v[107:108], v[107:108], v[95:96]
	ds_load_b128 v[93:96], v0 offset:544
	v_fma_f64 v[103:104], v[103:104], v[77:78], v[109:110]
	v_fma_f64 v[101:102], v[101:102], v[77:78], -v[79:80]
	scratch_load_b128 v[77:80], off, off offset:304
	v_add_f64_e32 v[105:106], v[105:106], v[113:114]
	v_add_f64_e32 v[107:108], v[107:108], v[111:112]
	v_fma_f64 v[113:114], v[3:4], v[85:86], v[115:116]
	v_fma_f64 v[115:116], v[1:2], v[85:86], -v[87:88]
	ds_load_b128 v[1:4], v0 offset:560
	s_wait_loadcnt_dscnt 0x801
	v_mul_f64_e32 v[109:110], v[93:94], v[99:100]
	v_mul_f64_e32 v[111:112], v[95:96], v[99:100]
	scratch_load_b128 v[85:88], off, off offset:320
	v_add_f64_e32 v[105:106], v[105:106], v[101:102]
	v_add_f64_e32 v[103:104], v[107:108], v[103:104]
	ds_load_b128 v[99:102], v0 offset:576
	v_fma_f64 v[109:110], v[95:96], v[97:98], v[109:110]
	v_fma_f64 v[97:98], v[93:94], v[97:98], -v[111:112]
	scratch_load_b128 v[93:96], off, off offset:336
	s_wait_loadcnt_dscnt 0x901
	v_mul_f64_e32 v[107:108], v[1:2], v[83:84]
	v_mul_f64_e32 v[83:84], v[3:4], v[83:84]
	v_add_f64_e32 v[105:106], v[105:106], v[115:116]
	v_add_f64_e32 v[103:104], v[103:104], v[113:114]
	s_delay_alu instid0(VALU_DEP_4) | instskip(NEXT) | instid1(VALU_DEP_4)
	v_fma_f64 v[107:108], v[3:4], v[81:82], v[107:108]
	v_fma_f64 v[113:114], v[1:2], v[81:82], -v[83:84]
	ds_load_b128 v[1:4], v0 offset:592
	s_wait_loadcnt_dscnt 0x801
	v_mul_f64_e32 v[111:112], v[99:100], v[7:8]
	v_mul_f64_e32 v[7:8], v[101:102], v[7:8]
	scratch_load_b128 v[81:84], off, off offset:352
	s_wait_loadcnt_dscnt 0x800
	v_mul_f64_e32 v[115:116], v[1:2], v[11:12]
	v_add_f64_e32 v[97:98], v[105:106], v[97:98]
	v_add_f64_e32 v[109:110], v[103:104], v[109:110]
	v_mul_f64_e32 v[11:12], v[3:4], v[11:12]
	ds_load_b128 v[103:106], v0 offset:608
	v_fma_f64 v[101:102], v[101:102], v[5:6], v[111:112]
	v_fma_f64 v[99:100], v[99:100], v[5:6], -v[7:8]
	scratch_load_b128 v[5:8], off, off offset:368
	v_fma_f64 v[111:112], v[3:4], v[9:10], v[115:116]
	v_add_f64_e32 v[97:98], v[97:98], v[113:114]
	v_add_f64_e32 v[107:108], v[109:110], v[107:108]
	v_fma_f64 v[113:114], v[1:2], v[9:10], -v[11:12]
	ds_load_b128 v[1:4], v0 offset:624
	s_wait_loadcnt_dscnt 0x801
	v_mul_f64_e32 v[109:110], v[103:104], v[63:64]
	v_mul_f64_e32 v[63:64], v[105:106], v[63:64]
	scratch_load_b128 v[9:12], off, off offset:384
	v_add_f64_e32 v[115:116], v[97:98], v[99:100]
	v_add_f64_e32 v[101:102], v[107:108], v[101:102]
	s_wait_loadcnt_dscnt 0x800
	v_mul_f64_e32 v[107:108], v[1:2], v[67:68]
	v_mul_f64_e32 v[67:68], v[3:4], v[67:68]
	v_fma_f64 v[105:106], v[105:106], v[61:62], v[109:110]
	v_fma_f64 v[61:62], v[103:104], v[61:62], -v[63:64]
	ds_load_b128 v[97:100], v0 offset:640
	s_wait_loadcnt_dscnt 0x700
	v_mul_f64_e32 v[103:104], v[97:98], v[71:72]
	v_mul_f64_e32 v[71:72], v[99:100], v[71:72]
	v_add_f64_e32 v[63:64], v[115:116], v[113:114]
	v_add_f64_e32 v[101:102], v[101:102], v[111:112]
	v_fma_f64 v[107:108], v[3:4], v[65:66], v[107:108]
	v_fma_f64 v[65:66], v[1:2], v[65:66], -v[67:68]
	v_fma_f64 v[99:100], v[99:100], v[69:70], v[103:104]
	v_fma_f64 v[69:70], v[97:98], v[69:70], -v[71:72]
	v_add_f64_e32 v[67:68], v[63:64], v[61:62]
	v_add_f64_e32 v[101:102], v[101:102], v[105:106]
	ds_load_b128 v[1:4], v0 offset:656
	ds_load_b128 v[61:64], v0 offset:672
	s_wait_loadcnt_dscnt 0x601
	v_mul_f64_e32 v[105:106], v[1:2], v[75:76]
	v_mul_f64_e32 v[75:76], v[3:4], v[75:76]
	s_wait_loadcnt_dscnt 0x500
	v_mul_f64_e32 v[71:72], v[61:62], v[79:80]
	v_mul_f64_e32 v[79:80], v[63:64], v[79:80]
	v_add_f64_e32 v[65:66], v[67:68], v[65:66]
	v_add_f64_e32 v[67:68], v[101:102], v[107:108]
	v_fma_f64 v[97:98], v[3:4], v[73:74], v[105:106]
	v_fma_f64 v[73:74], v[1:2], v[73:74], -v[75:76]
	v_fma_f64 v[63:64], v[63:64], v[77:78], v[71:72]
	v_fma_f64 v[61:62], v[61:62], v[77:78], -v[79:80]
	v_add_f64_e32 v[69:70], v[65:66], v[69:70]
	v_add_f64_e32 v[75:76], v[67:68], v[99:100]
	ds_load_b128 v[1:4], v0 offset:688
	ds_load_b128 v[65:68], v0 offset:704
	s_wait_loadcnt_dscnt 0x401
	v_mul_f64_e32 v[99:100], v[1:2], v[87:88]
	v_mul_f64_e32 v[87:88], v[3:4], v[87:88]
	v_add_f64_e32 v[69:70], v[69:70], v[73:74]
	v_add_f64_e32 v[71:72], v[75:76], v[97:98]
	s_wait_loadcnt_dscnt 0x300
	v_mul_f64_e32 v[73:74], v[65:66], v[95:96]
	v_mul_f64_e32 v[75:76], v[67:68], v[95:96]
	v_fma_f64 v[77:78], v[3:4], v[85:86], v[99:100]
	v_fma_f64 v[79:80], v[1:2], v[85:86], -v[87:88]
	v_add_f64_e32 v[69:70], v[69:70], v[61:62]
	v_add_f64_e32 v[71:72], v[71:72], v[63:64]
	ds_load_b128 v[1:4], v0 offset:720
	ds_load_b128 v[61:64], v0 offset:736
	v_fma_f64 v[67:68], v[67:68], v[93:94], v[73:74]
	v_fma_f64 v[65:66], v[65:66], v[93:94], -v[75:76]
	s_wait_loadcnt_dscnt 0x201
	v_mul_f64_e32 v[85:86], v[1:2], v[83:84]
	v_mul_f64_e32 v[83:84], v[3:4], v[83:84]
	s_wait_loadcnt_dscnt 0x100
	v_mul_f64_e32 v[73:74], v[61:62], v[7:8]
	v_mul_f64_e32 v[7:8], v[63:64], v[7:8]
	v_add_f64_e32 v[69:70], v[69:70], v[79:80]
	v_add_f64_e32 v[71:72], v[71:72], v[77:78]
	v_fma_f64 v[75:76], v[3:4], v[81:82], v[85:86]
	v_fma_f64 v[77:78], v[1:2], v[81:82], -v[83:84]
	ds_load_b128 v[1:4], v0 offset:752
	v_fma_f64 v[63:64], v[63:64], v[5:6], v[73:74]
	v_fma_f64 v[5:6], v[61:62], v[5:6], -v[7:8]
	v_add_f64_e32 v[65:66], v[69:70], v[65:66]
	v_add_f64_e32 v[67:68], v[71:72], v[67:68]
	s_wait_loadcnt_dscnt 0x0
	v_mul_f64_e32 v[69:70], v[1:2], v[11:12]
	v_mul_f64_e32 v[11:12], v[3:4], v[11:12]
	s_delay_alu instid0(VALU_DEP_4) | instskip(NEXT) | instid1(VALU_DEP_4)
	v_add_f64_e32 v[7:8], v[65:66], v[77:78]
	v_add_f64_e32 v[61:62], v[67:68], v[75:76]
	s_delay_alu instid0(VALU_DEP_4) | instskip(NEXT) | instid1(VALU_DEP_4)
	v_fma_f64 v[3:4], v[3:4], v[9:10], v[69:70]
	v_fma_f64 v[1:2], v[1:2], v[9:10], -v[11:12]
	s_delay_alu instid0(VALU_DEP_4) | instskip(NEXT) | instid1(VALU_DEP_4)
	v_add_f64_e32 v[5:6], v[7:8], v[5:6]
	v_add_f64_e32 v[7:8], v[61:62], v[63:64]
	s_delay_alu instid0(VALU_DEP_2) | instskip(NEXT) | instid1(VALU_DEP_2)
	v_add_f64_e32 v[1:2], v[5:6], v[1:2]
	v_add_f64_e32 v[3:4], v[7:8], v[3:4]
	s_delay_alu instid0(VALU_DEP_2) | instskip(NEXT) | instid1(VALU_DEP_2)
	v_add_f64_e64 v[1:2], v[89:90], -v[1:2]
	v_add_f64_e64 v[3:4], v[91:92], -v[3:4]
	scratch_store_b128 off, v[1:4], off offset:16
	s_wait_alu 0xfffe
	s_cbranch_vccz .LBB87_204
; %bb.158:
	global_load_b32 v0, v0, s[2:3] offset:88
	s_wait_loadcnt 0x0
	v_cmp_ne_u32_e32 vcc_lo, 23, v0
	s_cbranch_vccz .LBB87_160
; %bb.159:
	v_lshlrev_b32_e32 v0, 4, v0
	s_delay_alu instid0(VALU_DEP_1)
	v_add_nc_u32_e32 v8, 16, v0
	s_clause 0x1
	scratch_load_b128 v[0:3], v8, off offset:-16
	scratch_load_b128 v[4:7], off, s29
	s_wait_loadcnt 0x1
	scratch_store_b128 off, v[0:3], s29
	s_wait_loadcnt 0x0
	scratch_store_b128 v8, v[4:7], off offset:-16
.LBB87_160:
	v_mov_b32_e32 v0, 0
	global_load_b32 v1, v0, s[2:3] offset:84
	s_wait_loadcnt 0x0
	v_cmp_eq_u32_e32 vcc_lo, 22, v1
	s_cbranch_vccnz .LBB87_162
; %bb.161:
	v_lshlrev_b32_e32 v1, 4, v1
	s_delay_alu instid0(VALU_DEP_1)
	v_add_nc_u32_e32 v9, 16, v1
	s_clause 0x1
	scratch_load_b128 v[1:4], v9, off offset:-16
	scratch_load_b128 v[5:8], off, s17
	s_wait_loadcnt 0x1
	scratch_store_b128 off, v[1:4], s17
	s_wait_loadcnt 0x0
	scratch_store_b128 v9, v[5:8], off offset:-16
.LBB87_162:
	global_load_b32 v0, v0, s[2:3] offset:80
	s_wait_loadcnt 0x0
	v_cmp_eq_u32_e32 vcc_lo, 21, v0
	s_cbranch_vccnz .LBB87_164
; %bb.163:
	v_lshlrev_b32_e32 v0, 4, v0
	s_delay_alu instid0(VALU_DEP_1)
	v_add_nc_u32_e32 v8, 16, v0
	s_clause 0x1
	scratch_load_b128 v[0:3], v8, off offset:-16
	scratch_load_b128 v[4:7], off, s28
	s_wait_loadcnt 0x1
	scratch_store_b128 off, v[0:3], s28
	s_wait_loadcnt 0x0
	scratch_store_b128 v8, v[4:7], off offset:-16
.LBB87_164:
	v_mov_b32_e32 v0, 0
	global_load_b32 v1, v0, s[2:3] offset:76
	s_wait_loadcnt 0x0
	v_cmp_eq_u32_e32 vcc_lo, 20, v1
	s_cbranch_vccnz .LBB87_166
; %bb.165:
	v_lshlrev_b32_e32 v1, 4, v1
	s_delay_alu instid0(VALU_DEP_1)
	v_add_nc_u32_e32 v9, 16, v1
	s_clause 0x1
	scratch_load_b128 v[1:4], v9, off offset:-16
	scratch_load_b128 v[5:8], off, s16
	s_wait_loadcnt 0x1
	scratch_store_b128 off, v[1:4], s16
	s_wait_loadcnt 0x0
	scratch_store_b128 v9, v[5:8], off offset:-16
.LBB87_166:
	global_load_b32 v0, v0, s[2:3] offset:72
	s_wait_loadcnt 0x0
	v_cmp_eq_u32_e32 vcc_lo, 19, v0
	s_cbranch_vccnz .LBB87_168
; %bb.167:
	v_lshlrev_b32_e32 v0, 4, v0
	s_delay_alu instid0(VALU_DEP_1)
	v_add_nc_u32_e32 v8, 16, v0
	s_clause 0x1
	scratch_load_b128 v[0:3], v8, off offset:-16
	scratch_load_b128 v[4:7], off, s27
	s_wait_loadcnt 0x1
	scratch_store_b128 off, v[0:3], s27
	s_wait_loadcnt 0x0
	scratch_store_b128 v8, v[4:7], off offset:-16
.LBB87_168:
	;; [unrolled: 33-line block ×10, first 2 shown]
	v_mov_b32_e32 v0, 0
	global_load_b32 v1, v0, s[2:3] offset:4
	s_wait_loadcnt 0x0
	v_cmp_eq_u32_e32 vcc_lo, 2, v1
	s_cbranch_vccnz .LBB87_202
; %bb.201:
	v_lshlrev_b32_e32 v1, 4, v1
	s_delay_alu instid0(VALU_DEP_1)
	v_add_nc_u32_e32 v9, 16, v1
	s_clause 0x1
	scratch_load_b128 v[1:4], v9, off offset:-16
	scratch_load_b128 v[5:8], off, s31
	s_wait_loadcnt 0x1
	scratch_store_b128 off, v[1:4], s31
	s_wait_loadcnt 0x0
	scratch_store_b128 v9, v[5:8], off offset:-16
.LBB87_202:
	global_load_b32 v0, v0, s[2:3]
	s_wait_loadcnt 0x0
	v_cmp_eq_u32_e32 vcc_lo, 1, v0
	s_cbranch_vccnz .LBB87_204
; %bb.203:
	v_lshlrev_b32_e32 v0, 4, v0
	s_delay_alu instid0(VALU_DEP_1)
	v_add_nc_u32_e32 v8, 16, v0
	scratch_load_b128 v[0:3], v8, off offset:-16
	scratch_load_b128 v[4:7], off, off offset:16
	s_wait_loadcnt 0x1
	scratch_store_b128 off, v[0:3], off offset:16
	s_wait_loadcnt 0x0
	scratch_store_b128 v8, v[4:7], off offset:-16
.LBB87_204:
	scratch_load_b128 v[0:3], off, off offset:16
	s_wait_loadcnt 0x0
	flat_store_b128 v[13:14], v[0:3]
	scratch_load_b128 v[0:3], off, s31
	s_wait_loadcnt 0x0
	flat_store_b128 v[15:16], v[0:3]
	scratch_load_b128 v[0:3], off, s30
	;; [unrolled: 3-line block ×23, first 2 shown]
	s_wait_loadcnt 0x0
	flat_store_b128 v[59:60], v[0:3]
	s_nop 0
	s_sendmsg sendmsg(MSG_DEALLOC_VGPRS)
	s_endpgm
	.section	.rodata,"a",@progbits
	.p2align	6, 0x0
	.amdhsa_kernel _ZN9rocsolver6v33100L18getri_kernel_smallILi24E19rocblas_complex_numIdEPKPS3_EEvT1_iilPiilS8_bb
		.amdhsa_group_segment_fixed_size 776
		.amdhsa_private_segment_fixed_size 416
		.amdhsa_kernarg_size 60
		.amdhsa_user_sgpr_count 2
		.amdhsa_user_sgpr_dispatch_ptr 0
		.amdhsa_user_sgpr_queue_ptr 0
		.amdhsa_user_sgpr_kernarg_segment_ptr 1
		.amdhsa_user_sgpr_dispatch_id 0
		.amdhsa_user_sgpr_private_segment_size 0
		.amdhsa_wavefront_size32 1
		.amdhsa_uses_dynamic_stack 0
		.amdhsa_enable_private_segment 1
		.amdhsa_system_sgpr_workgroup_id_x 1
		.amdhsa_system_sgpr_workgroup_id_y 0
		.amdhsa_system_sgpr_workgroup_id_z 0
		.amdhsa_system_sgpr_workgroup_info 0
		.amdhsa_system_vgpr_workitem_id 0
		.amdhsa_next_free_vgpr 121
		.amdhsa_next_free_sgpr 36
		.amdhsa_reserve_vcc 1
		.amdhsa_float_round_mode_32 0
		.amdhsa_float_round_mode_16_64 0
		.amdhsa_float_denorm_mode_32 3
		.amdhsa_float_denorm_mode_16_64 3
		.amdhsa_fp16_overflow 0
		.amdhsa_workgroup_processor_mode 1
		.amdhsa_memory_ordered 1
		.amdhsa_forward_progress 1
		.amdhsa_inst_pref_size 250
		.amdhsa_round_robin_scheduling 0
		.amdhsa_exception_fp_ieee_invalid_op 0
		.amdhsa_exception_fp_denorm_src 0
		.amdhsa_exception_fp_ieee_div_zero 0
		.amdhsa_exception_fp_ieee_overflow 0
		.amdhsa_exception_fp_ieee_underflow 0
		.amdhsa_exception_fp_ieee_inexact 0
		.amdhsa_exception_int_div_zero 0
	.end_amdhsa_kernel
	.section	.text._ZN9rocsolver6v33100L18getri_kernel_smallILi24E19rocblas_complex_numIdEPKPS3_EEvT1_iilPiilS8_bb,"axG",@progbits,_ZN9rocsolver6v33100L18getri_kernel_smallILi24E19rocblas_complex_numIdEPKPS3_EEvT1_iilPiilS8_bb,comdat
.Lfunc_end87:
	.size	_ZN9rocsolver6v33100L18getri_kernel_smallILi24E19rocblas_complex_numIdEPKPS3_EEvT1_iilPiilS8_bb, .Lfunc_end87-_ZN9rocsolver6v33100L18getri_kernel_smallILi24E19rocblas_complex_numIdEPKPS3_EEvT1_iilPiilS8_bb
                                        ; -- End function
	.set _ZN9rocsolver6v33100L18getri_kernel_smallILi24E19rocblas_complex_numIdEPKPS3_EEvT1_iilPiilS8_bb.num_vgpr, 121
	.set _ZN9rocsolver6v33100L18getri_kernel_smallILi24E19rocblas_complex_numIdEPKPS3_EEvT1_iilPiilS8_bb.num_agpr, 0
	.set _ZN9rocsolver6v33100L18getri_kernel_smallILi24E19rocblas_complex_numIdEPKPS3_EEvT1_iilPiilS8_bb.numbered_sgpr, 36
	.set _ZN9rocsolver6v33100L18getri_kernel_smallILi24E19rocblas_complex_numIdEPKPS3_EEvT1_iilPiilS8_bb.num_named_barrier, 0
	.set _ZN9rocsolver6v33100L18getri_kernel_smallILi24E19rocblas_complex_numIdEPKPS3_EEvT1_iilPiilS8_bb.private_seg_size, 416
	.set _ZN9rocsolver6v33100L18getri_kernel_smallILi24E19rocblas_complex_numIdEPKPS3_EEvT1_iilPiilS8_bb.uses_vcc, 1
	.set _ZN9rocsolver6v33100L18getri_kernel_smallILi24E19rocblas_complex_numIdEPKPS3_EEvT1_iilPiilS8_bb.uses_flat_scratch, 1
	.set _ZN9rocsolver6v33100L18getri_kernel_smallILi24E19rocblas_complex_numIdEPKPS3_EEvT1_iilPiilS8_bb.has_dyn_sized_stack, 0
	.set _ZN9rocsolver6v33100L18getri_kernel_smallILi24E19rocblas_complex_numIdEPKPS3_EEvT1_iilPiilS8_bb.has_recursion, 0
	.set _ZN9rocsolver6v33100L18getri_kernel_smallILi24E19rocblas_complex_numIdEPKPS3_EEvT1_iilPiilS8_bb.has_indirect_call, 0
	.section	.AMDGPU.csdata,"",@progbits
; Kernel info:
; codeLenInByte = 31892
; TotalNumSgprs: 38
; NumVgprs: 121
; ScratchSize: 416
; MemoryBound: 0
; FloatMode: 240
; IeeeMode: 1
; LDSByteSize: 776 bytes/workgroup (compile time only)
; SGPRBlocks: 0
; VGPRBlocks: 15
; NumSGPRsForWavesPerEU: 38
; NumVGPRsForWavesPerEU: 121
; Occupancy: 10
; WaveLimiterHint : 1
; COMPUTE_PGM_RSRC2:SCRATCH_EN: 1
; COMPUTE_PGM_RSRC2:USER_SGPR: 2
; COMPUTE_PGM_RSRC2:TRAP_HANDLER: 0
; COMPUTE_PGM_RSRC2:TGID_X_EN: 1
; COMPUTE_PGM_RSRC2:TGID_Y_EN: 0
; COMPUTE_PGM_RSRC2:TGID_Z_EN: 0
; COMPUTE_PGM_RSRC2:TIDIG_COMP_CNT: 0
	.section	.text._ZN9rocsolver6v33100L18getri_kernel_smallILi25E19rocblas_complex_numIdEPKPS3_EEvT1_iilPiilS8_bb,"axG",@progbits,_ZN9rocsolver6v33100L18getri_kernel_smallILi25E19rocblas_complex_numIdEPKPS3_EEvT1_iilPiilS8_bb,comdat
	.globl	_ZN9rocsolver6v33100L18getri_kernel_smallILi25E19rocblas_complex_numIdEPKPS3_EEvT1_iilPiilS8_bb ; -- Begin function _ZN9rocsolver6v33100L18getri_kernel_smallILi25E19rocblas_complex_numIdEPKPS3_EEvT1_iilPiilS8_bb
	.p2align	8
	.type	_ZN9rocsolver6v33100L18getri_kernel_smallILi25E19rocblas_complex_numIdEPKPS3_EEvT1_iilPiilS8_bb,@function
_ZN9rocsolver6v33100L18getri_kernel_smallILi25E19rocblas_complex_numIdEPKPS3_EEvT1_iilPiilS8_bb: ; @_ZN9rocsolver6v33100L18getri_kernel_smallILi25E19rocblas_complex_numIdEPKPS3_EEvT1_iilPiilS8_bb
; %bb.0:
	s_mov_b32 s2, exec_lo
	v_cmpx_gt_u32_e32 25, v0
	s_cbranch_execz .LBB88_114
; %bb.1:
	s_clause 0x1
	s_load_b32 s13, s[0:1], 0x38
	s_load_b64 s[2:3], s[0:1], 0x0
	s_mov_b32 s8, ttmp9
	s_load_b128 s[4:7], s[0:1], 0x28
	s_wait_kmcnt 0x0
	s_bitcmp1_b32 s13, 8
	s_cselect_b32 s12, -1, 0
	s_ashr_i32 s9, ttmp9, 31
	s_delay_alu instid0(SALU_CYCLE_1) | instskip(NEXT) | instid1(SALU_CYCLE_1)
	s_lshl_b64 s[10:11], s[8:9], 3
	s_add_nc_u64 s[2:3], s[2:3], s[10:11]
	s_load_b64 s[10:11], s[2:3], 0x0
	s_bfe_u32 s2, s13, 0x10008
	s_delay_alu instid0(SALU_CYCLE_1)
	s_cmp_eq_u32 s2, 0
                                        ; implicit-def: $sgpr2_sgpr3
	s_cbranch_scc1 .LBB88_3
; %bb.2:
	s_load_b96 s[16:18], s[0:1], 0x18
	s_mul_u64 s[2:3], s[4:5], s[8:9]
	s_delay_alu instid0(SALU_CYCLE_1)
	s_lshl_b64 s[2:3], s[2:3], 2
	s_wait_kmcnt 0x0
	s_ashr_i32 s5, s18, 31
	s_mov_b32 s4, s18
	s_add_nc_u64 s[2:3], s[16:17], s[2:3]
	s_lshl_b64 s[4:5], s[4:5], 2
	s_delay_alu instid0(SALU_CYCLE_1)
	s_add_nc_u64 s[2:3], s[2:3], s[4:5]
.LBB88_3:
	s_clause 0x1
	s_load_b64 s[4:5], s[0:1], 0x8
	s_load_b32 s34, s[0:1], 0x38
	v_lshlrev_b32_e32 v63, 4, v0
	s_mov_b32 s33, 32
	s_mov_b32 s31, 48
	s_mov_b32 s20, 64
	s_wait_kmcnt 0x0
	s_ashr_i32 s1, s4, 31
	s_mov_b32 s0, s4
	v_add3_u32 v5, s5, s5, v0
	s_lshl_b64 s[0:1], s[0:1], 4
	s_delay_alu instid0(SALU_CYCLE_1)
	s_add_nc_u64 s[0:1], s[10:11], s[0:1]
	s_ashr_i32 s11, s5, 31
	v_add_co_u32 v13, s4, s0, v63
	s_wait_alu 0xf1ff
	v_add_co_ci_u32_e64 v14, null, s1, 0, s4
	s_mov_b32 s10, s5
	v_ashrrev_i32_e32 v6, 31, v5
	s_lshl_b64 s[10:11], s[10:11], 4
	flat_load_b128 v[1:4], v[13:14]
	v_add_co_u32 v15, vcc_lo, v13, s10
	s_delay_alu instid0(VALU_DEP_1) | instskip(SKIP_3) | instid1(VALU_DEP_2)
	v_add_co_ci_u32_e64 v16, null, s11, v14, vcc_lo
	v_lshlrev_b64_e32 v[6:7], 4, v[5:6]
	v_add_nc_u32_e32 v5, s5, v5
	s_movk_i32 s4, 0x50
	v_add_co_u32 v17, vcc_lo, s0, v6
	s_wait_alu 0xfffd
	s_delay_alu instid0(VALU_DEP_3) | instskip(SKIP_1) | instid1(VALU_DEP_1)
	v_add_co_ci_u32_e64 v18, null, s1, v7, vcc_lo
	v_ashrrev_i32_e32 v6, 31, v5
	v_lshlrev_b64_e32 v[6:7], 4, v[5:6]
	v_add_nc_u32_e32 v5, s5, v5
	s_delay_alu instid0(VALU_DEP_2) | instskip(SKIP_1) | instid1(VALU_DEP_3)
	v_add_co_u32 v19, vcc_lo, s0, v6
	s_wait_alu 0xfffd
	v_add_co_ci_u32_e64 v20, null, s1, v7, vcc_lo
	s_delay_alu instid0(VALU_DEP_3) | instskip(NEXT) | instid1(VALU_DEP_1)
	v_ashrrev_i32_e32 v6, 31, v5
	v_lshlrev_b64_e32 v[6:7], 4, v[5:6]
	v_add_nc_u32_e32 v5, s5, v5
	s_delay_alu instid0(VALU_DEP_2) | instskip(SKIP_1) | instid1(VALU_DEP_3)
	v_add_co_u32 v21, vcc_lo, s0, v6
	s_wait_alu 0xfffd
	v_add_co_ci_u32_e64 v22, null, s1, v7, vcc_lo
	s_delay_alu instid0(VALU_DEP_3) | instskip(NEXT) | instid1(VALU_DEP_1)
	;; [unrolled: 8-line block ×20, first 2 shown]
	v_ashrrev_i32_e32 v6, 31, v5
	v_lshlrev_b64_e32 v[6:7], 4, v[5:6]
	s_wait_loadcnt_dscnt 0x0
	scratch_store_b128 off, v[1:4], off offset:16
	flat_load_b128 v[1:4], v[15:16]
	v_add_nc_u32_e32 v5, s5, v5
	v_add_co_u32 v59, vcc_lo, s0, v6
	s_wait_alu 0xfffd
	v_add_co_ci_u32_e64 v60, null, s1, v7, vcc_lo
	s_delay_alu instid0(VALU_DEP_3) | instskip(NEXT) | instid1(VALU_DEP_1)
	v_ashrrev_i32_e32 v6, 31, v5
	v_lshlrev_b64_e32 v[5:6], 4, v[5:6]
	s_delay_alu instid0(VALU_DEP_1) | instskip(SKIP_1) | instid1(VALU_DEP_2)
	v_add_co_u32 v61, vcc_lo, s0, v5
	s_wait_alu 0xfffd
	v_add_co_ci_u32_e64 v62, null, s1, v6, vcc_lo
	s_movk_i32 s0, 0x50
	s_movk_i32 s1, 0x60
	s_wait_alu 0xfffe
	s_add_co_i32 s21, s0, 16
	s_add_co_i32 s5, s1, 16
	s_movk_i32 s0, 0x70
	s_movk_i32 s1, 0x80
	s_wait_alu 0xfffe
	s_add_co_i32 s22, s0, 16
	s_add_co_i32 s10, s1, 16
	;; [unrolled: 5-line block ×10, first 2 shown]
	s_bitcmp0_b32 s34, 0
	s_mov_b32 s1, -1
	s_wait_loadcnt_dscnt 0x0
	scratch_store_b128 off, v[1:4], off offset:32
	flat_load_b128 v[1:4], v[17:18]
	s_wait_loadcnt_dscnt 0x0
	scratch_store_b128 off, v[1:4], off offset:48
	flat_load_b128 v[1:4], v[19:20]
	s_wait_loadcnt_dscnt 0x0
	scratch_store_b128 off, v[1:4], off offset:64
	flat_load_b128 v[1:4], v[21:22]
	s_wait_loadcnt_dscnt 0x0
	scratch_store_b128 off, v[1:4], off offset:80
	flat_load_b128 v[1:4], v[23:24]
	s_wait_loadcnt_dscnt 0x0
	scratch_store_b128 off, v[1:4], off offset:96
	flat_load_b128 v[1:4], v[25:26]
	s_wait_loadcnt_dscnt 0x0
	scratch_store_b128 off, v[1:4], off offset:112
	flat_load_b128 v[1:4], v[27:28]
	s_wait_loadcnt_dscnt 0x0
	scratch_store_b128 off, v[1:4], off offset:128
	flat_load_b128 v[1:4], v[29:30]
	s_wait_loadcnt_dscnt 0x0
	scratch_store_b128 off, v[1:4], off offset:144
	flat_load_b128 v[1:4], v[31:32]
	s_wait_loadcnt_dscnt 0x0
	scratch_store_b128 off, v[1:4], off offset:160
	flat_load_b128 v[1:4], v[33:34]
	s_wait_loadcnt_dscnt 0x0
	scratch_store_b128 off, v[1:4], off offset:176
	flat_load_b128 v[1:4], v[35:36]
	s_wait_loadcnt_dscnt 0x0
	scratch_store_b128 off, v[1:4], off offset:192
	flat_load_b128 v[1:4], v[37:38]
	s_wait_loadcnt_dscnt 0x0
	scratch_store_b128 off, v[1:4], off offset:208
	flat_load_b128 v[1:4], v[39:40]
	s_wait_loadcnt_dscnt 0x0
	scratch_store_b128 off, v[1:4], off offset:224
	flat_load_b128 v[1:4], v[41:42]
	s_wait_loadcnt_dscnt 0x0
	scratch_store_b128 off, v[1:4], off offset:240
	flat_load_b128 v[1:4], v[43:44]
	s_wait_loadcnt_dscnt 0x0
	scratch_store_b128 off, v[1:4], off offset:256
	flat_load_b128 v[1:4], v[45:46]
	s_wait_loadcnt_dscnt 0x0
	scratch_store_b128 off, v[1:4], off offset:272
	flat_load_b128 v[1:4], v[47:48]
	s_wait_loadcnt_dscnt 0x0
	scratch_store_b128 off, v[1:4], off offset:288
	flat_load_b128 v[1:4], v[49:50]
	s_wait_loadcnt_dscnt 0x0
	scratch_store_b128 off, v[1:4], off offset:304
	flat_load_b128 v[1:4], v[51:52]
	s_wait_loadcnt_dscnt 0x0
	scratch_store_b128 off, v[1:4], off offset:320
	flat_load_b128 v[1:4], v[53:54]
	s_wait_loadcnt_dscnt 0x0
	scratch_store_b128 off, v[1:4], off offset:336
	flat_load_b128 v[1:4], v[55:56]
	s_wait_loadcnt_dscnt 0x0
	scratch_store_b128 off, v[1:4], off offset:352
	flat_load_b128 v[1:4], v[57:58]
	s_wait_loadcnt_dscnt 0x0
	scratch_store_b128 off, v[1:4], off offset:368
	flat_load_b128 v[1:4], v[59:60]
	s_wait_loadcnt_dscnt 0x0
	scratch_store_b128 off, v[1:4], off offset:384
	flat_load_b128 v[1:4], v[61:62]
	s_wait_loadcnt_dscnt 0x0
	scratch_store_b128 off, v[1:4], off offset:400
	s_cbranch_scc1 .LBB88_112
; %bb.4:
	v_cmp_eq_u32_e64 s0, 0, v0
	s_and_saveexec_b32 s1, s0
; %bb.5:
	v_mov_b32_e32 v1, 0
	ds_store_b32 v1, v1 offset:800
; %bb.6:
	s_wait_alu 0xfffe
	s_or_b32 exec_lo, exec_lo, s1
	s_wait_storecnt_dscnt 0x0
	s_barrier_signal -1
	s_barrier_wait -1
	global_inv scope:SCOPE_SE
	scratch_load_b128 v[1:4], v63, off offset:16
	s_wait_loadcnt 0x0
	v_cmp_eq_f64_e32 vcc_lo, 0, v[1:2]
	v_cmp_eq_f64_e64 s1, 0, v[3:4]
	s_and_b32 s1, vcc_lo, s1
	s_wait_alu 0xfffe
	s_and_saveexec_b32 s34, s1
	s_cbranch_execz .LBB88_10
; %bb.7:
	v_mov_b32_e32 v1, 0
	s_mov_b32 s35, 0
	ds_load_b32 v2, v1 offset:800
	s_wait_dscnt 0x0
	v_readfirstlane_b32 s1, v2
	v_add_nc_u32_e32 v2, 1, v0
	s_cmp_eq_u32 s1, 0
	s_delay_alu instid0(VALU_DEP_1) | instskip(SKIP_1) | instid1(SALU_CYCLE_1)
	v_cmp_gt_i32_e32 vcc_lo, s1, v2
	s_cselect_b32 s36, -1, 0
	s_or_b32 s36, s36, vcc_lo
	s_delay_alu instid0(SALU_CYCLE_1)
	s_and_b32 exec_lo, exec_lo, s36
	s_cbranch_execz .LBB88_10
; %bb.8:
	v_mov_b32_e32 v3, s1
.LBB88_9:                               ; =>This Inner Loop Header: Depth=1
	ds_cmpstore_rtn_b32 v3, v1, v2, v3 offset:800
	s_wait_dscnt 0x0
	v_cmp_ne_u32_e32 vcc_lo, 0, v3
	v_cmp_le_i32_e64 s1, v3, v2
	s_and_b32 s1, vcc_lo, s1
	s_wait_alu 0xfffe
	s_and_b32 s1, exec_lo, s1
	s_wait_alu 0xfffe
	s_or_b32 s35, s1, s35
	s_delay_alu instid0(SALU_CYCLE_1)
	s_and_not1_b32 exec_lo, exec_lo, s35
	s_cbranch_execnz .LBB88_9
.LBB88_10:
	s_or_b32 exec_lo, exec_lo, s34
	v_mov_b32_e32 v1, 0
	s_barrier_signal -1
	s_barrier_wait -1
	global_inv scope:SCOPE_SE
	ds_load_b32 v2, v1 offset:800
	s_and_saveexec_b32 s1, s0
	s_cbranch_execz .LBB88_12
; %bb.11:
	s_lshl_b64 s[34:35], s[8:9], 2
	s_delay_alu instid0(SALU_CYCLE_1)
	s_add_nc_u64 s[34:35], s[6:7], s[34:35]
	s_wait_dscnt 0x0
	global_store_b32 v1, v2, s[34:35]
.LBB88_12:
	s_wait_alu 0xfffe
	s_or_b32 exec_lo, exec_lo, s1
	s_wait_dscnt 0x0
	v_cmp_ne_u32_e32 vcc_lo, 0, v2
	s_mov_b32 s1, 0
	s_cbranch_vccnz .LBB88_112
; %bb.13:
	v_add_nc_u32_e32 v64, 16, v63
                                        ; implicit-def: $vgpr1_vgpr2
                                        ; implicit-def: $vgpr9_vgpr10
	scratch_load_b128 v[5:8], v64, off
	s_wait_loadcnt 0x0
	v_cmp_ngt_f64_e64 s1, |v[5:6]|, |v[7:8]|
	s_wait_alu 0xfffe
	s_and_saveexec_b32 s34, s1
	s_delay_alu instid0(SALU_CYCLE_1)
	s_xor_b32 s1, exec_lo, s34
	s_cbranch_execz .LBB88_15
; %bb.14:
	v_div_scale_f64 v[1:2], null, v[7:8], v[7:8], v[5:6]
	v_div_scale_f64 v[11:12], vcc_lo, v[5:6], v[7:8], v[5:6]
	s_delay_alu instid0(VALU_DEP_2) | instskip(NEXT) | instid1(TRANS32_DEP_1)
	v_rcp_f64_e32 v[3:4], v[1:2]
	v_fma_f64 v[9:10], -v[1:2], v[3:4], 1.0
	s_delay_alu instid0(VALU_DEP_1) | instskip(NEXT) | instid1(VALU_DEP_1)
	v_fma_f64 v[3:4], v[3:4], v[9:10], v[3:4]
	v_fma_f64 v[9:10], -v[1:2], v[3:4], 1.0
	s_delay_alu instid0(VALU_DEP_1) | instskip(NEXT) | instid1(VALU_DEP_1)
	v_fma_f64 v[3:4], v[3:4], v[9:10], v[3:4]
	v_mul_f64_e32 v[9:10], v[11:12], v[3:4]
	s_delay_alu instid0(VALU_DEP_1) | instskip(SKIP_1) | instid1(VALU_DEP_1)
	v_fma_f64 v[1:2], -v[1:2], v[9:10], v[11:12]
	s_wait_alu 0xfffd
	v_div_fmas_f64 v[1:2], v[1:2], v[3:4], v[9:10]
	s_delay_alu instid0(VALU_DEP_1) | instskip(NEXT) | instid1(VALU_DEP_1)
	v_div_fixup_f64 v[1:2], v[1:2], v[7:8], v[5:6]
	v_fma_f64 v[3:4], v[5:6], v[1:2], v[7:8]
	s_delay_alu instid0(VALU_DEP_1) | instskip(SKIP_1) | instid1(VALU_DEP_2)
	v_div_scale_f64 v[5:6], null, v[3:4], v[3:4], 1.0
	v_div_scale_f64 v[11:12], vcc_lo, 1.0, v[3:4], 1.0
	v_rcp_f64_e32 v[7:8], v[5:6]
	s_delay_alu instid0(TRANS32_DEP_1) | instskip(NEXT) | instid1(VALU_DEP_1)
	v_fma_f64 v[9:10], -v[5:6], v[7:8], 1.0
	v_fma_f64 v[7:8], v[7:8], v[9:10], v[7:8]
	s_delay_alu instid0(VALU_DEP_1) | instskip(NEXT) | instid1(VALU_DEP_1)
	v_fma_f64 v[9:10], -v[5:6], v[7:8], 1.0
	v_fma_f64 v[7:8], v[7:8], v[9:10], v[7:8]
	s_delay_alu instid0(VALU_DEP_1) | instskip(NEXT) | instid1(VALU_DEP_1)
	v_mul_f64_e32 v[9:10], v[11:12], v[7:8]
	v_fma_f64 v[5:6], -v[5:6], v[9:10], v[11:12]
	s_wait_alu 0xfffd
	s_delay_alu instid0(VALU_DEP_1) | instskip(NEXT) | instid1(VALU_DEP_1)
	v_div_fmas_f64 v[5:6], v[5:6], v[7:8], v[9:10]
	v_div_fixup_f64 v[3:4], v[5:6], v[3:4], 1.0
                                        ; implicit-def: $vgpr5_vgpr6
	s_delay_alu instid0(VALU_DEP_1) | instskip(SKIP_1) | instid1(VALU_DEP_2)
	v_mul_f64_e32 v[1:2], v[1:2], v[3:4]
	v_xor_b32_e32 v4, 0x80000000, v4
	v_xor_b32_e32 v10, 0x80000000, v2
	s_delay_alu instid0(VALU_DEP_3)
	v_mov_b32_e32 v9, v1
.LBB88_15:
	s_wait_alu 0xfffe
	s_and_not1_saveexec_b32 s1, s1
	s_cbranch_execz .LBB88_17
; %bb.16:
	v_div_scale_f64 v[1:2], null, v[5:6], v[5:6], v[7:8]
	v_div_scale_f64 v[11:12], vcc_lo, v[7:8], v[5:6], v[7:8]
	s_delay_alu instid0(VALU_DEP_2) | instskip(NEXT) | instid1(TRANS32_DEP_1)
	v_rcp_f64_e32 v[3:4], v[1:2]
	v_fma_f64 v[9:10], -v[1:2], v[3:4], 1.0
	s_delay_alu instid0(VALU_DEP_1) | instskip(NEXT) | instid1(VALU_DEP_1)
	v_fma_f64 v[3:4], v[3:4], v[9:10], v[3:4]
	v_fma_f64 v[9:10], -v[1:2], v[3:4], 1.0
	s_delay_alu instid0(VALU_DEP_1) | instskip(NEXT) | instid1(VALU_DEP_1)
	v_fma_f64 v[3:4], v[3:4], v[9:10], v[3:4]
	v_mul_f64_e32 v[9:10], v[11:12], v[3:4]
	s_delay_alu instid0(VALU_DEP_1) | instskip(SKIP_1) | instid1(VALU_DEP_1)
	v_fma_f64 v[1:2], -v[1:2], v[9:10], v[11:12]
	s_wait_alu 0xfffd
	v_div_fmas_f64 v[1:2], v[1:2], v[3:4], v[9:10]
	s_delay_alu instid0(VALU_DEP_1) | instskip(NEXT) | instid1(VALU_DEP_1)
	v_div_fixup_f64 v[3:4], v[1:2], v[5:6], v[7:8]
	v_fma_f64 v[1:2], v[7:8], v[3:4], v[5:6]
	s_delay_alu instid0(VALU_DEP_1) | instskip(NEXT) | instid1(VALU_DEP_1)
	v_div_scale_f64 v[5:6], null, v[1:2], v[1:2], 1.0
	v_rcp_f64_e32 v[7:8], v[5:6]
	s_delay_alu instid0(TRANS32_DEP_1) | instskip(NEXT) | instid1(VALU_DEP_1)
	v_fma_f64 v[9:10], -v[5:6], v[7:8], 1.0
	v_fma_f64 v[7:8], v[7:8], v[9:10], v[7:8]
	s_delay_alu instid0(VALU_DEP_1) | instskip(NEXT) | instid1(VALU_DEP_1)
	v_fma_f64 v[9:10], -v[5:6], v[7:8], 1.0
	v_fma_f64 v[7:8], v[7:8], v[9:10], v[7:8]
	v_div_scale_f64 v[9:10], vcc_lo, 1.0, v[1:2], 1.0
	s_delay_alu instid0(VALU_DEP_1) | instskip(NEXT) | instid1(VALU_DEP_1)
	v_mul_f64_e32 v[11:12], v[9:10], v[7:8]
	v_fma_f64 v[5:6], -v[5:6], v[11:12], v[9:10]
	s_wait_alu 0xfffd
	s_delay_alu instid0(VALU_DEP_1) | instskip(NEXT) | instid1(VALU_DEP_1)
	v_div_fmas_f64 v[5:6], v[5:6], v[7:8], v[11:12]
	v_div_fixup_f64 v[1:2], v[5:6], v[1:2], 1.0
	s_delay_alu instid0(VALU_DEP_1)
	v_mul_f64_e64 v[3:4], v[3:4], -v[1:2]
	v_xor_b32_e32 v10, 0x80000000, v2
	v_mov_b32_e32 v9, v1
.LBB88_17:
	s_wait_alu 0xfffe
	s_or_b32 exec_lo, exec_lo, s1
	scratch_store_b128 v64, v[1:4], off
	scratch_load_b128 v[65:68], off, s33
	v_xor_b32_e32 v12, 0x80000000, v4
	v_mov_b32_e32 v11, v3
	v_add_nc_u32_e32 v5, 0x190, v63
	ds_store_b128 v63, v[9:12]
	s_wait_loadcnt 0x0
	ds_store_b128 v63, v[65:68] offset:400
	s_wait_storecnt_dscnt 0x0
	s_barrier_signal -1
	s_barrier_wait -1
	global_inv scope:SCOPE_SE
	s_and_saveexec_b32 s1, s0
	s_cbranch_execz .LBB88_19
; %bb.18:
	scratch_load_b128 v[1:4], v64, off
	ds_load_b128 v[6:9], v5
	v_mov_b32_e32 v10, 0
	ds_load_b128 v[65:68], v10 offset:16
	s_wait_loadcnt_dscnt 0x1
	v_mul_f64_e32 v[10:11], v[6:7], v[3:4]
	v_mul_f64_e32 v[3:4], v[8:9], v[3:4]
	s_delay_alu instid0(VALU_DEP_2) | instskip(NEXT) | instid1(VALU_DEP_2)
	v_fma_f64 v[8:9], v[8:9], v[1:2], v[10:11]
	v_fma_f64 v[1:2], v[6:7], v[1:2], -v[3:4]
	s_delay_alu instid0(VALU_DEP_2) | instskip(NEXT) | instid1(VALU_DEP_2)
	v_add_f64_e32 v[3:4], 0, v[8:9]
	v_add_f64_e32 v[1:2], 0, v[1:2]
	s_wait_dscnt 0x0
	s_delay_alu instid0(VALU_DEP_2) | instskip(NEXT) | instid1(VALU_DEP_2)
	v_mul_f64_e32 v[6:7], v[3:4], v[67:68]
	v_mul_f64_e32 v[8:9], v[1:2], v[67:68]
	s_delay_alu instid0(VALU_DEP_2) | instskip(NEXT) | instid1(VALU_DEP_2)
	v_fma_f64 v[1:2], v[1:2], v[65:66], -v[6:7]
	v_fma_f64 v[3:4], v[3:4], v[65:66], v[8:9]
	scratch_store_b128 off, v[1:4], off offset:32
.LBB88_19:
	s_wait_alu 0xfffe
	s_or_b32 exec_lo, exec_lo, s1
	s_wait_loadcnt 0x0
	s_wait_storecnt 0x0
	s_barrier_signal -1
	s_barrier_wait -1
	global_inv scope:SCOPE_SE
	scratch_load_b128 v[1:4], off, s31
	s_mov_b32 s1, exec_lo
	s_wait_loadcnt 0x0
	ds_store_b128 v5, v[1:4]
	s_wait_dscnt 0x0
	s_barrier_signal -1
	s_barrier_wait -1
	global_inv scope:SCOPE_SE
	v_cmpx_gt_u32_e32 2, v0
	s_cbranch_execz .LBB88_23
; %bb.20:
	scratch_load_b128 v[1:4], v64, off
	ds_load_b128 v[6:9], v5
	s_wait_loadcnt_dscnt 0x0
	v_mul_f64_e32 v[10:11], v[8:9], v[3:4]
	v_mul_f64_e32 v[3:4], v[6:7], v[3:4]
	s_delay_alu instid0(VALU_DEP_2) | instskip(NEXT) | instid1(VALU_DEP_2)
	v_fma_f64 v[6:7], v[6:7], v[1:2], -v[10:11]
	v_fma_f64 v[3:4], v[8:9], v[1:2], v[3:4]
	s_delay_alu instid0(VALU_DEP_2) | instskip(NEXT) | instid1(VALU_DEP_2)
	v_add_f64_e32 v[1:2], 0, v[6:7]
	v_add_f64_e32 v[3:4], 0, v[3:4]
	s_and_saveexec_b32 s34, s0
	s_cbranch_execz .LBB88_22
; %bb.21:
	scratch_load_b128 v[6:9], off, off offset:32
	v_mov_b32_e32 v10, 0
	ds_load_b128 v[65:68], v10 offset:416
	s_wait_loadcnt_dscnt 0x0
	v_mul_f64_e32 v[10:11], v[65:66], v[8:9]
	v_mul_f64_e32 v[8:9], v[67:68], v[8:9]
	s_delay_alu instid0(VALU_DEP_2) | instskip(NEXT) | instid1(VALU_DEP_2)
	v_fma_f64 v[10:11], v[67:68], v[6:7], v[10:11]
	v_fma_f64 v[6:7], v[65:66], v[6:7], -v[8:9]
	s_delay_alu instid0(VALU_DEP_2) | instskip(NEXT) | instid1(VALU_DEP_2)
	v_add_f64_e32 v[3:4], v[3:4], v[10:11]
	v_add_f64_e32 v[1:2], v[1:2], v[6:7]
.LBB88_22:
	s_or_b32 exec_lo, exec_lo, s34
	v_mov_b32_e32 v6, 0
	ds_load_b128 v[6:9], v6 offset:32
	s_wait_dscnt 0x0
	v_mul_f64_e32 v[10:11], v[3:4], v[8:9]
	v_mul_f64_e32 v[8:9], v[1:2], v[8:9]
	s_delay_alu instid0(VALU_DEP_2) | instskip(NEXT) | instid1(VALU_DEP_2)
	v_fma_f64 v[1:2], v[1:2], v[6:7], -v[10:11]
	v_fma_f64 v[3:4], v[3:4], v[6:7], v[8:9]
	scratch_store_b128 off, v[1:4], off offset:48
.LBB88_23:
	s_wait_alu 0xfffe
	s_or_b32 exec_lo, exec_lo, s1
	s_wait_loadcnt 0x0
	s_wait_storecnt 0x0
	s_barrier_signal -1
	s_barrier_wait -1
	global_inv scope:SCOPE_SE
	scratch_load_b128 v[1:4], off, s20
	v_add_nc_u32_e32 v6, -1, v0
	s_mov_b32 s0, exec_lo
	s_wait_loadcnt 0x0
	ds_store_b128 v5, v[1:4]
	s_wait_dscnt 0x0
	s_barrier_signal -1
	s_barrier_wait -1
	global_inv scope:SCOPE_SE
	v_cmpx_gt_u32_e32 3, v0
	s_cbranch_execz .LBB88_27
; %bb.24:
	v_dual_mov_b32 v1, 0 :: v_dual_add_nc_u32 v8, 0x190, v63
	v_mov_b32_e32 v3, 0
	v_dual_mov_b32 v2, 0 :: v_dual_add_nc_u32 v7, -1, v0
	v_mov_b32_e32 v4, 0
	v_or_b32_e32 v9, 8, v64
	s_mov_b32 s1, 0
.LBB88_25:                              ; =>This Inner Loop Header: Depth=1
	scratch_load_b128 v[65:68], v9, off offset:-8
	ds_load_b128 v[69:72], v8
	v_add_nc_u32_e32 v7, 1, v7
	v_add_nc_u32_e32 v8, 16, v8
	v_add_nc_u32_e32 v9, 16, v9
	s_delay_alu instid0(VALU_DEP_3)
	v_cmp_lt_u32_e32 vcc_lo, 1, v7
	s_wait_alu 0xfffe
	s_or_b32 s1, vcc_lo, s1
	s_wait_loadcnt_dscnt 0x0
	v_mul_f64_e32 v[10:11], v[71:72], v[67:68]
	v_mul_f64_e32 v[67:68], v[69:70], v[67:68]
	s_delay_alu instid0(VALU_DEP_2) | instskip(NEXT) | instid1(VALU_DEP_2)
	v_fma_f64 v[10:11], v[69:70], v[65:66], -v[10:11]
	v_fma_f64 v[65:66], v[71:72], v[65:66], v[67:68]
	s_delay_alu instid0(VALU_DEP_2) | instskip(NEXT) | instid1(VALU_DEP_2)
	v_add_f64_e32 v[3:4], v[3:4], v[10:11]
	v_add_f64_e32 v[1:2], v[1:2], v[65:66]
	s_wait_alu 0xfffe
	s_and_not1_b32 exec_lo, exec_lo, s1
	s_cbranch_execnz .LBB88_25
; %bb.26:
	s_or_b32 exec_lo, exec_lo, s1
	v_mov_b32_e32 v7, 0
	ds_load_b128 v[7:10], v7 offset:48
	s_wait_dscnt 0x0
	v_mul_f64_e32 v[11:12], v[1:2], v[9:10]
	v_mul_f64_e32 v[65:66], v[3:4], v[9:10]
	s_delay_alu instid0(VALU_DEP_2) | instskip(NEXT) | instid1(VALU_DEP_2)
	v_fma_f64 v[9:10], v[3:4], v[7:8], -v[11:12]
	v_fma_f64 v[11:12], v[1:2], v[7:8], v[65:66]
	scratch_store_b128 off, v[9:12], off offset:64
.LBB88_27:
	s_wait_alu 0xfffe
	s_or_b32 exec_lo, exec_lo, s0
	s_wait_loadcnt 0x0
	s_wait_storecnt 0x0
	s_barrier_signal -1
	s_barrier_wait -1
	global_inv scope:SCOPE_SE
	scratch_load_b128 v[1:4], off, s4
	s_mov_b32 s0, exec_lo
	s_wait_loadcnt 0x0
	ds_store_b128 v5, v[1:4]
	s_wait_dscnt 0x0
	s_barrier_signal -1
	s_barrier_wait -1
	global_inv scope:SCOPE_SE
	v_cmpx_gt_u32_e32 4, v0
	s_cbranch_execz .LBB88_31
; %bb.28:
	v_dual_mov_b32 v1, 0 :: v_dual_add_nc_u32 v8, 0x190, v63
	v_mov_b32_e32 v3, 0
	v_dual_mov_b32 v2, 0 :: v_dual_add_nc_u32 v7, -1, v0
	v_mov_b32_e32 v4, 0
	v_or_b32_e32 v9, 8, v64
	s_mov_b32 s1, 0
.LBB88_29:                              ; =>This Inner Loop Header: Depth=1
	scratch_load_b128 v[65:68], v9, off offset:-8
	ds_load_b128 v[69:72], v8
	v_add_nc_u32_e32 v7, 1, v7
	v_add_nc_u32_e32 v8, 16, v8
	v_add_nc_u32_e32 v9, 16, v9
	s_delay_alu instid0(VALU_DEP_3)
	v_cmp_lt_u32_e32 vcc_lo, 2, v7
	s_wait_alu 0xfffe
	s_or_b32 s1, vcc_lo, s1
	s_wait_loadcnt_dscnt 0x0
	v_mul_f64_e32 v[10:11], v[71:72], v[67:68]
	v_mul_f64_e32 v[67:68], v[69:70], v[67:68]
	s_delay_alu instid0(VALU_DEP_2) | instskip(NEXT) | instid1(VALU_DEP_2)
	v_fma_f64 v[10:11], v[69:70], v[65:66], -v[10:11]
	v_fma_f64 v[65:66], v[71:72], v[65:66], v[67:68]
	s_delay_alu instid0(VALU_DEP_2) | instskip(NEXT) | instid1(VALU_DEP_2)
	v_add_f64_e32 v[3:4], v[3:4], v[10:11]
	v_add_f64_e32 v[1:2], v[1:2], v[65:66]
	s_wait_alu 0xfffe
	s_and_not1_b32 exec_lo, exec_lo, s1
	s_cbranch_execnz .LBB88_29
; %bb.30:
	s_or_b32 exec_lo, exec_lo, s1
	v_mov_b32_e32 v7, 0
	ds_load_b128 v[7:10], v7 offset:64
	s_wait_dscnt 0x0
	v_mul_f64_e32 v[11:12], v[1:2], v[9:10]
	v_mul_f64_e32 v[65:66], v[3:4], v[9:10]
	s_delay_alu instid0(VALU_DEP_2) | instskip(NEXT) | instid1(VALU_DEP_2)
	v_fma_f64 v[9:10], v[3:4], v[7:8], -v[11:12]
	v_fma_f64 v[11:12], v[1:2], v[7:8], v[65:66]
	scratch_store_b128 off, v[9:12], off offset:80
.LBB88_31:
	s_wait_alu 0xfffe
	s_or_b32 exec_lo, exec_lo, s0
	s_wait_loadcnt 0x0
	s_wait_storecnt 0x0
	s_barrier_signal -1
	s_barrier_wait -1
	global_inv scope:SCOPE_SE
	scratch_load_b128 v[1:4], off, s21
	;; [unrolled: 58-line block ×19, first 2 shown]
	s_mov_b32 s0, exec_lo
	s_wait_loadcnt 0x0
	ds_store_b128 v5, v[1:4]
	s_wait_dscnt 0x0
	s_barrier_signal -1
	s_barrier_wait -1
	global_inv scope:SCOPE_SE
	v_cmpx_gt_u32_e32 22, v0
	s_cbranch_execz .LBB88_103
; %bb.100:
	v_dual_mov_b32 v1, 0 :: v_dual_add_nc_u32 v8, 0x190, v63
	v_mov_b32_e32 v3, 0
	v_dual_mov_b32 v2, 0 :: v_dual_add_nc_u32 v7, -1, v0
	v_mov_b32_e32 v4, 0
	v_or_b32_e32 v9, 8, v64
	s_mov_b32 s1, 0
.LBB88_101:                             ; =>This Inner Loop Header: Depth=1
	scratch_load_b128 v[65:68], v9, off offset:-8
	ds_load_b128 v[69:72], v8
	v_add_nc_u32_e32 v7, 1, v7
	v_add_nc_u32_e32 v8, 16, v8
	;; [unrolled: 1-line block ×3, first 2 shown]
	s_delay_alu instid0(VALU_DEP_3)
	v_cmp_lt_u32_e32 vcc_lo, 20, v7
	s_wait_alu 0xfffe
	s_or_b32 s1, vcc_lo, s1
	s_wait_loadcnt_dscnt 0x0
	v_mul_f64_e32 v[10:11], v[71:72], v[67:68]
	v_mul_f64_e32 v[67:68], v[69:70], v[67:68]
	s_delay_alu instid0(VALU_DEP_2) | instskip(NEXT) | instid1(VALU_DEP_2)
	v_fma_f64 v[10:11], v[69:70], v[65:66], -v[10:11]
	v_fma_f64 v[65:66], v[71:72], v[65:66], v[67:68]
	s_delay_alu instid0(VALU_DEP_2) | instskip(NEXT) | instid1(VALU_DEP_2)
	v_add_f64_e32 v[3:4], v[3:4], v[10:11]
	v_add_f64_e32 v[1:2], v[1:2], v[65:66]
	s_wait_alu 0xfffe
	s_and_not1_b32 exec_lo, exec_lo, s1
	s_cbranch_execnz .LBB88_101
; %bb.102:
	s_or_b32 exec_lo, exec_lo, s1
	v_mov_b32_e32 v7, 0
	ds_load_b128 v[7:10], v7 offset:352
	s_wait_dscnt 0x0
	v_mul_f64_e32 v[11:12], v[1:2], v[9:10]
	v_mul_f64_e32 v[65:66], v[3:4], v[9:10]
	s_delay_alu instid0(VALU_DEP_2) | instskip(NEXT) | instid1(VALU_DEP_2)
	v_fma_f64 v[9:10], v[3:4], v[7:8], -v[11:12]
	v_fma_f64 v[11:12], v[1:2], v[7:8], v[65:66]
	scratch_store_b128 off, v[9:12], off offset:368
.LBB88_103:
	s_wait_alu 0xfffe
	s_or_b32 exec_lo, exec_lo, s0
	s_wait_loadcnt 0x0
	s_wait_storecnt 0x0
	s_barrier_signal -1
	s_barrier_wait -1
	global_inv scope:SCOPE_SE
	scratch_load_b128 v[1:4], off, s30
	s_mov_b32 s0, exec_lo
	s_wait_loadcnt 0x0
	ds_store_b128 v5, v[1:4]
	s_wait_dscnt 0x0
	s_barrier_signal -1
	s_barrier_wait -1
	global_inv scope:SCOPE_SE
	v_cmpx_gt_u32_e32 23, v0
	s_cbranch_execz .LBB88_107
; %bb.104:
	v_dual_mov_b32 v1, 0 :: v_dual_add_nc_u32 v8, 0x190, v63
	v_mov_b32_e32 v3, 0
	v_dual_mov_b32 v2, 0 :: v_dual_add_nc_u32 v7, -1, v0
	v_mov_b32_e32 v4, 0
	v_or_b32_e32 v9, 8, v64
	s_mov_b32 s1, 0
.LBB88_105:                             ; =>This Inner Loop Header: Depth=1
	scratch_load_b128 v[65:68], v9, off offset:-8
	ds_load_b128 v[69:72], v8
	v_add_nc_u32_e32 v7, 1, v7
	v_add_nc_u32_e32 v8, 16, v8
	;; [unrolled: 1-line block ×3, first 2 shown]
	s_delay_alu instid0(VALU_DEP_3)
	v_cmp_lt_u32_e32 vcc_lo, 21, v7
	s_wait_alu 0xfffe
	s_or_b32 s1, vcc_lo, s1
	s_wait_loadcnt_dscnt 0x0
	v_mul_f64_e32 v[10:11], v[71:72], v[67:68]
	v_mul_f64_e32 v[67:68], v[69:70], v[67:68]
	s_delay_alu instid0(VALU_DEP_2) | instskip(NEXT) | instid1(VALU_DEP_2)
	v_fma_f64 v[10:11], v[69:70], v[65:66], -v[10:11]
	v_fma_f64 v[65:66], v[71:72], v[65:66], v[67:68]
	s_delay_alu instid0(VALU_DEP_2) | instskip(NEXT) | instid1(VALU_DEP_2)
	v_add_f64_e32 v[3:4], v[3:4], v[10:11]
	v_add_f64_e32 v[1:2], v[1:2], v[65:66]
	s_wait_alu 0xfffe
	s_and_not1_b32 exec_lo, exec_lo, s1
	s_cbranch_execnz .LBB88_105
; %bb.106:
	s_or_b32 exec_lo, exec_lo, s1
	v_mov_b32_e32 v7, 0
	ds_load_b128 v[7:10], v7 offset:368
	s_wait_dscnt 0x0
	v_mul_f64_e32 v[11:12], v[1:2], v[9:10]
	v_mul_f64_e32 v[65:66], v[3:4], v[9:10]
	s_delay_alu instid0(VALU_DEP_2) | instskip(NEXT) | instid1(VALU_DEP_2)
	v_fma_f64 v[9:10], v[3:4], v[7:8], -v[11:12]
	v_fma_f64 v[11:12], v[1:2], v[7:8], v[65:66]
	scratch_store_b128 off, v[9:12], off offset:384
.LBB88_107:
	s_wait_alu 0xfffe
	s_or_b32 exec_lo, exec_lo, s0
	s_wait_loadcnt 0x0
	s_wait_storecnt 0x0
	s_barrier_signal -1
	s_barrier_wait -1
	global_inv scope:SCOPE_SE
	scratch_load_b128 v[1:4], off, s19
	s_mov_b32 s0, exec_lo
	s_wait_loadcnt 0x0
	ds_store_b128 v5, v[1:4]
	s_wait_dscnt 0x0
	s_barrier_signal -1
	s_barrier_wait -1
	global_inv scope:SCOPE_SE
	v_cmpx_ne_u32_e32 24, v0
	s_cbranch_execz .LBB88_111
; %bb.108:
	v_mov_b32_e32 v1, 0
	v_dual_mov_b32 v2, 0 :: v_dual_mov_b32 v3, 0
	v_mov_b32_e32 v4, 0
	v_or_b32_e32 v7, 8, v64
	s_mov_b32 s1, 0
.LBB88_109:                             ; =>This Inner Loop Header: Depth=1
	scratch_load_b128 v[8:11], v7, off offset:-8
	ds_load_b128 v[63:66], v5
	v_add_nc_u32_e32 v6, 1, v6
	v_add_nc_u32_e32 v5, 16, v5
	;; [unrolled: 1-line block ×3, first 2 shown]
	s_delay_alu instid0(VALU_DEP_3)
	v_cmp_lt_u32_e32 vcc_lo, 22, v6
	s_wait_alu 0xfffe
	s_or_b32 s1, vcc_lo, s1
	s_wait_loadcnt_dscnt 0x0
	v_mul_f64_e32 v[67:68], v[65:66], v[10:11]
	v_mul_f64_e32 v[10:11], v[63:64], v[10:11]
	s_delay_alu instid0(VALU_DEP_2) | instskip(NEXT) | instid1(VALU_DEP_2)
	v_fma_f64 v[63:64], v[63:64], v[8:9], -v[67:68]
	v_fma_f64 v[8:9], v[65:66], v[8:9], v[10:11]
	s_delay_alu instid0(VALU_DEP_2) | instskip(NEXT) | instid1(VALU_DEP_2)
	v_add_f64_e32 v[3:4], v[3:4], v[63:64]
	v_add_f64_e32 v[1:2], v[1:2], v[8:9]
	s_wait_alu 0xfffe
	s_and_not1_b32 exec_lo, exec_lo, s1
	s_cbranch_execnz .LBB88_109
; %bb.110:
	s_or_b32 exec_lo, exec_lo, s1
	v_mov_b32_e32 v5, 0
	ds_load_b128 v[5:8], v5 offset:384
	s_wait_dscnt 0x0
	v_mul_f64_e32 v[9:10], v[1:2], v[7:8]
	v_mul_f64_e32 v[7:8], v[3:4], v[7:8]
	s_delay_alu instid0(VALU_DEP_2) | instskip(NEXT) | instid1(VALU_DEP_2)
	v_fma_f64 v[3:4], v[3:4], v[5:6], -v[9:10]
	v_fma_f64 v[5:6], v[1:2], v[5:6], v[7:8]
	scratch_store_b128 off, v[3:6], off offset:400
.LBB88_111:
	s_wait_alu 0xfffe
	s_or_b32 exec_lo, exec_lo, s0
	s_mov_b32 s1, -1
	s_wait_loadcnt 0x0
	s_wait_storecnt 0x0
	s_barrier_signal -1
	s_barrier_wait -1
	global_inv scope:SCOPE_SE
.LBB88_112:
	s_wait_alu 0xfffe
	s_and_b32 vcc_lo, exec_lo, s1
	s_wait_alu 0xfffe
	s_cbranch_vccz .LBB88_114
; %bb.113:
	v_mov_b32_e32 v1, 0
	s_lshl_b64 s[0:1], s[8:9], 2
	s_wait_alu 0xfffe
	s_add_nc_u64 s[0:1], s[6:7], s[0:1]
	global_load_b32 v1, v1, s[0:1]
	s_wait_loadcnt 0x0
	v_cmp_ne_u32_e32 vcc_lo, 0, v1
	s_cbranch_vccz .LBB88_115
.LBB88_114:
	s_nop 0
	s_sendmsg sendmsg(MSG_DEALLOC_VGPRS)
	s_endpgm
.LBB88_115:
	v_lshl_add_u32 v5, v0, 4, 0x190
	s_mov_b32 s0, exec_lo
	v_cmpx_eq_u32_e32 24, v0
	s_cbranch_execz .LBB88_117
; %bb.116:
	scratch_load_b128 v[1:4], off, s30
	v_mov_b32_e32 v6, 0
	s_delay_alu instid0(VALU_DEP_1)
	v_dual_mov_b32 v7, v6 :: v_dual_mov_b32 v8, v6
	v_mov_b32_e32 v9, v6
	scratch_store_b128 off, v[6:9], off offset:384
	s_wait_loadcnt 0x0
	ds_store_b128 v5, v[1:4]
.LBB88_117:
	s_wait_alu 0xfffe
	s_or_b32 exec_lo, exec_lo, s0
	s_wait_storecnt_dscnt 0x0
	s_barrier_signal -1
	s_barrier_wait -1
	global_inv scope:SCOPE_SE
	s_clause 0x1
	scratch_load_b128 v[6:9], off, off offset:400
	scratch_load_b128 v[63:66], off, off offset:384
	v_mov_b32_e32 v1, 0
	s_mov_b32 s0, exec_lo
	ds_load_b128 v[67:70], v1 offset:784
	s_wait_loadcnt_dscnt 0x100
	v_mul_f64_e32 v[2:3], v[69:70], v[8:9]
	v_mul_f64_e32 v[8:9], v[67:68], v[8:9]
	s_delay_alu instid0(VALU_DEP_2) | instskip(NEXT) | instid1(VALU_DEP_2)
	v_fma_f64 v[2:3], v[67:68], v[6:7], -v[2:3]
	v_fma_f64 v[6:7], v[69:70], v[6:7], v[8:9]
	s_delay_alu instid0(VALU_DEP_2) | instskip(NEXT) | instid1(VALU_DEP_2)
	v_add_f64_e32 v[2:3], 0, v[2:3]
	v_add_f64_e32 v[8:9], 0, v[6:7]
	s_wait_loadcnt 0x0
	s_delay_alu instid0(VALU_DEP_2) | instskip(NEXT) | instid1(VALU_DEP_2)
	v_add_f64_e64 v[6:7], v[63:64], -v[2:3]
	v_add_f64_e64 v[8:9], v[65:66], -v[8:9]
	scratch_store_b128 off, v[6:9], off offset:384
	v_cmpx_lt_u32_e32 22, v0
	s_cbranch_execz .LBB88_119
; %bb.118:
	scratch_load_b128 v[6:9], off, s18
	v_dual_mov_b32 v2, v1 :: v_dual_mov_b32 v3, v1
	v_mov_b32_e32 v4, v1
	scratch_store_b128 off, v[1:4], off offset:368
	s_wait_loadcnt 0x0
	ds_store_b128 v5, v[6:9]
.LBB88_119:
	s_wait_alu 0xfffe
	s_or_b32 exec_lo, exec_lo, s0
	s_wait_storecnt_dscnt 0x0
	s_barrier_signal -1
	s_barrier_wait -1
	global_inv scope:SCOPE_SE
	s_clause 0x2
	scratch_load_b128 v[6:9], off, off offset:384
	scratch_load_b128 v[63:66], off, off offset:400
	;; [unrolled: 1-line block ×3, first 2 shown]
	ds_load_b128 v[71:74], v1 offset:768
	ds_load_b128 v[1:4], v1 offset:784
	s_mov_b32 s0, exec_lo
	s_wait_loadcnt_dscnt 0x201
	v_mul_f64_e32 v[10:11], v[73:74], v[8:9]
	v_mul_f64_e32 v[8:9], v[71:72], v[8:9]
	s_wait_loadcnt_dscnt 0x100
	v_mul_f64_e32 v[75:76], v[1:2], v[65:66]
	v_mul_f64_e32 v[65:66], v[3:4], v[65:66]
	s_delay_alu instid0(VALU_DEP_4) | instskip(NEXT) | instid1(VALU_DEP_4)
	v_fma_f64 v[10:11], v[71:72], v[6:7], -v[10:11]
	v_fma_f64 v[6:7], v[73:74], v[6:7], v[8:9]
	s_delay_alu instid0(VALU_DEP_4) | instskip(NEXT) | instid1(VALU_DEP_4)
	v_fma_f64 v[3:4], v[3:4], v[63:64], v[75:76]
	v_fma_f64 v[1:2], v[1:2], v[63:64], -v[65:66]
	s_delay_alu instid0(VALU_DEP_4) | instskip(NEXT) | instid1(VALU_DEP_4)
	v_add_f64_e32 v[8:9], 0, v[10:11]
	v_add_f64_e32 v[6:7], 0, v[6:7]
	s_delay_alu instid0(VALU_DEP_2) | instskip(NEXT) | instid1(VALU_DEP_2)
	v_add_f64_e32 v[1:2], v[8:9], v[1:2]
	v_add_f64_e32 v[3:4], v[6:7], v[3:4]
	s_wait_loadcnt 0x0
	s_delay_alu instid0(VALU_DEP_2) | instskip(NEXT) | instid1(VALU_DEP_2)
	v_add_f64_e64 v[1:2], v[67:68], -v[1:2]
	v_add_f64_e64 v[3:4], v[69:70], -v[3:4]
	scratch_store_b128 off, v[1:4], off offset:368
	v_cmpx_lt_u32_e32 21, v0
	s_cbranch_execz .LBB88_121
; %bb.120:
	scratch_load_b128 v[1:4], off, s29
	v_mov_b32_e32 v6, 0
	s_delay_alu instid0(VALU_DEP_1)
	v_dual_mov_b32 v7, v6 :: v_dual_mov_b32 v8, v6
	v_mov_b32_e32 v9, v6
	scratch_store_b128 off, v[6:9], off offset:352
	s_wait_loadcnt 0x0
	ds_store_b128 v5, v[1:4]
.LBB88_121:
	s_wait_alu 0xfffe
	s_or_b32 exec_lo, exec_lo, s0
	s_wait_storecnt_dscnt 0x0
	s_barrier_signal -1
	s_barrier_wait -1
	global_inv scope:SCOPE_SE
	s_clause 0x3
	scratch_load_b128 v[6:9], off, off offset:368
	scratch_load_b128 v[63:66], off, off offset:384
	;; [unrolled: 1-line block ×4, first 2 shown]
	v_mov_b32_e32 v1, 0
	ds_load_b128 v[75:78], v1 offset:752
	ds_load_b128 v[79:82], v1 offset:768
	s_mov_b32 s0, exec_lo
	s_wait_loadcnt_dscnt 0x301
	v_mul_f64_e32 v[2:3], v[77:78], v[8:9]
	v_mul_f64_e32 v[8:9], v[75:76], v[8:9]
	s_wait_loadcnt_dscnt 0x200
	v_mul_f64_e32 v[10:11], v[79:80], v[65:66]
	v_mul_f64_e32 v[65:66], v[81:82], v[65:66]
	s_delay_alu instid0(VALU_DEP_4) | instskip(NEXT) | instid1(VALU_DEP_4)
	v_fma_f64 v[2:3], v[75:76], v[6:7], -v[2:3]
	v_fma_f64 v[75:76], v[77:78], v[6:7], v[8:9]
	ds_load_b128 v[6:9], v1 offset:784
	v_fma_f64 v[10:11], v[81:82], v[63:64], v[10:11]
	v_fma_f64 v[63:64], v[79:80], v[63:64], -v[65:66]
	s_wait_loadcnt_dscnt 0x100
	v_mul_f64_e32 v[77:78], v[6:7], v[69:70]
	v_mul_f64_e32 v[69:70], v[8:9], v[69:70]
	v_add_f64_e32 v[2:3], 0, v[2:3]
	v_add_f64_e32 v[65:66], 0, v[75:76]
	s_delay_alu instid0(VALU_DEP_4) | instskip(NEXT) | instid1(VALU_DEP_4)
	v_fma_f64 v[8:9], v[8:9], v[67:68], v[77:78]
	v_fma_f64 v[6:7], v[6:7], v[67:68], -v[69:70]
	s_delay_alu instid0(VALU_DEP_4) | instskip(NEXT) | instid1(VALU_DEP_4)
	v_add_f64_e32 v[2:3], v[2:3], v[63:64]
	v_add_f64_e32 v[10:11], v[65:66], v[10:11]
	s_delay_alu instid0(VALU_DEP_2) | instskip(NEXT) | instid1(VALU_DEP_2)
	v_add_f64_e32 v[2:3], v[2:3], v[6:7]
	v_add_f64_e32 v[8:9], v[10:11], v[8:9]
	s_wait_loadcnt 0x0
	s_delay_alu instid0(VALU_DEP_2) | instskip(NEXT) | instid1(VALU_DEP_2)
	v_add_f64_e64 v[6:7], v[71:72], -v[2:3]
	v_add_f64_e64 v[8:9], v[73:74], -v[8:9]
	scratch_store_b128 off, v[6:9], off offset:352
	v_cmpx_lt_u32_e32 20, v0
	s_cbranch_execz .LBB88_123
; %bb.122:
	scratch_load_b128 v[6:9], off, s17
	v_dual_mov_b32 v2, v1 :: v_dual_mov_b32 v3, v1
	v_mov_b32_e32 v4, v1
	scratch_store_b128 off, v[1:4], off offset:336
	s_wait_loadcnt 0x0
	ds_store_b128 v5, v[6:9]
.LBB88_123:
	s_wait_alu 0xfffe
	s_or_b32 exec_lo, exec_lo, s0
	s_wait_storecnt_dscnt 0x0
	s_barrier_signal -1
	s_barrier_wait -1
	global_inv scope:SCOPE_SE
	s_clause 0x4
	scratch_load_b128 v[6:9], off, off offset:352
	scratch_load_b128 v[63:66], off, off offset:368
	;; [unrolled: 1-line block ×5, first 2 shown]
	ds_load_b128 v[79:82], v1 offset:736
	ds_load_b128 v[83:86], v1 offset:752
	s_mov_b32 s0, exec_lo
	s_wait_loadcnt_dscnt 0x401
	v_mul_f64_e32 v[2:3], v[81:82], v[8:9]
	v_mul_f64_e32 v[8:9], v[79:80], v[8:9]
	s_wait_loadcnt_dscnt 0x300
	v_mul_f64_e32 v[10:11], v[83:84], v[65:66]
	v_mul_f64_e32 v[65:66], v[85:86], v[65:66]
	s_delay_alu instid0(VALU_DEP_4) | instskip(NEXT) | instid1(VALU_DEP_4)
	v_fma_f64 v[79:80], v[79:80], v[6:7], -v[2:3]
	v_fma_f64 v[81:82], v[81:82], v[6:7], v[8:9]
	ds_load_b128 v[6:9], v1 offset:768
	ds_load_b128 v[1:4], v1 offset:784
	v_fma_f64 v[10:11], v[85:86], v[63:64], v[10:11]
	v_fma_f64 v[63:64], v[83:84], v[63:64], -v[65:66]
	s_wait_loadcnt_dscnt 0x201
	v_mul_f64_e32 v[87:88], v[6:7], v[69:70]
	v_mul_f64_e32 v[69:70], v[8:9], v[69:70]
	v_add_f64_e32 v[65:66], 0, v[79:80]
	v_add_f64_e32 v[79:80], 0, v[81:82]
	s_wait_loadcnt_dscnt 0x100
	v_mul_f64_e32 v[81:82], v[1:2], v[73:74]
	v_mul_f64_e32 v[73:74], v[3:4], v[73:74]
	v_fma_f64 v[8:9], v[8:9], v[67:68], v[87:88]
	v_fma_f64 v[6:7], v[6:7], v[67:68], -v[69:70]
	v_add_f64_e32 v[63:64], v[65:66], v[63:64]
	v_add_f64_e32 v[10:11], v[79:80], v[10:11]
	v_fma_f64 v[3:4], v[3:4], v[71:72], v[81:82]
	v_fma_f64 v[1:2], v[1:2], v[71:72], -v[73:74]
	s_delay_alu instid0(VALU_DEP_4) | instskip(NEXT) | instid1(VALU_DEP_4)
	v_add_f64_e32 v[6:7], v[63:64], v[6:7]
	v_add_f64_e32 v[8:9], v[10:11], v[8:9]
	s_delay_alu instid0(VALU_DEP_2) | instskip(NEXT) | instid1(VALU_DEP_2)
	v_add_f64_e32 v[1:2], v[6:7], v[1:2]
	v_add_f64_e32 v[3:4], v[8:9], v[3:4]
	s_wait_loadcnt 0x0
	s_delay_alu instid0(VALU_DEP_2) | instskip(NEXT) | instid1(VALU_DEP_2)
	v_add_f64_e64 v[1:2], v[75:76], -v[1:2]
	v_add_f64_e64 v[3:4], v[77:78], -v[3:4]
	scratch_store_b128 off, v[1:4], off offset:336
	v_cmpx_lt_u32_e32 19, v0
	s_cbranch_execz .LBB88_125
; %bb.124:
	scratch_load_b128 v[1:4], off, s28
	v_mov_b32_e32 v6, 0
	s_delay_alu instid0(VALU_DEP_1)
	v_dual_mov_b32 v7, v6 :: v_dual_mov_b32 v8, v6
	v_mov_b32_e32 v9, v6
	scratch_store_b128 off, v[6:9], off offset:320
	s_wait_loadcnt 0x0
	ds_store_b128 v5, v[1:4]
.LBB88_125:
	s_wait_alu 0xfffe
	s_or_b32 exec_lo, exec_lo, s0
	s_wait_storecnt_dscnt 0x0
	s_barrier_signal -1
	s_barrier_wait -1
	global_inv scope:SCOPE_SE
	s_clause 0x5
	scratch_load_b128 v[6:9], off, off offset:336
	scratch_load_b128 v[63:66], off, off offset:352
	;; [unrolled: 1-line block ×6, first 2 shown]
	v_mov_b32_e32 v1, 0
	ds_load_b128 v[83:86], v1 offset:720
	ds_load_b128 v[87:90], v1 offset:736
	s_mov_b32 s0, exec_lo
	s_wait_loadcnt_dscnt 0x501
	v_mul_f64_e32 v[2:3], v[85:86], v[8:9]
	v_mul_f64_e32 v[8:9], v[83:84], v[8:9]
	s_wait_loadcnt_dscnt 0x400
	v_mul_f64_e32 v[10:11], v[87:88], v[65:66]
	v_mul_f64_e32 v[65:66], v[89:90], v[65:66]
	s_delay_alu instid0(VALU_DEP_4) | instskip(NEXT) | instid1(VALU_DEP_4)
	v_fma_f64 v[2:3], v[83:84], v[6:7], -v[2:3]
	v_fma_f64 v[91:92], v[85:86], v[6:7], v[8:9]
	ds_load_b128 v[6:9], v1 offset:752
	ds_load_b128 v[83:86], v1 offset:768
	v_fma_f64 v[10:11], v[89:90], v[63:64], v[10:11]
	v_fma_f64 v[63:64], v[87:88], v[63:64], -v[65:66]
	s_wait_loadcnt_dscnt 0x301
	v_mul_f64_e32 v[93:94], v[6:7], v[69:70]
	v_mul_f64_e32 v[69:70], v[8:9], v[69:70]
	s_wait_loadcnt_dscnt 0x200
	v_mul_f64_e32 v[87:88], v[83:84], v[73:74]
	v_mul_f64_e32 v[73:74], v[85:86], v[73:74]
	v_add_f64_e32 v[2:3], 0, v[2:3]
	v_add_f64_e32 v[65:66], 0, v[91:92]
	v_fma_f64 v[89:90], v[8:9], v[67:68], v[93:94]
	v_fma_f64 v[67:68], v[6:7], v[67:68], -v[69:70]
	ds_load_b128 v[6:9], v1 offset:784
	v_fma_f64 v[69:70], v[85:86], v[71:72], v[87:88]
	v_fma_f64 v[71:72], v[83:84], v[71:72], -v[73:74]
	v_add_f64_e32 v[2:3], v[2:3], v[63:64]
	v_add_f64_e32 v[10:11], v[65:66], v[10:11]
	s_wait_loadcnt_dscnt 0x100
	v_mul_f64_e32 v[63:64], v[6:7], v[77:78]
	v_mul_f64_e32 v[65:66], v[8:9], v[77:78]
	s_delay_alu instid0(VALU_DEP_4) | instskip(NEXT) | instid1(VALU_DEP_4)
	v_add_f64_e32 v[2:3], v[2:3], v[67:68]
	v_add_f64_e32 v[10:11], v[10:11], v[89:90]
	s_delay_alu instid0(VALU_DEP_4) | instskip(NEXT) | instid1(VALU_DEP_4)
	v_fma_f64 v[8:9], v[8:9], v[75:76], v[63:64]
	v_fma_f64 v[6:7], v[6:7], v[75:76], -v[65:66]
	s_delay_alu instid0(VALU_DEP_4) | instskip(NEXT) | instid1(VALU_DEP_4)
	v_add_f64_e32 v[2:3], v[2:3], v[71:72]
	v_add_f64_e32 v[10:11], v[10:11], v[69:70]
	s_delay_alu instid0(VALU_DEP_2) | instskip(NEXT) | instid1(VALU_DEP_2)
	v_add_f64_e32 v[2:3], v[2:3], v[6:7]
	v_add_f64_e32 v[8:9], v[10:11], v[8:9]
	s_wait_loadcnt 0x0
	s_delay_alu instid0(VALU_DEP_2) | instskip(NEXT) | instid1(VALU_DEP_2)
	v_add_f64_e64 v[6:7], v[79:80], -v[2:3]
	v_add_f64_e64 v[8:9], v[81:82], -v[8:9]
	scratch_store_b128 off, v[6:9], off offset:320
	v_cmpx_lt_u32_e32 18, v0
	s_cbranch_execz .LBB88_127
; %bb.126:
	scratch_load_b128 v[6:9], off, s16
	v_dual_mov_b32 v2, v1 :: v_dual_mov_b32 v3, v1
	v_mov_b32_e32 v4, v1
	scratch_store_b128 off, v[1:4], off offset:304
	s_wait_loadcnt 0x0
	ds_store_b128 v5, v[6:9]
.LBB88_127:
	s_wait_alu 0xfffe
	s_or_b32 exec_lo, exec_lo, s0
	s_wait_storecnt_dscnt 0x0
	s_barrier_signal -1
	s_barrier_wait -1
	global_inv scope:SCOPE_SE
	s_clause 0x5
	scratch_load_b128 v[6:9], off, off offset:320
	scratch_load_b128 v[63:66], off, off offset:336
	;; [unrolled: 1-line block ×6, first 2 shown]
	ds_load_b128 v[83:86], v1 offset:704
	ds_load_b128 v[91:94], v1 offset:720
	scratch_load_b128 v[87:90], off, off offset:304
	s_mov_b32 s0, exec_lo
	s_wait_loadcnt_dscnt 0x601
	v_mul_f64_e32 v[2:3], v[85:86], v[8:9]
	v_mul_f64_e32 v[8:9], v[83:84], v[8:9]
	s_wait_loadcnt_dscnt 0x500
	v_mul_f64_e32 v[10:11], v[91:92], v[65:66]
	v_mul_f64_e32 v[65:66], v[93:94], v[65:66]
	s_delay_alu instid0(VALU_DEP_4) | instskip(NEXT) | instid1(VALU_DEP_4)
	v_fma_f64 v[2:3], v[83:84], v[6:7], -v[2:3]
	v_fma_f64 v[95:96], v[85:86], v[6:7], v[8:9]
	ds_load_b128 v[6:9], v1 offset:736
	ds_load_b128 v[83:86], v1 offset:752
	v_fma_f64 v[10:11], v[93:94], v[63:64], v[10:11]
	v_fma_f64 v[63:64], v[91:92], v[63:64], -v[65:66]
	s_wait_loadcnt_dscnt 0x401
	v_mul_f64_e32 v[97:98], v[6:7], v[69:70]
	v_mul_f64_e32 v[69:70], v[8:9], v[69:70]
	s_wait_loadcnt_dscnt 0x300
	v_mul_f64_e32 v[91:92], v[83:84], v[73:74]
	v_mul_f64_e32 v[73:74], v[85:86], v[73:74]
	v_add_f64_e32 v[2:3], 0, v[2:3]
	v_add_f64_e32 v[65:66], 0, v[95:96]
	v_fma_f64 v[93:94], v[8:9], v[67:68], v[97:98]
	v_fma_f64 v[67:68], v[6:7], v[67:68], -v[69:70]
	s_delay_alu instid0(VALU_DEP_4) | instskip(NEXT) | instid1(VALU_DEP_4)
	v_add_f64_e32 v[63:64], v[2:3], v[63:64]
	v_add_f64_e32 v[10:11], v[65:66], v[10:11]
	ds_load_b128 v[6:9], v1 offset:768
	ds_load_b128 v[1:4], v1 offset:784
	s_wait_loadcnt_dscnt 0x201
	v_mul_f64_e32 v[65:66], v[6:7], v[77:78]
	v_mul_f64_e32 v[69:70], v[8:9], v[77:78]
	v_fma_f64 v[77:78], v[85:86], v[71:72], v[91:92]
	v_fma_f64 v[71:72], v[83:84], v[71:72], -v[73:74]
	s_wait_loadcnt_dscnt 0x100
	v_mul_f64_e32 v[73:74], v[3:4], v[81:82]
	v_add_f64_e32 v[63:64], v[63:64], v[67:68]
	v_add_f64_e32 v[10:11], v[10:11], v[93:94]
	v_mul_f64_e32 v[67:68], v[1:2], v[81:82]
	v_fma_f64 v[8:9], v[8:9], v[75:76], v[65:66]
	v_fma_f64 v[6:7], v[6:7], v[75:76], -v[69:70]
	v_fma_f64 v[1:2], v[1:2], v[79:80], -v[73:74]
	v_add_f64_e32 v[63:64], v[63:64], v[71:72]
	v_add_f64_e32 v[10:11], v[10:11], v[77:78]
	v_fma_f64 v[3:4], v[3:4], v[79:80], v[67:68]
	s_delay_alu instid0(VALU_DEP_3) | instskip(NEXT) | instid1(VALU_DEP_3)
	v_add_f64_e32 v[6:7], v[63:64], v[6:7]
	v_add_f64_e32 v[8:9], v[10:11], v[8:9]
	s_delay_alu instid0(VALU_DEP_2) | instskip(NEXT) | instid1(VALU_DEP_2)
	v_add_f64_e32 v[1:2], v[6:7], v[1:2]
	v_add_f64_e32 v[3:4], v[8:9], v[3:4]
	s_wait_loadcnt 0x0
	s_delay_alu instid0(VALU_DEP_2) | instskip(NEXT) | instid1(VALU_DEP_2)
	v_add_f64_e64 v[1:2], v[87:88], -v[1:2]
	v_add_f64_e64 v[3:4], v[89:90], -v[3:4]
	scratch_store_b128 off, v[1:4], off offset:304
	v_cmpx_lt_u32_e32 17, v0
	s_cbranch_execz .LBB88_129
; %bb.128:
	scratch_load_b128 v[1:4], off, s27
	v_mov_b32_e32 v6, 0
	s_delay_alu instid0(VALU_DEP_1)
	v_dual_mov_b32 v7, v6 :: v_dual_mov_b32 v8, v6
	v_mov_b32_e32 v9, v6
	scratch_store_b128 off, v[6:9], off offset:288
	s_wait_loadcnt 0x0
	ds_store_b128 v5, v[1:4]
.LBB88_129:
	s_wait_alu 0xfffe
	s_or_b32 exec_lo, exec_lo, s0
	s_wait_storecnt_dscnt 0x0
	s_barrier_signal -1
	s_barrier_wait -1
	global_inv scope:SCOPE_SE
	s_clause 0x6
	scratch_load_b128 v[6:9], off, off offset:304
	scratch_load_b128 v[63:66], off, off offset:320
	;; [unrolled: 1-line block ×7, first 2 shown]
	v_mov_b32_e32 v1, 0
	scratch_load_b128 v[91:94], off, off offset:288
	s_mov_b32 s0, exec_lo
	ds_load_b128 v[87:90], v1 offset:688
	ds_load_b128 v[95:98], v1 offset:704
	s_wait_loadcnt_dscnt 0x701
	v_mul_f64_e32 v[2:3], v[89:90], v[8:9]
	v_mul_f64_e32 v[8:9], v[87:88], v[8:9]
	s_wait_loadcnt_dscnt 0x600
	v_mul_f64_e32 v[10:11], v[95:96], v[65:66]
	v_mul_f64_e32 v[65:66], v[97:98], v[65:66]
	s_delay_alu instid0(VALU_DEP_4) | instskip(NEXT) | instid1(VALU_DEP_4)
	v_fma_f64 v[2:3], v[87:88], v[6:7], -v[2:3]
	v_fma_f64 v[99:100], v[89:90], v[6:7], v[8:9]
	ds_load_b128 v[6:9], v1 offset:720
	ds_load_b128 v[87:90], v1 offset:736
	v_fma_f64 v[10:11], v[97:98], v[63:64], v[10:11]
	v_fma_f64 v[63:64], v[95:96], v[63:64], -v[65:66]
	s_wait_loadcnt_dscnt 0x501
	v_mul_f64_e32 v[101:102], v[6:7], v[69:70]
	v_mul_f64_e32 v[69:70], v[8:9], v[69:70]
	s_wait_loadcnt_dscnt 0x400
	v_mul_f64_e32 v[95:96], v[87:88], v[73:74]
	v_mul_f64_e32 v[73:74], v[89:90], v[73:74]
	v_add_f64_e32 v[2:3], 0, v[2:3]
	v_add_f64_e32 v[65:66], 0, v[99:100]
	v_fma_f64 v[97:98], v[8:9], v[67:68], v[101:102]
	v_fma_f64 v[67:68], v[6:7], v[67:68], -v[69:70]
	v_fma_f64 v[89:90], v[89:90], v[71:72], v[95:96]
	v_fma_f64 v[71:72], v[87:88], v[71:72], -v[73:74]
	v_add_f64_e32 v[2:3], v[2:3], v[63:64]
	v_add_f64_e32 v[10:11], v[65:66], v[10:11]
	ds_load_b128 v[6:9], v1 offset:752
	ds_load_b128 v[63:66], v1 offset:768
	s_wait_loadcnt_dscnt 0x301
	v_mul_f64_e32 v[69:70], v[6:7], v[77:78]
	v_mul_f64_e32 v[77:78], v[8:9], v[77:78]
	s_wait_loadcnt_dscnt 0x200
	v_mul_f64_e32 v[73:74], v[65:66], v[81:82]
	v_add_f64_e32 v[2:3], v[2:3], v[67:68]
	v_add_f64_e32 v[10:11], v[10:11], v[97:98]
	v_mul_f64_e32 v[67:68], v[63:64], v[81:82]
	v_fma_f64 v[69:70], v[8:9], v[75:76], v[69:70]
	v_fma_f64 v[75:76], v[6:7], v[75:76], -v[77:78]
	ds_load_b128 v[6:9], v1 offset:784
	v_fma_f64 v[63:64], v[63:64], v[79:80], -v[73:74]
	v_add_f64_e32 v[2:3], v[2:3], v[71:72]
	v_add_f64_e32 v[10:11], v[10:11], v[89:90]
	v_fma_f64 v[65:66], v[65:66], v[79:80], v[67:68]
	s_wait_loadcnt_dscnt 0x100
	v_mul_f64_e32 v[71:72], v[6:7], v[85:86]
	v_mul_f64_e32 v[77:78], v[8:9], v[85:86]
	v_add_f64_e32 v[2:3], v[2:3], v[75:76]
	v_add_f64_e32 v[10:11], v[10:11], v[69:70]
	s_delay_alu instid0(VALU_DEP_4) | instskip(NEXT) | instid1(VALU_DEP_4)
	v_fma_f64 v[8:9], v[8:9], v[83:84], v[71:72]
	v_fma_f64 v[6:7], v[6:7], v[83:84], -v[77:78]
	s_delay_alu instid0(VALU_DEP_4) | instskip(NEXT) | instid1(VALU_DEP_4)
	v_add_f64_e32 v[2:3], v[2:3], v[63:64]
	v_add_f64_e32 v[10:11], v[10:11], v[65:66]
	s_delay_alu instid0(VALU_DEP_2) | instskip(NEXT) | instid1(VALU_DEP_2)
	v_add_f64_e32 v[2:3], v[2:3], v[6:7]
	v_add_f64_e32 v[8:9], v[10:11], v[8:9]
	s_wait_loadcnt 0x0
	s_delay_alu instid0(VALU_DEP_2) | instskip(NEXT) | instid1(VALU_DEP_2)
	v_add_f64_e64 v[6:7], v[91:92], -v[2:3]
	v_add_f64_e64 v[8:9], v[93:94], -v[8:9]
	scratch_store_b128 off, v[6:9], off offset:288
	v_cmpx_lt_u32_e32 16, v0
	s_cbranch_execz .LBB88_131
; %bb.130:
	scratch_load_b128 v[6:9], off, s15
	v_dual_mov_b32 v2, v1 :: v_dual_mov_b32 v3, v1
	v_mov_b32_e32 v4, v1
	scratch_store_b128 off, v[1:4], off offset:272
	s_wait_loadcnt 0x0
	ds_store_b128 v5, v[6:9]
.LBB88_131:
	s_wait_alu 0xfffe
	s_or_b32 exec_lo, exec_lo, s0
	s_wait_storecnt_dscnt 0x0
	s_barrier_signal -1
	s_barrier_wait -1
	global_inv scope:SCOPE_SE
	s_clause 0x7
	scratch_load_b128 v[6:9], off, off offset:288
	scratch_load_b128 v[63:66], off, off offset:304
	;; [unrolled: 1-line block ×8, first 2 shown]
	ds_load_b128 v[91:94], v1 offset:672
	ds_load_b128 v[95:98], v1 offset:688
	scratch_load_b128 v[99:102], off, off offset:272
	s_mov_b32 s0, exec_lo
	s_wait_loadcnt_dscnt 0x801
	v_mul_f64_e32 v[2:3], v[93:94], v[8:9]
	v_mul_f64_e32 v[8:9], v[91:92], v[8:9]
	s_wait_loadcnt_dscnt 0x700
	v_mul_f64_e32 v[10:11], v[95:96], v[65:66]
	v_mul_f64_e32 v[65:66], v[97:98], v[65:66]
	s_delay_alu instid0(VALU_DEP_4) | instskip(NEXT) | instid1(VALU_DEP_4)
	v_fma_f64 v[2:3], v[91:92], v[6:7], -v[2:3]
	v_fma_f64 v[103:104], v[93:94], v[6:7], v[8:9]
	ds_load_b128 v[6:9], v1 offset:704
	ds_load_b128 v[91:94], v1 offset:720
	v_fma_f64 v[10:11], v[97:98], v[63:64], v[10:11]
	v_fma_f64 v[63:64], v[95:96], v[63:64], -v[65:66]
	s_wait_loadcnt_dscnt 0x601
	v_mul_f64_e32 v[105:106], v[6:7], v[69:70]
	v_mul_f64_e32 v[69:70], v[8:9], v[69:70]
	s_wait_loadcnt_dscnt 0x500
	v_mul_f64_e32 v[95:96], v[91:92], v[73:74]
	v_mul_f64_e32 v[73:74], v[93:94], v[73:74]
	v_add_f64_e32 v[2:3], 0, v[2:3]
	v_add_f64_e32 v[65:66], 0, v[103:104]
	v_fma_f64 v[97:98], v[8:9], v[67:68], v[105:106]
	v_fma_f64 v[67:68], v[6:7], v[67:68], -v[69:70]
	v_fma_f64 v[93:94], v[93:94], v[71:72], v[95:96]
	v_fma_f64 v[71:72], v[91:92], v[71:72], -v[73:74]
	v_add_f64_e32 v[2:3], v[2:3], v[63:64]
	v_add_f64_e32 v[10:11], v[65:66], v[10:11]
	ds_load_b128 v[6:9], v1 offset:736
	ds_load_b128 v[63:66], v1 offset:752
	s_wait_loadcnt_dscnt 0x401
	v_mul_f64_e32 v[69:70], v[6:7], v[77:78]
	v_mul_f64_e32 v[77:78], v[8:9], v[77:78]
	s_wait_loadcnt_dscnt 0x300
	v_mul_f64_e32 v[73:74], v[65:66], v[81:82]
	v_add_f64_e32 v[2:3], v[2:3], v[67:68]
	v_add_f64_e32 v[10:11], v[10:11], v[97:98]
	v_mul_f64_e32 v[67:68], v[63:64], v[81:82]
	v_fma_f64 v[69:70], v[8:9], v[75:76], v[69:70]
	v_fma_f64 v[75:76], v[6:7], v[75:76], -v[77:78]
	v_fma_f64 v[63:64], v[63:64], v[79:80], -v[73:74]
	v_add_f64_e32 v[71:72], v[2:3], v[71:72]
	v_add_f64_e32 v[10:11], v[10:11], v[93:94]
	ds_load_b128 v[6:9], v1 offset:768
	ds_load_b128 v[1:4], v1 offset:784
	v_fma_f64 v[65:66], v[65:66], v[79:80], v[67:68]
	s_wait_loadcnt_dscnt 0x201
	v_mul_f64_e32 v[77:78], v[6:7], v[85:86]
	v_mul_f64_e32 v[81:82], v[8:9], v[85:86]
	v_add_f64_e32 v[67:68], v[71:72], v[75:76]
	v_add_f64_e32 v[10:11], v[10:11], v[69:70]
	s_wait_loadcnt_dscnt 0x100
	v_mul_f64_e32 v[69:70], v[1:2], v[89:90]
	v_mul_f64_e32 v[71:72], v[3:4], v[89:90]
	v_fma_f64 v[8:9], v[8:9], v[83:84], v[77:78]
	v_fma_f64 v[6:7], v[6:7], v[83:84], -v[81:82]
	v_add_f64_e32 v[63:64], v[67:68], v[63:64]
	v_add_f64_e32 v[10:11], v[10:11], v[65:66]
	v_fma_f64 v[3:4], v[3:4], v[87:88], v[69:70]
	v_fma_f64 v[1:2], v[1:2], v[87:88], -v[71:72]
	s_delay_alu instid0(VALU_DEP_4) | instskip(NEXT) | instid1(VALU_DEP_4)
	v_add_f64_e32 v[6:7], v[63:64], v[6:7]
	v_add_f64_e32 v[8:9], v[10:11], v[8:9]
	s_delay_alu instid0(VALU_DEP_2) | instskip(NEXT) | instid1(VALU_DEP_2)
	v_add_f64_e32 v[1:2], v[6:7], v[1:2]
	v_add_f64_e32 v[3:4], v[8:9], v[3:4]
	s_wait_loadcnt 0x0
	s_delay_alu instid0(VALU_DEP_2) | instskip(NEXT) | instid1(VALU_DEP_2)
	v_add_f64_e64 v[1:2], v[99:100], -v[1:2]
	v_add_f64_e64 v[3:4], v[101:102], -v[3:4]
	scratch_store_b128 off, v[1:4], off offset:272
	v_cmpx_lt_u32_e32 15, v0
	s_cbranch_execz .LBB88_133
; %bb.132:
	scratch_load_b128 v[1:4], off, s26
	v_mov_b32_e32 v6, 0
	s_delay_alu instid0(VALU_DEP_1)
	v_dual_mov_b32 v7, v6 :: v_dual_mov_b32 v8, v6
	v_mov_b32_e32 v9, v6
	scratch_store_b128 off, v[6:9], off offset:256
	s_wait_loadcnt 0x0
	ds_store_b128 v5, v[1:4]
.LBB88_133:
	s_wait_alu 0xfffe
	s_or_b32 exec_lo, exec_lo, s0
	s_wait_storecnt_dscnt 0x0
	s_barrier_signal -1
	s_barrier_wait -1
	global_inv scope:SCOPE_SE
	s_clause 0x7
	scratch_load_b128 v[6:9], off, off offset:272
	scratch_load_b128 v[63:66], off, off offset:288
	;; [unrolled: 1-line block ×8, first 2 shown]
	v_mov_b32_e32 v1, 0
	s_mov_b32 s0, exec_lo
	ds_load_b128 v[91:94], v1 offset:656
	s_clause 0x1
	scratch_load_b128 v[95:98], off, off offset:400
	scratch_load_b128 v[99:102], off, off offset:256
	ds_load_b128 v[103:106], v1 offset:672
	s_wait_loadcnt_dscnt 0x901
	v_mul_f64_e32 v[2:3], v[93:94], v[8:9]
	v_mul_f64_e32 v[8:9], v[91:92], v[8:9]
	s_wait_loadcnt_dscnt 0x800
	v_mul_f64_e32 v[10:11], v[103:104], v[65:66]
	v_mul_f64_e32 v[65:66], v[105:106], v[65:66]
	s_delay_alu instid0(VALU_DEP_4) | instskip(NEXT) | instid1(VALU_DEP_4)
	v_fma_f64 v[2:3], v[91:92], v[6:7], -v[2:3]
	v_fma_f64 v[107:108], v[93:94], v[6:7], v[8:9]
	ds_load_b128 v[6:9], v1 offset:688
	ds_load_b128 v[91:94], v1 offset:704
	v_fma_f64 v[10:11], v[105:106], v[63:64], v[10:11]
	v_fma_f64 v[63:64], v[103:104], v[63:64], -v[65:66]
	s_wait_loadcnt_dscnt 0x701
	v_mul_f64_e32 v[109:110], v[6:7], v[69:70]
	v_mul_f64_e32 v[69:70], v[8:9], v[69:70]
	s_wait_loadcnt_dscnt 0x600
	v_mul_f64_e32 v[103:104], v[91:92], v[73:74]
	v_mul_f64_e32 v[73:74], v[93:94], v[73:74]
	v_add_f64_e32 v[2:3], 0, v[2:3]
	v_add_f64_e32 v[65:66], 0, v[107:108]
	v_fma_f64 v[105:106], v[8:9], v[67:68], v[109:110]
	v_fma_f64 v[67:68], v[6:7], v[67:68], -v[69:70]
	v_fma_f64 v[93:94], v[93:94], v[71:72], v[103:104]
	v_fma_f64 v[71:72], v[91:92], v[71:72], -v[73:74]
	v_add_f64_e32 v[2:3], v[2:3], v[63:64]
	v_add_f64_e32 v[10:11], v[65:66], v[10:11]
	ds_load_b128 v[6:9], v1 offset:720
	ds_load_b128 v[63:66], v1 offset:736
	s_wait_loadcnt_dscnt 0x501
	v_mul_f64_e32 v[69:70], v[6:7], v[77:78]
	v_mul_f64_e32 v[77:78], v[8:9], v[77:78]
	s_wait_loadcnt_dscnt 0x400
	v_mul_f64_e32 v[73:74], v[63:64], v[81:82]
	v_mul_f64_e32 v[81:82], v[65:66], v[81:82]
	v_add_f64_e32 v[2:3], v[2:3], v[67:68]
	v_add_f64_e32 v[10:11], v[10:11], v[105:106]
	v_fma_f64 v[91:92], v[8:9], v[75:76], v[69:70]
	v_fma_f64 v[75:76], v[6:7], v[75:76], -v[77:78]
	ds_load_b128 v[6:9], v1 offset:752
	ds_load_b128 v[67:70], v1 offset:768
	v_fma_f64 v[65:66], v[65:66], v[79:80], v[73:74]
	v_fma_f64 v[63:64], v[63:64], v[79:80], -v[81:82]
	v_add_f64_e32 v[2:3], v[2:3], v[71:72]
	v_add_f64_e32 v[10:11], v[10:11], v[93:94]
	s_wait_loadcnt_dscnt 0x301
	v_mul_f64_e32 v[71:72], v[6:7], v[85:86]
	v_mul_f64_e32 v[77:78], v[8:9], v[85:86]
	s_wait_loadcnt_dscnt 0x200
	v_mul_f64_e32 v[73:74], v[67:68], v[89:90]
	v_add_f64_e32 v[2:3], v[2:3], v[75:76]
	v_add_f64_e32 v[10:11], v[10:11], v[91:92]
	v_mul_f64_e32 v[75:76], v[69:70], v[89:90]
	v_fma_f64 v[71:72], v[8:9], v[83:84], v[71:72]
	v_fma_f64 v[77:78], v[6:7], v[83:84], -v[77:78]
	ds_load_b128 v[6:9], v1 offset:784
	v_fma_f64 v[69:70], v[69:70], v[87:88], v[73:74]
	v_add_f64_e32 v[2:3], v[2:3], v[63:64]
	v_add_f64_e32 v[10:11], v[10:11], v[65:66]
	s_wait_loadcnt_dscnt 0x100
	v_mul_f64_e32 v[63:64], v[6:7], v[97:98]
	v_mul_f64_e32 v[65:66], v[8:9], v[97:98]
	v_fma_f64 v[67:68], v[67:68], v[87:88], -v[75:76]
	v_add_f64_e32 v[2:3], v[2:3], v[77:78]
	v_add_f64_e32 v[10:11], v[10:11], v[71:72]
	v_fma_f64 v[8:9], v[8:9], v[95:96], v[63:64]
	v_fma_f64 v[6:7], v[6:7], v[95:96], -v[65:66]
	s_delay_alu instid0(VALU_DEP_4) | instskip(NEXT) | instid1(VALU_DEP_4)
	v_add_f64_e32 v[2:3], v[2:3], v[67:68]
	v_add_f64_e32 v[10:11], v[10:11], v[69:70]
	s_delay_alu instid0(VALU_DEP_2) | instskip(NEXT) | instid1(VALU_DEP_2)
	v_add_f64_e32 v[2:3], v[2:3], v[6:7]
	v_add_f64_e32 v[8:9], v[10:11], v[8:9]
	s_wait_loadcnt 0x0
	s_delay_alu instid0(VALU_DEP_2) | instskip(NEXT) | instid1(VALU_DEP_2)
	v_add_f64_e64 v[6:7], v[99:100], -v[2:3]
	v_add_f64_e64 v[8:9], v[101:102], -v[8:9]
	scratch_store_b128 off, v[6:9], off offset:256
	v_cmpx_lt_u32_e32 14, v0
	s_cbranch_execz .LBB88_135
; %bb.134:
	scratch_load_b128 v[6:9], off, s14
	v_dual_mov_b32 v2, v1 :: v_dual_mov_b32 v3, v1
	v_mov_b32_e32 v4, v1
	scratch_store_b128 off, v[1:4], off offset:240
	s_wait_loadcnt 0x0
	ds_store_b128 v5, v[6:9]
.LBB88_135:
	s_wait_alu 0xfffe
	s_or_b32 exec_lo, exec_lo, s0
	s_wait_storecnt_dscnt 0x0
	s_barrier_signal -1
	s_barrier_wait -1
	global_inv scope:SCOPE_SE
	s_clause 0x8
	scratch_load_b128 v[6:9], off, off offset:256
	scratch_load_b128 v[63:66], off, off offset:272
	;; [unrolled: 1-line block ×9, first 2 shown]
	ds_load_b128 v[95:98], v1 offset:640
	ds_load_b128 v[99:102], v1 offset:656
	scratch_load_b128 v[103:106], off, off offset:240
	s_mov_b32 s0, exec_lo
	s_wait_loadcnt_dscnt 0x901
	v_mul_f64_e32 v[2:3], v[97:98], v[8:9]
	v_mul_f64_e32 v[107:108], v[95:96], v[8:9]
	scratch_load_b128 v[8:11], off, off offset:400
	s_wait_loadcnt_dscnt 0x900
	v_mul_f64_e32 v[111:112], v[99:100], v[65:66]
	v_mul_f64_e32 v[65:66], v[101:102], v[65:66]
	v_fma_f64 v[2:3], v[95:96], v[6:7], -v[2:3]
	v_fma_f64 v[6:7], v[97:98], v[6:7], v[107:108]
	ds_load_b128 v[95:98], v1 offset:672
	ds_load_b128 v[107:110], v1 offset:688
	v_fma_f64 v[101:102], v[101:102], v[63:64], v[111:112]
	v_fma_f64 v[63:64], v[99:100], v[63:64], -v[65:66]
	s_wait_loadcnt_dscnt 0x801
	v_mul_f64_e32 v[113:114], v[95:96], v[69:70]
	v_mul_f64_e32 v[69:70], v[97:98], v[69:70]
	s_wait_loadcnt_dscnt 0x700
	v_mul_f64_e32 v[99:100], v[107:108], v[73:74]
	v_mul_f64_e32 v[73:74], v[109:110], v[73:74]
	v_add_f64_e32 v[2:3], 0, v[2:3]
	v_add_f64_e32 v[6:7], 0, v[6:7]
	v_fma_f64 v[97:98], v[97:98], v[67:68], v[113:114]
	v_fma_f64 v[95:96], v[95:96], v[67:68], -v[69:70]
	v_fma_f64 v[99:100], v[109:110], v[71:72], v[99:100]
	v_fma_f64 v[71:72], v[107:108], v[71:72], -v[73:74]
	v_add_f64_e32 v[2:3], v[2:3], v[63:64]
	v_add_f64_e32 v[6:7], v[6:7], v[101:102]
	ds_load_b128 v[63:66], v1 offset:704
	ds_load_b128 v[67:70], v1 offset:720
	s_wait_loadcnt_dscnt 0x601
	v_mul_f64_e32 v[101:102], v[63:64], v[77:78]
	v_mul_f64_e32 v[77:78], v[65:66], v[77:78]
	v_add_f64_e32 v[2:3], v[2:3], v[95:96]
	v_add_f64_e32 v[6:7], v[6:7], v[97:98]
	s_wait_loadcnt_dscnt 0x500
	v_mul_f64_e32 v[95:96], v[67:68], v[81:82]
	v_mul_f64_e32 v[81:82], v[69:70], v[81:82]
	v_fma_f64 v[97:98], v[65:66], v[75:76], v[101:102]
	v_fma_f64 v[75:76], v[63:64], v[75:76], -v[77:78]
	v_add_f64_e32 v[2:3], v[2:3], v[71:72]
	v_add_f64_e32 v[6:7], v[6:7], v[99:100]
	ds_load_b128 v[63:66], v1 offset:736
	ds_load_b128 v[71:74], v1 offset:752
	v_fma_f64 v[69:70], v[69:70], v[79:80], v[95:96]
	v_fma_f64 v[67:68], v[67:68], v[79:80], -v[81:82]
	s_wait_loadcnt_dscnt 0x401
	v_mul_f64_e32 v[77:78], v[63:64], v[85:86]
	v_mul_f64_e32 v[85:86], v[65:66], v[85:86]
	s_wait_loadcnt_dscnt 0x300
	v_mul_f64_e32 v[79:80], v[73:74], v[89:90]
	v_add_f64_e32 v[2:3], v[2:3], v[75:76]
	v_add_f64_e32 v[6:7], v[6:7], v[97:98]
	v_mul_f64_e32 v[75:76], v[71:72], v[89:90]
	v_fma_f64 v[77:78], v[65:66], v[83:84], v[77:78]
	v_fma_f64 v[81:82], v[63:64], v[83:84], -v[85:86]
	v_fma_f64 v[71:72], v[71:72], v[87:88], -v[79:80]
	v_add_f64_e32 v[67:68], v[2:3], v[67:68]
	v_add_f64_e32 v[6:7], v[6:7], v[69:70]
	ds_load_b128 v[63:66], v1 offset:768
	ds_load_b128 v[1:4], v1 offset:784
	v_fma_f64 v[73:74], v[73:74], v[87:88], v[75:76]
	s_wait_loadcnt_dscnt 0x201
	v_mul_f64_e32 v[69:70], v[63:64], v[93:94]
	v_mul_f64_e32 v[83:84], v[65:66], v[93:94]
	v_add_f64_e32 v[67:68], v[67:68], v[81:82]
	v_add_f64_e32 v[6:7], v[6:7], v[77:78]
	s_wait_loadcnt_dscnt 0x0
	v_mul_f64_e32 v[75:76], v[1:2], v[10:11]
	v_mul_f64_e32 v[10:11], v[3:4], v[10:11]
	v_fma_f64 v[65:66], v[65:66], v[91:92], v[69:70]
	v_fma_f64 v[63:64], v[63:64], v[91:92], -v[83:84]
	v_add_f64_e32 v[67:68], v[67:68], v[71:72]
	v_add_f64_e32 v[6:7], v[6:7], v[73:74]
	v_fma_f64 v[3:4], v[3:4], v[8:9], v[75:76]
	v_fma_f64 v[1:2], v[1:2], v[8:9], -v[10:11]
	s_delay_alu instid0(VALU_DEP_4) | instskip(NEXT) | instid1(VALU_DEP_4)
	v_add_f64_e32 v[8:9], v[67:68], v[63:64]
	v_add_f64_e32 v[6:7], v[6:7], v[65:66]
	s_delay_alu instid0(VALU_DEP_2) | instskip(NEXT) | instid1(VALU_DEP_2)
	v_add_f64_e32 v[1:2], v[8:9], v[1:2]
	v_add_f64_e32 v[3:4], v[6:7], v[3:4]
	s_delay_alu instid0(VALU_DEP_2) | instskip(NEXT) | instid1(VALU_DEP_2)
	v_add_f64_e64 v[1:2], v[103:104], -v[1:2]
	v_add_f64_e64 v[3:4], v[105:106], -v[3:4]
	scratch_store_b128 off, v[1:4], off offset:240
	v_cmpx_lt_u32_e32 13, v0
	s_cbranch_execz .LBB88_137
; %bb.136:
	scratch_load_b128 v[1:4], off, s25
	v_mov_b32_e32 v6, 0
	s_delay_alu instid0(VALU_DEP_1)
	v_dual_mov_b32 v7, v6 :: v_dual_mov_b32 v8, v6
	v_mov_b32_e32 v9, v6
	scratch_store_b128 off, v[6:9], off offset:224
	s_wait_loadcnt 0x0
	ds_store_b128 v5, v[1:4]
.LBB88_137:
	s_wait_alu 0xfffe
	s_or_b32 exec_lo, exec_lo, s0
	s_wait_storecnt_dscnt 0x0
	s_barrier_signal -1
	s_barrier_wait -1
	global_inv scope:SCOPE_SE
	s_clause 0x7
	scratch_load_b128 v[6:9], off, off offset:240
	scratch_load_b128 v[63:66], off, off offset:256
	;; [unrolled: 1-line block ×8, first 2 shown]
	v_mov_b32_e32 v1, 0
	s_mov_b32 s0, exec_lo
	ds_load_b128 v[91:94], v1 offset:624
	s_clause 0x1
	scratch_load_b128 v[95:98], off, off offset:368
	scratch_load_b128 v[99:102], off, off offset:224
	ds_load_b128 v[103:106], v1 offset:640
	ds_load_b128 v[111:114], v1 offset:672
	s_wait_loadcnt_dscnt 0x902
	v_mul_f64_e32 v[2:3], v[93:94], v[8:9]
	v_mul_f64_e32 v[107:108], v[91:92], v[8:9]
	scratch_load_b128 v[8:11], off, off offset:384
	v_fma_f64 v[2:3], v[91:92], v[6:7], -v[2:3]
	v_fma_f64 v[6:7], v[93:94], v[6:7], v[107:108]
	ds_load_b128 v[91:94], v1 offset:656
	s_wait_loadcnt_dscnt 0x902
	v_mul_f64_e32 v[115:116], v[103:104], v[65:66]
	v_mul_f64_e32 v[65:66], v[105:106], v[65:66]
	scratch_load_b128 v[107:110], off, off offset:400
	s_wait_loadcnt_dscnt 0x900
	v_mul_f64_e32 v[117:118], v[91:92], v[69:70]
	v_mul_f64_e32 v[69:70], v[93:94], v[69:70]
	v_add_f64_e32 v[2:3], 0, v[2:3]
	v_add_f64_e32 v[6:7], 0, v[6:7]
	v_fma_f64 v[105:106], v[105:106], v[63:64], v[115:116]
	v_fma_f64 v[63:64], v[103:104], v[63:64], -v[65:66]
	s_wait_loadcnt 0x8
	v_mul_f64_e32 v[103:104], v[111:112], v[73:74]
	v_mul_f64_e32 v[73:74], v[113:114], v[73:74]
	v_fma_f64 v[93:94], v[93:94], v[67:68], v[117:118]
	v_fma_f64 v[91:92], v[91:92], v[67:68], -v[69:70]
	v_add_f64_e32 v[6:7], v[6:7], v[105:106]
	v_add_f64_e32 v[2:3], v[2:3], v[63:64]
	ds_load_b128 v[63:66], v1 offset:688
	ds_load_b128 v[67:70], v1 offset:704
	v_fma_f64 v[103:104], v[113:114], v[71:72], v[103:104]
	v_fma_f64 v[71:72], v[111:112], v[71:72], -v[73:74]
	s_wait_loadcnt_dscnt 0x701
	v_mul_f64_e32 v[105:106], v[63:64], v[77:78]
	v_mul_f64_e32 v[77:78], v[65:66], v[77:78]
	v_add_f64_e32 v[6:7], v[6:7], v[93:94]
	v_add_f64_e32 v[2:3], v[2:3], v[91:92]
	s_wait_loadcnt_dscnt 0x600
	v_mul_f64_e32 v[91:92], v[67:68], v[81:82]
	v_mul_f64_e32 v[81:82], v[69:70], v[81:82]
	v_fma_f64 v[93:94], v[65:66], v[75:76], v[105:106]
	v_fma_f64 v[75:76], v[63:64], v[75:76], -v[77:78]
	v_add_f64_e32 v[6:7], v[6:7], v[103:104]
	v_add_f64_e32 v[2:3], v[2:3], v[71:72]
	ds_load_b128 v[63:66], v1 offset:720
	ds_load_b128 v[71:74], v1 offset:736
	v_fma_f64 v[69:70], v[69:70], v[79:80], v[91:92]
	v_fma_f64 v[67:68], v[67:68], v[79:80], -v[81:82]
	s_wait_loadcnt_dscnt 0x501
	v_mul_f64_e32 v[77:78], v[63:64], v[85:86]
	v_mul_f64_e32 v[85:86], v[65:66], v[85:86]
	s_wait_loadcnt_dscnt 0x400
	v_mul_f64_e32 v[79:80], v[73:74], v[89:90]
	v_add_f64_e32 v[6:7], v[6:7], v[93:94]
	v_add_f64_e32 v[2:3], v[2:3], v[75:76]
	v_mul_f64_e32 v[75:76], v[71:72], v[89:90]
	v_fma_f64 v[77:78], v[65:66], v[83:84], v[77:78]
	v_fma_f64 v[81:82], v[63:64], v[83:84], -v[85:86]
	v_fma_f64 v[71:72], v[71:72], v[87:88], -v[79:80]
	v_add_f64_e32 v[6:7], v[6:7], v[69:70]
	v_add_f64_e32 v[2:3], v[2:3], v[67:68]
	ds_load_b128 v[63:66], v1 offset:752
	ds_load_b128 v[67:70], v1 offset:768
	v_fma_f64 v[73:74], v[73:74], v[87:88], v[75:76]
	s_wait_loadcnt_dscnt 0x301
	v_mul_f64_e32 v[83:84], v[63:64], v[97:98]
	v_mul_f64_e32 v[85:86], v[65:66], v[97:98]
	v_add_f64_e32 v[6:7], v[6:7], v[77:78]
	v_add_f64_e32 v[2:3], v[2:3], v[81:82]
	s_wait_loadcnt_dscnt 0x100
	v_mul_f64_e32 v[75:76], v[67:68], v[10:11]
	v_mul_f64_e32 v[10:11], v[69:70], v[10:11]
	v_fma_f64 v[77:78], v[65:66], v[95:96], v[83:84]
	v_fma_f64 v[79:80], v[63:64], v[95:96], -v[85:86]
	ds_load_b128 v[63:66], v1 offset:784
	v_add_f64_e32 v[6:7], v[6:7], v[73:74]
	v_add_f64_e32 v[2:3], v[2:3], v[71:72]
	v_fma_f64 v[69:70], v[69:70], v[8:9], v[75:76]
	v_fma_f64 v[8:9], v[67:68], v[8:9], -v[10:11]
	s_wait_loadcnt_dscnt 0x0
	v_mul_f64_e32 v[71:72], v[63:64], v[109:110]
	v_mul_f64_e32 v[73:74], v[65:66], v[109:110]
	v_add_f64_e32 v[6:7], v[6:7], v[77:78]
	v_add_f64_e32 v[2:3], v[2:3], v[79:80]
	s_delay_alu instid0(VALU_DEP_4) | instskip(NEXT) | instid1(VALU_DEP_4)
	v_fma_f64 v[10:11], v[65:66], v[107:108], v[71:72]
	v_fma_f64 v[63:64], v[63:64], v[107:108], -v[73:74]
	s_delay_alu instid0(VALU_DEP_4) | instskip(NEXT) | instid1(VALU_DEP_4)
	v_add_f64_e32 v[6:7], v[6:7], v[69:70]
	v_add_f64_e32 v[2:3], v[2:3], v[8:9]
	s_delay_alu instid0(VALU_DEP_2) | instskip(NEXT) | instid1(VALU_DEP_2)
	v_add_f64_e32 v[8:9], v[6:7], v[10:11]
	v_add_f64_e32 v[2:3], v[2:3], v[63:64]
	s_delay_alu instid0(VALU_DEP_2) | instskip(NEXT) | instid1(VALU_DEP_2)
	v_add_f64_e64 v[8:9], v[101:102], -v[8:9]
	v_add_f64_e64 v[6:7], v[99:100], -v[2:3]
	scratch_store_b128 off, v[6:9], off offset:224
	v_cmpx_lt_u32_e32 12, v0
	s_cbranch_execz .LBB88_139
; %bb.138:
	scratch_load_b128 v[6:9], off, s13
	v_dual_mov_b32 v2, v1 :: v_dual_mov_b32 v3, v1
	v_mov_b32_e32 v4, v1
	scratch_store_b128 off, v[1:4], off offset:208
	s_wait_loadcnt 0x0
	ds_store_b128 v5, v[6:9]
.LBB88_139:
	s_wait_alu 0xfffe
	s_or_b32 exec_lo, exec_lo, s0
	s_wait_storecnt_dscnt 0x0
	s_barrier_signal -1
	s_barrier_wait -1
	global_inv scope:SCOPE_SE
	s_clause 0x8
	scratch_load_b128 v[6:9], off, off offset:224
	scratch_load_b128 v[63:66], off, off offset:240
	;; [unrolled: 1-line block ×9, first 2 shown]
	ds_load_b128 v[95:98], v1 offset:608
	ds_load_b128 v[99:102], v1 offset:624
	scratch_load_b128 v[103:106], off, off offset:208
	s_mov_b32 s0, exec_lo
	ds_load_b128 v[111:114], v1 offset:656
	s_wait_loadcnt_dscnt 0x902
	v_mul_f64_e32 v[2:3], v[97:98], v[8:9]
	v_mul_f64_e32 v[107:108], v[95:96], v[8:9]
	scratch_load_b128 v[8:11], off, off offset:368
	s_wait_loadcnt_dscnt 0x901
	v_mul_f64_e32 v[115:116], v[99:100], v[65:66]
	v_mul_f64_e32 v[65:66], v[101:102], v[65:66]
	v_fma_f64 v[2:3], v[95:96], v[6:7], -v[2:3]
	v_fma_f64 v[6:7], v[97:98], v[6:7], v[107:108]
	ds_load_b128 v[95:98], v1 offset:640
	scratch_load_b128 v[107:110], off, off offset:384
	v_fma_f64 v[101:102], v[101:102], v[63:64], v[115:116]
	v_fma_f64 v[99:100], v[99:100], v[63:64], -v[65:66]
	scratch_load_b128 v[63:66], off, off offset:400
	s_wait_loadcnt_dscnt 0x901
	v_mul_f64_e32 v[115:116], v[111:112], v[73:74]
	v_mul_f64_e32 v[73:74], v[113:114], v[73:74]
	s_wait_dscnt 0x0
	v_mul_f64_e32 v[117:118], v[95:96], v[69:70]
	v_mul_f64_e32 v[69:70], v[97:98], v[69:70]
	v_add_f64_e32 v[2:3], 0, v[2:3]
	v_add_f64_e32 v[6:7], 0, v[6:7]
	s_delay_alu instid0(VALU_DEP_4) | instskip(NEXT) | instid1(VALU_DEP_4)
	v_fma_f64 v[117:118], v[97:98], v[67:68], v[117:118]
	v_fma_f64 v[119:120], v[95:96], v[67:68], -v[69:70]
	ds_load_b128 v[67:70], v1 offset:672
	ds_load_b128 v[95:98], v1 offset:688
	v_add_f64_e32 v[2:3], v[2:3], v[99:100]
	v_add_f64_e32 v[6:7], v[6:7], v[101:102]
	v_fma_f64 v[101:102], v[113:114], v[71:72], v[115:116]
	v_fma_f64 v[71:72], v[111:112], v[71:72], -v[73:74]
	s_wait_loadcnt_dscnt 0x801
	v_mul_f64_e32 v[99:100], v[67:68], v[77:78]
	v_mul_f64_e32 v[77:78], v[69:70], v[77:78]
	s_wait_loadcnt_dscnt 0x700
	v_mul_f64_e32 v[111:112], v[95:96], v[81:82]
	v_mul_f64_e32 v[81:82], v[97:98], v[81:82]
	v_add_f64_e32 v[2:3], v[2:3], v[119:120]
	v_add_f64_e32 v[6:7], v[6:7], v[117:118]
	v_fma_f64 v[99:100], v[69:70], v[75:76], v[99:100]
	v_fma_f64 v[75:76], v[67:68], v[75:76], -v[77:78]
	v_fma_f64 v[97:98], v[97:98], v[79:80], v[111:112]
	v_fma_f64 v[79:80], v[95:96], v[79:80], -v[81:82]
	v_add_f64_e32 v[2:3], v[2:3], v[71:72]
	v_add_f64_e32 v[6:7], v[6:7], v[101:102]
	ds_load_b128 v[67:70], v1 offset:704
	ds_load_b128 v[71:74], v1 offset:720
	s_wait_loadcnt_dscnt 0x601
	v_mul_f64_e32 v[77:78], v[67:68], v[85:86]
	v_mul_f64_e32 v[85:86], v[69:70], v[85:86]
	s_wait_loadcnt_dscnt 0x500
	v_mul_f64_e32 v[81:82], v[71:72], v[89:90]
	v_mul_f64_e32 v[89:90], v[73:74], v[89:90]
	v_add_f64_e32 v[2:3], v[2:3], v[75:76]
	v_add_f64_e32 v[6:7], v[6:7], v[99:100]
	v_fma_f64 v[95:96], v[69:70], v[83:84], v[77:78]
	v_fma_f64 v[83:84], v[67:68], v[83:84], -v[85:86]
	ds_load_b128 v[67:70], v1 offset:736
	ds_load_b128 v[75:78], v1 offset:752
	v_fma_f64 v[73:74], v[73:74], v[87:88], v[81:82]
	v_fma_f64 v[71:72], v[71:72], v[87:88], -v[89:90]
	v_add_f64_e32 v[2:3], v[2:3], v[79:80]
	v_add_f64_e32 v[6:7], v[6:7], v[97:98]
	s_wait_loadcnt_dscnt 0x401
	v_mul_f64_e32 v[79:80], v[67:68], v[93:94]
	v_mul_f64_e32 v[85:86], v[69:70], v[93:94]
	s_delay_alu instid0(VALU_DEP_4) | instskip(NEXT) | instid1(VALU_DEP_4)
	v_add_f64_e32 v[2:3], v[2:3], v[83:84]
	v_add_f64_e32 v[6:7], v[6:7], v[95:96]
	s_delay_alu instid0(VALU_DEP_4) | instskip(NEXT) | instid1(VALU_DEP_4)
	v_fma_f64 v[79:80], v[69:70], v[91:92], v[79:80]
	v_fma_f64 v[83:84], v[67:68], v[91:92], -v[85:86]
	s_wait_loadcnt_dscnt 0x200
	v_mul_f64_e32 v[81:82], v[75:76], v[10:11]
	v_mul_f64_e32 v[10:11], v[77:78], v[10:11]
	v_add_f64_e32 v[71:72], v[2:3], v[71:72]
	v_add_f64_e32 v[6:7], v[6:7], v[73:74]
	ds_load_b128 v[67:70], v1 offset:768
	ds_load_b128 v[1:4], v1 offset:784
	v_fma_f64 v[77:78], v[77:78], v[8:9], v[81:82]
	v_fma_f64 v[8:9], v[75:76], v[8:9], -v[10:11]
	s_wait_loadcnt_dscnt 0x101
	v_mul_f64_e32 v[73:74], v[67:68], v[109:110]
	v_mul_f64_e32 v[85:86], v[69:70], v[109:110]
	v_add_f64_e32 v[10:11], v[71:72], v[83:84]
	v_add_f64_e32 v[6:7], v[6:7], v[79:80]
	s_wait_loadcnt_dscnt 0x0
	v_mul_f64_e32 v[71:72], v[1:2], v[65:66]
	v_mul_f64_e32 v[65:66], v[3:4], v[65:66]
	v_fma_f64 v[69:70], v[69:70], v[107:108], v[73:74]
	v_fma_f64 v[67:68], v[67:68], v[107:108], -v[85:86]
	v_add_f64_e32 v[8:9], v[10:11], v[8:9]
	v_add_f64_e32 v[6:7], v[6:7], v[77:78]
	v_fma_f64 v[3:4], v[3:4], v[63:64], v[71:72]
	v_fma_f64 v[1:2], v[1:2], v[63:64], -v[65:66]
	s_delay_alu instid0(VALU_DEP_4) | instskip(NEXT) | instid1(VALU_DEP_4)
	v_add_f64_e32 v[8:9], v[8:9], v[67:68]
	v_add_f64_e32 v[6:7], v[6:7], v[69:70]
	s_delay_alu instid0(VALU_DEP_2) | instskip(NEXT) | instid1(VALU_DEP_2)
	v_add_f64_e32 v[1:2], v[8:9], v[1:2]
	v_add_f64_e32 v[3:4], v[6:7], v[3:4]
	s_delay_alu instid0(VALU_DEP_2) | instskip(NEXT) | instid1(VALU_DEP_2)
	v_add_f64_e64 v[1:2], v[103:104], -v[1:2]
	v_add_f64_e64 v[3:4], v[105:106], -v[3:4]
	scratch_store_b128 off, v[1:4], off offset:208
	v_cmpx_lt_u32_e32 11, v0
	s_cbranch_execz .LBB88_141
; %bb.140:
	scratch_load_b128 v[1:4], off, s24
	v_mov_b32_e32 v6, 0
	s_delay_alu instid0(VALU_DEP_1)
	v_dual_mov_b32 v7, v6 :: v_dual_mov_b32 v8, v6
	v_mov_b32_e32 v9, v6
	scratch_store_b128 off, v[6:9], off offset:192
	s_wait_loadcnt 0x0
	ds_store_b128 v5, v[1:4]
.LBB88_141:
	s_wait_alu 0xfffe
	s_or_b32 exec_lo, exec_lo, s0
	s_wait_storecnt_dscnt 0x0
	s_barrier_signal -1
	s_barrier_wait -1
	global_inv scope:SCOPE_SE
	s_clause 0x7
	scratch_load_b128 v[6:9], off, off offset:208
	scratch_load_b128 v[63:66], off, off offset:224
	;; [unrolled: 1-line block ×8, first 2 shown]
	v_mov_b32_e32 v1, 0
	s_mov_b32 s0, exec_lo
	ds_load_b128 v[91:94], v1 offset:592
	s_clause 0x1
	scratch_load_b128 v[95:98], off, off offset:336
	scratch_load_b128 v[99:102], off, off offset:192
	ds_load_b128 v[103:106], v1 offset:608
	ds_load_b128 v[111:114], v1 offset:640
	s_wait_loadcnt_dscnt 0x902
	v_mul_f64_e32 v[2:3], v[93:94], v[8:9]
	v_mul_f64_e32 v[107:108], v[91:92], v[8:9]
	scratch_load_b128 v[8:11], off, off offset:352
	v_fma_f64 v[2:3], v[91:92], v[6:7], -v[2:3]
	v_fma_f64 v[6:7], v[93:94], v[6:7], v[107:108]
	ds_load_b128 v[91:94], v1 offset:624
	s_wait_loadcnt_dscnt 0x902
	v_mul_f64_e32 v[115:116], v[103:104], v[65:66]
	v_mul_f64_e32 v[65:66], v[105:106], v[65:66]
	scratch_load_b128 v[107:110], off, off offset:368
	s_wait_loadcnt_dscnt 0x900
	v_mul_f64_e32 v[117:118], v[91:92], v[69:70]
	v_mul_f64_e32 v[69:70], v[93:94], v[69:70]
	v_add_f64_e32 v[2:3], 0, v[2:3]
	v_add_f64_e32 v[6:7], 0, v[6:7]
	v_fma_f64 v[105:106], v[105:106], v[63:64], v[115:116]
	v_fma_f64 v[103:104], v[103:104], v[63:64], -v[65:66]
	scratch_load_b128 v[63:66], off, off offset:384
	v_fma_f64 v[117:118], v[93:94], v[67:68], v[117:118]
	v_fma_f64 v[119:120], v[91:92], v[67:68], -v[69:70]
	ds_load_b128 v[67:70], v1 offset:656
	s_wait_loadcnt 0x9
	v_mul_f64_e32 v[115:116], v[111:112], v[73:74]
	v_mul_f64_e32 v[73:74], v[113:114], v[73:74]
	scratch_load_b128 v[91:94], off, off offset:400
	v_add_f64_e32 v[6:7], v[6:7], v[105:106]
	v_add_f64_e32 v[2:3], v[2:3], v[103:104]
	ds_load_b128 v[103:106], v1 offset:672
	s_wait_loadcnt_dscnt 0x901
	v_mul_f64_e32 v[121:122], v[67:68], v[77:78]
	v_mul_f64_e32 v[77:78], v[69:70], v[77:78]
	v_fma_f64 v[113:114], v[113:114], v[71:72], v[115:116]
	v_fma_f64 v[71:72], v[111:112], v[71:72], -v[73:74]
	s_wait_loadcnt_dscnt 0x800
	v_mul_f64_e32 v[111:112], v[103:104], v[81:82]
	v_mul_f64_e32 v[81:82], v[105:106], v[81:82]
	v_add_f64_e32 v[6:7], v[6:7], v[117:118]
	v_add_f64_e32 v[2:3], v[2:3], v[119:120]
	v_fma_f64 v[115:116], v[69:70], v[75:76], v[121:122]
	v_fma_f64 v[75:76], v[67:68], v[75:76], -v[77:78]
	v_fma_f64 v[105:106], v[105:106], v[79:80], v[111:112]
	v_fma_f64 v[79:80], v[103:104], v[79:80], -v[81:82]
	v_add_f64_e32 v[6:7], v[6:7], v[113:114]
	v_add_f64_e32 v[2:3], v[2:3], v[71:72]
	ds_load_b128 v[67:70], v1 offset:688
	ds_load_b128 v[71:74], v1 offset:704
	s_wait_loadcnt_dscnt 0x701
	v_mul_f64_e32 v[77:78], v[67:68], v[85:86]
	v_mul_f64_e32 v[85:86], v[69:70], v[85:86]
	s_wait_loadcnt_dscnt 0x600
	v_mul_f64_e32 v[81:82], v[71:72], v[89:90]
	v_mul_f64_e32 v[89:90], v[73:74], v[89:90]
	v_add_f64_e32 v[6:7], v[6:7], v[115:116]
	v_add_f64_e32 v[2:3], v[2:3], v[75:76]
	v_fma_f64 v[103:104], v[69:70], v[83:84], v[77:78]
	v_fma_f64 v[83:84], v[67:68], v[83:84], -v[85:86]
	ds_load_b128 v[67:70], v1 offset:720
	ds_load_b128 v[75:78], v1 offset:736
	v_fma_f64 v[73:74], v[73:74], v[87:88], v[81:82]
	v_fma_f64 v[71:72], v[71:72], v[87:88], -v[89:90]
	v_add_f64_e32 v[6:7], v[6:7], v[105:106]
	v_add_f64_e32 v[2:3], v[2:3], v[79:80]
	s_wait_loadcnt_dscnt 0x501
	v_mul_f64_e32 v[79:80], v[67:68], v[97:98]
	v_mul_f64_e32 v[85:86], v[69:70], v[97:98]
	s_delay_alu instid0(VALU_DEP_4) | instskip(NEXT) | instid1(VALU_DEP_4)
	v_add_f64_e32 v[6:7], v[6:7], v[103:104]
	v_add_f64_e32 v[2:3], v[2:3], v[83:84]
	s_delay_alu instid0(VALU_DEP_4) | instskip(NEXT) | instid1(VALU_DEP_4)
	v_fma_f64 v[79:80], v[69:70], v[95:96], v[79:80]
	v_fma_f64 v[83:84], v[67:68], v[95:96], -v[85:86]
	s_wait_loadcnt_dscnt 0x300
	v_mul_f64_e32 v[81:82], v[75:76], v[10:11]
	v_mul_f64_e32 v[10:11], v[77:78], v[10:11]
	v_add_f64_e32 v[6:7], v[6:7], v[73:74]
	v_add_f64_e32 v[2:3], v[2:3], v[71:72]
	ds_load_b128 v[67:70], v1 offset:752
	ds_load_b128 v[71:74], v1 offset:768
	v_fma_f64 v[77:78], v[77:78], v[8:9], v[81:82]
	v_fma_f64 v[8:9], v[75:76], v[8:9], -v[10:11]
	s_wait_loadcnt_dscnt 0x201
	v_mul_f64_e32 v[85:86], v[67:68], v[109:110]
	v_mul_f64_e32 v[87:88], v[69:70], v[109:110]
	v_add_f64_e32 v[6:7], v[6:7], v[79:80]
	v_add_f64_e32 v[2:3], v[2:3], v[83:84]
	s_wait_loadcnt_dscnt 0x100
	v_mul_f64_e32 v[10:11], v[71:72], v[65:66]
	v_mul_f64_e32 v[65:66], v[73:74], v[65:66]
	v_fma_f64 v[69:70], v[69:70], v[107:108], v[85:86]
	v_fma_f64 v[67:68], v[67:68], v[107:108], -v[87:88]
	v_add_f64_e32 v[75:76], v[6:7], v[77:78]
	v_add_f64_e32 v[2:3], v[2:3], v[8:9]
	ds_load_b128 v[6:9], v1 offset:784
	v_fma_f64 v[10:11], v[73:74], v[63:64], v[10:11]
	v_fma_f64 v[63:64], v[71:72], v[63:64], -v[65:66]
	s_wait_loadcnt_dscnt 0x0
	v_mul_f64_e32 v[77:78], v[6:7], v[93:94]
	v_mul_f64_e32 v[79:80], v[8:9], v[93:94]
	v_add_f64_e32 v[65:66], v[75:76], v[69:70]
	v_add_f64_e32 v[2:3], v[2:3], v[67:68]
	s_delay_alu instid0(VALU_DEP_4) | instskip(NEXT) | instid1(VALU_DEP_4)
	v_fma_f64 v[8:9], v[8:9], v[91:92], v[77:78]
	v_fma_f64 v[6:7], v[6:7], v[91:92], -v[79:80]
	s_delay_alu instid0(VALU_DEP_4) | instskip(NEXT) | instid1(VALU_DEP_4)
	v_add_f64_e32 v[10:11], v[65:66], v[10:11]
	v_add_f64_e32 v[2:3], v[2:3], v[63:64]
	s_delay_alu instid0(VALU_DEP_2) | instskip(NEXT) | instid1(VALU_DEP_2)
	v_add_f64_e32 v[8:9], v[10:11], v[8:9]
	v_add_f64_e32 v[2:3], v[2:3], v[6:7]
	s_delay_alu instid0(VALU_DEP_2) | instskip(NEXT) | instid1(VALU_DEP_2)
	v_add_f64_e64 v[8:9], v[101:102], -v[8:9]
	v_add_f64_e64 v[6:7], v[99:100], -v[2:3]
	scratch_store_b128 off, v[6:9], off offset:192
	v_cmpx_lt_u32_e32 10, v0
	s_cbranch_execz .LBB88_143
; %bb.142:
	scratch_load_b128 v[6:9], off, s11
	v_dual_mov_b32 v2, v1 :: v_dual_mov_b32 v3, v1
	v_mov_b32_e32 v4, v1
	scratch_store_b128 off, v[1:4], off offset:176
	s_wait_loadcnt 0x0
	ds_store_b128 v5, v[6:9]
.LBB88_143:
	s_wait_alu 0xfffe
	s_or_b32 exec_lo, exec_lo, s0
	s_wait_storecnt_dscnt 0x0
	s_barrier_signal -1
	s_barrier_wait -1
	global_inv scope:SCOPE_SE
	s_clause 0x8
	scratch_load_b128 v[6:9], off, off offset:192
	scratch_load_b128 v[63:66], off, off offset:208
	;; [unrolled: 1-line block ×9, first 2 shown]
	ds_load_b128 v[95:98], v1 offset:576
	ds_load_b128 v[99:102], v1 offset:592
	scratch_load_b128 v[103:106], off, off offset:176
	s_mov_b32 s0, exec_lo
	ds_load_b128 v[111:114], v1 offset:624
	s_wait_loadcnt_dscnt 0x902
	v_mul_f64_e32 v[2:3], v[97:98], v[8:9]
	v_mul_f64_e32 v[107:108], v[95:96], v[8:9]
	scratch_load_b128 v[8:11], off, off offset:336
	s_wait_loadcnt_dscnt 0x901
	v_mul_f64_e32 v[115:116], v[99:100], v[65:66]
	v_mul_f64_e32 v[65:66], v[101:102], v[65:66]
	v_fma_f64 v[2:3], v[95:96], v[6:7], -v[2:3]
	v_fma_f64 v[6:7], v[97:98], v[6:7], v[107:108]
	ds_load_b128 v[95:98], v1 offset:608
	scratch_load_b128 v[107:110], off, off offset:352
	v_fma_f64 v[101:102], v[101:102], v[63:64], v[115:116]
	v_fma_f64 v[99:100], v[99:100], v[63:64], -v[65:66]
	scratch_load_b128 v[63:66], off, off offset:368
	s_wait_loadcnt_dscnt 0x901
	v_mul_f64_e32 v[115:116], v[111:112], v[73:74]
	v_mul_f64_e32 v[73:74], v[113:114], v[73:74]
	s_wait_dscnt 0x0
	v_mul_f64_e32 v[117:118], v[95:96], v[69:70]
	v_mul_f64_e32 v[69:70], v[97:98], v[69:70]
	v_add_f64_e32 v[2:3], 0, v[2:3]
	v_add_f64_e32 v[6:7], 0, v[6:7]
	v_fma_f64 v[113:114], v[113:114], v[71:72], v[115:116]
	v_fma_f64 v[111:112], v[111:112], v[71:72], -v[73:74]
	scratch_load_b128 v[71:74], off, off offset:400
	v_fma_f64 v[117:118], v[97:98], v[67:68], v[117:118]
	v_fma_f64 v[119:120], v[95:96], v[67:68], -v[69:70]
	ds_load_b128 v[67:70], v1 offset:640
	scratch_load_b128 v[95:98], off, off offset:384
	v_add_f64_e32 v[2:3], v[2:3], v[99:100]
	v_add_f64_e32 v[6:7], v[6:7], v[101:102]
	ds_load_b128 v[99:102], v1 offset:656
	s_wait_loadcnt_dscnt 0xa01
	v_mul_f64_e32 v[121:122], v[67:68], v[77:78]
	v_mul_f64_e32 v[77:78], v[69:70], v[77:78]
	s_wait_loadcnt_dscnt 0x900
	v_mul_f64_e32 v[115:116], v[99:100], v[81:82]
	v_mul_f64_e32 v[81:82], v[101:102], v[81:82]
	v_add_f64_e32 v[2:3], v[2:3], v[119:120]
	v_add_f64_e32 v[6:7], v[6:7], v[117:118]
	v_fma_f64 v[117:118], v[69:70], v[75:76], v[121:122]
	v_fma_f64 v[119:120], v[67:68], v[75:76], -v[77:78]
	ds_load_b128 v[67:70], v1 offset:672
	ds_load_b128 v[75:78], v1 offset:688
	v_fma_f64 v[101:102], v[101:102], v[79:80], v[115:116]
	v_fma_f64 v[79:80], v[99:100], v[79:80], -v[81:82]
	s_wait_loadcnt_dscnt 0x700
	v_mul_f64_e32 v[99:100], v[75:76], v[89:90]
	v_mul_f64_e32 v[89:90], v[77:78], v[89:90]
	v_add_f64_e32 v[2:3], v[2:3], v[111:112]
	v_add_f64_e32 v[6:7], v[6:7], v[113:114]
	v_mul_f64_e32 v[111:112], v[67:68], v[85:86]
	v_mul_f64_e32 v[85:86], v[69:70], v[85:86]
	v_fma_f64 v[77:78], v[77:78], v[87:88], v[99:100]
	v_fma_f64 v[75:76], v[75:76], v[87:88], -v[89:90]
	v_add_f64_e32 v[2:3], v[2:3], v[119:120]
	v_add_f64_e32 v[6:7], v[6:7], v[117:118]
	v_fma_f64 v[111:112], v[69:70], v[83:84], v[111:112]
	v_fma_f64 v[83:84], v[67:68], v[83:84], -v[85:86]
	s_delay_alu instid0(VALU_DEP_4) | instskip(NEXT) | instid1(VALU_DEP_4)
	v_add_f64_e32 v[2:3], v[2:3], v[79:80]
	v_add_f64_e32 v[6:7], v[6:7], v[101:102]
	ds_load_b128 v[67:70], v1 offset:704
	ds_load_b128 v[79:82], v1 offset:720
	s_wait_loadcnt_dscnt 0x601
	v_mul_f64_e32 v[85:86], v[67:68], v[93:94]
	v_mul_f64_e32 v[93:94], v[69:70], v[93:94]
	v_add_f64_e32 v[2:3], v[2:3], v[83:84]
	v_add_f64_e32 v[6:7], v[6:7], v[111:112]
	s_wait_loadcnt_dscnt 0x400
	v_mul_f64_e32 v[83:84], v[79:80], v[10:11]
	v_mul_f64_e32 v[10:11], v[81:82], v[10:11]
	v_fma_f64 v[85:86], v[69:70], v[91:92], v[85:86]
	v_fma_f64 v[87:88], v[67:68], v[91:92], -v[93:94]
	v_add_f64_e32 v[2:3], v[2:3], v[75:76]
	v_add_f64_e32 v[6:7], v[6:7], v[77:78]
	ds_load_b128 v[67:70], v1 offset:736
	ds_load_b128 v[75:78], v1 offset:752
	v_fma_f64 v[81:82], v[81:82], v[8:9], v[83:84]
	v_fma_f64 v[8:9], v[79:80], v[8:9], -v[10:11]
	s_wait_loadcnt_dscnt 0x301
	v_mul_f64_e32 v[89:90], v[67:68], v[109:110]
	v_mul_f64_e32 v[91:92], v[69:70], v[109:110]
	s_wait_loadcnt_dscnt 0x200
	v_mul_f64_e32 v[10:11], v[75:76], v[65:66]
	v_mul_f64_e32 v[65:66], v[77:78], v[65:66]
	v_add_f64_e32 v[2:3], v[2:3], v[87:88]
	v_add_f64_e32 v[6:7], v[6:7], v[85:86]
	v_fma_f64 v[69:70], v[69:70], v[107:108], v[89:90]
	v_fma_f64 v[67:68], v[67:68], v[107:108], -v[91:92]
	v_fma_f64 v[10:11], v[77:78], v[63:64], v[10:11]
	v_fma_f64 v[63:64], v[75:76], v[63:64], -v[65:66]
	v_add_f64_e32 v[79:80], v[2:3], v[8:9]
	v_add_f64_e32 v[81:82], v[6:7], v[81:82]
	ds_load_b128 v[6:9], v1 offset:768
	ds_load_b128 v[1:4], v1 offset:784
	s_wait_loadcnt_dscnt 0x1
	v_mul_f64_e32 v[83:84], v[6:7], v[97:98]
	v_mul_f64_e32 v[85:86], v[8:9], v[97:98]
	v_add_f64_e32 v[65:66], v[79:80], v[67:68]
	v_add_f64_e32 v[67:68], v[81:82], v[69:70]
	s_wait_dscnt 0x0
	v_mul_f64_e32 v[69:70], v[1:2], v[73:74]
	v_mul_f64_e32 v[73:74], v[3:4], v[73:74]
	v_fma_f64 v[8:9], v[8:9], v[95:96], v[83:84]
	v_fma_f64 v[6:7], v[6:7], v[95:96], -v[85:86]
	v_add_f64_e32 v[63:64], v[65:66], v[63:64]
	v_add_f64_e32 v[10:11], v[67:68], v[10:11]
	v_fma_f64 v[3:4], v[3:4], v[71:72], v[69:70]
	v_fma_f64 v[1:2], v[1:2], v[71:72], -v[73:74]
	s_delay_alu instid0(VALU_DEP_4) | instskip(NEXT) | instid1(VALU_DEP_4)
	v_add_f64_e32 v[6:7], v[63:64], v[6:7]
	v_add_f64_e32 v[8:9], v[10:11], v[8:9]
	s_delay_alu instid0(VALU_DEP_2) | instskip(NEXT) | instid1(VALU_DEP_2)
	v_add_f64_e32 v[1:2], v[6:7], v[1:2]
	v_add_f64_e32 v[3:4], v[8:9], v[3:4]
	s_delay_alu instid0(VALU_DEP_2) | instskip(NEXT) | instid1(VALU_DEP_2)
	v_add_f64_e64 v[1:2], v[103:104], -v[1:2]
	v_add_f64_e64 v[3:4], v[105:106], -v[3:4]
	scratch_store_b128 off, v[1:4], off offset:176
	v_cmpx_lt_u32_e32 9, v0
	s_cbranch_execz .LBB88_145
; %bb.144:
	scratch_load_b128 v[1:4], off, s23
	v_mov_b32_e32 v6, 0
	s_delay_alu instid0(VALU_DEP_1)
	v_dual_mov_b32 v7, v6 :: v_dual_mov_b32 v8, v6
	v_mov_b32_e32 v9, v6
	scratch_store_b128 off, v[6:9], off offset:160
	s_wait_loadcnt 0x0
	ds_store_b128 v5, v[1:4]
.LBB88_145:
	s_wait_alu 0xfffe
	s_or_b32 exec_lo, exec_lo, s0
	s_wait_storecnt_dscnt 0x0
	s_barrier_signal -1
	s_barrier_wait -1
	global_inv scope:SCOPE_SE
	s_clause 0x7
	scratch_load_b128 v[6:9], off, off offset:176
	scratch_load_b128 v[63:66], off, off offset:192
	;; [unrolled: 1-line block ×8, first 2 shown]
	v_mov_b32_e32 v1, 0
	s_mov_b32 s0, exec_lo
	ds_load_b128 v[91:94], v1 offset:560
	s_clause 0x1
	scratch_load_b128 v[95:98], off, off offset:304
	scratch_load_b128 v[99:102], off, off offset:160
	ds_load_b128 v[103:106], v1 offset:576
	ds_load_b128 v[111:114], v1 offset:608
	s_wait_loadcnt_dscnt 0x902
	v_mul_f64_e32 v[2:3], v[93:94], v[8:9]
	v_mul_f64_e32 v[107:108], v[91:92], v[8:9]
	scratch_load_b128 v[8:11], off, off offset:320
	v_fma_f64 v[2:3], v[91:92], v[6:7], -v[2:3]
	v_fma_f64 v[6:7], v[93:94], v[6:7], v[107:108]
	ds_load_b128 v[91:94], v1 offset:592
	s_wait_loadcnt_dscnt 0x902
	v_mul_f64_e32 v[115:116], v[103:104], v[65:66]
	v_mul_f64_e32 v[65:66], v[105:106], v[65:66]
	scratch_load_b128 v[107:110], off, off offset:336
	s_wait_loadcnt_dscnt 0x900
	v_mul_f64_e32 v[117:118], v[91:92], v[69:70]
	v_mul_f64_e32 v[69:70], v[93:94], v[69:70]
	v_add_f64_e32 v[2:3], 0, v[2:3]
	v_add_f64_e32 v[6:7], 0, v[6:7]
	v_fma_f64 v[105:106], v[105:106], v[63:64], v[115:116]
	v_fma_f64 v[103:104], v[103:104], v[63:64], -v[65:66]
	scratch_load_b128 v[63:66], off, off offset:352
	v_fma_f64 v[117:118], v[93:94], v[67:68], v[117:118]
	v_fma_f64 v[119:120], v[91:92], v[67:68], -v[69:70]
	ds_load_b128 v[67:70], v1 offset:624
	s_wait_loadcnt 0x9
	v_mul_f64_e32 v[115:116], v[111:112], v[73:74]
	v_mul_f64_e32 v[73:74], v[113:114], v[73:74]
	scratch_load_b128 v[91:94], off, off offset:368
	v_add_f64_e32 v[6:7], v[6:7], v[105:106]
	v_add_f64_e32 v[2:3], v[2:3], v[103:104]
	ds_load_b128 v[103:106], v1 offset:640
	s_wait_loadcnt_dscnt 0x901
	v_mul_f64_e32 v[121:122], v[67:68], v[77:78]
	v_mul_f64_e32 v[77:78], v[69:70], v[77:78]
	v_fma_f64 v[113:114], v[113:114], v[71:72], v[115:116]
	v_fma_f64 v[111:112], v[111:112], v[71:72], -v[73:74]
	scratch_load_b128 v[71:74], off, off offset:384
	v_add_f64_e32 v[6:7], v[6:7], v[117:118]
	v_add_f64_e32 v[2:3], v[2:3], v[119:120]
	v_fma_f64 v[117:118], v[69:70], v[75:76], v[121:122]
	v_fma_f64 v[119:120], v[67:68], v[75:76], -v[77:78]
	ds_load_b128 v[67:70], v1 offset:656
	s_wait_loadcnt_dscnt 0x901
	v_mul_f64_e32 v[115:116], v[103:104], v[81:82]
	v_mul_f64_e32 v[81:82], v[105:106], v[81:82]
	scratch_load_b128 v[75:78], off, off offset:400
	s_wait_loadcnt_dscnt 0x900
	v_mul_f64_e32 v[121:122], v[67:68], v[85:86]
	v_mul_f64_e32 v[85:86], v[69:70], v[85:86]
	v_add_f64_e32 v[6:7], v[6:7], v[113:114]
	v_add_f64_e32 v[2:3], v[2:3], v[111:112]
	ds_load_b128 v[111:114], v1 offset:672
	v_fma_f64 v[105:106], v[105:106], v[79:80], v[115:116]
	v_fma_f64 v[79:80], v[103:104], v[79:80], -v[81:82]
	s_wait_loadcnt_dscnt 0x800
	v_mul_f64_e32 v[103:104], v[111:112], v[89:90]
	v_mul_f64_e32 v[89:90], v[113:114], v[89:90]
	v_fma_f64 v[115:116], v[69:70], v[83:84], v[121:122]
	v_fma_f64 v[83:84], v[67:68], v[83:84], -v[85:86]
	v_add_f64_e32 v[6:7], v[6:7], v[117:118]
	v_add_f64_e32 v[2:3], v[2:3], v[119:120]
	v_fma_f64 v[103:104], v[113:114], v[87:88], v[103:104]
	v_fma_f64 v[87:88], v[111:112], v[87:88], -v[89:90]
	s_delay_alu instid0(VALU_DEP_4) | instskip(NEXT) | instid1(VALU_DEP_4)
	v_add_f64_e32 v[6:7], v[6:7], v[105:106]
	v_add_f64_e32 v[2:3], v[2:3], v[79:80]
	ds_load_b128 v[67:70], v1 offset:688
	ds_load_b128 v[79:82], v1 offset:704
	s_wait_loadcnt_dscnt 0x701
	v_mul_f64_e32 v[85:86], v[67:68], v[97:98]
	v_mul_f64_e32 v[97:98], v[69:70], v[97:98]
	v_add_f64_e32 v[6:7], v[6:7], v[115:116]
	v_add_f64_e32 v[2:3], v[2:3], v[83:84]
	s_wait_loadcnt_dscnt 0x500
	v_mul_f64_e32 v[89:90], v[79:80], v[10:11]
	v_mul_f64_e32 v[10:11], v[81:82], v[10:11]
	v_fma_f64 v[105:106], v[69:70], v[95:96], v[85:86]
	v_fma_f64 v[95:96], v[67:68], v[95:96], -v[97:98]
	ds_load_b128 v[67:70], v1 offset:720
	ds_load_b128 v[83:86], v1 offset:736
	v_add_f64_e32 v[6:7], v[6:7], v[103:104]
	v_add_f64_e32 v[2:3], v[2:3], v[87:88]
	v_fma_f64 v[81:82], v[81:82], v[8:9], v[89:90]
	v_fma_f64 v[8:9], v[79:80], v[8:9], -v[10:11]
	s_wait_loadcnt_dscnt 0x401
	v_mul_f64_e32 v[87:88], v[67:68], v[109:110]
	v_mul_f64_e32 v[97:98], v[69:70], v[109:110]
	v_add_f64_e32 v[6:7], v[6:7], v[105:106]
	v_add_f64_e32 v[2:3], v[2:3], v[95:96]
	s_wait_loadcnt_dscnt 0x300
	v_mul_f64_e32 v[10:11], v[83:84], v[65:66]
	v_mul_f64_e32 v[79:80], v[85:86], v[65:66]
	v_fma_f64 v[69:70], v[69:70], v[107:108], v[87:88]
	v_fma_f64 v[87:88], v[67:68], v[107:108], -v[97:98]
	v_add_f64_e32 v[81:82], v[6:7], v[81:82]
	v_add_f64_e32 v[2:3], v[2:3], v[8:9]
	ds_load_b128 v[6:9], v1 offset:752
	ds_load_b128 v[65:68], v1 offset:768
	v_fma_f64 v[10:11], v[85:86], v[63:64], v[10:11]
	v_fma_f64 v[63:64], v[83:84], v[63:64], -v[79:80]
	s_wait_loadcnt_dscnt 0x201
	v_mul_f64_e32 v[89:90], v[6:7], v[93:94]
	v_mul_f64_e32 v[93:94], v[8:9], v[93:94]
	v_add_f64_e32 v[69:70], v[81:82], v[69:70]
	v_add_f64_e32 v[2:3], v[2:3], v[87:88]
	s_wait_loadcnt_dscnt 0x100
	v_mul_f64_e32 v[79:80], v[65:66], v[73:74]
	v_mul_f64_e32 v[73:74], v[67:68], v[73:74]
	v_fma_f64 v[81:82], v[8:9], v[91:92], v[89:90]
	v_fma_f64 v[83:84], v[6:7], v[91:92], -v[93:94]
	ds_load_b128 v[6:9], v1 offset:784
	v_add_f64_e32 v[10:11], v[69:70], v[10:11]
	v_add_f64_e32 v[2:3], v[2:3], v[63:64]
	v_fma_f64 v[67:68], v[67:68], v[71:72], v[79:80]
	v_fma_f64 v[65:66], v[65:66], v[71:72], -v[73:74]
	s_wait_loadcnt_dscnt 0x0
	v_mul_f64_e32 v[63:64], v[6:7], v[77:78]
	v_mul_f64_e32 v[69:70], v[8:9], v[77:78]
	v_add_f64_e32 v[10:11], v[10:11], v[81:82]
	v_add_f64_e32 v[2:3], v[2:3], v[83:84]
	s_delay_alu instid0(VALU_DEP_4) | instskip(NEXT) | instid1(VALU_DEP_4)
	v_fma_f64 v[8:9], v[8:9], v[75:76], v[63:64]
	v_fma_f64 v[6:7], v[6:7], v[75:76], -v[69:70]
	s_delay_alu instid0(VALU_DEP_4) | instskip(NEXT) | instid1(VALU_DEP_4)
	v_add_f64_e32 v[10:11], v[10:11], v[67:68]
	v_add_f64_e32 v[2:3], v[2:3], v[65:66]
	s_delay_alu instid0(VALU_DEP_2) | instskip(NEXT) | instid1(VALU_DEP_2)
	v_add_f64_e32 v[8:9], v[10:11], v[8:9]
	v_add_f64_e32 v[2:3], v[2:3], v[6:7]
	s_delay_alu instid0(VALU_DEP_2) | instskip(NEXT) | instid1(VALU_DEP_2)
	v_add_f64_e64 v[8:9], v[101:102], -v[8:9]
	v_add_f64_e64 v[6:7], v[99:100], -v[2:3]
	scratch_store_b128 off, v[6:9], off offset:160
	v_cmpx_lt_u32_e32 8, v0
	s_cbranch_execz .LBB88_147
; %bb.146:
	scratch_load_b128 v[6:9], off, s10
	v_dual_mov_b32 v2, v1 :: v_dual_mov_b32 v3, v1
	v_mov_b32_e32 v4, v1
	scratch_store_b128 off, v[1:4], off offset:144
	s_wait_loadcnt 0x0
	ds_store_b128 v5, v[6:9]
.LBB88_147:
	s_wait_alu 0xfffe
	s_or_b32 exec_lo, exec_lo, s0
	s_wait_storecnt_dscnt 0x0
	s_barrier_signal -1
	s_barrier_wait -1
	global_inv scope:SCOPE_SE
	s_clause 0x8
	scratch_load_b128 v[6:9], off, off offset:160
	scratch_load_b128 v[63:66], off, off offset:176
	;; [unrolled: 1-line block ×9, first 2 shown]
	ds_load_b128 v[95:98], v1 offset:544
	ds_load_b128 v[99:102], v1 offset:560
	scratch_load_b128 v[103:106], off, off offset:144
	s_mov_b32 s0, exec_lo
	ds_load_b128 v[111:114], v1 offset:592
	s_wait_loadcnt_dscnt 0x902
	v_mul_f64_e32 v[2:3], v[97:98], v[8:9]
	v_mul_f64_e32 v[107:108], v[95:96], v[8:9]
	scratch_load_b128 v[8:11], off, off offset:304
	s_wait_loadcnt_dscnt 0x901
	v_mul_f64_e32 v[115:116], v[99:100], v[65:66]
	v_mul_f64_e32 v[65:66], v[101:102], v[65:66]
	v_fma_f64 v[2:3], v[95:96], v[6:7], -v[2:3]
	v_fma_f64 v[6:7], v[97:98], v[6:7], v[107:108]
	ds_load_b128 v[95:98], v1 offset:576
	scratch_load_b128 v[107:110], off, off offset:320
	v_fma_f64 v[101:102], v[101:102], v[63:64], v[115:116]
	v_fma_f64 v[99:100], v[99:100], v[63:64], -v[65:66]
	scratch_load_b128 v[63:66], off, off offset:336
	s_wait_loadcnt_dscnt 0x901
	v_mul_f64_e32 v[115:116], v[111:112], v[73:74]
	v_mul_f64_e32 v[73:74], v[113:114], v[73:74]
	s_wait_dscnt 0x0
	v_mul_f64_e32 v[117:118], v[95:96], v[69:70]
	v_mul_f64_e32 v[69:70], v[97:98], v[69:70]
	v_add_f64_e32 v[2:3], 0, v[2:3]
	v_add_f64_e32 v[6:7], 0, v[6:7]
	v_fma_f64 v[113:114], v[113:114], v[71:72], v[115:116]
	v_fma_f64 v[111:112], v[111:112], v[71:72], -v[73:74]
	scratch_load_b128 v[71:74], off, off offset:368
	v_fma_f64 v[117:118], v[97:98], v[67:68], v[117:118]
	v_fma_f64 v[119:120], v[95:96], v[67:68], -v[69:70]
	ds_load_b128 v[67:70], v1 offset:608
	scratch_load_b128 v[95:98], off, off offset:352
	v_add_f64_e32 v[2:3], v[2:3], v[99:100]
	v_add_f64_e32 v[6:7], v[6:7], v[101:102]
	ds_load_b128 v[99:102], v1 offset:624
	s_wait_loadcnt_dscnt 0xa01
	v_mul_f64_e32 v[121:122], v[67:68], v[77:78]
	v_mul_f64_e32 v[77:78], v[69:70], v[77:78]
	s_wait_loadcnt_dscnt 0x900
	v_mul_f64_e32 v[115:116], v[99:100], v[81:82]
	v_mul_f64_e32 v[81:82], v[101:102], v[81:82]
	v_add_f64_e32 v[2:3], v[2:3], v[119:120]
	v_add_f64_e32 v[6:7], v[6:7], v[117:118]
	v_fma_f64 v[117:118], v[69:70], v[75:76], v[121:122]
	v_fma_f64 v[119:120], v[67:68], v[75:76], -v[77:78]
	ds_load_b128 v[67:70], v1 offset:640
	scratch_load_b128 v[75:78], off, off offset:384
	v_fma_f64 v[101:102], v[101:102], v[79:80], v[115:116]
	v_fma_f64 v[99:100], v[99:100], v[79:80], -v[81:82]
	scratch_load_b128 v[79:82], off, off offset:400
	v_add_f64_e32 v[2:3], v[2:3], v[111:112]
	v_add_f64_e32 v[6:7], v[6:7], v[113:114]
	ds_load_b128 v[111:114], v1 offset:656
	s_wait_loadcnt_dscnt 0xa01
	v_mul_f64_e32 v[121:122], v[67:68], v[85:86]
	v_mul_f64_e32 v[85:86], v[69:70], v[85:86]
	s_wait_loadcnt_dscnt 0x900
	v_mul_f64_e32 v[115:116], v[111:112], v[89:90]
	v_mul_f64_e32 v[89:90], v[113:114], v[89:90]
	v_add_f64_e32 v[2:3], v[2:3], v[119:120]
	v_add_f64_e32 v[6:7], v[6:7], v[117:118]
	v_fma_f64 v[117:118], v[69:70], v[83:84], v[121:122]
	v_fma_f64 v[119:120], v[67:68], v[83:84], -v[85:86]
	ds_load_b128 v[67:70], v1 offset:672
	ds_load_b128 v[83:86], v1 offset:688
	v_add_f64_e32 v[2:3], v[2:3], v[99:100]
	v_add_f64_e32 v[6:7], v[6:7], v[101:102]
	s_wait_loadcnt_dscnt 0x801
	v_mul_f64_e32 v[99:100], v[67:68], v[93:94]
	v_mul_f64_e32 v[93:94], v[69:70], v[93:94]
	v_fma_f64 v[101:102], v[113:114], v[87:88], v[115:116]
	v_fma_f64 v[87:88], v[111:112], v[87:88], -v[89:90]
	v_add_f64_e32 v[2:3], v[2:3], v[119:120]
	v_add_f64_e32 v[6:7], v[6:7], v[117:118]
	v_fma_f64 v[99:100], v[69:70], v[91:92], v[99:100]
	v_fma_f64 v[91:92], v[67:68], v[91:92], -v[93:94]
	s_wait_loadcnt_dscnt 0x600
	v_mul_f64_e32 v[111:112], v[83:84], v[10:11]
	v_mul_f64_e32 v[10:11], v[85:86], v[10:11]
	v_add_f64_e32 v[2:3], v[2:3], v[87:88]
	v_add_f64_e32 v[6:7], v[6:7], v[101:102]
	ds_load_b128 v[67:70], v1 offset:704
	ds_load_b128 v[87:90], v1 offset:720
	v_fma_f64 v[85:86], v[85:86], v[8:9], v[111:112]
	v_fma_f64 v[8:9], v[83:84], v[8:9], -v[10:11]
	s_wait_loadcnt_dscnt 0x501
	v_mul_f64_e32 v[93:94], v[67:68], v[109:110]
	v_mul_f64_e32 v[101:102], v[69:70], v[109:110]
	s_wait_loadcnt_dscnt 0x400
	v_mul_f64_e32 v[10:11], v[87:88], v[65:66]
	v_mul_f64_e32 v[83:84], v[89:90], v[65:66]
	v_add_f64_e32 v[2:3], v[2:3], v[91:92]
	v_add_f64_e32 v[6:7], v[6:7], v[99:100]
	v_fma_f64 v[69:70], v[69:70], v[107:108], v[93:94]
	v_fma_f64 v[91:92], v[67:68], v[107:108], -v[101:102]
	v_fma_f64 v[10:11], v[89:90], v[63:64], v[10:11]
	v_fma_f64 v[63:64], v[87:88], v[63:64], -v[83:84]
	v_add_f64_e32 v[2:3], v[2:3], v[8:9]
	v_add_f64_e32 v[85:86], v[6:7], v[85:86]
	ds_load_b128 v[6:9], v1 offset:736
	ds_load_b128 v[65:68], v1 offset:752
	s_wait_loadcnt_dscnt 0x201
	v_mul_f64_e32 v[93:94], v[6:7], v[97:98]
	v_mul_f64_e32 v[97:98], v[8:9], v[97:98]
	s_wait_dscnt 0x0
	v_mul_f64_e32 v[83:84], v[65:66], v[73:74]
	v_mul_f64_e32 v[73:74], v[67:68], v[73:74]
	v_add_f64_e32 v[2:3], v[2:3], v[91:92]
	v_add_f64_e32 v[69:70], v[85:86], v[69:70]
	v_fma_f64 v[85:86], v[8:9], v[95:96], v[93:94]
	v_fma_f64 v[87:88], v[6:7], v[95:96], -v[97:98]
	v_fma_f64 v[67:68], v[67:68], v[71:72], v[83:84]
	v_fma_f64 v[65:66], v[65:66], v[71:72], -v[73:74]
	v_add_f64_e32 v[63:64], v[2:3], v[63:64]
	v_add_f64_e32 v[10:11], v[69:70], v[10:11]
	ds_load_b128 v[6:9], v1 offset:768
	ds_load_b128 v[1:4], v1 offset:784
	s_wait_loadcnt_dscnt 0x101
	v_mul_f64_e32 v[69:70], v[6:7], v[77:78]
	v_mul_f64_e32 v[77:78], v[8:9], v[77:78]
	s_wait_loadcnt_dscnt 0x0
	v_mul_f64_e32 v[71:72], v[1:2], v[81:82]
	v_mul_f64_e32 v[73:74], v[3:4], v[81:82]
	v_add_f64_e32 v[63:64], v[63:64], v[87:88]
	v_add_f64_e32 v[10:11], v[10:11], v[85:86]
	v_fma_f64 v[8:9], v[8:9], v[75:76], v[69:70]
	v_fma_f64 v[6:7], v[6:7], v[75:76], -v[77:78]
	v_fma_f64 v[3:4], v[3:4], v[79:80], v[71:72]
	v_fma_f64 v[1:2], v[1:2], v[79:80], -v[73:74]
	v_add_f64_e32 v[63:64], v[63:64], v[65:66]
	v_add_f64_e32 v[10:11], v[10:11], v[67:68]
	s_delay_alu instid0(VALU_DEP_2) | instskip(NEXT) | instid1(VALU_DEP_2)
	v_add_f64_e32 v[6:7], v[63:64], v[6:7]
	v_add_f64_e32 v[8:9], v[10:11], v[8:9]
	s_delay_alu instid0(VALU_DEP_2) | instskip(NEXT) | instid1(VALU_DEP_2)
	;; [unrolled: 3-line block ×3, first 2 shown]
	v_add_f64_e64 v[1:2], v[103:104], -v[1:2]
	v_add_f64_e64 v[3:4], v[105:106], -v[3:4]
	scratch_store_b128 off, v[1:4], off offset:144
	v_cmpx_lt_u32_e32 7, v0
	s_cbranch_execz .LBB88_149
; %bb.148:
	scratch_load_b128 v[1:4], off, s22
	v_mov_b32_e32 v6, 0
	s_delay_alu instid0(VALU_DEP_1)
	v_dual_mov_b32 v7, v6 :: v_dual_mov_b32 v8, v6
	v_mov_b32_e32 v9, v6
	scratch_store_b128 off, v[6:9], off offset:128
	s_wait_loadcnt 0x0
	ds_store_b128 v5, v[1:4]
.LBB88_149:
	s_wait_alu 0xfffe
	s_or_b32 exec_lo, exec_lo, s0
	s_wait_storecnt_dscnt 0x0
	s_barrier_signal -1
	s_barrier_wait -1
	global_inv scope:SCOPE_SE
	s_clause 0x7
	scratch_load_b128 v[6:9], off, off offset:144
	scratch_load_b128 v[63:66], off, off offset:160
	;; [unrolled: 1-line block ×8, first 2 shown]
	v_mov_b32_e32 v1, 0
	s_mov_b32 s0, exec_lo
	ds_load_b128 v[91:94], v1 offset:528
	s_clause 0x1
	scratch_load_b128 v[95:98], off, off offset:272
	scratch_load_b128 v[99:102], off, off offset:128
	ds_load_b128 v[103:106], v1 offset:544
	ds_load_b128 v[111:114], v1 offset:576
	s_wait_loadcnt_dscnt 0x902
	v_mul_f64_e32 v[2:3], v[93:94], v[8:9]
	v_mul_f64_e32 v[107:108], v[91:92], v[8:9]
	scratch_load_b128 v[8:11], off, off offset:288
	v_fma_f64 v[2:3], v[91:92], v[6:7], -v[2:3]
	v_fma_f64 v[6:7], v[93:94], v[6:7], v[107:108]
	ds_load_b128 v[91:94], v1 offset:560
	s_wait_loadcnt_dscnt 0x902
	v_mul_f64_e32 v[115:116], v[103:104], v[65:66]
	v_mul_f64_e32 v[65:66], v[105:106], v[65:66]
	scratch_load_b128 v[107:110], off, off offset:304
	s_wait_loadcnt_dscnt 0x900
	v_mul_f64_e32 v[117:118], v[91:92], v[69:70]
	v_mul_f64_e32 v[69:70], v[93:94], v[69:70]
	v_add_f64_e32 v[2:3], 0, v[2:3]
	v_add_f64_e32 v[6:7], 0, v[6:7]
	v_fma_f64 v[105:106], v[105:106], v[63:64], v[115:116]
	v_fma_f64 v[103:104], v[103:104], v[63:64], -v[65:66]
	scratch_load_b128 v[63:66], off, off offset:320
	v_fma_f64 v[117:118], v[93:94], v[67:68], v[117:118]
	v_fma_f64 v[119:120], v[91:92], v[67:68], -v[69:70]
	ds_load_b128 v[67:70], v1 offset:592
	s_wait_loadcnt 0x9
	v_mul_f64_e32 v[115:116], v[111:112], v[73:74]
	v_mul_f64_e32 v[73:74], v[113:114], v[73:74]
	scratch_load_b128 v[91:94], off, off offset:336
	v_add_f64_e32 v[6:7], v[6:7], v[105:106]
	v_add_f64_e32 v[2:3], v[2:3], v[103:104]
	ds_load_b128 v[103:106], v1 offset:608
	s_wait_loadcnt_dscnt 0x901
	v_mul_f64_e32 v[121:122], v[67:68], v[77:78]
	v_mul_f64_e32 v[77:78], v[69:70], v[77:78]
	v_fma_f64 v[113:114], v[113:114], v[71:72], v[115:116]
	v_fma_f64 v[111:112], v[111:112], v[71:72], -v[73:74]
	scratch_load_b128 v[71:74], off, off offset:352
	v_add_f64_e32 v[6:7], v[6:7], v[117:118]
	v_add_f64_e32 v[2:3], v[2:3], v[119:120]
	v_fma_f64 v[117:118], v[69:70], v[75:76], v[121:122]
	v_fma_f64 v[119:120], v[67:68], v[75:76], -v[77:78]
	ds_load_b128 v[67:70], v1 offset:624
	s_wait_loadcnt_dscnt 0x901
	v_mul_f64_e32 v[115:116], v[103:104], v[81:82]
	v_mul_f64_e32 v[81:82], v[105:106], v[81:82]
	scratch_load_b128 v[75:78], off, off offset:368
	s_wait_loadcnt_dscnt 0x900
	v_mul_f64_e32 v[121:122], v[67:68], v[85:86]
	v_mul_f64_e32 v[85:86], v[69:70], v[85:86]
	v_add_f64_e32 v[6:7], v[6:7], v[113:114]
	v_add_f64_e32 v[2:3], v[2:3], v[111:112]
	ds_load_b128 v[111:114], v1 offset:640
	v_fma_f64 v[105:106], v[105:106], v[79:80], v[115:116]
	v_fma_f64 v[103:104], v[103:104], v[79:80], -v[81:82]
	scratch_load_b128 v[79:82], off, off offset:384
	v_add_f64_e32 v[6:7], v[6:7], v[117:118]
	v_add_f64_e32 v[2:3], v[2:3], v[119:120]
	v_fma_f64 v[117:118], v[69:70], v[83:84], v[121:122]
	v_fma_f64 v[119:120], v[67:68], v[83:84], -v[85:86]
	ds_load_b128 v[67:70], v1 offset:656
	s_wait_loadcnt_dscnt 0x901
	v_mul_f64_e32 v[115:116], v[111:112], v[89:90]
	v_mul_f64_e32 v[89:90], v[113:114], v[89:90]
	scratch_load_b128 v[83:86], off, off offset:400
	s_wait_loadcnt_dscnt 0x900
	v_mul_f64_e32 v[121:122], v[67:68], v[97:98]
	v_mul_f64_e32 v[97:98], v[69:70], v[97:98]
	v_add_f64_e32 v[6:7], v[6:7], v[105:106]
	v_add_f64_e32 v[2:3], v[2:3], v[103:104]
	ds_load_b128 v[103:106], v1 offset:672
	v_fma_f64 v[113:114], v[113:114], v[87:88], v[115:116]
	v_fma_f64 v[87:88], v[111:112], v[87:88], -v[89:90]
	v_fma_f64 v[115:116], v[69:70], v[95:96], v[121:122]
	v_fma_f64 v[95:96], v[67:68], v[95:96], -v[97:98]
	v_add_f64_e32 v[6:7], v[6:7], v[117:118]
	v_add_f64_e32 v[2:3], v[2:3], v[119:120]
	s_wait_loadcnt_dscnt 0x700
	v_mul_f64_e32 v[111:112], v[103:104], v[10:11]
	v_mul_f64_e32 v[10:11], v[105:106], v[10:11]
	s_delay_alu instid0(VALU_DEP_4) | instskip(NEXT) | instid1(VALU_DEP_4)
	v_add_f64_e32 v[6:7], v[6:7], v[113:114]
	v_add_f64_e32 v[2:3], v[2:3], v[87:88]
	ds_load_b128 v[67:70], v1 offset:688
	ds_load_b128 v[87:90], v1 offset:704
	v_fma_f64 v[105:106], v[105:106], v[8:9], v[111:112]
	v_fma_f64 v[8:9], v[103:104], v[8:9], -v[10:11]
	s_wait_loadcnt_dscnt 0x601
	v_mul_f64_e32 v[97:98], v[67:68], v[109:110]
	v_mul_f64_e32 v[109:110], v[69:70], v[109:110]
	v_add_f64_e32 v[6:7], v[6:7], v[115:116]
	v_add_f64_e32 v[2:3], v[2:3], v[95:96]
	s_wait_loadcnt_dscnt 0x500
	v_mul_f64_e32 v[10:11], v[87:88], v[65:66]
	v_mul_f64_e32 v[95:96], v[89:90], v[65:66]
	v_fma_f64 v[69:70], v[69:70], v[107:108], v[97:98]
	v_fma_f64 v[97:98], v[67:68], v[107:108], -v[109:110]
	v_add_f64_e32 v[103:104], v[6:7], v[105:106]
	v_add_f64_e32 v[2:3], v[2:3], v[8:9]
	ds_load_b128 v[6:9], v1 offset:720
	ds_load_b128 v[65:68], v1 offset:736
	v_fma_f64 v[10:11], v[89:90], v[63:64], v[10:11]
	v_fma_f64 v[63:64], v[87:88], v[63:64], -v[95:96]
	s_wait_loadcnt_dscnt 0x401
	v_mul_f64_e32 v[105:106], v[6:7], v[93:94]
	v_mul_f64_e32 v[93:94], v[8:9], v[93:94]
	v_add_f64_e32 v[69:70], v[103:104], v[69:70]
	v_add_f64_e32 v[2:3], v[2:3], v[97:98]
	s_wait_loadcnt_dscnt 0x300
	v_mul_f64_e32 v[95:96], v[65:66], v[73:74]
	v_mul_f64_e32 v[73:74], v[67:68], v[73:74]
	v_fma_f64 v[97:98], v[8:9], v[91:92], v[105:106]
	v_fma_f64 v[91:92], v[6:7], v[91:92], -v[93:94]
	ds_load_b128 v[6:9], v1 offset:752
	ds_load_b128 v[87:90], v1 offset:768
	v_add_f64_e32 v[10:11], v[69:70], v[10:11]
	v_add_f64_e32 v[2:3], v[2:3], v[63:64]
	v_fma_f64 v[67:68], v[67:68], v[71:72], v[95:96]
	v_fma_f64 v[65:66], v[65:66], v[71:72], -v[73:74]
	s_wait_loadcnt_dscnt 0x201
	v_mul_f64_e32 v[63:64], v[6:7], v[77:78]
	v_mul_f64_e32 v[69:70], v[8:9], v[77:78]
	s_wait_loadcnt_dscnt 0x100
	v_mul_f64_e32 v[71:72], v[87:88], v[81:82]
	v_mul_f64_e32 v[73:74], v[89:90], v[81:82]
	v_add_f64_e32 v[10:11], v[10:11], v[97:98]
	v_add_f64_e32 v[2:3], v[2:3], v[91:92]
	v_fma_f64 v[63:64], v[8:9], v[75:76], v[63:64]
	v_fma_f64 v[69:70], v[6:7], v[75:76], -v[69:70]
	ds_load_b128 v[6:9], v1 offset:784
	v_fma_f64 v[71:72], v[89:90], v[79:80], v[71:72]
	v_fma_f64 v[73:74], v[87:88], v[79:80], -v[73:74]
	v_add_f64_e32 v[10:11], v[10:11], v[67:68]
	v_add_f64_e32 v[2:3], v[2:3], v[65:66]
	s_wait_loadcnt_dscnt 0x0
	v_mul_f64_e32 v[65:66], v[6:7], v[85:86]
	v_mul_f64_e32 v[67:68], v[8:9], v[85:86]
	s_delay_alu instid0(VALU_DEP_4) | instskip(NEXT) | instid1(VALU_DEP_4)
	v_add_f64_e32 v[10:11], v[10:11], v[63:64]
	v_add_f64_e32 v[2:3], v[2:3], v[69:70]
	s_delay_alu instid0(VALU_DEP_4) | instskip(NEXT) | instid1(VALU_DEP_4)
	v_fma_f64 v[8:9], v[8:9], v[83:84], v[65:66]
	v_fma_f64 v[6:7], v[6:7], v[83:84], -v[67:68]
	s_delay_alu instid0(VALU_DEP_4) | instskip(NEXT) | instid1(VALU_DEP_4)
	v_add_f64_e32 v[10:11], v[10:11], v[71:72]
	v_add_f64_e32 v[2:3], v[2:3], v[73:74]
	s_delay_alu instid0(VALU_DEP_2) | instskip(NEXT) | instid1(VALU_DEP_2)
	v_add_f64_e32 v[8:9], v[10:11], v[8:9]
	v_add_f64_e32 v[2:3], v[2:3], v[6:7]
	s_delay_alu instid0(VALU_DEP_2) | instskip(NEXT) | instid1(VALU_DEP_2)
	v_add_f64_e64 v[8:9], v[101:102], -v[8:9]
	v_add_f64_e64 v[6:7], v[99:100], -v[2:3]
	scratch_store_b128 off, v[6:9], off offset:128
	v_cmpx_lt_u32_e32 6, v0
	s_cbranch_execz .LBB88_151
; %bb.150:
	scratch_load_b128 v[6:9], off, s5
	v_dual_mov_b32 v2, v1 :: v_dual_mov_b32 v3, v1
	v_mov_b32_e32 v4, v1
	scratch_store_b128 off, v[1:4], off offset:112
	s_wait_loadcnt 0x0
	ds_store_b128 v5, v[6:9]
.LBB88_151:
	s_wait_alu 0xfffe
	s_or_b32 exec_lo, exec_lo, s0
	s_wait_storecnt_dscnt 0x0
	s_barrier_signal -1
	s_barrier_wait -1
	global_inv scope:SCOPE_SE
	s_clause 0x8
	scratch_load_b128 v[6:9], off, off offset:128
	scratch_load_b128 v[63:66], off, off offset:144
	;; [unrolled: 1-line block ×9, first 2 shown]
	ds_load_b128 v[95:98], v1 offset:512
	ds_load_b128 v[99:102], v1 offset:528
	scratch_load_b128 v[103:106], off, off offset:112
	s_mov_b32 s0, exec_lo
	ds_load_b128 v[111:114], v1 offset:560
	s_wait_loadcnt_dscnt 0x902
	v_mul_f64_e32 v[2:3], v[97:98], v[8:9]
	v_mul_f64_e32 v[107:108], v[95:96], v[8:9]
	scratch_load_b128 v[8:11], off, off offset:272
	s_wait_loadcnt_dscnt 0x901
	v_mul_f64_e32 v[115:116], v[99:100], v[65:66]
	v_mul_f64_e32 v[65:66], v[101:102], v[65:66]
	v_fma_f64 v[2:3], v[95:96], v[6:7], -v[2:3]
	v_fma_f64 v[6:7], v[97:98], v[6:7], v[107:108]
	ds_load_b128 v[95:98], v1 offset:544
	scratch_load_b128 v[107:110], off, off offset:288
	v_fma_f64 v[101:102], v[101:102], v[63:64], v[115:116]
	v_fma_f64 v[99:100], v[99:100], v[63:64], -v[65:66]
	scratch_load_b128 v[63:66], off, off offset:304
	s_wait_loadcnt_dscnt 0x901
	v_mul_f64_e32 v[115:116], v[111:112], v[73:74]
	v_mul_f64_e32 v[73:74], v[113:114], v[73:74]
	s_wait_dscnt 0x0
	v_mul_f64_e32 v[117:118], v[95:96], v[69:70]
	v_mul_f64_e32 v[69:70], v[97:98], v[69:70]
	v_add_f64_e32 v[2:3], 0, v[2:3]
	v_add_f64_e32 v[6:7], 0, v[6:7]
	v_fma_f64 v[113:114], v[113:114], v[71:72], v[115:116]
	v_fma_f64 v[111:112], v[111:112], v[71:72], -v[73:74]
	scratch_load_b128 v[71:74], off, off offset:336
	v_fma_f64 v[117:118], v[97:98], v[67:68], v[117:118]
	v_fma_f64 v[119:120], v[95:96], v[67:68], -v[69:70]
	ds_load_b128 v[67:70], v1 offset:576
	scratch_load_b128 v[95:98], off, off offset:320
	v_add_f64_e32 v[2:3], v[2:3], v[99:100]
	v_add_f64_e32 v[6:7], v[6:7], v[101:102]
	ds_load_b128 v[99:102], v1 offset:592
	s_wait_loadcnt_dscnt 0xa01
	v_mul_f64_e32 v[121:122], v[67:68], v[77:78]
	v_mul_f64_e32 v[77:78], v[69:70], v[77:78]
	s_wait_loadcnt_dscnt 0x900
	v_mul_f64_e32 v[115:116], v[99:100], v[81:82]
	v_mul_f64_e32 v[81:82], v[101:102], v[81:82]
	v_add_f64_e32 v[2:3], v[2:3], v[119:120]
	v_add_f64_e32 v[6:7], v[6:7], v[117:118]
	v_fma_f64 v[117:118], v[69:70], v[75:76], v[121:122]
	v_fma_f64 v[119:120], v[67:68], v[75:76], -v[77:78]
	ds_load_b128 v[67:70], v1 offset:608
	scratch_load_b128 v[75:78], off, off offset:352
	v_fma_f64 v[101:102], v[101:102], v[79:80], v[115:116]
	v_fma_f64 v[99:100], v[99:100], v[79:80], -v[81:82]
	scratch_load_b128 v[79:82], off, off offset:368
	v_add_f64_e32 v[2:3], v[2:3], v[111:112]
	v_add_f64_e32 v[6:7], v[6:7], v[113:114]
	ds_load_b128 v[111:114], v1 offset:624
	s_wait_loadcnt_dscnt 0xa01
	v_mul_f64_e32 v[121:122], v[67:68], v[85:86]
	v_mul_f64_e32 v[85:86], v[69:70], v[85:86]
	s_wait_loadcnt_dscnt 0x900
	v_mul_f64_e32 v[115:116], v[111:112], v[89:90]
	v_mul_f64_e32 v[89:90], v[113:114], v[89:90]
	v_add_f64_e32 v[2:3], v[2:3], v[119:120]
	v_add_f64_e32 v[6:7], v[6:7], v[117:118]
	v_fma_f64 v[117:118], v[69:70], v[83:84], v[121:122]
	v_fma_f64 v[119:120], v[67:68], v[83:84], -v[85:86]
	ds_load_b128 v[67:70], v1 offset:640
	scratch_load_b128 v[83:86], off, off offset:384
	v_fma_f64 v[113:114], v[113:114], v[87:88], v[115:116]
	v_fma_f64 v[111:112], v[111:112], v[87:88], -v[89:90]
	scratch_load_b128 v[87:90], off, off offset:400
	v_add_f64_e32 v[2:3], v[2:3], v[99:100]
	v_add_f64_e32 v[6:7], v[6:7], v[101:102]
	ds_load_b128 v[99:102], v1 offset:656
	s_wait_loadcnt_dscnt 0xa01
	v_mul_f64_e32 v[121:122], v[67:68], v[93:94]
	v_mul_f64_e32 v[93:94], v[69:70], v[93:94]
	v_add_f64_e32 v[2:3], v[2:3], v[119:120]
	v_add_f64_e32 v[6:7], v[6:7], v[117:118]
	s_delay_alu instid0(VALU_DEP_4) | instskip(NEXT) | instid1(VALU_DEP_4)
	v_fma_f64 v[117:118], v[69:70], v[91:92], v[121:122]
	v_fma_f64 v[119:120], v[67:68], v[91:92], -v[93:94]
	ds_load_b128 v[67:70], v1 offset:672
	ds_load_b128 v[91:94], v1 offset:688
	s_wait_loadcnt_dscnt 0x802
	v_mul_f64_e32 v[115:116], v[99:100], v[10:11]
	v_mul_f64_e32 v[10:11], v[101:102], v[10:11]
	v_add_f64_e32 v[2:3], v[2:3], v[111:112]
	v_add_f64_e32 v[6:7], v[6:7], v[113:114]
	s_delay_alu instid0(VALU_DEP_4)
	v_fma_f64 v[101:102], v[101:102], v[8:9], v[115:116]
	s_wait_loadcnt_dscnt 0x701
	v_mul_f64_e32 v[111:112], v[67:68], v[109:110]
	v_mul_f64_e32 v[109:110], v[69:70], v[109:110]
	v_fma_f64 v[8:9], v[99:100], v[8:9], -v[10:11]
	s_wait_loadcnt_dscnt 0x600
	v_mul_f64_e32 v[10:11], v[91:92], v[65:66]
	v_mul_f64_e32 v[99:100], v[93:94], v[65:66]
	v_add_f64_e32 v[2:3], v[2:3], v[119:120]
	v_add_f64_e32 v[6:7], v[6:7], v[117:118]
	v_fma_f64 v[69:70], v[69:70], v[107:108], v[111:112]
	v_fma_f64 v[107:108], v[67:68], v[107:108], -v[109:110]
	v_fma_f64 v[10:11], v[93:94], v[63:64], v[10:11]
	v_fma_f64 v[63:64], v[91:92], v[63:64], -v[99:100]
	v_add_f64_e32 v[2:3], v[2:3], v[8:9]
	v_add_f64_e32 v[101:102], v[6:7], v[101:102]
	ds_load_b128 v[6:9], v1 offset:704
	ds_load_b128 v[65:68], v1 offset:720
	s_wait_loadcnt_dscnt 0x401
	v_mul_f64_e32 v[109:110], v[6:7], v[97:98]
	v_mul_f64_e32 v[97:98], v[8:9], v[97:98]
	s_wait_dscnt 0x0
	v_mul_f64_e32 v[99:100], v[65:66], v[73:74]
	v_mul_f64_e32 v[73:74], v[67:68], v[73:74]
	v_add_f64_e32 v[2:3], v[2:3], v[107:108]
	v_add_f64_e32 v[69:70], v[101:102], v[69:70]
	v_fma_f64 v[101:102], v[8:9], v[95:96], v[109:110]
	v_fma_f64 v[95:96], v[6:7], v[95:96], -v[97:98]
	ds_load_b128 v[6:9], v1 offset:736
	ds_load_b128 v[91:94], v1 offset:752
	v_fma_f64 v[67:68], v[67:68], v[71:72], v[99:100]
	v_fma_f64 v[65:66], v[65:66], v[71:72], -v[73:74]
	v_add_f64_e32 v[2:3], v[2:3], v[63:64]
	v_add_f64_e32 v[10:11], v[69:70], v[10:11]
	s_wait_loadcnt_dscnt 0x301
	v_mul_f64_e32 v[63:64], v[6:7], v[77:78]
	v_mul_f64_e32 v[69:70], v[8:9], v[77:78]
	s_wait_loadcnt_dscnt 0x200
	v_mul_f64_e32 v[71:72], v[91:92], v[81:82]
	v_mul_f64_e32 v[73:74], v[93:94], v[81:82]
	v_add_f64_e32 v[2:3], v[2:3], v[95:96]
	v_add_f64_e32 v[10:11], v[10:11], v[101:102]
	v_fma_f64 v[63:64], v[8:9], v[75:76], v[63:64]
	v_fma_f64 v[69:70], v[6:7], v[75:76], -v[69:70]
	v_fma_f64 v[71:72], v[93:94], v[79:80], v[71:72]
	v_fma_f64 v[73:74], v[91:92], v[79:80], -v[73:74]
	v_add_f64_e32 v[65:66], v[2:3], v[65:66]
	v_add_f64_e32 v[10:11], v[10:11], v[67:68]
	ds_load_b128 v[6:9], v1 offset:768
	ds_load_b128 v[1:4], v1 offset:784
	s_wait_loadcnt_dscnt 0x101
	v_mul_f64_e32 v[67:68], v[6:7], v[85:86]
	v_mul_f64_e32 v[75:76], v[8:9], v[85:86]
	v_add_f64_e32 v[65:66], v[65:66], v[69:70]
	v_add_f64_e32 v[10:11], v[10:11], v[63:64]
	s_wait_loadcnt_dscnt 0x0
	v_mul_f64_e32 v[63:64], v[1:2], v[89:90]
	v_mul_f64_e32 v[69:70], v[3:4], v[89:90]
	v_fma_f64 v[8:9], v[8:9], v[83:84], v[67:68]
	v_fma_f64 v[6:7], v[6:7], v[83:84], -v[75:76]
	v_add_f64_e32 v[65:66], v[65:66], v[73:74]
	v_add_f64_e32 v[10:11], v[10:11], v[71:72]
	v_fma_f64 v[3:4], v[3:4], v[87:88], v[63:64]
	v_fma_f64 v[1:2], v[1:2], v[87:88], -v[69:70]
	s_delay_alu instid0(VALU_DEP_4) | instskip(NEXT) | instid1(VALU_DEP_4)
	v_add_f64_e32 v[6:7], v[65:66], v[6:7]
	v_add_f64_e32 v[8:9], v[10:11], v[8:9]
	s_delay_alu instid0(VALU_DEP_2) | instskip(NEXT) | instid1(VALU_DEP_2)
	v_add_f64_e32 v[1:2], v[6:7], v[1:2]
	v_add_f64_e32 v[3:4], v[8:9], v[3:4]
	s_delay_alu instid0(VALU_DEP_2) | instskip(NEXT) | instid1(VALU_DEP_2)
	v_add_f64_e64 v[1:2], v[103:104], -v[1:2]
	v_add_f64_e64 v[3:4], v[105:106], -v[3:4]
	scratch_store_b128 off, v[1:4], off offset:112
	v_cmpx_lt_u32_e32 5, v0
	s_cbranch_execz .LBB88_153
; %bb.152:
	scratch_load_b128 v[1:4], off, s21
	v_mov_b32_e32 v6, 0
	s_delay_alu instid0(VALU_DEP_1)
	v_dual_mov_b32 v7, v6 :: v_dual_mov_b32 v8, v6
	v_mov_b32_e32 v9, v6
	scratch_store_b128 off, v[6:9], off offset:96
	s_wait_loadcnt 0x0
	ds_store_b128 v5, v[1:4]
.LBB88_153:
	s_wait_alu 0xfffe
	s_or_b32 exec_lo, exec_lo, s0
	s_wait_storecnt_dscnt 0x0
	s_barrier_signal -1
	s_barrier_wait -1
	global_inv scope:SCOPE_SE
	s_clause 0x7
	scratch_load_b128 v[6:9], off, off offset:112
	scratch_load_b128 v[63:66], off, off offset:128
	;; [unrolled: 1-line block ×8, first 2 shown]
	v_mov_b32_e32 v1, 0
	s_mov_b32 s0, exec_lo
	ds_load_b128 v[91:94], v1 offset:496
	s_clause 0x1
	scratch_load_b128 v[95:98], off, off offset:240
	scratch_load_b128 v[99:102], off, off offset:96
	ds_load_b128 v[103:106], v1 offset:512
	ds_load_b128 v[111:114], v1 offset:544
	s_wait_loadcnt_dscnt 0x902
	v_mul_f64_e32 v[2:3], v[93:94], v[8:9]
	v_mul_f64_e32 v[107:108], v[91:92], v[8:9]
	scratch_load_b128 v[8:11], off, off offset:256
	v_fma_f64 v[2:3], v[91:92], v[6:7], -v[2:3]
	v_fma_f64 v[6:7], v[93:94], v[6:7], v[107:108]
	ds_load_b128 v[91:94], v1 offset:528
	s_wait_loadcnt_dscnt 0x902
	v_mul_f64_e32 v[115:116], v[103:104], v[65:66]
	v_mul_f64_e32 v[65:66], v[105:106], v[65:66]
	scratch_load_b128 v[107:110], off, off offset:272
	s_wait_loadcnt_dscnt 0x900
	v_mul_f64_e32 v[117:118], v[91:92], v[69:70]
	v_mul_f64_e32 v[69:70], v[93:94], v[69:70]
	v_add_f64_e32 v[2:3], 0, v[2:3]
	v_add_f64_e32 v[6:7], 0, v[6:7]
	v_fma_f64 v[105:106], v[105:106], v[63:64], v[115:116]
	v_fma_f64 v[103:104], v[103:104], v[63:64], -v[65:66]
	scratch_load_b128 v[63:66], off, off offset:288
	v_fma_f64 v[117:118], v[93:94], v[67:68], v[117:118]
	v_fma_f64 v[119:120], v[91:92], v[67:68], -v[69:70]
	ds_load_b128 v[67:70], v1 offset:560
	s_wait_loadcnt 0x9
	v_mul_f64_e32 v[115:116], v[111:112], v[73:74]
	v_mul_f64_e32 v[73:74], v[113:114], v[73:74]
	scratch_load_b128 v[91:94], off, off offset:304
	v_add_f64_e32 v[6:7], v[6:7], v[105:106]
	v_add_f64_e32 v[2:3], v[2:3], v[103:104]
	ds_load_b128 v[103:106], v1 offset:576
	s_wait_loadcnt_dscnt 0x901
	v_mul_f64_e32 v[121:122], v[67:68], v[77:78]
	v_mul_f64_e32 v[77:78], v[69:70], v[77:78]
	v_fma_f64 v[113:114], v[113:114], v[71:72], v[115:116]
	v_fma_f64 v[111:112], v[111:112], v[71:72], -v[73:74]
	scratch_load_b128 v[71:74], off, off offset:320
	v_add_f64_e32 v[6:7], v[6:7], v[117:118]
	v_add_f64_e32 v[2:3], v[2:3], v[119:120]
	v_fma_f64 v[117:118], v[69:70], v[75:76], v[121:122]
	v_fma_f64 v[119:120], v[67:68], v[75:76], -v[77:78]
	ds_load_b128 v[67:70], v1 offset:592
	s_wait_loadcnt_dscnt 0x901
	v_mul_f64_e32 v[115:116], v[103:104], v[81:82]
	v_mul_f64_e32 v[81:82], v[105:106], v[81:82]
	scratch_load_b128 v[75:78], off, off offset:336
	s_wait_loadcnt_dscnt 0x900
	v_mul_f64_e32 v[121:122], v[67:68], v[85:86]
	v_mul_f64_e32 v[85:86], v[69:70], v[85:86]
	v_add_f64_e32 v[6:7], v[6:7], v[113:114]
	v_add_f64_e32 v[2:3], v[2:3], v[111:112]
	ds_load_b128 v[111:114], v1 offset:608
	v_fma_f64 v[105:106], v[105:106], v[79:80], v[115:116]
	v_fma_f64 v[103:104], v[103:104], v[79:80], -v[81:82]
	scratch_load_b128 v[79:82], off, off offset:352
	v_add_f64_e32 v[6:7], v[6:7], v[117:118]
	v_add_f64_e32 v[2:3], v[2:3], v[119:120]
	v_fma_f64 v[117:118], v[69:70], v[83:84], v[121:122]
	v_fma_f64 v[119:120], v[67:68], v[83:84], -v[85:86]
	ds_load_b128 v[67:70], v1 offset:624
	s_wait_loadcnt_dscnt 0x901
	v_mul_f64_e32 v[115:116], v[111:112], v[89:90]
	v_mul_f64_e32 v[89:90], v[113:114], v[89:90]
	scratch_load_b128 v[83:86], off, off offset:368
	s_wait_loadcnt_dscnt 0x900
	v_mul_f64_e32 v[121:122], v[67:68], v[97:98]
	v_mul_f64_e32 v[97:98], v[69:70], v[97:98]
	v_add_f64_e32 v[6:7], v[6:7], v[105:106]
	v_add_f64_e32 v[2:3], v[2:3], v[103:104]
	ds_load_b128 v[103:106], v1 offset:640
	v_fma_f64 v[113:114], v[113:114], v[87:88], v[115:116]
	v_fma_f64 v[111:112], v[111:112], v[87:88], -v[89:90]
	scratch_load_b128 v[87:90], off, off offset:384
	v_add_f64_e32 v[6:7], v[6:7], v[117:118]
	v_add_f64_e32 v[2:3], v[2:3], v[119:120]
	v_fma_f64 v[117:118], v[69:70], v[95:96], v[121:122]
	v_fma_f64 v[119:120], v[67:68], v[95:96], -v[97:98]
	ds_load_b128 v[67:70], v1 offset:656
	scratch_load_b128 v[95:98], off, off offset:400
	s_wait_loadcnt_dscnt 0x901
	v_mul_f64_e32 v[115:116], v[103:104], v[10:11]
	v_mul_f64_e32 v[10:11], v[105:106], v[10:11]
	v_add_f64_e32 v[6:7], v[6:7], v[113:114]
	v_add_f64_e32 v[2:3], v[2:3], v[111:112]
	ds_load_b128 v[111:114], v1 offset:672
	v_fma_f64 v[105:106], v[105:106], v[8:9], v[115:116]
	v_fma_f64 v[8:9], v[103:104], v[8:9], -v[10:11]
	s_wait_loadcnt_dscnt 0x801
	v_mul_f64_e32 v[121:122], v[67:68], v[109:110]
	v_mul_f64_e32 v[109:110], v[69:70], v[109:110]
	v_add_f64_e32 v[6:7], v[6:7], v[117:118]
	v_add_f64_e32 v[2:3], v[2:3], v[119:120]
	s_wait_loadcnt_dscnt 0x700
	v_mul_f64_e32 v[10:11], v[111:112], v[65:66]
	v_mul_f64_e32 v[103:104], v[113:114], v[65:66]
	v_fma_f64 v[69:70], v[69:70], v[107:108], v[121:122]
	v_fma_f64 v[107:108], v[67:68], v[107:108], -v[109:110]
	v_add_f64_e32 v[105:106], v[6:7], v[105:106]
	v_add_f64_e32 v[2:3], v[2:3], v[8:9]
	ds_load_b128 v[6:9], v1 offset:688
	ds_load_b128 v[65:68], v1 offset:704
	v_fma_f64 v[10:11], v[113:114], v[63:64], v[10:11]
	v_fma_f64 v[63:64], v[111:112], v[63:64], -v[103:104]
	s_wait_loadcnt_dscnt 0x601
	v_mul_f64_e32 v[109:110], v[6:7], v[93:94]
	v_mul_f64_e32 v[93:94], v[8:9], v[93:94]
	v_add_f64_e32 v[69:70], v[105:106], v[69:70]
	v_add_f64_e32 v[2:3], v[2:3], v[107:108]
	s_wait_loadcnt_dscnt 0x500
	v_mul_f64_e32 v[103:104], v[65:66], v[73:74]
	v_mul_f64_e32 v[73:74], v[67:68], v[73:74]
	v_fma_f64 v[105:106], v[8:9], v[91:92], v[109:110]
	v_fma_f64 v[107:108], v[6:7], v[91:92], -v[93:94]
	ds_load_b128 v[6:9], v1 offset:720
	ds_load_b128 v[91:94], v1 offset:736
	v_add_f64_e32 v[10:11], v[69:70], v[10:11]
	v_add_f64_e32 v[2:3], v[2:3], v[63:64]
	v_fma_f64 v[67:68], v[67:68], v[71:72], v[103:104]
	v_fma_f64 v[65:66], v[65:66], v[71:72], -v[73:74]
	s_wait_loadcnt_dscnt 0x401
	v_mul_f64_e32 v[63:64], v[6:7], v[77:78]
	v_mul_f64_e32 v[69:70], v[8:9], v[77:78]
	s_wait_loadcnt_dscnt 0x300
	v_mul_f64_e32 v[71:72], v[91:92], v[81:82]
	v_mul_f64_e32 v[73:74], v[93:94], v[81:82]
	v_add_f64_e32 v[10:11], v[10:11], v[105:106]
	v_add_f64_e32 v[2:3], v[2:3], v[107:108]
	v_fma_f64 v[77:78], v[8:9], v[75:76], v[63:64]
	v_fma_f64 v[69:70], v[6:7], v[75:76], -v[69:70]
	v_fma_f64 v[71:72], v[93:94], v[79:80], v[71:72]
	v_fma_f64 v[73:74], v[91:92], v[79:80], -v[73:74]
	v_add_f64_e32 v[10:11], v[10:11], v[67:68]
	v_add_f64_e32 v[2:3], v[2:3], v[65:66]
	ds_load_b128 v[6:9], v1 offset:752
	ds_load_b128 v[63:66], v1 offset:768
	s_wait_loadcnt_dscnt 0x201
	v_mul_f64_e32 v[67:68], v[6:7], v[85:86]
	v_mul_f64_e32 v[75:76], v[8:9], v[85:86]
	v_add_f64_e32 v[10:11], v[10:11], v[77:78]
	v_add_f64_e32 v[2:3], v[2:3], v[69:70]
	s_wait_loadcnt_dscnt 0x100
	v_mul_f64_e32 v[69:70], v[63:64], v[89:90]
	v_mul_f64_e32 v[77:78], v[65:66], v[89:90]
	v_fma_f64 v[67:68], v[8:9], v[83:84], v[67:68]
	v_fma_f64 v[75:76], v[6:7], v[83:84], -v[75:76]
	ds_load_b128 v[6:9], v1 offset:784
	v_add_f64_e32 v[10:11], v[10:11], v[71:72]
	v_add_f64_e32 v[2:3], v[2:3], v[73:74]
	v_fma_f64 v[65:66], v[65:66], v[87:88], v[69:70]
	v_fma_f64 v[63:64], v[63:64], v[87:88], -v[77:78]
	s_wait_loadcnt_dscnt 0x0
	v_mul_f64_e32 v[71:72], v[6:7], v[97:98]
	v_mul_f64_e32 v[73:74], v[8:9], v[97:98]
	v_add_f64_e32 v[10:11], v[10:11], v[67:68]
	v_add_f64_e32 v[2:3], v[2:3], v[75:76]
	s_delay_alu instid0(VALU_DEP_4) | instskip(NEXT) | instid1(VALU_DEP_4)
	v_fma_f64 v[8:9], v[8:9], v[95:96], v[71:72]
	v_fma_f64 v[6:7], v[6:7], v[95:96], -v[73:74]
	s_delay_alu instid0(VALU_DEP_4) | instskip(NEXT) | instid1(VALU_DEP_4)
	v_add_f64_e32 v[10:11], v[10:11], v[65:66]
	v_add_f64_e32 v[2:3], v[2:3], v[63:64]
	s_delay_alu instid0(VALU_DEP_2) | instskip(NEXT) | instid1(VALU_DEP_2)
	v_add_f64_e32 v[8:9], v[10:11], v[8:9]
	v_add_f64_e32 v[2:3], v[2:3], v[6:7]
	s_delay_alu instid0(VALU_DEP_2) | instskip(NEXT) | instid1(VALU_DEP_2)
	v_add_f64_e64 v[8:9], v[101:102], -v[8:9]
	v_add_f64_e64 v[6:7], v[99:100], -v[2:3]
	scratch_store_b128 off, v[6:9], off offset:96
	v_cmpx_lt_u32_e32 4, v0
	s_cbranch_execz .LBB88_155
; %bb.154:
	scratch_load_b128 v[6:9], off, s4
	v_dual_mov_b32 v2, v1 :: v_dual_mov_b32 v3, v1
	v_mov_b32_e32 v4, v1
	scratch_store_b128 off, v[1:4], off offset:80
	s_wait_loadcnt 0x0
	ds_store_b128 v5, v[6:9]
.LBB88_155:
	s_wait_alu 0xfffe
	s_or_b32 exec_lo, exec_lo, s0
	s_wait_storecnt_dscnt 0x0
	s_barrier_signal -1
	s_barrier_wait -1
	global_inv scope:SCOPE_SE
	s_clause 0x8
	scratch_load_b128 v[6:9], off, off offset:96
	scratch_load_b128 v[63:66], off, off offset:112
	;; [unrolled: 1-line block ×9, first 2 shown]
	ds_load_b128 v[95:98], v1 offset:480
	ds_load_b128 v[99:102], v1 offset:496
	scratch_load_b128 v[103:106], off, off offset:80
	s_mov_b32 s0, exec_lo
	ds_load_b128 v[111:114], v1 offset:528
	s_wait_loadcnt_dscnt 0x902
	v_mul_f64_e32 v[2:3], v[97:98], v[8:9]
	v_mul_f64_e32 v[107:108], v[95:96], v[8:9]
	scratch_load_b128 v[8:11], off, off offset:240
	s_wait_loadcnt_dscnt 0x901
	v_mul_f64_e32 v[115:116], v[99:100], v[65:66]
	v_mul_f64_e32 v[65:66], v[101:102], v[65:66]
	v_fma_f64 v[2:3], v[95:96], v[6:7], -v[2:3]
	v_fma_f64 v[6:7], v[97:98], v[6:7], v[107:108]
	ds_load_b128 v[95:98], v1 offset:512
	scratch_load_b128 v[107:110], off, off offset:256
	v_fma_f64 v[101:102], v[101:102], v[63:64], v[115:116]
	v_fma_f64 v[99:100], v[99:100], v[63:64], -v[65:66]
	scratch_load_b128 v[63:66], off, off offset:272
	s_wait_loadcnt_dscnt 0x901
	v_mul_f64_e32 v[115:116], v[111:112], v[73:74]
	v_mul_f64_e32 v[73:74], v[113:114], v[73:74]
	s_wait_dscnt 0x0
	v_mul_f64_e32 v[117:118], v[95:96], v[69:70]
	v_mul_f64_e32 v[69:70], v[97:98], v[69:70]
	v_add_f64_e32 v[2:3], 0, v[2:3]
	v_add_f64_e32 v[6:7], 0, v[6:7]
	v_fma_f64 v[113:114], v[113:114], v[71:72], v[115:116]
	v_fma_f64 v[111:112], v[111:112], v[71:72], -v[73:74]
	scratch_load_b128 v[71:74], off, off offset:304
	v_fma_f64 v[117:118], v[97:98], v[67:68], v[117:118]
	v_fma_f64 v[119:120], v[95:96], v[67:68], -v[69:70]
	ds_load_b128 v[67:70], v1 offset:544
	scratch_load_b128 v[95:98], off, off offset:288
	v_add_f64_e32 v[2:3], v[2:3], v[99:100]
	v_add_f64_e32 v[6:7], v[6:7], v[101:102]
	ds_load_b128 v[99:102], v1 offset:560
	s_wait_loadcnt_dscnt 0xa01
	v_mul_f64_e32 v[121:122], v[67:68], v[77:78]
	v_mul_f64_e32 v[77:78], v[69:70], v[77:78]
	s_wait_loadcnt_dscnt 0x900
	v_mul_f64_e32 v[115:116], v[99:100], v[81:82]
	v_mul_f64_e32 v[81:82], v[101:102], v[81:82]
	v_add_f64_e32 v[2:3], v[2:3], v[119:120]
	v_add_f64_e32 v[6:7], v[6:7], v[117:118]
	v_fma_f64 v[117:118], v[69:70], v[75:76], v[121:122]
	v_fma_f64 v[119:120], v[67:68], v[75:76], -v[77:78]
	ds_load_b128 v[67:70], v1 offset:576
	scratch_load_b128 v[75:78], off, off offset:320
	v_fma_f64 v[101:102], v[101:102], v[79:80], v[115:116]
	v_fma_f64 v[99:100], v[99:100], v[79:80], -v[81:82]
	scratch_load_b128 v[79:82], off, off offset:336
	v_add_f64_e32 v[2:3], v[2:3], v[111:112]
	v_add_f64_e32 v[6:7], v[6:7], v[113:114]
	ds_load_b128 v[111:114], v1 offset:592
	s_wait_loadcnt_dscnt 0xa01
	v_mul_f64_e32 v[121:122], v[67:68], v[85:86]
	v_mul_f64_e32 v[85:86], v[69:70], v[85:86]
	s_wait_loadcnt_dscnt 0x900
	v_mul_f64_e32 v[115:116], v[111:112], v[89:90]
	v_mul_f64_e32 v[89:90], v[113:114], v[89:90]
	v_add_f64_e32 v[2:3], v[2:3], v[119:120]
	v_add_f64_e32 v[6:7], v[6:7], v[117:118]
	v_fma_f64 v[117:118], v[69:70], v[83:84], v[121:122]
	v_fma_f64 v[119:120], v[67:68], v[83:84], -v[85:86]
	ds_load_b128 v[67:70], v1 offset:608
	scratch_load_b128 v[83:86], off, off offset:352
	v_fma_f64 v[113:114], v[113:114], v[87:88], v[115:116]
	v_fma_f64 v[111:112], v[111:112], v[87:88], -v[89:90]
	scratch_load_b128 v[87:90], off, off offset:368
	v_add_f64_e32 v[2:3], v[2:3], v[99:100]
	v_add_f64_e32 v[6:7], v[6:7], v[101:102]
	ds_load_b128 v[99:102], v1 offset:624
	s_wait_loadcnt_dscnt 0xa01
	v_mul_f64_e32 v[121:122], v[67:68], v[93:94]
	v_mul_f64_e32 v[93:94], v[69:70], v[93:94]
	v_add_f64_e32 v[2:3], v[2:3], v[119:120]
	v_add_f64_e32 v[6:7], v[6:7], v[117:118]
	s_delay_alu instid0(VALU_DEP_4) | instskip(NEXT) | instid1(VALU_DEP_4)
	v_fma_f64 v[117:118], v[69:70], v[91:92], v[121:122]
	v_fma_f64 v[119:120], v[67:68], v[91:92], -v[93:94]
	ds_load_b128 v[67:70], v1 offset:640
	scratch_load_b128 v[91:94], off, off offset:384
	s_wait_loadcnt_dscnt 0x901
	v_mul_f64_e32 v[115:116], v[99:100], v[10:11]
	v_mul_f64_e32 v[10:11], v[101:102], v[10:11]
	v_add_f64_e32 v[2:3], v[2:3], v[111:112]
	v_add_f64_e32 v[6:7], v[6:7], v[113:114]
	ds_load_b128 v[111:114], v1 offset:656
	v_fma_f64 v[101:102], v[101:102], v[8:9], v[115:116]
	s_wait_loadcnt_dscnt 0x801
	v_mul_f64_e32 v[121:122], v[67:68], v[109:110]
	v_mul_f64_e32 v[109:110], v[69:70], v[109:110]
	v_fma_f64 v[10:11], v[99:100], v[8:9], -v[10:11]
	s_wait_loadcnt_dscnt 0x700
	v_mul_f64_e32 v[115:116], v[111:112], v[65:66]
	v_add_f64_e32 v[2:3], v[2:3], v[119:120]
	v_add_f64_e32 v[99:100], v[6:7], v[117:118]
	scratch_load_b128 v[6:9], off, off offset:400
	v_mul_f64_e32 v[117:118], v[113:114], v[65:66]
	v_fma_f64 v[69:70], v[69:70], v[107:108], v[121:122]
	v_fma_f64 v[107:108], v[67:68], v[107:108], -v[109:110]
	v_fma_f64 v[113:114], v[113:114], v[63:64], v[115:116]
	v_add_f64_e32 v[2:3], v[2:3], v[10:11]
	v_add_f64_e32 v[10:11], v[99:100], v[101:102]
	ds_load_b128 v[65:68], v1 offset:672
	ds_load_b128 v[99:102], v1 offset:688
	v_fma_f64 v[63:64], v[111:112], v[63:64], -v[117:118]
	s_wait_loadcnt_dscnt 0x601
	v_mul_f64_e32 v[109:110], v[65:66], v[97:98]
	v_mul_f64_e32 v[97:98], v[67:68], v[97:98]
	v_add_f64_e32 v[2:3], v[2:3], v[107:108]
	v_add_f64_e32 v[10:11], v[10:11], v[69:70]
	s_wait_dscnt 0x0
	v_mul_f64_e32 v[107:108], v[99:100], v[73:74]
	v_mul_f64_e32 v[73:74], v[101:102], v[73:74]
	v_fma_f64 v[109:110], v[67:68], v[95:96], v[109:110]
	v_fma_f64 v[95:96], v[65:66], v[95:96], -v[97:98]
	v_add_f64_e32 v[2:3], v[2:3], v[63:64]
	v_add_f64_e32 v[10:11], v[10:11], v[113:114]
	ds_load_b128 v[63:66], v1 offset:704
	ds_load_b128 v[67:70], v1 offset:720
	v_fma_f64 v[101:102], v[101:102], v[71:72], v[107:108]
	v_fma_f64 v[71:72], v[99:100], v[71:72], -v[73:74]
	s_wait_loadcnt_dscnt 0x501
	v_mul_f64_e32 v[97:98], v[63:64], v[77:78]
	v_mul_f64_e32 v[77:78], v[65:66], v[77:78]
	v_add_f64_e32 v[2:3], v[2:3], v[95:96]
	v_add_f64_e32 v[10:11], v[10:11], v[109:110]
	s_wait_loadcnt_dscnt 0x400
	v_mul_f64_e32 v[95:96], v[67:68], v[81:82]
	v_mul_f64_e32 v[81:82], v[69:70], v[81:82]
	v_fma_f64 v[97:98], v[65:66], v[75:76], v[97:98]
	v_fma_f64 v[75:76], v[63:64], v[75:76], -v[77:78]
	v_add_f64_e32 v[2:3], v[2:3], v[71:72]
	v_add_f64_e32 v[10:11], v[10:11], v[101:102]
	ds_load_b128 v[63:66], v1 offset:736
	ds_load_b128 v[71:74], v1 offset:752
	v_fma_f64 v[69:70], v[69:70], v[79:80], v[95:96]
	v_fma_f64 v[67:68], v[67:68], v[79:80], -v[81:82]
	s_wait_loadcnt_dscnt 0x301
	v_mul_f64_e32 v[77:78], v[63:64], v[85:86]
	v_mul_f64_e32 v[85:86], v[65:66], v[85:86]
	s_wait_loadcnt_dscnt 0x200
	v_mul_f64_e32 v[79:80], v[73:74], v[89:90]
	v_add_f64_e32 v[2:3], v[2:3], v[75:76]
	v_add_f64_e32 v[10:11], v[10:11], v[97:98]
	v_mul_f64_e32 v[75:76], v[71:72], v[89:90]
	v_fma_f64 v[77:78], v[65:66], v[83:84], v[77:78]
	v_fma_f64 v[81:82], v[63:64], v[83:84], -v[85:86]
	v_fma_f64 v[71:72], v[71:72], v[87:88], -v[79:80]
	v_add_f64_e32 v[67:68], v[2:3], v[67:68]
	v_add_f64_e32 v[10:11], v[10:11], v[69:70]
	ds_load_b128 v[63:66], v1 offset:768
	ds_load_b128 v[1:4], v1 offset:784
	v_fma_f64 v[73:74], v[73:74], v[87:88], v[75:76]
	s_wait_loadcnt_dscnt 0x101
	v_mul_f64_e32 v[69:70], v[63:64], v[93:94]
	v_mul_f64_e32 v[83:84], v[65:66], v[93:94]
	v_add_f64_e32 v[67:68], v[67:68], v[81:82]
	v_add_f64_e32 v[10:11], v[10:11], v[77:78]
	s_wait_loadcnt_dscnt 0x0
	v_mul_f64_e32 v[75:76], v[1:2], v[8:9]
	v_mul_f64_e32 v[8:9], v[3:4], v[8:9]
	v_fma_f64 v[65:66], v[65:66], v[91:92], v[69:70]
	v_fma_f64 v[63:64], v[63:64], v[91:92], -v[83:84]
	v_add_f64_e32 v[67:68], v[67:68], v[71:72]
	v_add_f64_e32 v[10:11], v[10:11], v[73:74]
	v_fma_f64 v[3:4], v[3:4], v[6:7], v[75:76]
	v_fma_f64 v[1:2], v[1:2], v[6:7], -v[8:9]
	s_delay_alu instid0(VALU_DEP_4) | instskip(NEXT) | instid1(VALU_DEP_4)
	v_add_f64_e32 v[6:7], v[67:68], v[63:64]
	v_add_f64_e32 v[8:9], v[10:11], v[65:66]
	s_delay_alu instid0(VALU_DEP_2) | instskip(NEXT) | instid1(VALU_DEP_2)
	v_add_f64_e32 v[1:2], v[6:7], v[1:2]
	v_add_f64_e32 v[3:4], v[8:9], v[3:4]
	s_delay_alu instid0(VALU_DEP_2) | instskip(NEXT) | instid1(VALU_DEP_2)
	v_add_f64_e64 v[1:2], v[103:104], -v[1:2]
	v_add_f64_e64 v[3:4], v[105:106], -v[3:4]
	scratch_store_b128 off, v[1:4], off offset:80
	v_cmpx_lt_u32_e32 3, v0
	s_cbranch_execz .LBB88_157
; %bb.156:
	scratch_load_b128 v[1:4], off, s20
	v_mov_b32_e32 v6, 0
	s_delay_alu instid0(VALU_DEP_1)
	v_dual_mov_b32 v7, v6 :: v_dual_mov_b32 v8, v6
	v_mov_b32_e32 v9, v6
	scratch_store_b128 off, v[6:9], off offset:64
	s_wait_loadcnt 0x0
	ds_store_b128 v5, v[1:4]
.LBB88_157:
	s_wait_alu 0xfffe
	s_or_b32 exec_lo, exec_lo, s0
	s_wait_storecnt_dscnt 0x0
	s_barrier_signal -1
	s_barrier_wait -1
	global_inv scope:SCOPE_SE
	s_clause 0x7
	scratch_load_b128 v[6:9], off, off offset:80
	scratch_load_b128 v[63:66], off, off offset:96
	scratch_load_b128 v[67:70], off, off offset:112
	scratch_load_b128 v[71:74], off, off offset:128
	scratch_load_b128 v[75:78], off, off offset:144
	scratch_load_b128 v[79:82], off, off offset:160
	scratch_load_b128 v[83:86], off, off offset:176
	scratch_load_b128 v[87:90], off, off offset:192
	v_mov_b32_e32 v1, 0
	s_mov_b32 s0, exec_lo
	ds_load_b128 v[91:94], v1 offset:464
	s_clause 0x1
	scratch_load_b128 v[95:98], off, off offset:208
	scratch_load_b128 v[99:102], off, off offset:64
	ds_load_b128 v[103:106], v1 offset:480
	ds_load_b128 v[111:114], v1 offset:512
	s_wait_loadcnt_dscnt 0x902
	v_mul_f64_e32 v[2:3], v[93:94], v[8:9]
	v_mul_f64_e32 v[107:108], v[91:92], v[8:9]
	scratch_load_b128 v[8:11], off, off offset:224
	v_fma_f64 v[2:3], v[91:92], v[6:7], -v[2:3]
	v_fma_f64 v[6:7], v[93:94], v[6:7], v[107:108]
	ds_load_b128 v[91:94], v1 offset:496
	s_wait_loadcnt_dscnt 0x902
	v_mul_f64_e32 v[115:116], v[103:104], v[65:66]
	v_mul_f64_e32 v[65:66], v[105:106], v[65:66]
	scratch_load_b128 v[107:110], off, off offset:240
	s_wait_loadcnt_dscnt 0x900
	v_mul_f64_e32 v[117:118], v[91:92], v[69:70]
	v_mul_f64_e32 v[69:70], v[93:94], v[69:70]
	v_add_f64_e32 v[2:3], 0, v[2:3]
	v_add_f64_e32 v[6:7], 0, v[6:7]
	v_fma_f64 v[105:106], v[105:106], v[63:64], v[115:116]
	v_fma_f64 v[103:104], v[103:104], v[63:64], -v[65:66]
	scratch_load_b128 v[63:66], off, off offset:256
	v_fma_f64 v[117:118], v[93:94], v[67:68], v[117:118]
	v_fma_f64 v[119:120], v[91:92], v[67:68], -v[69:70]
	ds_load_b128 v[67:70], v1 offset:528
	s_wait_loadcnt 0x9
	v_mul_f64_e32 v[115:116], v[111:112], v[73:74]
	v_mul_f64_e32 v[73:74], v[113:114], v[73:74]
	scratch_load_b128 v[91:94], off, off offset:272
	v_add_f64_e32 v[6:7], v[6:7], v[105:106]
	v_add_f64_e32 v[2:3], v[2:3], v[103:104]
	ds_load_b128 v[103:106], v1 offset:544
	s_wait_loadcnt_dscnt 0x901
	v_mul_f64_e32 v[121:122], v[67:68], v[77:78]
	v_mul_f64_e32 v[77:78], v[69:70], v[77:78]
	v_fma_f64 v[113:114], v[113:114], v[71:72], v[115:116]
	v_fma_f64 v[111:112], v[111:112], v[71:72], -v[73:74]
	scratch_load_b128 v[71:74], off, off offset:288
	v_add_f64_e32 v[6:7], v[6:7], v[117:118]
	v_add_f64_e32 v[2:3], v[2:3], v[119:120]
	v_fma_f64 v[117:118], v[69:70], v[75:76], v[121:122]
	v_fma_f64 v[119:120], v[67:68], v[75:76], -v[77:78]
	ds_load_b128 v[67:70], v1 offset:560
	s_wait_loadcnt_dscnt 0x901
	v_mul_f64_e32 v[115:116], v[103:104], v[81:82]
	v_mul_f64_e32 v[81:82], v[105:106], v[81:82]
	scratch_load_b128 v[75:78], off, off offset:304
	s_wait_loadcnt_dscnt 0x900
	v_mul_f64_e32 v[121:122], v[67:68], v[85:86]
	v_mul_f64_e32 v[85:86], v[69:70], v[85:86]
	v_add_f64_e32 v[6:7], v[6:7], v[113:114]
	v_add_f64_e32 v[2:3], v[2:3], v[111:112]
	ds_load_b128 v[111:114], v1 offset:576
	v_fma_f64 v[105:106], v[105:106], v[79:80], v[115:116]
	v_fma_f64 v[103:104], v[103:104], v[79:80], -v[81:82]
	scratch_load_b128 v[79:82], off, off offset:320
	v_add_f64_e32 v[6:7], v[6:7], v[117:118]
	v_add_f64_e32 v[2:3], v[2:3], v[119:120]
	v_fma_f64 v[117:118], v[69:70], v[83:84], v[121:122]
	v_fma_f64 v[119:120], v[67:68], v[83:84], -v[85:86]
	ds_load_b128 v[67:70], v1 offset:592
	s_wait_loadcnt_dscnt 0x901
	v_mul_f64_e32 v[115:116], v[111:112], v[89:90]
	v_mul_f64_e32 v[89:90], v[113:114], v[89:90]
	scratch_load_b128 v[83:86], off, off offset:336
	s_wait_loadcnt_dscnt 0x900
	v_mul_f64_e32 v[121:122], v[67:68], v[97:98]
	v_mul_f64_e32 v[97:98], v[69:70], v[97:98]
	v_add_f64_e32 v[6:7], v[6:7], v[105:106]
	v_add_f64_e32 v[2:3], v[2:3], v[103:104]
	ds_load_b128 v[103:106], v1 offset:608
	v_fma_f64 v[113:114], v[113:114], v[87:88], v[115:116]
	v_fma_f64 v[111:112], v[111:112], v[87:88], -v[89:90]
	scratch_load_b128 v[87:90], off, off offset:352
	v_add_f64_e32 v[6:7], v[6:7], v[117:118]
	v_add_f64_e32 v[2:3], v[2:3], v[119:120]
	v_fma_f64 v[117:118], v[69:70], v[95:96], v[121:122]
	v_fma_f64 v[119:120], v[67:68], v[95:96], -v[97:98]
	ds_load_b128 v[67:70], v1 offset:624
	scratch_load_b128 v[95:98], off, off offset:368
	s_wait_loadcnt_dscnt 0x901
	v_mul_f64_e32 v[115:116], v[103:104], v[10:11]
	v_mul_f64_e32 v[10:11], v[105:106], v[10:11]
	v_add_f64_e32 v[6:7], v[6:7], v[113:114]
	v_add_f64_e32 v[2:3], v[2:3], v[111:112]
	ds_load_b128 v[111:114], v1 offset:640
	v_fma_f64 v[105:106], v[105:106], v[8:9], v[115:116]
	v_fma_f64 v[10:11], v[103:104], v[8:9], -v[10:11]
	s_wait_loadcnt_dscnt 0x801
	v_mul_f64_e32 v[121:122], v[67:68], v[109:110]
	v_mul_f64_e32 v[109:110], v[69:70], v[109:110]
	v_add_f64_e32 v[103:104], v[6:7], v[117:118]
	v_add_f64_e32 v[2:3], v[2:3], v[119:120]
	scratch_load_b128 v[6:9], off, off offset:384
	v_fma_f64 v[69:70], v[69:70], v[107:108], v[121:122]
	v_fma_f64 v[119:120], v[67:68], v[107:108], -v[109:110]
	ds_load_b128 v[107:110], v1 offset:672
	s_wait_loadcnt_dscnt 0x801
	v_mul_f64_e32 v[115:116], v[111:112], v[65:66]
	v_mul_f64_e32 v[117:118], v[113:114], v[65:66]
	ds_load_b128 v[65:68], v1 offset:656
	v_add_f64_e32 v[2:3], v[2:3], v[10:11]
	v_add_f64_e32 v[10:11], v[103:104], v[105:106]
	scratch_load_b128 v[103:106], off, off offset:400
	s_wait_loadcnt_dscnt 0x800
	v_mul_f64_e32 v[121:122], v[65:66], v[93:94]
	v_mul_f64_e32 v[93:94], v[67:68], v[93:94]
	v_fma_f64 v[113:114], v[113:114], v[63:64], v[115:116]
	v_fma_f64 v[63:64], v[111:112], v[63:64], -v[117:118]
	v_add_f64_e32 v[2:3], v[2:3], v[119:120]
	v_add_f64_e32 v[10:11], v[10:11], v[69:70]
	s_wait_loadcnt 0x7
	v_mul_f64_e32 v[111:112], v[107:108], v[73:74]
	v_mul_f64_e32 v[73:74], v[109:110], v[73:74]
	v_fma_f64 v[115:116], v[67:68], v[91:92], v[121:122]
	v_fma_f64 v[91:92], v[65:66], v[91:92], -v[93:94]
	v_add_f64_e32 v[2:3], v[2:3], v[63:64]
	v_add_f64_e32 v[10:11], v[10:11], v[113:114]
	ds_load_b128 v[63:66], v1 offset:688
	ds_load_b128 v[67:70], v1 offset:704
	v_fma_f64 v[109:110], v[109:110], v[71:72], v[111:112]
	v_fma_f64 v[71:72], v[107:108], v[71:72], -v[73:74]
	s_wait_loadcnt_dscnt 0x601
	v_mul_f64_e32 v[93:94], v[63:64], v[77:78]
	v_mul_f64_e32 v[77:78], v[65:66], v[77:78]
	v_add_f64_e32 v[2:3], v[2:3], v[91:92]
	v_add_f64_e32 v[10:11], v[10:11], v[115:116]
	s_wait_loadcnt_dscnt 0x500
	v_mul_f64_e32 v[91:92], v[67:68], v[81:82]
	v_mul_f64_e32 v[81:82], v[69:70], v[81:82]
	v_fma_f64 v[93:94], v[65:66], v[75:76], v[93:94]
	v_fma_f64 v[75:76], v[63:64], v[75:76], -v[77:78]
	v_add_f64_e32 v[2:3], v[2:3], v[71:72]
	v_add_f64_e32 v[10:11], v[10:11], v[109:110]
	ds_load_b128 v[63:66], v1 offset:720
	ds_load_b128 v[71:74], v1 offset:736
	v_fma_f64 v[69:70], v[69:70], v[79:80], v[91:92]
	v_fma_f64 v[67:68], v[67:68], v[79:80], -v[81:82]
	s_wait_loadcnt_dscnt 0x401
	v_mul_f64_e32 v[77:78], v[63:64], v[85:86]
	v_mul_f64_e32 v[85:86], v[65:66], v[85:86]
	s_wait_loadcnt_dscnt 0x300
	v_mul_f64_e32 v[79:80], v[73:74], v[89:90]
	v_add_f64_e32 v[2:3], v[2:3], v[75:76]
	v_add_f64_e32 v[10:11], v[10:11], v[93:94]
	v_mul_f64_e32 v[75:76], v[71:72], v[89:90]
	v_fma_f64 v[77:78], v[65:66], v[83:84], v[77:78]
	v_fma_f64 v[81:82], v[63:64], v[83:84], -v[85:86]
	v_fma_f64 v[71:72], v[71:72], v[87:88], -v[79:80]
	v_add_f64_e32 v[2:3], v[2:3], v[67:68]
	v_add_f64_e32 v[10:11], v[10:11], v[69:70]
	ds_load_b128 v[63:66], v1 offset:752
	ds_load_b128 v[67:70], v1 offset:768
	v_fma_f64 v[73:74], v[73:74], v[87:88], v[75:76]
	s_wait_loadcnt_dscnt 0x201
	v_mul_f64_e32 v[83:84], v[63:64], v[97:98]
	v_mul_f64_e32 v[85:86], v[65:66], v[97:98]
	v_add_f64_e32 v[2:3], v[2:3], v[81:82]
	v_add_f64_e32 v[10:11], v[10:11], v[77:78]
	s_wait_loadcnt_dscnt 0x100
	v_mul_f64_e32 v[75:76], v[67:68], v[8:9]
	v_mul_f64_e32 v[77:78], v[69:70], v[8:9]
	v_fma_f64 v[65:66], v[65:66], v[95:96], v[83:84]
	v_fma_f64 v[63:64], v[63:64], v[95:96], -v[85:86]
	v_add_f64_e32 v[2:3], v[2:3], v[71:72]
	v_add_f64_e32 v[71:72], v[10:11], v[73:74]
	ds_load_b128 v[8:11], v1 offset:784
	v_fma_f64 v[69:70], v[69:70], v[6:7], v[75:76]
	v_fma_f64 v[6:7], v[67:68], v[6:7], -v[77:78]
	s_wait_loadcnt_dscnt 0x0
	v_mul_f64_e32 v[73:74], v[8:9], v[105:106]
	v_mul_f64_e32 v[79:80], v[10:11], v[105:106]
	v_add_f64_e32 v[2:3], v[2:3], v[63:64]
	v_add_f64_e32 v[63:64], v[71:72], v[65:66]
	s_delay_alu instid0(VALU_DEP_4) | instskip(NEXT) | instid1(VALU_DEP_4)
	v_fma_f64 v[10:11], v[10:11], v[103:104], v[73:74]
	v_fma_f64 v[8:9], v[8:9], v[103:104], -v[79:80]
	s_delay_alu instid0(VALU_DEP_4) | instskip(NEXT) | instid1(VALU_DEP_4)
	v_add_f64_e32 v[2:3], v[2:3], v[6:7]
	v_add_f64_e32 v[6:7], v[63:64], v[69:70]
	s_delay_alu instid0(VALU_DEP_2) | instskip(NEXT) | instid1(VALU_DEP_2)
	v_add_f64_e32 v[2:3], v[2:3], v[8:9]
	v_add_f64_e32 v[8:9], v[6:7], v[10:11]
	s_delay_alu instid0(VALU_DEP_2) | instskip(NEXT) | instid1(VALU_DEP_2)
	v_add_f64_e64 v[6:7], v[99:100], -v[2:3]
	v_add_f64_e64 v[8:9], v[101:102], -v[8:9]
	scratch_store_b128 off, v[6:9], off offset:64
	v_cmpx_lt_u32_e32 2, v0
	s_cbranch_execz .LBB88_159
; %bb.158:
	scratch_load_b128 v[6:9], off, s31
	v_dual_mov_b32 v2, v1 :: v_dual_mov_b32 v3, v1
	v_mov_b32_e32 v4, v1
	scratch_store_b128 off, v[1:4], off offset:48
	s_wait_loadcnt 0x0
	ds_store_b128 v5, v[6:9]
.LBB88_159:
	s_wait_alu 0xfffe
	s_or_b32 exec_lo, exec_lo, s0
	s_wait_storecnt_dscnt 0x0
	s_barrier_signal -1
	s_barrier_wait -1
	global_inv scope:SCOPE_SE
	s_clause 0x8
	scratch_load_b128 v[6:9], off, off offset:64
	scratch_load_b128 v[63:66], off, off offset:80
	;; [unrolled: 1-line block ×9, first 2 shown]
	ds_load_b128 v[95:98], v1 offset:448
	ds_load_b128 v[99:102], v1 offset:464
	scratch_load_b128 v[103:106], off, off offset:48
	s_mov_b32 s0, exec_lo
	ds_load_b128 v[111:114], v1 offset:496
	s_wait_loadcnt_dscnt 0x902
	v_mul_f64_e32 v[2:3], v[97:98], v[8:9]
	v_mul_f64_e32 v[107:108], v[95:96], v[8:9]
	scratch_load_b128 v[8:11], off, off offset:208
	s_wait_loadcnt_dscnt 0x901
	v_mul_f64_e32 v[115:116], v[99:100], v[65:66]
	v_mul_f64_e32 v[65:66], v[101:102], v[65:66]
	v_fma_f64 v[2:3], v[95:96], v[6:7], -v[2:3]
	v_fma_f64 v[6:7], v[97:98], v[6:7], v[107:108]
	ds_load_b128 v[95:98], v1 offset:480
	scratch_load_b128 v[107:110], off, off offset:224
	v_fma_f64 v[101:102], v[101:102], v[63:64], v[115:116]
	v_fma_f64 v[99:100], v[99:100], v[63:64], -v[65:66]
	scratch_load_b128 v[63:66], off, off offset:240
	s_wait_loadcnt_dscnt 0x901
	v_mul_f64_e32 v[115:116], v[111:112], v[73:74]
	v_mul_f64_e32 v[73:74], v[113:114], v[73:74]
	s_wait_dscnt 0x0
	v_mul_f64_e32 v[117:118], v[95:96], v[69:70]
	v_mul_f64_e32 v[69:70], v[97:98], v[69:70]
	v_add_f64_e32 v[2:3], 0, v[2:3]
	v_add_f64_e32 v[6:7], 0, v[6:7]
	v_fma_f64 v[113:114], v[113:114], v[71:72], v[115:116]
	v_fma_f64 v[111:112], v[111:112], v[71:72], -v[73:74]
	scratch_load_b128 v[71:74], off, off offset:272
	v_fma_f64 v[117:118], v[97:98], v[67:68], v[117:118]
	v_fma_f64 v[119:120], v[95:96], v[67:68], -v[69:70]
	ds_load_b128 v[67:70], v1 offset:512
	scratch_load_b128 v[95:98], off, off offset:256
	v_add_f64_e32 v[2:3], v[2:3], v[99:100]
	v_add_f64_e32 v[6:7], v[6:7], v[101:102]
	ds_load_b128 v[99:102], v1 offset:528
	s_wait_loadcnt_dscnt 0xa01
	v_mul_f64_e32 v[121:122], v[67:68], v[77:78]
	v_mul_f64_e32 v[77:78], v[69:70], v[77:78]
	s_wait_loadcnt_dscnt 0x900
	v_mul_f64_e32 v[115:116], v[99:100], v[81:82]
	v_mul_f64_e32 v[81:82], v[101:102], v[81:82]
	v_add_f64_e32 v[2:3], v[2:3], v[119:120]
	v_add_f64_e32 v[6:7], v[6:7], v[117:118]
	v_fma_f64 v[117:118], v[69:70], v[75:76], v[121:122]
	v_fma_f64 v[119:120], v[67:68], v[75:76], -v[77:78]
	ds_load_b128 v[67:70], v1 offset:544
	scratch_load_b128 v[75:78], off, off offset:288
	v_fma_f64 v[101:102], v[101:102], v[79:80], v[115:116]
	v_fma_f64 v[99:100], v[99:100], v[79:80], -v[81:82]
	scratch_load_b128 v[79:82], off, off offset:304
	v_add_f64_e32 v[2:3], v[2:3], v[111:112]
	v_add_f64_e32 v[6:7], v[6:7], v[113:114]
	ds_load_b128 v[111:114], v1 offset:560
	s_wait_loadcnt_dscnt 0xa01
	v_mul_f64_e32 v[121:122], v[67:68], v[85:86]
	v_mul_f64_e32 v[85:86], v[69:70], v[85:86]
	s_wait_loadcnt_dscnt 0x900
	v_mul_f64_e32 v[115:116], v[111:112], v[89:90]
	v_mul_f64_e32 v[89:90], v[113:114], v[89:90]
	v_add_f64_e32 v[2:3], v[2:3], v[119:120]
	v_add_f64_e32 v[6:7], v[6:7], v[117:118]
	v_fma_f64 v[117:118], v[69:70], v[83:84], v[121:122]
	v_fma_f64 v[119:120], v[67:68], v[83:84], -v[85:86]
	ds_load_b128 v[67:70], v1 offset:576
	scratch_load_b128 v[83:86], off, off offset:320
	v_fma_f64 v[113:114], v[113:114], v[87:88], v[115:116]
	v_fma_f64 v[111:112], v[111:112], v[87:88], -v[89:90]
	scratch_load_b128 v[87:90], off, off offset:336
	v_add_f64_e32 v[2:3], v[2:3], v[99:100]
	v_add_f64_e32 v[6:7], v[6:7], v[101:102]
	ds_load_b128 v[99:102], v1 offset:592
	s_wait_loadcnt_dscnt 0xa01
	v_mul_f64_e32 v[121:122], v[67:68], v[93:94]
	v_mul_f64_e32 v[93:94], v[69:70], v[93:94]
	v_add_f64_e32 v[2:3], v[2:3], v[119:120]
	v_add_f64_e32 v[6:7], v[6:7], v[117:118]
	s_delay_alu instid0(VALU_DEP_4) | instskip(NEXT) | instid1(VALU_DEP_4)
	v_fma_f64 v[117:118], v[69:70], v[91:92], v[121:122]
	v_fma_f64 v[119:120], v[67:68], v[91:92], -v[93:94]
	ds_load_b128 v[67:70], v1 offset:608
	scratch_load_b128 v[91:94], off, off offset:352
	s_wait_loadcnt_dscnt 0x901
	v_mul_f64_e32 v[115:116], v[99:100], v[10:11]
	v_mul_f64_e32 v[10:11], v[101:102], v[10:11]
	v_add_f64_e32 v[2:3], v[2:3], v[111:112]
	v_add_f64_e32 v[6:7], v[6:7], v[113:114]
	ds_load_b128 v[111:114], v1 offset:624
	v_fma_f64 v[101:102], v[101:102], v[8:9], v[115:116]
	s_wait_loadcnt_dscnt 0x801
	v_mul_f64_e32 v[121:122], v[67:68], v[109:110]
	v_mul_f64_e32 v[109:110], v[69:70], v[109:110]
	v_fma_f64 v[10:11], v[99:100], v[8:9], -v[10:11]
	s_wait_loadcnt_dscnt 0x700
	v_mul_f64_e32 v[115:116], v[111:112], v[65:66]
	v_add_f64_e32 v[2:3], v[2:3], v[119:120]
	v_add_f64_e32 v[99:100], v[6:7], v[117:118]
	scratch_load_b128 v[6:9], off, off offset:368
	v_mul_f64_e32 v[117:118], v[113:114], v[65:66]
	v_fma_f64 v[69:70], v[69:70], v[107:108], v[121:122]
	v_fma_f64 v[119:120], v[67:68], v[107:108], -v[109:110]
	ds_load_b128 v[65:68], v1 offset:640
	ds_load_b128 v[107:110], v1 offset:656
	v_fma_f64 v[115:116], v[113:114], v[63:64], v[115:116]
	v_add_f64_e32 v[2:3], v[2:3], v[10:11]
	v_add_f64_e32 v[10:11], v[99:100], v[101:102]
	scratch_load_b128 v[99:102], off, off offset:384
	s_wait_loadcnt_dscnt 0x701
	v_mul_f64_e32 v[121:122], v[65:66], v[97:98]
	v_mul_f64_e32 v[97:98], v[67:68], v[97:98]
	v_fma_f64 v[63:64], v[111:112], v[63:64], -v[117:118]
	scratch_load_b128 v[111:114], off, off offset:400
	s_wait_dscnt 0x0
	v_mul_f64_e32 v[117:118], v[107:108], v[73:74]
	v_mul_f64_e32 v[73:74], v[109:110], v[73:74]
	v_add_f64_e32 v[2:3], v[2:3], v[119:120]
	v_add_f64_e32 v[10:11], v[10:11], v[69:70]
	v_fma_f64 v[119:120], v[67:68], v[95:96], v[121:122]
	v_fma_f64 v[95:96], v[65:66], v[95:96], -v[97:98]
	v_fma_f64 v[109:110], v[109:110], v[71:72], v[117:118]
	v_fma_f64 v[71:72], v[107:108], v[71:72], -v[73:74]
	v_add_f64_e32 v[2:3], v[2:3], v[63:64]
	v_add_f64_e32 v[10:11], v[10:11], v[115:116]
	ds_load_b128 v[63:66], v1 offset:672
	ds_load_b128 v[67:70], v1 offset:688
	s_wait_loadcnt_dscnt 0x701
	v_mul_f64_e32 v[97:98], v[63:64], v[77:78]
	v_mul_f64_e32 v[77:78], v[65:66], v[77:78]
	v_add_f64_e32 v[2:3], v[2:3], v[95:96]
	v_add_f64_e32 v[10:11], v[10:11], v[119:120]
	s_wait_loadcnt_dscnt 0x600
	v_mul_f64_e32 v[95:96], v[67:68], v[81:82]
	v_mul_f64_e32 v[81:82], v[69:70], v[81:82]
	v_fma_f64 v[97:98], v[65:66], v[75:76], v[97:98]
	v_fma_f64 v[75:76], v[63:64], v[75:76], -v[77:78]
	v_add_f64_e32 v[2:3], v[2:3], v[71:72]
	v_add_f64_e32 v[10:11], v[10:11], v[109:110]
	ds_load_b128 v[63:66], v1 offset:704
	ds_load_b128 v[71:74], v1 offset:720
	v_fma_f64 v[69:70], v[69:70], v[79:80], v[95:96]
	v_fma_f64 v[67:68], v[67:68], v[79:80], -v[81:82]
	s_wait_loadcnt_dscnt 0x501
	v_mul_f64_e32 v[77:78], v[63:64], v[85:86]
	v_mul_f64_e32 v[85:86], v[65:66], v[85:86]
	s_wait_loadcnt_dscnt 0x400
	v_mul_f64_e32 v[79:80], v[73:74], v[89:90]
	v_add_f64_e32 v[2:3], v[2:3], v[75:76]
	v_add_f64_e32 v[10:11], v[10:11], v[97:98]
	v_mul_f64_e32 v[75:76], v[71:72], v[89:90]
	v_fma_f64 v[77:78], v[65:66], v[83:84], v[77:78]
	v_fma_f64 v[81:82], v[63:64], v[83:84], -v[85:86]
	v_fma_f64 v[71:72], v[71:72], v[87:88], -v[79:80]
	v_add_f64_e32 v[2:3], v[2:3], v[67:68]
	v_add_f64_e32 v[10:11], v[10:11], v[69:70]
	ds_load_b128 v[63:66], v1 offset:736
	ds_load_b128 v[67:70], v1 offset:752
	v_fma_f64 v[73:74], v[73:74], v[87:88], v[75:76]
	s_wait_loadcnt_dscnt 0x301
	v_mul_f64_e32 v[83:84], v[63:64], v[93:94]
	v_mul_f64_e32 v[85:86], v[65:66], v[93:94]
	v_add_f64_e32 v[2:3], v[2:3], v[81:82]
	v_add_f64_e32 v[10:11], v[10:11], v[77:78]
	s_wait_loadcnt_dscnt 0x200
	v_mul_f64_e32 v[75:76], v[67:68], v[8:9]
	v_mul_f64_e32 v[77:78], v[69:70], v[8:9]
	v_fma_f64 v[65:66], v[65:66], v[91:92], v[83:84]
	v_fma_f64 v[63:64], v[63:64], v[91:92], -v[85:86]
	v_add_f64_e32 v[71:72], v[2:3], v[71:72]
	v_add_f64_e32 v[73:74], v[10:11], v[73:74]
	ds_load_b128 v[8:11], v1 offset:768
	ds_load_b128 v[1:4], v1 offset:784
	v_fma_f64 v[69:70], v[69:70], v[6:7], v[75:76]
	v_fma_f64 v[6:7], v[67:68], v[6:7], -v[77:78]
	s_wait_loadcnt_dscnt 0x101
	v_mul_f64_e32 v[79:80], v[8:9], v[101:102]
	v_mul_f64_e32 v[81:82], v[10:11], v[101:102]
	s_wait_loadcnt_dscnt 0x0
	v_mul_f64_e32 v[67:68], v[1:2], v[113:114]
	v_add_f64_e32 v[63:64], v[71:72], v[63:64]
	v_add_f64_e32 v[65:66], v[73:74], v[65:66]
	v_mul_f64_e32 v[71:72], v[3:4], v[113:114]
	v_fma_f64 v[10:11], v[10:11], v[99:100], v[79:80]
	v_fma_f64 v[8:9], v[8:9], v[99:100], -v[81:82]
	v_fma_f64 v[3:4], v[3:4], v[111:112], v[67:68]
	v_add_f64_e32 v[6:7], v[63:64], v[6:7]
	v_add_f64_e32 v[63:64], v[65:66], v[69:70]
	v_fma_f64 v[1:2], v[1:2], v[111:112], -v[71:72]
	s_delay_alu instid0(VALU_DEP_3) | instskip(NEXT) | instid1(VALU_DEP_3)
	v_add_f64_e32 v[6:7], v[6:7], v[8:9]
	v_add_f64_e32 v[8:9], v[63:64], v[10:11]
	s_delay_alu instid0(VALU_DEP_2) | instskip(NEXT) | instid1(VALU_DEP_2)
	v_add_f64_e32 v[1:2], v[6:7], v[1:2]
	v_add_f64_e32 v[3:4], v[8:9], v[3:4]
	s_delay_alu instid0(VALU_DEP_2) | instskip(NEXT) | instid1(VALU_DEP_2)
	v_add_f64_e64 v[1:2], v[103:104], -v[1:2]
	v_add_f64_e64 v[3:4], v[105:106], -v[3:4]
	scratch_store_b128 off, v[1:4], off offset:48
	v_cmpx_lt_u32_e32 1, v0
	s_cbranch_execz .LBB88_161
; %bb.160:
	scratch_load_b128 v[1:4], off, s33
	v_mov_b32_e32 v6, 0
	s_delay_alu instid0(VALU_DEP_1)
	v_dual_mov_b32 v7, v6 :: v_dual_mov_b32 v8, v6
	v_mov_b32_e32 v9, v6
	scratch_store_b128 off, v[6:9], off offset:32
	s_wait_loadcnt 0x0
	ds_store_b128 v5, v[1:4]
.LBB88_161:
	s_wait_alu 0xfffe
	s_or_b32 exec_lo, exec_lo, s0
	s_wait_storecnt_dscnt 0x0
	s_barrier_signal -1
	s_barrier_wait -1
	global_inv scope:SCOPE_SE
	s_clause 0x7
	scratch_load_b128 v[6:9], off, off offset:48
	scratch_load_b128 v[63:66], off, off offset:64
	;; [unrolled: 1-line block ×8, first 2 shown]
	v_mov_b32_e32 v1, 0
	s_mov_b32 s0, exec_lo
	ds_load_b128 v[91:94], v1 offset:432
	s_clause 0x1
	scratch_load_b128 v[95:98], off, off offset:176
	scratch_load_b128 v[99:102], off, off offset:32
	ds_load_b128 v[103:106], v1 offset:448
	ds_load_b128 v[111:114], v1 offset:480
	s_wait_loadcnt_dscnt 0x902
	v_mul_f64_e32 v[2:3], v[93:94], v[8:9]
	v_mul_f64_e32 v[107:108], v[91:92], v[8:9]
	scratch_load_b128 v[8:11], off, off offset:192
	v_fma_f64 v[2:3], v[91:92], v[6:7], -v[2:3]
	v_fma_f64 v[6:7], v[93:94], v[6:7], v[107:108]
	ds_load_b128 v[91:94], v1 offset:464
	s_wait_loadcnt_dscnt 0x902
	v_mul_f64_e32 v[115:116], v[103:104], v[65:66]
	v_mul_f64_e32 v[65:66], v[105:106], v[65:66]
	scratch_load_b128 v[107:110], off, off offset:208
	s_wait_loadcnt_dscnt 0x900
	v_mul_f64_e32 v[117:118], v[91:92], v[69:70]
	v_mul_f64_e32 v[69:70], v[93:94], v[69:70]
	v_add_f64_e32 v[2:3], 0, v[2:3]
	v_add_f64_e32 v[6:7], 0, v[6:7]
	v_fma_f64 v[105:106], v[105:106], v[63:64], v[115:116]
	v_fma_f64 v[103:104], v[103:104], v[63:64], -v[65:66]
	scratch_load_b128 v[63:66], off, off offset:224
	v_fma_f64 v[117:118], v[93:94], v[67:68], v[117:118]
	v_fma_f64 v[119:120], v[91:92], v[67:68], -v[69:70]
	ds_load_b128 v[67:70], v1 offset:496
	s_wait_loadcnt 0x9
	v_mul_f64_e32 v[115:116], v[111:112], v[73:74]
	v_mul_f64_e32 v[73:74], v[113:114], v[73:74]
	scratch_load_b128 v[91:94], off, off offset:240
	v_add_f64_e32 v[6:7], v[6:7], v[105:106]
	v_add_f64_e32 v[2:3], v[2:3], v[103:104]
	ds_load_b128 v[103:106], v1 offset:512
	s_wait_loadcnt_dscnt 0x901
	v_mul_f64_e32 v[121:122], v[67:68], v[77:78]
	v_mul_f64_e32 v[77:78], v[69:70], v[77:78]
	v_fma_f64 v[113:114], v[113:114], v[71:72], v[115:116]
	v_fma_f64 v[111:112], v[111:112], v[71:72], -v[73:74]
	scratch_load_b128 v[71:74], off, off offset:256
	v_add_f64_e32 v[6:7], v[6:7], v[117:118]
	v_add_f64_e32 v[2:3], v[2:3], v[119:120]
	v_fma_f64 v[117:118], v[69:70], v[75:76], v[121:122]
	v_fma_f64 v[119:120], v[67:68], v[75:76], -v[77:78]
	ds_load_b128 v[67:70], v1 offset:528
	s_wait_loadcnt_dscnt 0x901
	v_mul_f64_e32 v[115:116], v[103:104], v[81:82]
	v_mul_f64_e32 v[81:82], v[105:106], v[81:82]
	scratch_load_b128 v[75:78], off, off offset:272
	s_wait_loadcnt_dscnt 0x900
	v_mul_f64_e32 v[121:122], v[67:68], v[85:86]
	v_mul_f64_e32 v[85:86], v[69:70], v[85:86]
	v_add_f64_e32 v[6:7], v[6:7], v[113:114]
	v_add_f64_e32 v[2:3], v[2:3], v[111:112]
	ds_load_b128 v[111:114], v1 offset:544
	v_fma_f64 v[105:106], v[105:106], v[79:80], v[115:116]
	v_fma_f64 v[103:104], v[103:104], v[79:80], -v[81:82]
	scratch_load_b128 v[79:82], off, off offset:288
	v_add_f64_e32 v[6:7], v[6:7], v[117:118]
	v_add_f64_e32 v[2:3], v[2:3], v[119:120]
	v_fma_f64 v[117:118], v[69:70], v[83:84], v[121:122]
	v_fma_f64 v[119:120], v[67:68], v[83:84], -v[85:86]
	ds_load_b128 v[67:70], v1 offset:560
	s_wait_loadcnt_dscnt 0x901
	v_mul_f64_e32 v[115:116], v[111:112], v[89:90]
	v_mul_f64_e32 v[89:90], v[113:114], v[89:90]
	scratch_load_b128 v[83:86], off, off offset:304
	s_wait_loadcnt_dscnt 0x900
	v_mul_f64_e32 v[121:122], v[67:68], v[97:98]
	v_mul_f64_e32 v[97:98], v[69:70], v[97:98]
	v_add_f64_e32 v[6:7], v[6:7], v[105:106]
	v_add_f64_e32 v[2:3], v[2:3], v[103:104]
	ds_load_b128 v[103:106], v1 offset:576
	v_fma_f64 v[113:114], v[113:114], v[87:88], v[115:116]
	v_fma_f64 v[111:112], v[111:112], v[87:88], -v[89:90]
	scratch_load_b128 v[87:90], off, off offset:320
	v_add_f64_e32 v[6:7], v[6:7], v[117:118]
	v_add_f64_e32 v[2:3], v[2:3], v[119:120]
	v_fma_f64 v[117:118], v[69:70], v[95:96], v[121:122]
	v_fma_f64 v[119:120], v[67:68], v[95:96], -v[97:98]
	ds_load_b128 v[67:70], v1 offset:592
	scratch_load_b128 v[95:98], off, off offset:336
	s_wait_loadcnt_dscnt 0x901
	v_mul_f64_e32 v[115:116], v[103:104], v[10:11]
	v_mul_f64_e32 v[10:11], v[105:106], v[10:11]
	v_add_f64_e32 v[6:7], v[6:7], v[113:114]
	v_add_f64_e32 v[2:3], v[2:3], v[111:112]
	ds_load_b128 v[111:114], v1 offset:608
	v_fma_f64 v[105:106], v[105:106], v[8:9], v[115:116]
	v_fma_f64 v[10:11], v[103:104], v[8:9], -v[10:11]
	s_wait_loadcnt_dscnt 0x801
	v_mul_f64_e32 v[121:122], v[67:68], v[109:110]
	v_mul_f64_e32 v[109:110], v[69:70], v[109:110]
	v_add_f64_e32 v[103:104], v[6:7], v[117:118]
	v_add_f64_e32 v[2:3], v[2:3], v[119:120]
	scratch_load_b128 v[6:9], off, off offset:352
	v_fma_f64 v[69:70], v[69:70], v[107:108], v[121:122]
	v_fma_f64 v[119:120], v[67:68], v[107:108], -v[109:110]
	ds_load_b128 v[107:110], v1 offset:640
	s_wait_loadcnt_dscnt 0x801
	v_mul_f64_e32 v[115:116], v[111:112], v[65:66]
	v_mul_f64_e32 v[117:118], v[113:114], v[65:66]
	ds_load_b128 v[65:68], v1 offset:624
	v_add_f64_e32 v[2:3], v[2:3], v[10:11]
	v_add_f64_e32 v[10:11], v[103:104], v[105:106]
	scratch_load_b128 v[103:106], off, off offset:368
	s_wait_loadcnt_dscnt 0x800
	v_mul_f64_e32 v[121:122], v[65:66], v[93:94]
	v_mul_f64_e32 v[93:94], v[67:68], v[93:94]
	v_fma_f64 v[115:116], v[113:114], v[63:64], v[115:116]
	v_fma_f64 v[63:64], v[111:112], v[63:64], -v[117:118]
	scratch_load_b128 v[111:114], off, off offset:384
	v_add_f64_e32 v[2:3], v[2:3], v[119:120]
	v_add_f64_e32 v[10:11], v[10:11], v[69:70]
	s_wait_loadcnt 0x8
	v_mul_f64_e32 v[117:118], v[107:108], v[73:74]
	v_mul_f64_e32 v[73:74], v[109:110], v[73:74]
	v_fma_f64 v[119:120], v[67:68], v[91:92], v[121:122]
	v_fma_f64 v[121:122], v[65:66], v[91:92], -v[93:94]
	scratch_load_b128 v[67:70], off, off offset:400
	ds_load_b128 v[91:94], v1 offset:672
	v_add_f64_e32 v[2:3], v[2:3], v[63:64]
	v_add_f64_e32 v[10:11], v[10:11], v[115:116]
	ds_load_b128 v[63:66], v1 offset:656
	v_fma_f64 v[109:110], v[109:110], v[71:72], v[117:118]
	v_fma_f64 v[71:72], v[107:108], v[71:72], -v[73:74]
	s_wait_loadcnt_dscnt 0x800
	v_mul_f64_e32 v[115:116], v[63:64], v[77:78]
	v_mul_f64_e32 v[77:78], v[65:66], v[77:78]
	s_wait_loadcnt 0x7
	v_mul_f64_e32 v[107:108], v[91:92], v[81:82]
	v_mul_f64_e32 v[81:82], v[93:94], v[81:82]
	v_add_f64_e32 v[2:3], v[2:3], v[121:122]
	v_add_f64_e32 v[10:11], v[10:11], v[119:120]
	v_fma_f64 v[115:116], v[65:66], v[75:76], v[115:116]
	v_fma_f64 v[75:76], v[63:64], v[75:76], -v[77:78]
	v_fma_f64 v[93:94], v[93:94], v[79:80], v[107:108]
	v_fma_f64 v[79:80], v[91:92], v[79:80], -v[81:82]
	v_add_f64_e32 v[2:3], v[2:3], v[71:72]
	v_add_f64_e32 v[10:11], v[10:11], v[109:110]
	ds_load_b128 v[63:66], v1 offset:688
	ds_load_b128 v[71:74], v1 offset:704
	s_wait_loadcnt_dscnt 0x601
	v_mul_f64_e32 v[77:78], v[63:64], v[85:86]
	v_mul_f64_e32 v[85:86], v[65:66], v[85:86]
	s_wait_loadcnt_dscnt 0x500
	v_mul_f64_e32 v[81:82], v[71:72], v[89:90]
	v_mul_f64_e32 v[89:90], v[73:74], v[89:90]
	v_add_f64_e32 v[2:3], v[2:3], v[75:76]
	v_add_f64_e32 v[10:11], v[10:11], v[115:116]
	v_fma_f64 v[91:92], v[65:66], v[83:84], v[77:78]
	v_fma_f64 v[83:84], v[63:64], v[83:84], -v[85:86]
	ds_load_b128 v[63:66], v1 offset:720
	ds_load_b128 v[75:78], v1 offset:736
	v_fma_f64 v[73:74], v[73:74], v[87:88], v[81:82]
	v_fma_f64 v[71:72], v[71:72], v[87:88], -v[89:90]
	v_add_f64_e32 v[2:3], v[2:3], v[79:80]
	v_add_f64_e32 v[10:11], v[10:11], v[93:94]
	s_wait_loadcnt_dscnt 0x401
	v_mul_f64_e32 v[79:80], v[63:64], v[97:98]
	v_mul_f64_e32 v[85:86], v[65:66], v[97:98]
	s_delay_alu instid0(VALU_DEP_4) | instskip(NEXT) | instid1(VALU_DEP_4)
	v_add_f64_e32 v[2:3], v[2:3], v[83:84]
	v_add_f64_e32 v[10:11], v[10:11], v[91:92]
	s_delay_alu instid0(VALU_DEP_4) | instskip(NEXT) | instid1(VALU_DEP_4)
	v_fma_f64 v[79:80], v[65:66], v[95:96], v[79:80]
	v_fma_f64 v[85:86], v[63:64], v[95:96], -v[85:86]
	s_wait_loadcnt_dscnt 0x300
	v_mul_f64_e32 v[81:82], v[75:76], v[8:9]
	v_mul_f64_e32 v[83:84], v[77:78], v[8:9]
	v_add_f64_e32 v[2:3], v[2:3], v[71:72]
	v_add_f64_e32 v[71:72], v[10:11], v[73:74]
	ds_load_b128 v[8:11], v1 offset:752
	ds_load_b128 v[63:66], v1 offset:768
	v_fma_f64 v[77:78], v[77:78], v[6:7], v[81:82]
	v_fma_f64 v[6:7], v[75:76], v[6:7], -v[83:84]
	s_wait_loadcnt_dscnt 0x201
	v_mul_f64_e32 v[73:74], v[8:9], v[105:106]
	v_mul_f64_e32 v[87:88], v[10:11], v[105:106]
	s_wait_loadcnt_dscnt 0x100
	v_mul_f64_e32 v[75:76], v[63:64], v[113:114]
	v_add_f64_e32 v[2:3], v[2:3], v[85:86]
	v_add_f64_e32 v[71:72], v[71:72], v[79:80]
	v_mul_f64_e32 v[79:80], v[65:66], v[113:114]
	v_fma_f64 v[10:11], v[10:11], v[103:104], v[73:74]
	v_fma_f64 v[73:74], v[8:9], v[103:104], -v[87:88]
	v_fma_f64 v[65:66], v[65:66], v[111:112], v[75:76]
	v_add_f64_e32 v[2:3], v[2:3], v[6:7]
	v_add_f64_e32 v[71:72], v[71:72], v[77:78]
	ds_load_b128 v[6:9], v1 offset:784
	v_fma_f64 v[63:64], v[63:64], v[111:112], -v[79:80]
	s_wait_loadcnt_dscnt 0x0
	v_mul_f64_e32 v[77:78], v[6:7], v[69:70]
	v_mul_f64_e32 v[69:70], v[8:9], v[69:70]
	v_add_f64_e32 v[2:3], v[2:3], v[73:74]
	v_add_f64_e32 v[10:11], v[71:72], v[10:11]
	s_delay_alu instid0(VALU_DEP_4) | instskip(NEXT) | instid1(VALU_DEP_4)
	v_fma_f64 v[8:9], v[8:9], v[67:68], v[77:78]
	v_fma_f64 v[6:7], v[6:7], v[67:68], -v[69:70]
	s_delay_alu instid0(VALU_DEP_4) | instskip(NEXT) | instid1(VALU_DEP_4)
	v_add_f64_e32 v[2:3], v[2:3], v[63:64]
	v_add_f64_e32 v[10:11], v[10:11], v[65:66]
	s_delay_alu instid0(VALU_DEP_2) | instskip(NEXT) | instid1(VALU_DEP_2)
	v_add_f64_e32 v[2:3], v[2:3], v[6:7]
	v_add_f64_e32 v[8:9], v[10:11], v[8:9]
	s_delay_alu instid0(VALU_DEP_2) | instskip(NEXT) | instid1(VALU_DEP_2)
	v_add_f64_e64 v[6:7], v[99:100], -v[2:3]
	v_add_f64_e64 v[8:9], v[101:102], -v[8:9]
	scratch_store_b128 off, v[6:9], off offset:32
	v_cmpx_ne_u32_e32 0, v0
	s_cbranch_execz .LBB88_163
; %bb.162:
	scratch_load_b128 v[6:9], off, off offset:16
	v_dual_mov_b32 v2, v1 :: v_dual_mov_b32 v3, v1
	v_mov_b32_e32 v4, v1
	scratch_store_b128 off, v[1:4], off offset:16
	s_wait_loadcnt 0x0
	ds_store_b128 v5, v[6:9]
.LBB88_163:
	s_wait_alu 0xfffe
	s_or_b32 exec_lo, exec_lo, s0
	s_wait_storecnt_dscnt 0x0
	s_barrier_signal -1
	s_barrier_wait -1
	global_inv scope:SCOPE_SE
	s_clause 0x8
	scratch_load_b128 v[2:5], off, off offset:32
	scratch_load_b128 v[6:9], off, off offset:48
	;; [unrolled: 1-line block ×9, first 2 shown]
	ds_load_b128 v[91:94], v1 offset:416
	ds_load_b128 v[95:98], v1 offset:432
	s_clause 0x1
	scratch_load_b128 v[99:102], off, off offset:16
	scratch_load_b128 v[103:106], off, off offset:176
	s_and_b32 vcc_lo, exec_lo, s12
	s_wait_loadcnt_dscnt 0xa01
	v_mul_f64_e32 v[10:11], v[93:94], v[4:5]
	v_mul_f64_e32 v[4:5], v[91:92], v[4:5]
	s_wait_loadcnt_dscnt 0x900
	v_mul_f64_e32 v[107:108], v[95:96], v[8:9]
	v_mul_f64_e32 v[109:110], v[97:98], v[8:9]
	s_delay_alu instid0(VALU_DEP_4) | instskip(NEXT) | instid1(VALU_DEP_4)
	v_fma_f64 v[111:112], v[91:92], v[2:3], -v[10:11]
	v_fma_f64 v[113:114], v[93:94], v[2:3], v[4:5]
	ds_load_b128 v[2:5], v1 offset:448
	ds_load_b128 v[91:94], v1 offset:464
	scratch_load_b128 v[8:11], off, off offset:192
	v_fma_f64 v[107:108], v[97:98], v[6:7], v[107:108]
	v_fma_f64 v[6:7], v[95:96], v[6:7], -v[109:110]
	scratch_load_b128 v[95:98], off, off offset:208
	s_wait_loadcnt_dscnt 0xa01
	v_mul_f64_e32 v[115:116], v[2:3], v[65:66]
	v_mul_f64_e32 v[65:66], v[4:5], v[65:66]
	v_add_f64_e32 v[109:110], 0, v[111:112]
	v_add_f64_e32 v[111:112], 0, v[113:114]
	s_wait_loadcnt_dscnt 0x900
	v_mul_f64_e32 v[113:114], v[91:92], v[69:70]
	v_mul_f64_e32 v[69:70], v[93:94], v[69:70]
	v_fma_f64 v[115:116], v[4:5], v[63:64], v[115:116]
	v_fma_f64 v[117:118], v[2:3], v[63:64], -v[65:66]
	ds_load_b128 v[2:5], v1 offset:480
	scratch_load_b128 v[63:66], off, off offset:224
	v_add_f64_e32 v[6:7], v[109:110], v[6:7]
	v_add_f64_e32 v[111:112], v[111:112], v[107:108]
	ds_load_b128 v[107:110], v1 offset:496
	v_fma_f64 v[93:94], v[93:94], v[67:68], v[113:114]
	v_fma_f64 v[91:92], v[91:92], v[67:68], -v[69:70]
	scratch_load_b128 v[67:70], off, off offset:240
	s_wait_loadcnt_dscnt 0xa01
	v_mul_f64_e32 v[119:120], v[2:3], v[73:74]
	v_mul_f64_e32 v[73:74], v[4:5], v[73:74]
	s_wait_loadcnt_dscnt 0x900
	v_mul_f64_e32 v[113:114], v[107:108], v[77:78]
	v_mul_f64_e32 v[77:78], v[109:110], v[77:78]
	v_add_f64_e32 v[6:7], v[6:7], v[117:118]
	v_add_f64_e32 v[111:112], v[111:112], v[115:116]
	v_fma_f64 v[115:116], v[4:5], v[71:72], v[119:120]
	v_fma_f64 v[117:118], v[2:3], v[71:72], -v[73:74]
	ds_load_b128 v[2:5], v1 offset:512
	scratch_load_b128 v[71:74], off, off offset:256
	v_fma_f64 v[109:110], v[109:110], v[75:76], v[113:114]
	v_fma_f64 v[107:108], v[107:108], v[75:76], -v[77:78]
	scratch_load_b128 v[75:78], off, off offset:272
	v_add_f64_e32 v[6:7], v[6:7], v[91:92]
	v_add_f64_e32 v[111:112], v[111:112], v[93:94]
	ds_load_b128 v[91:94], v1 offset:528
	s_wait_loadcnt_dscnt 0xa01
	v_mul_f64_e32 v[119:120], v[2:3], v[81:82]
	v_mul_f64_e32 v[81:82], v[4:5], v[81:82]
	s_wait_loadcnt_dscnt 0x900
	v_mul_f64_e32 v[113:114], v[91:92], v[85:86]
	v_mul_f64_e32 v[85:86], v[93:94], v[85:86]
	v_add_f64_e32 v[6:7], v[6:7], v[117:118]
	v_add_f64_e32 v[111:112], v[111:112], v[115:116]
	v_fma_f64 v[115:116], v[4:5], v[79:80], v[119:120]
	v_fma_f64 v[117:118], v[2:3], v[79:80], -v[81:82]
	ds_load_b128 v[2:5], v1 offset:544
	scratch_load_b128 v[79:82], off, off offset:288
	v_fma_f64 v[93:94], v[93:94], v[83:84], v[113:114]
	v_fma_f64 v[91:92], v[91:92], v[83:84], -v[85:86]
	scratch_load_b128 v[83:86], off, off offset:304
	v_add_f64_e32 v[6:7], v[6:7], v[107:108]
	v_add_f64_e32 v[111:112], v[111:112], v[109:110]
	ds_load_b128 v[107:110], v1 offset:560
	;; [unrolled: 18-line block ×3, first 2 shown]
	s_wait_loadcnt_dscnt 0x901
	v_mul_f64_e32 v[119:120], v[2:3], v[10:11]
	v_mul_f64_e32 v[10:11], v[4:5], v[10:11]
	s_wait_loadcnt_dscnt 0x800
	v_mul_f64_e32 v[113:114], v[91:92], v[97:98]
	v_mul_f64_e32 v[97:98], v[93:94], v[97:98]
	v_add_f64_e32 v[6:7], v[6:7], v[117:118]
	v_add_f64_e32 v[111:112], v[111:112], v[115:116]
	v_fma_f64 v[115:116], v[4:5], v[8:9], v[119:120]
	v_fma_f64 v[10:11], v[2:3], v[8:9], -v[10:11]
	ds_load_b128 v[2:5], v1 offset:608
	v_fma_f64 v[113:114], v[93:94], v[95:96], v[113:114]
	v_fma_f64 v[95:96], v[91:92], v[95:96], -v[97:98]
	scratch_load_b128 v[91:94], off, off offset:368
	v_add_f64_e32 v[117:118], v[6:7], v[107:108]
	v_add_f64_e32 v[111:112], v[111:112], v[109:110]
	scratch_load_b128 v[6:9], off, off offset:352
	ds_load_b128 v[107:110], v1 offset:624
	s_wait_loadcnt_dscnt 0x901
	v_mul_f64_e32 v[119:120], v[2:3], v[65:66]
	v_mul_f64_e32 v[65:66], v[4:5], v[65:66]
	v_add_f64_e32 v[10:11], v[117:118], v[10:11]
	v_add_f64_e32 v[97:98], v[111:112], v[115:116]
	s_wait_loadcnt_dscnt 0x800
	v_mul_f64_e32 v[111:112], v[107:108], v[69:70]
	v_mul_f64_e32 v[69:70], v[109:110], v[69:70]
	v_fma_f64 v[115:116], v[4:5], v[63:64], v[119:120]
	v_fma_f64 v[117:118], v[2:3], v[63:64], -v[65:66]
	ds_load_b128 v[2:5], v1 offset:640
	scratch_load_b128 v[63:66], off, off offset:384
	v_add_f64_e32 v[10:11], v[10:11], v[95:96]
	v_add_f64_e32 v[113:114], v[97:98], v[113:114]
	ds_load_b128 v[95:98], v1 offset:656
	s_wait_loadcnt_dscnt 0x801
	v_mul_f64_e32 v[119:120], v[2:3], v[73:74]
	v_mul_f64_e32 v[73:74], v[4:5], v[73:74]
	v_fma_f64 v[109:110], v[109:110], v[67:68], v[111:112]
	v_fma_f64 v[107:108], v[107:108], v[67:68], -v[69:70]
	scratch_load_b128 v[67:70], off, off offset:400
	v_add_f64_e32 v[10:11], v[10:11], v[117:118]
	v_add_f64_e32 v[111:112], v[113:114], v[115:116]
	s_wait_loadcnt_dscnt 0x800
	v_mul_f64_e32 v[113:114], v[95:96], v[77:78]
	v_mul_f64_e32 v[77:78], v[97:98], v[77:78]
	v_fma_f64 v[115:116], v[4:5], v[71:72], v[119:120]
	v_fma_f64 v[117:118], v[2:3], v[71:72], -v[73:74]
	ds_load_b128 v[2:5], v1 offset:672
	ds_load_b128 v[71:74], v1 offset:688
	v_add_f64_e32 v[10:11], v[10:11], v[107:108]
	v_add_f64_e32 v[107:108], v[111:112], v[109:110]
	s_wait_loadcnt_dscnt 0x701
	v_mul_f64_e32 v[109:110], v[2:3], v[81:82]
	v_mul_f64_e32 v[81:82], v[4:5], v[81:82]
	v_fma_f64 v[97:98], v[97:98], v[75:76], v[113:114]
	v_fma_f64 v[75:76], v[95:96], v[75:76], -v[77:78]
	s_wait_loadcnt_dscnt 0x600
	v_mul_f64_e32 v[95:96], v[71:72], v[85:86]
	v_mul_f64_e32 v[85:86], v[73:74], v[85:86]
	v_add_f64_e32 v[10:11], v[10:11], v[117:118]
	v_add_f64_e32 v[77:78], v[107:108], v[115:116]
	v_fma_f64 v[107:108], v[4:5], v[79:80], v[109:110]
	v_fma_f64 v[79:80], v[2:3], v[79:80], -v[81:82]
	v_fma_f64 v[73:74], v[73:74], v[83:84], v[95:96]
	v_fma_f64 v[71:72], v[71:72], v[83:84], -v[85:86]
	v_add_f64_e32 v[10:11], v[10:11], v[75:76]
	v_add_f64_e32 v[81:82], v[77:78], v[97:98]
	ds_load_b128 v[2:5], v1 offset:704
	ds_load_b128 v[75:78], v1 offset:720
	s_wait_loadcnt_dscnt 0x501
	v_mul_f64_e32 v[97:98], v[2:3], v[89:90]
	v_mul_f64_e32 v[89:90], v[4:5], v[89:90]
	s_wait_loadcnt_dscnt 0x400
	v_mul_f64_e32 v[83:84], v[77:78], v[105:106]
	v_add_f64_e32 v[10:11], v[10:11], v[79:80]
	v_add_f64_e32 v[79:80], v[81:82], v[107:108]
	v_mul_f64_e32 v[81:82], v[75:76], v[105:106]
	v_fma_f64 v[85:86], v[4:5], v[87:88], v[97:98]
	v_fma_f64 v[87:88], v[2:3], v[87:88], -v[89:90]
	v_fma_f64 v[75:76], v[75:76], v[103:104], -v[83:84]
	v_add_f64_e32 v[10:11], v[10:11], v[71:72]
	v_add_f64_e32 v[79:80], v[79:80], v[73:74]
	ds_load_b128 v[2:5], v1 offset:736
	ds_load_b128 v[71:74], v1 offset:752
	v_fma_f64 v[77:78], v[77:78], v[103:104], v[81:82]
	s_wait_loadcnt_dscnt 0x201
	v_mul_f64_e32 v[89:90], v[2:3], v[8:9]
	v_mul_f64_e32 v[8:9], v[4:5], v[8:9]
	s_wait_dscnt 0x0
	v_mul_f64_e32 v[81:82], v[71:72], v[93:94]
	v_mul_f64_e32 v[83:84], v[73:74], v[93:94]
	v_add_f64_e32 v[10:11], v[10:11], v[87:88]
	v_add_f64_e32 v[79:80], v[79:80], v[85:86]
	v_fma_f64 v[85:86], v[4:5], v[6:7], v[89:90]
	v_fma_f64 v[87:88], v[2:3], v[6:7], -v[8:9]
	ds_load_b128 v[2:5], v1 offset:768
	ds_load_b128 v[6:9], v1 offset:784
	v_fma_f64 v[73:74], v[73:74], v[91:92], v[81:82]
	v_fma_f64 v[71:72], v[71:72], v[91:92], -v[83:84]
	v_add_f64_e32 v[10:11], v[10:11], v[75:76]
	v_add_f64_e32 v[75:76], v[79:80], v[77:78]
	s_wait_loadcnt_dscnt 0x101
	v_mul_f64_e32 v[0:1], v[2:3], v[65:66]
	v_mul_f64_e32 v[65:66], v[4:5], v[65:66]
	s_wait_loadcnt_dscnt 0x0
	v_mul_f64_e32 v[77:78], v[6:7], v[69:70]
	v_mul_f64_e32 v[69:70], v[8:9], v[69:70]
	v_add_f64_e32 v[10:11], v[10:11], v[87:88]
	v_add_f64_e32 v[75:76], v[75:76], v[85:86]
	v_fma_f64 v[0:1], v[4:5], v[63:64], v[0:1]
	v_fma_f64 v[2:3], v[2:3], v[63:64], -v[65:66]
	v_fma_f64 v[8:9], v[8:9], v[67:68], v[77:78]
	v_fma_f64 v[6:7], v[6:7], v[67:68], -v[69:70]
	v_add_f64_e32 v[4:5], v[10:11], v[71:72]
	v_add_f64_e32 v[10:11], v[75:76], v[73:74]
	s_delay_alu instid0(VALU_DEP_2) | instskip(NEXT) | instid1(VALU_DEP_2)
	v_add_f64_e32 v[2:3], v[4:5], v[2:3]
	v_add_f64_e32 v[0:1], v[10:11], v[0:1]
	s_delay_alu instid0(VALU_DEP_2) | instskip(NEXT) | instid1(VALU_DEP_2)
	;; [unrolled: 3-line block ×3, first 2 shown]
	v_add_f64_e64 v[0:1], v[99:100], -v[2:3]
	v_add_f64_e64 v[2:3], v[101:102], -v[4:5]
	scratch_store_b128 off, v[0:3], off offset:16
	s_wait_alu 0xfffe
	s_cbranch_vccz .LBB88_212
; %bb.164:
	v_mov_b32_e32 v0, 0
	global_load_b32 v1, v0, s[2:3] offset:92
	s_wait_loadcnt 0x0
	v_cmp_ne_u32_e32 vcc_lo, 24, v1
	s_cbranch_vccz .LBB88_166
; %bb.165:
	v_lshlrev_b32_e32 v1, 4, v1
	s_delay_alu instid0(VALU_DEP_1)
	v_add_nc_u32_e32 v9, 16, v1
	s_clause 0x1
	scratch_load_b128 v[1:4], v9, off offset:-16
	scratch_load_b128 v[5:8], off, s30
	s_wait_loadcnt 0x1
	scratch_store_b128 off, v[1:4], s30
	s_wait_loadcnt 0x0
	scratch_store_b128 v9, v[5:8], off offset:-16
.LBB88_166:
	global_load_b32 v0, v0, s[2:3] offset:88
	s_wait_loadcnt 0x0
	v_cmp_eq_u32_e32 vcc_lo, 23, v0
	s_cbranch_vccnz .LBB88_168
; %bb.167:
	v_lshlrev_b32_e32 v0, 4, v0
	s_delay_alu instid0(VALU_DEP_1)
	v_add_nc_u32_e32 v8, 16, v0
	s_clause 0x1
	scratch_load_b128 v[0:3], v8, off offset:-16
	scratch_load_b128 v[4:7], off, s18
	s_wait_loadcnt 0x1
	scratch_store_b128 off, v[0:3], s18
	s_wait_loadcnt 0x0
	scratch_store_b128 v8, v[4:7], off offset:-16
.LBB88_168:
	v_mov_b32_e32 v0, 0
	global_load_b32 v1, v0, s[2:3] offset:84
	s_wait_loadcnt 0x0
	v_cmp_eq_u32_e32 vcc_lo, 22, v1
	s_cbranch_vccnz .LBB88_170
; %bb.169:
	v_lshlrev_b32_e32 v1, 4, v1
	s_delay_alu instid0(VALU_DEP_1)
	v_add_nc_u32_e32 v9, 16, v1
	s_clause 0x1
	scratch_load_b128 v[1:4], v9, off offset:-16
	scratch_load_b128 v[5:8], off, s29
	s_wait_loadcnt 0x1
	scratch_store_b128 off, v[1:4], s29
	s_wait_loadcnt 0x0
	scratch_store_b128 v9, v[5:8], off offset:-16
.LBB88_170:
	global_load_b32 v0, v0, s[2:3] offset:80
	s_wait_loadcnt 0x0
	v_cmp_eq_u32_e32 vcc_lo, 21, v0
	s_cbranch_vccnz .LBB88_172
; %bb.171:
	v_lshlrev_b32_e32 v0, 4, v0
	s_delay_alu instid0(VALU_DEP_1)
	v_add_nc_u32_e32 v8, 16, v0
	s_clause 0x1
	scratch_load_b128 v[0:3], v8, off offset:-16
	scratch_load_b128 v[4:7], off, s17
	s_wait_loadcnt 0x1
	scratch_store_b128 off, v[0:3], s17
	s_wait_loadcnt 0x0
	scratch_store_b128 v8, v[4:7], off offset:-16
.LBB88_172:
	v_mov_b32_e32 v0, 0
	global_load_b32 v1, v0, s[2:3] offset:76
	s_wait_loadcnt 0x0
	v_cmp_eq_u32_e32 vcc_lo, 20, v1
	s_cbranch_vccnz .LBB88_174
; %bb.173:
	v_lshlrev_b32_e32 v1, 4, v1
	s_delay_alu instid0(VALU_DEP_1)
	v_add_nc_u32_e32 v9, 16, v1
	s_clause 0x1
	scratch_load_b128 v[1:4], v9, off offset:-16
	scratch_load_b128 v[5:8], off, s28
	s_wait_loadcnt 0x1
	scratch_store_b128 off, v[1:4], s28
	s_wait_loadcnt 0x0
	scratch_store_b128 v9, v[5:8], off offset:-16
.LBB88_174:
	;; [unrolled: 33-line block ×11, first 2 shown]
	global_load_b32 v0, v0, s[2:3]
	s_wait_loadcnt 0x0
	v_cmp_eq_u32_e32 vcc_lo, 1, v0
	s_cbranch_vccnz .LBB88_212
; %bb.211:
	v_lshlrev_b32_e32 v0, 4, v0
	s_delay_alu instid0(VALU_DEP_1)
	v_add_nc_u32_e32 v8, 16, v0
	scratch_load_b128 v[0:3], v8, off offset:-16
	scratch_load_b128 v[4:7], off, off offset:16
	s_wait_loadcnt 0x1
	scratch_store_b128 off, v[0:3], off offset:16
	s_wait_loadcnt 0x0
	scratch_store_b128 v8, v[4:7], off offset:-16
.LBB88_212:
	scratch_load_b128 v[0:3], off, off offset:16
	s_wait_loadcnt 0x0
	flat_store_b128 v[13:14], v[0:3]
	scratch_load_b128 v[0:3], off, s33
	s_wait_loadcnt 0x0
	flat_store_b128 v[15:16], v[0:3]
	scratch_load_b128 v[0:3], off, s31
	;; [unrolled: 3-line block ×24, first 2 shown]
	s_wait_loadcnt 0x0
	flat_store_b128 v[61:62], v[0:3]
	s_nop 0
	s_sendmsg sendmsg(MSG_DEALLOC_VGPRS)
	s_endpgm
	.section	.rodata,"a",@progbits
	.p2align	6, 0x0
	.amdhsa_kernel _ZN9rocsolver6v33100L18getri_kernel_smallILi25E19rocblas_complex_numIdEPKPS3_EEvT1_iilPiilS8_bb
		.amdhsa_group_segment_fixed_size 808
		.amdhsa_private_segment_fixed_size 432
		.amdhsa_kernarg_size 60
		.amdhsa_user_sgpr_count 2
		.amdhsa_user_sgpr_dispatch_ptr 0
		.amdhsa_user_sgpr_queue_ptr 0
		.amdhsa_user_sgpr_kernarg_segment_ptr 1
		.amdhsa_user_sgpr_dispatch_id 0
		.amdhsa_user_sgpr_private_segment_size 0
		.amdhsa_wavefront_size32 1
		.amdhsa_uses_dynamic_stack 0
		.amdhsa_enable_private_segment 1
		.amdhsa_system_sgpr_workgroup_id_x 1
		.amdhsa_system_sgpr_workgroup_id_y 0
		.amdhsa_system_sgpr_workgroup_id_z 0
		.amdhsa_system_sgpr_workgroup_info 0
		.amdhsa_system_vgpr_workitem_id 0
		.amdhsa_next_free_vgpr 123
		.amdhsa_next_free_sgpr 37
		.amdhsa_reserve_vcc 1
		.amdhsa_float_round_mode_32 0
		.amdhsa_float_round_mode_16_64 0
		.amdhsa_float_denorm_mode_32 3
		.amdhsa_float_denorm_mode_16_64 3
		.amdhsa_fp16_overflow 0
		.amdhsa_workgroup_processor_mode 1
		.amdhsa_memory_ordered 1
		.amdhsa_forward_progress 1
		.amdhsa_inst_pref_size 255
		.amdhsa_round_robin_scheduling 0
		.amdhsa_exception_fp_ieee_invalid_op 0
		.amdhsa_exception_fp_denorm_src 0
		.amdhsa_exception_fp_ieee_div_zero 0
		.amdhsa_exception_fp_ieee_overflow 0
		.amdhsa_exception_fp_ieee_underflow 0
		.amdhsa_exception_fp_ieee_inexact 0
		.amdhsa_exception_int_div_zero 0
	.end_amdhsa_kernel
	.section	.text._ZN9rocsolver6v33100L18getri_kernel_smallILi25E19rocblas_complex_numIdEPKPS3_EEvT1_iilPiilS8_bb,"axG",@progbits,_ZN9rocsolver6v33100L18getri_kernel_smallILi25E19rocblas_complex_numIdEPKPS3_EEvT1_iilPiilS8_bb,comdat
.Lfunc_end88:
	.size	_ZN9rocsolver6v33100L18getri_kernel_smallILi25E19rocblas_complex_numIdEPKPS3_EEvT1_iilPiilS8_bb, .Lfunc_end88-_ZN9rocsolver6v33100L18getri_kernel_smallILi25E19rocblas_complex_numIdEPKPS3_EEvT1_iilPiilS8_bb
                                        ; -- End function
	.set _ZN9rocsolver6v33100L18getri_kernel_smallILi25E19rocblas_complex_numIdEPKPS3_EEvT1_iilPiilS8_bb.num_vgpr, 123
	.set _ZN9rocsolver6v33100L18getri_kernel_smallILi25E19rocblas_complex_numIdEPKPS3_EEvT1_iilPiilS8_bb.num_agpr, 0
	.set _ZN9rocsolver6v33100L18getri_kernel_smallILi25E19rocblas_complex_numIdEPKPS3_EEvT1_iilPiilS8_bb.numbered_sgpr, 37
	.set _ZN9rocsolver6v33100L18getri_kernel_smallILi25E19rocblas_complex_numIdEPKPS3_EEvT1_iilPiilS8_bb.num_named_barrier, 0
	.set _ZN9rocsolver6v33100L18getri_kernel_smallILi25E19rocblas_complex_numIdEPKPS3_EEvT1_iilPiilS8_bb.private_seg_size, 432
	.set _ZN9rocsolver6v33100L18getri_kernel_smallILi25E19rocblas_complex_numIdEPKPS3_EEvT1_iilPiilS8_bb.uses_vcc, 1
	.set _ZN9rocsolver6v33100L18getri_kernel_smallILi25E19rocblas_complex_numIdEPKPS3_EEvT1_iilPiilS8_bb.uses_flat_scratch, 1
	.set _ZN9rocsolver6v33100L18getri_kernel_smallILi25E19rocblas_complex_numIdEPKPS3_EEvT1_iilPiilS8_bb.has_dyn_sized_stack, 0
	.set _ZN9rocsolver6v33100L18getri_kernel_smallILi25E19rocblas_complex_numIdEPKPS3_EEvT1_iilPiilS8_bb.has_recursion, 0
	.set _ZN9rocsolver6v33100L18getri_kernel_smallILi25E19rocblas_complex_numIdEPKPS3_EEvT1_iilPiilS8_bb.has_indirect_call, 0
	.section	.AMDGPU.csdata,"",@progbits
; Kernel info:
; codeLenInByte = 33884
; TotalNumSgprs: 39
; NumVgprs: 123
; ScratchSize: 432
; MemoryBound: 0
; FloatMode: 240
; IeeeMode: 1
; LDSByteSize: 808 bytes/workgroup (compile time only)
; SGPRBlocks: 0
; VGPRBlocks: 15
; NumSGPRsForWavesPerEU: 39
; NumVGPRsForWavesPerEU: 123
; Occupancy: 10
; WaveLimiterHint : 1
; COMPUTE_PGM_RSRC2:SCRATCH_EN: 1
; COMPUTE_PGM_RSRC2:USER_SGPR: 2
; COMPUTE_PGM_RSRC2:TRAP_HANDLER: 0
; COMPUTE_PGM_RSRC2:TGID_X_EN: 1
; COMPUTE_PGM_RSRC2:TGID_Y_EN: 0
; COMPUTE_PGM_RSRC2:TGID_Z_EN: 0
; COMPUTE_PGM_RSRC2:TIDIG_COMP_CNT: 0
	.section	.text._ZN9rocsolver6v33100L18getri_kernel_smallILi26E19rocblas_complex_numIdEPKPS3_EEvT1_iilPiilS8_bb,"axG",@progbits,_ZN9rocsolver6v33100L18getri_kernel_smallILi26E19rocblas_complex_numIdEPKPS3_EEvT1_iilPiilS8_bb,comdat
	.globl	_ZN9rocsolver6v33100L18getri_kernel_smallILi26E19rocblas_complex_numIdEPKPS3_EEvT1_iilPiilS8_bb ; -- Begin function _ZN9rocsolver6v33100L18getri_kernel_smallILi26E19rocblas_complex_numIdEPKPS3_EEvT1_iilPiilS8_bb
	.p2align	8
	.type	_ZN9rocsolver6v33100L18getri_kernel_smallILi26E19rocblas_complex_numIdEPKPS3_EEvT1_iilPiilS8_bb,@function
_ZN9rocsolver6v33100L18getri_kernel_smallILi26E19rocblas_complex_numIdEPKPS3_EEvT1_iilPiilS8_bb: ; @_ZN9rocsolver6v33100L18getri_kernel_smallILi26E19rocblas_complex_numIdEPKPS3_EEvT1_iilPiilS8_bb
; %bb.0:
	s_mov_b32 s2, exec_lo
	v_cmpx_gt_u32_e32 26, v0
	s_cbranch_execz .LBB89_118
; %bb.1:
	s_clause 0x1
	s_load_b32 s13, s[0:1], 0x38
	s_load_b64 s[2:3], s[0:1], 0x0
	s_mov_b32 s8, ttmp9
	s_load_b128 s[4:7], s[0:1], 0x28
	s_wait_kmcnt 0x0
	s_bitcmp1_b32 s13, 8
	s_cselect_b32 s12, -1, 0
	s_ashr_i32 s9, ttmp9, 31
	s_delay_alu instid0(SALU_CYCLE_1) | instskip(NEXT) | instid1(SALU_CYCLE_1)
	s_lshl_b64 s[10:11], s[8:9], 3
	s_add_nc_u64 s[2:3], s[2:3], s[10:11]
	s_load_b64 s[10:11], s[2:3], 0x0
	s_bfe_u32 s2, s13, 0x10008
	s_delay_alu instid0(SALU_CYCLE_1)
	s_cmp_eq_u32 s2, 0
                                        ; implicit-def: $sgpr2_sgpr3
	s_cbranch_scc1 .LBB89_3
; %bb.2:
	s_load_b96 s[16:18], s[0:1], 0x18
	s_mul_u64 s[2:3], s[4:5], s[8:9]
	s_delay_alu instid0(SALU_CYCLE_1)
	s_lshl_b64 s[2:3], s[2:3], 2
	s_wait_kmcnt 0x0
	s_ashr_i32 s5, s18, 31
	s_mov_b32 s4, s18
	s_add_nc_u64 s[2:3], s[16:17], s[2:3]
	s_lshl_b64 s[4:5], s[4:5], 2
	s_delay_alu instid0(SALU_CYCLE_1)
	s_add_nc_u64 s[2:3], s[2:3], s[4:5]
.LBB89_3:
	s_clause 0x1
	s_load_b64 s[4:5], s[0:1], 0x8
	s_load_b32 s35, s[0:1], 0x38
	v_lshlrev_b32_e32 v65, 4, v0
	s_mov_b32 s34, 32
	s_mov_b32 s33, 48
	;; [unrolled: 1-line block ×3, first 2 shown]
	s_movk_i32 s21, 0x50
	s_wait_kmcnt 0x0
	s_ashr_i32 s1, s4, 31
	s_mov_b32 s0, s4
	v_add3_u32 v5, s5, s5, v0
	s_lshl_b64 s[0:1], s[0:1], 4
	s_delay_alu instid0(SALU_CYCLE_1)
	s_add_nc_u64 s[0:1], s[10:11], s[0:1]
	s_ashr_i32 s11, s5, 31
	v_add_co_u32 v13, s4, s0, v65
	s_wait_alu 0xf1ff
	v_add_co_ci_u32_e64 v14, null, s1, 0, s4
	s_mov_b32 s10, s5
	v_ashrrev_i32_e32 v6, 31, v5
	s_lshl_b64 s[10:11], s[10:11], 4
	flat_load_b128 v[1:4], v[13:14]
	v_add_co_u32 v15, vcc_lo, v13, s10
	s_delay_alu instid0(VALU_DEP_1) | instskip(SKIP_2) | instid1(VALU_DEP_2)
	v_add_co_ci_u32_e64 v16, null, s11, v14, vcc_lo
	v_lshlrev_b64_e32 v[6:7], 4, v[5:6]
	v_add_nc_u32_e32 v5, s5, v5
	v_add_co_u32 v17, vcc_lo, s0, v6
	s_wait_alu 0xfffd
	s_delay_alu instid0(VALU_DEP_3) | instskip(NEXT) | instid1(VALU_DEP_3)
	v_add_co_ci_u32_e64 v18, null, s1, v7, vcc_lo
	v_ashrrev_i32_e32 v6, 31, v5
	s_delay_alu instid0(VALU_DEP_1) | instskip(SKIP_1) | instid1(VALU_DEP_2)
	v_lshlrev_b64_e32 v[6:7], 4, v[5:6]
	v_add_nc_u32_e32 v5, s5, v5
	v_add_co_u32 v19, vcc_lo, s0, v6
	s_wait_alu 0xfffd
	s_delay_alu instid0(VALU_DEP_3) | instskip(NEXT) | instid1(VALU_DEP_3)
	v_add_co_ci_u32_e64 v20, null, s1, v7, vcc_lo
	v_ashrrev_i32_e32 v6, 31, v5
	s_delay_alu instid0(VALU_DEP_1) | instskip(SKIP_1) | instid1(VALU_DEP_2)
	;; [unrolled: 8-line block ×20, first 2 shown]
	v_lshlrev_b64_e32 v[6:7], 4, v[5:6]
	v_add_nc_u32_e32 v5, s5, v5
	v_add_co_u32 v57, vcc_lo, s0, v6
	s_wait_alu 0xfffd
	s_delay_alu instid0(VALU_DEP_3) | instskip(NEXT) | instid1(VALU_DEP_3)
	v_add_co_ci_u32_e64 v58, null, s1, v7, vcc_lo
	v_ashrrev_i32_e32 v6, 31, v5
	s_delay_alu instid0(VALU_DEP_1)
	v_lshlrev_b64_e32 v[6:7], 4, v[5:6]
	s_wait_loadcnt_dscnt 0x0
	scratch_store_b128 off, v[1:4], off offset:16
	flat_load_b128 v[1:4], v[15:16]
	v_add_nc_u32_e32 v5, s5, v5
	v_add_co_u32 v59, vcc_lo, s0, v6
	s_wait_alu 0xfffd
	v_add_co_ci_u32_e64 v60, null, s1, v7, vcc_lo
	s_delay_alu instid0(VALU_DEP_3) | instskip(NEXT) | instid1(VALU_DEP_1)
	v_ashrrev_i32_e32 v6, 31, v5
	v_lshlrev_b64_e32 v[6:7], 4, v[5:6]
	v_add_nc_u32_e32 v5, s5, v5
	s_delay_alu instid0(VALU_DEP_2) | instskip(SKIP_1) | instid1(VALU_DEP_3)
	v_add_co_u32 v61, vcc_lo, s0, v6
	s_wait_alu 0xfffd
	v_add_co_ci_u32_e64 v62, null, s1, v7, vcc_lo
	s_delay_alu instid0(VALU_DEP_3) | instskip(NEXT) | instid1(VALU_DEP_1)
	v_ashrrev_i32_e32 v6, 31, v5
	v_lshlrev_b64_e32 v[5:6], 4, v[5:6]
	s_delay_alu instid0(VALU_DEP_1) | instskip(SKIP_1) | instid1(VALU_DEP_2)
	v_add_co_u32 v63, vcc_lo, s0, v5
	s_wait_alu 0xfffd
	v_add_co_ci_u32_e64 v64, null, s1, v6, vcc_lo
	s_movk_i32 s0, 0x50
	s_movk_i32 s1, 0x70
	s_wait_alu 0xfffe
	s_add_co_i32 s4, s0, 16
	s_movk_i32 s0, 0x60
	s_add_co_i32 s5, s1, 16
	s_wait_alu 0xfffe
	s_add_co_i32 s22, s0, 16
	s_movk_i32 s0, 0x80
	s_movk_i32 s1, 0x90
	s_wait_alu 0xfffe
	s_add_co_i32 s23, s0, 16
	s_add_co_i32 s10, s1, 16
	s_movk_i32 s0, 0xa0
	s_movk_i32 s1, 0xb0
	s_wait_alu 0xfffe
	s_add_co_i32 s24, s0, 16
	;; [unrolled: 5-line block ×9, first 2 shown]
	s_add_co_i32 s19, s1, 16
	s_bitcmp0_b32 s35, 0
	s_mov_b32 s1, -1
	s_wait_loadcnt_dscnt 0x0
	scratch_store_b128 off, v[1:4], off offset:32
	flat_load_b128 v[1:4], v[17:18]
	s_wait_loadcnt_dscnt 0x0
	scratch_store_b128 off, v[1:4], off offset:48
	flat_load_b128 v[1:4], v[19:20]
	;; [unrolled: 3-line block ×24, first 2 shown]
	s_wait_loadcnt_dscnt 0x0
	scratch_store_b128 off, v[1:4], off offset:416
	s_cbranch_scc1 .LBB89_116
; %bb.4:
	v_cmp_eq_u32_e64 s0, 0, v0
	s_and_saveexec_b32 s1, s0
; %bb.5:
	v_mov_b32_e32 v1, 0
	ds_store_b32 v1, v1 offset:832
; %bb.6:
	s_wait_alu 0xfffe
	s_or_b32 exec_lo, exec_lo, s1
	s_wait_storecnt_dscnt 0x0
	s_barrier_signal -1
	s_barrier_wait -1
	global_inv scope:SCOPE_SE
	scratch_load_b128 v[1:4], v65, off offset:16
	s_wait_loadcnt 0x0
	v_cmp_eq_f64_e32 vcc_lo, 0, v[1:2]
	v_cmp_eq_f64_e64 s1, 0, v[3:4]
	s_and_b32 s1, vcc_lo, s1
	s_wait_alu 0xfffe
	s_and_saveexec_b32 s35, s1
	s_cbranch_execz .LBB89_10
; %bb.7:
	v_mov_b32_e32 v1, 0
	s_mov_b32 s36, 0
	ds_load_b32 v2, v1 offset:832
	s_wait_dscnt 0x0
	v_readfirstlane_b32 s1, v2
	v_add_nc_u32_e32 v2, 1, v0
	s_cmp_eq_u32 s1, 0
	s_delay_alu instid0(VALU_DEP_1) | instskip(SKIP_1) | instid1(SALU_CYCLE_1)
	v_cmp_gt_i32_e32 vcc_lo, s1, v2
	s_cselect_b32 s37, -1, 0
	s_or_b32 s37, s37, vcc_lo
	s_delay_alu instid0(SALU_CYCLE_1)
	s_and_b32 exec_lo, exec_lo, s37
	s_cbranch_execz .LBB89_10
; %bb.8:
	v_mov_b32_e32 v3, s1
.LBB89_9:                               ; =>This Inner Loop Header: Depth=1
	ds_cmpstore_rtn_b32 v3, v1, v2, v3 offset:832
	s_wait_dscnt 0x0
	v_cmp_ne_u32_e32 vcc_lo, 0, v3
	v_cmp_le_i32_e64 s1, v3, v2
	s_and_b32 s1, vcc_lo, s1
	s_wait_alu 0xfffe
	s_and_b32 s1, exec_lo, s1
	s_wait_alu 0xfffe
	s_or_b32 s36, s1, s36
	s_delay_alu instid0(SALU_CYCLE_1)
	s_and_not1_b32 exec_lo, exec_lo, s36
	s_cbranch_execnz .LBB89_9
.LBB89_10:
	s_or_b32 exec_lo, exec_lo, s35
	v_mov_b32_e32 v1, 0
	s_barrier_signal -1
	s_barrier_wait -1
	global_inv scope:SCOPE_SE
	ds_load_b32 v2, v1 offset:832
	s_and_saveexec_b32 s1, s0
	s_cbranch_execz .LBB89_12
; %bb.11:
	s_lshl_b64 s[36:37], s[8:9], 2
	s_delay_alu instid0(SALU_CYCLE_1)
	s_add_nc_u64 s[36:37], s[6:7], s[36:37]
	s_wait_dscnt 0x0
	global_store_b32 v1, v2, s[36:37]
.LBB89_12:
	s_wait_alu 0xfffe
	s_or_b32 exec_lo, exec_lo, s1
	s_wait_dscnt 0x0
	v_cmp_ne_u32_e32 vcc_lo, 0, v2
	s_mov_b32 s1, 0
	s_cbranch_vccnz .LBB89_116
; %bb.13:
	v_add_nc_u32_e32 v66, 16, v65
                                        ; implicit-def: $vgpr1_vgpr2
                                        ; implicit-def: $vgpr9_vgpr10
	scratch_load_b128 v[5:8], v66, off
	s_wait_loadcnt 0x0
	v_cmp_ngt_f64_e64 s1, |v[5:6]|, |v[7:8]|
	s_wait_alu 0xfffe
	s_and_saveexec_b32 s35, s1
	s_delay_alu instid0(SALU_CYCLE_1)
	s_xor_b32 s1, exec_lo, s35
	s_cbranch_execz .LBB89_15
; %bb.14:
	v_div_scale_f64 v[1:2], null, v[7:8], v[7:8], v[5:6]
	v_div_scale_f64 v[11:12], vcc_lo, v[5:6], v[7:8], v[5:6]
	s_delay_alu instid0(VALU_DEP_2) | instskip(NEXT) | instid1(TRANS32_DEP_1)
	v_rcp_f64_e32 v[3:4], v[1:2]
	v_fma_f64 v[9:10], -v[1:2], v[3:4], 1.0
	s_delay_alu instid0(VALU_DEP_1) | instskip(NEXT) | instid1(VALU_DEP_1)
	v_fma_f64 v[3:4], v[3:4], v[9:10], v[3:4]
	v_fma_f64 v[9:10], -v[1:2], v[3:4], 1.0
	s_delay_alu instid0(VALU_DEP_1) | instskip(NEXT) | instid1(VALU_DEP_1)
	v_fma_f64 v[3:4], v[3:4], v[9:10], v[3:4]
	v_mul_f64_e32 v[9:10], v[11:12], v[3:4]
	s_delay_alu instid0(VALU_DEP_1) | instskip(SKIP_1) | instid1(VALU_DEP_1)
	v_fma_f64 v[1:2], -v[1:2], v[9:10], v[11:12]
	s_wait_alu 0xfffd
	v_div_fmas_f64 v[1:2], v[1:2], v[3:4], v[9:10]
	s_delay_alu instid0(VALU_DEP_1) | instskip(NEXT) | instid1(VALU_DEP_1)
	v_div_fixup_f64 v[1:2], v[1:2], v[7:8], v[5:6]
	v_fma_f64 v[3:4], v[5:6], v[1:2], v[7:8]
	s_delay_alu instid0(VALU_DEP_1) | instskip(SKIP_1) | instid1(VALU_DEP_2)
	v_div_scale_f64 v[5:6], null, v[3:4], v[3:4], 1.0
	v_div_scale_f64 v[11:12], vcc_lo, 1.0, v[3:4], 1.0
	v_rcp_f64_e32 v[7:8], v[5:6]
	s_delay_alu instid0(TRANS32_DEP_1) | instskip(NEXT) | instid1(VALU_DEP_1)
	v_fma_f64 v[9:10], -v[5:6], v[7:8], 1.0
	v_fma_f64 v[7:8], v[7:8], v[9:10], v[7:8]
	s_delay_alu instid0(VALU_DEP_1) | instskip(NEXT) | instid1(VALU_DEP_1)
	v_fma_f64 v[9:10], -v[5:6], v[7:8], 1.0
	v_fma_f64 v[7:8], v[7:8], v[9:10], v[7:8]
	s_delay_alu instid0(VALU_DEP_1) | instskip(NEXT) | instid1(VALU_DEP_1)
	v_mul_f64_e32 v[9:10], v[11:12], v[7:8]
	v_fma_f64 v[5:6], -v[5:6], v[9:10], v[11:12]
	s_wait_alu 0xfffd
	s_delay_alu instid0(VALU_DEP_1) | instskip(NEXT) | instid1(VALU_DEP_1)
	v_div_fmas_f64 v[5:6], v[5:6], v[7:8], v[9:10]
	v_div_fixup_f64 v[3:4], v[5:6], v[3:4], 1.0
                                        ; implicit-def: $vgpr5_vgpr6
	s_delay_alu instid0(VALU_DEP_1) | instskip(SKIP_1) | instid1(VALU_DEP_2)
	v_mul_f64_e32 v[1:2], v[1:2], v[3:4]
	v_xor_b32_e32 v4, 0x80000000, v4
	v_xor_b32_e32 v10, 0x80000000, v2
	s_delay_alu instid0(VALU_DEP_3)
	v_mov_b32_e32 v9, v1
.LBB89_15:
	s_wait_alu 0xfffe
	s_and_not1_saveexec_b32 s1, s1
	s_cbranch_execz .LBB89_17
; %bb.16:
	v_div_scale_f64 v[1:2], null, v[5:6], v[5:6], v[7:8]
	v_div_scale_f64 v[11:12], vcc_lo, v[7:8], v[5:6], v[7:8]
	s_delay_alu instid0(VALU_DEP_2) | instskip(NEXT) | instid1(TRANS32_DEP_1)
	v_rcp_f64_e32 v[3:4], v[1:2]
	v_fma_f64 v[9:10], -v[1:2], v[3:4], 1.0
	s_delay_alu instid0(VALU_DEP_1) | instskip(NEXT) | instid1(VALU_DEP_1)
	v_fma_f64 v[3:4], v[3:4], v[9:10], v[3:4]
	v_fma_f64 v[9:10], -v[1:2], v[3:4], 1.0
	s_delay_alu instid0(VALU_DEP_1) | instskip(NEXT) | instid1(VALU_DEP_1)
	v_fma_f64 v[3:4], v[3:4], v[9:10], v[3:4]
	v_mul_f64_e32 v[9:10], v[11:12], v[3:4]
	s_delay_alu instid0(VALU_DEP_1) | instskip(SKIP_1) | instid1(VALU_DEP_1)
	v_fma_f64 v[1:2], -v[1:2], v[9:10], v[11:12]
	s_wait_alu 0xfffd
	v_div_fmas_f64 v[1:2], v[1:2], v[3:4], v[9:10]
	s_delay_alu instid0(VALU_DEP_1) | instskip(NEXT) | instid1(VALU_DEP_1)
	v_div_fixup_f64 v[3:4], v[1:2], v[5:6], v[7:8]
	v_fma_f64 v[1:2], v[7:8], v[3:4], v[5:6]
	s_delay_alu instid0(VALU_DEP_1) | instskip(NEXT) | instid1(VALU_DEP_1)
	v_div_scale_f64 v[5:6], null, v[1:2], v[1:2], 1.0
	v_rcp_f64_e32 v[7:8], v[5:6]
	s_delay_alu instid0(TRANS32_DEP_1) | instskip(NEXT) | instid1(VALU_DEP_1)
	v_fma_f64 v[9:10], -v[5:6], v[7:8], 1.0
	v_fma_f64 v[7:8], v[7:8], v[9:10], v[7:8]
	s_delay_alu instid0(VALU_DEP_1) | instskip(NEXT) | instid1(VALU_DEP_1)
	v_fma_f64 v[9:10], -v[5:6], v[7:8], 1.0
	v_fma_f64 v[7:8], v[7:8], v[9:10], v[7:8]
	v_div_scale_f64 v[9:10], vcc_lo, 1.0, v[1:2], 1.0
	s_delay_alu instid0(VALU_DEP_1) | instskip(NEXT) | instid1(VALU_DEP_1)
	v_mul_f64_e32 v[11:12], v[9:10], v[7:8]
	v_fma_f64 v[5:6], -v[5:6], v[11:12], v[9:10]
	s_wait_alu 0xfffd
	s_delay_alu instid0(VALU_DEP_1) | instskip(NEXT) | instid1(VALU_DEP_1)
	v_div_fmas_f64 v[5:6], v[5:6], v[7:8], v[11:12]
	v_div_fixup_f64 v[1:2], v[5:6], v[1:2], 1.0
	s_delay_alu instid0(VALU_DEP_1)
	v_mul_f64_e64 v[3:4], v[3:4], -v[1:2]
	v_xor_b32_e32 v10, 0x80000000, v2
	v_mov_b32_e32 v9, v1
.LBB89_17:
	s_wait_alu 0xfffe
	s_or_b32 exec_lo, exec_lo, s1
	scratch_store_b128 v66, v[1:4], off
	scratch_load_b128 v[67:70], off, s34
	v_xor_b32_e32 v12, 0x80000000, v4
	v_mov_b32_e32 v11, v3
	v_add_nc_u32_e32 v5, 0x1a0, v65
	ds_store_b128 v65, v[9:12]
	s_wait_loadcnt 0x0
	ds_store_b128 v65, v[67:70] offset:416
	s_wait_storecnt_dscnt 0x0
	s_barrier_signal -1
	s_barrier_wait -1
	global_inv scope:SCOPE_SE
	s_and_saveexec_b32 s1, s0
	s_cbranch_execz .LBB89_19
; %bb.18:
	scratch_load_b128 v[1:4], v66, off
	ds_load_b128 v[6:9], v5
	v_mov_b32_e32 v10, 0
	ds_load_b128 v[67:70], v10 offset:16
	s_wait_loadcnt_dscnt 0x1
	v_mul_f64_e32 v[10:11], v[6:7], v[3:4]
	v_mul_f64_e32 v[3:4], v[8:9], v[3:4]
	s_delay_alu instid0(VALU_DEP_2) | instskip(NEXT) | instid1(VALU_DEP_2)
	v_fma_f64 v[8:9], v[8:9], v[1:2], v[10:11]
	v_fma_f64 v[1:2], v[6:7], v[1:2], -v[3:4]
	s_delay_alu instid0(VALU_DEP_2) | instskip(NEXT) | instid1(VALU_DEP_2)
	v_add_f64_e32 v[3:4], 0, v[8:9]
	v_add_f64_e32 v[1:2], 0, v[1:2]
	s_wait_dscnt 0x0
	s_delay_alu instid0(VALU_DEP_2) | instskip(NEXT) | instid1(VALU_DEP_2)
	v_mul_f64_e32 v[6:7], v[3:4], v[69:70]
	v_mul_f64_e32 v[8:9], v[1:2], v[69:70]
	s_delay_alu instid0(VALU_DEP_2) | instskip(NEXT) | instid1(VALU_DEP_2)
	v_fma_f64 v[1:2], v[1:2], v[67:68], -v[6:7]
	v_fma_f64 v[3:4], v[3:4], v[67:68], v[8:9]
	scratch_store_b128 off, v[1:4], off offset:32
.LBB89_19:
	s_wait_alu 0xfffe
	s_or_b32 exec_lo, exec_lo, s1
	s_wait_loadcnt 0x0
	s_wait_storecnt 0x0
	s_barrier_signal -1
	s_barrier_wait -1
	global_inv scope:SCOPE_SE
	scratch_load_b128 v[1:4], off, s33
	s_mov_b32 s1, exec_lo
	s_wait_loadcnt 0x0
	ds_store_b128 v5, v[1:4]
	s_wait_dscnt 0x0
	s_barrier_signal -1
	s_barrier_wait -1
	global_inv scope:SCOPE_SE
	v_cmpx_gt_u32_e32 2, v0
	s_cbranch_execz .LBB89_23
; %bb.20:
	scratch_load_b128 v[1:4], v66, off
	ds_load_b128 v[6:9], v5
	s_wait_loadcnt_dscnt 0x0
	v_mul_f64_e32 v[10:11], v[8:9], v[3:4]
	v_mul_f64_e32 v[3:4], v[6:7], v[3:4]
	s_delay_alu instid0(VALU_DEP_2) | instskip(NEXT) | instid1(VALU_DEP_2)
	v_fma_f64 v[6:7], v[6:7], v[1:2], -v[10:11]
	v_fma_f64 v[3:4], v[8:9], v[1:2], v[3:4]
	s_delay_alu instid0(VALU_DEP_2) | instskip(NEXT) | instid1(VALU_DEP_2)
	v_add_f64_e32 v[1:2], 0, v[6:7]
	v_add_f64_e32 v[3:4], 0, v[3:4]
	s_and_saveexec_b32 s35, s0
	s_cbranch_execz .LBB89_22
; %bb.21:
	scratch_load_b128 v[6:9], off, off offset:32
	v_mov_b32_e32 v10, 0
	ds_load_b128 v[67:70], v10 offset:432
	s_wait_loadcnt_dscnt 0x0
	v_mul_f64_e32 v[10:11], v[67:68], v[8:9]
	v_mul_f64_e32 v[8:9], v[69:70], v[8:9]
	s_delay_alu instid0(VALU_DEP_2) | instskip(NEXT) | instid1(VALU_DEP_2)
	v_fma_f64 v[10:11], v[69:70], v[6:7], v[10:11]
	v_fma_f64 v[6:7], v[67:68], v[6:7], -v[8:9]
	s_delay_alu instid0(VALU_DEP_2) | instskip(NEXT) | instid1(VALU_DEP_2)
	v_add_f64_e32 v[3:4], v[3:4], v[10:11]
	v_add_f64_e32 v[1:2], v[1:2], v[6:7]
.LBB89_22:
	s_or_b32 exec_lo, exec_lo, s35
	v_mov_b32_e32 v6, 0
	ds_load_b128 v[6:9], v6 offset:32
	s_wait_dscnt 0x0
	v_mul_f64_e32 v[10:11], v[3:4], v[8:9]
	v_mul_f64_e32 v[8:9], v[1:2], v[8:9]
	s_delay_alu instid0(VALU_DEP_2) | instskip(NEXT) | instid1(VALU_DEP_2)
	v_fma_f64 v[1:2], v[1:2], v[6:7], -v[10:11]
	v_fma_f64 v[3:4], v[3:4], v[6:7], v[8:9]
	scratch_store_b128 off, v[1:4], off offset:48
.LBB89_23:
	s_wait_alu 0xfffe
	s_or_b32 exec_lo, exec_lo, s1
	s_wait_loadcnt 0x0
	s_wait_storecnt 0x0
	s_barrier_signal -1
	s_barrier_wait -1
	global_inv scope:SCOPE_SE
	scratch_load_b128 v[1:4], off, s20
	v_add_nc_u32_e32 v6, -1, v0
	s_mov_b32 s0, exec_lo
	s_wait_loadcnt 0x0
	ds_store_b128 v5, v[1:4]
	s_wait_dscnt 0x0
	s_barrier_signal -1
	s_barrier_wait -1
	global_inv scope:SCOPE_SE
	v_cmpx_gt_u32_e32 3, v0
	s_cbranch_execz .LBB89_27
; %bb.24:
	v_dual_mov_b32 v1, 0 :: v_dual_add_nc_u32 v8, 0x1a0, v65
	v_mov_b32_e32 v3, 0
	v_dual_mov_b32 v2, 0 :: v_dual_add_nc_u32 v7, -1, v0
	v_mov_b32_e32 v4, 0
	v_or_b32_e32 v9, 8, v66
	s_mov_b32 s1, 0
.LBB89_25:                              ; =>This Inner Loop Header: Depth=1
	scratch_load_b128 v[67:70], v9, off offset:-8
	ds_load_b128 v[71:74], v8
	v_add_nc_u32_e32 v7, 1, v7
	v_add_nc_u32_e32 v8, 16, v8
	v_add_nc_u32_e32 v9, 16, v9
	s_delay_alu instid0(VALU_DEP_3)
	v_cmp_lt_u32_e32 vcc_lo, 1, v7
	s_wait_alu 0xfffe
	s_or_b32 s1, vcc_lo, s1
	s_wait_loadcnt_dscnt 0x0
	v_mul_f64_e32 v[10:11], v[73:74], v[69:70]
	v_mul_f64_e32 v[69:70], v[71:72], v[69:70]
	s_delay_alu instid0(VALU_DEP_2) | instskip(NEXT) | instid1(VALU_DEP_2)
	v_fma_f64 v[10:11], v[71:72], v[67:68], -v[10:11]
	v_fma_f64 v[67:68], v[73:74], v[67:68], v[69:70]
	s_delay_alu instid0(VALU_DEP_2) | instskip(NEXT) | instid1(VALU_DEP_2)
	v_add_f64_e32 v[3:4], v[3:4], v[10:11]
	v_add_f64_e32 v[1:2], v[1:2], v[67:68]
	s_wait_alu 0xfffe
	s_and_not1_b32 exec_lo, exec_lo, s1
	s_cbranch_execnz .LBB89_25
; %bb.26:
	s_or_b32 exec_lo, exec_lo, s1
	v_mov_b32_e32 v7, 0
	ds_load_b128 v[7:10], v7 offset:48
	s_wait_dscnt 0x0
	v_mul_f64_e32 v[11:12], v[1:2], v[9:10]
	v_mul_f64_e32 v[67:68], v[3:4], v[9:10]
	s_delay_alu instid0(VALU_DEP_2) | instskip(NEXT) | instid1(VALU_DEP_2)
	v_fma_f64 v[9:10], v[3:4], v[7:8], -v[11:12]
	v_fma_f64 v[11:12], v[1:2], v[7:8], v[67:68]
	scratch_store_b128 off, v[9:12], off offset:64
.LBB89_27:
	s_wait_alu 0xfffe
	s_or_b32 exec_lo, exec_lo, s0
	s_wait_loadcnt 0x0
	s_wait_storecnt 0x0
	s_barrier_signal -1
	s_barrier_wait -1
	global_inv scope:SCOPE_SE
	scratch_load_b128 v[1:4], off, s21
	s_mov_b32 s0, exec_lo
	s_wait_loadcnt 0x0
	ds_store_b128 v5, v[1:4]
	s_wait_dscnt 0x0
	s_barrier_signal -1
	s_barrier_wait -1
	global_inv scope:SCOPE_SE
	v_cmpx_gt_u32_e32 4, v0
	s_cbranch_execz .LBB89_31
; %bb.28:
	v_dual_mov_b32 v1, 0 :: v_dual_add_nc_u32 v8, 0x1a0, v65
	v_mov_b32_e32 v3, 0
	v_dual_mov_b32 v2, 0 :: v_dual_add_nc_u32 v7, -1, v0
	v_mov_b32_e32 v4, 0
	v_or_b32_e32 v9, 8, v66
	s_mov_b32 s1, 0
.LBB89_29:                              ; =>This Inner Loop Header: Depth=1
	scratch_load_b128 v[67:70], v9, off offset:-8
	ds_load_b128 v[71:74], v8
	v_add_nc_u32_e32 v7, 1, v7
	v_add_nc_u32_e32 v8, 16, v8
	v_add_nc_u32_e32 v9, 16, v9
	s_delay_alu instid0(VALU_DEP_3)
	v_cmp_lt_u32_e32 vcc_lo, 2, v7
	s_wait_alu 0xfffe
	s_or_b32 s1, vcc_lo, s1
	s_wait_loadcnt_dscnt 0x0
	v_mul_f64_e32 v[10:11], v[73:74], v[69:70]
	v_mul_f64_e32 v[69:70], v[71:72], v[69:70]
	s_delay_alu instid0(VALU_DEP_2) | instskip(NEXT) | instid1(VALU_DEP_2)
	v_fma_f64 v[10:11], v[71:72], v[67:68], -v[10:11]
	v_fma_f64 v[67:68], v[73:74], v[67:68], v[69:70]
	s_delay_alu instid0(VALU_DEP_2) | instskip(NEXT) | instid1(VALU_DEP_2)
	v_add_f64_e32 v[3:4], v[3:4], v[10:11]
	v_add_f64_e32 v[1:2], v[1:2], v[67:68]
	s_wait_alu 0xfffe
	s_and_not1_b32 exec_lo, exec_lo, s1
	s_cbranch_execnz .LBB89_29
; %bb.30:
	s_or_b32 exec_lo, exec_lo, s1
	v_mov_b32_e32 v7, 0
	ds_load_b128 v[7:10], v7 offset:64
	s_wait_dscnt 0x0
	v_mul_f64_e32 v[11:12], v[1:2], v[9:10]
	v_mul_f64_e32 v[67:68], v[3:4], v[9:10]
	s_delay_alu instid0(VALU_DEP_2) | instskip(NEXT) | instid1(VALU_DEP_2)
	v_fma_f64 v[9:10], v[3:4], v[7:8], -v[11:12]
	v_fma_f64 v[11:12], v[1:2], v[7:8], v[67:68]
	scratch_store_b128 off, v[9:12], off offset:80
.LBB89_31:
	s_wait_alu 0xfffe
	s_or_b32 exec_lo, exec_lo, s0
	s_wait_loadcnt 0x0
	s_wait_storecnt 0x0
	s_barrier_signal -1
	s_barrier_wait -1
	global_inv scope:SCOPE_SE
	scratch_load_b128 v[1:4], off, s4
	;; [unrolled: 58-line block ×19, first 2 shown]
	s_mov_b32 s0, exec_lo
	s_wait_loadcnt 0x0
	ds_store_b128 v5, v[1:4]
	s_wait_dscnt 0x0
	s_barrier_signal -1
	s_barrier_wait -1
	global_inv scope:SCOPE_SE
	v_cmpx_gt_u32_e32 22, v0
	s_cbranch_execz .LBB89_103
; %bb.100:
	v_dual_mov_b32 v1, 0 :: v_dual_add_nc_u32 v8, 0x1a0, v65
	v_mov_b32_e32 v3, 0
	v_dual_mov_b32 v2, 0 :: v_dual_add_nc_u32 v7, -1, v0
	v_mov_b32_e32 v4, 0
	v_or_b32_e32 v9, 8, v66
	s_mov_b32 s1, 0
.LBB89_101:                             ; =>This Inner Loop Header: Depth=1
	scratch_load_b128 v[67:70], v9, off offset:-8
	ds_load_b128 v[71:74], v8
	v_add_nc_u32_e32 v7, 1, v7
	v_add_nc_u32_e32 v8, 16, v8
	v_add_nc_u32_e32 v9, 16, v9
	s_delay_alu instid0(VALU_DEP_3)
	v_cmp_lt_u32_e32 vcc_lo, 20, v7
	s_wait_alu 0xfffe
	s_or_b32 s1, vcc_lo, s1
	s_wait_loadcnt_dscnt 0x0
	v_mul_f64_e32 v[10:11], v[73:74], v[69:70]
	v_mul_f64_e32 v[69:70], v[71:72], v[69:70]
	s_delay_alu instid0(VALU_DEP_2) | instskip(NEXT) | instid1(VALU_DEP_2)
	v_fma_f64 v[10:11], v[71:72], v[67:68], -v[10:11]
	v_fma_f64 v[67:68], v[73:74], v[67:68], v[69:70]
	s_delay_alu instid0(VALU_DEP_2) | instskip(NEXT) | instid1(VALU_DEP_2)
	v_add_f64_e32 v[3:4], v[3:4], v[10:11]
	v_add_f64_e32 v[1:2], v[1:2], v[67:68]
	s_wait_alu 0xfffe
	s_and_not1_b32 exec_lo, exec_lo, s1
	s_cbranch_execnz .LBB89_101
; %bb.102:
	s_or_b32 exec_lo, exec_lo, s1
	v_mov_b32_e32 v7, 0
	ds_load_b128 v[7:10], v7 offset:352
	s_wait_dscnt 0x0
	v_mul_f64_e32 v[11:12], v[1:2], v[9:10]
	v_mul_f64_e32 v[67:68], v[3:4], v[9:10]
	s_delay_alu instid0(VALU_DEP_2) | instskip(NEXT) | instid1(VALU_DEP_2)
	v_fma_f64 v[9:10], v[3:4], v[7:8], -v[11:12]
	v_fma_f64 v[11:12], v[1:2], v[7:8], v[67:68]
	scratch_store_b128 off, v[9:12], off offset:368
.LBB89_103:
	s_wait_alu 0xfffe
	s_or_b32 exec_lo, exec_lo, s0
	s_wait_loadcnt 0x0
	s_wait_storecnt 0x0
	s_barrier_signal -1
	s_barrier_wait -1
	global_inv scope:SCOPE_SE
	scratch_load_b128 v[1:4], off, s18
	s_mov_b32 s0, exec_lo
	s_wait_loadcnt 0x0
	ds_store_b128 v5, v[1:4]
	s_wait_dscnt 0x0
	s_barrier_signal -1
	s_barrier_wait -1
	global_inv scope:SCOPE_SE
	v_cmpx_gt_u32_e32 23, v0
	s_cbranch_execz .LBB89_107
; %bb.104:
	v_dual_mov_b32 v1, 0 :: v_dual_add_nc_u32 v8, 0x1a0, v65
	v_mov_b32_e32 v3, 0
	v_dual_mov_b32 v2, 0 :: v_dual_add_nc_u32 v7, -1, v0
	v_mov_b32_e32 v4, 0
	v_or_b32_e32 v9, 8, v66
	s_mov_b32 s1, 0
.LBB89_105:                             ; =>This Inner Loop Header: Depth=1
	scratch_load_b128 v[67:70], v9, off offset:-8
	ds_load_b128 v[71:74], v8
	v_add_nc_u32_e32 v7, 1, v7
	v_add_nc_u32_e32 v8, 16, v8
	v_add_nc_u32_e32 v9, 16, v9
	s_delay_alu instid0(VALU_DEP_3)
	v_cmp_lt_u32_e32 vcc_lo, 21, v7
	s_wait_alu 0xfffe
	s_or_b32 s1, vcc_lo, s1
	s_wait_loadcnt_dscnt 0x0
	v_mul_f64_e32 v[10:11], v[73:74], v[69:70]
	v_mul_f64_e32 v[69:70], v[71:72], v[69:70]
	s_delay_alu instid0(VALU_DEP_2) | instskip(NEXT) | instid1(VALU_DEP_2)
	v_fma_f64 v[10:11], v[71:72], v[67:68], -v[10:11]
	v_fma_f64 v[67:68], v[73:74], v[67:68], v[69:70]
	s_delay_alu instid0(VALU_DEP_2) | instskip(NEXT) | instid1(VALU_DEP_2)
	v_add_f64_e32 v[3:4], v[3:4], v[10:11]
	v_add_f64_e32 v[1:2], v[1:2], v[67:68]
	s_wait_alu 0xfffe
	s_and_not1_b32 exec_lo, exec_lo, s1
	s_cbranch_execnz .LBB89_105
; %bb.106:
	s_or_b32 exec_lo, exec_lo, s1
	v_mov_b32_e32 v7, 0
	ds_load_b128 v[7:10], v7 offset:368
	s_wait_dscnt 0x0
	v_mul_f64_e32 v[11:12], v[1:2], v[9:10]
	v_mul_f64_e32 v[67:68], v[3:4], v[9:10]
	s_delay_alu instid0(VALU_DEP_2) | instskip(NEXT) | instid1(VALU_DEP_2)
	v_fma_f64 v[9:10], v[3:4], v[7:8], -v[11:12]
	v_fma_f64 v[11:12], v[1:2], v[7:8], v[67:68]
	scratch_store_b128 off, v[9:12], off offset:384
.LBB89_107:
	s_wait_alu 0xfffe
	s_or_b32 exec_lo, exec_lo, s0
	s_wait_loadcnt 0x0
	s_wait_storecnt 0x0
	s_barrier_signal -1
	s_barrier_wait -1
	global_inv scope:SCOPE_SE
	scratch_load_b128 v[1:4], off, s31
	;; [unrolled: 58-line block ×3, first 2 shown]
	s_mov_b32 s0, exec_lo
	s_wait_loadcnt 0x0
	ds_store_b128 v5, v[1:4]
	s_wait_dscnt 0x0
	s_barrier_signal -1
	s_barrier_wait -1
	global_inv scope:SCOPE_SE
	v_cmpx_ne_u32_e32 25, v0
	s_cbranch_execz .LBB89_115
; %bb.112:
	v_mov_b32_e32 v1, 0
	v_dual_mov_b32 v2, 0 :: v_dual_mov_b32 v3, 0
	v_mov_b32_e32 v4, 0
	v_or_b32_e32 v7, 8, v66
	s_mov_b32 s1, 0
.LBB89_113:                             ; =>This Inner Loop Header: Depth=1
	scratch_load_b128 v[8:11], v7, off offset:-8
	ds_load_b128 v[65:68], v5
	v_add_nc_u32_e32 v6, 1, v6
	v_add_nc_u32_e32 v5, 16, v5
	;; [unrolled: 1-line block ×3, first 2 shown]
	s_delay_alu instid0(VALU_DEP_3)
	v_cmp_lt_u32_e32 vcc_lo, 23, v6
	s_wait_alu 0xfffe
	s_or_b32 s1, vcc_lo, s1
	s_wait_loadcnt_dscnt 0x0
	v_mul_f64_e32 v[69:70], v[67:68], v[10:11]
	v_mul_f64_e32 v[10:11], v[65:66], v[10:11]
	s_delay_alu instid0(VALU_DEP_2) | instskip(NEXT) | instid1(VALU_DEP_2)
	v_fma_f64 v[65:66], v[65:66], v[8:9], -v[69:70]
	v_fma_f64 v[8:9], v[67:68], v[8:9], v[10:11]
	s_delay_alu instid0(VALU_DEP_2) | instskip(NEXT) | instid1(VALU_DEP_2)
	v_add_f64_e32 v[3:4], v[3:4], v[65:66]
	v_add_f64_e32 v[1:2], v[1:2], v[8:9]
	s_wait_alu 0xfffe
	s_and_not1_b32 exec_lo, exec_lo, s1
	s_cbranch_execnz .LBB89_113
; %bb.114:
	s_or_b32 exec_lo, exec_lo, s1
	v_mov_b32_e32 v5, 0
	ds_load_b128 v[5:8], v5 offset:400
	s_wait_dscnt 0x0
	v_mul_f64_e32 v[9:10], v[1:2], v[7:8]
	v_mul_f64_e32 v[7:8], v[3:4], v[7:8]
	s_delay_alu instid0(VALU_DEP_2) | instskip(NEXT) | instid1(VALU_DEP_2)
	v_fma_f64 v[3:4], v[3:4], v[5:6], -v[9:10]
	v_fma_f64 v[5:6], v[1:2], v[5:6], v[7:8]
	scratch_store_b128 off, v[3:6], off offset:416
.LBB89_115:
	s_wait_alu 0xfffe
	s_or_b32 exec_lo, exec_lo, s0
	s_mov_b32 s1, -1
	s_wait_loadcnt 0x0
	s_wait_storecnt 0x0
	s_barrier_signal -1
	s_barrier_wait -1
	global_inv scope:SCOPE_SE
.LBB89_116:
	s_wait_alu 0xfffe
	s_and_b32 vcc_lo, exec_lo, s1
	s_wait_alu 0xfffe
	s_cbranch_vccz .LBB89_118
; %bb.117:
	v_mov_b32_e32 v1, 0
	s_lshl_b64 s[0:1], s[8:9], 2
	s_wait_alu 0xfffe
	s_add_nc_u64 s[0:1], s[6:7], s[0:1]
	global_load_b32 v1, v1, s[0:1]
	s_wait_loadcnt 0x0
	v_cmp_ne_u32_e32 vcc_lo, 0, v1
	s_cbranch_vccz .LBB89_119
.LBB89_118:
	s_nop 0
	s_sendmsg sendmsg(MSG_DEALLOC_VGPRS)
	s_endpgm
.LBB89_119:
	v_lshl_add_u32 v5, v0, 4, 0x1a0
	s_mov_b32 s0, exec_lo
	v_cmpx_eq_u32_e32 25, v0
	s_cbranch_execz .LBB89_121
; %bb.120:
	scratch_load_b128 v[1:4], off, s31
	v_mov_b32_e32 v6, 0
	s_delay_alu instid0(VALU_DEP_1)
	v_dual_mov_b32 v7, v6 :: v_dual_mov_b32 v8, v6
	v_mov_b32_e32 v9, v6
	scratch_store_b128 off, v[6:9], off offset:400
	s_wait_loadcnt 0x0
	ds_store_b128 v5, v[1:4]
.LBB89_121:
	s_wait_alu 0xfffe
	s_or_b32 exec_lo, exec_lo, s0
	s_wait_storecnt_dscnt 0x0
	s_barrier_signal -1
	s_barrier_wait -1
	global_inv scope:SCOPE_SE
	s_clause 0x1
	scratch_load_b128 v[6:9], off, off offset:416
	scratch_load_b128 v[65:68], off, off offset:400
	v_mov_b32_e32 v1, 0
	s_mov_b32 s0, exec_lo
	ds_load_b128 v[69:72], v1 offset:816
	s_wait_loadcnt_dscnt 0x100
	v_mul_f64_e32 v[2:3], v[71:72], v[8:9]
	v_mul_f64_e32 v[8:9], v[69:70], v[8:9]
	s_delay_alu instid0(VALU_DEP_2) | instskip(NEXT) | instid1(VALU_DEP_2)
	v_fma_f64 v[2:3], v[69:70], v[6:7], -v[2:3]
	v_fma_f64 v[6:7], v[71:72], v[6:7], v[8:9]
	s_delay_alu instid0(VALU_DEP_2) | instskip(NEXT) | instid1(VALU_DEP_2)
	v_add_f64_e32 v[2:3], 0, v[2:3]
	v_add_f64_e32 v[8:9], 0, v[6:7]
	s_wait_loadcnt 0x0
	s_delay_alu instid0(VALU_DEP_2) | instskip(NEXT) | instid1(VALU_DEP_2)
	v_add_f64_e64 v[6:7], v[65:66], -v[2:3]
	v_add_f64_e64 v[8:9], v[67:68], -v[8:9]
	scratch_store_b128 off, v[6:9], off offset:400
	v_cmpx_lt_u32_e32 23, v0
	s_cbranch_execz .LBB89_123
; %bb.122:
	scratch_load_b128 v[6:9], off, s18
	v_dual_mov_b32 v2, v1 :: v_dual_mov_b32 v3, v1
	v_mov_b32_e32 v4, v1
	scratch_store_b128 off, v[1:4], off offset:384
	s_wait_loadcnt 0x0
	ds_store_b128 v5, v[6:9]
.LBB89_123:
	s_wait_alu 0xfffe
	s_or_b32 exec_lo, exec_lo, s0
	s_wait_storecnt_dscnt 0x0
	s_barrier_signal -1
	s_barrier_wait -1
	global_inv scope:SCOPE_SE
	s_clause 0x2
	scratch_load_b128 v[6:9], off, off offset:400
	scratch_load_b128 v[65:68], off, off offset:416
	;; [unrolled: 1-line block ×3, first 2 shown]
	ds_load_b128 v[73:76], v1 offset:800
	ds_load_b128 v[1:4], v1 offset:816
	s_mov_b32 s0, exec_lo
	s_wait_loadcnt_dscnt 0x201
	v_mul_f64_e32 v[10:11], v[75:76], v[8:9]
	v_mul_f64_e32 v[8:9], v[73:74], v[8:9]
	s_wait_loadcnt_dscnt 0x100
	v_mul_f64_e32 v[77:78], v[1:2], v[67:68]
	v_mul_f64_e32 v[67:68], v[3:4], v[67:68]
	s_delay_alu instid0(VALU_DEP_4) | instskip(NEXT) | instid1(VALU_DEP_4)
	v_fma_f64 v[10:11], v[73:74], v[6:7], -v[10:11]
	v_fma_f64 v[6:7], v[75:76], v[6:7], v[8:9]
	s_delay_alu instid0(VALU_DEP_4) | instskip(NEXT) | instid1(VALU_DEP_4)
	v_fma_f64 v[3:4], v[3:4], v[65:66], v[77:78]
	v_fma_f64 v[1:2], v[1:2], v[65:66], -v[67:68]
	s_delay_alu instid0(VALU_DEP_4) | instskip(NEXT) | instid1(VALU_DEP_4)
	v_add_f64_e32 v[8:9], 0, v[10:11]
	v_add_f64_e32 v[6:7], 0, v[6:7]
	s_delay_alu instid0(VALU_DEP_2) | instskip(NEXT) | instid1(VALU_DEP_2)
	v_add_f64_e32 v[1:2], v[8:9], v[1:2]
	v_add_f64_e32 v[3:4], v[6:7], v[3:4]
	s_wait_loadcnt 0x0
	s_delay_alu instid0(VALU_DEP_2) | instskip(NEXT) | instid1(VALU_DEP_2)
	v_add_f64_e64 v[1:2], v[69:70], -v[1:2]
	v_add_f64_e64 v[3:4], v[71:72], -v[3:4]
	scratch_store_b128 off, v[1:4], off offset:384
	v_cmpx_lt_u32_e32 22, v0
	s_cbranch_execz .LBB89_125
; %bb.124:
	scratch_load_b128 v[1:4], off, s30
	v_mov_b32_e32 v6, 0
	s_delay_alu instid0(VALU_DEP_1)
	v_dual_mov_b32 v7, v6 :: v_dual_mov_b32 v8, v6
	v_mov_b32_e32 v9, v6
	scratch_store_b128 off, v[6:9], off offset:368
	s_wait_loadcnt 0x0
	ds_store_b128 v5, v[1:4]
.LBB89_125:
	s_wait_alu 0xfffe
	s_or_b32 exec_lo, exec_lo, s0
	s_wait_storecnt_dscnt 0x0
	s_barrier_signal -1
	s_barrier_wait -1
	global_inv scope:SCOPE_SE
	s_clause 0x3
	scratch_load_b128 v[6:9], off, off offset:384
	scratch_load_b128 v[65:68], off, off offset:400
	;; [unrolled: 1-line block ×4, first 2 shown]
	v_mov_b32_e32 v1, 0
	ds_load_b128 v[77:80], v1 offset:784
	ds_load_b128 v[81:84], v1 offset:800
	s_mov_b32 s0, exec_lo
	s_wait_loadcnt_dscnt 0x301
	v_mul_f64_e32 v[2:3], v[79:80], v[8:9]
	v_mul_f64_e32 v[8:9], v[77:78], v[8:9]
	s_wait_loadcnt_dscnt 0x200
	v_mul_f64_e32 v[10:11], v[81:82], v[67:68]
	v_mul_f64_e32 v[67:68], v[83:84], v[67:68]
	s_delay_alu instid0(VALU_DEP_4) | instskip(NEXT) | instid1(VALU_DEP_4)
	v_fma_f64 v[2:3], v[77:78], v[6:7], -v[2:3]
	v_fma_f64 v[77:78], v[79:80], v[6:7], v[8:9]
	ds_load_b128 v[6:9], v1 offset:816
	v_fma_f64 v[10:11], v[83:84], v[65:66], v[10:11]
	v_fma_f64 v[65:66], v[81:82], v[65:66], -v[67:68]
	s_wait_loadcnt_dscnt 0x100
	v_mul_f64_e32 v[79:80], v[6:7], v[71:72]
	v_mul_f64_e32 v[71:72], v[8:9], v[71:72]
	v_add_f64_e32 v[2:3], 0, v[2:3]
	v_add_f64_e32 v[67:68], 0, v[77:78]
	s_delay_alu instid0(VALU_DEP_4) | instskip(NEXT) | instid1(VALU_DEP_4)
	v_fma_f64 v[8:9], v[8:9], v[69:70], v[79:80]
	v_fma_f64 v[6:7], v[6:7], v[69:70], -v[71:72]
	s_delay_alu instid0(VALU_DEP_4) | instskip(NEXT) | instid1(VALU_DEP_4)
	v_add_f64_e32 v[2:3], v[2:3], v[65:66]
	v_add_f64_e32 v[10:11], v[67:68], v[10:11]
	s_delay_alu instid0(VALU_DEP_2) | instskip(NEXT) | instid1(VALU_DEP_2)
	v_add_f64_e32 v[2:3], v[2:3], v[6:7]
	v_add_f64_e32 v[8:9], v[10:11], v[8:9]
	s_wait_loadcnt 0x0
	s_delay_alu instid0(VALU_DEP_2) | instskip(NEXT) | instid1(VALU_DEP_2)
	v_add_f64_e64 v[6:7], v[73:74], -v[2:3]
	v_add_f64_e64 v[8:9], v[75:76], -v[8:9]
	scratch_store_b128 off, v[6:9], off offset:368
	v_cmpx_lt_u32_e32 21, v0
	s_cbranch_execz .LBB89_127
; %bb.126:
	scratch_load_b128 v[6:9], off, s17
	v_dual_mov_b32 v2, v1 :: v_dual_mov_b32 v3, v1
	v_mov_b32_e32 v4, v1
	scratch_store_b128 off, v[1:4], off offset:352
	s_wait_loadcnt 0x0
	ds_store_b128 v5, v[6:9]
.LBB89_127:
	s_wait_alu 0xfffe
	s_or_b32 exec_lo, exec_lo, s0
	s_wait_storecnt_dscnt 0x0
	s_barrier_signal -1
	s_barrier_wait -1
	global_inv scope:SCOPE_SE
	s_clause 0x4
	scratch_load_b128 v[6:9], off, off offset:368
	scratch_load_b128 v[65:68], off, off offset:384
	;; [unrolled: 1-line block ×5, first 2 shown]
	ds_load_b128 v[81:84], v1 offset:768
	ds_load_b128 v[85:88], v1 offset:784
	s_mov_b32 s0, exec_lo
	s_wait_loadcnt_dscnt 0x401
	v_mul_f64_e32 v[2:3], v[83:84], v[8:9]
	v_mul_f64_e32 v[8:9], v[81:82], v[8:9]
	s_wait_loadcnt_dscnt 0x300
	v_mul_f64_e32 v[10:11], v[85:86], v[67:68]
	v_mul_f64_e32 v[67:68], v[87:88], v[67:68]
	s_delay_alu instid0(VALU_DEP_4) | instskip(NEXT) | instid1(VALU_DEP_4)
	v_fma_f64 v[81:82], v[81:82], v[6:7], -v[2:3]
	v_fma_f64 v[83:84], v[83:84], v[6:7], v[8:9]
	ds_load_b128 v[6:9], v1 offset:800
	ds_load_b128 v[1:4], v1 offset:816
	v_fma_f64 v[10:11], v[87:88], v[65:66], v[10:11]
	v_fma_f64 v[65:66], v[85:86], v[65:66], -v[67:68]
	s_wait_loadcnt_dscnt 0x201
	v_mul_f64_e32 v[89:90], v[6:7], v[71:72]
	v_mul_f64_e32 v[71:72], v[8:9], v[71:72]
	v_add_f64_e32 v[67:68], 0, v[81:82]
	v_add_f64_e32 v[81:82], 0, v[83:84]
	s_wait_loadcnt_dscnt 0x100
	v_mul_f64_e32 v[83:84], v[1:2], v[75:76]
	v_mul_f64_e32 v[75:76], v[3:4], v[75:76]
	v_fma_f64 v[8:9], v[8:9], v[69:70], v[89:90]
	v_fma_f64 v[6:7], v[6:7], v[69:70], -v[71:72]
	v_add_f64_e32 v[65:66], v[67:68], v[65:66]
	v_add_f64_e32 v[10:11], v[81:82], v[10:11]
	v_fma_f64 v[3:4], v[3:4], v[73:74], v[83:84]
	v_fma_f64 v[1:2], v[1:2], v[73:74], -v[75:76]
	s_delay_alu instid0(VALU_DEP_4) | instskip(NEXT) | instid1(VALU_DEP_4)
	v_add_f64_e32 v[6:7], v[65:66], v[6:7]
	v_add_f64_e32 v[8:9], v[10:11], v[8:9]
	s_delay_alu instid0(VALU_DEP_2) | instskip(NEXT) | instid1(VALU_DEP_2)
	v_add_f64_e32 v[1:2], v[6:7], v[1:2]
	v_add_f64_e32 v[3:4], v[8:9], v[3:4]
	s_wait_loadcnt 0x0
	s_delay_alu instid0(VALU_DEP_2) | instskip(NEXT) | instid1(VALU_DEP_2)
	v_add_f64_e64 v[1:2], v[77:78], -v[1:2]
	v_add_f64_e64 v[3:4], v[79:80], -v[3:4]
	scratch_store_b128 off, v[1:4], off offset:352
	v_cmpx_lt_u32_e32 20, v0
	s_cbranch_execz .LBB89_129
; %bb.128:
	scratch_load_b128 v[1:4], off, s29
	v_mov_b32_e32 v6, 0
	s_delay_alu instid0(VALU_DEP_1)
	v_dual_mov_b32 v7, v6 :: v_dual_mov_b32 v8, v6
	v_mov_b32_e32 v9, v6
	scratch_store_b128 off, v[6:9], off offset:336
	s_wait_loadcnt 0x0
	ds_store_b128 v5, v[1:4]
.LBB89_129:
	s_wait_alu 0xfffe
	s_or_b32 exec_lo, exec_lo, s0
	s_wait_storecnt_dscnt 0x0
	s_barrier_signal -1
	s_barrier_wait -1
	global_inv scope:SCOPE_SE
	s_clause 0x5
	scratch_load_b128 v[6:9], off, off offset:352
	scratch_load_b128 v[65:68], off, off offset:368
	;; [unrolled: 1-line block ×6, first 2 shown]
	v_mov_b32_e32 v1, 0
	ds_load_b128 v[85:88], v1 offset:752
	ds_load_b128 v[89:92], v1 offset:768
	s_mov_b32 s0, exec_lo
	s_wait_loadcnt_dscnt 0x501
	v_mul_f64_e32 v[2:3], v[87:88], v[8:9]
	v_mul_f64_e32 v[8:9], v[85:86], v[8:9]
	s_wait_loadcnt_dscnt 0x400
	v_mul_f64_e32 v[10:11], v[89:90], v[67:68]
	v_mul_f64_e32 v[67:68], v[91:92], v[67:68]
	s_delay_alu instid0(VALU_DEP_4) | instskip(NEXT) | instid1(VALU_DEP_4)
	v_fma_f64 v[2:3], v[85:86], v[6:7], -v[2:3]
	v_fma_f64 v[93:94], v[87:88], v[6:7], v[8:9]
	ds_load_b128 v[6:9], v1 offset:784
	ds_load_b128 v[85:88], v1 offset:800
	v_fma_f64 v[10:11], v[91:92], v[65:66], v[10:11]
	v_fma_f64 v[65:66], v[89:90], v[65:66], -v[67:68]
	s_wait_loadcnt_dscnt 0x301
	v_mul_f64_e32 v[95:96], v[6:7], v[71:72]
	v_mul_f64_e32 v[71:72], v[8:9], v[71:72]
	s_wait_loadcnt_dscnt 0x200
	v_mul_f64_e32 v[89:90], v[85:86], v[75:76]
	v_mul_f64_e32 v[75:76], v[87:88], v[75:76]
	v_add_f64_e32 v[2:3], 0, v[2:3]
	v_add_f64_e32 v[67:68], 0, v[93:94]
	v_fma_f64 v[91:92], v[8:9], v[69:70], v[95:96]
	v_fma_f64 v[69:70], v[6:7], v[69:70], -v[71:72]
	ds_load_b128 v[6:9], v1 offset:816
	v_fma_f64 v[71:72], v[87:88], v[73:74], v[89:90]
	v_fma_f64 v[73:74], v[85:86], v[73:74], -v[75:76]
	v_add_f64_e32 v[2:3], v[2:3], v[65:66]
	v_add_f64_e32 v[10:11], v[67:68], v[10:11]
	s_wait_loadcnt_dscnt 0x100
	v_mul_f64_e32 v[65:66], v[6:7], v[79:80]
	v_mul_f64_e32 v[67:68], v[8:9], v[79:80]
	s_delay_alu instid0(VALU_DEP_4) | instskip(NEXT) | instid1(VALU_DEP_4)
	v_add_f64_e32 v[2:3], v[2:3], v[69:70]
	v_add_f64_e32 v[10:11], v[10:11], v[91:92]
	s_delay_alu instid0(VALU_DEP_4) | instskip(NEXT) | instid1(VALU_DEP_4)
	v_fma_f64 v[8:9], v[8:9], v[77:78], v[65:66]
	v_fma_f64 v[6:7], v[6:7], v[77:78], -v[67:68]
	s_delay_alu instid0(VALU_DEP_4) | instskip(NEXT) | instid1(VALU_DEP_4)
	v_add_f64_e32 v[2:3], v[2:3], v[73:74]
	v_add_f64_e32 v[10:11], v[10:11], v[71:72]
	s_delay_alu instid0(VALU_DEP_2) | instskip(NEXT) | instid1(VALU_DEP_2)
	v_add_f64_e32 v[2:3], v[2:3], v[6:7]
	v_add_f64_e32 v[8:9], v[10:11], v[8:9]
	s_wait_loadcnt 0x0
	s_delay_alu instid0(VALU_DEP_2) | instskip(NEXT) | instid1(VALU_DEP_2)
	v_add_f64_e64 v[6:7], v[81:82], -v[2:3]
	v_add_f64_e64 v[8:9], v[83:84], -v[8:9]
	scratch_store_b128 off, v[6:9], off offset:336
	v_cmpx_lt_u32_e32 19, v0
	s_cbranch_execz .LBB89_131
; %bb.130:
	scratch_load_b128 v[6:9], off, s16
	v_dual_mov_b32 v2, v1 :: v_dual_mov_b32 v3, v1
	v_mov_b32_e32 v4, v1
	scratch_store_b128 off, v[1:4], off offset:320
	s_wait_loadcnt 0x0
	ds_store_b128 v5, v[6:9]
.LBB89_131:
	s_wait_alu 0xfffe
	s_or_b32 exec_lo, exec_lo, s0
	s_wait_storecnt_dscnt 0x0
	s_barrier_signal -1
	s_barrier_wait -1
	global_inv scope:SCOPE_SE
	s_clause 0x5
	scratch_load_b128 v[6:9], off, off offset:336
	scratch_load_b128 v[65:68], off, off offset:352
	;; [unrolled: 1-line block ×6, first 2 shown]
	ds_load_b128 v[85:88], v1 offset:736
	ds_load_b128 v[93:96], v1 offset:752
	scratch_load_b128 v[89:92], off, off offset:320
	s_mov_b32 s0, exec_lo
	s_wait_loadcnt_dscnt 0x601
	v_mul_f64_e32 v[2:3], v[87:88], v[8:9]
	v_mul_f64_e32 v[8:9], v[85:86], v[8:9]
	s_wait_loadcnt_dscnt 0x500
	v_mul_f64_e32 v[10:11], v[93:94], v[67:68]
	v_mul_f64_e32 v[67:68], v[95:96], v[67:68]
	s_delay_alu instid0(VALU_DEP_4) | instskip(NEXT) | instid1(VALU_DEP_4)
	v_fma_f64 v[2:3], v[85:86], v[6:7], -v[2:3]
	v_fma_f64 v[97:98], v[87:88], v[6:7], v[8:9]
	ds_load_b128 v[6:9], v1 offset:768
	ds_load_b128 v[85:88], v1 offset:784
	v_fma_f64 v[10:11], v[95:96], v[65:66], v[10:11]
	v_fma_f64 v[65:66], v[93:94], v[65:66], -v[67:68]
	s_wait_loadcnt_dscnt 0x401
	v_mul_f64_e32 v[99:100], v[6:7], v[71:72]
	v_mul_f64_e32 v[71:72], v[8:9], v[71:72]
	s_wait_loadcnt_dscnt 0x300
	v_mul_f64_e32 v[93:94], v[85:86], v[75:76]
	v_mul_f64_e32 v[75:76], v[87:88], v[75:76]
	v_add_f64_e32 v[2:3], 0, v[2:3]
	v_add_f64_e32 v[67:68], 0, v[97:98]
	v_fma_f64 v[95:96], v[8:9], v[69:70], v[99:100]
	v_fma_f64 v[69:70], v[6:7], v[69:70], -v[71:72]
	s_delay_alu instid0(VALU_DEP_4) | instskip(NEXT) | instid1(VALU_DEP_4)
	v_add_f64_e32 v[65:66], v[2:3], v[65:66]
	v_add_f64_e32 v[10:11], v[67:68], v[10:11]
	ds_load_b128 v[6:9], v1 offset:800
	ds_load_b128 v[1:4], v1 offset:816
	s_wait_loadcnt_dscnt 0x201
	v_mul_f64_e32 v[67:68], v[6:7], v[79:80]
	v_mul_f64_e32 v[71:72], v[8:9], v[79:80]
	v_fma_f64 v[79:80], v[87:88], v[73:74], v[93:94]
	v_fma_f64 v[73:74], v[85:86], v[73:74], -v[75:76]
	s_wait_loadcnt_dscnt 0x100
	v_mul_f64_e32 v[75:76], v[3:4], v[83:84]
	v_add_f64_e32 v[65:66], v[65:66], v[69:70]
	v_add_f64_e32 v[10:11], v[10:11], v[95:96]
	v_mul_f64_e32 v[69:70], v[1:2], v[83:84]
	v_fma_f64 v[8:9], v[8:9], v[77:78], v[67:68]
	v_fma_f64 v[6:7], v[6:7], v[77:78], -v[71:72]
	v_fma_f64 v[1:2], v[1:2], v[81:82], -v[75:76]
	v_add_f64_e32 v[65:66], v[65:66], v[73:74]
	v_add_f64_e32 v[10:11], v[10:11], v[79:80]
	v_fma_f64 v[3:4], v[3:4], v[81:82], v[69:70]
	s_delay_alu instid0(VALU_DEP_3) | instskip(NEXT) | instid1(VALU_DEP_3)
	v_add_f64_e32 v[6:7], v[65:66], v[6:7]
	v_add_f64_e32 v[8:9], v[10:11], v[8:9]
	s_delay_alu instid0(VALU_DEP_2) | instskip(NEXT) | instid1(VALU_DEP_2)
	v_add_f64_e32 v[1:2], v[6:7], v[1:2]
	v_add_f64_e32 v[3:4], v[8:9], v[3:4]
	s_wait_loadcnt 0x0
	s_delay_alu instid0(VALU_DEP_2) | instskip(NEXT) | instid1(VALU_DEP_2)
	v_add_f64_e64 v[1:2], v[89:90], -v[1:2]
	v_add_f64_e64 v[3:4], v[91:92], -v[3:4]
	scratch_store_b128 off, v[1:4], off offset:320
	v_cmpx_lt_u32_e32 18, v0
	s_cbranch_execz .LBB89_133
; %bb.132:
	scratch_load_b128 v[1:4], off, s28
	v_mov_b32_e32 v6, 0
	s_delay_alu instid0(VALU_DEP_1)
	v_dual_mov_b32 v7, v6 :: v_dual_mov_b32 v8, v6
	v_mov_b32_e32 v9, v6
	scratch_store_b128 off, v[6:9], off offset:304
	s_wait_loadcnt 0x0
	ds_store_b128 v5, v[1:4]
.LBB89_133:
	s_wait_alu 0xfffe
	s_or_b32 exec_lo, exec_lo, s0
	s_wait_storecnt_dscnt 0x0
	s_barrier_signal -1
	s_barrier_wait -1
	global_inv scope:SCOPE_SE
	s_clause 0x6
	scratch_load_b128 v[6:9], off, off offset:320
	scratch_load_b128 v[65:68], off, off offset:336
	;; [unrolled: 1-line block ×7, first 2 shown]
	v_mov_b32_e32 v1, 0
	scratch_load_b128 v[93:96], off, off offset:304
	s_mov_b32 s0, exec_lo
	ds_load_b128 v[89:92], v1 offset:720
	ds_load_b128 v[97:100], v1 offset:736
	s_wait_loadcnt_dscnt 0x701
	v_mul_f64_e32 v[2:3], v[91:92], v[8:9]
	v_mul_f64_e32 v[8:9], v[89:90], v[8:9]
	s_wait_loadcnt_dscnt 0x600
	v_mul_f64_e32 v[10:11], v[97:98], v[67:68]
	v_mul_f64_e32 v[67:68], v[99:100], v[67:68]
	s_delay_alu instid0(VALU_DEP_4) | instskip(NEXT) | instid1(VALU_DEP_4)
	v_fma_f64 v[2:3], v[89:90], v[6:7], -v[2:3]
	v_fma_f64 v[101:102], v[91:92], v[6:7], v[8:9]
	ds_load_b128 v[6:9], v1 offset:752
	ds_load_b128 v[89:92], v1 offset:768
	v_fma_f64 v[10:11], v[99:100], v[65:66], v[10:11]
	v_fma_f64 v[65:66], v[97:98], v[65:66], -v[67:68]
	s_wait_loadcnt_dscnt 0x501
	v_mul_f64_e32 v[103:104], v[6:7], v[71:72]
	v_mul_f64_e32 v[71:72], v[8:9], v[71:72]
	s_wait_loadcnt_dscnt 0x400
	v_mul_f64_e32 v[97:98], v[89:90], v[75:76]
	v_mul_f64_e32 v[75:76], v[91:92], v[75:76]
	v_add_f64_e32 v[2:3], 0, v[2:3]
	v_add_f64_e32 v[67:68], 0, v[101:102]
	v_fma_f64 v[99:100], v[8:9], v[69:70], v[103:104]
	v_fma_f64 v[69:70], v[6:7], v[69:70], -v[71:72]
	v_fma_f64 v[91:92], v[91:92], v[73:74], v[97:98]
	v_fma_f64 v[73:74], v[89:90], v[73:74], -v[75:76]
	v_add_f64_e32 v[2:3], v[2:3], v[65:66]
	v_add_f64_e32 v[10:11], v[67:68], v[10:11]
	ds_load_b128 v[6:9], v1 offset:784
	ds_load_b128 v[65:68], v1 offset:800
	s_wait_loadcnt_dscnt 0x301
	v_mul_f64_e32 v[71:72], v[6:7], v[79:80]
	v_mul_f64_e32 v[79:80], v[8:9], v[79:80]
	s_wait_loadcnt_dscnt 0x200
	v_mul_f64_e32 v[75:76], v[67:68], v[83:84]
	v_add_f64_e32 v[2:3], v[2:3], v[69:70]
	v_add_f64_e32 v[10:11], v[10:11], v[99:100]
	v_mul_f64_e32 v[69:70], v[65:66], v[83:84]
	v_fma_f64 v[71:72], v[8:9], v[77:78], v[71:72]
	v_fma_f64 v[77:78], v[6:7], v[77:78], -v[79:80]
	ds_load_b128 v[6:9], v1 offset:816
	v_fma_f64 v[65:66], v[65:66], v[81:82], -v[75:76]
	v_add_f64_e32 v[2:3], v[2:3], v[73:74]
	v_add_f64_e32 v[10:11], v[10:11], v[91:92]
	v_fma_f64 v[67:68], v[67:68], v[81:82], v[69:70]
	s_wait_loadcnt_dscnt 0x100
	v_mul_f64_e32 v[73:74], v[6:7], v[87:88]
	v_mul_f64_e32 v[79:80], v[8:9], v[87:88]
	v_add_f64_e32 v[2:3], v[2:3], v[77:78]
	v_add_f64_e32 v[10:11], v[10:11], v[71:72]
	s_delay_alu instid0(VALU_DEP_4) | instskip(NEXT) | instid1(VALU_DEP_4)
	v_fma_f64 v[8:9], v[8:9], v[85:86], v[73:74]
	v_fma_f64 v[6:7], v[6:7], v[85:86], -v[79:80]
	s_delay_alu instid0(VALU_DEP_4) | instskip(NEXT) | instid1(VALU_DEP_4)
	v_add_f64_e32 v[2:3], v[2:3], v[65:66]
	v_add_f64_e32 v[10:11], v[10:11], v[67:68]
	s_delay_alu instid0(VALU_DEP_2) | instskip(NEXT) | instid1(VALU_DEP_2)
	v_add_f64_e32 v[2:3], v[2:3], v[6:7]
	v_add_f64_e32 v[8:9], v[10:11], v[8:9]
	s_wait_loadcnt 0x0
	s_delay_alu instid0(VALU_DEP_2) | instskip(NEXT) | instid1(VALU_DEP_2)
	v_add_f64_e64 v[6:7], v[93:94], -v[2:3]
	v_add_f64_e64 v[8:9], v[95:96], -v[8:9]
	scratch_store_b128 off, v[6:9], off offset:304
	v_cmpx_lt_u32_e32 17, v0
	s_cbranch_execz .LBB89_135
; %bb.134:
	scratch_load_b128 v[6:9], off, s15
	v_dual_mov_b32 v2, v1 :: v_dual_mov_b32 v3, v1
	v_mov_b32_e32 v4, v1
	scratch_store_b128 off, v[1:4], off offset:288
	s_wait_loadcnt 0x0
	ds_store_b128 v5, v[6:9]
.LBB89_135:
	s_wait_alu 0xfffe
	s_or_b32 exec_lo, exec_lo, s0
	s_wait_storecnt_dscnt 0x0
	s_barrier_signal -1
	s_barrier_wait -1
	global_inv scope:SCOPE_SE
	s_clause 0x7
	scratch_load_b128 v[6:9], off, off offset:304
	scratch_load_b128 v[65:68], off, off offset:320
	;; [unrolled: 1-line block ×8, first 2 shown]
	ds_load_b128 v[93:96], v1 offset:704
	ds_load_b128 v[97:100], v1 offset:720
	scratch_load_b128 v[101:104], off, off offset:288
	s_mov_b32 s0, exec_lo
	s_wait_loadcnt_dscnt 0x801
	v_mul_f64_e32 v[2:3], v[95:96], v[8:9]
	v_mul_f64_e32 v[8:9], v[93:94], v[8:9]
	s_wait_loadcnt_dscnt 0x700
	v_mul_f64_e32 v[10:11], v[97:98], v[67:68]
	v_mul_f64_e32 v[67:68], v[99:100], v[67:68]
	s_delay_alu instid0(VALU_DEP_4) | instskip(NEXT) | instid1(VALU_DEP_4)
	v_fma_f64 v[2:3], v[93:94], v[6:7], -v[2:3]
	v_fma_f64 v[105:106], v[95:96], v[6:7], v[8:9]
	ds_load_b128 v[6:9], v1 offset:736
	ds_load_b128 v[93:96], v1 offset:752
	v_fma_f64 v[10:11], v[99:100], v[65:66], v[10:11]
	v_fma_f64 v[65:66], v[97:98], v[65:66], -v[67:68]
	s_wait_loadcnt_dscnt 0x601
	v_mul_f64_e32 v[107:108], v[6:7], v[71:72]
	v_mul_f64_e32 v[71:72], v[8:9], v[71:72]
	s_wait_loadcnt_dscnt 0x500
	v_mul_f64_e32 v[97:98], v[93:94], v[75:76]
	v_mul_f64_e32 v[75:76], v[95:96], v[75:76]
	v_add_f64_e32 v[2:3], 0, v[2:3]
	v_add_f64_e32 v[67:68], 0, v[105:106]
	v_fma_f64 v[99:100], v[8:9], v[69:70], v[107:108]
	v_fma_f64 v[69:70], v[6:7], v[69:70], -v[71:72]
	v_fma_f64 v[95:96], v[95:96], v[73:74], v[97:98]
	v_fma_f64 v[73:74], v[93:94], v[73:74], -v[75:76]
	v_add_f64_e32 v[2:3], v[2:3], v[65:66]
	v_add_f64_e32 v[10:11], v[67:68], v[10:11]
	ds_load_b128 v[6:9], v1 offset:768
	ds_load_b128 v[65:68], v1 offset:784
	s_wait_loadcnt_dscnt 0x401
	v_mul_f64_e32 v[71:72], v[6:7], v[79:80]
	v_mul_f64_e32 v[79:80], v[8:9], v[79:80]
	s_wait_loadcnt_dscnt 0x300
	v_mul_f64_e32 v[75:76], v[67:68], v[83:84]
	v_add_f64_e32 v[2:3], v[2:3], v[69:70]
	v_add_f64_e32 v[10:11], v[10:11], v[99:100]
	v_mul_f64_e32 v[69:70], v[65:66], v[83:84]
	v_fma_f64 v[71:72], v[8:9], v[77:78], v[71:72]
	v_fma_f64 v[77:78], v[6:7], v[77:78], -v[79:80]
	v_fma_f64 v[65:66], v[65:66], v[81:82], -v[75:76]
	v_add_f64_e32 v[73:74], v[2:3], v[73:74]
	v_add_f64_e32 v[10:11], v[10:11], v[95:96]
	ds_load_b128 v[6:9], v1 offset:800
	ds_load_b128 v[1:4], v1 offset:816
	v_fma_f64 v[67:68], v[67:68], v[81:82], v[69:70]
	s_wait_loadcnt_dscnt 0x201
	v_mul_f64_e32 v[79:80], v[6:7], v[87:88]
	v_mul_f64_e32 v[83:84], v[8:9], v[87:88]
	v_add_f64_e32 v[69:70], v[73:74], v[77:78]
	v_add_f64_e32 v[10:11], v[10:11], v[71:72]
	s_wait_loadcnt_dscnt 0x100
	v_mul_f64_e32 v[71:72], v[1:2], v[91:92]
	v_mul_f64_e32 v[73:74], v[3:4], v[91:92]
	v_fma_f64 v[8:9], v[8:9], v[85:86], v[79:80]
	v_fma_f64 v[6:7], v[6:7], v[85:86], -v[83:84]
	v_add_f64_e32 v[65:66], v[69:70], v[65:66]
	v_add_f64_e32 v[10:11], v[10:11], v[67:68]
	v_fma_f64 v[3:4], v[3:4], v[89:90], v[71:72]
	v_fma_f64 v[1:2], v[1:2], v[89:90], -v[73:74]
	s_delay_alu instid0(VALU_DEP_4) | instskip(NEXT) | instid1(VALU_DEP_4)
	v_add_f64_e32 v[6:7], v[65:66], v[6:7]
	v_add_f64_e32 v[8:9], v[10:11], v[8:9]
	s_delay_alu instid0(VALU_DEP_2) | instskip(NEXT) | instid1(VALU_DEP_2)
	v_add_f64_e32 v[1:2], v[6:7], v[1:2]
	v_add_f64_e32 v[3:4], v[8:9], v[3:4]
	s_wait_loadcnt 0x0
	s_delay_alu instid0(VALU_DEP_2) | instskip(NEXT) | instid1(VALU_DEP_2)
	v_add_f64_e64 v[1:2], v[101:102], -v[1:2]
	v_add_f64_e64 v[3:4], v[103:104], -v[3:4]
	scratch_store_b128 off, v[1:4], off offset:288
	v_cmpx_lt_u32_e32 16, v0
	s_cbranch_execz .LBB89_137
; %bb.136:
	scratch_load_b128 v[1:4], off, s27
	v_mov_b32_e32 v6, 0
	s_delay_alu instid0(VALU_DEP_1)
	v_dual_mov_b32 v7, v6 :: v_dual_mov_b32 v8, v6
	v_mov_b32_e32 v9, v6
	scratch_store_b128 off, v[6:9], off offset:272
	s_wait_loadcnt 0x0
	ds_store_b128 v5, v[1:4]
.LBB89_137:
	s_wait_alu 0xfffe
	s_or_b32 exec_lo, exec_lo, s0
	s_wait_storecnt_dscnt 0x0
	s_barrier_signal -1
	s_barrier_wait -1
	global_inv scope:SCOPE_SE
	s_clause 0x7
	scratch_load_b128 v[6:9], off, off offset:288
	scratch_load_b128 v[65:68], off, off offset:304
	;; [unrolled: 1-line block ×8, first 2 shown]
	v_mov_b32_e32 v1, 0
	s_mov_b32 s0, exec_lo
	ds_load_b128 v[93:96], v1 offset:688
	s_clause 0x1
	scratch_load_b128 v[97:100], off, off offset:416
	scratch_load_b128 v[101:104], off, off offset:272
	ds_load_b128 v[105:108], v1 offset:704
	s_wait_loadcnt_dscnt 0x901
	v_mul_f64_e32 v[2:3], v[95:96], v[8:9]
	v_mul_f64_e32 v[8:9], v[93:94], v[8:9]
	s_wait_loadcnt_dscnt 0x800
	v_mul_f64_e32 v[10:11], v[105:106], v[67:68]
	v_mul_f64_e32 v[67:68], v[107:108], v[67:68]
	s_delay_alu instid0(VALU_DEP_4) | instskip(NEXT) | instid1(VALU_DEP_4)
	v_fma_f64 v[2:3], v[93:94], v[6:7], -v[2:3]
	v_fma_f64 v[109:110], v[95:96], v[6:7], v[8:9]
	ds_load_b128 v[6:9], v1 offset:720
	ds_load_b128 v[93:96], v1 offset:736
	v_fma_f64 v[10:11], v[107:108], v[65:66], v[10:11]
	v_fma_f64 v[65:66], v[105:106], v[65:66], -v[67:68]
	s_wait_loadcnt_dscnt 0x701
	v_mul_f64_e32 v[111:112], v[6:7], v[71:72]
	v_mul_f64_e32 v[71:72], v[8:9], v[71:72]
	s_wait_loadcnt_dscnt 0x600
	v_mul_f64_e32 v[105:106], v[93:94], v[75:76]
	v_mul_f64_e32 v[75:76], v[95:96], v[75:76]
	v_add_f64_e32 v[2:3], 0, v[2:3]
	v_add_f64_e32 v[67:68], 0, v[109:110]
	v_fma_f64 v[107:108], v[8:9], v[69:70], v[111:112]
	v_fma_f64 v[69:70], v[6:7], v[69:70], -v[71:72]
	v_fma_f64 v[95:96], v[95:96], v[73:74], v[105:106]
	v_fma_f64 v[73:74], v[93:94], v[73:74], -v[75:76]
	v_add_f64_e32 v[2:3], v[2:3], v[65:66]
	v_add_f64_e32 v[10:11], v[67:68], v[10:11]
	ds_load_b128 v[6:9], v1 offset:752
	ds_load_b128 v[65:68], v1 offset:768
	s_wait_loadcnt_dscnt 0x501
	v_mul_f64_e32 v[71:72], v[6:7], v[79:80]
	v_mul_f64_e32 v[79:80], v[8:9], v[79:80]
	s_wait_loadcnt_dscnt 0x400
	v_mul_f64_e32 v[75:76], v[65:66], v[83:84]
	v_mul_f64_e32 v[83:84], v[67:68], v[83:84]
	v_add_f64_e32 v[2:3], v[2:3], v[69:70]
	v_add_f64_e32 v[10:11], v[10:11], v[107:108]
	v_fma_f64 v[93:94], v[8:9], v[77:78], v[71:72]
	v_fma_f64 v[77:78], v[6:7], v[77:78], -v[79:80]
	ds_load_b128 v[6:9], v1 offset:784
	ds_load_b128 v[69:72], v1 offset:800
	v_fma_f64 v[67:68], v[67:68], v[81:82], v[75:76]
	v_fma_f64 v[65:66], v[65:66], v[81:82], -v[83:84]
	v_add_f64_e32 v[2:3], v[2:3], v[73:74]
	v_add_f64_e32 v[10:11], v[10:11], v[95:96]
	s_wait_loadcnt_dscnt 0x301
	v_mul_f64_e32 v[73:74], v[6:7], v[87:88]
	v_mul_f64_e32 v[79:80], v[8:9], v[87:88]
	s_wait_loadcnt_dscnt 0x200
	v_mul_f64_e32 v[75:76], v[69:70], v[91:92]
	v_add_f64_e32 v[2:3], v[2:3], v[77:78]
	v_add_f64_e32 v[10:11], v[10:11], v[93:94]
	v_mul_f64_e32 v[77:78], v[71:72], v[91:92]
	v_fma_f64 v[73:74], v[8:9], v[85:86], v[73:74]
	v_fma_f64 v[79:80], v[6:7], v[85:86], -v[79:80]
	ds_load_b128 v[6:9], v1 offset:816
	v_fma_f64 v[71:72], v[71:72], v[89:90], v[75:76]
	v_add_f64_e32 v[2:3], v[2:3], v[65:66]
	v_add_f64_e32 v[10:11], v[10:11], v[67:68]
	s_wait_loadcnt_dscnt 0x100
	v_mul_f64_e32 v[65:66], v[6:7], v[99:100]
	v_mul_f64_e32 v[67:68], v[8:9], v[99:100]
	v_fma_f64 v[69:70], v[69:70], v[89:90], -v[77:78]
	v_add_f64_e32 v[2:3], v[2:3], v[79:80]
	v_add_f64_e32 v[10:11], v[10:11], v[73:74]
	v_fma_f64 v[8:9], v[8:9], v[97:98], v[65:66]
	v_fma_f64 v[6:7], v[6:7], v[97:98], -v[67:68]
	s_delay_alu instid0(VALU_DEP_4) | instskip(NEXT) | instid1(VALU_DEP_4)
	v_add_f64_e32 v[2:3], v[2:3], v[69:70]
	v_add_f64_e32 v[10:11], v[10:11], v[71:72]
	s_delay_alu instid0(VALU_DEP_2) | instskip(NEXT) | instid1(VALU_DEP_2)
	v_add_f64_e32 v[2:3], v[2:3], v[6:7]
	v_add_f64_e32 v[8:9], v[10:11], v[8:9]
	s_wait_loadcnt 0x0
	s_delay_alu instid0(VALU_DEP_2) | instskip(NEXT) | instid1(VALU_DEP_2)
	v_add_f64_e64 v[6:7], v[101:102], -v[2:3]
	v_add_f64_e64 v[8:9], v[103:104], -v[8:9]
	scratch_store_b128 off, v[6:9], off offset:272
	v_cmpx_lt_u32_e32 15, v0
	s_cbranch_execz .LBB89_139
; %bb.138:
	scratch_load_b128 v[6:9], off, s14
	v_dual_mov_b32 v2, v1 :: v_dual_mov_b32 v3, v1
	v_mov_b32_e32 v4, v1
	scratch_store_b128 off, v[1:4], off offset:256
	s_wait_loadcnt 0x0
	ds_store_b128 v5, v[6:9]
.LBB89_139:
	s_wait_alu 0xfffe
	s_or_b32 exec_lo, exec_lo, s0
	s_wait_storecnt_dscnt 0x0
	s_barrier_signal -1
	s_barrier_wait -1
	global_inv scope:SCOPE_SE
	s_clause 0x8
	scratch_load_b128 v[6:9], off, off offset:272
	scratch_load_b128 v[65:68], off, off offset:288
	;; [unrolled: 1-line block ×9, first 2 shown]
	ds_load_b128 v[97:100], v1 offset:672
	ds_load_b128 v[101:104], v1 offset:688
	scratch_load_b128 v[105:108], off, off offset:256
	s_mov_b32 s0, exec_lo
	s_wait_loadcnt_dscnt 0x901
	v_mul_f64_e32 v[2:3], v[99:100], v[8:9]
	v_mul_f64_e32 v[109:110], v[97:98], v[8:9]
	scratch_load_b128 v[8:11], off, off offset:416
	s_wait_loadcnt_dscnt 0x900
	v_mul_f64_e32 v[113:114], v[101:102], v[67:68]
	v_mul_f64_e32 v[67:68], v[103:104], v[67:68]
	v_fma_f64 v[2:3], v[97:98], v[6:7], -v[2:3]
	v_fma_f64 v[6:7], v[99:100], v[6:7], v[109:110]
	ds_load_b128 v[97:100], v1 offset:704
	ds_load_b128 v[109:112], v1 offset:720
	v_fma_f64 v[103:104], v[103:104], v[65:66], v[113:114]
	v_fma_f64 v[65:66], v[101:102], v[65:66], -v[67:68]
	s_wait_loadcnt_dscnt 0x801
	v_mul_f64_e32 v[115:116], v[97:98], v[71:72]
	v_mul_f64_e32 v[71:72], v[99:100], v[71:72]
	s_wait_loadcnt_dscnt 0x700
	v_mul_f64_e32 v[101:102], v[109:110], v[75:76]
	v_mul_f64_e32 v[75:76], v[111:112], v[75:76]
	v_add_f64_e32 v[2:3], 0, v[2:3]
	v_add_f64_e32 v[6:7], 0, v[6:7]
	v_fma_f64 v[99:100], v[99:100], v[69:70], v[115:116]
	v_fma_f64 v[97:98], v[97:98], v[69:70], -v[71:72]
	v_fma_f64 v[101:102], v[111:112], v[73:74], v[101:102]
	v_fma_f64 v[73:74], v[109:110], v[73:74], -v[75:76]
	v_add_f64_e32 v[2:3], v[2:3], v[65:66]
	v_add_f64_e32 v[6:7], v[6:7], v[103:104]
	ds_load_b128 v[65:68], v1 offset:736
	ds_load_b128 v[69:72], v1 offset:752
	s_wait_loadcnt_dscnt 0x601
	v_mul_f64_e32 v[103:104], v[65:66], v[79:80]
	v_mul_f64_e32 v[79:80], v[67:68], v[79:80]
	v_add_f64_e32 v[2:3], v[2:3], v[97:98]
	v_add_f64_e32 v[6:7], v[6:7], v[99:100]
	s_wait_loadcnt_dscnt 0x500
	v_mul_f64_e32 v[97:98], v[69:70], v[83:84]
	v_mul_f64_e32 v[83:84], v[71:72], v[83:84]
	v_fma_f64 v[99:100], v[67:68], v[77:78], v[103:104]
	v_fma_f64 v[77:78], v[65:66], v[77:78], -v[79:80]
	v_add_f64_e32 v[2:3], v[2:3], v[73:74]
	v_add_f64_e32 v[6:7], v[6:7], v[101:102]
	ds_load_b128 v[65:68], v1 offset:768
	ds_load_b128 v[73:76], v1 offset:784
	v_fma_f64 v[71:72], v[71:72], v[81:82], v[97:98]
	v_fma_f64 v[69:70], v[69:70], v[81:82], -v[83:84]
	s_wait_loadcnt_dscnt 0x401
	v_mul_f64_e32 v[79:80], v[65:66], v[87:88]
	v_mul_f64_e32 v[87:88], v[67:68], v[87:88]
	s_wait_loadcnt_dscnt 0x300
	v_mul_f64_e32 v[81:82], v[75:76], v[91:92]
	v_add_f64_e32 v[2:3], v[2:3], v[77:78]
	v_add_f64_e32 v[6:7], v[6:7], v[99:100]
	v_mul_f64_e32 v[77:78], v[73:74], v[91:92]
	v_fma_f64 v[79:80], v[67:68], v[85:86], v[79:80]
	v_fma_f64 v[83:84], v[65:66], v[85:86], -v[87:88]
	v_fma_f64 v[73:74], v[73:74], v[89:90], -v[81:82]
	v_add_f64_e32 v[69:70], v[2:3], v[69:70]
	v_add_f64_e32 v[6:7], v[6:7], v[71:72]
	ds_load_b128 v[65:68], v1 offset:800
	ds_load_b128 v[1:4], v1 offset:816
	v_fma_f64 v[75:76], v[75:76], v[89:90], v[77:78]
	s_wait_loadcnt_dscnt 0x201
	v_mul_f64_e32 v[71:72], v[65:66], v[95:96]
	v_mul_f64_e32 v[85:86], v[67:68], v[95:96]
	v_add_f64_e32 v[69:70], v[69:70], v[83:84]
	v_add_f64_e32 v[6:7], v[6:7], v[79:80]
	s_wait_loadcnt_dscnt 0x0
	v_mul_f64_e32 v[77:78], v[1:2], v[10:11]
	v_mul_f64_e32 v[10:11], v[3:4], v[10:11]
	v_fma_f64 v[67:68], v[67:68], v[93:94], v[71:72]
	v_fma_f64 v[65:66], v[65:66], v[93:94], -v[85:86]
	v_add_f64_e32 v[69:70], v[69:70], v[73:74]
	v_add_f64_e32 v[6:7], v[6:7], v[75:76]
	v_fma_f64 v[3:4], v[3:4], v[8:9], v[77:78]
	v_fma_f64 v[1:2], v[1:2], v[8:9], -v[10:11]
	s_delay_alu instid0(VALU_DEP_4) | instskip(NEXT) | instid1(VALU_DEP_4)
	v_add_f64_e32 v[8:9], v[69:70], v[65:66]
	v_add_f64_e32 v[6:7], v[6:7], v[67:68]
	s_delay_alu instid0(VALU_DEP_2) | instskip(NEXT) | instid1(VALU_DEP_2)
	v_add_f64_e32 v[1:2], v[8:9], v[1:2]
	v_add_f64_e32 v[3:4], v[6:7], v[3:4]
	s_delay_alu instid0(VALU_DEP_2) | instskip(NEXT) | instid1(VALU_DEP_2)
	v_add_f64_e64 v[1:2], v[105:106], -v[1:2]
	v_add_f64_e64 v[3:4], v[107:108], -v[3:4]
	scratch_store_b128 off, v[1:4], off offset:256
	v_cmpx_lt_u32_e32 14, v0
	s_cbranch_execz .LBB89_141
; %bb.140:
	scratch_load_b128 v[1:4], off, s26
	v_mov_b32_e32 v6, 0
	s_delay_alu instid0(VALU_DEP_1)
	v_dual_mov_b32 v7, v6 :: v_dual_mov_b32 v8, v6
	v_mov_b32_e32 v9, v6
	scratch_store_b128 off, v[6:9], off offset:240
	s_wait_loadcnt 0x0
	ds_store_b128 v5, v[1:4]
.LBB89_141:
	s_wait_alu 0xfffe
	s_or_b32 exec_lo, exec_lo, s0
	s_wait_storecnt_dscnt 0x0
	s_barrier_signal -1
	s_barrier_wait -1
	global_inv scope:SCOPE_SE
	s_clause 0x7
	scratch_load_b128 v[6:9], off, off offset:256
	scratch_load_b128 v[65:68], off, off offset:272
	;; [unrolled: 1-line block ×8, first 2 shown]
	v_mov_b32_e32 v1, 0
	s_mov_b32 s0, exec_lo
	ds_load_b128 v[93:96], v1 offset:656
	s_clause 0x1
	scratch_load_b128 v[97:100], off, off offset:384
	scratch_load_b128 v[101:104], off, off offset:240
	ds_load_b128 v[105:108], v1 offset:672
	ds_load_b128 v[113:116], v1 offset:704
	s_wait_loadcnt_dscnt 0x902
	v_mul_f64_e32 v[2:3], v[95:96], v[8:9]
	v_mul_f64_e32 v[109:110], v[93:94], v[8:9]
	scratch_load_b128 v[8:11], off, off offset:400
	v_fma_f64 v[2:3], v[93:94], v[6:7], -v[2:3]
	v_fma_f64 v[6:7], v[95:96], v[6:7], v[109:110]
	ds_load_b128 v[93:96], v1 offset:688
	s_wait_loadcnt_dscnt 0x902
	v_mul_f64_e32 v[117:118], v[105:106], v[67:68]
	v_mul_f64_e32 v[67:68], v[107:108], v[67:68]
	scratch_load_b128 v[109:112], off, off offset:416
	s_wait_loadcnt_dscnt 0x900
	v_mul_f64_e32 v[119:120], v[93:94], v[71:72]
	v_mul_f64_e32 v[71:72], v[95:96], v[71:72]
	v_add_f64_e32 v[2:3], 0, v[2:3]
	v_add_f64_e32 v[6:7], 0, v[6:7]
	v_fma_f64 v[107:108], v[107:108], v[65:66], v[117:118]
	v_fma_f64 v[65:66], v[105:106], v[65:66], -v[67:68]
	s_wait_loadcnt 0x8
	v_mul_f64_e32 v[105:106], v[113:114], v[75:76]
	v_mul_f64_e32 v[75:76], v[115:116], v[75:76]
	v_fma_f64 v[95:96], v[95:96], v[69:70], v[119:120]
	v_fma_f64 v[93:94], v[93:94], v[69:70], -v[71:72]
	v_add_f64_e32 v[6:7], v[6:7], v[107:108]
	v_add_f64_e32 v[2:3], v[2:3], v[65:66]
	ds_load_b128 v[65:68], v1 offset:720
	ds_load_b128 v[69:72], v1 offset:736
	v_fma_f64 v[105:106], v[115:116], v[73:74], v[105:106]
	v_fma_f64 v[73:74], v[113:114], v[73:74], -v[75:76]
	s_wait_loadcnt_dscnt 0x701
	v_mul_f64_e32 v[107:108], v[65:66], v[79:80]
	v_mul_f64_e32 v[79:80], v[67:68], v[79:80]
	v_add_f64_e32 v[6:7], v[6:7], v[95:96]
	v_add_f64_e32 v[2:3], v[2:3], v[93:94]
	s_wait_loadcnt_dscnt 0x600
	v_mul_f64_e32 v[93:94], v[69:70], v[83:84]
	v_mul_f64_e32 v[83:84], v[71:72], v[83:84]
	v_fma_f64 v[95:96], v[67:68], v[77:78], v[107:108]
	v_fma_f64 v[77:78], v[65:66], v[77:78], -v[79:80]
	v_add_f64_e32 v[6:7], v[6:7], v[105:106]
	v_add_f64_e32 v[2:3], v[2:3], v[73:74]
	ds_load_b128 v[65:68], v1 offset:752
	ds_load_b128 v[73:76], v1 offset:768
	v_fma_f64 v[71:72], v[71:72], v[81:82], v[93:94]
	v_fma_f64 v[69:70], v[69:70], v[81:82], -v[83:84]
	s_wait_loadcnt_dscnt 0x501
	v_mul_f64_e32 v[79:80], v[65:66], v[87:88]
	v_mul_f64_e32 v[87:88], v[67:68], v[87:88]
	s_wait_loadcnt_dscnt 0x400
	v_mul_f64_e32 v[81:82], v[75:76], v[91:92]
	v_add_f64_e32 v[6:7], v[6:7], v[95:96]
	v_add_f64_e32 v[2:3], v[2:3], v[77:78]
	v_mul_f64_e32 v[77:78], v[73:74], v[91:92]
	v_fma_f64 v[79:80], v[67:68], v[85:86], v[79:80]
	v_fma_f64 v[83:84], v[65:66], v[85:86], -v[87:88]
	v_fma_f64 v[73:74], v[73:74], v[89:90], -v[81:82]
	v_add_f64_e32 v[6:7], v[6:7], v[71:72]
	v_add_f64_e32 v[2:3], v[2:3], v[69:70]
	ds_load_b128 v[65:68], v1 offset:784
	ds_load_b128 v[69:72], v1 offset:800
	v_fma_f64 v[75:76], v[75:76], v[89:90], v[77:78]
	s_wait_loadcnt_dscnt 0x301
	v_mul_f64_e32 v[85:86], v[65:66], v[99:100]
	v_mul_f64_e32 v[87:88], v[67:68], v[99:100]
	v_add_f64_e32 v[6:7], v[6:7], v[79:80]
	v_add_f64_e32 v[2:3], v[2:3], v[83:84]
	s_wait_loadcnt_dscnt 0x100
	v_mul_f64_e32 v[77:78], v[69:70], v[10:11]
	v_mul_f64_e32 v[10:11], v[71:72], v[10:11]
	v_fma_f64 v[79:80], v[67:68], v[97:98], v[85:86]
	v_fma_f64 v[81:82], v[65:66], v[97:98], -v[87:88]
	ds_load_b128 v[65:68], v1 offset:816
	v_add_f64_e32 v[6:7], v[6:7], v[75:76]
	v_add_f64_e32 v[2:3], v[2:3], v[73:74]
	v_fma_f64 v[71:72], v[71:72], v[8:9], v[77:78]
	v_fma_f64 v[8:9], v[69:70], v[8:9], -v[10:11]
	s_wait_loadcnt_dscnt 0x0
	v_mul_f64_e32 v[73:74], v[65:66], v[111:112]
	v_mul_f64_e32 v[75:76], v[67:68], v[111:112]
	v_add_f64_e32 v[6:7], v[6:7], v[79:80]
	v_add_f64_e32 v[2:3], v[2:3], v[81:82]
	s_delay_alu instid0(VALU_DEP_4) | instskip(NEXT) | instid1(VALU_DEP_4)
	v_fma_f64 v[10:11], v[67:68], v[109:110], v[73:74]
	v_fma_f64 v[65:66], v[65:66], v[109:110], -v[75:76]
	s_delay_alu instid0(VALU_DEP_4) | instskip(NEXT) | instid1(VALU_DEP_4)
	v_add_f64_e32 v[6:7], v[6:7], v[71:72]
	v_add_f64_e32 v[2:3], v[2:3], v[8:9]
	s_delay_alu instid0(VALU_DEP_2) | instskip(NEXT) | instid1(VALU_DEP_2)
	v_add_f64_e32 v[8:9], v[6:7], v[10:11]
	v_add_f64_e32 v[2:3], v[2:3], v[65:66]
	s_delay_alu instid0(VALU_DEP_2) | instskip(NEXT) | instid1(VALU_DEP_2)
	v_add_f64_e64 v[8:9], v[103:104], -v[8:9]
	v_add_f64_e64 v[6:7], v[101:102], -v[2:3]
	scratch_store_b128 off, v[6:9], off offset:240
	v_cmpx_lt_u32_e32 13, v0
	s_cbranch_execz .LBB89_143
; %bb.142:
	scratch_load_b128 v[6:9], off, s13
	v_dual_mov_b32 v2, v1 :: v_dual_mov_b32 v3, v1
	v_mov_b32_e32 v4, v1
	scratch_store_b128 off, v[1:4], off offset:224
	s_wait_loadcnt 0x0
	ds_store_b128 v5, v[6:9]
.LBB89_143:
	s_wait_alu 0xfffe
	s_or_b32 exec_lo, exec_lo, s0
	s_wait_storecnt_dscnt 0x0
	s_barrier_signal -1
	s_barrier_wait -1
	global_inv scope:SCOPE_SE
	s_clause 0x8
	scratch_load_b128 v[6:9], off, off offset:240
	scratch_load_b128 v[65:68], off, off offset:256
	;; [unrolled: 1-line block ×9, first 2 shown]
	ds_load_b128 v[97:100], v1 offset:640
	ds_load_b128 v[101:104], v1 offset:656
	scratch_load_b128 v[105:108], off, off offset:224
	s_mov_b32 s0, exec_lo
	ds_load_b128 v[113:116], v1 offset:688
	s_wait_loadcnt_dscnt 0x902
	v_mul_f64_e32 v[2:3], v[99:100], v[8:9]
	v_mul_f64_e32 v[109:110], v[97:98], v[8:9]
	scratch_load_b128 v[8:11], off, off offset:384
	s_wait_loadcnt_dscnt 0x901
	v_mul_f64_e32 v[117:118], v[101:102], v[67:68]
	v_mul_f64_e32 v[67:68], v[103:104], v[67:68]
	v_fma_f64 v[2:3], v[97:98], v[6:7], -v[2:3]
	v_fma_f64 v[6:7], v[99:100], v[6:7], v[109:110]
	ds_load_b128 v[97:100], v1 offset:672
	scratch_load_b128 v[109:112], off, off offset:400
	v_fma_f64 v[103:104], v[103:104], v[65:66], v[117:118]
	v_fma_f64 v[101:102], v[101:102], v[65:66], -v[67:68]
	scratch_load_b128 v[65:68], off, off offset:416
	s_wait_loadcnt_dscnt 0x901
	v_mul_f64_e32 v[117:118], v[113:114], v[75:76]
	v_mul_f64_e32 v[75:76], v[115:116], v[75:76]
	s_wait_dscnt 0x0
	v_mul_f64_e32 v[119:120], v[97:98], v[71:72]
	v_mul_f64_e32 v[71:72], v[99:100], v[71:72]
	v_add_f64_e32 v[2:3], 0, v[2:3]
	v_add_f64_e32 v[6:7], 0, v[6:7]
	s_delay_alu instid0(VALU_DEP_4) | instskip(NEXT) | instid1(VALU_DEP_4)
	v_fma_f64 v[119:120], v[99:100], v[69:70], v[119:120]
	v_fma_f64 v[121:122], v[97:98], v[69:70], -v[71:72]
	ds_load_b128 v[69:72], v1 offset:704
	ds_load_b128 v[97:100], v1 offset:720
	v_add_f64_e32 v[2:3], v[2:3], v[101:102]
	v_add_f64_e32 v[6:7], v[6:7], v[103:104]
	v_fma_f64 v[103:104], v[115:116], v[73:74], v[117:118]
	v_fma_f64 v[73:74], v[113:114], v[73:74], -v[75:76]
	s_wait_loadcnt_dscnt 0x801
	v_mul_f64_e32 v[101:102], v[69:70], v[79:80]
	v_mul_f64_e32 v[79:80], v[71:72], v[79:80]
	s_wait_loadcnt_dscnt 0x700
	v_mul_f64_e32 v[113:114], v[97:98], v[83:84]
	v_mul_f64_e32 v[83:84], v[99:100], v[83:84]
	v_add_f64_e32 v[2:3], v[2:3], v[121:122]
	v_add_f64_e32 v[6:7], v[6:7], v[119:120]
	v_fma_f64 v[101:102], v[71:72], v[77:78], v[101:102]
	v_fma_f64 v[77:78], v[69:70], v[77:78], -v[79:80]
	v_fma_f64 v[99:100], v[99:100], v[81:82], v[113:114]
	v_fma_f64 v[81:82], v[97:98], v[81:82], -v[83:84]
	v_add_f64_e32 v[2:3], v[2:3], v[73:74]
	v_add_f64_e32 v[6:7], v[6:7], v[103:104]
	ds_load_b128 v[69:72], v1 offset:736
	ds_load_b128 v[73:76], v1 offset:752
	s_wait_loadcnt_dscnt 0x601
	v_mul_f64_e32 v[79:80], v[69:70], v[87:88]
	v_mul_f64_e32 v[87:88], v[71:72], v[87:88]
	s_wait_loadcnt_dscnt 0x500
	v_mul_f64_e32 v[83:84], v[73:74], v[91:92]
	v_mul_f64_e32 v[91:92], v[75:76], v[91:92]
	v_add_f64_e32 v[2:3], v[2:3], v[77:78]
	v_add_f64_e32 v[6:7], v[6:7], v[101:102]
	v_fma_f64 v[97:98], v[71:72], v[85:86], v[79:80]
	v_fma_f64 v[85:86], v[69:70], v[85:86], -v[87:88]
	ds_load_b128 v[69:72], v1 offset:768
	ds_load_b128 v[77:80], v1 offset:784
	v_fma_f64 v[75:76], v[75:76], v[89:90], v[83:84]
	v_fma_f64 v[73:74], v[73:74], v[89:90], -v[91:92]
	v_add_f64_e32 v[2:3], v[2:3], v[81:82]
	v_add_f64_e32 v[6:7], v[6:7], v[99:100]
	s_wait_loadcnt_dscnt 0x401
	v_mul_f64_e32 v[81:82], v[69:70], v[95:96]
	v_mul_f64_e32 v[87:88], v[71:72], v[95:96]
	s_delay_alu instid0(VALU_DEP_4) | instskip(NEXT) | instid1(VALU_DEP_4)
	v_add_f64_e32 v[2:3], v[2:3], v[85:86]
	v_add_f64_e32 v[6:7], v[6:7], v[97:98]
	s_delay_alu instid0(VALU_DEP_4) | instskip(NEXT) | instid1(VALU_DEP_4)
	v_fma_f64 v[81:82], v[71:72], v[93:94], v[81:82]
	v_fma_f64 v[85:86], v[69:70], v[93:94], -v[87:88]
	s_wait_loadcnt_dscnt 0x200
	v_mul_f64_e32 v[83:84], v[77:78], v[10:11]
	v_mul_f64_e32 v[10:11], v[79:80], v[10:11]
	v_add_f64_e32 v[73:74], v[2:3], v[73:74]
	v_add_f64_e32 v[6:7], v[6:7], v[75:76]
	ds_load_b128 v[69:72], v1 offset:800
	ds_load_b128 v[1:4], v1 offset:816
	v_fma_f64 v[79:80], v[79:80], v[8:9], v[83:84]
	v_fma_f64 v[8:9], v[77:78], v[8:9], -v[10:11]
	s_wait_loadcnt_dscnt 0x101
	v_mul_f64_e32 v[75:76], v[69:70], v[111:112]
	v_mul_f64_e32 v[87:88], v[71:72], v[111:112]
	v_add_f64_e32 v[10:11], v[73:74], v[85:86]
	v_add_f64_e32 v[6:7], v[6:7], v[81:82]
	s_wait_loadcnt_dscnt 0x0
	v_mul_f64_e32 v[73:74], v[1:2], v[67:68]
	v_mul_f64_e32 v[67:68], v[3:4], v[67:68]
	v_fma_f64 v[71:72], v[71:72], v[109:110], v[75:76]
	v_fma_f64 v[69:70], v[69:70], v[109:110], -v[87:88]
	v_add_f64_e32 v[8:9], v[10:11], v[8:9]
	v_add_f64_e32 v[6:7], v[6:7], v[79:80]
	v_fma_f64 v[3:4], v[3:4], v[65:66], v[73:74]
	v_fma_f64 v[1:2], v[1:2], v[65:66], -v[67:68]
	s_delay_alu instid0(VALU_DEP_4) | instskip(NEXT) | instid1(VALU_DEP_4)
	v_add_f64_e32 v[8:9], v[8:9], v[69:70]
	v_add_f64_e32 v[6:7], v[6:7], v[71:72]
	s_delay_alu instid0(VALU_DEP_2) | instskip(NEXT) | instid1(VALU_DEP_2)
	v_add_f64_e32 v[1:2], v[8:9], v[1:2]
	v_add_f64_e32 v[3:4], v[6:7], v[3:4]
	s_delay_alu instid0(VALU_DEP_2) | instskip(NEXT) | instid1(VALU_DEP_2)
	v_add_f64_e64 v[1:2], v[105:106], -v[1:2]
	v_add_f64_e64 v[3:4], v[107:108], -v[3:4]
	scratch_store_b128 off, v[1:4], off offset:224
	v_cmpx_lt_u32_e32 12, v0
	s_cbranch_execz .LBB89_145
; %bb.144:
	scratch_load_b128 v[1:4], off, s25
	v_mov_b32_e32 v6, 0
	s_delay_alu instid0(VALU_DEP_1)
	v_dual_mov_b32 v7, v6 :: v_dual_mov_b32 v8, v6
	v_mov_b32_e32 v9, v6
	scratch_store_b128 off, v[6:9], off offset:208
	s_wait_loadcnt 0x0
	ds_store_b128 v5, v[1:4]
.LBB89_145:
	s_wait_alu 0xfffe
	s_or_b32 exec_lo, exec_lo, s0
	s_wait_storecnt_dscnt 0x0
	s_barrier_signal -1
	s_barrier_wait -1
	global_inv scope:SCOPE_SE
	s_clause 0x7
	scratch_load_b128 v[6:9], off, off offset:224
	scratch_load_b128 v[65:68], off, off offset:240
	;; [unrolled: 1-line block ×8, first 2 shown]
	v_mov_b32_e32 v1, 0
	s_mov_b32 s0, exec_lo
	ds_load_b128 v[93:96], v1 offset:624
	s_clause 0x1
	scratch_load_b128 v[97:100], off, off offset:352
	scratch_load_b128 v[101:104], off, off offset:208
	ds_load_b128 v[105:108], v1 offset:640
	ds_load_b128 v[113:116], v1 offset:672
	s_wait_loadcnt_dscnt 0x902
	v_mul_f64_e32 v[2:3], v[95:96], v[8:9]
	v_mul_f64_e32 v[109:110], v[93:94], v[8:9]
	scratch_load_b128 v[8:11], off, off offset:368
	v_fma_f64 v[2:3], v[93:94], v[6:7], -v[2:3]
	v_fma_f64 v[6:7], v[95:96], v[6:7], v[109:110]
	ds_load_b128 v[93:96], v1 offset:656
	s_wait_loadcnt_dscnt 0x902
	v_mul_f64_e32 v[117:118], v[105:106], v[67:68]
	v_mul_f64_e32 v[67:68], v[107:108], v[67:68]
	scratch_load_b128 v[109:112], off, off offset:384
	s_wait_loadcnt_dscnt 0x900
	v_mul_f64_e32 v[119:120], v[93:94], v[71:72]
	v_mul_f64_e32 v[71:72], v[95:96], v[71:72]
	v_add_f64_e32 v[2:3], 0, v[2:3]
	v_add_f64_e32 v[6:7], 0, v[6:7]
	v_fma_f64 v[107:108], v[107:108], v[65:66], v[117:118]
	v_fma_f64 v[105:106], v[105:106], v[65:66], -v[67:68]
	scratch_load_b128 v[65:68], off, off offset:400
	v_fma_f64 v[119:120], v[95:96], v[69:70], v[119:120]
	v_fma_f64 v[121:122], v[93:94], v[69:70], -v[71:72]
	ds_load_b128 v[69:72], v1 offset:688
	s_wait_loadcnt 0x9
	v_mul_f64_e32 v[117:118], v[113:114], v[75:76]
	v_mul_f64_e32 v[75:76], v[115:116], v[75:76]
	scratch_load_b128 v[93:96], off, off offset:416
	v_add_f64_e32 v[6:7], v[6:7], v[107:108]
	v_add_f64_e32 v[2:3], v[2:3], v[105:106]
	ds_load_b128 v[105:108], v1 offset:704
	s_wait_loadcnt_dscnt 0x901
	v_mul_f64_e32 v[123:124], v[69:70], v[79:80]
	v_mul_f64_e32 v[79:80], v[71:72], v[79:80]
	v_fma_f64 v[115:116], v[115:116], v[73:74], v[117:118]
	v_fma_f64 v[73:74], v[113:114], v[73:74], -v[75:76]
	s_wait_loadcnt_dscnt 0x800
	v_mul_f64_e32 v[113:114], v[105:106], v[83:84]
	v_mul_f64_e32 v[83:84], v[107:108], v[83:84]
	v_add_f64_e32 v[6:7], v[6:7], v[119:120]
	v_add_f64_e32 v[2:3], v[2:3], v[121:122]
	v_fma_f64 v[117:118], v[71:72], v[77:78], v[123:124]
	v_fma_f64 v[77:78], v[69:70], v[77:78], -v[79:80]
	v_fma_f64 v[107:108], v[107:108], v[81:82], v[113:114]
	v_fma_f64 v[81:82], v[105:106], v[81:82], -v[83:84]
	v_add_f64_e32 v[6:7], v[6:7], v[115:116]
	v_add_f64_e32 v[2:3], v[2:3], v[73:74]
	ds_load_b128 v[69:72], v1 offset:720
	ds_load_b128 v[73:76], v1 offset:736
	s_wait_loadcnt_dscnt 0x701
	v_mul_f64_e32 v[79:80], v[69:70], v[87:88]
	v_mul_f64_e32 v[87:88], v[71:72], v[87:88]
	s_wait_loadcnt_dscnt 0x600
	v_mul_f64_e32 v[83:84], v[73:74], v[91:92]
	v_mul_f64_e32 v[91:92], v[75:76], v[91:92]
	v_add_f64_e32 v[6:7], v[6:7], v[117:118]
	v_add_f64_e32 v[2:3], v[2:3], v[77:78]
	v_fma_f64 v[105:106], v[71:72], v[85:86], v[79:80]
	v_fma_f64 v[85:86], v[69:70], v[85:86], -v[87:88]
	ds_load_b128 v[69:72], v1 offset:752
	ds_load_b128 v[77:80], v1 offset:768
	v_fma_f64 v[75:76], v[75:76], v[89:90], v[83:84]
	v_fma_f64 v[73:74], v[73:74], v[89:90], -v[91:92]
	v_add_f64_e32 v[6:7], v[6:7], v[107:108]
	v_add_f64_e32 v[2:3], v[2:3], v[81:82]
	s_wait_loadcnt_dscnt 0x501
	v_mul_f64_e32 v[81:82], v[69:70], v[99:100]
	v_mul_f64_e32 v[87:88], v[71:72], v[99:100]
	s_delay_alu instid0(VALU_DEP_4) | instskip(NEXT) | instid1(VALU_DEP_4)
	v_add_f64_e32 v[6:7], v[6:7], v[105:106]
	v_add_f64_e32 v[2:3], v[2:3], v[85:86]
	s_delay_alu instid0(VALU_DEP_4) | instskip(NEXT) | instid1(VALU_DEP_4)
	v_fma_f64 v[81:82], v[71:72], v[97:98], v[81:82]
	v_fma_f64 v[85:86], v[69:70], v[97:98], -v[87:88]
	s_wait_loadcnt_dscnt 0x300
	v_mul_f64_e32 v[83:84], v[77:78], v[10:11]
	v_mul_f64_e32 v[10:11], v[79:80], v[10:11]
	v_add_f64_e32 v[6:7], v[6:7], v[75:76]
	v_add_f64_e32 v[2:3], v[2:3], v[73:74]
	ds_load_b128 v[69:72], v1 offset:784
	ds_load_b128 v[73:76], v1 offset:800
	v_fma_f64 v[79:80], v[79:80], v[8:9], v[83:84]
	v_fma_f64 v[8:9], v[77:78], v[8:9], -v[10:11]
	s_wait_loadcnt_dscnt 0x201
	v_mul_f64_e32 v[87:88], v[69:70], v[111:112]
	v_mul_f64_e32 v[89:90], v[71:72], v[111:112]
	v_add_f64_e32 v[6:7], v[6:7], v[81:82]
	v_add_f64_e32 v[2:3], v[2:3], v[85:86]
	s_wait_loadcnt_dscnt 0x100
	v_mul_f64_e32 v[10:11], v[73:74], v[67:68]
	v_mul_f64_e32 v[67:68], v[75:76], v[67:68]
	v_fma_f64 v[71:72], v[71:72], v[109:110], v[87:88]
	v_fma_f64 v[69:70], v[69:70], v[109:110], -v[89:90]
	v_add_f64_e32 v[77:78], v[6:7], v[79:80]
	v_add_f64_e32 v[2:3], v[2:3], v[8:9]
	ds_load_b128 v[6:9], v1 offset:816
	v_fma_f64 v[10:11], v[75:76], v[65:66], v[10:11]
	v_fma_f64 v[65:66], v[73:74], v[65:66], -v[67:68]
	s_wait_loadcnt_dscnt 0x0
	v_mul_f64_e32 v[79:80], v[6:7], v[95:96]
	v_mul_f64_e32 v[81:82], v[8:9], v[95:96]
	v_add_f64_e32 v[67:68], v[77:78], v[71:72]
	v_add_f64_e32 v[2:3], v[2:3], v[69:70]
	s_delay_alu instid0(VALU_DEP_4) | instskip(NEXT) | instid1(VALU_DEP_4)
	v_fma_f64 v[8:9], v[8:9], v[93:94], v[79:80]
	v_fma_f64 v[6:7], v[6:7], v[93:94], -v[81:82]
	s_delay_alu instid0(VALU_DEP_4) | instskip(NEXT) | instid1(VALU_DEP_4)
	v_add_f64_e32 v[10:11], v[67:68], v[10:11]
	v_add_f64_e32 v[2:3], v[2:3], v[65:66]
	s_delay_alu instid0(VALU_DEP_2) | instskip(NEXT) | instid1(VALU_DEP_2)
	v_add_f64_e32 v[8:9], v[10:11], v[8:9]
	v_add_f64_e32 v[2:3], v[2:3], v[6:7]
	s_delay_alu instid0(VALU_DEP_2) | instskip(NEXT) | instid1(VALU_DEP_2)
	v_add_f64_e64 v[8:9], v[103:104], -v[8:9]
	v_add_f64_e64 v[6:7], v[101:102], -v[2:3]
	scratch_store_b128 off, v[6:9], off offset:208
	v_cmpx_lt_u32_e32 11, v0
	s_cbranch_execz .LBB89_147
; %bb.146:
	scratch_load_b128 v[6:9], off, s11
	v_dual_mov_b32 v2, v1 :: v_dual_mov_b32 v3, v1
	v_mov_b32_e32 v4, v1
	scratch_store_b128 off, v[1:4], off offset:192
	s_wait_loadcnt 0x0
	ds_store_b128 v5, v[6:9]
.LBB89_147:
	s_wait_alu 0xfffe
	s_or_b32 exec_lo, exec_lo, s0
	s_wait_storecnt_dscnt 0x0
	s_barrier_signal -1
	s_barrier_wait -1
	global_inv scope:SCOPE_SE
	s_clause 0x8
	scratch_load_b128 v[6:9], off, off offset:208
	scratch_load_b128 v[65:68], off, off offset:224
	scratch_load_b128 v[69:72], off, off offset:240
	scratch_load_b128 v[73:76], off, off offset:256
	scratch_load_b128 v[77:80], off, off offset:272
	scratch_load_b128 v[81:84], off, off offset:288
	scratch_load_b128 v[85:88], off, off offset:304
	scratch_load_b128 v[89:92], off, off offset:320
	scratch_load_b128 v[93:96], off, off offset:336
	ds_load_b128 v[97:100], v1 offset:608
	ds_load_b128 v[101:104], v1 offset:624
	scratch_load_b128 v[105:108], off, off offset:192
	s_mov_b32 s0, exec_lo
	ds_load_b128 v[113:116], v1 offset:656
	s_wait_loadcnt_dscnt 0x902
	v_mul_f64_e32 v[2:3], v[99:100], v[8:9]
	v_mul_f64_e32 v[109:110], v[97:98], v[8:9]
	scratch_load_b128 v[8:11], off, off offset:352
	s_wait_loadcnt_dscnt 0x901
	v_mul_f64_e32 v[117:118], v[101:102], v[67:68]
	v_mul_f64_e32 v[67:68], v[103:104], v[67:68]
	v_fma_f64 v[2:3], v[97:98], v[6:7], -v[2:3]
	v_fma_f64 v[6:7], v[99:100], v[6:7], v[109:110]
	ds_load_b128 v[97:100], v1 offset:640
	scratch_load_b128 v[109:112], off, off offset:368
	v_fma_f64 v[103:104], v[103:104], v[65:66], v[117:118]
	v_fma_f64 v[101:102], v[101:102], v[65:66], -v[67:68]
	scratch_load_b128 v[65:68], off, off offset:384
	s_wait_loadcnt_dscnt 0x901
	v_mul_f64_e32 v[117:118], v[113:114], v[75:76]
	v_mul_f64_e32 v[75:76], v[115:116], v[75:76]
	s_wait_dscnt 0x0
	v_mul_f64_e32 v[119:120], v[97:98], v[71:72]
	v_mul_f64_e32 v[71:72], v[99:100], v[71:72]
	v_add_f64_e32 v[2:3], 0, v[2:3]
	v_add_f64_e32 v[6:7], 0, v[6:7]
	v_fma_f64 v[115:116], v[115:116], v[73:74], v[117:118]
	v_fma_f64 v[113:114], v[113:114], v[73:74], -v[75:76]
	scratch_load_b128 v[73:76], off, off offset:416
	v_fma_f64 v[119:120], v[99:100], v[69:70], v[119:120]
	v_fma_f64 v[121:122], v[97:98], v[69:70], -v[71:72]
	ds_load_b128 v[69:72], v1 offset:672
	scratch_load_b128 v[97:100], off, off offset:400
	v_add_f64_e32 v[2:3], v[2:3], v[101:102]
	v_add_f64_e32 v[6:7], v[6:7], v[103:104]
	ds_load_b128 v[101:104], v1 offset:688
	s_wait_loadcnt_dscnt 0xa01
	v_mul_f64_e32 v[123:124], v[69:70], v[79:80]
	v_mul_f64_e32 v[79:80], v[71:72], v[79:80]
	s_wait_loadcnt_dscnt 0x900
	v_mul_f64_e32 v[117:118], v[101:102], v[83:84]
	v_mul_f64_e32 v[83:84], v[103:104], v[83:84]
	v_add_f64_e32 v[2:3], v[2:3], v[121:122]
	v_add_f64_e32 v[6:7], v[6:7], v[119:120]
	v_fma_f64 v[119:120], v[71:72], v[77:78], v[123:124]
	v_fma_f64 v[121:122], v[69:70], v[77:78], -v[79:80]
	ds_load_b128 v[69:72], v1 offset:704
	ds_load_b128 v[77:80], v1 offset:720
	v_fma_f64 v[103:104], v[103:104], v[81:82], v[117:118]
	v_fma_f64 v[81:82], v[101:102], v[81:82], -v[83:84]
	s_wait_loadcnt_dscnt 0x700
	v_mul_f64_e32 v[101:102], v[77:78], v[91:92]
	v_mul_f64_e32 v[91:92], v[79:80], v[91:92]
	v_add_f64_e32 v[2:3], v[2:3], v[113:114]
	v_add_f64_e32 v[6:7], v[6:7], v[115:116]
	v_mul_f64_e32 v[113:114], v[69:70], v[87:88]
	v_mul_f64_e32 v[87:88], v[71:72], v[87:88]
	v_fma_f64 v[79:80], v[79:80], v[89:90], v[101:102]
	v_fma_f64 v[77:78], v[77:78], v[89:90], -v[91:92]
	v_add_f64_e32 v[2:3], v[2:3], v[121:122]
	v_add_f64_e32 v[6:7], v[6:7], v[119:120]
	v_fma_f64 v[113:114], v[71:72], v[85:86], v[113:114]
	v_fma_f64 v[85:86], v[69:70], v[85:86], -v[87:88]
	s_delay_alu instid0(VALU_DEP_4) | instskip(NEXT) | instid1(VALU_DEP_4)
	v_add_f64_e32 v[2:3], v[2:3], v[81:82]
	v_add_f64_e32 v[6:7], v[6:7], v[103:104]
	ds_load_b128 v[69:72], v1 offset:736
	ds_load_b128 v[81:84], v1 offset:752
	s_wait_loadcnt_dscnt 0x601
	v_mul_f64_e32 v[87:88], v[69:70], v[95:96]
	v_mul_f64_e32 v[95:96], v[71:72], v[95:96]
	v_add_f64_e32 v[2:3], v[2:3], v[85:86]
	v_add_f64_e32 v[6:7], v[6:7], v[113:114]
	s_wait_loadcnt_dscnt 0x400
	v_mul_f64_e32 v[85:86], v[81:82], v[10:11]
	v_mul_f64_e32 v[10:11], v[83:84], v[10:11]
	v_fma_f64 v[87:88], v[71:72], v[93:94], v[87:88]
	v_fma_f64 v[89:90], v[69:70], v[93:94], -v[95:96]
	v_add_f64_e32 v[2:3], v[2:3], v[77:78]
	v_add_f64_e32 v[6:7], v[6:7], v[79:80]
	ds_load_b128 v[69:72], v1 offset:768
	ds_load_b128 v[77:80], v1 offset:784
	v_fma_f64 v[83:84], v[83:84], v[8:9], v[85:86]
	v_fma_f64 v[8:9], v[81:82], v[8:9], -v[10:11]
	s_wait_loadcnt_dscnt 0x301
	v_mul_f64_e32 v[91:92], v[69:70], v[111:112]
	v_mul_f64_e32 v[93:94], v[71:72], v[111:112]
	s_wait_loadcnt_dscnt 0x200
	v_mul_f64_e32 v[10:11], v[77:78], v[67:68]
	v_mul_f64_e32 v[67:68], v[79:80], v[67:68]
	v_add_f64_e32 v[2:3], v[2:3], v[89:90]
	v_add_f64_e32 v[6:7], v[6:7], v[87:88]
	v_fma_f64 v[71:72], v[71:72], v[109:110], v[91:92]
	v_fma_f64 v[69:70], v[69:70], v[109:110], -v[93:94]
	v_fma_f64 v[10:11], v[79:80], v[65:66], v[10:11]
	v_fma_f64 v[65:66], v[77:78], v[65:66], -v[67:68]
	v_add_f64_e32 v[81:82], v[2:3], v[8:9]
	v_add_f64_e32 v[83:84], v[6:7], v[83:84]
	ds_load_b128 v[6:9], v1 offset:800
	ds_load_b128 v[1:4], v1 offset:816
	s_wait_loadcnt_dscnt 0x1
	v_mul_f64_e32 v[85:86], v[6:7], v[99:100]
	v_mul_f64_e32 v[87:88], v[8:9], v[99:100]
	v_add_f64_e32 v[67:68], v[81:82], v[69:70]
	v_add_f64_e32 v[69:70], v[83:84], v[71:72]
	s_wait_dscnt 0x0
	v_mul_f64_e32 v[71:72], v[1:2], v[75:76]
	v_mul_f64_e32 v[75:76], v[3:4], v[75:76]
	v_fma_f64 v[8:9], v[8:9], v[97:98], v[85:86]
	v_fma_f64 v[6:7], v[6:7], v[97:98], -v[87:88]
	v_add_f64_e32 v[65:66], v[67:68], v[65:66]
	v_add_f64_e32 v[10:11], v[69:70], v[10:11]
	v_fma_f64 v[3:4], v[3:4], v[73:74], v[71:72]
	v_fma_f64 v[1:2], v[1:2], v[73:74], -v[75:76]
	s_delay_alu instid0(VALU_DEP_4) | instskip(NEXT) | instid1(VALU_DEP_4)
	v_add_f64_e32 v[6:7], v[65:66], v[6:7]
	v_add_f64_e32 v[8:9], v[10:11], v[8:9]
	s_delay_alu instid0(VALU_DEP_2) | instskip(NEXT) | instid1(VALU_DEP_2)
	v_add_f64_e32 v[1:2], v[6:7], v[1:2]
	v_add_f64_e32 v[3:4], v[8:9], v[3:4]
	s_delay_alu instid0(VALU_DEP_2) | instskip(NEXT) | instid1(VALU_DEP_2)
	v_add_f64_e64 v[1:2], v[105:106], -v[1:2]
	v_add_f64_e64 v[3:4], v[107:108], -v[3:4]
	scratch_store_b128 off, v[1:4], off offset:192
	v_cmpx_lt_u32_e32 10, v0
	s_cbranch_execz .LBB89_149
; %bb.148:
	scratch_load_b128 v[1:4], off, s24
	v_mov_b32_e32 v6, 0
	s_delay_alu instid0(VALU_DEP_1)
	v_dual_mov_b32 v7, v6 :: v_dual_mov_b32 v8, v6
	v_mov_b32_e32 v9, v6
	scratch_store_b128 off, v[6:9], off offset:176
	s_wait_loadcnt 0x0
	ds_store_b128 v5, v[1:4]
.LBB89_149:
	s_wait_alu 0xfffe
	s_or_b32 exec_lo, exec_lo, s0
	s_wait_storecnt_dscnt 0x0
	s_barrier_signal -1
	s_barrier_wait -1
	global_inv scope:SCOPE_SE
	s_clause 0x7
	scratch_load_b128 v[6:9], off, off offset:192
	scratch_load_b128 v[65:68], off, off offset:208
	;; [unrolled: 1-line block ×8, first 2 shown]
	v_mov_b32_e32 v1, 0
	s_mov_b32 s0, exec_lo
	ds_load_b128 v[93:96], v1 offset:592
	s_clause 0x1
	scratch_load_b128 v[97:100], off, off offset:320
	scratch_load_b128 v[101:104], off, off offset:176
	ds_load_b128 v[105:108], v1 offset:608
	ds_load_b128 v[113:116], v1 offset:640
	s_wait_loadcnt_dscnt 0x902
	v_mul_f64_e32 v[2:3], v[95:96], v[8:9]
	v_mul_f64_e32 v[109:110], v[93:94], v[8:9]
	scratch_load_b128 v[8:11], off, off offset:336
	v_fma_f64 v[2:3], v[93:94], v[6:7], -v[2:3]
	v_fma_f64 v[6:7], v[95:96], v[6:7], v[109:110]
	ds_load_b128 v[93:96], v1 offset:624
	s_wait_loadcnt_dscnt 0x902
	v_mul_f64_e32 v[117:118], v[105:106], v[67:68]
	v_mul_f64_e32 v[67:68], v[107:108], v[67:68]
	scratch_load_b128 v[109:112], off, off offset:352
	s_wait_loadcnt_dscnt 0x900
	v_mul_f64_e32 v[119:120], v[93:94], v[71:72]
	v_mul_f64_e32 v[71:72], v[95:96], v[71:72]
	v_add_f64_e32 v[2:3], 0, v[2:3]
	v_add_f64_e32 v[6:7], 0, v[6:7]
	v_fma_f64 v[107:108], v[107:108], v[65:66], v[117:118]
	v_fma_f64 v[105:106], v[105:106], v[65:66], -v[67:68]
	scratch_load_b128 v[65:68], off, off offset:368
	v_fma_f64 v[119:120], v[95:96], v[69:70], v[119:120]
	v_fma_f64 v[121:122], v[93:94], v[69:70], -v[71:72]
	ds_load_b128 v[69:72], v1 offset:656
	s_wait_loadcnt 0x9
	v_mul_f64_e32 v[117:118], v[113:114], v[75:76]
	v_mul_f64_e32 v[75:76], v[115:116], v[75:76]
	scratch_load_b128 v[93:96], off, off offset:384
	v_add_f64_e32 v[6:7], v[6:7], v[107:108]
	v_add_f64_e32 v[2:3], v[2:3], v[105:106]
	ds_load_b128 v[105:108], v1 offset:672
	s_wait_loadcnt_dscnt 0x901
	v_mul_f64_e32 v[123:124], v[69:70], v[79:80]
	v_mul_f64_e32 v[79:80], v[71:72], v[79:80]
	v_fma_f64 v[115:116], v[115:116], v[73:74], v[117:118]
	v_fma_f64 v[113:114], v[113:114], v[73:74], -v[75:76]
	scratch_load_b128 v[73:76], off, off offset:400
	v_add_f64_e32 v[6:7], v[6:7], v[119:120]
	v_add_f64_e32 v[2:3], v[2:3], v[121:122]
	v_fma_f64 v[119:120], v[71:72], v[77:78], v[123:124]
	v_fma_f64 v[121:122], v[69:70], v[77:78], -v[79:80]
	ds_load_b128 v[69:72], v1 offset:688
	s_wait_loadcnt_dscnt 0x901
	v_mul_f64_e32 v[117:118], v[105:106], v[83:84]
	v_mul_f64_e32 v[83:84], v[107:108], v[83:84]
	scratch_load_b128 v[77:80], off, off offset:416
	s_wait_loadcnt_dscnt 0x900
	v_mul_f64_e32 v[123:124], v[69:70], v[87:88]
	v_mul_f64_e32 v[87:88], v[71:72], v[87:88]
	v_add_f64_e32 v[6:7], v[6:7], v[115:116]
	v_add_f64_e32 v[2:3], v[2:3], v[113:114]
	ds_load_b128 v[113:116], v1 offset:704
	v_fma_f64 v[107:108], v[107:108], v[81:82], v[117:118]
	v_fma_f64 v[81:82], v[105:106], v[81:82], -v[83:84]
	s_wait_loadcnt_dscnt 0x800
	v_mul_f64_e32 v[105:106], v[113:114], v[91:92]
	v_mul_f64_e32 v[91:92], v[115:116], v[91:92]
	v_fma_f64 v[117:118], v[71:72], v[85:86], v[123:124]
	v_fma_f64 v[85:86], v[69:70], v[85:86], -v[87:88]
	v_add_f64_e32 v[6:7], v[6:7], v[119:120]
	v_add_f64_e32 v[2:3], v[2:3], v[121:122]
	v_fma_f64 v[105:106], v[115:116], v[89:90], v[105:106]
	v_fma_f64 v[89:90], v[113:114], v[89:90], -v[91:92]
	s_delay_alu instid0(VALU_DEP_4) | instskip(NEXT) | instid1(VALU_DEP_4)
	v_add_f64_e32 v[6:7], v[6:7], v[107:108]
	v_add_f64_e32 v[2:3], v[2:3], v[81:82]
	ds_load_b128 v[69:72], v1 offset:720
	ds_load_b128 v[81:84], v1 offset:736
	s_wait_loadcnt_dscnt 0x701
	v_mul_f64_e32 v[87:88], v[69:70], v[99:100]
	v_mul_f64_e32 v[99:100], v[71:72], v[99:100]
	v_add_f64_e32 v[6:7], v[6:7], v[117:118]
	v_add_f64_e32 v[2:3], v[2:3], v[85:86]
	s_wait_loadcnt_dscnt 0x500
	v_mul_f64_e32 v[91:92], v[81:82], v[10:11]
	v_mul_f64_e32 v[10:11], v[83:84], v[10:11]
	v_fma_f64 v[107:108], v[71:72], v[97:98], v[87:88]
	v_fma_f64 v[97:98], v[69:70], v[97:98], -v[99:100]
	ds_load_b128 v[69:72], v1 offset:752
	ds_load_b128 v[85:88], v1 offset:768
	v_add_f64_e32 v[6:7], v[6:7], v[105:106]
	v_add_f64_e32 v[2:3], v[2:3], v[89:90]
	v_fma_f64 v[83:84], v[83:84], v[8:9], v[91:92]
	v_fma_f64 v[8:9], v[81:82], v[8:9], -v[10:11]
	s_wait_loadcnt_dscnt 0x401
	v_mul_f64_e32 v[89:90], v[69:70], v[111:112]
	v_mul_f64_e32 v[99:100], v[71:72], v[111:112]
	v_add_f64_e32 v[6:7], v[6:7], v[107:108]
	v_add_f64_e32 v[2:3], v[2:3], v[97:98]
	s_wait_loadcnt_dscnt 0x300
	v_mul_f64_e32 v[10:11], v[85:86], v[67:68]
	v_mul_f64_e32 v[81:82], v[87:88], v[67:68]
	v_fma_f64 v[71:72], v[71:72], v[109:110], v[89:90]
	v_fma_f64 v[89:90], v[69:70], v[109:110], -v[99:100]
	v_add_f64_e32 v[83:84], v[6:7], v[83:84]
	v_add_f64_e32 v[2:3], v[2:3], v[8:9]
	ds_load_b128 v[6:9], v1 offset:784
	ds_load_b128 v[67:70], v1 offset:800
	v_fma_f64 v[10:11], v[87:88], v[65:66], v[10:11]
	v_fma_f64 v[65:66], v[85:86], v[65:66], -v[81:82]
	s_wait_loadcnt_dscnt 0x201
	v_mul_f64_e32 v[91:92], v[6:7], v[95:96]
	v_mul_f64_e32 v[95:96], v[8:9], v[95:96]
	v_add_f64_e32 v[71:72], v[83:84], v[71:72]
	v_add_f64_e32 v[2:3], v[2:3], v[89:90]
	s_wait_loadcnt_dscnt 0x100
	v_mul_f64_e32 v[81:82], v[67:68], v[75:76]
	v_mul_f64_e32 v[75:76], v[69:70], v[75:76]
	v_fma_f64 v[83:84], v[8:9], v[93:94], v[91:92]
	v_fma_f64 v[85:86], v[6:7], v[93:94], -v[95:96]
	ds_load_b128 v[6:9], v1 offset:816
	v_add_f64_e32 v[10:11], v[71:72], v[10:11]
	v_add_f64_e32 v[2:3], v[2:3], v[65:66]
	v_fma_f64 v[69:70], v[69:70], v[73:74], v[81:82]
	v_fma_f64 v[67:68], v[67:68], v[73:74], -v[75:76]
	s_wait_loadcnt_dscnt 0x0
	v_mul_f64_e32 v[65:66], v[6:7], v[79:80]
	v_mul_f64_e32 v[71:72], v[8:9], v[79:80]
	v_add_f64_e32 v[10:11], v[10:11], v[83:84]
	v_add_f64_e32 v[2:3], v[2:3], v[85:86]
	s_delay_alu instid0(VALU_DEP_4) | instskip(NEXT) | instid1(VALU_DEP_4)
	v_fma_f64 v[8:9], v[8:9], v[77:78], v[65:66]
	v_fma_f64 v[6:7], v[6:7], v[77:78], -v[71:72]
	s_delay_alu instid0(VALU_DEP_4) | instskip(NEXT) | instid1(VALU_DEP_4)
	v_add_f64_e32 v[10:11], v[10:11], v[69:70]
	v_add_f64_e32 v[2:3], v[2:3], v[67:68]
	s_delay_alu instid0(VALU_DEP_2) | instskip(NEXT) | instid1(VALU_DEP_2)
	v_add_f64_e32 v[8:9], v[10:11], v[8:9]
	v_add_f64_e32 v[2:3], v[2:3], v[6:7]
	s_delay_alu instid0(VALU_DEP_2) | instskip(NEXT) | instid1(VALU_DEP_2)
	v_add_f64_e64 v[8:9], v[103:104], -v[8:9]
	v_add_f64_e64 v[6:7], v[101:102], -v[2:3]
	scratch_store_b128 off, v[6:9], off offset:176
	v_cmpx_lt_u32_e32 9, v0
	s_cbranch_execz .LBB89_151
; %bb.150:
	scratch_load_b128 v[6:9], off, s10
	v_dual_mov_b32 v2, v1 :: v_dual_mov_b32 v3, v1
	v_mov_b32_e32 v4, v1
	scratch_store_b128 off, v[1:4], off offset:160
	s_wait_loadcnt 0x0
	ds_store_b128 v5, v[6:9]
.LBB89_151:
	s_wait_alu 0xfffe
	s_or_b32 exec_lo, exec_lo, s0
	s_wait_storecnt_dscnt 0x0
	s_barrier_signal -1
	s_barrier_wait -1
	global_inv scope:SCOPE_SE
	s_clause 0x8
	scratch_load_b128 v[6:9], off, off offset:176
	scratch_load_b128 v[65:68], off, off offset:192
	scratch_load_b128 v[69:72], off, off offset:208
	scratch_load_b128 v[73:76], off, off offset:224
	scratch_load_b128 v[77:80], off, off offset:240
	scratch_load_b128 v[81:84], off, off offset:256
	scratch_load_b128 v[85:88], off, off offset:272
	scratch_load_b128 v[89:92], off, off offset:288
	scratch_load_b128 v[93:96], off, off offset:304
	ds_load_b128 v[97:100], v1 offset:576
	ds_load_b128 v[101:104], v1 offset:592
	scratch_load_b128 v[105:108], off, off offset:160
	s_mov_b32 s0, exec_lo
	ds_load_b128 v[113:116], v1 offset:624
	s_wait_loadcnt_dscnt 0x902
	v_mul_f64_e32 v[2:3], v[99:100], v[8:9]
	v_mul_f64_e32 v[109:110], v[97:98], v[8:9]
	scratch_load_b128 v[8:11], off, off offset:320
	s_wait_loadcnt_dscnt 0x901
	v_mul_f64_e32 v[117:118], v[101:102], v[67:68]
	v_mul_f64_e32 v[67:68], v[103:104], v[67:68]
	v_fma_f64 v[2:3], v[97:98], v[6:7], -v[2:3]
	v_fma_f64 v[6:7], v[99:100], v[6:7], v[109:110]
	ds_load_b128 v[97:100], v1 offset:608
	scratch_load_b128 v[109:112], off, off offset:336
	v_fma_f64 v[103:104], v[103:104], v[65:66], v[117:118]
	v_fma_f64 v[101:102], v[101:102], v[65:66], -v[67:68]
	scratch_load_b128 v[65:68], off, off offset:352
	s_wait_loadcnt_dscnt 0x901
	v_mul_f64_e32 v[117:118], v[113:114], v[75:76]
	v_mul_f64_e32 v[75:76], v[115:116], v[75:76]
	s_wait_dscnt 0x0
	v_mul_f64_e32 v[119:120], v[97:98], v[71:72]
	v_mul_f64_e32 v[71:72], v[99:100], v[71:72]
	v_add_f64_e32 v[2:3], 0, v[2:3]
	v_add_f64_e32 v[6:7], 0, v[6:7]
	v_fma_f64 v[115:116], v[115:116], v[73:74], v[117:118]
	v_fma_f64 v[113:114], v[113:114], v[73:74], -v[75:76]
	scratch_load_b128 v[73:76], off, off offset:384
	v_fma_f64 v[119:120], v[99:100], v[69:70], v[119:120]
	v_fma_f64 v[121:122], v[97:98], v[69:70], -v[71:72]
	ds_load_b128 v[69:72], v1 offset:640
	scratch_load_b128 v[97:100], off, off offset:368
	v_add_f64_e32 v[2:3], v[2:3], v[101:102]
	v_add_f64_e32 v[6:7], v[6:7], v[103:104]
	ds_load_b128 v[101:104], v1 offset:656
	s_wait_loadcnt_dscnt 0xa01
	v_mul_f64_e32 v[123:124], v[69:70], v[79:80]
	v_mul_f64_e32 v[79:80], v[71:72], v[79:80]
	s_wait_loadcnt_dscnt 0x900
	v_mul_f64_e32 v[117:118], v[101:102], v[83:84]
	v_mul_f64_e32 v[83:84], v[103:104], v[83:84]
	v_add_f64_e32 v[2:3], v[2:3], v[121:122]
	v_add_f64_e32 v[6:7], v[6:7], v[119:120]
	v_fma_f64 v[119:120], v[71:72], v[77:78], v[123:124]
	v_fma_f64 v[121:122], v[69:70], v[77:78], -v[79:80]
	ds_load_b128 v[69:72], v1 offset:672
	scratch_load_b128 v[77:80], off, off offset:400
	v_fma_f64 v[103:104], v[103:104], v[81:82], v[117:118]
	v_fma_f64 v[101:102], v[101:102], v[81:82], -v[83:84]
	scratch_load_b128 v[81:84], off, off offset:416
	v_add_f64_e32 v[2:3], v[2:3], v[113:114]
	v_add_f64_e32 v[6:7], v[6:7], v[115:116]
	ds_load_b128 v[113:116], v1 offset:688
	s_wait_loadcnt_dscnt 0xa01
	v_mul_f64_e32 v[123:124], v[69:70], v[87:88]
	v_mul_f64_e32 v[87:88], v[71:72], v[87:88]
	s_wait_loadcnt_dscnt 0x900
	v_mul_f64_e32 v[117:118], v[113:114], v[91:92]
	v_mul_f64_e32 v[91:92], v[115:116], v[91:92]
	v_add_f64_e32 v[2:3], v[2:3], v[121:122]
	v_add_f64_e32 v[6:7], v[6:7], v[119:120]
	v_fma_f64 v[119:120], v[71:72], v[85:86], v[123:124]
	v_fma_f64 v[121:122], v[69:70], v[85:86], -v[87:88]
	ds_load_b128 v[69:72], v1 offset:704
	ds_load_b128 v[85:88], v1 offset:720
	v_add_f64_e32 v[2:3], v[2:3], v[101:102]
	v_add_f64_e32 v[6:7], v[6:7], v[103:104]
	s_wait_loadcnt_dscnt 0x801
	v_mul_f64_e32 v[101:102], v[69:70], v[95:96]
	v_mul_f64_e32 v[95:96], v[71:72], v[95:96]
	v_fma_f64 v[103:104], v[115:116], v[89:90], v[117:118]
	v_fma_f64 v[89:90], v[113:114], v[89:90], -v[91:92]
	v_add_f64_e32 v[2:3], v[2:3], v[121:122]
	v_add_f64_e32 v[6:7], v[6:7], v[119:120]
	v_fma_f64 v[101:102], v[71:72], v[93:94], v[101:102]
	v_fma_f64 v[93:94], v[69:70], v[93:94], -v[95:96]
	s_wait_loadcnt_dscnt 0x600
	v_mul_f64_e32 v[113:114], v[85:86], v[10:11]
	v_mul_f64_e32 v[10:11], v[87:88], v[10:11]
	v_add_f64_e32 v[2:3], v[2:3], v[89:90]
	v_add_f64_e32 v[6:7], v[6:7], v[103:104]
	ds_load_b128 v[69:72], v1 offset:736
	ds_load_b128 v[89:92], v1 offset:752
	v_fma_f64 v[87:88], v[87:88], v[8:9], v[113:114]
	v_fma_f64 v[8:9], v[85:86], v[8:9], -v[10:11]
	s_wait_loadcnt_dscnt 0x501
	v_mul_f64_e32 v[95:96], v[69:70], v[111:112]
	v_mul_f64_e32 v[103:104], v[71:72], v[111:112]
	s_wait_loadcnt_dscnt 0x400
	v_mul_f64_e32 v[10:11], v[89:90], v[67:68]
	v_mul_f64_e32 v[85:86], v[91:92], v[67:68]
	v_add_f64_e32 v[2:3], v[2:3], v[93:94]
	v_add_f64_e32 v[6:7], v[6:7], v[101:102]
	v_fma_f64 v[71:72], v[71:72], v[109:110], v[95:96]
	v_fma_f64 v[93:94], v[69:70], v[109:110], -v[103:104]
	v_fma_f64 v[10:11], v[91:92], v[65:66], v[10:11]
	v_fma_f64 v[65:66], v[89:90], v[65:66], -v[85:86]
	v_add_f64_e32 v[2:3], v[2:3], v[8:9]
	v_add_f64_e32 v[87:88], v[6:7], v[87:88]
	ds_load_b128 v[6:9], v1 offset:768
	ds_load_b128 v[67:70], v1 offset:784
	s_wait_loadcnt_dscnt 0x201
	v_mul_f64_e32 v[95:96], v[6:7], v[99:100]
	v_mul_f64_e32 v[99:100], v[8:9], v[99:100]
	s_wait_dscnt 0x0
	v_mul_f64_e32 v[85:86], v[67:68], v[75:76]
	v_mul_f64_e32 v[75:76], v[69:70], v[75:76]
	v_add_f64_e32 v[2:3], v[2:3], v[93:94]
	v_add_f64_e32 v[71:72], v[87:88], v[71:72]
	v_fma_f64 v[87:88], v[8:9], v[97:98], v[95:96]
	v_fma_f64 v[89:90], v[6:7], v[97:98], -v[99:100]
	v_fma_f64 v[69:70], v[69:70], v[73:74], v[85:86]
	v_fma_f64 v[67:68], v[67:68], v[73:74], -v[75:76]
	v_add_f64_e32 v[65:66], v[2:3], v[65:66]
	v_add_f64_e32 v[10:11], v[71:72], v[10:11]
	ds_load_b128 v[6:9], v1 offset:800
	ds_load_b128 v[1:4], v1 offset:816
	s_wait_loadcnt_dscnt 0x101
	v_mul_f64_e32 v[71:72], v[6:7], v[79:80]
	v_mul_f64_e32 v[79:80], v[8:9], v[79:80]
	s_wait_loadcnt_dscnt 0x0
	v_mul_f64_e32 v[73:74], v[1:2], v[83:84]
	v_mul_f64_e32 v[75:76], v[3:4], v[83:84]
	v_add_f64_e32 v[65:66], v[65:66], v[89:90]
	v_add_f64_e32 v[10:11], v[10:11], v[87:88]
	v_fma_f64 v[8:9], v[8:9], v[77:78], v[71:72]
	v_fma_f64 v[6:7], v[6:7], v[77:78], -v[79:80]
	v_fma_f64 v[3:4], v[3:4], v[81:82], v[73:74]
	v_fma_f64 v[1:2], v[1:2], v[81:82], -v[75:76]
	v_add_f64_e32 v[65:66], v[65:66], v[67:68]
	v_add_f64_e32 v[10:11], v[10:11], v[69:70]
	s_delay_alu instid0(VALU_DEP_2) | instskip(NEXT) | instid1(VALU_DEP_2)
	v_add_f64_e32 v[6:7], v[65:66], v[6:7]
	v_add_f64_e32 v[8:9], v[10:11], v[8:9]
	s_delay_alu instid0(VALU_DEP_2) | instskip(NEXT) | instid1(VALU_DEP_2)
	;; [unrolled: 3-line block ×3, first 2 shown]
	v_add_f64_e64 v[1:2], v[105:106], -v[1:2]
	v_add_f64_e64 v[3:4], v[107:108], -v[3:4]
	scratch_store_b128 off, v[1:4], off offset:160
	v_cmpx_lt_u32_e32 8, v0
	s_cbranch_execz .LBB89_153
; %bb.152:
	scratch_load_b128 v[1:4], off, s23
	v_mov_b32_e32 v6, 0
	s_delay_alu instid0(VALU_DEP_1)
	v_dual_mov_b32 v7, v6 :: v_dual_mov_b32 v8, v6
	v_mov_b32_e32 v9, v6
	scratch_store_b128 off, v[6:9], off offset:144
	s_wait_loadcnt 0x0
	ds_store_b128 v5, v[1:4]
.LBB89_153:
	s_wait_alu 0xfffe
	s_or_b32 exec_lo, exec_lo, s0
	s_wait_storecnt_dscnt 0x0
	s_barrier_signal -1
	s_barrier_wait -1
	global_inv scope:SCOPE_SE
	s_clause 0x7
	scratch_load_b128 v[6:9], off, off offset:160
	scratch_load_b128 v[65:68], off, off offset:176
	;; [unrolled: 1-line block ×8, first 2 shown]
	v_mov_b32_e32 v1, 0
	s_mov_b32 s0, exec_lo
	ds_load_b128 v[93:96], v1 offset:560
	s_clause 0x1
	scratch_load_b128 v[97:100], off, off offset:288
	scratch_load_b128 v[101:104], off, off offset:144
	ds_load_b128 v[105:108], v1 offset:576
	ds_load_b128 v[113:116], v1 offset:608
	s_wait_loadcnt_dscnt 0x902
	v_mul_f64_e32 v[2:3], v[95:96], v[8:9]
	v_mul_f64_e32 v[109:110], v[93:94], v[8:9]
	scratch_load_b128 v[8:11], off, off offset:304
	v_fma_f64 v[2:3], v[93:94], v[6:7], -v[2:3]
	v_fma_f64 v[6:7], v[95:96], v[6:7], v[109:110]
	ds_load_b128 v[93:96], v1 offset:592
	s_wait_loadcnt_dscnt 0x902
	v_mul_f64_e32 v[117:118], v[105:106], v[67:68]
	v_mul_f64_e32 v[67:68], v[107:108], v[67:68]
	scratch_load_b128 v[109:112], off, off offset:320
	s_wait_loadcnt_dscnt 0x900
	v_mul_f64_e32 v[119:120], v[93:94], v[71:72]
	v_mul_f64_e32 v[71:72], v[95:96], v[71:72]
	v_add_f64_e32 v[2:3], 0, v[2:3]
	v_add_f64_e32 v[6:7], 0, v[6:7]
	v_fma_f64 v[107:108], v[107:108], v[65:66], v[117:118]
	v_fma_f64 v[105:106], v[105:106], v[65:66], -v[67:68]
	scratch_load_b128 v[65:68], off, off offset:336
	v_fma_f64 v[119:120], v[95:96], v[69:70], v[119:120]
	v_fma_f64 v[121:122], v[93:94], v[69:70], -v[71:72]
	ds_load_b128 v[69:72], v1 offset:624
	s_wait_loadcnt 0x9
	v_mul_f64_e32 v[117:118], v[113:114], v[75:76]
	v_mul_f64_e32 v[75:76], v[115:116], v[75:76]
	scratch_load_b128 v[93:96], off, off offset:352
	v_add_f64_e32 v[6:7], v[6:7], v[107:108]
	v_add_f64_e32 v[2:3], v[2:3], v[105:106]
	ds_load_b128 v[105:108], v1 offset:640
	s_wait_loadcnt_dscnt 0x901
	v_mul_f64_e32 v[123:124], v[69:70], v[79:80]
	v_mul_f64_e32 v[79:80], v[71:72], v[79:80]
	v_fma_f64 v[115:116], v[115:116], v[73:74], v[117:118]
	v_fma_f64 v[113:114], v[113:114], v[73:74], -v[75:76]
	scratch_load_b128 v[73:76], off, off offset:368
	v_add_f64_e32 v[6:7], v[6:7], v[119:120]
	v_add_f64_e32 v[2:3], v[2:3], v[121:122]
	v_fma_f64 v[119:120], v[71:72], v[77:78], v[123:124]
	v_fma_f64 v[121:122], v[69:70], v[77:78], -v[79:80]
	ds_load_b128 v[69:72], v1 offset:656
	s_wait_loadcnt_dscnt 0x901
	v_mul_f64_e32 v[117:118], v[105:106], v[83:84]
	v_mul_f64_e32 v[83:84], v[107:108], v[83:84]
	scratch_load_b128 v[77:80], off, off offset:384
	s_wait_loadcnt_dscnt 0x900
	v_mul_f64_e32 v[123:124], v[69:70], v[87:88]
	v_mul_f64_e32 v[87:88], v[71:72], v[87:88]
	v_add_f64_e32 v[6:7], v[6:7], v[115:116]
	v_add_f64_e32 v[2:3], v[2:3], v[113:114]
	ds_load_b128 v[113:116], v1 offset:672
	v_fma_f64 v[107:108], v[107:108], v[81:82], v[117:118]
	v_fma_f64 v[105:106], v[105:106], v[81:82], -v[83:84]
	scratch_load_b128 v[81:84], off, off offset:400
	v_add_f64_e32 v[6:7], v[6:7], v[119:120]
	v_add_f64_e32 v[2:3], v[2:3], v[121:122]
	v_fma_f64 v[119:120], v[71:72], v[85:86], v[123:124]
	v_fma_f64 v[121:122], v[69:70], v[85:86], -v[87:88]
	ds_load_b128 v[69:72], v1 offset:688
	s_wait_loadcnt_dscnt 0x901
	v_mul_f64_e32 v[117:118], v[113:114], v[91:92]
	v_mul_f64_e32 v[91:92], v[115:116], v[91:92]
	scratch_load_b128 v[85:88], off, off offset:416
	s_wait_loadcnt_dscnt 0x900
	v_mul_f64_e32 v[123:124], v[69:70], v[99:100]
	v_mul_f64_e32 v[99:100], v[71:72], v[99:100]
	v_add_f64_e32 v[6:7], v[6:7], v[107:108]
	v_add_f64_e32 v[2:3], v[2:3], v[105:106]
	ds_load_b128 v[105:108], v1 offset:704
	v_fma_f64 v[115:116], v[115:116], v[89:90], v[117:118]
	v_fma_f64 v[89:90], v[113:114], v[89:90], -v[91:92]
	v_fma_f64 v[117:118], v[71:72], v[97:98], v[123:124]
	v_fma_f64 v[97:98], v[69:70], v[97:98], -v[99:100]
	v_add_f64_e32 v[6:7], v[6:7], v[119:120]
	v_add_f64_e32 v[2:3], v[2:3], v[121:122]
	s_wait_loadcnt_dscnt 0x700
	v_mul_f64_e32 v[113:114], v[105:106], v[10:11]
	v_mul_f64_e32 v[10:11], v[107:108], v[10:11]
	s_delay_alu instid0(VALU_DEP_4) | instskip(NEXT) | instid1(VALU_DEP_4)
	v_add_f64_e32 v[6:7], v[6:7], v[115:116]
	v_add_f64_e32 v[2:3], v[2:3], v[89:90]
	ds_load_b128 v[69:72], v1 offset:720
	ds_load_b128 v[89:92], v1 offset:736
	v_fma_f64 v[107:108], v[107:108], v[8:9], v[113:114]
	v_fma_f64 v[8:9], v[105:106], v[8:9], -v[10:11]
	s_wait_loadcnt_dscnt 0x601
	v_mul_f64_e32 v[99:100], v[69:70], v[111:112]
	v_mul_f64_e32 v[111:112], v[71:72], v[111:112]
	v_add_f64_e32 v[6:7], v[6:7], v[117:118]
	v_add_f64_e32 v[2:3], v[2:3], v[97:98]
	s_wait_loadcnt_dscnt 0x500
	v_mul_f64_e32 v[10:11], v[89:90], v[67:68]
	v_mul_f64_e32 v[97:98], v[91:92], v[67:68]
	v_fma_f64 v[71:72], v[71:72], v[109:110], v[99:100]
	v_fma_f64 v[99:100], v[69:70], v[109:110], -v[111:112]
	v_add_f64_e32 v[105:106], v[6:7], v[107:108]
	v_add_f64_e32 v[2:3], v[2:3], v[8:9]
	ds_load_b128 v[6:9], v1 offset:752
	ds_load_b128 v[67:70], v1 offset:768
	v_fma_f64 v[10:11], v[91:92], v[65:66], v[10:11]
	v_fma_f64 v[65:66], v[89:90], v[65:66], -v[97:98]
	s_wait_loadcnt_dscnt 0x401
	v_mul_f64_e32 v[107:108], v[6:7], v[95:96]
	v_mul_f64_e32 v[95:96], v[8:9], v[95:96]
	v_add_f64_e32 v[71:72], v[105:106], v[71:72]
	v_add_f64_e32 v[2:3], v[2:3], v[99:100]
	s_wait_loadcnt_dscnt 0x300
	v_mul_f64_e32 v[97:98], v[67:68], v[75:76]
	v_mul_f64_e32 v[75:76], v[69:70], v[75:76]
	v_fma_f64 v[99:100], v[8:9], v[93:94], v[107:108]
	v_fma_f64 v[93:94], v[6:7], v[93:94], -v[95:96]
	ds_load_b128 v[6:9], v1 offset:784
	ds_load_b128 v[89:92], v1 offset:800
	v_add_f64_e32 v[10:11], v[71:72], v[10:11]
	v_add_f64_e32 v[2:3], v[2:3], v[65:66]
	v_fma_f64 v[69:70], v[69:70], v[73:74], v[97:98]
	v_fma_f64 v[67:68], v[67:68], v[73:74], -v[75:76]
	s_wait_loadcnt_dscnt 0x201
	v_mul_f64_e32 v[65:66], v[6:7], v[79:80]
	v_mul_f64_e32 v[71:72], v[8:9], v[79:80]
	s_wait_loadcnt_dscnt 0x100
	v_mul_f64_e32 v[73:74], v[89:90], v[83:84]
	v_mul_f64_e32 v[75:76], v[91:92], v[83:84]
	v_add_f64_e32 v[10:11], v[10:11], v[99:100]
	v_add_f64_e32 v[2:3], v[2:3], v[93:94]
	v_fma_f64 v[65:66], v[8:9], v[77:78], v[65:66]
	v_fma_f64 v[71:72], v[6:7], v[77:78], -v[71:72]
	ds_load_b128 v[6:9], v1 offset:816
	v_fma_f64 v[73:74], v[91:92], v[81:82], v[73:74]
	v_fma_f64 v[75:76], v[89:90], v[81:82], -v[75:76]
	v_add_f64_e32 v[10:11], v[10:11], v[69:70]
	v_add_f64_e32 v[2:3], v[2:3], v[67:68]
	s_wait_loadcnt_dscnt 0x0
	v_mul_f64_e32 v[67:68], v[6:7], v[87:88]
	v_mul_f64_e32 v[69:70], v[8:9], v[87:88]
	s_delay_alu instid0(VALU_DEP_4) | instskip(NEXT) | instid1(VALU_DEP_4)
	v_add_f64_e32 v[10:11], v[10:11], v[65:66]
	v_add_f64_e32 v[2:3], v[2:3], v[71:72]
	s_delay_alu instid0(VALU_DEP_4) | instskip(NEXT) | instid1(VALU_DEP_4)
	v_fma_f64 v[8:9], v[8:9], v[85:86], v[67:68]
	v_fma_f64 v[6:7], v[6:7], v[85:86], -v[69:70]
	s_delay_alu instid0(VALU_DEP_4) | instskip(NEXT) | instid1(VALU_DEP_4)
	v_add_f64_e32 v[10:11], v[10:11], v[73:74]
	v_add_f64_e32 v[2:3], v[2:3], v[75:76]
	s_delay_alu instid0(VALU_DEP_2) | instskip(NEXT) | instid1(VALU_DEP_2)
	v_add_f64_e32 v[8:9], v[10:11], v[8:9]
	v_add_f64_e32 v[2:3], v[2:3], v[6:7]
	s_delay_alu instid0(VALU_DEP_2) | instskip(NEXT) | instid1(VALU_DEP_2)
	v_add_f64_e64 v[8:9], v[103:104], -v[8:9]
	v_add_f64_e64 v[6:7], v[101:102], -v[2:3]
	scratch_store_b128 off, v[6:9], off offset:144
	v_cmpx_lt_u32_e32 7, v0
	s_cbranch_execz .LBB89_155
; %bb.154:
	scratch_load_b128 v[6:9], off, s5
	v_dual_mov_b32 v2, v1 :: v_dual_mov_b32 v3, v1
	v_mov_b32_e32 v4, v1
	scratch_store_b128 off, v[1:4], off offset:128
	s_wait_loadcnt 0x0
	ds_store_b128 v5, v[6:9]
.LBB89_155:
	s_wait_alu 0xfffe
	s_or_b32 exec_lo, exec_lo, s0
	s_wait_storecnt_dscnt 0x0
	s_barrier_signal -1
	s_barrier_wait -1
	global_inv scope:SCOPE_SE
	s_clause 0x8
	scratch_load_b128 v[6:9], off, off offset:144
	scratch_load_b128 v[65:68], off, off offset:160
	;; [unrolled: 1-line block ×9, first 2 shown]
	ds_load_b128 v[97:100], v1 offset:544
	ds_load_b128 v[101:104], v1 offset:560
	scratch_load_b128 v[105:108], off, off offset:128
	s_mov_b32 s0, exec_lo
	ds_load_b128 v[113:116], v1 offset:592
	s_wait_loadcnt_dscnt 0x902
	v_mul_f64_e32 v[2:3], v[99:100], v[8:9]
	v_mul_f64_e32 v[109:110], v[97:98], v[8:9]
	scratch_load_b128 v[8:11], off, off offset:288
	s_wait_loadcnt_dscnt 0x901
	v_mul_f64_e32 v[117:118], v[101:102], v[67:68]
	v_mul_f64_e32 v[67:68], v[103:104], v[67:68]
	v_fma_f64 v[2:3], v[97:98], v[6:7], -v[2:3]
	v_fma_f64 v[6:7], v[99:100], v[6:7], v[109:110]
	ds_load_b128 v[97:100], v1 offset:576
	scratch_load_b128 v[109:112], off, off offset:304
	v_fma_f64 v[103:104], v[103:104], v[65:66], v[117:118]
	v_fma_f64 v[101:102], v[101:102], v[65:66], -v[67:68]
	scratch_load_b128 v[65:68], off, off offset:320
	s_wait_loadcnt_dscnt 0x901
	v_mul_f64_e32 v[117:118], v[113:114], v[75:76]
	v_mul_f64_e32 v[75:76], v[115:116], v[75:76]
	s_wait_dscnt 0x0
	v_mul_f64_e32 v[119:120], v[97:98], v[71:72]
	v_mul_f64_e32 v[71:72], v[99:100], v[71:72]
	v_add_f64_e32 v[2:3], 0, v[2:3]
	v_add_f64_e32 v[6:7], 0, v[6:7]
	v_fma_f64 v[115:116], v[115:116], v[73:74], v[117:118]
	v_fma_f64 v[113:114], v[113:114], v[73:74], -v[75:76]
	scratch_load_b128 v[73:76], off, off offset:352
	v_fma_f64 v[119:120], v[99:100], v[69:70], v[119:120]
	v_fma_f64 v[121:122], v[97:98], v[69:70], -v[71:72]
	ds_load_b128 v[69:72], v1 offset:608
	scratch_load_b128 v[97:100], off, off offset:336
	v_add_f64_e32 v[2:3], v[2:3], v[101:102]
	v_add_f64_e32 v[6:7], v[6:7], v[103:104]
	ds_load_b128 v[101:104], v1 offset:624
	s_wait_loadcnt_dscnt 0xa01
	v_mul_f64_e32 v[123:124], v[69:70], v[79:80]
	v_mul_f64_e32 v[79:80], v[71:72], v[79:80]
	s_wait_loadcnt_dscnt 0x900
	v_mul_f64_e32 v[117:118], v[101:102], v[83:84]
	v_mul_f64_e32 v[83:84], v[103:104], v[83:84]
	v_add_f64_e32 v[2:3], v[2:3], v[121:122]
	v_add_f64_e32 v[6:7], v[6:7], v[119:120]
	v_fma_f64 v[119:120], v[71:72], v[77:78], v[123:124]
	v_fma_f64 v[121:122], v[69:70], v[77:78], -v[79:80]
	ds_load_b128 v[69:72], v1 offset:640
	scratch_load_b128 v[77:80], off, off offset:368
	v_fma_f64 v[103:104], v[103:104], v[81:82], v[117:118]
	v_fma_f64 v[101:102], v[101:102], v[81:82], -v[83:84]
	scratch_load_b128 v[81:84], off, off offset:384
	v_add_f64_e32 v[2:3], v[2:3], v[113:114]
	v_add_f64_e32 v[6:7], v[6:7], v[115:116]
	ds_load_b128 v[113:116], v1 offset:656
	s_wait_loadcnt_dscnt 0xa01
	v_mul_f64_e32 v[123:124], v[69:70], v[87:88]
	v_mul_f64_e32 v[87:88], v[71:72], v[87:88]
	s_wait_loadcnt_dscnt 0x900
	v_mul_f64_e32 v[117:118], v[113:114], v[91:92]
	v_mul_f64_e32 v[91:92], v[115:116], v[91:92]
	v_add_f64_e32 v[2:3], v[2:3], v[121:122]
	v_add_f64_e32 v[6:7], v[6:7], v[119:120]
	v_fma_f64 v[119:120], v[71:72], v[85:86], v[123:124]
	v_fma_f64 v[121:122], v[69:70], v[85:86], -v[87:88]
	ds_load_b128 v[69:72], v1 offset:672
	scratch_load_b128 v[85:88], off, off offset:400
	v_fma_f64 v[115:116], v[115:116], v[89:90], v[117:118]
	v_fma_f64 v[113:114], v[113:114], v[89:90], -v[91:92]
	scratch_load_b128 v[89:92], off, off offset:416
	v_add_f64_e32 v[2:3], v[2:3], v[101:102]
	v_add_f64_e32 v[6:7], v[6:7], v[103:104]
	ds_load_b128 v[101:104], v1 offset:688
	s_wait_loadcnt_dscnt 0xa01
	v_mul_f64_e32 v[123:124], v[69:70], v[95:96]
	v_mul_f64_e32 v[95:96], v[71:72], v[95:96]
	v_add_f64_e32 v[2:3], v[2:3], v[121:122]
	v_add_f64_e32 v[6:7], v[6:7], v[119:120]
	s_delay_alu instid0(VALU_DEP_4) | instskip(NEXT) | instid1(VALU_DEP_4)
	v_fma_f64 v[119:120], v[71:72], v[93:94], v[123:124]
	v_fma_f64 v[121:122], v[69:70], v[93:94], -v[95:96]
	ds_load_b128 v[69:72], v1 offset:704
	ds_load_b128 v[93:96], v1 offset:720
	s_wait_loadcnt_dscnt 0x802
	v_mul_f64_e32 v[117:118], v[101:102], v[10:11]
	v_mul_f64_e32 v[10:11], v[103:104], v[10:11]
	v_add_f64_e32 v[2:3], v[2:3], v[113:114]
	v_add_f64_e32 v[6:7], v[6:7], v[115:116]
	s_delay_alu instid0(VALU_DEP_4)
	v_fma_f64 v[103:104], v[103:104], v[8:9], v[117:118]
	s_wait_loadcnt_dscnt 0x701
	v_mul_f64_e32 v[113:114], v[69:70], v[111:112]
	v_mul_f64_e32 v[111:112], v[71:72], v[111:112]
	v_fma_f64 v[8:9], v[101:102], v[8:9], -v[10:11]
	s_wait_loadcnt_dscnt 0x600
	v_mul_f64_e32 v[10:11], v[93:94], v[67:68]
	v_mul_f64_e32 v[101:102], v[95:96], v[67:68]
	v_add_f64_e32 v[2:3], v[2:3], v[121:122]
	v_add_f64_e32 v[6:7], v[6:7], v[119:120]
	v_fma_f64 v[71:72], v[71:72], v[109:110], v[113:114]
	v_fma_f64 v[109:110], v[69:70], v[109:110], -v[111:112]
	v_fma_f64 v[10:11], v[95:96], v[65:66], v[10:11]
	v_fma_f64 v[65:66], v[93:94], v[65:66], -v[101:102]
	v_add_f64_e32 v[2:3], v[2:3], v[8:9]
	v_add_f64_e32 v[103:104], v[6:7], v[103:104]
	ds_load_b128 v[6:9], v1 offset:736
	ds_load_b128 v[67:70], v1 offset:752
	s_wait_loadcnt_dscnt 0x401
	v_mul_f64_e32 v[111:112], v[6:7], v[99:100]
	v_mul_f64_e32 v[99:100], v[8:9], v[99:100]
	s_wait_dscnt 0x0
	v_mul_f64_e32 v[101:102], v[67:68], v[75:76]
	v_mul_f64_e32 v[75:76], v[69:70], v[75:76]
	v_add_f64_e32 v[2:3], v[2:3], v[109:110]
	v_add_f64_e32 v[71:72], v[103:104], v[71:72]
	v_fma_f64 v[103:104], v[8:9], v[97:98], v[111:112]
	v_fma_f64 v[97:98], v[6:7], v[97:98], -v[99:100]
	ds_load_b128 v[6:9], v1 offset:768
	ds_load_b128 v[93:96], v1 offset:784
	v_fma_f64 v[69:70], v[69:70], v[73:74], v[101:102]
	v_fma_f64 v[67:68], v[67:68], v[73:74], -v[75:76]
	v_add_f64_e32 v[2:3], v[2:3], v[65:66]
	v_add_f64_e32 v[10:11], v[71:72], v[10:11]
	s_wait_loadcnt_dscnt 0x301
	v_mul_f64_e32 v[65:66], v[6:7], v[79:80]
	v_mul_f64_e32 v[71:72], v[8:9], v[79:80]
	s_wait_loadcnt_dscnt 0x200
	v_mul_f64_e32 v[73:74], v[93:94], v[83:84]
	v_mul_f64_e32 v[75:76], v[95:96], v[83:84]
	v_add_f64_e32 v[2:3], v[2:3], v[97:98]
	v_add_f64_e32 v[10:11], v[10:11], v[103:104]
	v_fma_f64 v[65:66], v[8:9], v[77:78], v[65:66]
	v_fma_f64 v[71:72], v[6:7], v[77:78], -v[71:72]
	v_fma_f64 v[73:74], v[95:96], v[81:82], v[73:74]
	v_fma_f64 v[75:76], v[93:94], v[81:82], -v[75:76]
	v_add_f64_e32 v[67:68], v[2:3], v[67:68]
	v_add_f64_e32 v[10:11], v[10:11], v[69:70]
	ds_load_b128 v[6:9], v1 offset:800
	ds_load_b128 v[1:4], v1 offset:816
	s_wait_loadcnt_dscnt 0x101
	v_mul_f64_e32 v[69:70], v[6:7], v[87:88]
	v_mul_f64_e32 v[77:78], v[8:9], v[87:88]
	v_add_f64_e32 v[67:68], v[67:68], v[71:72]
	v_add_f64_e32 v[10:11], v[10:11], v[65:66]
	s_wait_loadcnt_dscnt 0x0
	v_mul_f64_e32 v[65:66], v[1:2], v[91:92]
	v_mul_f64_e32 v[71:72], v[3:4], v[91:92]
	v_fma_f64 v[8:9], v[8:9], v[85:86], v[69:70]
	v_fma_f64 v[6:7], v[6:7], v[85:86], -v[77:78]
	v_add_f64_e32 v[67:68], v[67:68], v[75:76]
	v_add_f64_e32 v[10:11], v[10:11], v[73:74]
	v_fma_f64 v[3:4], v[3:4], v[89:90], v[65:66]
	v_fma_f64 v[1:2], v[1:2], v[89:90], -v[71:72]
	s_delay_alu instid0(VALU_DEP_4) | instskip(NEXT) | instid1(VALU_DEP_4)
	v_add_f64_e32 v[6:7], v[67:68], v[6:7]
	v_add_f64_e32 v[8:9], v[10:11], v[8:9]
	s_delay_alu instid0(VALU_DEP_2) | instskip(NEXT) | instid1(VALU_DEP_2)
	v_add_f64_e32 v[1:2], v[6:7], v[1:2]
	v_add_f64_e32 v[3:4], v[8:9], v[3:4]
	s_delay_alu instid0(VALU_DEP_2) | instskip(NEXT) | instid1(VALU_DEP_2)
	v_add_f64_e64 v[1:2], v[105:106], -v[1:2]
	v_add_f64_e64 v[3:4], v[107:108], -v[3:4]
	scratch_store_b128 off, v[1:4], off offset:128
	v_cmpx_lt_u32_e32 6, v0
	s_cbranch_execz .LBB89_157
; %bb.156:
	scratch_load_b128 v[1:4], off, s22
	v_mov_b32_e32 v6, 0
	s_delay_alu instid0(VALU_DEP_1)
	v_dual_mov_b32 v7, v6 :: v_dual_mov_b32 v8, v6
	v_mov_b32_e32 v9, v6
	scratch_store_b128 off, v[6:9], off offset:112
	s_wait_loadcnt 0x0
	ds_store_b128 v5, v[1:4]
.LBB89_157:
	s_wait_alu 0xfffe
	s_or_b32 exec_lo, exec_lo, s0
	s_wait_storecnt_dscnt 0x0
	s_barrier_signal -1
	s_barrier_wait -1
	global_inv scope:SCOPE_SE
	s_clause 0x7
	scratch_load_b128 v[6:9], off, off offset:128
	scratch_load_b128 v[65:68], off, off offset:144
	;; [unrolled: 1-line block ×8, first 2 shown]
	v_mov_b32_e32 v1, 0
	s_mov_b32 s0, exec_lo
	ds_load_b128 v[93:96], v1 offset:528
	s_clause 0x1
	scratch_load_b128 v[97:100], off, off offset:256
	scratch_load_b128 v[101:104], off, off offset:112
	ds_load_b128 v[105:108], v1 offset:544
	ds_load_b128 v[113:116], v1 offset:576
	s_wait_loadcnt_dscnt 0x902
	v_mul_f64_e32 v[2:3], v[95:96], v[8:9]
	v_mul_f64_e32 v[109:110], v[93:94], v[8:9]
	scratch_load_b128 v[8:11], off, off offset:272
	v_fma_f64 v[2:3], v[93:94], v[6:7], -v[2:3]
	v_fma_f64 v[6:7], v[95:96], v[6:7], v[109:110]
	ds_load_b128 v[93:96], v1 offset:560
	s_wait_loadcnt_dscnt 0x902
	v_mul_f64_e32 v[117:118], v[105:106], v[67:68]
	v_mul_f64_e32 v[67:68], v[107:108], v[67:68]
	scratch_load_b128 v[109:112], off, off offset:288
	s_wait_loadcnt_dscnt 0x900
	v_mul_f64_e32 v[119:120], v[93:94], v[71:72]
	v_mul_f64_e32 v[71:72], v[95:96], v[71:72]
	v_add_f64_e32 v[2:3], 0, v[2:3]
	v_add_f64_e32 v[6:7], 0, v[6:7]
	v_fma_f64 v[107:108], v[107:108], v[65:66], v[117:118]
	v_fma_f64 v[105:106], v[105:106], v[65:66], -v[67:68]
	scratch_load_b128 v[65:68], off, off offset:304
	v_fma_f64 v[119:120], v[95:96], v[69:70], v[119:120]
	v_fma_f64 v[121:122], v[93:94], v[69:70], -v[71:72]
	ds_load_b128 v[69:72], v1 offset:592
	s_wait_loadcnt 0x9
	v_mul_f64_e32 v[117:118], v[113:114], v[75:76]
	v_mul_f64_e32 v[75:76], v[115:116], v[75:76]
	scratch_load_b128 v[93:96], off, off offset:320
	v_add_f64_e32 v[6:7], v[6:7], v[107:108]
	v_add_f64_e32 v[2:3], v[2:3], v[105:106]
	ds_load_b128 v[105:108], v1 offset:608
	s_wait_loadcnt_dscnt 0x901
	v_mul_f64_e32 v[123:124], v[69:70], v[79:80]
	v_mul_f64_e32 v[79:80], v[71:72], v[79:80]
	v_fma_f64 v[115:116], v[115:116], v[73:74], v[117:118]
	v_fma_f64 v[113:114], v[113:114], v[73:74], -v[75:76]
	scratch_load_b128 v[73:76], off, off offset:336
	v_add_f64_e32 v[6:7], v[6:7], v[119:120]
	v_add_f64_e32 v[2:3], v[2:3], v[121:122]
	v_fma_f64 v[119:120], v[71:72], v[77:78], v[123:124]
	v_fma_f64 v[121:122], v[69:70], v[77:78], -v[79:80]
	ds_load_b128 v[69:72], v1 offset:624
	s_wait_loadcnt_dscnt 0x901
	v_mul_f64_e32 v[117:118], v[105:106], v[83:84]
	v_mul_f64_e32 v[83:84], v[107:108], v[83:84]
	scratch_load_b128 v[77:80], off, off offset:352
	s_wait_loadcnt_dscnt 0x900
	v_mul_f64_e32 v[123:124], v[69:70], v[87:88]
	v_mul_f64_e32 v[87:88], v[71:72], v[87:88]
	v_add_f64_e32 v[6:7], v[6:7], v[115:116]
	v_add_f64_e32 v[2:3], v[2:3], v[113:114]
	ds_load_b128 v[113:116], v1 offset:640
	v_fma_f64 v[107:108], v[107:108], v[81:82], v[117:118]
	v_fma_f64 v[105:106], v[105:106], v[81:82], -v[83:84]
	scratch_load_b128 v[81:84], off, off offset:368
	v_add_f64_e32 v[6:7], v[6:7], v[119:120]
	v_add_f64_e32 v[2:3], v[2:3], v[121:122]
	v_fma_f64 v[119:120], v[71:72], v[85:86], v[123:124]
	v_fma_f64 v[121:122], v[69:70], v[85:86], -v[87:88]
	ds_load_b128 v[69:72], v1 offset:656
	s_wait_loadcnt_dscnt 0x901
	v_mul_f64_e32 v[117:118], v[113:114], v[91:92]
	v_mul_f64_e32 v[91:92], v[115:116], v[91:92]
	scratch_load_b128 v[85:88], off, off offset:384
	s_wait_loadcnt_dscnt 0x900
	v_mul_f64_e32 v[123:124], v[69:70], v[99:100]
	v_mul_f64_e32 v[99:100], v[71:72], v[99:100]
	v_add_f64_e32 v[6:7], v[6:7], v[107:108]
	v_add_f64_e32 v[2:3], v[2:3], v[105:106]
	ds_load_b128 v[105:108], v1 offset:672
	v_fma_f64 v[115:116], v[115:116], v[89:90], v[117:118]
	v_fma_f64 v[113:114], v[113:114], v[89:90], -v[91:92]
	scratch_load_b128 v[89:92], off, off offset:400
	v_add_f64_e32 v[6:7], v[6:7], v[119:120]
	v_add_f64_e32 v[2:3], v[2:3], v[121:122]
	v_fma_f64 v[119:120], v[71:72], v[97:98], v[123:124]
	v_fma_f64 v[121:122], v[69:70], v[97:98], -v[99:100]
	ds_load_b128 v[69:72], v1 offset:688
	scratch_load_b128 v[97:100], off, off offset:416
	s_wait_loadcnt_dscnt 0x901
	v_mul_f64_e32 v[117:118], v[105:106], v[10:11]
	v_mul_f64_e32 v[10:11], v[107:108], v[10:11]
	v_add_f64_e32 v[6:7], v[6:7], v[115:116]
	v_add_f64_e32 v[2:3], v[2:3], v[113:114]
	ds_load_b128 v[113:116], v1 offset:704
	v_fma_f64 v[107:108], v[107:108], v[8:9], v[117:118]
	v_fma_f64 v[8:9], v[105:106], v[8:9], -v[10:11]
	s_wait_loadcnt_dscnt 0x801
	v_mul_f64_e32 v[123:124], v[69:70], v[111:112]
	v_mul_f64_e32 v[111:112], v[71:72], v[111:112]
	v_add_f64_e32 v[6:7], v[6:7], v[119:120]
	v_add_f64_e32 v[2:3], v[2:3], v[121:122]
	s_wait_loadcnt_dscnt 0x700
	v_mul_f64_e32 v[10:11], v[113:114], v[67:68]
	v_mul_f64_e32 v[105:106], v[115:116], v[67:68]
	v_fma_f64 v[71:72], v[71:72], v[109:110], v[123:124]
	v_fma_f64 v[109:110], v[69:70], v[109:110], -v[111:112]
	v_add_f64_e32 v[107:108], v[6:7], v[107:108]
	v_add_f64_e32 v[2:3], v[2:3], v[8:9]
	ds_load_b128 v[6:9], v1 offset:720
	ds_load_b128 v[67:70], v1 offset:736
	v_fma_f64 v[10:11], v[115:116], v[65:66], v[10:11]
	v_fma_f64 v[65:66], v[113:114], v[65:66], -v[105:106]
	s_wait_loadcnt_dscnt 0x601
	v_mul_f64_e32 v[111:112], v[6:7], v[95:96]
	v_mul_f64_e32 v[95:96], v[8:9], v[95:96]
	v_add_f64_e32 v[71:72], v[107:108], v[71:72]
	v_add_f64_e32 v[2:3], v[2:3], v[109:110]
	s_wait_loadcnt_dscnt 0x500
	v_mul_f64_e32 v[105:106], v[67:68], v[75:76]
	v_mul_f64_e32 v[75:76], v[69:70], v[75:76]
	v_fma_f64 v[107:108], v[8:9], v[93:94], v[111:112]
	v_fma_f64 v[109:110], v[6:7], v[93:94], -v[95:96]
	ds_load_b128 v[6:9], v1 offset:752
	ds_load_b128 v[93:96], v1 offset:768
	v_add_f64_e32 v[10:11], v[71:72], v[10:11]
	v_add_f64_e32 v[2:3], v[2:3], v[65:66]
	v_fma_f64 v[69:70], v[69:70], v[73:74], v[105:106]
	v_fma_f64 v[67:68], v[67:68], v[73:74], -v[75:76]
	s_wait_loadcnt_dscnt 0x401
	v_mul_f64_e32 v[65:66], v[6:7], v[79:80]
	v_mul_f64_e32 v[71:72], v[8:9], v[79:80]
	s_wait_loadcnt_dscnt 0x300
	v_mul_f64_e32 v[73:74], v[93:94], v[83:84]
	v_mul_f64_e32 v[75:76], v[95:96], v[83:84]
	v_add_f64_e32 v[10:11], v[10:11], v[107:108]
	v_add_f64_e32 v[2:3], v[2:3], v[109:110]
	v_fma_f64 v[79:80], v[8:9], v[77:78], v[65:66]
	v_fma_f64 v[71:72], v[6:7], v[77:78], -v[71:72]
	v_fma_f64 v[73:74], v[95:96], v[81:82], v[73:74]
	v_fma_f64 v[75:76], v[93:94], v[81:82], -v[75:76]
	v_add_f64_e32 v[10:11], v[10:11], v[69:70]
	v_add_f64_e32 v[2:3], v[2:3], v[67:68]
	ds_load_b128 v[6:9], v1 offset:784
	ds_load_b128 v[65:68], v1 offset:800
	s_wait_loadcnt_dscnt 0x201
	v_mul_f64_e32 v[69:70], v[6:7], v[87:88]
	v_mul_f64_e32 v[77:78], v[8:9], v[87:88]
	v_add_f64_e32 v[10:11], v[10:11], v[79:80]
	v_add_f64_e32 v[2:3], v[2:3], v[71:72]
	s_wait_loadcnt_dscnt 0x100
	v_mul_f64_e32 v[71:72], v[65:66], v[91:92]
	v_mul_f64_e32 v[79:80], v[67:68], v[91:92]
	v_fma_f64 v[69:70], v[8:9], v[85:86], v[69:70]
	v_fma_f64 v[77:78], v[6:7], v[85:86], -v[77:78]
	ds_load_b128 v[6:9], v1 offset:816
	v_add_f64_e32 v[10:11], v[10:11], v[73:74]
	v_add_f64_e32 v[2:3], v[2:3], v[75:76]
	v_fma_f64 v[67:68], v[67:68], v[89:90], v[71:72]
	v_fma_f64 v[65:66], v[65:66], v[89:90], -v[79:80]
	s_wait_loadcnt_dscnt 0x0
	v_mul_f64_e32 v[73:74], v[6:7], v[99:100]
	v_mul_f64_e32 v[75:76], v[8:9], v[99:100]
	v_add_f64_e32 v[10:11], v[10:11], v[69:70]
	v_add_f64_e32 v[2:3], v[2:3], v[77:78]
	s_delay_alu instid0(VALU_DEP_4) | instskip(NEXT) | instid1(VALU_DEP_4)
	v_fma_f64 v[8:9], v[8:9], v[97:98], v[73:74]
	v_fma_f64 v[6:7], v[6:7], v[97:98], -v[75:76]
	s_delay_alu instid0(VALU_DEP_4) | instskip(NEXT) | instid1(VALU_DEP_4)
	v_add_f64_e32 v[10:11], v[10:11], v[67:68]
	v_add_f64_e32 v[2:3], v[2:3], v[65:66]
	s_delay_alu instid0(VALU_DEP_2) | instskip(NEXT) | instid1(VALU_DEP_2)
	v_add_f64_e32 v[8:9], v[10:11], v[8:9]
	v_add_f64_e32 v[2:3], v[2:3], v[6:7]
	s_delay_alu instid0(VALU_DEP_2) | instskip(NEXT) | instid1(VALU_DEP_2)
	v_add_f64_e64 v[8:9], v[103:104], -v[8:9]
	v_add_f64_e64 v[6:7], v[101:102], -v[2:3]
	scratch_store_b128 off, v[6:9], off offset:112
	v_cmpx_lt_u32_e32 5, v0
	s_cbranch_execz .LBB89_159
; %bb.158:
	scratch_load_b128 v[6:9], off, s4
	v_dual_mov_b32 v2, v1 :: v_dual_mov_b32 v3, v1
	v_mov_b32_e32 v4, v1
	scratch_store_b128 off, v[1:4], off offset:96
	s_wait_loadcnt 0x0
	ds_store_b128 v5, v[6:9]
.LBB89_159:
	s_wait_alu 0xfffe
	s_or_b32 exec_lo, exec_lo, s0
	s_wait_storecnt_dscnt 0x0
	s_barrier_signal -1
	s_barrier_wait -1
	global_inv scope:SCOPE_SE
	s_clause 0x8
	scratch_load_b128 v[6:9], off, off offset:112
	scratch_load_b128 v[65:68], off, off offset:128
	;; [unrolled: 1-line block ×9, first 2 shown]
	ds_load_b128 v[97:100], v1 offset:512
	ds_load_b128 v[101:104], v1 offset:528
	scratch_load_b128 v[105:108], off, off offset:96
	s_mov_b32 s0, exec_lo
	ds_load_b128 v[113:116], v1 offset:560
	s_wait_loadcnt_dscnt 0x902
	v_mul_f64_e32 v[2:3], v[99:100], v[8:9]
	v_mul_f64_e32 v[109:110], v[97:98], v[8:9]
	scratch_load_b128 v[8:11], off, off offset:256
	s_wait_loadcnt_dscnt 0x901
	v_mul_f64_e32 v[117:118], v[101:102], v[67:68]
	v_mul_f64_e32 v[67:68], v[103:104], v[67:68]
	v_fma_f64 v[2:3], v[97:98], v[6:7], -v[2:3]
	v_fma_f64 v[6:7], v[99:100], v[6:7], v[109:110]
	ds_load_b128 v[97:100], v1 offset:544
	scratch_load_b128 v[109:112], off, off offset:272
	v_fma_f64 v[103:104], v[103:104], v[65:66], v[117:118]
	v_fma_f64 v[101:102], v[101:102], v[65:66], -v[67:68]
	scratch_load_b128 v[65:68], off, off offset:288
	s_wait_loadcnt_dscnt 0x901
	v_mul_f64_e32 v[117:118], v[113:114], v[75:76]
	v_mul_f64_e32 v[75:76], v[115:116], v[75:76]
	s_wait_dscnt 0x0
	v_mul_f64_e32 v[119:120], v[97:98], v[71:72]
	v_mul_f64_e32 v[71:72], v[99:100], v[71:72]
	v_add_f64_e32 v[2:3], 0, v[2:3]
	v_add_f64_e32 v[6:7], 0, v[6:7]
	v_fma_f64 v[115:116], v[115:116], v[73:74], v[117:118]
	v_fma_f64 v[113:114], v[113:114], v[73:74], -v[75:76]
	scratch_load_b128 v[73:76], off, off offset:320
	v_fma_f64 v[119:120], v[99:100], v[69:70], v[119:120]
	v_fma_f64 v[121:122], v[97:98], v[69:70], -v[71:72]
	ds_load_b128 v[69:72], v1 offset:576
	scratch_load_b128 v[97:100], off, off offset:304
	v_add_f64_e32 v[2:3], v[2:3], v[101:102]
	v_add_f64_e32 v[6:7], v[6:7], v[103:104]
	ds_load_b128 v[101:104], v1 offset:592
	s_wait_loadcnt_dscnt 0xa01
	v_mul_f64_e32 v[123:124], v[69:70], v[79:80]
	v_mul_f64_e32 v[79:80], v[71:72], v[79:80]
	s_wait_loadcnt_dscnt 0x900
	v_mul_f64_e32 v[117:118], v[101:102], v[83:84]
	v_mul_f64_e32 v[83:84], v[103:104], v[83:84]
	v_add_f64_e32 v[2:3], v[2:3], v[121:122]
	v_add_f64_e32 v[6:7], v[6:7], v[119:120]
	v_fma_f64 v[119:120], v[71:72], v[77:78], v[123:124]
	v_fma_f64 v[121:122], v[69:70], v[77:78], -v[79:80]
	ds_load_b128 v[69:72], v1 offset:608
	scratch_load_b128 v[77:80], off, off offset:336
	v_fma_f64 v[103:104], v[103:104], v[81:82], v[117:118]
	v_fma_f64 v[101:102], v[101:102], v[81:82], -v[83:84]
	scratch_load_b128 v[81:84], off, off offset:352
	v_add_f64_e32 v[2:3], v[2:3], v[113:114]
	v_add_f64_e32 v[6:7], v[6:7], v[115:116]
	ds_load_b128 v[113:116], v1 offset:624
	s_wait_loadcnt_dscnt 0xa01
	v_mul_f64_e32 v[123:124], v[69:70], v[87:88]
	v_mul_f64_e32 v[87:88], v[71:72], v[87:88]
	s_wait_loadcnt_dscnt 0x900
	v_mul_f64_e32 v[117:118], v[113:114], v[91:92]
	v_mul_f64_e32 v[91:92], v[115:116], v[91:92]
	v_add_f64_e32 v[2:3], v[2:3], v[121:122]
	v_add_f64_e32 v[6:7], v[6:7], v[119:120]
	v_fma_f64 v[119:120], v[71:72], v[85:86], v[123:124]
	v_fma_f64 v[121:122], v[69:70], v[85:86], -v[87:88]
	ds_load_b128 v[69:72], v1 offset:640
	scratch_load_b128 v[85:88], off, off offset:368
	v_fma_f64 v[115:116], v[115:116], v[89:90], v[117:118]
	v_fma_f64 v[113:114], v[113:114], v[89:90], -v[91:92]
	scratch_load_b128 v[89:92], off, off offset:384
	v_add_f64_e32 v[2:3], v[2:3], v[101:102]
	v_add_f64_e32 v[6:7], v[6:7], v[103:104]
	ds_load_b128 v[101:104], v1 offset:656
	s_wait_loadcnt_dscnt 0xa01
	v_mul_f64_e32 v[123:124], v[69:70], v[95:96]
	v_mul_f64_e32 v[95:96], v[71:72], v[95:96]
	v_add_f64_e32 v[2:3], v[2:3], v[121:122]
	v_add_f64_e32 v[6:7], v[6:7], v[119:120]
	s_delay_alu instid0(VALU_DEP_4) | instskip(NEXT) | instid1(VALU_DEP_4)
	v_fma_f64 v[119:120], v[71:72], v[93:94], v[123:124]
	v_fma_f64 v[121:122], v[69:70], v[93:94], -v[95:96]
	ds_load_b128 v[69:72], v1 offset:672
	scratch_load_b128 v[93:96], off, off offset:400
	s_wait_loadcnt_dscnt 0x901
	v_mul_f64_e32 v[117:118], v[101:102], v[10:11]
	v_mul_f64_e32 v[10:11], v[103:104], v[10:11]
	v_add_f64_e32 v[2:3], v[2:3], v[113:114]
	v_add_f64_e32 v[6:7], v[6:7], v[115:116]
	ds_load_b128 v[113:116], v1 offset:688
	v_fma_f64 v[103:104], v[103:104], v[8:9], v[117:118]
	s_wait_loadcnt_dscnt 0x801
	v_mul_f64_e32 v[123:124], v[69:70], v[111:112]
	v_mul_f64_e32 v[111:112], v[71:72], v[111:112]
	v_fma_f64 v[10:11], v[101:102], v[8:9], -v[10:11]
	s_wait_loadcnt_dscnt 0x700
	v_mul_f64_e32 v[117:118], v[113:114], v[67:68]
	v_add_f64_e32 v[2:3], v[2:3], v[121:122]
	v_add_f64_e32 v[101:102], v[6:7], v[119:120]
	scratch_load_b128 v[6:9], off, off offset:416
	v_mul_f64_e32 v[119:120], v[115:116], v[67:68]
	v_fma_f64 v[71:72], v[71:72], v[109:110], v[123:124]
	v_fma_f64 v[109:110], v[69:70], v[109:110], -v[111:112]
	v_fma_f64 v[115:116], v[115:116], v[65:66], v[117:118]
	v_add_f64_e32 v[2:3], v[2:3], v[10:11]
	v_add_f64_e32 v[10:11], v[101:102], v[103:104]
	ds_load_b128 v[67:70], v1 offset:704
	ds_load_b128 v[101:104], v1 offset:720
	v_fma_f64 v[65:66], v[113:114], v[65:66], -v[119:120]
	s_wait_loadcnt_dscnt 0x601
	v_mul_f64_e32 v[111:112], v[67:68], v[99:100]
	v_mul_f64_e32 v[99:100], v[69:70], v[99:100]
	v_add_f64_e32 v[2:3], v[2:3], v[109:110]
	v_add_f64_e32 v[10:11], v[10:11], v[71:72]
	s_wait_dscnt 0x0
	v_mul_f64_e32 v[109:110], v[101:102], v[75:76]
	v_mul_f64_e32 v[75:76], v[103:104], v[75:76]
	v_fma_f64 v[111:112], v[69:70], v[97:98], v[111:112]
	v_fma_f64 v[97:98], v[67:68], v[97:98], -v[99:100]
	v_add_f64_e32 v[2:3], v[2:3], v[65:66]
	v_add_f64_e32 v[10:11], v[10:11], v[115:116]
	ds_load_b128 v[65:68], v1 offset:736
	ds_load_b128 v[69:72], v1 offset:752
	v_fma_f64 v[103:104], v[103:104], v[73:74], v[109:110]
	v_fma_f64 v[73:74], v[101:102], v[73:74], -v[75:76]
	s_wait_loadcnt_dscnt 0x501
	v_mul_f64_e32 v[99:100], v[65:66], v[79:80]
	v_mul_f64_e32 v[79:80], v[67:68], v[79:80]
	v_add_f64_e32 v[2:3], v[2:3], v[97:98]
	v_add_f64_e32 v[10:11], v[10:11], v[111:112]
	s_wait_loadcnt_dscnt 0x400
	v_mul_f64_e32 v[97:98], v[69:70], v[83:84]
	v_mul_f64_e32 v[83:84], v[71:72], v[83:84]
	v_fma_f64 v[99:100], v[67:68], v[77:78], v[99:100]
	v_fma_f64 v[77:78], v[65:66], v[77:78], -v[79:80]
	v_add_f64_e32 v[2:3], v[2:3], v[73:74]
	v_add_f64_e32 v[10:11], v[10:11], v[103:104]
	ds_load_b128 v[65:68], v1 offset:768
	ds_load_b128 v[73:76], v1 offset:784
	v_fma_f64 v[71:72], v[71:72], v[81:82], v[97:98]
	v_fma_f64 v[69:70], v[69:70], v[81:82], -v[83:84]
	s_wait_loadcnt_dscnt 0x301
	v_mul_f64_e32 v[79:80], v[65:66], v[87:88]
	v_mul_f64_e32 v[87:88], v[67:68], v[87:88]
	s_wait_loadcnt_dscnt 0x200
	v_mul_f64_e32 v[81:82], v[75:76], v[91:92]
	v_add_f64_e32 v[2:3], v[2:3], v[77:78]
	v_add_f64_e32 v[10:11], v[10:11], v[99:100]
	v_mul_f64_e32 v[77:78], v[73:74], v[91:92]
	v_fma_f64 v[79:80], v[67:68], v[85:86], v[79:80]
	v_fma_f64 v[83:84], v[65:66], v[85:86], -v[87:88]
	v_fma_f64 v[73:74], v[73:74], v[89:90], -v[81:82]
	v_add_f64_e32 v[69:70], v[2:3], v[69:70]
	v_add_f64_e32 v[10:11], v[10:11], v[71:72]
	ds_load_b128 v[65:68], v1 offset:800
	ds_load_b128 v[1:4], v1 offset:816
	v_fma_f64 v[75:76], v[75:76], v[89:90], v[77:78]
	s_wait_loadcnt_dscnt 0x101
	v_mul_f64_e32 v[71:72], v[65:66], v[95:96]
	v_mul_f64_e32 v[85:86], v[67:68], v[95:96]
	v_add_f64_e32 v[69:70], v[69:70], v[83:84]
	v_add_f64_e32 v[10:11], v[10:11], v[79:80]
	s_wait_loadcnt_dscnt 0x0
	v_mul_f64_e32 v[77:78], v[1:2], v[8:9]
	v_mul_f64_e32 v[8:9], v[3:4], v[8:9]
	v_fma_f64 v[67:68], v[67:68], v[93:94], v[71:72]
	v_fma_f64 v[65:66], v[65:66], v[93:94], -v[85:86]
	v_add_f64_e32 v[69:70], v[69:70], v[73:74]
	v_add_f64_e32 v[10:11], v[10:11], v[75:76]
	v_fma_f64 v[3:4], v[3:4], v[6:7], v[77:78]
	v_fma_f64 v[1:2], v[1:2], v[6:7], -v[8:9]
	s_delay_alu instid0(VALU_DEP_4) | instskip(NEXT) | instid1(VALU_DEP_4)
	v_add_f64_e32 v[6:7], v[69:70], v[65:66]
	v_add_f64_e32 v[8:9], v[10:11], v[67:68]
	s_delay_alu instid0(VALU_DEP_2) | instskip(NEXT) | instid1(VALU_DEP_2)
	v_add_f64_e32 v[1:2], v[6:7], v[1:2]
	v_add_f64_e32 v[3:4], v[8:9], v[3:4]
	s_delay_alu instid0(VALU_DEP_2) | instskip(NEXT) | instid1(VALU_DEP_2)
	v_add_f64_e64 v[1:2], v[105:106], -v[1:2]
	v_add_f64_e64 v[3:4], v[107:108], -v[3:4]
	scratch_store_b128 off, v[1:4], off offset:96
	v_cmpx_lt_u32_e32 4, v0
	s_cbranch_execz .LBB89_161
; %bb.160:
	scratch_load_b128 v[1:4], off, s21
	v_mov_b32_e32 v6, 0
	s_delay_alu instid0(VALU_DEP_1)
	v_dual_mov_b32 v7, v6 :: v_dual_mov_b32 v8, v6
	v_mov_b32_e32 v9, v6
	scratch_store_b128 off, v[6:9], off offset:80
	s_wait_loadcnt 0x0
	ds_store_b128 v5, v[1:4]
.LBB89_161:
	s_wait_alu 0xfffe
	s_or_b32 exec_lo, exec_lo, s0
	s_wait_storecnt_dscnt 0x0
	s_barrier_signal -1
	s_barrier_wait -1
	global_inv scope:SCOPE_SE
	s_clause 0x7
	scratch_load_b128 v[6:9], off, off offset:96
	scratch_load_b128 v[65:68], off, off offset:112
	;; [unrolled: 1-line block ×8, first 2 shown]
	v_mov_b32_e32 v1, 0
	s_mov_b32 s0, exec_lo
	ds_load_b128 v[93:96], v1 offset:496
	s_clause 0x1
	scratch_load_b128 v[97:100], off, off offset:224
	scratch_load_b128 v[101:104], off, off offset:80
	ds_load_b128 v[105:108], v1 offset:512
	ds_load_b128 v[113:116], v1 offset:544
	s_wait_loadcnt_dscnt 0x902
	v_mul_f64_e32 v[2:3], v[95:96], v[8:9]
	v_mul_f64_e32 v[109:110], v[93:94], v[8:9]
	scratch_load_b128 v[8:11], off, off offset:240
	v_fma_f64 v[2:3], v[93:94], v[6:7], -v[2:3]
	v_fma_f64 v[6:7], v[95:96], v[6:7], v[109:110]
	ds_load_b128 v[93:96], v1 offset:528
	s_wait_loadcnt_dscnt 0x902
	v_mul_f64_e32 v[117:118], v[105:106], v[67:68]
	v_mul_f64_e32 v[67:68], v[107:108], v[67:68]
	scratch_load_b128 v[109:112], off, off offset:256
	s_wait_loadcnt_dscnt 0x900
	v_mul_f64_e32 v[119:120], v[93:94], v[71:72]
	v_mul_f64_e32 v[71:72], v[95:96], v[71:72]
	v_add_f64_e32 v[2:3], 0, v[2:3]
	v_add_f64_e32 v[6:7], 0, v[6:7]
	v_fma_f64 v[107:108], v[107:108], v[65:66], v[117:118]
	v_fma_f64 v[105:106], v[105:106], v[65:66], -v[67:68]
	scratch_load_b128 v[65:68], off, off offset:272
	v_fma_f64 v[119:120], v[95:96], v[69:70], v[119:120]
	v_fma_f64 v[121:122], v[93:94], v[69:70], -v[71:72]
	ds_load_b128 v[69:72], v1 offset:560
	s_wait_loadcnt 0x9
	v_mul_f64_e32 v[117:118], v[113:114], v[75:76]
	v_mul_f64_e32 v[75:76], v[115:116], v[75:76]
	scratch_load_b128 v[93:96], off, off offset:288
	v_add_f64_e32 v[6:7], v[6:7], v[107:108]
	v_add_f64_e32 v[2:3], v[2:3], v[105:106]
	ds_load_b128 v[105:108], v1 offset:576
	s_wait_loadcnt_dscnt 0x901
	v_mul_f64_e32 v[123:124], v[69:70], v[79:80]
	v_mul_f64_e32 v[79:80], v[71:72], v[79:80]
	v_fma_f64 v[115:116], v[115:116], v[73:74], v[117:118]
	v_fma_f64 v[113:114], v[113:114], v[73:74], -v[75:76]
	scratch_load_b128 v[73:76], off, off offset:304
	v_add_f64_e32 v[6:7], v[6:7], v[119:120]
	v_add_f64_e32 v[2:3], v[2:3], v[121:122]
	v_fma_f64 v[119:120], v[71:72], v[77:78], v[123:124]
	v_fma_f64 v[121:122], v[69:70], v[77:78], -v[79:80]
	ds_load_b128 v[69:72], v1 offset:592
	s_wait_loadcnt_dscnt 0x901
	v_mul_f64_e32 v[117:118], v[105:106], v[83:84]
	v_mul_f64_e32 v[83:84], v[107:108], v[83:84]
	scratch_load_b128 v[77:80], off, off offset:320
	s_wait_loadcnt_dscnt 0x900
	v_mul_f64_e32 v[123:124], v[69:70], v[87:88]
	v_mul_f64_e32 v[87:88], v[71:72], v[87:88]
	v_add_f64_e32 v[6:7], v[6:7], v[115:116]
	v_add_f64_e32 v[2:3], v[2:3], v[113:114]
	ds_load_b128 v[113:116], v1 offset:608
	v_fma_f64 v[107:108], v[107:108], v[81:82], v[117:118]
	v_fma_f64 v[105:106], v[105:106], v[81:82], -v[83:84]
	scratch_load_b128 v[81:84], off, off offset:336
	v_add_f64_e32 v[6:7], v[6:7], v[119:120]
	v_add_f64_e32 v[2:3], v[2:3], v[121:122]
	v_fma_f64 v[119:120], v[71:72], v[85:86], v[123:124]
	v_fma_f64 v[121:122], v[69:70], v[85:86], -v[87:88]
	ds_load_b128 v[69:72], v1 offset:624
	s_wait_loadcnt_dscnt 0x901
	v_mul_f64_e32 v[117:118], v[113:114], v[91:92]
	v_mul_f64_e32 v[91:92], v[115:116], v[91:92]
	scratch_load_b128 v[85:88], off, off offset:352
	s_wait_loadcnt_dscnt 0x900
	v_mul_f64_e32 v[123:124], v[69:70], v[99:100]
	v_mul_f64_e32 v[99:100], v[71:72], v[99:100]
	v_add_f64_e32 v[6:7], v[6:7], v[107:108]
	v_add_f64_e32 v[2:3], v[2:3], v[105:106]
	ds_load_b128 v[105:108], v1 offset:640
	v_fma_f64 v[115:116], v[115:116], v[89:90], v[117:118]
	v_fma_f64 v[113:114], v[113:114], v[89:90], -v[91:92]
	scratch_load_b128 v[89:92], off, off offset:368
	v_add_f64_e32 v[6:7], v[6:7], v[119:120]
	v_add_f64_e32 v[2:3], v[2:3], v[121:122]
	v_fma_f64 v[119:120], v[71:72], v[97:98], v[123:124]
	v_fma_f64 v[121:122], v[69:70], v[97:98], -v[99:100]
	ds_load_b128 v[69:72], v1 offset:656
	scratch_load_b128 v[97:100], off, off offset:384
	s_wait_loadcnt_dscnt 0x901
	v_mul_f64_e32 v[117:118], v[105:106], v[10:11]
	v_mul_f64_e32 v[10:11], v[107:108], v[10:11]
	v_add_f64_e32 v[6:7], v[6:7], v[115:116]
	v_add_f64_e32 v[2:3], v[2:3], v[113:114]
	ds_load_b128 v[113:116], v1 offset:672
	v_fma_f64 v[107:108], v[107:108], v[8:9], v[117:118]
	v_fma_f64 v[10:11], v[105:106], v[8:9], -v[10:11]
	s_wait_loadcnt_dscnt 0x801
	v_mul_f64_e32 v[123:124], v[69:70], v[111:112]
	v_mul_f64_e32 v[111:112], v[71:72], v[111:112]
	v_add_f64_e32 v[105:106], v[6:7], v[119:120]
	v_add_f64_e32 v[2:3], v[2:3], v[121:122]
	scratch_load_b128 v[6:9], off, off offset:400
	v_fma_f64 v[71:72], v[71:72], v[109:110], v[123:124]
	v_fma_f64 v[121:122], v[69:70], v[109:110], -v[111:112]
	ds_load_b128 v[109:112], v1 offset:704
	s_wait_loadcnt_dscnt 0x801
	v_mul_f64_e32 v[117:118], v[113:114], v[67:68]
	v_mul_f64_e32 v[119:120], v[115:116], v[67:68]
	ds_load_b128 v[67:70], v1 offset:688
	v_add_f64_e32 v[2:3], v[2:3], v[10:11]
	v_add_f64_e32 v[10:11], v[105:106], v[107:108]
	scratch_load_b128 v[105:108], off, off offset:416
	s_wait_loadcnt_dscnt 0x800
	v_mul_f64_e32 v[123:124], v[67:68], v[95:96]
	v_mul_f64_e32 v[95:96], v[69:70], v[95:96]
	v_fma_f64 v[115:116], v[115:116], v[65:66], v[117:118]
	v_fma_f64 v[65:66], v[113:114], v[65:66], -v[119:120]
	v_add_f64_e32 v[2:3], v[2:3], v[121:122]
	v_add_f64_e32 v[10:11], v[10:11], v[71:72]
	s_wait_loadcnt 0x7
	v_mul_f64_e32 v[113:114], v[109:110], v[75:76]
	v_mul_f64_e32 v[75:76], v[111:112], v[75:76]
	v_fma_f64 v[117:118], v[69:70], v[93:94], v[123:124]
	v_fma_f64 v[93:94], v[67:68], v[93:94], -v[95:96]
	v_add_f64_e32 v[2:3], v[2:3], v[65:66]
	v_add_f64_e32 v[10:11], v[10:11], v[115:116]
	ds_load_b128 v[65:68], v1 offset:720
	ds_load_b128 v[69:72], v1 offset:736
	v_fma_f64 v[111:112], v[111:112], v[73:74], v[113:114]
	v_fma_f64 v[73:74], v[109:110], v[73:74], -v[75:76]
	s_wait_loadcnt_dscnt 0x601
	v_mul_f64_e32 v[95:96], v[65:66], v[79:80]
	v_mul_f64_e32 v[79:80], v[67:68], v[79:80]
	v_add_f64_e32 v[2:3], v[2:3], v[93:94]
	v_add_f64_e32 v[10:11], v[10:11], v[117:118]
	s_wait_loadcnt_dscnt 0x500
	v_mul_f64_e32 v[93:94], v[69:70], v[83:84]
	v_mul_f64_e32 v[83:84], v[71:72], v[83:84]
	v_fma_f64 v[95:96], v[67:68], v[77:78], v[95:96]
	v_fma_f64 v[77:78], v[65:66], v[77:78], -v[79:80]
	v_add_f64_e32 v[2:3], v[2:3], v[73:74]
	v_add_f64_e32 v[10:11], v[10:11], v[111:112]
	ds_load_b128 v[65:68], v1 offset:752
	ds_load_b128 v[73:76], v1 offset:768
	v_fma_f64 v[71:72], v[71:72], v[81:82], v[93:94]
	v_fma_f64 v[69:70], v[69:70], v[81:82], -v[83:84]
	s_wait_loadcnt_dscnt 0x401
	v_mul_f64_e32 v[79:80], v[65:66], v[87:88]
	v_mul_f64_e32 v[87:88], v[67:68], v[87:88]
	s_wait_loadcnt_dscnt 0x300
	v_mul_f64_e32 v[81:82], v[75:76], v[91:92]
	v_add_f64_e32 v[2:3], v[2:3], v[77:78]
	v_add_f64_e32 v[10:11], v[10:11], v[95:96]
	v_mul_f64_e32 v[77:78], v[73:74], v[91:92]
	v_fma_f64 v[79:80], v[67:68], v[85:86], v[79:80]
	v_fma_f64 v[83:84], v[65:66], v[85:86], -v[87:88]
	v_fma_f64 v[73:74], v[73:74], v[89:90], -v[81:82]
	v_add_f64_e32 v[2:3], v[2:3], v[69:70]
	v_add_f64_e32 v[10:11], v[10:11], v[71:72]
	ds_load_b128 v[65:68], v1 offset:784
	ds_load_b128 v[69:72], v1 offset:800
	v_fma_f64 v[75:76], v[75:76], v[89:90], v[77:78]
	s_wait_loadcnt_dscnt 0x201
	v_mul_f64_e32 v[85:86], v[65:66], v[99:100]
	v_mul_f64_e32 v[87:88], v[67:68], v[99:100]
	v_add_f64_e32 v[2:3], v[2:3], v[83:84]
	v_add_f64_e32 v[10:11], v[10:11], v[79:80]
	s_wait_loadcnt_dscnt 0x100
	v_mul_f64_e32 v[77:78], v[69:70], v[8:9]
	v_mul_f64_e32 v[79:80], v[71:72], v[8:9]
	v_fma_f64 v[67:68], v[67:68], v[97:98], v[85:86]
	v_fma_f64 v[65:66], v[65:66], v[97:98], -v[87:88]
	v_add_f64_e32 v[2:3], v[2:3], v[73:74]
	v_add_f64_e32 v[73:74], v[10:11], v[75:76]
	ds_load_b128 v[8:11], v1 offset:816
	v_fma_f64 v[71:72], v[71:72], v[6:7], v[77:78]
	v_fma_f64 v[6:7], v[69:70], v[6:7], -v[79:80]
	s_wait_loadcnt_dscnt 0x0
	v_mul_f64_e32 v[75:76], v[8:9], v[107:108]
	v_mul_f64_e32 v[81:82], v[10:11], v[107:108]
	v_add_f64_e32 v[2:3], v[2:3], v[65:66]
	v_add_f64_e32 v[65:66], v[73:74], v[67:68]
	s_delay_alu instid0(VALU_DEP_4) | instskip(NEXT) | instid1(VALU_DEP_4)
	v_fma_f64 v[10:11], v[10:11], v[105:106], v[75:76]
	v_fma_f64 v[8:9], v[8:9], v[105:106], -v[81:82]
	s_delay_alu instid0(VALU_DEP_4) | instskip(NEXT) | instid1(VALU_DEP_4)
	v_add_f64_e32 v[2:3], v[2:3], v[6:7]
	v_add_f64_e32 v[6:7], v[65:66], v[71:72]
	s_delay_alu instid0(VALU_DEP_2) | instskip(NEXT) | instid1(VALU_DEP_2)
	v_add_f64_e32 v[2:3], v[2:3], v[8:9]
	v_add_f64_e32 v[8:9], v[6:7], v[10:11]
	s_delay_alu instid0(VALU_DEP_2) | instskip(NEXT) | instid1(VALU_DEP_2)
	v_add_f64_e64 v[6:7], v[101:102], -v[2:3]
	v_add_f64_e64 v[8:9], v[103:104], -v[8:9]
	scratch_store_b128 off, v[6:9], off offset:80
	v_cmpx_lt_u32_e32 3, v0
	s_cbranch_execz .LBB89_163
; %bb.162:
	scratch_load_b128 v[6:9], off, s20
	v_dual_mov_b32 v2, v1 :: v_dual_mov_b32 v3, v1
	v_mov_b32_e32 v4, v1
	scratch_store_b128 off, v[1:4], off offset:64
	s_wait_loadcnt 0x0
	ds_store_b128 v5, v[6:9]
.LBB89_163:
	s_wait_alu 0xfffe
	s_or_b32 exec_lo, exec_lo, s0
	s_wait_storecnt_dscnt 0x0
	s_barrier_signal -1
	s_barrier_wait -1
	global_inv scope:SCOPE_SE
	s_clause 0x8
	scratch_load_b128 v[6:9], off, off offset:80
	scratch_load_b128 v[65:68], off, off offset:96
	;; [unrolled: 1-line block ×9, first 2 shown]
	ds_load_b128 v[97:100], v1 offset:480
	ds_load_b128 v[101:104], v1 offset:496
	scratch_load_b128 v[105:108], off, off offset:64
	s_mov_b32 s0, exec_lo
	ds_load_b128 v[113:116], v1 offset:528
	s_wait_loadcnt_dscnt 0x902
	v_mul_f64_e32 v[2:3], v[99:100], v[8:9]
	v_mul_f64_e32 v[109:110], v[97:98], v[8:9]
	scratch_load_b128 v[8:11], off, off offset:224
	s_wait_loadcnt_dscnt 0x901
	v_mul_f64_e32 v[117:118], v[101:102], v[67:68]
	v_mul_f64_e32 v[67:68], v[103:104], v[67:68]
	v_fma_f64 v[2:3], v[97:98], v[6:7], -v[2:3]
	v_fma_f64 v[6:7], v[99:100], v[6:7], v[109:110]
	ds_load_b128 v[97:100], v1 offset:512
	scratch_load_b128 v[109:112], off, off offset:240
	v_fma_f64 v[103:104], v[103:104], v[65:66], v[117:118]
	v_fma_f64 v[101:102], v[101:102], v[65:66], -v[67:68]
	scratch_load_b128 v[65:68], off, off offset:256
	s_wait_loadcnt_dscnt 0x901
	v_mul_f64_e32 v[117:118], v[113:114], v[75:76]
	v_mul_f64_e32 v[75:76], v[115:116], v[75:76]
	s_wait_dscnt 0x0
	v_mul_f64_e32 v[119:120], v[97:98], v[71:72]
	v_mul_f64_e32 v[71:72], v[99:100], v[71:72]
	v_add_f64_e32 v[2:3], 0, v[2:3]
	v_add_f64_e32 v[6:7], 0, v[6:7]
	v_fma_f64 v[115:116], v[115:116], v[73:74], v[117:118]
	v_fma_f64 v[113:114], v[113:114], v[73:74], -v[75:76]
	scratch_load_b128 v[73:76], off, off offset:288
	v_fma_f64 v[119:120], v[99:100], v[69:70], v[119:120]
	v_fma_f64 v[121:122], v[97:98], v[69:70], -v[71:72]
	ds_load_b128 v[69:72], v1 offset:544
	scratch_load_b128 v[97:100], off, off offset:272
	v_add_f64_e32 v[2:3], v[2:3], v[101:102]
	v_add_f64_e32 v[6:7], v[6:7], v[103:104]
	ds_load_b128 v[101:104], v1 offset:560
	s_wait_loadcnt_dscnt 0xa01
	v_mul_f64_e32 v[123:124], v[69:70], v[79:80]
	v_mul_f64_e32 v[79:80], v[71:72], v[79:80]
	s_wait_loadcnt_dscnt 0x900
	v_mul_f64_e32 v[117:118], v[101:102], v[83:84]
	v_mul_f64_e32 v[83:84], v[103:104], v[83:84]
	v_add_f64_e32 v[2:3], v[2:3], v[121:122]
	v_add_f64_e32 v[6:7], v[6:7], v[119:120]
	v_fma_f64 v[119:120], v[71:72], v[77:78], v[123:124]
	v_fma_f64 v[121:122], v[69:70], v[77:78], -v[79:80]
	ds_load_b128 v[69:72], v1 offset:576
	scratch_load_b128 v[77:80], off, off offset:304
	v_fma_f64 v[103:104], v[103:104], v[81:82], v[117:118]
	v_fma_f64 v[101:102], v[101:102], v[81:82], -v[83:84]
	scratch_load_b128 v[81:84], off, off offset:320
	v_add_f64_e32 v[2:3], v[2:3], v[113:114]
	v_add_f64_e32 v[6:7], v[6:7], v[115:116]
	ds_load_b128 v[113:116], v1 offset:592
	s_wait_loadcnt_dscnt 0xa01
	v_mul_f64_e32 v[123:124], v[69:70], v[87:88]
	v_mul_f64_e32 v[87:88], v[71:72], v[87:88]
	s_wait_loadcnt_dscnt 0x900
	v_mul_f64_e32 v[117:118], v[113:114], v[91:92]
	v_mul_f64_e32 v[91:92], v[115:116], v[91:92]
	v_add_f64_e32 v[2:3], v[2:3], v[121:122]
	v_add_f64_e32 v[6:7], v[6:7], v[119:120]
	v_fma_f64 v[119:120], v[71:72], v[85:86], v[123:124]
	v_fma_f64 v[121:122], v[69:70], v[85:86], -v[87:88]
	ds_load_b128 v[69:72], v1 offset:608
	scratch_load_b128 v[85:88], off, off offset:336
	v_fma_f64 v[115:116], v[115:116], v[89:90], v[117:118]
	v_fma_f64 v[113:114], v[113:114], v[89:90], -v[91:92]
	scratch_load_b128 v[89:92], off, off offset:352
	v_add_f64_e32 v[2:3], v[2:3], v[101:102]
	v_add_f64_e32 v[6:7], v[6:7], v[103:104]
	ds_load_b128 v[101:104], v1 offset:624
	s_wait_loadcnt_dscnt 0xa01
	v_mul_f64_e32 v[123:124], v[69:70], v[95:96]
	v_mul_f64_e32 v[95:96], v[71:72], v[95:96]
	v_add_f64_e32 v[2:3], v[2:3], v[121:122]
	v_add_f64_e32 v[6:7], v[6:7], v[119:120]
	s_delay_alu instid0(VALU_DEP_4) | instskip(NEXT) | instid1(VALU_DEP_4)
	v_fma_f64 v[119:120], v[71:72], v[93:94], v[123:124]
	v_fma_f64 v[121:122], v[69:70], v[93:94], -v[95:96]
	ds_load_b128 v[69:72], v1 offset:640
	scratch_load_b128 v[93:96], off, off offset:368
	s_wait_loadcnt_dscnt 0x901
	v_mul_f64_e32 v[117:118], v[101:102], v[10:11]
	v_mul_f64_e32 v[10:11], v[103:104], v[10:11]
	v_add_f64_e32 v[2:3], v[2:3], v[113:114]
	v_add_f64_e32 v[6:7], v[6:7], v[115:116]
	ds_load_b128 v[113:116], v1 offset:656
	v_fma_f64 v[103:104], v[103:104], v[8:9], v[117:118]
	s_wait_loadcnt_dscnt 0x801
	v_mul_f64_e32 v[123:124], v[69:70], v[111:112]
	v_mul_f64_e32 v[111:112], v[71:72], v[111:112]
	v_fma_f64 v[10:11], v[101:102], v[8:9], -v[10:11]
	s_wait_loadcnt_dscnt 0x700
	v_mul_f64_e32 v[117:118], v[113:114], v[67:68]
	v_add_f64_e32 v[2:3], v[2:3], v[121:122]
	v_add_f64_e32 v[101:102], v[6:7], v[119:120]
	scratch_load_b128 v[6:9], off, off offset:384
	v_mul_f64_e32 v[119:120], v[115:116], v[67:68]
	v_fma_f64 v[71:72], v[71:72], v[109:110], v[123:124]
	v_fma_f64 v[121:122], v[69:70], v[109:110], -v[111:112]
	ds_load_b128 v[67:70], v1 offset:672
	ds_load_b128 v[109:112], v1 offset:688
	v_fma_f64 v[117:118], v[115:116], v[65:66], v[117:118]
	v_add_f64_e32 v[2:3], v[2:3], v[10:11]
	v_add_f64_e32 v[10:11], v[101:102], v[103:104]
	scratch_load_b128 v[101:104], off, off offset:400
	s_wait_loadcnt_dscnt 0x701
	v_mul_f64_e32 v[123:124], v[67:68], v[99:100]
	v_mul_f64_e32 v[99:100], v[69:70], v[99:100]
	v_fma_f64 v[65:66], v[113:114], v[65:66], -v[119:120]
	scratch_load_b128 v[113:116], off, off offset:416
	s_wait_dscnt 0x0
	v_mul_f64_e32 v[119:120], v[109:110], v[75:76]
	v_mul_f64_e32 v[75:76], v[111:112], v[75:76]
	v_add_f64_e32 v[2:3], v[2:3], v[121:122]
	v_add_f64_e32 v[10:11], v[10:11], v[71:72]
	v_fma_f64 v[121:122], v[69:70], v[97:98], v[123:124]
	v_fma_f64 v[97:98], v[67:68], v[97:98], -v[99:100]
	v_fma_f64 v[111:112], v[111:112], v[73:74], v[119:120]
	v_fma_f64 v[73:74], v[109:110], v[73:74], -v[75:76]
	v_add_f64_e32 v[2:3], v[2:3], v[65:66]
	v_add_f64_e32 v[10:11], v[10:11], v[117:118]
	ds_load_b128 v[65:68], v1 offset:704
	ds_load_b128 v[69:72], v1 offset:720
	s_wait_loadcnt_dscnt 0x701
	v_mul_f64_e32 v[99:100], v[65:66], v[79:80]
	v_mul_f64_e32 v[79:80], v[67:68], v[79:80]
	v_add_f64_e32 v[2:3], v[2:3], v[97:98]
	v_add_f64_e32 v[10:11], v[10:11], v[121:122]
	s_wait_loadcnt_dscnt 0x600
	v_mul_f64_e32 v[97:98], v[69:70], v[83:84]
	v_mul_f64_e32 v[83:84], v[71:72], v[83:84]
	v_fma_f64 v[99:100], v[67:68], v[77:78], v[99:100]
	v_fma_f64 v[77:78], v[65:66], v[77:78], -v[79:80]
	v_add_f64_e32 v[2:3], v[2:3], v[73:74]
	v_add_f64_e32 v[10:11], v[10:11], v[111:112]
	ds_load_b128 v[65:68], v1 offset:736
	ds_load_b128 v[73:76], v1 offset:752
	v_fma_f64 v[71:72], v[71:72], v[81:82], v[97:98]
	v_fma_f64 v[69:70], v[69:70], v[81:82], -v[83:84]
	s_wait_loadcnt_dscnt 0x501
	v_mul_f64_e32 v[79:80], v[65:66], v[87:88]
	v_mul_f64_e32 v[87:88], v[67:68], v[87:88]
	s_wait_loadcnt_dscnt 0x400
	v_mul_f64_e32 v[81:82], v[75:76], v[91:92]
	v_add_f64_e32 v[2:3], v[2:3], v[77:78]
	v_add_f64_e32 v[10:11], v[10:11], v[99:100]
	v_mul_f64_e32 v[77:78], v[73:74], v[91:92]
	v_fma_f64 v[79:80], v[67:68], v[85:86], v[79:80]
	v_fma_f64 v[83:84], v[65:66], v[85:86], -v[87:88]
	v_fma_f64 v[73:74], v[73:74], v[89:90], -v[81:82]
	v_add_f64_e32 v[2:3], v[2:3], v[69:70]
	v_add_f64_e32 v[10:11], v[10:11], v[71:72]
	ds_load_b128 v[65:68], v1 offset:768
	ds_load_b128 v[69:72], v1 offset:784
	v_fma_f64 v[75:76], v[75:76], v[89:90], v[77:78]
	s_wait_loadcnt_dscnt 0x301
	v_mul_f64_e32 v[85:86], v[65:66], v[95:96]
	v_mul_f64_e32 v[87:88], v[67:68], v[95:96]
	v_add_f64_e32 v[2:3], v[2:3], v[83:84]
	v_add_f64_e32 v[10:11], v[10:11], v[79:80]
	s_wait_loadcnt_dscnt 0x200
	v_mul_f64_e32 v[77:78], v[69:70], v[8:9]
	v_mul_f64_e32 v[79:80], v[71:72], v[8:9]
	v_fma_f64 v[67:68], v[67:68], v[93:94], v[85:86]
	v_fma_f64 v[65:66], v[65:66], v[93:94], -v[87:88]
	v_add_f64_e32 v[73:74], v[2:3], v[73:74]
	v_add_f64_e32 v[75:76], v[10:11], v[75:76]
	ds_load_b128 v[8:11], v1 offset:800
	ds_load_b128 v[1:4], v1 offset:816
	v_fma_f64 v[71:72], v[71:72], v[6:7], v[77:78]
	v_fma_f64 v[6:7], v[69:70], v[6:7], -v[79:80]
	s_wait_loadcnt_dscnt 0x101
	v_mul_f64_e32 v[81:82], v[8:9], v[103:104]
	v_mul_f64_e32 v[83:84], v[10:11], v[103:104]
	s_wait_loadcnt_dscnt 0x0
	v_mul_f64_e32 v[69:70], v[1:2], v[115:116]
	v_add_f64_e32 v[65:66], v[73:74], v[65:66]
	v_add_f64_e32 v[67:68], v[75:76], v[67:68]
	v_mul_f64_e32 v[73:74], v[3:4], v[115:116]
	v_fma_f64 v[10:11], v[10:11], v[101:102], v[81:82]
	v_fma_f64 v[8:9], v[8:9], v[101:102], -v[83:84]
	v_fma_f64 v[3:4], v[3:4], v[113:114], v[69:70]
	v_add_f64_e32 v[6:7], v[65:66], v[6:7]
	v_add_f64_e32 v[65:66], v[67:68], v[71:72]
	v_fma_f64 v[1:2], v[1:2], v[113:114], -v[73:74]
	s_delay_alu instid0(VALU_DEP_3) | instskip(NEXT) | instid1(VALU_DEP_3)
	v_add_f64_e32 v[6:7], v[6:7], v[8:9]
	v_add_f64_e32 v[8:9], v[65:66], v[10:11]
	s_delay_alu instid0(VALU_DEP_2) | instskip(NEXT) | instid1(VALU_DEP_2)
	v_add_f64_e32 v[1:2], v[6:7], v[1:2]
	v_add_f64_e32 v[3:4], v[8:9], v[3:4]
	s_delay_alu instid0(VALU_DEP_2) | instskip(NEXT) | instid1(VALU_DEP_2)
	v_add_f64_e64 v[1:2], v[105:106], -v[1:2]
	v_add_f64_e64 v[3:4], v[107:108], -v[3:4]
	scratch_store_b128 off, v[1:4], off offset:64
	v_cmpx_lt_u32_e32 2, v0
	s_cbranch_execz .LBB89_165
; %bb.164:
	scratch_load_b128 v[1:4], off, s33
	v_mov_b32_e32 v6, 0
	s_delay_alu instid0(VALU_DEP_1)
	v_dual_mov_b32 v7, v6 :: v_dual_mov_b32 v8, v6
	v_mov_b32_e32 v9, v6
	scratch_store_b128 off, v[6:9], off offset:48
	s_wait_loadcnt 0x0
	ds_store_b128 v5, v[1:4]
.LBB89_165:
	s_wait_alu 0xfffe
	s_or_b32 exec_lo, exec_lo, s0
	s_wait_storecnt_dscnt 0x0
	s_barrier_signal -1
	s_barrier_wait -1
	global_inv scope:SCOPE_SE
	s_clause 0x7
	scratch_load_b128 v[6:9], off, off offset:64
	scratch_load_b128 v[65:68], off, off offset:80
	;; [unrolled: 1-line block ×8, first 2 shown]
	v_mov_b32_e32 v1, 0
	s_mov_b32 s0, exec_lo
	ds_load_b128 v[93:96], v1 offset:464
	s_clause 0x1
	scratch_load_b128 v[97:100], off, off offset:192
	scratch_load_b128 v[101:104], off, off offset:48
	ds_load_b128 v[105:108], v1 offset:480
	ds_load_b128 v[113:116], v1 offset:512
	s_wait_loadcnt_dscnt 0x902
	v_mul_f64_e32 v[2:3], v[95:96], v[8:9]
	v_mul_f64_e32 v[109:110], v[93:94], v[8:9]
	scratch_load_b128 v[8:11], off, off offset:208
	v_fma_f64 v[2:3], v[93:94], v[6:7], -v[2:3]
	v_fma_f64 v[6:7], v[95:96], v[6:7], v[109:110]
	ds_load_b128 v[93:96], v1 offset:496
	s_wait_loadcnt_dscnt 0x902
	v_mul_f64_e32 v[117:118], v[105:106], v[67:68]
	v_mul_f64_e32 v[67:68], v[107:108], v[67:68]
	scratch_load_b128 v[109:112], off, off offset:224
	s_wait_loadcnt_dscnt 0x900
	v_mul_f64_e32 v[119:120], v[93:94], v[71:72]
	v_mul_f64_e32 v[71:72], v[95:96], v[71:72]
	v_add_f64_e32 v[2:3], 0, v[2:3]
	v_add_f64_e32 v[6:7], 0, v[6:7]
	v_fma_f64 v[107:108], v[107:108], v[65:66], v[117:118]
	v_fma_f64 v[105:106], v[105:106], v[65:66], -v[67:68]
	scratch_load_b128 v[65:68], off, off offset:240
	v_fma_f64 v[119:120], v[95:96], v[69:70], v[119:120]
	v_fma_f64 v[121:122], v[93:94], v[69:70], -v[71:72]
	ds_load_b128 v[69:72], v1 offset:528
	s_wait_loadcnt 0x9
	v_mul_f64_e32 v[117:118], v[113:114], v[75:76]
	v_mul_f64_e32 v[75:76], v[115:116], v[75:76]
	scratch_load_b128 v[93:96], off, off offset:256
	v_add_f64_e32 v[6:7], v[6:7], v[107:108]
	v_add_f64_e32 v[2:3], v[2:3], v[105:106]
	ds_load_b128 v[105:108], v1 offset:544
	s_wait_loadcnt_dscnt 0x901
	v_mul_f64_e32 v[123:124], v[69:70], v[79:80]
	v_mul_f64_e32 v[79:80], v[71:72], v[79:80]
	v_fma_f64 v[115:116], v[115:116], v[73:74], v[117:118]
	v_fma_f64 v[113:114], v[113:114], v[73:74], -v[75:76]
	scratch_load_b128 v[73:76], off, off offset:272
	v_add_f64_e32 v[6:7], v[6:7], v[119:120]
	v_add_f64_e32 v[2:3], v[2:3], v[121:122]
	v_fma_f64 v[119:120], v[71:72], v[77:78], v[123:124]
	v_fma_f64 v[121:122], v[69:70], v[77:78], -v[79:80]
	ds_load_b128 v[69:72], v1 offset:560
	s_wait_loadcnt_dscnt 0x901
	v_mul_f64_e32 v[117:118], v[105:106], v[83:84]
	v_mul_f64_e32 v[83:84], v[107:108], v[83:84]
	scratch_load_b128 v[77:80], off, off offset:288
	s_wait_loadcnt_dscnt 0x900
	v_mul_f64_e32 v[123:124], v[69:70], v[87:88]
	v_mul_f64_e32 v[87:88], v[71:72], v[87:88]
	v_add_f64_e32 v[6:7], v[6:7], v[115:116]
	v_add_f64_e32 v[2:3], v[2:3], v[113:114]
	ds_load_b128 v[113:116], v1 offset:576
	v_fma_f64 v[107:108], v[107:108], v[81:82], v[117:118]
	v_fma_f64 v[105:106], v[105:106], v[81:82], -v[83:84]
	scratch_load_b128 v[81:84], off, off offset:304
	v_add_f64_e32 v[6:7], v[6:7], v[119:120]
	v_add_f64_e32 v[2:3], v[2:3], v[121:122]
	v_fma_f64 v[119:120], v[71:72], v[85:86], v[123:124]
	v_fma_f64 v[121:122], v[69:70], v[85:86], -v[87:88]
	ds_load_b128 v[69:72], v1 offset:592
	s_wait_loadcnt_dscnt 0x901
	v_mul_f64_e32 v[117:118], v[113:114], v[91:92]
	v_mul_f64_e32 v[91:92], v[115:116], v[91:92]
	scratch_load_b128 v[85:88], off, off offset:320
	s_wait_loadcnt_dscnt 0x900
	v_mul_f64_e32 v[123:124], v[69:70], v[99:100]
	v_mul_f64_e32 v[99:100], v[71:72], v[99:100]
	v_add_f64_e32 v[6:7], v[6:7], v[107:108]
	v_add_f64_e32 v[2:3], v[2:3], v[105:106]
	ds_load_b128 v[105:108], v1 offset:608
	v_fma_f64 v[115:116], v[115:116], v[89:90], v[117:118]
	v_fma_f64 v[113:114], v[113:114], v[89:90], -v[91:92]
	scratch_load_b128 v[89:92], off, off offset:336
	v_add_f64_e32 v[6:7], v[6:7], v[119:120]
	v_add_f64_e32 v[2:3], v[2:3], v[121:122]
	v_fma_f64 v[119:120], v[71:72], v[97:98], v[123:124]
	v_fma_f64 v[121:122], v[69:70], v[97:98], -v[99:100]
	ds_load_b128 v[69:72], v1 offset:624
	scratch_load_b128 v[97:100], off, off offset:352
	s_wait_loadcnt_dscnt 0x901
	v_mul_f64_e32 v[117:118], v[105:106], v[10:11]
	v_mul_f64_e32 v[10:11], v[107:108], v[10:11]
	v_add_f64_e32 v[6:7], v[6:7], v[115:116]
	v_add_f64_e32 v[2:3], v[2:3], v[113:114]
	ds_load_b128 v[113:116], v1 offset:640
	v_fma_f64 v[107:108], v[107:108], v[8:9], v[117:118]
	v_fma_f64 v[10:11], v[105:106], v[8:9], -v[10:11]
	s_wait_loadcnt_dscnt 0x801
	v_mul_f64_e32 v[123:124], v[69:70], v[111:112]
	v_mul_f64_e32 v[111:112], v[71:72], v[111:112]
	v_add_f64_e32 v[105:106], v[6:7], v[119:120]
	v_add_f64_e32 v[2:3], v[2:3], v[121:122]
	scratch_load_b128 v[6:9], off, off offset:368
	v_fma_f64 v[71:72], v[71:72], v[109:110], v[123:124]
	v_fma_f64 v[121:122], v[69:70], v[109:110], -v[111:112]
	ds_load_b128 v[109:112], v1 offset:672
	s_wait_loadcnt_dscnt 0x801
	v_mul_f64_e32 v[117:118], v[113:114], v[67:68]
	v_mul_f64_e32 v[119:120], v[115:116], v[67:68]
	ds_load_b128 v[67:70], v1 offset:656
	v_add_f64_e32 v[2:3], v[2:3], v[10:11]
	v_add_f64_e32 v[10:11], v[105:106], v[107:108]
	scratch_load_b128 v[105:108], off, off offset:384
	s_wait_loadcnt_dscnt 0x800
	v_mul_f64_e32 v[123:124], v[67:68], v[95:96]
	v_mul_f64_e32 v[95:96], v[69:70], v[95:96]
	v_fma_f64 v[117:118], v[115:116], v[65:66], v[117:118]
	v_fma_f64 v[65:66], v[113:114], v[65:66], -v[119:120]
	scratch_load_b128 v[113:116], off, off offset:400
	v_add_f64_e32 v[2:3], v[2:3], v[121:122]
	v_add_f64_e32 v[10:11], v[10:11], v[71:72]
	s_wait_loadcnt 0x8
	v_mul_f64_e32 v[119:120], v[109:110], v[75:76]
	v_mul_f64_e32 v[75:76], v[111:112], v[75:76]
	v_fma_f64 v[121:122], v[69:70], v[93:94], v[123:124]
	v_fma_f64 v[123:124], v[67:68], v[93:94], -v[95:96]
	scratch_load_b128 v[69:72], off, off offset:416
	ds_load_b128 v[93:96], v1 offset:704
	v_add_f64_e32 v[2:3], v[2:3], v[65:66]
	v_add_f64_e32 v[10:11], v[10:11], v[117:118]
	ds_load_b128 v[65:68], v1 offset:688
	v_fma_f64 v[111:112], v[111:112], v[73:74], v[119:120]
	v_fma_f64 v[73:74], v[109:110], v[73:74], -v[75:76]
	s_wait_loadcnt_dscnt 0x800
	v_mul_f64_e32 v[117:118], v[65:66], v[79:80]
	v_mul_f64_e32 v[79:80], v[67:68], v[79:80]
	s_wait_loadcnt 0x7
	v_mul_f64_e32 v[109:110], v[93:94], v[83:84]
	v_mul_f64_e32 v[83:84], v[95:96], v[83:84]
	v_add_f64_e32 v[2:3], v[2:3], v[123:124]
	v_add_f64_e32 v[10:11], v[10:11], v[121:122]
	v_fma_f64 v[117:118], v[67:68], v[77:78], v[117:118]
	v_fma_f64 v[77:78], v[65:66], v[77:78], -v[79:80]
	v_fma_f64 v[95:96], v[95:96], v[81:82], v[109:110]
	v_fma_f64 v[81:82], v[93:94], v[81:82], -v[83:84]
	v_add_f64_e32 v[2:3], v[2:3], v[73:74]
	v_add_f64_e32 v[10:11], v[10:11], v[111:112]
	ds_load_b128 v[65:68], v1 offset:720
	ds_load_b128 v[73:76], v1 offset:736
	s_wait_loadcnt_dscnt 0x601
	v_mul_f64_e32 v[79:80], v[65:66], v[87:88]
	v_mul_f64_e32 v[87:88], v[67:68], v[87:88]
	s_wait_loadcnt_dscnt 0x500
	v_mul_f64_e32 v[83:84], v[73:74], v[91:92]
	v_mul_f64_e32 v[91:92], v[75:76], v[91:92]
	v_add_f64_e32 v[2:3], v[2:3], v[77:78]
	v_add_f64_e32 v[10:11], v[10:11], v[117:118]
	v_fma_f64 v[93:94], v[67:68], v[85:86], v[79:80]
	v_fma_f64 v[85:86], v[65:66], v[85:86], -v[87:88]
	ds_load_b128 v[65:68], v1 offset:752
	ds_load_b128 v[77:80], v1 offset:768
	v_fma_f64 v[75:76], v[75:76], v[89:90], v[83:84]
	v_fma_f64 v[73:74], v[73:74], v[89:90], -v[91:92]
	v_add_f64_e32 v[2:3], v[2:3], v[81:82]
	v_add_f64_e32 v[10:11], v[10:11], v[95:96]
	s_wait_loadcnt_dscnt 0x401
	v_mul_f64_e32 v[81:82], v[65:66], v[99:100]
	v_mul_f64_e32 v[87:88], v[67:68], v[99:100]
	s_delay_alu instid0(VALU_DEP_4) | instskip(NEXT) | instid1(VALU_DEP_4)
	v_add_f64_e32 v[2:3], v[2:3], v[85:86]
	v_add_f64_e32 v[10:11], v[10:11], v[93:94]
	s_delay_alu instid0(VALU_DEP_4) | instskip(NEXT) | instid1(VALU_DEP_4)
	v_fma_f64 v[81:82], v[67:68], v[97:98], v[81:82]
	v_fma_f64 v[87:88], v[65:66], v[97:98], -v[87:88]
	s_wait_loadcnt_dscnt 0x300
	v_mul_f64_e32 v[83:84], v[77:78], v[8:9]
	v_mul_f64_e32 v[85:86], v[79:80], v[8:9]
	v_add_f64_e32 v[2:3], v[2:3], v[73:74]
	v_add_f64_e32 v[73:74], v[10:11], v[75:76]
	ds_load_b128 v[8:11], v1 offset:784
	ds_load_b128 v[65:68], v1 offset:800
	v_fma_f64 v[79:80], v[79:80], v[6:7], v[83:84]
	v_fma_f64 v[6:7], v[77:78], v[6:7], -v[85:86]
	s_wait_loadcnt_dscnt 0x201
	v_mul_f64_e32 v[75:76], v[8:9], v[107:108]
	v_mul_f64_e32 v[89:90], v[10:11], v[107:108]
	s_wait_loadcnt_dscnt 0x100
	v_mul_f64_e32 v[77:78], v[65:66], v[115:116]
	v_add_f64_e32 v[2:3], v[2:3], v[87:88]
	v_add_f64_e32 v[73:74], v[73:74], v[81:82]
	v_mul_f64_e32 v[81:82], v[67:68], v[115:116]
	v_fma_f64 v[10:11], v[10:11], v[105:106], v[75:76]
	v_fma_f64 v[75:76], v[8:9], v[105:106], -v[89:90]
	v_fma_f64 v[67:68], v[67:68], v[113:114], v[77:78]
	v_add_f64_e32 v[2:3], v[2:3], v[6:7]
	v_add_f64_e32 v[73:74], v[73:74], v[79:80]
	ds_load_b128 v[6:9], v1 offset:816
	v_fma_f64 v[65:66], v[65:66], v[113:114], -v[81:82]
	s_wait_loadcnt_dscnt 0x0
	v_mul_f64_e32 v[79:80], v[6:7], v[71:72]
	v_mul_f64_e32 v[71:72], v[8:9], v[71:72]
	v_add_f64_e32 v[2:3], v[2:3], v[75:76]
	v_add_f64_e32 v[10:11], v[73:74], v[10:11]
	s_delay_alu instid0(VALU_DEP_4) | instskip(NEXT) | instid1(VALU_DEP_4)
	v_fma_f64 v[8:9], v[8:9], v[69:70], v[79:80]
	v_fma_f64 v[6:7], v[6:7], v[69:70], -v[71:72]
	s_delay_alu instid0(VALU_DEP_4) | instskip(NEXT) | instid1(VALU_DEP_4)
	v_add_f64_e32 v[2:3], v[2:3], v[65:66]
	v_add_f64_e32 v[10:11], v[10:11], v[67:68]
	s_delay_alu instid0(VALU_DEP_2) | instskip(NEXT) | instid1(VALU_DEP_2)
	v_add_f64_e32 v[2:3], v[2:3], v[6:7]
	v_add_f64_e32 v[8:9], v[10:11], v[8:9]
	s_delay_alu instid0(VALU_DEP_2) | instskip(NEXT) | instid1(VALU_DEP_2)
	v_add_f64_e64 v[6:7], v[101:102], -v[2:3]
	v_add_f64_e64 v[8:9], v[103:104], -v[8:9]
	scratch_store_b128 off, v[6:9], off offset:48
	v_cmpx_lt_u32_e32 1, v0
	s_cbranch_execz .LBB89_167
; %bb.166:
	scratch_load_b128 v[6:9], off, s34
	v_dual_mov_b32 v2, v1 :: v_dual_mov_b32 v3, v1
	v_mov_b32_e32 v4, v1
	scratch_store_b128 off, v[1:4], off offset:32
	s_wait_loadcnt 0x0
	ds_store_b128 v5, v[6:9]
.LBB89_167:
	s_wait_alu 0xfffe
	s_or_b32 exec_lo, exec_lo, s0
	s_wait_storecnt_dscnt 0x0
	s_barrier_signal -1
	s_barrier_wait -1
	global_inv scope:SCOPE_SE
	s_clause 0x8
	scratch_load_b128 v[6:9], off, off offset:48
	scratch_load_b128 v[65:68], off, off offset:64
	;; [unrolled: 1-line block ×9, first 2 shown]
	ds_load_b128 v[97:100], v1 offset:448
	ds_load_b128 v[101:104], v1 offset:464
	scratch_load_b128 v[105:108], off, off offset:32
	s_mov_b32 s0, exec_lo
	ds_load_b128 v[113:116], v1 offset:496
	s_wait_loadcnt_dscnt 0x902
	v_mul_f64_e32 v[2:3], v[99:100], v[8:9]
	v_mul_f64_e32 v[109:110], v[97:98], v[8:9]
	scratch_load_b128 v[8:11], off, off offset:192
	s_wait_loadcnt_dscnt 0x901
	v_mul_f64_e32 v[117:118], v[101:102], v[67:68]
	v_mul_f64_e32 v[67:68], v[103:104], v[67:68]
	v_fma_f64 v[2:3], v[97:98], v[6:7], -v[2:3]
	v_fma_f64 v[6:7], v[99:100], v[6:7], v[109:110]
	ds_load_b128 v[97:100], v1 offset:480
	scratch_load_b128 v[109:112], off, off offset:208
	v_fma_f64 v[103:104], v[103:104], v[65:66], v[117:118]
	v_fma_f64 v[101:102], v[101:102], v[65:66], -v[67:68]
	scratch_load_b128 v[65:68], off, off offset:224
	s_wait_loadcnt_dscnt 0x901
	v_mul_f64_e32 v[117:118], v[113:114], v[75:76]
	v_mul_f64_e32 v[75:76], v[115:116], v[75:76]
	s_wait_dscnt 0x0
	v_mul_f64_e32 v[119:120], v[97:98], v[71:72]
	v_mul_f64_e32 v[71:72], v[99:100], v[71:72]
	v_add_f64_e32 v[2:3], 0, v[2:3]
	v_add_f64_e32 v[6:7], 0, v[6:7]
	v_fma_f64 v[115:116], v[115:116], v[73:74], v[117:118]
	v_fma_f64 v[113:114], v[113:114], v[73:74], -v[75:76]
	scratch_load_b128 v[73:76], off, off offset:256
	v_fma_f64 v[119:120], v[99:100], v[69:70], v[119:120]
	v_fma_f64 v[121:122], v[97:98], v[69:70], -v[71:72]
	ds_load_b128 v[69:72], v1 offset:512
	scratch_load_b128 v[97:100], off, off offset:240
	v_add_f64_e32 v[2:3], v[2:3], v[101:102]
	v_add_f64_e32 v[6:7], v[6:7], v[103:104]
	ds_load_b128 v[101:104], v1 offset:528
	s_wait_loadcnt_dscnt 0xa01
	v_mul_f64_e32 v[123:124], v[69:70], v[79:80]
	v_mul_f64_e32 v[79:80], v[71:72], v[79:80]
	s_wait_loadcnt_dscnt 0x900
	v_mul_f64_e32 v[117:118], v[101:102], v[83:84]
	v_mul_f64_e32 v[83:84], v[103:104], v[83:84]
	v_add_f64_e32 v[2:3], v[2:3], v[121:122]
	v_add_f64_e32 v[6:7], v[6:7], v[119:120]
	v_fma_f64 v[119:120], v[71:72], v[77:78], v[123:124]
	v_fma_f64 v[121:122], v[69:70], v[77:78], -v[79:80]
	ds_load_b128 v[69:72], v1 offset:544
	scratch_load_b128 v[77:80], off, off offset:272
	v_fma_f64 v[103:104], v[103:104], v[81:82], v[117:118]
	v_fma_f64 v[101:102], v[101:102], v[81:82], -v[83:84]
	scratch_load_b128 v[81:84], off, off offset:288
	v_add_f64_e32 v[2:3], v[2:3], v[113:114]
	v_add_f64_e32 v[6:7], v[6:7], v[115:116]
	ds_load_b128 v[113:116], v1 offset:560
	s_wait_loadcnt_dscnt 0xa01
	v_mul_f64_e32 v[123:124], v[69:70], v[87:88]
	v_mul_f64_e32 v[87:88], v[71:72], v[87:88]
	s_wait_loadcnt_dscnt 0x900
	v_mul_f64_e32 v[117:118], v[113:114], v[91:92]
	v_mul_f64_e32 v[91:92], v[115:116], v[91:92]
	v_add_f64_e32 v[2:3], v[2:3], v[121:122]
	v_add_f64_e32 v[6:7], v[6:7], v[119:120]
	v_fma_f64 v[119:120], v[71:72], v[85:86], v[123:124]
	v_fma_f64 v[121:122], v[69:70], v[85:86], -v[87:88]
	ds_load_b128 v[69:72], v1 offset:576
	scratch_load_b128 v[85:88], off, off offset:304
	v_fma_f64 v[115:116], v[115:116], v[89:90], v[117:118]
	v_fma_f64 v[113:114], v[113:114], v[89:90], -v[91:92]
	scratch_load_b128 v[89:92], off, off offset:320
	v_add_f64_e32 v[2:3], v[2:3], v[101:102]
	v_add_f64_e32 v[6:7], v[6:7], v[103:104]
	ds_load_b128 v[101:104], v1 offset:592
	s_wait_loadcnt_dscnt 0xa01
	v_mul_f64_e32 v[123:124], v[69:70], v[95:96]
	v_mul_f64_e32 v[95:96], v[71:72], v[95:96]
	v_add_f64_e32 v[2:3], v[2:3], v[121:122]
	v_add_f64_e32 v[6:7], v[6:7], v[119:120]
	s_delay_alu instid0(VALU_DEP_4) | instskip(NEXT) | instid1(VALU_DEP_4)
	v_fma_f64 v[119:120], v[71:72], v[93:94], v[123:124]
	v_fma_f64 v[121:122], v[69:70], v[93:94], -v[95:96]
	ds_load_b128 v[69:72], v1 offset:608
	scratch_load_b128 v[93:96], off, off offset:336
	s_wait_loadcnt_dscnt 0x901
	v_mul_f64_e32 v[117:118], v[101:102], v[10:11]
	v_mul_f64_e32 v[10:11], v[103:104], v[10:11]
	v_add_f64_e32 v[2:3], v[2:3], v[113:114]
	v_add_f64_e32 v[6:7], v[6:7], v[115:116]
	ds_load_b128 v[113:116], v1 offset:624
	v_fma_f64 v[103:104], v[103:104], v[8:9], v[117:118]
	s_wait_loadcnt_dscnt 0x801
	v_mul_f64_e32 v[123:124], v[69:70], v[111:112]
	v_mul_f64_e32 v[111:112], v[71:72], v[111:112]
	v_fma_f64 v[10:11], v[101:102], v[8:9], -v[10:11]
	s_wait_loadcnt_dscnt 0x700
	v_mul_f64_e32 v[117:118], v[113:114], v[67:68]
	v_add_f64_e32 v[2:3], v[2:3], v[121:122]
	v_add_f64_e32 v[101:102], v[6:7], v[119:120]
	scratch_load_b128 v[6:9], off, off offset:352
	v_mul_f64_e32 v[119:120], v[115:116], v[67:68]
	v_fma_f64 v[71:72], v[71:72], v[109:110], v[123:124]
	v_fma_f64 v[121:122], v[69:70], v[109:110], -v[111:112]
	ds_load_b128 v[67:70], v1 offset:640
	ds_load_b128 v[109:112], v1 offset:656
	v_fma_f64 v[117:118], v[115:116], v[65:66], v[117:118]
	v_add_f64_e32 v[2:3], v[2:3], v[10:11]
	v_add_f64_e32 v[10:11], v[101:102], v[103:104]
	scratch_load_b128 v[101:104], off, off offset:368
	s_wait_loadcnt_dscnt 0x701
	v_mul_f64_e32 v[123:124], v[67:68], v[99:100]
	v_mul_f64_e32 v[99:100], v[69:70], v[99:100]
	v_fma_f64 v[65:66], v[113:114], v[65:66], -v[119:120]
	scratch_load_b128 v[113:116], off, off offset:384
	s_wait_dscnt 0x0
	v_mul_f64_e32 v[119:120], v[109:110], v[75:76]
	v_mul_f64_e32 v[75:76], v[111:112], v[75:76]
	v_add_f64_e32 v[2:3], v[2:3], v[121:122]
	v_add_f64_e32 v[10:11], v[10:11], v[71:72]
	v_fma_f64 v[121:122], v[69:70], v[97:98], v[123:124]
	v_fma_f64 v[123:124], v[67:68], v[97:98], -v[99:100]
	scratch_load_b128 v[69:72], off, off offset:400
	ds_load_b128 v[97:100], v1 offset:688
	v_fma_f64 v[111:112], v[111:112], v[73:74], v[119:120]
	v_fma_f64 v[109:110], v[109:110], v[73:74], -v[75:76]
	scratch_load_b128 v[73:76], off, off offset:416
	v_add_f64_e32 v[2:3], v[2:3], v[65:66]
	v_add_f64_e32 v[10:11], v[10:11], v[117:118]
	ds_load_b128 v[65:68], v1 offset:672
	s_wait_loadcnt_dscnt 0x801
	v_mul_f64_e32 v[119:120], v[97:98], v[83:84]
	v_mul_f64_e32 v[83:84], v[99:100], v[83:84]
	s_wait_dscnt 0x0
	v_mul_f64_e32 v[117:118], v[65:66], v[79:80]
	v_mul_f64_e32 v[79:80], v[67:68], v[79:80]
	v_add_f64_e32 v[2:3], v[2:3], v[123:124]
	v_add_f64_e32 v[10:11], v[10:11], v[121:122]
	v_fma_f64 v[99:100], v[99:100], v[81:82], v[119:120]
	v_fma_f64 v[81:82], v[97:98], v[81:82], -v[83:84]
	v_fma_f64 v[117:118], v[67:68], v[77:78], v[117:118]
	v_fma_f64 v[121:122], v[65:66], v[77:78], -v[79:80]
	ds_load_b128 v[65:68], v1 offset:704
	ds_load_b128 v[77:80], v1 offset:720
	v_add_f64_e32 v[2:3], v[2:3], v[109:110]
	v_add_f64_e32 v[10:11], v[10:11], v[111:112]
	s_wait_loadcnt_dscnt 0x701
	v_mul_f64_e32 v[109:110], v[65:66], v[87:88]
	v_mul_f64_e32 v[87:88], v[67:68], v[87:88]
	s_wait_loadcnt_dscnt 0x600
	v_mul_f64_e32 v[97:98], v[77:78], v[91:92]
	v_mul_f64_e32 v[91:92], v[79:80], v[91:92]
	v_add_f64_e32 v[2:3], v[2:3], v[121:122]
	v_add_f64_e32 v[10:11], v[10:11], v[117:118]
	v_fma_f64 v[109:110], v[67:68], v[85:86], v[109:110]
	v_fma_f64 v[85:86], v[65:66], v[85:86], -v[87:88]
	v_fma_f64 v[79:80], v[79:80], v[89:90], v[97:98]
	v_fma_f64 v[77:78], v[77:78], v[89:90], -v[91:92]
	v_add_f64_e32 v[2:3], v[2:3], v[81:82]
	v_add_f64_e32 v[10:11], v[10:11], v[99:100]
	ds_load_b128 v[65:68], v1 offset:736
	ds_load_b128 v[81:84], v1 offset:752
	s_wait_loadcnt_dscnt 0x501
	v_mul_f64_e32 v[87:88], v[65:66], v[95:96]
	v_mul_f64_e32 v[95:96], v[67:68], v[95:96]
	v_add_f64_e32 v[2:3], v[2:3], v[85:86]
	v_add_f64_e32 v[10:11], v[10:11], v[109:110]
	s_wait_loadcnt_dscnt 0x400
	v_mul_f64_e32 v[85:86], v[81:82], v[8:9]
	v_mul_f64_e32 v[89:90], v[83:84], v[8:9]
	v_fma_f64 v[87:88], v[67:68], v[93:94], v[87:88]
	v_fma_f64 v[91:92], v[65:66], v[93:94], -v[95:96]
	v_add_f64_e32 v[2:3], v[2:3], v[77:78]
	v_add_f64_e32 v[77:78], v[10:11], v[79:80]
	ds_load_b128 v[8:11], v1 offset:768
	ds_load_b128 v[65:68], v1 offset:784
	v_fma_f64 v[83:84], v[83:84], v[6:7], v[85:86]
	v_fma_f64 v[6:7], v[81:82], v[6:7], -v[89:90]
	s_wait_loadcnt_dscnt 0x301
	v_mul_f64_e32 v[79:80], v[8:9], v[103:104]
	v_mul_f64_e32 v[93:94], v[10:11], v[103:104]
	s_wait_loadcnt_dscnt 0x200
	v_mul_f64_e32 v[81:82], v[65:66], v[115:116]
	v_mul_f64_e32 v[85:86], v[67:68], v[115:116]
	v_add_f64_e32 v[2:3], v[2:3], v[91:92]
	v_add_f64_e32 v[77:78], v[77:78], v[87:88]
	v_fma_f64 v[10:11], v[10:11], v[101:102], v[79:80]
	v_fma_f64 v[79:80], v[8:9], v[101:102], -v[93:94]
	v_fma_f64 v[67:68], v[67:68], v[113:114], v[81:82]
	v_fma_f64 v[65:66], v[65:66], v[113:114], -v[85:86]
	v_add_f64_e32 v[87:88], v[2:3], v[6:7]
	v_add_f64_e32 v[77:78], v[77:78], v[83:84]
	ds_load_b128 v[6:9], v1 offset:800
	ds_load_b128 v[1:4], v1 offset:816
	s_wait_loadcnt_dscnt 0x101
	v_mul_f64_e32 v[83:84], v[6:7], v[71:72]
	v_mul_f64_e32 v[71:72], v[8:9], v[71:72]
	v_add_f64_e32 v[79:80], v[87:88], v[79:80]
	v_add_f64_e32 v[10:11], v[77:78], v[10:11]
	s_wait_loadcnt_dscnt 0x0
	v_mul_f64_e32 v[77:78], v[1:2], v[75:76]
	v_mul_f64_e32 v[75:76], v[3:4], v[75:76]
	v_fma_f64 v[8:9], v[8:9], v[69:70], v[83:84]
	v_fma_f64 v[6:7], v[6:7], v[69:70], -v[71:72]
	v_add_f64_e32 v[65:66], v[79:80], v[65:66]
	v_add_f64_e32 v[10:11], v[10:11], v[67:68]
	v_fma_f64 v[3:4], v[3:4], v[73:74], v[77:78]
	v_fma_f64 v[1:2], v[1:2], v[73:74], -v[75:76]
	s_delay_alu instid0(VALU_DEP_4) | instskip(NEXT) | instid1(VALU_DEP_4)
	v_add_f64_e32 v[6:7], v[65:66], v[6:7]
	v_add_f64_e32 v[8:9], v[10:11], v[8:9]
	s_delay_alu instid0(VALU_DEP_2) | instskip(NEXT) | instid1(VALU_DEP_2)
	v_add_f64_e32 v[1:2], v[6:7], v[1:2]
	v_add_f64_e32 v[3:4], v[8:9], v[3:4]
	s_delay_alu instid0(VALU_DEP_2) | instskip(NEXT) | instid1(VALU_DEP_2)
	v_add_f64_e64 v[1:2], v[105:106], -v[1:2]
	v_add_f64_e64 v[3:4], v[107:108], -v[3:4]
	scratch_store_b128 off, v[1:4], off offset:32
	v_cmpx_ne_u32_e32 0, v0
	s_cbranch_execz .LBB89_169
; %bb.168:
	scratch_load_b128 v[0:3], off, off offset:16
	v_mov_b32_e32 v6, 0
	s_delay_alu instid0(VALU_DEP_1)
	v_dual_mov_b32 v7, v6 :: v_dual_mov_b32 v8, v6
	v_mov_b32_e32 v9, v6
	scratch_store_b128 off, v[6:9], off offset:16
	s_wait_loadcnt 0x0
	ds_store_b128 v5, v[0:3]
.LBB89_169:
	s_wait_alu 0xfffe
	s_or_b32 exec_lo, exec_lo, s0
	s_wait_storecnt_dscnt 0x0
	s_barrier_signal -1
	s_barrier_wait -1
	global_inv scope:SCOPE_SE
	s_clause 0x7
	scratch_load_b128 v[1:4], off, off offset:32
	scratch_load_b128 v[5:8], off, off offset:48
	;; [unrolled: 1-line block ×8, first 2 shown]
	v_mov_b32_e32 v0, 0
	s_and_b32 vcc_lo, exec_lo, s12
	ds_load_b128 v[85:88], v0 offset:432
	s_clause 0x1
	scratch_load_b128 v[89:92], off, off offset:160
	scratch_load_b128 v[93:96], off, off offset:16
	ds_load_b128 v[97:100], v0 offset:448
	scratch_load_b128 v[101:104], off, off offset:176
	s_wait_loadcnt_dscnt 0xa01
	v_mul_f64_e32 v[105:106], v[87:88], v[3:4]
	v_mul_f64_e32 v[3:4], v[85:86], v[3:4]
	s_delay_alu instid0(VALU_DEP_2) | instskip(NEXT) | instid1(VALU_DEP_2)
	v_fma_f64 v[111:112], v[85:86], v[1:2], -v[105:106]
	v_fma_f64 v[113:114], v[87:88], v[1:2], v[3:4]
	ds_load_b128 v[1:4], v0 offset:464
	s_wait_loadcnt_dscnt 0x901
	v_mul_f64_e32 v[109:110], v[97:98], v[7:8]
	v_mul_f64_e32 v[7:8], v[99:100], v[7:8]
	scratch_load_b128 v[85:88], off, off offset:192
	ds_load_b128 v[105:108], v0 offset:480
	s_wait_loadcnt_dscnt 0x901
	v_mul_f64_e32 v[115:116], v[1:2], v[11:12]
	v_mul_f64_e32 v[11:12], v[3:4], v[11:12]
	v_fma_f64 v[99:100], v[99:100], v[5:6], v[109:110]
	v_fma_f64 v[97:98], v[97:98], v[5:6], -v[7:8]
	v_add_f64_e32 v[109:110], 0, v[111:112]
	v_add_f64_e32 v[111:112], 0, v[113:114]
	scratch_load_b128 v[5:8], off, off offset:208
	v_fma_f64 v[115:116], v[3:4], v[9:10], v[115:116]
	v_fma_f64 v[117:118], v[1:2], v[9:10], -v[11:12]
	ds_load_b128 v[1:4], v0 offset:496
	s_wait_loadcnt_dscnt 0x901
	v_mul_f64_e32 v[113:114], v[105:106], v[67:68]
	v_mul_f64_e32 v[67:68], v[107:108], v[67:68]
	scratch_load_b128 v[9:12], off, off offset:224
	v_add_f64_e32 v[109:110], v[109:110], v[97:98]
	v_add_f64_e32 v[111:112], v[111:112], v[99:100]
	s_wait_loadcnt_dscnt 0x900
	v_mul_f64_e32 v[119:120], v[1:2], v[71:72]
	v_mul_f64_e32 v[71:72], v[3:4], v[71:72]
	ds_load_b128 v[97:100], v0 offset:512
	v_fma_f64 v[107:108], v[107:108], v[65:66], v[113:114]
	v_fma_f64 v[105:106], v[105:106], v[65:66], -v[67:68]
	scratch_load_b128 v[65:68], off, off offset:240
	v_add_f64_e32 v[109:110], v[109:110], v[117:118]
	v_add_f64_e32 v[111:112], v[111:112], v[115:116]
	v_fma_f64 v[115:116], v[3:4], v[69:70], v[119:120]
	v_fma_f64 v[117:118], v[1:2], v[69:70], -v[71:72]
	ds_load_b128 v[1:4], v0 offset:528
	s_wait_loadcnt_dscnt 0x901
	v_mul_f64_e32 v[113:114], v[97:98], v[75:76]
	v_mul_f64_e32 v[75:76], v[99:100], v[75:76]
	scratch_load_b128 v[69:72], off, off offset:256
	s_wait_loadcnt_dscnt 0x900
	v_mul_f64_e32 v[119:120], v[1:2], v[79:80]
	v_mul_f64_e32 v[79:80], v[3:4], v[79:80]
	v_add_f64_e32 v[109:110], v[109:110], v[105:106]
	v_add_f64_e32 v[111:112], v[111:112], v[107:108]
	ds_load_b128 v[105:108], v0 offset:544
	v_fma_f64 v[99:100], v[99:100], v[73:74], v[113:114]
	v_fma_f64 v[97:98], v[97:98], v[73:74], -v[75:76]
	scratch_load_b128 v[73:76], off, off offset:272
	v_add_f64_e32 v[109:110], v[109:110], v[117:118]
	v_add_f64_e32 v[111:112], v[111:112], v[115:116]
	v_fma_f64 v[115:116], v[3:4], v[77:78], v[119:120]
	v_fma_f64 v[117:118], v[1:2], v[77:78], -v[79:80]
	ds_load_b128 v[1:4], v0 offset:560
	s_wait_loadcnt_dscnt 0x901
	v_mul_f64_e32 v[113:114], v[105:106], v[83:84]
	v_mul_f64_e32 v[83:84], v[107:108], v[83:84]
	scratch_load_b128 v[77:80], off, off offset:288
	s_wait_loadcnt_dscnt 0x900
	v_mul_f64_e32 v[119:120], v[1:2], v[91:92]
	v_mul_f64_e32 v[91:92], v[3:4], v[91:92]
	v_add_f64_e32 v[109:110], v[109:110], v[97:98]
	v_add_f64_e32 v[111:112], v[111:112], v[99:100]
	ds_load_b128 v[97:100], v0 offset:576
	v_fma_f64 v[107:108], v[107:108], v[81:82], v[113:114]
	v_fma_f64 v[105:106], v[105:106], v[81:82], -v[83:84]
	scratch_load_b128 v[81:84], off, off offset:304
	v_add_f64_e32 v[109:110], v[109:110], v[117:118]
	v_add_f64_e32 v[111:112], v[111:112], v[115:116]
	v_fma_f64 v[117:118], v[3:4], v[89:90], v[119:120]
	v_fma_f64 v[119:120], v[1:2], v[89:90], -v[91:92]
	ds_load_b128 v[1:4], v0 offset:592
	s_wait_loadcnt_dscnt 0x801
	v_mul_f64_e32 v[113:114], v[97:98], v[103:104]
	v_mul_f64_e32 v[115:116], v[99:100], v[103:104]
	scratch_load_b128 v[89:92], off, off offset:320
	v_add_f64_e32 v[109:110], v[109:110], v[105:106]
	v_add_f64_e32 v[107:108], v[111:112], v[107:108]
	ds_load_b128 v[103:106], v0 offset:608
	v_fma_f64 v[113:114], v[99:100], v[101:102], v[113:114]
	v_fma_f64 v[101:102], v[97:98], v[101:102], -v[115:116]
	scratch_load_b128 v[97:100], off, off offset:336
	s_wait_loadcnt_dscnt 0x901
	v_mul_f64_e32 v[111:112], v[1:2], v[87:88]
	v_mul_f64_e32 v[87:88], v[3:4], v[87:88]
	v_add_f64_e32 v[109:110], v[109:110], v[119:120]
	v_add_f64_e32 v[107:108], v[107:108], v[117:118]
	s_delay_alu instid0(VALU_DEP_4) | instskip(NEXT) | instid1(VALU_DEP_4)
	v_fma_f64 v[111:112], v[3:4], v[85:86], v[111:112]
	v_fma_f64 v[117:118], v[1:2], v[85:86], -v[87:88]
	ds_load_b128 v[1:4], v0 offset:624
	s_wait_loadcnt_dscnt 0x801
	v_mul_f64_e32 v[115:116], v[103:104], v[7:8]
	v_mul_f64_e32 v[7:8], v[105:106], v[7:8]
	scratch_load_b128 v[85:88], off, off offset:352
	s_wait_loadcnt_dscnt 0x800
	v_mul_f64_e32 v[119:120], v[1:2], v[11:12]
	v_add_f64_e32 v[101:102], v[109:110], v[101:102]
	v_add_f64_e32 v[113:114], v[107:108], v[113:114]
	v_mul_f64_e32 v[11:12], v[3:4], v[11:12]
	ds_load_b128 v[107:110], v0 offset:640
	v_fma_f64 v[105:106], v[105:106], v[5:6], v[115:116]
	v_fma_f64 v[103:104], v[103:104], v[5:6], -v[7:8]
	scratch_load_b128 v[5:8], off, off offset:368
	v_fma_f64 v[115:116], v[3:4], v[9:10], v[119:120]
	v_add_f64_e32 v[101:102], v[101:102], v[117:118]
	v_add_f64_e32 v[111:112], v[113:114], v[111:112]
	v_fma_f64 v[117:118], v[1:2], v[9:10], -v[11:12]
	ds_load_b128 v[1:4], v0 offset:656
	s_wait_loadcnt_dscnt 0x801
	v_mul_f64_e32 v[113:114], v[107:108], v[67:68]
	v_mul_f64_e32 v[67:68], v[109:110], v[67:68]
	scratch_load_b128 v[9:12], off, off offset:384
	v_add_f64_e32 v[119:120], v[101:102], v[103:104]
	v_add_f64_e32 v[105:106], v[111:112], v[105:106]
	s_wait_loadcnt_dscnt 0x800
	v_mul_f64_e32 v[111:112], v[1:2], v[71:72]
	v_mul_f64_e32 v[71:72], v[3:4], v[71:72]
	v_fma_f64 v[109:110], v[109:110], v[65:66], v[113:114]
	v_fma_f64 v[107:108], v[107:108], v[65:66], -v[67:68]
	ds_load_b128 v[101:104], v0 offset:672
	scratch_load_b128 v[65:68], off, off offset:400
	v_add_f64_e32 v[113:114], v[119:120], v[117:118]
	v_add_f64_e32 v[105:106], v[105:106], v[115:116]
	v_fma_f64 v[111:112], v[3:4], v[69:70], v[111:112]
	v_fma_f64 v[117:118], v[1:2], v[69:70], -v[71:72]
	ds_load_b128 v[1:4], v0 offset:688
	s_wait_loadcnt_dscnt 0x801
	v_mul_f64_e32 v[115:116], v[101:102], v[75:76]
	v_mul_f64_e32 v[75:76], v[103:104], v[75:76]
	scratch_load_b128 v[69:72], off, off offset:416
	s_wait_loadcnt_dscnt 0x800
	v_mul_f64_e32 v[119:120], v[1:2], v[79:80]
	v_mul_f64_e32 v[79:80], v[3:4], v[79:80]
	v_add_f64_e32 v[113:114], v[113:114], v[107:108]
	v_add_f64_e32 v[109:110], v[105:106], v[109:110]
	ds_load_b128 v[105:108], v0 offset:704
	v_fma_f64 v[103:104], v[103:104], v[73:74], v[115:116]
	v_fma_f64 v[73:74], v[101:102], v[73:74], -v[75:76]
	v_add_f64_e32 v[75:76], v[113:114], v[117:118]
	v_add_f64_e32 v[101:102], v[109:110], v[111:112]
	s_wait_loadcnt_dscnt 0x700
	v_mul_f64_e32 v[109:110], v[105:106], v[83:84]
	v_mul_f64_e32 v[83:84], v[107:108], v[83:84]
	v_fma_f64 v[111:112], v[3:4], v[77:78], v[119:120]
	v_fma_f64 v[77:78], v[1:2], v[77:78], -v[79:80]
	v_add_f64_e32 v[79:80], v[75:76], v[73:74]
	v_add_f64_e32 v[101:102], v[101:102], v[103:104]
	ds_load_b128 v[1:4], v0 offset:720
	ds_load_b128 v[73:76], v0 offset:736
	v_fma_f64 v[107:108], v[107:108], v[81:82], v[109:110]
	v_fma_f64 v[81:82], v[105:106], v[81:82], -v[83:84]
	s_wait_loadcnt_dscnt 0x601
	v_mul_f64_e32 v[103:104], v[1:2], v[91:92]
	v_mul_f64_e32 v[91:92], v[3:4], v[91:92]
	s_wait_loadcnt_dscnt 0x500
	v_mul_f64_e32 v[83:84], v[73:74], v[99:100]
	v_mul_f64_e32 v[99:100], v[75:76], v[99:100]
	v_add_f64_e32 v[77:78], v[79:80], v[77:78]
	v_add_f64_e32 v[79:80], v[101:102], v[111:112]
	v_fma_f64 v[101:102], v[3:4], v[89:90], v[103:104]
	v_fma_f64 v[89:90], v[1:2], v[89:90], -v[91:92]
	v_fma_f64 v[75:76], v[75:76], v[97:98], v[83:84]
	v_fma_f64 v[73:74], v[73:74], v[97:98], -v[99:100]
	v_add_f64_e32 v[81:82], v[77:78], v[81:82]
	v_add_f64_e32 v[91:92], v[79:80], v[107:108]
	ds_load_b128 v[1:4], v0 offset:752
	ds_load_b128 v[77:80], v0 offset:768
	s_wait_loadcnt_dscnt 0x401
	v_mul_f64_e32 v[103:104], v[1:2], v[87:88]
	v_mul_f64_e32 v[87:88], v[3:4], v[87:88]
	v_add_f64_e32 v[81:82], v[81:82], v[89:90]
	v_add_f64_e32 v[83:84], v[91:92], v[101:102]
	s_wait_loadcnt_dscnt 0x300
	v_mul_f64_e32 v[89:90], v[77:78], v[7:8]
	v_mul_f64_e32 v[7:8], v[79:80], v[7:8]
	v_fma_f64 v[91:92], v[3:4], v[85:86], v[103:104]
	v_fma_f64 v[85:86], v[1:2], v[85:86], -v[87:88]
	v_add_f64_e32 v[81:82], v[81:82], v[73:74]
	v_add_f64_e32 v[83:84], v[83:84], v[75:76]
	ds_load_b128 v[1:4], v0 offset:784
	ds_load_b128 v[73:76], v0 offset:800
	v_fma_f64 v[79:80], v[79:80], v[5:6], v[89:90]
	v_fma_f64 v[5:6], v[77:78], v[5:6], -v[7:8]
	s_wait_loadcnt_dscnt 0x201
	v_mul_f64_e32 v[87:88], v[1:2], v[11:12]
	v_mul_f64_e32 v[11:12], v[3:4], v[11:12]
	v_add_f64_e32 v[7:8], v[81:82], v[85:86]
	v_add_f64_e32 v[77:78], v[83:84], v[91:92]
	s_wait_loadcnt_dscnt 0x100
	v_mul_f64_e32 v[81:82], v[73:74], v[67:68]
	v_mul_f64_e32 v[67:68], v[75:76], v[67:68]
	v_fma_f64 v[83:84], v[3:4], v[9:10], v[87:88]
	v_fma_f64 v[9:10], v[1:2], v[9:10], -v[11:12]
	ds_load_b128 v[1:4], v0 offset:816
	v_add_f64_e32 v[5:6], v[7:8], v[5:6]
	v_add_f64_e32 v[7:8], v[77:78], v[79:80]
	v_fma_f64 v[75:76], v[75:76], v[65:66], v[81:82]
	v_fma_f64 v[65:66], v[73:74], v[65:66], -v[67:68]
	s_wait_loadcnt_dscnt 0x0
	v_mul_f64_e32 v[11:12], v[1:2], v[71:72]
	v_mul_f64_e32 v[71:72], v[3:4], v[71:72]
	v_add_f64_e32 v[5:6], v[5:6], v[9:10]
	v_add_f64_e32 v[7:8], v[7:8], v[83:84]
	s_delay_alu instid0(VALU_DEP_4) | instskip(NEXT) | instid1(VALU_DEP_4)
	v_fma_f64 v[3:4], v[3:4], v[69:70], v[11:12]
	v_fma_f64 v[1:2], v[1:2], v[69:70], -v[71:72]
	s_delay_alu instid0(VALU_DEP_4) | instskip(NEXT) | instid1(VALU_DEP_4)
	v_add_f64_e32 v[5:6], v[5:6], v[65:66]
	v_add_f64_e32 v[7:8], v[7:8], v[75:76]
	s_delay_alu instid0(VALU_DEP_2) | instskip(NEXT) | instid1(VALU_DEP_2)
	v_add_f64_e32 v[1:2], v[5:6], v[1:2]
	v_add_f64_e32 v[3:4], v[7:8], v[3:4]
	s_delay_alu instid0(VALU_DEP_2) | instskip(NEXT) | instid1(VALU_DEP_2)
	v_add_f64_e64 v[1:2], v[93:94], -v[1:2]
	v_add_f64_e64 v[3:4], v[95:96], -v[3:4]
	scratch_store_b128 off, v[1:4], off offset:16
	s_wait_alu 0xfffe
	s_cbranch_vccz .LBB89_220
; %bb.170:
	global_load_b32 v0, v0, s[2:3] offset:96
	s_wait_loadcnt 0x0
	v_cmp_ne_u32_e32 vcc_lo, 25, v0
	s_cbranch_vccz .LBB89_172
; %bb.171:
	v_lshlrev_b32_e32 v0, 4, v0
	s_delay_alu instid0(VALU_DEP_1)
	v_add_nc_u32_e32 v8, 16, v0
	s_clause 0x1
	scratch_load_b128 v[0:3], v8, off offset:-16
	scratch_load_b128 v[4:7], off, s31
	s_wait_loadcnt 0x1
	scratch_store_b128 off, v[0:3], s31
	s_wait_loadcnt 0x0
	scratch_store_b128 v8, v[4:7], off offset:-16
.LBB89_172:
	v_mov_b32_e32 v0, 0
	global_load_b32 v1, v0, s[2:3] offset:92
	s_wait_loadcnt 0x0
	v_cmp_eq_u32_e32 vcc_lo, 24, v1
	s_cbranch_vccnz .LBB89_174
; %bb.173:
	v_lshlrev_b32_e32 v1, 4, v1
	s_delay_alu instid0(VALU_DEP_1)
	v_add_nc_u32_e32 v9, 16, v1
	s_clause 0x1
	scratch_load_b128 v[1:4], v9, off offset:-16
	scratch_load_b128 v[5:8], off, s18
	s_wait_loadcnt 0x1
	scratch_store_b128 off, v[1:4], s18
	s_wait_loadcnt 0x0
	scratch_store_b128 v9, v[5:8], off offset:-16
.LBB89_174:
	global_load_b32 v0, v0, s[2:3] offset:88
	s_wait_loadcnt 0x0
	v_cmp_eq_u32_e32 vcc_lo, 23, v0
	s_cbranch_vccnz .LBB89_176
; %bb.175:
	v_lshlrev_b32_e32 v0, 4, v0
	s_delay_alu instid0(VALU_DEP_1)
	v_add_nc_u32_e32 v8, 16, v0
	s_clause 0x1
	scratch_load_b128 v[0:3], v8, off offset:-16
	scratch_load_b128 v[4:7], off, s30
	s_wait_loadcnt 0x1
	scratch_store_b128 off, v[0:3], s30
	s_wait_loadcnt 0x0
	scratch_store_b128 v8, v[4:7], off offset:-16
.LBB89_176:
	v_mov_b32_e32 v0, 0
	global_load_b32 v1, v0, s[2:3] offset:84
	s_wait_loadcnt 0x0
	v_cmp_eq_u32_e32 vcc_lo, 22, v1
	s_cbranch_vccnz .LBB89_178
; %bb.177:
	v_lshlrev_b32_e32 v1, 4, v1
	s_delay_alu instid0(VALU_DEP_1)
	v_add_nc_u32_e32 v9, 16, v1
	s_clause 0x1
	scratch_load_b128 v[1:4], v9, off offset:-16
	scratch_load_b128 v[5:8], off, s17
	s_wait_loadcnt 0x1
	scratch_store_b128 off, v[1:4], s17
	s_wait_loadcnt 0x0
	scratch_store_b128 v9, v[5:8], off offset:-16
.LBB89_178:
	global_load_b32 v0, v0, s[2:3] offset:80
	s_wait_loadcnt 0x0
	v_cmp_eq_u32_e32 vcc_lo, 21, v0
	s_cbranch_vccnz .LBB89_180
; %bb.179:
	v_lshlrev_b32_e32 v0, 4, v0
	s_delay_alu instid0(VALU_DEP_1)
	v_add_nc_u32_e32 v8, 16, v0
	s_clause 0x1
	scratch_load_b128 v[0:3], v8, off offset:-16
	scratch_load_b128 v[4:7], off, s29
	s_wait_loadcnt 0x1
	scratch_store_b128 off, v[0:3], s29
	s_wait_loadcnt 0x0
	scratch_store_b128 v8, v[4:7], off offset:-16
.LBB89_180:
	;; [unrolled: 33-line block ×11, first 2 shown]
	v_mov_b32_e32 v0, 0
	global_load_b32 v1, v0, s[2:3] offset:4
	s_wait_loadcnt 0x0
	v_cmp_eq_u32_e32 vcc_lo, 2, v1
	s_cbranch_vccnz .LBB89_218
; %bb.217:
	v_lshlrev_b32_e32 v1, 4, v1
	s_delay_alu instid0(VALU_DEP_1)
	v_add_nc_u32_e32 v9, 16, v1
	s_clause 0x1
	scratch_load_b128 v[1:4], v9, off offset:-16
	scratch_load_b128 v[5:8], off, s34
	s_wait_loadcnt 0x1
	scratch_store_b128 off, v[1:4], s34
	s_wait_loadcnt 0x0
	scratch_store_b128 v9, v[5:8], off offset:-16
.LBB89_218:
	global_load_b32 v0, v0, s[2:3]
	s_wait_loadcnt 0x0
	v_cmp_eq_u32_e32 vcc_lo, 1, v0
	s_cbranch_vccnz .LBB89_220
; %bb.219:
	v_lshlrev_b32_e32 v0, 4, v0
	s_delay_alu instid0(VALU_DEP_1)
	v_add_nc_u32_e32 v8, 16, v0
	scratch_load_b128 v[0:3], v8, off offset:-16
	scratch_load_b128 v[4:7], off, off offset:16
	s_wait_loadcnt 0x1
	scratch_store_b128 off, v[0:3], off offset:16
	s_wait_loadcnt 0x0
	scratch_store_b128 v8, v[4:7], off offset:-16
.LBB89_220:
	scratch_load_b128 v[0:3], off, off offset:16
	s_wait_loadcnt 0x0
	flat_store_b128 v[13:14], v[0:3]
	scratch_load_b128 v[0:3], off, s34
	s_wait_loadcnt 0x0
	flat_store_b128 v[15:16], v[0:3]
	scratch_load_b128 v[0:3], off, s33
	;; [unrolled: 3-line block ×25, first 2 shown]
	s_wait_loadcnt 0x0
	flat_store_b128 v[63:64], v[0:3]
	s_nop 0
	s_sendmsg sendmsg(MSG_DEALLOC_VGPRS)
	s_endpgm
	.section	.rodata,"a",@progbits
	.p2align	6, 0x0
	.amdhsa_kernel _ZN9rocsolver6v33100L18getri_kernel_smallILi26E19rocblas_complex_numIdEPKPS3_EEvT1_iilPiilS8_bb
		.amdhsa_group_segment_fixed_size 840
		.amdhsa_private_segment_fixed_size 448
		.amdhsa_kernarg_size 60
		.amdhsa_user_sgpr_count 2
		.amdhsa_user_sgpr_dispatch_ptr 0
		.amdhsa_user_sgpr_queue_ptr 0
		.amdhsa_user_sgpr_kernarg_segment_ptr 1
		.amdhsa_user_sgpr_dispatch_id 0
		.amdhsa_user_sgpr_private_segment_size 0
		.amdhsa_wavefront_size32 1
		.amdhsa_uses_dynamic_stack 0
		.amdhsa_enable_private_segment 1
		.amdhsa_system_sgpr_workgroup_id_x 1
		.amdhsa_system_sgpr_workgroup_id_y 0
		.amdhsa_system_sgpr_workgroup_id_z 0
		.amdhsa_system_sgpr_workgroup_info 0
		.amdhsa_system_vgpr_workitem_id 0
		.amdhsa_next_free_vgpr 125
		.amdhsa_next_free_sgpr 38
		.amdhsa_reserve_vcc 1
		.amdhsa_float_round_mode_32 0
		.amdhsa_float_round_mode_16_64 0
		.amdhsa_float_denorm_mode_32 3
		.amdhsa_float_denorm_mode_16_64 3
		.amdhsa_fp16_overflow 0
		.amdhsa_workgroup_processor_mode 1
		.amdhsa_memory_ordered 1
		.amdhsa_forward_progress 1
		.amdhsa_inst_pref_size 255
		.amdhsa_round_robin_scheduling 0
		.amdhsa_exception_fp_ieee_invalid_op 0
		.amdhsa_exception_fp_denorm_src 0
		.amdhsa_exception_fp_ieee_div_zero 0
		.amdhsa_exception_fp_ieee_overflow 0
		.amdhsa_exception_fp_ieee_underflow 0
		.amdhsa_exception_fp_ieee_inexact 0
		.amdhsa_exception_int_div_zero 0
	.end_amdhsa_kernel
	.section	.text._ZN9rocsolver6v33100L18getri_kernel_smallILi26E19rocblas_complex_numIdEPKPS3_EEvT1_iilPiilS8_bb,"axG",@progbits,_ZN9rocsolver6v33100L18getri_kernel_smallILi26E19rocblas_complex_numIdEPKPS3_EEvT1_iilPiilS8_bb,comdat
.Lfunc_end89:
	.size	_ZN9rocsolver6v33100L18getri_kernel_smallILi26E19rocblas_complex_numIdEPKPS3_EEvT1_iilPiilS8_bb, .Lfunc_end89-_ZN9rocsolver6v33100L18getri_kernel_smallILi26E19rocblas_complex_numIdEPKPS3_EEvT1_iilPiilS8_bb
                                        ; -- End function
	.set _ZN9rocsolver6v33100L18getri_kernel_smallILi26E19rocblas_complex_numIdEPKPS3_EEvT1_iilPiilS8_bb.num_vgpr, 125
	.set _ZN9rocsolver6v33100L18getri_kernel_smallILi26E19rocblas_complex_numIdEPKPS3_EEvT1_iilPiilS8_bb.num_agpr, 0
	.set _ZN9rocsolver6v33100L18getri_kernel_smallILi26E19rocblas_complex_numIdEPKPS3_EEvT1_iilPiilS8_bb.numbered_sgpr, 38
	.set _ZN9rocsolver6v33100L18getri_kernel_smallILi26E19rocblas_complex_numIdEPKPS3_EEvT1_iilPiilS8_bb.num_named_barrier, 0
	.set _ZN9rocsolver6v33100L18getri_kernel_smallILi26E19rocblas_complex_numIdEPKPS3_EEvT1_iilPiilS8_bb.private_seg_size, 448
	.set _ZN9rocsolver6v33100L18getri_kernel_smallILi26E19rocblas_complex_numIdEPKPS3_EEvT1_iilPiilS8_bb.uses_vcc, 1
	.set _ZN9rocsolver6v33100L18getri_kernel_smallILi26E19rocblas_complex_numIdEPKPS3_EEvT1_iilPiilS8_bb.uses_flat_scratch, 1
	.set _ZN9rocsolver6v33100L18getri_kernel_smallILi26E19rocblas_complex_numIdEPKPS3_EEvT1_iilPiilS8_bb.has_dyn_sized_stack, 0
	.set _ZN9rocsolver6v33100L18getri_kernel_smallILi26E19rocblas_complex_numIdEPKPS3_EEvT1_iilPiilS8_bb.has_recursion, 0
	.set _ZN9rocsolver6v33100L18getri_kernel_smallILi26E19rocblas_complex_numIdEPKPS3_EEvT1_iilPiilS8_bb.has_indirect_call, 0
	.section	.AMDGPU.csdata,"",@progbits
; Kernel info:
; codeLenInByte = 35960
; TotalNumSgprs: 40
; NumVgprs: 125
; ScratchSize: 448
; MemoryBound: 0
; FloatMode: 240
; IeeeMode: 1
; LDSByteSize: 840 bytes/workgroup (compile time only)
; SGPRBlocks: 0
; VGPRBlocks: 15
; NumSGPRsForWavesPerEU: 40
; NumVGPRsForWavesPerEU: 125
; Occupancy: 10
; WaveLimiterHint : 1
; COMPUTE_PGM_RSRC2:SCRATCH_EN: 1
; COMPUTE_PGM_RSRC2:USER_SGPR: 2
; COMPUTE_PGM_RSRC2:TRAP_HANDLER: 0
; COMPUTE_PGM_RSRC2:TGID_X_EN: 1
; COMPUTE_PGM_RSRC2:TGID_Y_EN: 0
; COMPUTE_PGM_RSRC2:TGID_Z_EN: 0
; COMPUTE_PGM_RSRC2:TIDIG_COMP_CNT: 0
	.section	.text._ZN9rocsolver6v33100L18getri_kernel_smallILi27E19rocblas_complex_numIdEPKPS3_EEvT1_iilPiilS8_bb,"axG",@progbits,_ZN9rocsolver6v33100L18getri_kernel_smallILi27E19rocblas_complex_numIdEPKPS3_EEvT1_iilPiilS8_bb,comdat
	.globl	_ZN9rocsolver6v33100L18getri_kernel_smallILi27E19rocblas_complex_numIdEPKPS3_EEvT1_iilPiilS8_bb ; -- Begin function _ZN9rocsolver6v33100L18getri_kernel_smallILi27E19rocblas_complex_numIdEPKPS3_EEvT1_iilPiilS8_bb
	.p2align	8
	.type	_ZN9rocsolver6v33100L18getri_kernel_smallILi27E19rocblas_complex_numIdEPKPS3_EEvT1_iilPiilS8_bb,@function
_ZN9rocsolver6v33100L18getri_kernel_smallILi27E19rocblas_complex_numIdEPKPS3_EEvT1_iilPiilS8_bb: ; @_ZN9rocsolver6v33100L18getri_kernel_smallILi27E19rocblas_complex_numIdEPKPS3_EEvT1_iilPiilS8_bb
; %bb.0:
	s_mov_b32 s2, exec_lo
	v_cmpx_gt_u32_e32 27, v0
	s_cbranch_execz .LBB90_122
; %bb.1:
	s_clause 0x1
	s_load_b32 s13, s[0:1], 0x38
	s_load_b64 s[2:3], s[0:1], 0x0
	s_mov_b32 s8, ttmp9
	s_load_b128 s[4:7], s[0:1], 0x28
	s_wait_kmcnt 0x0
	s_bitcmp1_b32 s13, 8
	s_cselect_b32 s12, -1, 0
	s_ashr_i32 s9, ttmp9, 31
	s_delay_alu instid0(SALU_CYCLE_1) | instskip(NEXT) | instid1(SALU_CYCLE_1)
	s_lshl_b64 s[10:11], s[8:9], 3
	s_add_nc_u64 s[2:3], s[2:3], s[10:11]
	s_load_b64 s[10:11], s[2:3], 0x0
	s_bfe_u32 s2, s13, 0x10008
	s_delay_alu instid0(SALU_CYCLE_1)
	s_cmp_eq_u32 s2, 0
                                        ; implicit-def: $sgpr2_sgpr3
	s_cbranch_scc1 .LBB90_3
; %bb.2:
	s_load_b96 s[16:18], s[0:1], 0x18
	s_mul_u64 s[2:3], s[4:5], s[8:9]
	s_delay_alu instid0(SALU_CYCLE_1)
	s_lshl_b64 s[2:3], s[2:3], 2
	s_wait_kmcnt 0x0
	s_ashr_i32 s5, s18, 31
	s_mov_b32 s4, s18
	s_add_nc_u64 s[2:3], s[16:17], s[2:3]
	s_lshl_b64 s[4:5], s[4:5], 2
	s_delay_alu instid0(SALU_CYCLE_1)
	s_add_nc_u64 s[2:3], s[2:3], s[4:5]
.LBB90_3:
	s_clause 0x1
	s_load_b64 s[4:5], s[0:1], 0x8
	s_load_b32 s36, s[0:1], 0x38
	v_lshlrev_b32_e32 v67, 4, v0
	s_mov_b32 s35, 32
	s_mov_b32 s34, 48
	;; [unrolled: 1-line block ×3, first 2 shown]
	s_wait_kmcnt 0x0
	s_ashr_i32 s1, s4, 31
	s_mov_b32 s0, s4
	v_add3_u32 v5, s5, s5, v0
	s_lshl_b64 s[0:1], s[0:1], 4
	s_delay_alu instid0(SALU_CYCLE_1)
	s_add_nc_u64 s[0:1], s[10:11], s[0:1]
	s_ashr_i32 s11, s5, 31
	v_add_co_u32 v13, s4, s0, v67
	s_wait_alu 0xf1ff
	v_add_co_ci_u32_e64 v14, null, s1, 0, s4
	s_mov_b32 s10, s5
	v_ashrrev_i32_e32 v6, 31, v5
	s_lshl_b64 s[10:11], s[10:11], 4
	flat_load_b128 v[1:4], v[13:14]
	v_add_co_u32 v15, vcc_lo, v13, s10
	s_delay_alu instid0(VALU_DEP_1) | instskip(SKIP_3) | instid1(VALU_DEP_2)
	v_add_co_ci_u32_e64 v16, null, s11, v14, vcc_lo
	v_lshlrev_b64_e32 v[6:7], 4, v[5:6]
	v_add_nc_u32_e32 v5, s5, v5
	s_movk_i32 s4, 0x50
	v_add_co_u32 v17, vcc_lo, s0, v6
	s_wait_alu 0xfffd
	s_delay_alu instid0(VALU_DEP_3) | instskip(SKIP_1) | instid1(VALU_DEP_1)
	v_add_co_ci_u32_e64 v18, null, s1, v7, vcc_lo
	v_ashrrev_i32_e32 v6, 31, v5
	v_lshlrev_b64_e32 v[6:7], 4, v[5:6]
	v_add_nc_u32_e32 v5, s5, v5
	s_delay_alu instid0(VALU_DEP_2) | instskip(SKIP_1) | instid1(VALU_DEP_3)
	v_add_co_u32 v19, vcc_lo, s0, v6
	s_wait_alu 0xfffd
	v_add_co_ci_u32_e64 v20, null, s1, v7, vcc_lo
	s_delay_alu instid0(VALU_DEP_3) | instskip(NEXT) | instid1(VALU_DEP_1)
	v_ashrrev_i32_e32 v6, 31, v5
	v_lshlrev_b64_e32 v[6:7], 4, v[5:6]
	v_add_nc_u32_e32 v5, s5, v5
	s_delay_alu instid0(VALU_DEP_2) | instskip(SKIP_1) | instid1(VALU_DEP_3)
	v_add_co_u32 v21, vcc_lo, s0, v6
	s_wait_alu 0xfffd
	v_add_co_ci_u32_e64 v22, null, s1, v7, vcc_lo
	s_delay_alu instid0(VALU_DEP_3) | instskip(NEXT) | instid1(VALU_DEP_1)
	;; [unrolled: 8-line block ×20, first 2 shown]
	v_ashrrev_i32_e32 v6, 31, v5
	v_lshlrev_b64_e32 v[6:7], 4, v[5:6]
	s_wait_loadcnt_dscnt 0x0
	scratch_store_b128 off, v[1:4], off offset:16
	flat_load_b128 v[1:4], v[15:16]
	v_add_nc_u32_e32 v5, s5, v5
	v_add_co_u32 v59, vcc_lo, s0, v6
	s_wait_alu 0xfffd
	v_add_co_ci_u32_e64 v60, null, s1, v7, vcc_lo
	s_delay_alu instid0(VALU_DEP_3) | instskip(NEXT) | instid1(VALU_DEP_1)
	v_ashrrev_i32_e32 v6, 31, v5
	v_lshlrev_b64_e32 v[6:7], 4, v[5:6]
	v_add_nc_u32_e32 v5, s5, v5
	s_delay_alu instid0(VALU_DEP_2) | instskip(SKIP_1) | instid1(VALU_DEP_3)
	v_add_co_u32 v61, vcc_lo, s0, v6
	s_wait_alu 0xfffd
	v_add_co_ci_u32_e64 v62, null, s1, v7, vcc_lo
	s_delay_alu instid0(VALU_DEP_3) | instskip(NEXT) | instid1(VALU_DEP_1)
	v_ashrrev_i32_e32 v6, 31, v5
	v_lshlrev_b64_e32 v[6:7], 4, v[5:6]
	v_add_nc_u32_e32 v5, s5, v5
	s_delay_alu instid0(VALU_DEP_2) | instskip(SKIP_1) | instid1(VALU_DEP_3)
	v_add_co_u32 v63, vcc_lo, s0, v6
	s_wait_alu 0xfffd
	v_add_co_ci_u32_e64 v64, null, s1, v7, vcc_lo
	s_delay_alu instid0(VALU_DEP_3) | instskip(NEXT) | instid1(VALU_DEP_1)
	v_ashrrev_i32_e32 v6, 31, v5
	v_lshlrev_b64_e32 v[5:6], 4, v[5:6]
	s_delay_alu instid0(VALU_DEP_1) | instskip(SKIP_1) | instid1(VALU_DEP_2)
	v_add_co_u32 v65, vcc_lo, s0, v5
	s_wait_alu 0xfffd
	v_add_co_ci_u32_e64 v66, null, s1, v6, vcc_lo
	s_movk_i32 s0, 0x50
	s_movk_i32 s1, 0x60
	s_wait_alu 0xfffe
	s_add_co_i32 s22, s0, 16
	s_add_co_i32 s5, s1, 16
	s_movk_i32 s0, 0x70
	s_movk_i32 s1, 0x80
	s_wait_alu 0xfffe
	s_add_co_i32 s23, s0, 16
	s_add_co_i32 s10, s1, 16
	s_movk_i32 s0, 0x90
	s_movk_i32 s1, 0xa0
	s_wait_alu 0xfffe
	s_add_co_i32 s24, s0, 16
	s_add_co_i32 s11, s1, 16
	s_movk_i32 s0, 0xb0
	s_movk_i32 s1, 0xc0
	s_wait_alu 0xfffe
	s_add_co_i32 s25, s0, 16
	s_add_co_i32 s13, s1, 16
	s_movk_i32 s0, 0xd0
	s_movk_i32 s1, 0xe0
	s_wait_alu 0xfffe
	s_add_co_i32 s26, s0, 16
	s_add_co_i32 s14, s1, 16
	s_movk_i32 s0, 0xf0
	s_movk_i32 s1, 0x100
	s_wait_alu 0xfffe
	s_add_co_i32 s27, s0, 16
	s_add_co_i32 s15, s1, 16
	s_movk_i32 s0, 0x110
	s_movk_i32 s1, 0x120
	s_wait_alu 0xfffe
	s_add_co_i32 s28, s0, 16
	s_add_co_i32 s16, s1, 16
	s_movk_i32 s0, 0x130
	s_movk_i32 s1, 0x140
	s_wait_alu 0xfffe
	s_add_co_i32 s29, s0, 16
	s_add_co_i32 s17, s1, 16
	s_movk_i32 s0, 0x150
	s_movk_i32 s1, 0x160
	s_wait_alu 0xfffe
	s_add_co_i32 s30, s0, 16
	s_add_co_i32 s18, s1, 16
	s_movk_i32 s0, 0x170
	s_movk_i32 s1, 0x180
	s_wait_alu 0xfffe
	s_add_co_i32 s31, s0, 16
	s_add_co_i32 s19, s1, 16
	s_movk_i32 s0, 0x190
	s_movk_i32 s1, 0x1a0
	s_wait_alu 0xfffe
	s_add_co_i32 s33, s0, 16
	s_add_co_i32 s20, s1, 16
	s_bitcmp0_b32 s36, 0
	s_mov_b32 s1, -1
	s_wait_loadcnt_dscnt 0x0
	scratch_store_b128 off, v[1:4], off offset:32
	flat_load_b128 v[1:4], v[17:18]
	s_wait_loadcnt_dscnt 0x0
	scratch_store_b128 off, v[1:4], off offset:48
	flat_load_b128 v[1:4], v[19:20]
	;; [unrolled: 3-line block ×25, first 2 shown]
	s_wait_loadcnt_dscnt 0x0
	scratch_store_b128 off, v[1:4], off offset:432
	s_cbranch_scc1 .LBB90_120
; %bb.4:
	v_cmp_eq_u32_e64 s0, 0, v0
	s_and_saveexec_b32 s1, s0
; %bb.5:
	v_mov_b32_e32 v1, 0
	ds_store_b32 v1, v1 offset:864
; %bb.6:
	s_wait_alu 0xfffe
	s_or_b32 exec_lo, exec_lo, s1
	s_wait_storecnt_dscnt 0x0
	s_barrier_signal -1
	s_barrier_wait -1
	global_inv scope:SCOPE_SE
	scratch_load_b128 v[1:4], v67, off offset:16
	s_wait_loadcnt 0x0
	v_cmp_eq_f64_e32 vcc_lo, 0, v[1:2]
	v_cmp_eq_f64_e64 s1, 0, v[3:4]
	s_and_b32 s1, vcc_lo, s1
	s_wait_alu 0xfffe
	s_and_saveexec_b32 s36, s1
	s_cbranch_execz .LBB90_10
; %bb.7:
	v_mov_b32_e32 v1, 0
	s_mov_b32 s37, 0
	ds_load_b32 v2, v1 offset:864
	s_wait_dscnt 0x0
	v_readfirstlane_b32 s1, v2
	v_add_nc_u32_e32 v2, 1, v0
	s_cmp_eq_u32 s1, 0
	s_delay_alu instid0(VALU_DEP_1) | instskip(SKIP_1) | instid1(SALU_CYCLE_1)
	v_cmp_gt_i32_e32 vcc_lo, s1, v2
	s_cselect_b32 s38, -1, 0
	s_or_b32 s38, s38, vcc_lo
	s_delay_alu instid0(SALU_CYCLE_1)
	s_and_b32 exec_lo, exec_lo, s38
	s_cbranch_execz .LBB90_10
; %bb.8:
	v_mov_b32_e32 v3, s1
.LBB90_9:                               ; =>This Inner Loop Header: Depth=1
	ds_cmpstore_rtn_b32 v3, v1, v2, v3 offset:864
	s_wait_dscnt 0x0
	v_cmp_ne_u32_e32 vcc_lo, 0, v3
	v_cmp_le_i32_e64 s1, v3, v2
	s_and_b32 s1, vcc_lo, s1
	s_wait_alu 0xfffe
	s_and_b32 s1, exec_lo, s1
	s_wait_alu 0xfffe
	s_or_b32 s37, s1, s37
	s_delay_alu instid0(SALU_CYCLE_1)
	s_and_not1_b32 exec_lo, exec_lo, s37
	s_cbranch_execnz .LBB90_9
.LBB90_10:
	s_or_b32 exec_lo, exec_lo, s36
	v_mov_b32_e32 v1, 0
	s_barrier_signal -1
	s_barrier_wait -1
	global_inv scope:SCOPE_SE
	ds_load_b32 v2, v1 offset:864
	s_and_saveexec_b32 s1, s0
	s_cbranch_execz .LBB90_12
; %bb.11:
	s_lshl_b64 s[36:37], s[8:9], 2
	s_delay_alu instid0(SALU_CYCLE_1)
	s_add_nc_u64 s[36:37], s[6:7], s[36:37]
	s_wait_dscnt 0x0
	global_store_b32 v1, v2, s[36:37]
.LBB90_12:
	s_wait_alu 0xfffe
	s_or_b32 exec_lo, exec_lo, s1
	s_wait_dscnt 0x0
	v_cmp_ne_u32_e32 vcc_lo, 0, v2
	s_mov_b32 s1, 0
	s_cbranch_vccnz .LBB90_120
; %bb.13:
	v_add_nc_u32_e32 v68, 16, v67
                                        ; implicit-def: $vgpr1_vgpr2
                                        ; implicit-def: $vgpr9_vgpr10
	scratch_load_b128 v[5:8], v68, off
	s_wait_loadcnt 0x0
	v_cmp_ngt_f64_e64 s1, |v[5:6]|, |v[7:8]|
	s_wait_alu 0xfffe
	s_and_saveexec_b32 s36, s1
	s_delay_alu instid0(SALU_CYCLE_1)
	s_xor_b32 s1, exec_lo, s36
	s_cbranch_execz .LBB90_15
; %bb.14:
	v_div_scale_f64 v[1:2], null, v[7:8], v[7:8], v[5:6]
	v_div_scale_f64 v[11:12], vcc_lo, v[5:6], v[7:8], v[5:6]
	s_delay_alu instid0(VALU_DEP_2) | instskip(NEXT) | instid1(TRANS32_DEP_1)
	v_rcp_f64_e32 v[3:4], v[1:2]
	v_fma_f64 v[9:10], -v[1:2], v[3:4], 1.0
	s_delay_alu instid0(VALU_DEP_1) | instskip(NEXT) | instid1(VALU_DEP_1)
	v_fma_f64 v[3:4], v[3:4], v[9:10], v[3:4]
	v_fma_f64 v[9:10], -v[1:2], v[3:4], 1.0
	s_delay_alu instid0(VALU_DEP_1) | instskip(NEXT) | instid1(VALU_DEP_1)
	v_fma_f64 v[3:4], v[3:4], v[9:10], v[3:4]
	v_mul_f64_e32 v[9:10], v[11:12], v[3:4]
	s_delay_alu instid0(VALU_DEP_1) | instskip(SKIP_1) | instid1(VALU_DEP_1)
	v_fma_f64 v[1:2], -v[1:2], v[9:10], v[11:12]
	s_wait_alu 0xfffd
	v_div_fmas_f64 v[1:2], v[1:2], v[3:4], v[9:10]
	s_delay_alu instid0(VALU_DEP_1) | instskip(NEXT) | instid1(VALU_DEP_1)
	v_div_fixup_f64 v[1:2], v[1:2], v[7:8], v[5:6]
	v_fma_f64 v[3:4], v[5:6], v[1:2], v[7:8]
	s_delay_alu instid0(VALU_DEP_1) | instskip(SKIP_1) | instid1(VALU_DEP_2)
	v_div_scale_f64 v[5:6], null, v[3:4], v[3:4], 1.0
	v_div_scale_f64 v[11:12], vcc_lo, 1.0, v[3:4], 1.0
	v_rcp_f64_e32 v[7:8], v[5:6]
	s_delay_alu instid0(TRANS32_DEP_1) | instskip(NEXT) | instid1(VALU_DEP_1)
	v_fma_f64 v[9:10], -v[5:6], v[7:8], 1.0
	v_fma_f64 v[7:8], v[7:8], v[9:10], v[7:8]
	s_delay_alu instid0(VALU_DEP_1) | instskip(NEXT) | instid1(VALU_DEP_1)
	v_fma_f64 v[9:10], -v[5:6], v[7:8], 1.0
	v_fma_f64 v[7:8], v[7:8], v[9:10], v[7:8]
	s_delay_alu instid0(VALU_DEP_1) | instskip(NEXT) | instid1(VALU_DEP_1)
	v_mul_f64_e32 v[9:10], v[11:12], v[7:8]
	v_fma_f64 v[5:6], -v[5:6], v[9:10], v[11:12]
	s_wait_alu 0xfffd
	s_delay_alu instid0(VALU_DEP_1) | instskip(NEXT) | instid1(VALU_DEP_1)
	v_div_fmas_f64 v[5:6], v[5:6], v[7:8], v[9:10]
	v_div_fixup_f64 v[3:4], v[5:6], v[3:4], 1.0
                                        ; implicit-def: $vgpr5_vgpr6
	s_delay_alu instid0(VALU_DEP_1) | instskip(SKIP_1) | instid1(VALU_DEP_2)
	v_mul_f64_e32 v[1:2], v[1:2], v[3:4]
	v_xor_b32_e32 v4, 0x80000000, v4
	v_xor_b32_e32 v10, 0x80000000, v2
	s_delay_alu instid0(VALU_DEP_3)
	v_mov_b32_e32 v9, v1
.LBB90_15:
	s_wait_alu 0xfffe
	s_and_not1_saveexec_b32 s1, s1
	s_cbranch_execz .LBB90_17
; %bb.16:
	v_div_scale_f64 v[1:2], null, v[5:6], v[5:6], v[7:8]
	v_div_scale_f64 v[11:12], vcc_lo, v[7:8], v[5:6], v[7:8]
	s_delay_alu instid0(VALU_DEP_2) | instskip(NEXT) | instid1(TRANS32_DEP_1)
	v_rcp_f64_e32 v[3:4], v[1:2]
	v_fma_f64 v[9:10], -v[1:2], v[3:4], 1.0
	s_delay_alu instid0(VALU_DEP_1) | instskip(NEXT) | instid1(VALU_DEP_1)
	v_fma_f64 v[3:4], v[3:4], v[9:10], v[3:4]
	v_fma_f64 v[9:10], -v[1:2], v[3:4], 1.0
	s_delay_alu instid0(VALU_DEP_1) | instskip(NEXT) | instid1(VALU_DEP_1)
	v_fma_f64 v[3:4], v[3:4], v[9:10], v[3:4]
	v_mul_f64_e32 v[9:10], v[11:12], v[3:4]
	s_delay_alu instid0(VALU_DEP_1) | instskip(SKIP_1) | instid1(VALU_DEP_1)
	v_fma_f64 v[1:2], -v[1:2], v[9:10], v[11:12]
	s_wait_alu 0xfffd
	v_div_fmas_f64 v[1:2], v[1:2], v[3:4], v[9:10]
	s_delay_alu instid0(VALU_DEP_1) | instskip(NEXT) | instid1(VALU_DEP_1)
	v_div_fixup_f64 v[3:4], v[1:2], v[5:6], v[7:8]
	v_fma_f64 v[1:2], v[7:8], v[3:4], v[5:6]
	s_delay_alu instid0(VALU_DEP_1) | instskip(NEXT) | instid1(VALU_DEP_1)
	v_div_scale_f64 v[5:6], null, v[1:2], v[1:2], 1.0
	v_rcp_f64_e32 v[7:8], v[5:6]
	s_delay_alu instid0(TRANS32_DEP_1) | instskip(NEXT) | instid1(VALU_DEP_1)
	v_fma_f64 v[9:10], -v[5:6], v[7:8], 1.0
	v_fma_f64 v[7:8], v[7:8], v[9:10], v[7:8]
	s_delay_alu instid0(VALU_DEP_1) | instskip(NEXT) | instid1(VALU_DEP_1)
	v_fma_f64 v[9:10], -v[5:6], v[7:8], 1.0
	v_fma_f64 v[7:8], v[7:8], v[9:10], v[7:8]
	v_div_scale_f64 v[9:10], vcc_lo, 1.0, v[1:2], 1.0
	s_delay_alu instid0(VALU_DEP_1) | instskip(NEXT) | instid1(VALU_DEP_1)
	v_mul_f64_e32 v[11:12], v[9:10], v[7:8]
	v_fma_f64 v[5:6], -v[5:6], v[11:12], v[9:10]
	s_wait_alu 0xfffd
	s_delay_alu instid0(VALU_DEP_1) | instskip(NEXT) | instid1(VALU_DEP_1)
	v_div_fmas_f64 v[5:6], v[5:6], v[7:8], v[11:12]
	v_div_fixup_f64 v[1:2], v[5:6], v[1:2], 1.0
	s_delay_alu instid0(VALU_DEP_1)
	v_mul_f64_e64 v[3:4], v[3:4], -v[1:2]
	v_xor_b32_e32 v10, 0x80000000, v2
	v_mov_b32_e32 v9, v1
.LBB90_17:
	s_wait_alu 0xfffe
	s_or_b32 exec_lo, exec_lo, s1
	scratch_store_b128 v68, v[1:4], off
	scratch_load_b128 v[69:72], off, s35
	v_xor_b32_e32 v12, 0x80000000, v4
	v_mov_b32_e32 v11, v3
	v_add_nc_u32_e32 v5, 0x1b0, v67
	ds_store_b128 v67, v[9:12]
	s_wait_loadcnt 0x0
	ds_store_b128 v67, v[69:72] offset:432
	s_wait_storecnt_dscnt 0x0
	s_barrier_signal -1
	s_barrier_wait -1
	global_inv scope:SCOPE_SE
	s_and_saveexec_b32 s1, s0
	s_cbranch_execz .LBB90_19
; %bb.18:
	scratch_load_b128 v[1:4], v68, off
	ds_load_b128 v[6:9], v5
	v_mov_b32_e32 v10, 0
	ds_load_b128 v[69:72], v10 offset:16
	s_wait_loadcnt_dscnt 0x1
	v_mul_f64_e32 v[10:11], v[6:7], v[3:4]
	v_mul_f64_e32 v[3:4], v[8:9], v[3:4]
	s_delay_alu instid0(VALU_DEP_2) | instskip(NEXT) | instid1(VALU_DEP_2)
	v_fma_f64 v[8:9], v[8:9], v[1:2], v[10:11]
	v_fma_f64 v[1:2], v[6:7], v[1:2], -v[3:4]
	s_delay_alu instid0(VALU_DEP_2) | instskip(NEXT) | instid1(VALU_DEP_2)
	v_add_f64_e32 v[3:4], 0, v[8:9]
	v_add_f64_e32 v[1:2], 0, v[1:2]
	s_wait_dscnt 0x0
	s_delay_alu instid0(VALU_DEP_2) | instskip(NEXT) | instid1(VALU_DEP_2)
	v_mul_f64_e32 v[6:7], v[3:4], v[71:72]
	v_mul_f64_e32 v[8:9], v[1:2], v[71:72]
	s_delay_alu instid0(VALU_DEP_2) | instskip(NEXT) | instid1(VALU_DEP_2)
	v_fma_f64 v[1:2], v[1:2], v[69:70], -v[6:7]
	v_fma_f64 v[3:4], v[3:4], v[69:70], v[8:9]
	scratch_store_b128 off, v[1:4], off offset:32
.LBB90_19:
	s_wait_alu 0xfffe
	s_or_b32 exec_lo, exec_lo, s1
	s_wait_loadcnt 0x0
	s_wait_storecnt 0x0
	s_barrier_signal -1
	s_barrier_wait -1
	global_inv scope:SCOPE_SE
	scratch_load_b128 v[1:4], off, s34
	s_mov_b32 s1, exec_lo
	s_wait_loadcnt 0x0
	ds_store_b128 v5, v[1:4]
	s_wait_dscnt 0x0
	s_barrier_signal -1
	s_barrier_wait -1
	global_inv scope:SCOPE_SE
	v_cmpx_gt_u32_e32 2, v0
	s_cbranch_execz .LBB90_23
; %bb.20:
	scratch_load_b128 v[1:4], v68, off
	ds_load_b128 v[6:9], v5
	s_wait_loadcnt_dscnt 0x0
	v_mul_f64_e32 v[10:11], v[8:9], v[3:4]
	v_mul_f64_e32 v[3:4], v[6:7], v[3:4]
	s_delay_alu instid0(VALU_DEP_2) | instskip(NEXT) | instid1(VALU_DEP_2)
	v_fma_f64 v[6:7], v[6:7], v[1:2], -v[10:11]
	v_fma_f64 v[3:4], v[8:9], v[1:2], v[3:4]
	s_delay_alu instid0(VALU_DEP_2) | instskip(NEXT) | instid1(VALU_DEP_2)
	v_add_f64_e32 v[1:2], 0, v[6:7]
	v_add_f64_e32 v[3:4], 0, v[3:4]
	s_and_saveexec_b32 s36, s0
	s_cbranch_execz .LBB90_22
; %bb.21:
	scratch_load_b128 v[6:9], off, off offset:32
	v_mov_b32_e32 v10, 0
	ds_load_b128 v[69:72], v10 offset:448
	s_wait_loadcnt_dscnt 0x0
	v_mul_f64_e32 v[10:11], v[69:70], v[8:9]
	v_mul_f64_e32 v[8:9], v[71:72], v[8:9]
	s_delay_alu instid0(VALU_DEP_2) | instskip(NEXT) | instid1(VALU_DEP_2)
	v_fma_f64 v[10:11], v[71:72], v[6:7], v[10:11]
	v_fma_f64 v[6:7], v[69:70], v[6:7], -v[8:9]
	s_delay_alu instid0(VALU_DEP_2) | instskip(NEXT) | instid1(VALU_DEP_2)
	v_add_f64_e32 v[3:4], v[3:4], v[10:11]
	v_add_f64_e32 v[1:2], v[1:2], v[6:7]
.LBB90_22:
	s_or_b32 exec_lo, exec_lo, s36
	v_mov_b32_e32 v6, 0
	ds_load_b128 v[6:9], v6 offset:32
	s_wait_dscnt 0x0
	v_mul_f64_e32 v[10:11], v[3:4], v[8:9]
	v_mul_f64_e32 v[8:9], v[1:2], v[8:9]
	s_delay_alu instid0(VALU_DEP_2) | instskip(NEXT) | instid1(VALU_DEP_2)
	v_fma_f64 v[1:2], v[1:2], v[6:7], -v[10:11]
	v_fma_f64 v[3:4], v[3:4], v[6:7], v[8:9]
	scratch_store_b128 off, v[1:4], off offset:48
.LBB90_23:
	s_wait_alu 0xfffe
	s_or_b32 exec_lo, exec_lo, s1
	s_wait_loadcnt 0x0
	s_wait_storecnt 0x0
	s_barrier_signal -1
	s_barrier_wait -1
	global_inv scope:SCOPE_SE
	scratch_load_b128 v[1:4], off, s21
	v_add_nc_u32_e32 v6, -1, v0
	s_mov_b32 s0, exec_lo
	s_wait_loadcnt 0x0
	ds_store_b128 v5, v[1:4]
	s_wait_dscnt 0x0
	s_barrier_signal -1
	s_barrier_wait -1
	global_inv scope:SCOPE_SE
	v_cmpx_gt_u32_e32 3, v0
	s_cbranch_execz .LBB90_27
; %bb.24:
	v_dual_mov_b32 v1, 0 :: v_dual_add_nc_u32 v8, 0x1b0, v67
	v_mov_b32_e32 v3, 0
	v_dual_mov_b32 v2, 0 :: v_dual_add_nc_u32 v7, -1, v0
	v_mov_b32_e32 v4, 0
	v_or_b32_e32 v9, 8, v68
	s_mov_b32 s1, 0
.LBB90_25:                              ; =>This Inner Loop Header: Depth=1
	scratch_load_b128 v[69:72], v9, off offset:-8
	ds_load_b128 v[73:76], v8
	v_add_nc_u32_e32 v7, 1, v7
	v_add_nc_u32_e32 v8, 16, v8
	v_add_nc_u32_e32 v9, 16, v9
	s_delay_alu instid0(VALU_DEP_3)
	v_cmp_lt_u32_e32 vcc_lo, 1, v7
	s_wait_alu 0xfffe
	s_or_b32 s1, vcc_lo, s1
	s_wait_loadcnt_dscnt 0x0
	v_mul_f64_e32 v[10:11], v[75:76], v[71:72]
	v_mul_f64_e32 v[71:72], v[73:74], v[71:72]
	s_delay_alu instid0(VALU_DEP_2) | instskip(NEXT) | instid1(VALU_DEP_2)
	v_fma_f64 v[10:11], v[73:74], v[69:70], -v[10:11]
	v_fma_f64 v[69:70], v[75:76], v[69:70], v[71:72]
	s_delay_alu instid0(VALU_DEP_2) | instskip(NEXT) | instid1(VALU_DEP_2)
	v_add_f64_e32 v[3:4], v[3:4], v[10:11]
	v_add_f64_e32 v[1:2], v[1:2], v[69:70]
	s_wait_alu 0xfffe
	s_and_not1_b32 exec_lo, exec_lo, s1
	s_cbranch_execnz .LBB90_25
; %bb.26:
	s_or_b32 exec_lo, exec_lo, s1
	v_mov_b32_e32 v7, 0
	ds_load_b128 v[7:10], v7 offset:48
	s_wait_dscnt 0x0
	v_mul_f64_e32 v[11:12], v[1:2], v[9:10]
	v_mul_f64_e32 v[69:70], v[3:4], v[9:10]
	s_delay_alu instid0(VALU_DEP_2) | instskip(NEXT) | instid1(VALU_DEP_2)
	v_fma_f64 v[9:10], v[3:4], v[7:8], -v[11:12]
	v_fma_f64 v[11:12], v[1:2], v[7:8], v[69:70]
	scratch_store_b128 off, v[9:12], off offset:64
.LBB90_27:
	s_wait_alu 0xfffe
	s_or_b32 exec_lo, exec_lo, s0
	s_wait_loadcnt 0x0
	s_wait_storecnt 0x0
	s_barrier_signal -1
	s_barrier_wait -1
	global_inv scope:SCOPE_SE
	scratch_load_b128 v[1:4], off, s4
	s_mov_b32 s0, exec_lo
	s_wait_loadcnt 0x0
	ds_store_b128 v5, v[1:4]
	s_wait_dscnt 0x0
	s_barrier_signal -1
	s_barrier_wait -1
	global_inv scope:SCOPE_SE
	v_cmpx_gt_u32_e32 4, v0
	s_cbranch_execz .LBB90_31
; %bb.28:
	v_dual_mov_b32 v1, 0 :: v_dual_add_nc_u32 v8, 0x1b0, v67
	v_mov_b32_e32 v3, 0
	v_dual_mov_b32 v2, 0 :: v_dual_add_nc_u32 v7, -1, v0
	v_mov_b32_e32 v4, 0
	v_or_b32_e32 v9, 8, v68
	s_mov_b32 s1, 0
.LBB90_29:                              ; =>This Inner Loop Header: Depth=1
	scratch_load_b128 v[69:72], v9, off offset:-8
	ds_load_b128 v[73:76], v8
	v_add_nc_u32_e32 v7, 1, v7
	v_add_nc_u32_e32 v8, 16, v8
	v_add_nc_u32_e32 v9, 16, v9
	s_delay_alu instid0(VALU_DEP_3)
	v_cmp_lt_u32_e32 vcc_lo, 2, v7
	s_wait_alu 0xfffe
	s_or_b32 s1, vcc_lo, s1
	s_wait_loadcnt_dscnt 0x0
	v_mul_f64_e32 v[10:11], v[75:76], v[71:72]
	v_mul_f64_e32 v[71:72], v[73:74], v[71:72]
	s_delay_alu instid0(VALU_DEP_2) | instskip(NEXT) | instid1(VALU_DEP_2)
	v_fma_f64 v[10:11], v[73:74], v[69:70], -v[10:11]
	v_fma_f64 v[69:70], v[75:76], v[69:70], v[71:72]
	s_delay_alu instid0(VALU_DEP_2) | instskip(NEXT) | instid1(VALU_DEP_2)
	v_add_f64_e32 v[3:4], v[3:4], v[10:11]
	v_add_f64_e32 v[1:2], v[1:2], v[69:70]
	s_wait_alu 0xfffe
	s_and_not1_b32 exec_lo, exec_lo, s1
	s_cbranch_execnz .LBB90_29
; %bb.30:
	s_or_b32 exec_lo, exec_lo, s1
	v_mov_b32_e32 v7, 0
	ds_load_b128 v[7:10], v7 offset:64
	s_wait_dscnt 0x0
	v_mul_f64_e32 v[11:12], v[1:2], v[9:10]
	v_mul_f64_e32 v[69:70], v[3:4], v[9:10]
	s_delay_alu instid0(VALU_DEP_2) | instskip(NEXT) | instid1(VALU_DEP_2)
	v_fma_f64 v[9:10], v[3:4], v[7:8], -v[11:12]
	v_fma_f64 v[11:12], v[1:2], v[7:8], v[69:70]
	scratch_store_b128 off, v[9:12], off offset:80
.LBB90_31:
	s_wait_alu 0xfffe
	s_or_b32 exec_lo, exec_lo, s0
	s_wait_loadcnt 0x0
	s_wait_storecnt 0x0
	s_barrier_signal -1
	s_barrier_wait -1
	global_inv scope:SCOPE_SE
	scratch_load_b128 v[1:4], off, s22
	;; [unrolled: 58-line block ×19, first 2 shown]
	s_mov_b32 s0, exec_lo
	s_wait_loadcnt 0x0
	ds_store_b128 v5, v[1:4]
	s_wait_dscnt 0x0
	s_barrier_signal -1
	s_barrier_wait -1
	global_inv scope:SCOPE_SE
	v_cmpx_gt_u32_e32 22, v0
	s_cbranch_execz .LBB90_103
; %bb.100:
	v_dual_mov_b32 v1, 0 :: v_dual_add_nc_u32 v8, 0x1b0, v67
	v_mov_b32_e32 v3, 0
	v_dual_mov_b32 v2, 0 :: v_dual_add_nc_u32 v7, -1, v0
	v_mov_b32_e32 v4, 0
	v_or_b32_e32 v9, 8, v68
	s_mov_b32 s1, 0
.LBB90_101:                             ; =>This Inner Loop Header: Depth=1
	scratch_load_b128 v[69:72], v9, off offset:-8
	ds_load_b128 v[73:76], v8
	v_add_nc_u32_e32 v7, 1, v7
	v_add_nc_u32_e32 v8, 16, v8
	v_add_nc_u32_e32 v9, 16, v9
	s_delay_alu instid0(VALU_DEP_3)
	v_cmp_lt_u32_e32 vcc_lo, 20, v7
	s_wait_alu 0xfffe
	s_or_b32 s1, vcc_lo, s1
	s_wait_loadcnt_dscnt 0x0
	v_mul_f64_e32 v[10:11], v[75:76], v[71:72]
	v_mul_f64_e32 v[71:72], v[73:74], v[71:72]
	s_delay_alu instid0(VALU_DEP_2) | instskip(NEXT) | instid1(VALU_DEP_2)
	v_fma_f64 v[10:11], v[73:74], v[69:70], -v[10:11]
	v_fma_f64 v[69:70], v[75:76], v[69:70], v[71:72]
	s_delay_alu instid0(VALU_DEP_2) | instskip(NEXT) | instid1(VALU_DEP_2)
	v_add_f64_e32 v[3:4], v[3:4], v[10:11]
	v_add_f64_e32 v[1:2], v[1:2], v[69:70]
	s_wait_alu 0xfffe
	s_and_not1_b32 exec_lo, exec_lo, s1
	s_cbranch_execnz .LBB90_101
; %bb.102:
	s_or_b32 exec_lo, exec_lo, s1
	v_mov_b32_e32 v7, 0
	ds_load_b128 v[7:10], v7 offset:352
	s_wait_dscnt 0x0
	v_mul_f64_e32 v[11:12], v[1:2], v[9:10]
	v_mul_f64_e32 v[69:70], v[3:4], v[9:10]
	s_delay_alu instid0(VALU_DEP_2) | instskip(NEXT) | instid1(VALU_DEP_2)
	v_fma_f64 v[9:10], v[3:4], v[7:8], -v[11:12]
	v_fma_f64 v[11:12], v[1:2], v[7:8], v[69:70]
	scratch_store_b128 off, v[9:12], off offset:368
.LBB90_103:
	s_wait_alu 0xfffe
	s_or_b32 exec_lo, exec_lo, s0
	s_wait_loadcnt 0x0
	s_wait_storecnt 0x0
	s_barrier_signal -1
	s_barrier_wait -1
	global_inv scope:SCOPE_SE
	scratch_load_b128 v[1:4], off, s31
	s_mov_b32 s0, exec_lo
	s_wait_loadcnt 0x0
	ds_store_b128 v5, v[1:4]
	s_wait_dscnt 0x0
	s_barrier_signal -1
	s_barrier_wait -1
	global_inv scope:SCOPE_SE
	v_cmpx_gt_u32_e32 23, v0
	s_cbranch_execz .LBB90_107
; %bb.104:
	v_dual_mov_b32 v1, 0 :: v_dual_add_nc_u32 v8, 0x1b0, v67
	v_mov_b32_e32 v3, 0
	v_dual_mov_b32 v2, 0 :: v_dual_add_nc_u32 v7, -1, v0
	v_mov_b32_e32 v4, 0
	v_or_b32_e32 v9, 8, v68
	s_mov_b32 s1, 0
.LBB90_105:                             ; =>This Inner Loop Header: Depth=1
	scratch_load_b128 v[69:72], v9, off offset:-8
	ds_load_b128 v[73:76], v8
	v_add_nc_u32_e32 v7, 1, v7
	v_add_nc_u32_e32 v8, 16, v8
	v_add_nc_u32_e32 v9, 16, v9
	s_delay_alu instid0(VALU_DEP_3)
	v_cmp_lt_u32_e32 vcc_lo, 21, v7
	s_wait_alu 0xfffe
	s_or_b32 s1, vcc_lo, s1
	s_wait_loadcnt_dscnt 0x0
	v_mul_f64_e32 v[10:11], v[75:76], v[71:72]
	v_mul_f64_e32 v[71:72], v[73:74], v[71:72]
	s_delay_alu instid0(VALU_DEP_2) | instskip(NEXT) | instid1(VALU_DEP_2)
	v_fma_f64 v[10:11], v[73:74], v[69:70], -v[10:11]
	v_fma_f64 v[69:70], v[75:76], v[69:70], v[71:72]
	s_delay_alu instid0(VALU_DEP_2) | instskip(NEXT) | instid1(VALU_DEP_2)
	v_add_f64_e32 v[3:4], v[3:4], v[10:11]
	v_add_f64_e32 v[1:2], v[1:2], v[69:70]
	s_wait_alu 0xfffe
	s_and_not1_b32 exec_lo, exec_lo, s1
	s_cbranch_execnz .LBB90_105
; %bb.106:
	s_or_b32 exec_lo, exec_lo, s1
	v_mov_b32_e32 v7, 0
	ds_load_b128 v[7:10], v7 offset:368
	s_wait_dscnt 0x0
	v_mul_f64_e32 v[11:12], v[1:2], v[9:10]
	v_mul_f64_e32 v[69:70], v[3:4], v[9:10]
	s_delay_alu instid0(VALU_DEP_2) | instskip(NEXT) | instid1(VALU_DEP_2)
	v_fma_f64 v[9:10], v[3:4], v[7:8], -v[11:12]
	v_fma_f64 v[11:12], v[1:2], v[7:8], v[69:70]
	scratch_store_b128 off, v[9:12], off offset:384
.LBB90_107:
	s_wait_alu 0xfffe
	s_or_b32 exec_lo, exec_lo, s0
	s_wait_loadcnt 0x0
	s_wait_storecnt 0x0
	s_barrier_signal -1
	s_barrier_wait -1
	global_inv scope:SCOPE_SE
	scratch_load_b128 v[1:4], off, s19
	;; [unrolled: 58-line block ×4, first 2 shown]
	s_mov_b32 s0, exec_lo
	s_wait_loadcnt 0x0
	ds_store_b128 v5, v[1:4]
	s_wait_dscnt 0x0
	s_barrier_signal -1
	s_barrier_wait -1
	global_inv scope:SCOPE_SE
	v_cmpx_ne_u32_e32 26, v0
	s_cbranch_execz .LBB90_119
; %bb.116:
	v_mov_b32_e32 v1, 0
	v_dual_mov_b32 v2, 0 :: v_dual_mov_b32 v3, 0
	v_mov_b32_e32 v4, 0
	v_or_b32_e32 v7, 8, v68
	s_mov_b32 s1, 0
.LBB90_117:                             ; =>This Inner Loop Header: Depth=1
	scratch_load_b128 v[8:11], v7, off offset:-8
	ds_load_b128 v[67:70], v5
	v_add_nc_u32_e32 v6, 1, v6
	v_add_nc_u32_e32 v5, 16, v5
	;; [unrolled: 1-line block ×3, first 2 shown]
	s_delay_alu instid0(VALU_DEP_3)
	v_cmp_lt_u32_e32 vcc_lo, 24, v6
	s_wait_alu 0xfffe
	s_or_b32 s1, vcc_lo, s1
	s_wait_loadcnt_dscnt 0x0
	v_mul_f64_e32 v[71:72], v[69:70], v[10:11]
	v_mul_f64_e32 v[10:11], v[67:68], v[10:11]
	s_delay_alu instid0(VALU_DEP_2) | instskip(NEXT) | instid1(VALU_DEP_2)
	v_fma_f64 v[67:68], v[67:68], v[8:9], -v[71:72]
	v_fma_f64 v[8:9], v[69:70], v[8:9], v[10:11]
	s_delay_alu instid0(VALU_DEP_2) | instskip(NEXT) | instid1(VALU_DEP_2)
	v_add_f64_e32 v[3:4], v[3:4], v[67:68]
	v_add_f64_e32 v[1:2], v[1:2], v[8:9]
	s_wait_alu 0xfffe
	s_and_not1_b32 exec_lo, exec_lo, s1
	s_cbranch_execnz .LBB90_117
; %bb.118:
	s_or_b32 exec_lo, exec_lo, s1
	v_mov_b32_e32 v5, 0
	ds_load_b128 v[5:8], v5 offset:416
	s_wait_dscnt 0x0
	v_mul_f64_e32 v[9:10], v[1:2], v[7:8]
	v_mul_f64_e32 v[7:8], v[3:4], v[7:8]
	s_delay_alu instid0(VALU_DEP_2) | instskip(NEXT) | instid1(VALU_DEP_2)
	v_fma_f64 v[3:4], v[3:4], v[5:6], -v[9:10]
	v_fma_f64 v[5:6], v[1:2], v[5:6], v[7:8]
	scratch_store_b128 off, v[3:6], off offset:432
.LBB90_119:
	s_wait_alu 0xfffe
	s_or_b32 exec_lo, exec_lo, s0
	s_mov_b32 s1, -1
	s_wait_loadcnt 0x0
	s_wait_storecnt 0x0
	s_barrier_signal -1
	s_barrier_wait -1
	global_inv scope:SCOPE_SE
.LBB90_120:
	s_wait_alu 0xfffe
	s_and_b32 vcc_lo, exec_lo, s1
	s_wait_alu 0xfffe
	s_cbranch_vccz .LBB90_122
; %bb.121:
	v_mov_b32_e32 v1, 0
	s_lshl_b64 s[0:1], s[8:9], 2
	s_wait_alu 0xfffe
	s_add_nc_u64 s[0:1], s[6:7], s[0:1]
	global_load_b32 v1, v1, s[0:1]
	s_wait_loadcnt 0x0
	v_cmp_ne_u32_e32 vcc_lo, 0, v1
	s_cbranch_vccz .LBB90_123
.LBB90_122:
	s_nop 0
	s_sendmsg sendmsg(MSG_DEALLOC_VGPRS)
	s_endpgm
.LBB90_123:
	v_lshl_add_u32 v5, v0, 4, 0x1b0
	s_mov_b32 s0, exec_lo
	v_cmpx_eq_u32_e32 26, v0
	s_cbranch_execz .LBB90_125
; %bb.124:
	scratch_load_b128 v[1:4], off, s33
	v_mov_b32_e32 v6, 0
	s_delay_alu instid0(VALU_DEP_1)
	v_dual_mov_b32 v7, v6 :: v_dual_mov_b32 v8, v6
	v_mov_b32_e32 v9, v6
	scratch_store_b128 off, v[6:9], off offset:416
	s_wait_loadcnt 0x0
	ds_store_b128 v5, v[1:4]
.LBB90_125:
	s_wait_alu 0xfffe
	s_or_b32 exec_lo, exec_lo, s0
	s_wait_storecnt_dscnt 0x0
	s_barrier_signal -1
	s_barrier_wait -1
	global_inv scope:SCOPE_SE
	s_clause 0x1
	scratch_load_b128 v[6:9], off, off offset:432
	scratch_load_b128 v[67:70], off, off offset:416
	v_mov_b32_e32 v1, 0
	s_mov_b32 s0, exec_lo
	ds_load_b128 v[71:74], v1 offset:848
	s_wait_loadcnt_dscnt 0x100
	v_mul_f64_e32 v[2:3], v[73:74], v[8:9]
	v_mul_f64_e32 v[8:9], v[71:72], v[8:9]
	s_delay_alu instid0(VALU_DEP_2) | instskip(NEXT) | instid1(VALU_DEP_2)
	v_fma_f64 v[2:3], v[71:72], v[6:7], -v[2:3]
	v_fma_f64 v[6:7], v[73:74], v[6:7], v[8:9]
	s_delay_alu instid0(VALU_DEP_2) | instskip(NEXT) | instid1(VALU_DEP_2)
	v_add_f64_e32 v[2:3], 0, v[2:3]
	v_add_f64_e32 v[8:9], 0, v[6:7]
	s_wait_loadcnt 0x0
	s_delay_alu instid0(VALU_DEP_2) | instskip(NEXT) | instid1(VALU_DEP_2)
	v_add_f64_e64 v[6:7], v[67:68], -v[2:3]
	v_add_f64_e64 v[8:9], v[69:70], -v[8:9]
	scratch_store_b128 off, v[6:9], off offset:416
	v_cmpx_lt_u32_e32 24, v0
	s_cbranch_execz .LBB90_127
; %bb.126:
	scratch_load_b128 v[6:9], off, s19
	v_dual_mov_b32 v2, v1 :: v_dual_mov_b32 v3, v1
	v_mov_b32_e32 v4, v1
	scratch_store_b128 off, v[1:4], off offset:400
	s_wait_loadcnt 0x0
	ds_store_b128 v5, v[6:9]
.LBB90_127:
	s_wait_alu 0xfffe
	s_or_b32 exec_lo, exec_lo, s0
	s_wait_storecnt_dscnt 0x0
	s_barrier_signal -1
	s_barrier_wait -1
	global_inv scope:SCOPE_SE
	s_clause 0x2
	scratch_load_b128 v[6:9], off, off offset:416
	scratch_load_b128 v[67:70], off, off offset:432
	;; [unrolled: 1-line block ×3, first 2 shown]
	ds_load_b128 v[75:78], v1 offset:832
	ds_load_b128 v[1:4], v1 offset:848
	s_mov_b32 s0, exec_lo
	s_wait_loadcnt_dscnt 0x201
	v_mul_f64_e32 v[10:11], v[77:78], v[8:9]
	v_mul_f64_e32 v[8:9], v[75:76], v[8:9]
	s_wait_loadcnt_dscnt 0x100
	v_mul_f64_e32 v[79:80], v[1:2], v[69:70]
	v_mul_f64_e32 v[69:70], v[3:4], v[69:70]
	s_delay_alu instid0(VALU_DEP_4) | instskip(NEXT) | instid1(VALU_DEP_4)
	v_fma_f64 v[10:11], v[75:76], v[6:7], -v[10:11]
	v_fma_f64 v[6:7], v[77:78], v[6:7], v[8:9]
	s_delay_alu instid0(VALU_DEP_4) | instskip(NEXT) | instid1(VALU_DEP_4)
	v_fma_f64 v[3:4], v[3:4], v[67:68], v[79:80]
	v_fma_f64 v[1:2], v[1:2], v[67:68], -v[69:70]
	s_delay_alu instid0(VALU_DEP_4) | instskip(NEXT) | instid1(VALU_DEP_4)
	v_add_f64_e32 v[8:9], 0, v[10:11]
	v_add_f64_e32 v[6:7], 0, v[6:7]
	s_delay_alu instid0(VALU_DEP_2) | instskip(NEXT) | instid1(VALU_DEP_2)
	v_add_f64_e32 v[1:2], v[8:9], v[1:2]
	v_add_f64_e32 v[3:4], v[6:7], v[3:4]
	s_wait_loadcnt 0x0
	s_delay_alu instid0(VALU_DEP_2) | instskip(NEXT) | instid1(VALU_DEP_2)
	v_add_f64_e64 v[1:2], v[71:72], -v[1:2]
	v_add_f64_e64 v[3:4], v[73:74], -v[3:4]
	scratch_store_b128 off, v[1:4], off offset:400
	v_cmpx_lt_u32_e32 23, v0
	s_cbranch_execz .LBB90_129
; %bb.128:
	scratch_load_b128 v[1:4], off, s31
	v_mov_b32_e32 v6, 0
	s_delay_alu instid0(VALU_DEP_1)
	v_dual_mov_b32 v7, v6 :: v_dual_mov_b32 v8, v6
	v_mov_b32_e32 v9, v6
	scratch_store_b128 off, v[6:9], off offset:384
	s_wait_loadcnt 0x0
	ds_store_b128 v5, v[1:4]
.LBB90_129:
	s_wait_alu 0xfffe
	s_or_b32 exec_lo, exec_lo, s0
	s_wait_storecnt_dscnt 0x0
	s_barrier_signal -1
	s_barrier_wait -1
	global_inv scope:SCOPE_SE
	s_clause 0x3
	scratch_load_b128 v[6:9], off, off offset:400
	scratch_load_b128 v[67:70], off, off offset:416
	;; [unrolled: 1-line block ×4, first 2 shown]
	v_mov_b32_e32 v1, 0
	ds_load_b128 v[79:82], v1 offset:816
	ds_load_b128 v[83:86], v1 offset:832
	s_mov_b32 s0, exec_lo
	s_wait_loadcnt_dscnt 0x301
	v_mul_f64_e32 v[2:3], v[81:82], v[8:9]
	v_mul_f64_e32 v[8:9], v[79:80], v[8:9]
	s_wait_loadcnt_dscnt 0x200
	v_mul_f64_e32 v[10:11], v[83:84], v[69:70]
	v_mul_f64_e32 v[69:70], v[85:86], v[69:70]
	s_delay_alu instid0(VALU_DEP_4) | instskip(NEXT) | instid1(VALU_DEP_4)
	v_fma_f64 v[2:3], v[79:80], v[6:7], -v[2:3]
	v_fma_f64 v[79:80], v[81:82], v[6:7], v[8:9]
	ds_load_b128 v[6:9], v1 offset:848
	v_fma_f64 v[10:11], v[85:86], v[67:68], v[10:11]
	v_fma_f64 v[67:68], v[83:84], v[67:68], -v[69:70]
	s_wait_loadcnt_dscnt 0x100
	v_mul_f64_e32 v[81:82], v[6:7], v[73:74]
	v_mul_f64_e32 v[73:74], v[8:9], v[73:74]
	v_add_f64_e32 v[2:3], 0, v[2:3]
	v_add_f64_e32 v[69:70], 0, v[79:80]
	s_delay_alu instid0(VALU_DEP_4) | instskip(NEXT) | instid1(VALU_DEP_4)
	v_fma_f64 v[8:9], v[8:9], v[71:72], v[81:82]
	v_fma_f64 v[6:7], v[6:7], v[71:72], -v[73:74]
	s_delay_alu instid0(VALU_DEP_4) | instskip(NEXT) | instid1(VALU_DEP_4)
	v_add_f64_e32 v[2:3], v[2:3], v[67:68]
	v_add_f64_e32 v[10:11], v[69:70], v[10:11]
	s_delay_alu instid0(VALU_DEP_2) | instskip(NEXT) | instid1(VALU_DEP_2)
	v_add_f64_e32 v[2:3], v[2:3], v[6:7]
	v_add_f64_e32 v[8:9], v[10:11], v[8:9]
	s_wait_loadcnt 0x0
	s_delay_alu instid0(VALU_DEP_2) | instskip(NEXT) | instid1(VALU_DEP_2)
	v_add_f64_e64 v[6:7], v[75:76], -v[2:3]
	v_add_f64_e64 v[8:9], v[77:78], -v[8:9]
	scratch_store_b128 off, v[6:9], off offset:384
	v_cmpx_lt_u32_e32 22, v0
	s_cbranch_execz .LBB90_131
; %bb.130:
	scratch_load_b128 v[6:9], off, s18
	v_dual_mov_b32 v2, v1 :: v_dual_mov_b32 v3, v1
	v_mov_b32_e32 v4, v1
	scratch_store_b128 off, v[1:4], off offset:368
	s_wait_loadcnt 0x0
	ds_store_b128 v5, v[6:9]
.LBB90_131:
	s_wait_alu 0xfffe
	s_or_b32 exec_lo, exec_lo, s0
	s_wait_storecnt_dscnt 0x0
	s_barrier_signal -1
	s_barrier_wait -1
	global_inv scope:SCOPE_SE
	s_clause 0x4
	scratch_load_b128 v[6:9], off, off offset:384
	scratch_load_b128 v[67:70], off, off offset:400
	;; [unrolled: 1-line block ×5, first 2 shown]
	ds_load_b128 v[83:86], v1 offset:800
	ds_load_b128 v[87:90], v1 offset:816
	s_mov_b32 s0, exec_lo
	s_wait_loadcnt_dscnt 0x401
	v_mul_f64_e32 v[2:3], v[85:86], v[8:9]
	v_mul_f64_e32 v[8:9], v[83:84], v[8:9]
	s_wait_loadcnt_dscnt 0x300
	v_mul_f64_e32 v[10:11], v[87:88], v[69:70]
	v_mul_f64_e32 v[69:70], v[89:90], v[69:70]
	s_delay_alu instid0(VALU_DEP_4) | instskip(NEXT) | instid1(VALU_DEP_4)
	v_fma_f64 v[83:84], v[83:84], v[6:7], -v[2:3]
	v_fma_f64 v[85:86], v[85:86], v[6:7], v[8:9]
	ds_load_b128 v[6:9], v1 offset:832
	ds_load_b128 v[1:4], v1 offset:848
	v_fma_f64 v[10:11], v[89:90], v[67:68], v[10:11]
	v_fma_f64 v[67:68], v[87:88], v[67:68], -v[69:70]
	s_wait_loadcnt_dscnt 0x201
	v_mul_f64_e32 v[91:92], v[6:7], v[73:74]
	v_mul_f64_e32 v[73:74], v[8:9], v[73:74]
	v_add_f64_e32 v[69:70], 0, v[83:84]
	v_add_f64_e32 v[83:84], 0, v[85:86]
	s_wait_loadcnt_dscnt 0x100
	v_mul_f64_e32 v[85:86], v[1:2], v[77:78]
	v_mul_f64_e32 v[77:78], v[3:4], v[77:78]
	v_fma_f64 v[8:9], v[8:9], v[71:72], v[91:92]
	v_fma_f64 v[6:7], v[6:7], v[71:72], -v[73:74]
	v_add_f64_e32 v[67:68], v[69:70], v[67:68]
	v_add_f64_e32 v[10:11], v[83:84], v[10:11]
	v_fma_f64 v[3:4], v[3:4], v[75:76], v[85:86]
	v_fma_f64 v[1:2], v[1:2], v[75:76], -v[77:78]
	s_delay_alu instid0(VALU_DEP_4) | instskip(NEXT) | instid1(VALU_DEP_4)
	v_add_f64_e32 v[6:7], v[67:68], v[6:7]
	v_add_f64_e32 v[8:9], v[10:11], v[8:9]
	s_delay_alu instid0(VALU_DEP_2) | instskip(NEXT) | instid1(VALU_DEP_2)
	v_add_f64_e32 v[1:2], v[6:7], v[1:2]
	v_add_f64_e32 v[3:4], v[8:9], v[3:4]
	s_wait_loadcnt 0x0
	s_delay_alu instid0(VALU_DEP_2) | instskip(NEXT) | instid1(VALU_DEP_2)
	v_add_f64_e64 v[1:2], v[79:80], -v[1:2]
	v_add_f64_e64 v[3:4], v[81:82], -v[3:4]
	scratch_store_b128 off, v[1:4], off offset:368
	v_cmpx_lt_u32_e32 21, v0
	s_cbranch_execz .LBB90_133
; %bb.132:
	scratch_load_b128 v[1:4], off, s30
	v_mov_b32_e32 v6, 0
	s_delay_alu instid0(VALU_DEP_1)
	v_dual_mov_b32 v7, v6 :: v_dual_mov_b32 v8, v6
	v_mov_b32_e32 v9, v6
	scratch_store_b128 off, v[6:9], off offset:352
	s_wait_loadcnt 0x0
	ds_store_b128 v5, v[1:4]
.LBB90_133:
	s_wait_alu 0xfffe
	s_or_b32 exec_lo, exec_lo, s0
	s_wait_storecnt_dscnt 0x0
	s_barrier_signal -1
	s_barrier_wait -1
	global_inv scope:SCOPE_SE
	s_clause 0x5
	scratch_load_b128 v[6:9], off, off offset:368
	scratch_load_b128 v[67:70], off, off offset:384
	;; [unrolled: 1-line block ×6, first 2 shown]
	v_mov_b32_e32 v1, 0
	ds_load_b128 v[87:90], v1 offset:784
	ds_load_b128 v[91:94], v1 offset:800
	s_mov_b32 s0, exec_lo
	s_wait_loadcnt_dscnt 0x501
	v_mul_f64_e32 v[2:3], v[89:90], v[8:9]
	v_mul_f64_e32 v[8:9], v[87:88], v[8:9]
	s_wait_loadcnt_dscnt 0x400
	v_mul_f64_e32 v[10:11], v[91:92], v[69:70]
	v_mul_f64_e32 v[69:70], v[93:94], v[69:70]
	s_delay_alu instid0(VALU_DEP_4) | instskip(NEXT) | instid1(VALU_DEP_4)
	v_fma_f64 v[2:3], v[87:88], v[6:7], -v[2:3]
	v_fma_f64 v[95:96], v[89:90], v[6:7], v[8:9]
	ds_load_b128 v[6:9], v1 offset:816
	ds_load_b128 v[87:90], v1 offset:832
	v_fma_f64 v[10:11], v[93:94], v[67:68], v[10:11]
	v_fma_f64 v[67:68], v[91:92], v[67:68], -v[69:70]
	s_wait_loadcnt_dscnt 0x301
	v_mul_f64_e32 v[97:98], v[6:7], v[73:74]
	v_mul_f64_e32 v[73:74], v[8:9], v[73:74]
	s_wait_loadcnt_dscnt 0x200
	v_mul_f64_e32 v[91:92], v[87:88], v[77:78]
	v_mul_f64_e32 v[77:78], v[89:90], v[77:78]
	v_add_f64_e32 v[2:3], 0, v[2:3]
	v_add_f64_e32 v[69:70], 0, v[95:96]
	v_fma_f64 v[93:94], v[8:9], v[71:72], v[97:98]
	v_fma_f64 v[71:72], v[6:7], v[71:72], -v[73:74]
	ds_load_b128 v[6:9], v1 offset:848
	v_fma_f64 v[73:74], v[89:90], v[75:76], v[91:92]
	v_fma_f64 v[75:76], v[87:88], v[75:76], -v[77:78]
	v_add_f64_e32 v[2:3], v[2:3], v[67:68]
	v_add_f64_e32 v[10:11], v[69:70], v[10:11]
	s_wait_loadcnt_dscnt 0x100
	v_mul_f64_e32 v[67:68], v[6:7], v[81:82]
	v_mul_f64_e32 v[69:70], v[8:9], v[81:82]
	s_delay_alu instid0(VALU_DEP_4) | instskip(NEXT) | instid1(VALU_DEP_4)
	v_add_f64_e32 v[2:3], v[2:3], v[71:72]
	v_add_f64_e32 v[10:11], v[10:11], v[93:94]
	s_delay_alu instid0(VALU_DEP_4) | instskip(NEXT) | instid1(VALU_DEP_4)
	v_fma_f64 v[8:9], v[8:9], v[79:80], v[67:68]
	v_fma_f64 v[6:7], v[6:7], v[79:80], -v[69:70]
	s_delay_alu instid0(VALU_DEP_4) | instskip(NEXT) | instid1(VALU_DEP_4)
	v_add_f64_e32 v[2:3], v[2:3], v[75:76]
	v_add_f64_e32 v[10:11], v[10:11], v[73:74]
	s_delay_alu instid0(VALU_DEP_2) | instskip(NEXT) | instid1(VALU_DEP_2)
	v_add_f64_e32 v[2:3], v[2:3], v[6:7]
	v_add_f64_e32 v[8:9], v[10:11], v[8:9]
	s_wait_loadcnt 0x0
	s_delay_alu instid0(VALU_DEP_2) | instskip(NEXT) | instid1(VALU_DEP_2)
	v_add_f64_e64 v[6:7], v[83:84], -v[2:3]
	v_add_f64_e64 v[8:9], v[85:86], -v[8:9]
	scratch_store_b128 off, v[6:9], off offset:352
	v_cmpx_lt_u32_e32 20, v0
	s_cbranch_execz .LBB90_135
; %bb.134:
	scratch_load_b128 v[6:9], off, s17
	v_dual_mov_b32 v2, v1 :: v_dual_mov_b32 v3, v1
	v_mov_b32_e32 v4, v1
	scratch_store_b128 off, v[1:4], off offset:336
	s_wait_loadcnt 0x0
	ds_store_b128 v5, v[6:9]
.LBB90_135:
	s_wait_alu 0xfffe
	s_or_b32 exec_lo, exec_lo, s0
	s_wait_storecnt_dscnt 0x0
	s_barrier_signal -1
	s_barrier_wait -1
	global_inv scope:SCOPE_SE
	s_clause 0x5
	scratch_load_b128 v[6:9], off, off offset:352
	scratch_load_b128 v[67:70], off, off offset:368
	;; [unrolled: 1-line block ×6, first 2 shown]
	ds_load_b128 v[87:90], v1 offset:768
	ds_load_b128 v[95:98], v1 offset:784
	scratch_load_b128 v[91:94], off, off offset:336
	s_mov_b32 s0, exec_lo
	s_wait_loadcnt_dscnt 0x601
	v_mul_f64_e32 v[2:3], v[89:90], v[8:9]
	v_mul_f64_e32 v[8:9], v[87:88], v[8:9]
	s_wait_loadcnt_dscnt 0x500
	v_mul_f64_e32 v[10:11], v[95:96], v[69:70]
	v_mul_f64_e32 v[69:70], v[97:98], v[69:70]
	s_delay_alu instid0(VALU_DEP_4) | instskip(NEXT) | instid1(VALU_DEP_4)
	v_fma_f64 v[2:3], v[87:88], v[6:7], -v[2:3]
	v_fma_f64 v[99:100], v[89:90], v[6:7], v[8:9]
	ds_load_b128 v[6:9], v1 offset:800
	ds_load_b128 v[87:90], v1 offset:816
	v_fma_f64 v[10:11], v[97:98], v[67:68], v[10:11]
	v_fma_f64 v[67:68], v[95:96], v[67:68], -v[69:70]
	s_wait_loadcnt_dscnt 0x401
	v_mul_f64_e32 v[101:102], v[6:7], v[73:74]
	v_mul_f64_e32 v[73:74], v[8:9], v[73:74]
	s_wait_loadcnt_dscnt 0x300
	v_mul_f64_e32 v[95:96], v[87:88], v[77:78]
	v_mul_f64_e32 v[77:78], v[89:90], v[77:78]
	v_add_f64_e32 v[2:3], 0, v[2:3]
	v_add_f64_e32 v[69:70], 0, v[99:100]
	v_fma_f64 v[97:98], v[8:9], v[71:72], v[101:102]
	v_fma_f64 v[71:72], v[6:7], v[71:72], -v[73:74]
	s_delay_alu instid0(VALU_DEP_4) | instskip(NEXT) | instid1(VALU_DEP_4)
	v_add_f64_e32 v[67:68], v[2:3], v[67:68]
	v_add_f64_e32 v[10:11], v[69:70], v[10:11]
	ds_load_b128 v[6:9], v1 offset:832
	ds_load_b128 v[1:4], v1 offset:848
	s_wait_loadcnt_dscnt 0x201
	v_mul_f64_e32 v[69:70], v[6:7], v[81:82]
	v_mul_f64_e32 v[73:74], v[8:9], v[81:82]
	v_fma_f64 v[81:82], v[89:90], v[75:76], v[95:96]
	v_fma_f64 v[75:76], v[87:88], v[75:76], -v[77:78]
	s_wait_loadcnt_dscnt 0x100
	v_mul_f64_e32 v[77:78], v[3:4], v[85:86]
	v_add_f64_e32 v[67:68], v[67:68], v[71:72]
	v_add_f64_e32 v[10:11], v[10:11], v[97:98]
	v_mul_f64_e32 v[71:72], v[1:2], v[85:86]
	v_fma_f64 v[8:9], v[8:9], v[79:80], v[69:70]
	v_fma_f64 v[6:7], v[6:7], v[79:80], -v[73:74]
	v_fma_f64 v[1:2], v[1:2], v[83:84], -v[77:78]
	v_add_f64_e32 v[67:68], v[67:68], v[75:76]
	v_add_f64_e32 v[10:11], v[10:11], v[81:82]
	v_fma_f64 v[3:4], v[3:4], v[83:84], v[71:72]
	s_delay_alu instid0(VALU_DEP_3) | instskip(NEXT) | instid1(VALU_DEP_3)
	v_add_f64_e32 v[6:7], v[67:68], v[6:7]
	v_add_f64_e32 v[8:9], v[10:11], v[8:9]
	s_delay_alu instid0(VALU_DEP_2) | instskip(NEXT) | instid1(VALU_DEP_2)
	v_add_f64_e32 v[1:2], v[6:7], v[1:2]
	v_add_f64_e32 v[3:4], v[8:9], v[3:4]
	s_wait_loadcnt 0x0
	s_delay_alu instid0(VALU_DEP_2) | instskip(NEXT) | instid1(VALU_DEP_2)
	v_add_f64_e64 v[1:2], v[91:92], -v[1:2]
	v_add_f64_e64 v[3:4], v[93:94], -v[3:4]
	scratch_store_b128 off, v[1:4], off offset:336
	v_cmpx_lt_u32_e32 19, v0
	s_cbranch_execz .LBB90_137
; %bb.136:
	scratch_load_b128 v[1:4], off, s29
	v_mov_b32_e32 v6, 0
	s_delay_alu instid0(VALU_DEP_1)
	v_dual_mov_b32 v7, v6 :: v_dual_mov_b32 v8, v6
	v_mov_b32_e32 v9, v6
	scratch_store_b128 off, v[6:9], off offset:320
	s_wait_loadcnt 0x0
	ds_store_b128 v5, v[1:4]
.LBB90_137:
	s_wait_alu 0xfffe
	s_or_b32 exec_lo, exec_lo, s0
	s_wait_storecnt_dscnt 0x0
	s_barrier_signal -1
	s_barrier_wait -1
	global_inv scope:SCOPE_SE
	s_clause 0x6
	scratch_load_b128 v[6:9], off, off offset:336
	scratch_load_b128 v[67:70], off, off offset:352
	;; [unrolled: 1-line block ×7, first 2 shown]
	v_mov_b32_e32 v1, 0
	scratch_load_b128 v[95:98], off, off offset:320
	s_mov_b32 s0, exec_lo
	ds_load_b128 v[91:94], v1 offset:752
	ds_load_b128 v[99:102], v1 offset:768
	s_wait_loadcnt_dscnt 0x701
	v_mul_f64_e32 v[2:3], v[93:94], v[8:9]
	v_mul_f64_e32 v[8:9], v[91:92], v[8:9]
	s_wait_loadcnt_dscnt 0x600
	v_mul_f64_e32 v[10:11], v[99:100], v[69:70]
	v_mul_f64_e32 v[69:70], v[101:102], v[69:70]
	s_delay_alu instid0(VALU_DEP_4) | instskip(NEXT) | instid1(VALU_DEP_4)
	v_fma_f64 v[2:3], v[91:92], v[6:7], -v[2:3]
	v_fma_f64 v[103:104], v[93:94], v[6:7], v[8:9]
	ds_load_b128 v[6:9], v1 offset:784
	ds_load_b128 v[91:94], v1 offset:800
	v_fma_f64 v[10:11], v[101:102], v[67:68], v[10:11]
	v_fma_f64 v[67:68], v[99:100], v[67:68], -v[69:70]
	s_wait_loadcnt_dscnt 0x501
	v_mul_f64_e32 v[105:106], v[6:7], v[73:74]
	v_mul_f64_e32 v[73:74], v[8:9], v[73:74]
	s_wait_loadcnt_dscnt 0x400
	v_mul_f64_e32 v[99:100], v[91:92], v[77:78]
	v_mul_f64_e32 v[77:78], v[93:94], v[77:78]
	v_add_f64_e32 v[2:3], 0, v[2:3]
	v_add_f64_e32 v[69:70], 0, v[103:104]
	v_fma_f64 v[101:102], v[8:9], v[71:72], v[105:106]
	v_fma_f64 v[71:72], v[6:7], v[71:72], -v[73:74]
	v_fma_f64 v[93:94], v[93:94], v[75:76], v[99:100]
	v_fma_f64 v[75:76], v[91:92], v[75:76], -v[77:78]
	v_add_f64_e32 v[2:3], v[2:3], v[67:68]
	v_add_f64_e32 v[10:11], v[69:70], v[10:11]
	ds_load_b128 v[6:9], v1 offset:816
	ds_load_b128 v[67:70], v1 offset:832
	s_wait_loadcnt_dscnt 0x301
	v_mul_f64_e32 v[73:74], v[6:7], v[81:82]
	v_mul_f64_e32 v[81:82], v[8:9], v[81:82]
	s_wait_loadcnt_dscnt 0x200
	v_mul_f64_e32 v[77:78], v[69:70], v[85:86]
	v_add_f64_e32 v[2:3], v[2:3], v[71:72]
	v_add_f64_e32 v[10:11], v[10:11], v[101:102]
	v_mul_f64_e32 v[71:72], v[67:68], v[85:86]
	v_fma_f64 v[73:74], v[8:9], v[79:80], v[73:74]
	v_fma_f64 v[79:80], v[6:7], v[79:80], -v[81:82]
	ds_load_b128 v[6:9], v1 offset:848
	v_fma_f64 v[67:68], v[67:68], v[83:84], -v[77:78]
	v_add_f64_e32 v[2:3], v[2:3], v[75:76]
	v_add_f64_e32 v[10:11], v[10:11], v[93:94]
	v_fma_f64 v[69:70], v[69:70], v[83:84], v[71:72]
	s_wait_loadcnt_dscnt 0x100
	v_mul_f64_e32 v[75:76], v[6:7], v[89:90]
	v_mul_f64_e32 v[81:82], v[8:9], v[89:90]
	v_add_f64_e32 v[2:3], v[2:3], v[79:80]
	v_add_f64_e32 v[10:11], v[10:11], v[73:74]
	s_delay_alu instid0(VALU_DEP_4) | instskip(NEXT) | instid1(VALU_DEP_4)
	v_fma_f64 v[8:9], v[8:9], v[87:88], v[75:76]
	v_fma_f64 v[6:7], v[6:7], v[87:88], -v[81:82]
	s_delay_alu instid0(VALU_DEP_4) | instskip(NEXT) | instid1(VALU_DEP_4)
	v_add_f64_e32 v[2:3], v[2:3], v[67:68]
	v_add_f64_e32 v[10:11], v[10:11], v[69:70]
	s_delay_alu instid0(VALU_DEP_2) | instskip(NEXT) | instid1(VALU_DEP_2)
	v_add_f64_e32 v[2:3], v[2:3], v[6:7]
	v_add_f64_e32 v[8:9], v[10:11], v[8:9]
	s_wait_loadcnt 0x0
	s_delay_alu instid0(VALU_DEP_2) | instskip(NEXT) | instid1(VALU_DEP_2)
	v_add_f64_e64 v[6:7], v[95:96], -v[2:3]
	v_add_f64_e64 v[8:9], v[97:98], -v[8:9]
	scratch_store_b128 off, v[6:9], off offset:320
	v_cmpx_lt_u32_e32 18, v0
	s_cbranch_execz .LBB90_139
; %bb.138:
	scratch_load_b128 v[6:9], off, s16
	v_dual_mov_b32 v2, v1 :: v_dual_mov_b32 v3, v1
	v_mov_b32_e32 v4, v1
	scratch_store_b128 off, v[1:4], off offset:304
	s_wait_loadcnt 0x0
	ds_store_b128 v5, v[6:9]
.LBB90_139:
	s_wait_alu 0xfffe
	s_or_b32 exec_lo, exec_lo, s0
	s_wait_storecnt_dscnt 0x0
	s_barrier_signal -1
	s_barrier_wait -1
	global_inv scope:SCOPE_SE
	s_clause 0x7
	scratch_load_b128 v[6:9], off, off offset:320
	scratch_load_b128 v[67:70], off, off offset:336
	;; [unrolled: 1-line block ×8, first 2 shown]
	ds_load_b128 v[95:98], v1 offset:736
	ds_load_b128 v[99:102], v1 offset:752
	scratch_load_b128 v[103:106], off, off offset:304
	s_mov_b32 s0, exec_lo
	s_wait_loadcnt_dscnt 0x801
	v_mul_f64_e32 v[2:3], v[97:98], v[8:9]
	v_mul_f64_e32 v[8:9], v[95:96], v[8:9]
	s_wait_loadcnt_dscnt 0x700
	v_mul_f64_e32 v[10:11], v[99:100], v[69:70]
	v_mul_f64_e32 v[69:70], v[101:102], v[69:70]
	s_delay_alu instid0(VALU_DEP_4) | instskip(NEXT) | instid1(VALU_DEP_4)
	v_fma_f64 v[2:3], v[95:96], v[6:7], -v[2:3]
	v_fma_f64 v[107:108], v[97:98], v[6:7], v[8:9]
	ds_load_b128 v[6:9], v1 offset:768
	ds_load_b128 v[95:98], v1 offset:784
	v_fma_f64 v[10:11], v[101:102], v[67:68], v[10:11]
	v_fma_f64 v[67:68], v[99:100], v[67:68], -v[69:70]
	s_wait_loadcnt_dscnt 0x601
	v_mul_f64_e32 v[109:110], v[6:7], v[73:74]
	v_mul_f64_e32 v[73:74], v[8:9], v[73:74]
	s_wait_loadcnt_dscnt 0x500
	v_mul_f64_e32 v[99:100], v[95:96], v[77:78]
	v_mul_f64_e32 v[77:78], v[97:98], v[77:78]
	v_add_f64_e32 v[2:3], 0, v[2:3]
	v_add_f64_e32 v[69:70], 0, v[107:108]
	v_fma_f64 v[101:102], v[8:9], v[71:72], v[109:110]
	v_fma_f64 v[71:72], v[6:7], v[71:72], -v[73:74]
	v_fma_f64 v[97:98], v[97:98], v[75:76], v[99:100]
	v_fma_f64 v[75:76], v[95:96], v[75:76], -v[77:78]
	v_add_f64_e32 v[2:3], v[2:3], v[67:68]
	v_add_f64_e32 v[10:11], v[69:70], v[10:11]
	ds_load_b128 v[6:9], v1 offset:800
	ds_load_b128 v[67:70], v1 offset:816
	s_wait_loadcnt_dscnt 0x401
	v_mul_f64_e32 v[73:74], v[6:7], v[81:82]
	v_mul_f64_e32 v[81:82], v[8:9], v[81:82]
	s_wait_loadcnt_dscnt 0x300
	v_mul_f64_e32 v[77:78], v[69:70], v[85:86]
	v_add_f64_e32 v[2:3], v[2:3], v[71:72]
	v_add_f64_e32 v[10:11], v[10:11], v[101:102]
	v_mul_f64_e32 v[71:72], v[67:68], v[85:86]
	v_fma_f64 v[73:74], v[8:9], v[79:80], v[73:74]
	v_fma_f64 v[79:80], v[6:7], v[79:80], -v[81:82]
	v_fma_f64 v[67:68], v[67:68], v[83:84], -v[77:78]
	v_add_f64_e32 v[75:76], v[2:3], v[75:76]
	v_add_f64_e32 v[10:11], v[10:11], v[97:98]
	ds_load_b128 v[6:9], v1 offset:832
	ds_load_b128 v[1:4], v1 offset:848
	v_fma_f64 v[69:70], v[69:70], v[83:84], v[71:72]
	s_wait_loadcnt_dscnt 0x201
	v_mul_f64_e32 v[81:82], v[6:7], v[89:90]
	v_mul_f64_e32 v[85:86], v[8:9], v[89:90]
	v_add_f64_e32 v[71:72], v[75:76], v[79:80]
	v_add_f64_e32 v[10:11], v[10:11], v[73:74]
	s_wait_loadcnt_dscnt 0x100
	v_mul_f64_e32 v[73:74], v[1:2], v[93:94]
	v_mul_f64_e32 v[75:76], v[3:4], v[93:94]
	v_fma_f64 v[8:9], v[8:9], v[87:88], v[81:82]
	v_fma_f64 v[6:7], v[6:7], v[87:88], -v[85:86]
	v_add_f64_e32 v[67:68], v[71:72], v[67:68]
	v_add_f64_e32 v[10:11], v[10:11], v[69:70]
	v_fma_f64 v[3:4], v[3:4], v[91:92], v[73:74]
	v_fma_f64 v[1:2], v[1:2], v[91:92], -v[75:76]
	s_delay_alu instid0(VALU_DEP_4) | instskip(NEXT) | instid1(VALU_DEP_4)
	v_add_f64_e32 v[6:7], v[67:68], v[6:7]
	v_add_f64_e32 v[8:9], v[10:11], v[8:9]
	s_delay_alu instid0(VALU_DEP_2) | instskip(NEXT) | instid1(VALU_DEP_2)
	v_add_f64_e32 v[1:2], v[6:7], v[1:2]
	v_add_f64_e32 v[3:4], v[8:9], v[3:4]
	s_wait_loadcnt 0x0
	s_delay_alu instid0(VALU_DEP_2) | instskip(NEXT) | instid1(VALU_DEP_2)
	v_add_f64_e64 v[1:2], v[103:104], -v[1:2]
	v_add_f64_e64 v[3:4], v[105:106], -v[3:4]
	scratch_store_b128 off, v[1:4], off offset:304
	v_cmpx_lt_u32_e32 17, v0
	s_cbranch_execz .LBB90_141
; %bb.140:
	scratch_load_b128 v[1:4], off, s28
	v_mov_b32_e32 v6, 0
	s_delay_alu instid0(VALU_DEP_1)
	v_dual_mov_b32 v7, v6 :: v_dual_mov_b32 v8, v6
	v_mov_b32_e32 v9, v6
	scratch_store_b128 off, v[6:9], off offset:288
	s_wait_loadcnt 0x0
	ds_store_b128 v5, v[1:4]
.LBB90_141:
	s_wait_alu 0xfffe
	s_or_b32 exec_lo, exec_lo, s0
	s_wait_storecnt_dscnt 0x0
	s_barrier_signal -1
	s_barrier_wait -1
	global_inv scope:SCOPE_SE
	s_clause 0x7
	scratch_load_b128 v[6:9], off, off offset:304
	scratch_load_b128 v[67:70], off, off offset:320
	scratch_load_b128 v[71:74], off, off offset:336
	scratch_load_b128 v[75:78], off, off offset:352
	scratch_load_b128 v[79:82], off, off offset:368
	scratch_load_b128 v[83:86], off, off offset:384
	scratch_load_b128 v[87:90], off, off offset:400
	scratch_load_b128 v[91:94], off, off offset:416
	v_mov_b32_e32 v1, 0
	s_mov_b32 s0, exec_lo
	ds_load_b128 v[95:98], v1 offset:720
	s_clause 0x1
	scratch_load_b128 v[99:102], off, off offset:432
	scratch_load_b128 v[103:106], off, off offset:288
	ds_load_b128 v[107:110], v1 offset:736
	s_wait_loadcnt_dscnt 0x901
	v_mul_f64_e32 v[2:3], v[97:98], v[8:9]
	v_mul_f64_e32 v[8:9], v[95:96], v[8:9]
	s_wait_loadcnt_dscnt 0x800
	v_mul_f64_e32 v[10:11], v[107:108], v[69:70]
	v_mul_f64_e32 v[69:70], v[109:110], v[69:70]
	s_delay_alu instid0(VALU_DEP_4) | instskip(NEXT) | instid1(VALU_DEP_4)
	v_fma_f64 v[2:3], v[95:96], v[6:7], -v[2:3]
	v_fma_f64 v[111:112], v[97:98], v[6:7], v[8:9]
	ds_load_b128 v[6:9], v1 offset:752
	ds_load_b128 v[95:98], v1 offset:768
	v_fma_f64 v[10:11], v[109:110], v[67:68], v[10:11]
	v_fma_f64 v[67:68], v[107:108], v[67:68], -v[69:70]
	s_wait_loadcnt_dscnt 0x701
	v_mul_f64_e32 v[113:114], v[6:7], v[73:74]
	v_mul_f64_e32 v[73:74], v[8:9], v[73:74]
	s_wait_loadcnt_dscnt 0x600
	v_mul_f64_e32 v[107:108], v[95:96], v[77:78]
	v_mul_f64_e32 v[77:78], v[97:98], v[77:78]
	v_add_f64_e32 v[2:3], 0, v[2:3]
	v_add_f64_e32 v[69:70], 0, v[111:112]
	v_fma_f64 v[109:110], v[8:9], v[71:72], v[113:114]
	v_fma_f64 v[71:72], v[6:7], v[71:72], -v[73:74]
	v_fma_f64 v[97:98], v[97:98], v[75:76], v[107:108]
	v_fma_f64 v[75:76], v[95:96], v[75:76], -v[77:78]
	v_add_f64_e32 v[2:3], v[2:3], v[67:68]
	v_add_f64_e32 v[10:11], v[69:70], v[10:11]
	ds_load_b128 v[6:9], v1 offset:784
	ds_load_b128 v[67:70], v1 offset:800
	s_wait_loadcnt_dscnt 0x501
	v_mul_f64_e32 v[73:74], v[6:7], v[81:82]
	v_mul_f64_e32 v[81:82], v[8:9], v[81:82]
	s_wait_loadcnt_dscnt 0x400
	v_mul_f64_e32 v[77:78], v[67:68], v[85:86]
	v_mul_f64_e32 v[85:86], v[69:70], v[85:86]
	v_add_f64_e32 v[2:3], v[2:3], v[71:72]
	v_add_f64_e32 v[10:11], v[10:11], v[109:110]
	v_fma_f64 v[95:96], v[8:9], v[79:80], v[73:74]
	v_fma_f64 v[79:80], v[6:7], v[79:80], -v[81:82]
	ds_load_b128 v[6:9], v1 offset:816
	ds_load_b128 v[71:74], v1 offset:832
	v_fma_f64 v[69:70], v[69:70], v[83:84], v[77:78]
	v_fma_f64 v[67:68], v[67:68], v[83:84], -v[85:86]
	v_add_f64_e32 v[2:3], v[2:3], v[75:76]
	v_add_f64_e32 v[10:11], v[10:11], v[97:98]
	s_wait_loadcnt_dscnt 0x301
	v_mul_f64_e32 v[75:76], v[6:7], v[89:90]
	v_mul_f64_e32 v[81:82], v[8:9], v[89:90]
	s_wait_loadcnt_dscnt 0x200
	v_mul_f64_e32 v[77:78], v[71:72], v[93:94]
	v_add_f64_e32 v[2:3], v[2:3], v[79:80]
	v_add_f64_e32 v[10:11], v[10:11], v[95:96]
	v_mul_f64_e32 v[79:80], v[73:74], v[93:94]
	v_fma_f64 v[75:76], v[8:9], v[87:88], v[75:76]
	v_fma_f64 v[81:82], v[6:7], v[87:88], -v[81:82]
	ds_load_b128 v[6:9], v1 offset:848
	v_fma_f64 v[73:74], v[73:74], v[91:92], v[77:78]
	v_add_f64_e32 v[2:3], v[2:3], v[67:68]
	v_add_f64_e32 v[10:11], v[10:11], v[69:70]
	s_wait_loadcnt_dscnt 0x100
	v_mul_f64_e32 v[67:68], v[6:7], v[101:102]
	v_mul_f64_e32 v[69:70], v[8:9], v[101:102]
	v_fma_f64 v[71:72], v[71:72], v[91:92], -v[79:80]
	v_add_f64_e32 v[2:3], v[2:3], v[81:82]
	v_add_f64_e32 v[10:11], v[10:11], v[75:76]
	v_fma_f64 v[8:9], v[8:9], v[99:100], v[67:68]
	v_fma_f64 v[6:7], v[6:7], v[99:100], -v[69:70]
	s_delay_alu instid0(VALU_DEP_4) | instskip(NEXT) | instid1(VALU_DEP_4)
	v_add_f64_e32 v[2:3], v[2:3], v[71:72]
	v_add_f64_e32 v[10:11], v[10:11], v[73:74]
	s_delay_alu instid0(VALU_DEP_2) | instskip(NEXT) | instid1(VALU_DEP_2)
	v_add_f64_e32 v[2:3], v[2:3], v[6:7]
	v_add_f64_e32 v[8:9], v[10:11], v[8:9]
	s_wait_loadcnt 0x0
	s_delay_alu instid0(VALU_DEP_2) | instskip(NEXT) | instid1(VALU_DEP_2)
	v_add_f64_e64 v[6:7], v[103:104], -v[2:3]
	v_add_f64_e64 v[8:9], v[105:106], -v[8:9]
	scratch_store_b128 off, v[6:9], off offset:288
	v_cmpx_lt_u32_e32 16, v0
	s_cbranch_execz .LBB90_143
; %bb.142:
	scratch_load_b128 v[6:9], off, s15
	v_dual_mov_b32 v2, v1 :: v_dual_mov_b32 v3, v1
	v_mov_b32_e32 v4, v1
	scratch_store_b128 off, v[1:4], off offset:272
	s_wait_loadcnt 0x0
	ds_store_b128 v5, v[6:9]
.LBB90_143:
	s_wait_alu 0xfffe
	s_or_b32 exec_lo, exec_lo, s0
	s_wait_storecnt_dscnt 0x0
	s_barrier_signal -1
	s_barrier_wait -1
	global_inv scope:SCOPE_SE
	s_clause 0x8
	scratch_load_b128 v[6:9], off, off offset:288
	scratch_load_b128 v[67:70], off, off offset:304
	;; [unrolled: 1-line block ×9, first 2 shown]
	ds_load_b128 v[99:102], v1 offset:704
	ds_load_b128 v[103:106], v1 offset:720
	scratch_load_b128 v[107:110], off, off offset:272
	s_mov_b32 s0, exec_lo
	s_wait_loadcnt_dscnt 0x901
	v_mul_f64_e32 v[2:3], v[101:102], v[8:9]
	v_mul_f64_e32 v[111:112], v[99:100], v[8:9]
	scratch_load_b128 v[8:11], off, off offset:432
	s_wait_loadcnt_dscnt 0x900
	v_mul_f64_e32 v[115:116], v[103:104], v[69:70]
	v_mul_f64_e32 v[69:70], v[105:106], v[69:70]
	v_fma_f64 v[2:3], v[99:100], v[6:7], -v[2:3]
	v_fma_f64 v[6:7], v[101:102], v[6:7], v[111:112]
	ds_load_b128 v[99:102], v1 offset:736
	ds_load_b128 v[111:114], v1 offset:752
	v_fma_f64 v[105:106], v[105:106], v[67:68], v[115:116]
	v_fma_f64 v[67:68], v[103:104], v[67:68], -v[69:70]
	s_wait_loadcnt_dscnt 0x801
	v_mul_f64_e32 v[117:118], v[99:100], v[73:74]
	v_mul_f64_e32 v[73:74], v[101:102], v[73:74]
	s_wait_loadcnt_dscnt 0x700
	v_mul_f64_e32 v[103:104], v[111:112], v[77:78]
	v_mul_f64_e32 v[77:78], v[113:114], v[77:78]
	v_add_f64_e32 v[2:3], 0, v[2:3]
	v_add_f64_e32 v[6:7], 0, v[6:7]
	v_fma_f64 v[101:102], v[101:102], v[71:72], v[117:118]
	v_fma_f64 v[99:100], v[99:100], v[71:72], -v[73:74]
	v_fma_f64 v[103:104], v[113:114], v[75:76], v[103:104]
	v_fma_f64 v[75:76], v[111:112], v[75:76], -v[77:78]
	v_add_f64_e32 v[2:3], v[2:3], v[67:68]
	v_add_f64_e32 v[6:7], v[6:7], v[105:106]
	ds_load_b128 v[67:70], v1 offset:768
	ds_load_b128 v[71:74], v1 offset:784
	s_wait_loadcnt_dscnt 0x601
	v_mul_f64_e32 v[105:106], v[67:68], v[81:82]
	v_mul_f64_e32 v[81:82], v[69:70], v[81:82]
	v_add_f64_e32 v[2:3], v[2:3], v[99:100]
	v_add_f64_e32 v[6:7], v[6:7], v[101:102]
	s_wait_loadcnt_dscnt 0x500
	v_mul_f64_e32 v[99:100], v[71:72], v[85:86]
	v_mul_f64_e32 v[85:86], v[73:74], v[85:86]
	v_fma_f64 v[101:102], v[69:70], v[79:80], v[105:106]
	v_fma_f64 v[79:80], v[67:68], v[79:80], -v[81:82]
	v_add_f64_e32 v[2:3], v[2:3], v[75:76]
	v_add_f64_e32 v[6:7], v[6:7], v[103:104]
	ds_load_b128 v[67:70], v1 offset:800
	ds_load_b128 v[75:78], v1 offset:816
	v_fma_f64 v[73:74], v[73:74], v[83:84], v[99:100]
	v_fma_f64 v[71:72], v[71:72], v[83:84], -v[85:86]
	s_wait_loadcnt_dscnt 0x401
	v_mul_f64_e32 v[81:82], v[67:68], v[89:90]
	v_mul_f64_e32 v[89:90], v[69:70], v[89:90]
	s_wait_loadcnt_dscnt 0x300
	v_mul_f64_e32 v[83:84], v[77:78], v[93:94]
	v_add_f64_e32 v[2:3], v[2:3], v[79:80]
	v_add_f64_e32 v[6:7], v[6:7], v[101:102]
	v_mul_f64_e32 v[79:80], v[75:76], v[93:94]
	v_fma_f64 v[81:82], v[69:70], v[87:88], v[81:82]
	v_fma_f64 v[85:86], v[67:68], v[87:88], -v[89:90]
	v_fma_f64 v[75:76], v[75:76], v[91:92], -v[83:84]
	v_add_f64_e32 v[71:72], v[2:3], v[71:72]
	v_add_f64_e32 v[6:7], v[6:7], v[73:74]
	ds_load_b128 v[67:70], v1 offset:832
	ds_load_b128 v[1:4], v1 offset:848
	v_fma_f64 v[77:78], v[77:78], v[91:92], v[79:80]
	s_wait_loadcnt_dscnt 0x201
	v_mul_f64_e32 v[73:74], v[67:68], v[97:98]
	v_mul_f64_e32 v[87:88], v[69:70], v[97:98]
	v_add_f64_e32 v[71:72], v[71:72], v[85:86]
	v_add_f64_e32 v[6:7], v[6:7], v[81:82]
	s_wait_loadcnt_dscnt 0x0
	v_mul_f64_e32 v[79:80], v[1:2], v[10:11]
	v_mul_f64_e32 v[10:11], v[3:4], v[10:11]
	v_fma_f64 v[69:70], v[69:70], v[95:96], v[73:74]
	v_fma_f64 v[67:68], v[67:68], v[95:96], -v[87:88]
	v_add_f64_e32 v[71:72], v[71:72], v[75:76]
	v_add_f64_e32 v[6:7], v[6:7], v[77:78]
	v_fma_f64 v[3:4], v[3:4], v[8:9], v[79:80]
	v_fma_f64 v[1:2], v[1:2], v[8:9], -v[10:11]
	s_delay_alu instid0(VALU_DEP_4) | instskip(NEXT) | instid1(VALU_DEP_4)
	v_add_f64_e32 v[8:9], v[71:72], v[67:68]
	v_add_f64_e32 v[6:7], v[6:7], v[69:70]
	s_delay_alu instid0(VALU_DEP_2) | instskip(NEXT) | instid1(VALU_DEP_2)
	v_add_f64_e32 v[1:2], v[8:9], v[1:2]
	v_add_f64_e32 v[3:4], v[6:7], v[3:4]
	s_delay_alu instid0(VALU_DEP_2) | instskip(NEXT) | instid1(VALU_DEP_2)
	v_add_f64_e64 v[1:2], v[107:108], -v[1:2]
	v_add_f64_e64 v[3:4], v[109:110], -v[3:4]
	scratch_store_b128 off, v[1:4], off offset:272
	v_cmpx_lt_u32_e32 15, v0
	s_cbranch_execz .LBB90_145
; %bb.144:
	scratch_load_b128 v[1:4], off, s27
	v_mov_b32_e32 v6, 0
	s_delay_alu instid0(VALU_DEP_1)
	v_dual_mov_b32 v7, v6 :: v_dual_mov_b32 v8, v6
	v_mov_b32_e32 v9, v6
	scratch_store_b128 off, v[6:9], off offset:256
	s_wait_loadcnt 0x0
	ds_store_b128 v5, v[1:4]
.LBB90_145:
	s_wait_alu 0xfffe
	s_or_b32 exec_lo, exec_lo, s0
	s_wait_storecnt_dscnt 0x0
	s_barrier_signal -1
	s_barrier_wait -1
	global_inv scope:SCOPE_SE
	s_clause 0x7
	scratch_load_b128 v[6:9], off, off offset:272
	scratch_load_b128 v[67:70], off, off offset:288
	;; [unrolled: 1-line block ×8, first 2 shown]
	v_mov_b32_e32 v1, 0
	s_mov_b32 s0, exec_lo
	ds_load_b128 v[95:98], v1 offset:688
	s_clause 0x1
	scratch_load_b128 v[99:102], off, off offset:400
	scratch_load_b128 v[103:106], off, off offset:256
	ds_load_b128 v[107:110], v1 offset:704
	ds_load_b128 v[115:118], v1 offset:736
	s_wait_loadcnt_dscnt 0x902
	v_mul_f64_e32 v[2:3], v[97:98], v[8:9]
	v_mul_f64_e32 v[111:112], v[95:96], v[8:9]
	scratch_load_b128 v[8:11], off, off offset:416
	v_fma_f64 v[2:3], v[95:96], v[6:7], -v[2:3]
	v_fma_f64 v[6:7], v[97:98], v[6:7], v[111:112]
	ds_load_b128 v[95:98], v1 offset:720
	s_wait_loadcnt_dscnt 0x902
	v_mul_f64_e32 v[119:120], v[107:108], v[69:70]
	v_mul_f64_e32 v[69:70], v[109:110], v[69:70]
	scratch_load_b128 v[111:114], off, off offset:432
	s_wait_loadcnt_dscnt 0x900
	v_mul_f64_e32 v[121:122], v[95:96], v[73:74]
	v_mul_f64_e32 v[73:74], v[97:98], v[73:74]
	v_add_f64_e32 v[2:3], 0, v[2:3]
	v_add_f64_e32 v[6:7], 0, v[6:7]
	v_fma_f64 v[109:110], v[109:110], v[67:68], v[119:120]
	v_fma_f64 v[67:68], v[107:108], v[67:68], -v[69:70]
	s_wait_loadcnt 0x8
	v_mul_f64_e32 v[107:108], v[115:116], v[77:78]
	v_mul_f64_e32 v[77:78], v[117:118], v[77:78]
	v_fma_f64 v[97:98], v[97:98], v[71:72], v[121:122]
	v_fma_f64 v[95:96], v[95:96], v[71:72], -v[73:74]
	v_add_f64_e32 v[6:7], v[6:7], v[109:110]
	v_add_f64_e32 v[2:3], v[2:3], v[67:68]
	ds_load_b128 v[67:70], v1 offset:752
	ds_load_b128 v[71:74], v1 offset:768
	v_fma_f64 v[107:108], v[117:118], v[75:76], v[107:108]
	v_fma_f64 v[75:76], v[115:116], v[75:76], -v[77:78]
	s_wait_loadcnt_dscnt 0x701
	v_mul_f64_e32 v[109:110], v[67:68], v[81:82]
	v_mul_f64_e32 v[81:82], v[69:70], v[81:82]
	v_add_f64_e32 v[6:7], v[6:7], v[97:98]
	v_add_f64_e32 v[2:3], v[2:3], v[95:96]
	s_wait_loadcnt_dscnt 0x600
	v_mul_f64_e32 v[95:96], v[71:72], v[85:86]
	v_mul_f64_e32 v[85:86], v[73:74], v[85:86]
	v_fma_f64 v[97:98], v[69:70], v[79:80], v[109:110]
	v_fma_f64 v[79:80], v[67:68], v[79:80], -v[81:82]
	v_add_f64_e32 v[6:7], v[6:7], v[107:108]
	v_add_f64_e32 v[2:3], v[2:3], v[75:76]
	ds_load_b128 v[67:70], v1 offset:784
	ds_load_b128 v[75:78], v1 offset:800
	v_fma_f64 v[73:74], v[73:74], v[83:84], v[95:96]
	v_fma_f64 v[71:72], v[71:72], v[83:84], -v[85:86]
	s_wait_loadcnt_dscnt 0x501
	v_mul_f64_e32 v[81:82], v[67:68], v[89:90]
	v_mul_f64_e32 v[89:90], v[69:70], v[89:90]
	s_wait_loadcnt_dscnt 0x400
	v_mul_f64_e32 v[83:84], v[77:78], v[93:94]
	v_add_f64_e32 v[6:7], v[6:7], v[97:98]
	v_add_f64_e32 v[2:3], v[2:3], v[79:80]
	v_mul_f64_e32 v[79:80], v[75:76], v[93:94]
	v_fma_f64 v[81:82], v[69:70], v[87:88], v[81:82]
	v_fma_f64 v[85:86], v[67:68], v[87:88], -v[89:90]
	v_fma_f64 v[75:76], v[75:76], v[91:92], -v[83:84]
	v_add_f64_e32 v[6:7], v[6:7], v[73:74]
	v_add_f64_e32 v[2:3], v[2:3], v[71:72]
	ds_load_b128 v[67:70], v1 offset:816
	ds_load_b128 v[71:74], v1 offset:832
	v_fma_f64 v[77:78], v[77:78], v[91:92], v[79:80]
	s_wait_loadcnt_dscnt 0x301
	v_mul_f64_e32 v[87:88], v[67:68], v[101:102]
	v_mul_f64_e32 v[89:90], v[69:70], v[101:102]
	v_add_f64_e32 v[6:7], v[6:7], v[81:82]
	v_add_f64_e32 v[2:3], v[2:3], v[85:86]
	s_wait_loadcnt_dscnt 0x100
	v_mul_f64_e32 v[79:80], v[71:72], v[10:11]
	v_mul_f64_e32 v[10:11], v[73:74], v[10:11]
	v_fma_f64 v[81:82], v[69:70], v[99:100], v[87:88]
	v_fma_f64 v[83:84], v[67:68], v[99:100], -v[89:90]
	ds_load_b128 v[67:70], v1 offset:848
	v_add_f64_e32 v[6:7], v[6:7], v[77:78]
	v_add_f64_e32 v[2:3], v[2:3], v[75:76]
	v_fma_f64 v[73:74], v[73:74], v[8:9], v[79:80]
	v_fma_f64 v[8:9], v[71:72], v[8:9], -v[10:11]
	s_wait_loadcnt_dscnt 0x0
	v_mul_f64_e32 v[75:76], v[67:68], v[113:114]
	v_mul_f64_e32 v[77:78], v[69:70], v[113:114]
	v_add_f64_e32 v[6:7], v[6:7], v[81:82]
	v_add_f64_e32 v[2:3], v[2:3], v[83:84]
	s_delay_alu instid0(VALU_DEP_4) | instskip(NEXT) | instid1(VALU_DEP_4)
	v_fma_f64 v[10:11], v[69:70], v[111:112], v[75:76]
	v_fma_f64 v[67:68], v[67:68], v[111:112], -v[77:78]
	s_delay_alu instid0(VALU_DEP_4) | instskip(NEXT) | instid1(VALU_DEP_4)
	v_add_f64_e32 v[6:7], v[6:7], v[73:74]
	v_add_f64_e32 v[2:3], v[2:3], v[8:9]
	s_delay_alu instid0(VALU_DEP_2) | instskip(NEXT) | instid1(VALU_DEP_2)
	v_add_f64_e32 v[8:9], v[6:7], v[10:11]
	v_add_f64_e32 v[2:3], v[2:3], v[67:68]
	s_delay_alu instid0(VALU_DEP_2) | instskip(NEXT) | instid1(VALU_DEP_2)
	v_add_f64_e64 v[8:9], v[105:106], -v[8:9]
	v_add_f64_e64 v[6:7], v[103:104], -v[2:3]
	scratch_store_b128 off, v[6:9], off offset:256
	v_cmpx_lt_u32_e32 14, v0
	s_cbranch_execz .LBB90_147
; %bb.146:
	scratch_load_b128 v[6:9], off, s14
	v_dual_mov_b32 v2, v1 :: v_dual_mov_b32 v3, v1
	v_mov_b32_e32 v4, v1
	scratch_store_b128 off, v[1:4], off offset:240
	s_wait_loadcnt 0x0
	ds_store_b128 v5, v[6:9]
.LBB90_147:
	s_wait_alu 0xfffe
	s_or_b32 exec_lo, exec_lo, s0
	s_wait_storecnt_dscnt 0x0
	s_barrier_signal -1
	s_barrier_wait -1
	global_inv scope:SCOPE_SE
	s_clause 0x8
	scratch_load_b128 v[6:9], off, off offset:256
	scratch_load_b128 v[67:70], off, off offset:272
	;; [unrolled: 1-line block ×9, first 2 shown]
	ds_load_b128 v[99:102], v1 offset:672
	ds_load_b128 v[103:106], v1 offset:688
	scratch_load_b128 v[107:110], off, off offset:240
	s_mov_b32 s0, exec_lo
	ds_load_b128 v[115:118], v1 offset:720
	s_wait_loadcnt_dscnt 0x902
	v_mul_f64_e32 v[2:3], v[101:102], v[8:9]
	v_mul_f64_e32 v[111:112], v[99:100], v[8:9]
	scratch_load_b128 v[8:11], off, off offset:400
	s_wait_loadcnt_dscnt 0x901
	v_mul_f64_e32 v[119:120], v[103:104], v[69:70]
	v_mul_f64_e32 v[69:70], v[105:106], v[69:70]
	v_fma_f64 v[2:3], v[99:100], v[6:7], -v[2:3]
	v_fma_f64 v[6:7], v[101:102], v[6:7], v[111:112]
	ds_load_b128 v[99:102], v1 offset:704
	scratch_load_b128 v[111:114], off, off offset:416
	v_fma_f64 v[105:106], v[105:106], v[67:68], v[119:120]
	v_fma_f64 v[103:104], v[103:104], v[67:68], -v[69:70]
	scratch_load_b128 v[67:70], off, off offset:432
	s_wait_loadcnt_dscnt 0x901
	v_mul_f64_e32 v[119:120], v[115:116], v[77:78]
	v_mul_f64_e32 v[77:78], v[117:118], v[77:78]
	s_wait_dscnt 0x0
	v_mul_f64_e32 v[121:122], v[99:100], v[73:74]
	v_mul_f64_e32 v[73:74], v[101:102], v[73:74]
	v_add_f64_e32 v[2:3], 0, v[2:3]
	v_add_f64_e32 v[6:7], 0, v[6:7]
	s_delay_alu instid0(VALU_DEP_4) | instskip(NEXT) | instid1(VALU_DEP_4)
	v_fma_f64 v[121:122], v[101:102], v[71:72], v[121:122]
	v_fma_f64 v[123:124], v[99:100], v[71:72], -v[73:74]
	ds_load_b128 v[71:74], v1 offset:736
	ds_load_b128 v[99:102], v1 offset:752
	v_add_f64_e32 v[2:3], v[2:3], v[103:104]
	v_add_f64_e32 v[6:7], v[6:7], v[105:106]
	v_fma_f64 v[105:106], v[117:118], v[75:76], v[119:120]
	v_fma_f64 v[75:76], v[115:116], v[75:76], -v[77:78]
	s_wait_loadcnt_dscnt 0x801
	v_mul_f64_e32 v[103:104], v[71:72], v[81:82]
	v_mul_f64_e32 v[81:82], v[73:74], v[81:82]
	s_wait_loadcnt_dscnt 0x700
	v_mul_f64_e32 v[115:116], v[99:100], v[85:86]
	v_mul_f64_e32 v[85:86], v[101:102], v[85:86]
	v_add_f64_e32 v[2:3], v[2:3], v[123:124]
	v_add_f64_e32 v[6:7], v[6:7], v[121:122]
	v_fma_f64 v[103:104], v[73:74], v[79:80], v[103:104]
	v_fma_f64 v[79:80], v[71:72], v[79:80], -v[81:82]
	v_fma_f64 v[101:102], v[101:102], v[83:84], v[115:116]
	v_fma_f64 v[83:84], v[99:100], v[83:84], -v[85:86]
	v_add_f64_e32 v[2:3], v[2:3], v[75:76]
	v_add_f64_e32 v[6:7], v[6:7], v[105:106]
	ds_load_b128 v[71:74], v1 offset:768
	ds_load_b128 v[75:78], v1 offset:784
	s_wait_loadcnt_dscnt 0x601
	v_mul_f64_e32 v[81:82], v[71:72], v[89:90]
	v_mul_f64_e32 v[89:90], v[73:74], v[89:90]
	s_wait_loadcnt_dscnt 0x500
	v_mul_f64_e32 v[85:86], v[75:76], v[93:94]
	v_mul_f64_e32 v[93:94], v[77:78], v[93:94]
	v_add_f64_e32 v[2:3], v[2:3], v[79:80]
	v_add_f64_e32 v[6:7], v[6:7], v[103:104]
	v_fma_f64 v[99:100], v[73:74], v[87:88], v[81:82]
	v_fma_f64 v[87:88], v[71:72], v[87:88], -v[89:90]
	ds_load_b128 v[71:74], v1 offset:800
	ds_load_b128 v[79:82], v1 offset:816
	v_fma_f64 v[77:78], v[77:78], v[91:92], v[85:86]
	v_fma_f64 v[75:76], v[75:76], v[91:92], -v[93:94]
	v_add_f64_e32 v[2:3], v[2:3], v[83:84]
	v_add_f64_e32 v[6:7], v[6:7], v[101:102]
	s_wait_loadcnt_dscnt 0x401
	v_mul_f64_e32 v[83:84], v[71:72], v[97:98]
	v_mul_f64_e32 v[89:90], v[73:74], v[97:98]
	s_delay_alu instid0(VALU_DEP_4) | instskip(NEXT) | instid1(VALU_DEP_4)
	v_add_f64_e32 v[2:3], v[2:3], v[87:88]
	v_add_f64_e32 v[6:7], v[6:7], v[99:100]
	s_delay_alu instid0(VALU_DEP_4) | instskip(NEXT) | instid1(VALU_DEP_4)
	v_fma_f64 v[83:84], v[73:74], v[95:96], v[83:84]
	v_fma_f64 v[87:88], v[71:72], v[95:96], -v[89:90]
	s_wait_loadcnt_dscnt 0x200
	v_mul_f64_e32 v[85:86], v[79:80], v[10:11]
	v_mul_f64_e32 v[10:11], v[81:82], v[10:11]
	v_add_f64_e32 v[75:76], v[2:3], v[75:76]
	v_add_f64_e32 v[6:7], v[6:7], v[77:78]
	ds_load_b128 v[71:74], v1 offset:832
	ds_load_b128 v[1:4], v1 offset:848
	v_fma_f64 v[81:82], v[81:82], v[8:9], v[85:86]
	v_fma_f64 v[8:9], v[79:80], v[8:9], -v[10:11]
	s_wait_loadcnt_dscnt 0x101
	v_mul_f64_e32 v[77:78], v[71:72], v[113:114]
	v_mul_f64_e32 v[89:90], v[73:74], v[113:114]
	v_add_f64_e32 v[10:11], v[75:76], v[87:88]
	v_add_f64_e32 v[6:7], v[6:7], v[83:84]
	s_wait_loadcnt_dscnt 0x0
	v_mul_f64_e32 v[75:76], v[1:2], v[69:70]
	v_mul_f64_e32 v[69:70], v[3:4], v[69:70]
	v_fma_f64 v[73:74], v[73:74], v[111:112], v[77:78]
	v_fma_f64 v[71:72], v[71:72], v[111:112], -v[89:90]
	v_add_f64_e32 v[8:9], v[10:11], v[8:9]
	v_add_f64_e32 v[6:7], v[6:7], v[81:82]
	v_fma_f64 v[3:4], v[3:4], v[67:68], v[75:76]
	v_fma_f64 v[1:2], v[1:2], v[67:68], -v[69:70]
	s_delay_alu instid0(VALU_DEP_4) | instskip(NEXT) | instid1(VALU_DEP_4)
	v_add_f64_e32 v[8:9], v[8:9], v[71:72]
	v_add_f64_e32 v[6:7], v[6:7], v[73:74]
	s_delay_alu instid0(VALU_DEP_2) | instskip(NEXT) | instid1(VALU_DEP_2)
	v_add_f64_e32 v[1:2], v[8:9], v[1:2]
	v_add_f64_e32 v[3:4], v[6:7], v[3:4]
	s_delay_alu instid0(VALU_DEP_2) | instskip(NEXT) | instid1(VALU_DEP_2)
	v_add_f64_e64 v[1:2], v[107:108], -v[1:2]
	v_add_f64_e64 v[3:4], v[109:110], -v[3:4]
	scratch_store_b128 off, v[1:4], off offset:240
	v_cmpx_lt_u32_e32 13, v0
	s_cbranch_execz .LBB90_149
; %bb.148:
	scratch_load_b128 v[1:4], off, s26
	v_mov_b32_e32 v6, 0
	s_delay_alu instid0(VALU_DEP_1)
	v_dual_mov_b32 v7, v6 :: v_dual_mov_b32 v8, v6
	v_mov_b32_e32 v9, v6
	scratch_store_b128 off, v[6:9], off offset:224
	s_wait_loadcnt 0x0
	ds_store_b128 v5, v[1:4]
.LBB90_149:
	s_wait_alu 0xfffe
	s_or_b32 exec_lo, exec_lo, s0
	s_wait_storecnt_dscnt 0x0
	s_barrier_signal -1
	s_barrier_wait -1
	global_inv scope:SCOPE_SE
	s_clause 0x7
	scratch_load_b128 v[6:9], off, off offset:240
	scratch_load_b128 v[67:70], off, off offset:256
	;; [unrolled: 1-line block ×8, first 2 shown]
	v_mov_b32_e32 v1, 0
	s_mov_b32 s0, exec_lo
	ds_load_b128 v[95:98], v1 offset:656
	s_clause 0x1
	scratch_load_b128 v[99:102], off, off offset:368
	scratch_load_b128 v[103:106], off, off offset:224
	ds_load_b128 v[107:110], v1 offset:672
	ds_load_b128 v[115:118], v1 offset:704
	s_wait_loadcnt_dscnt 0x902
	v_mul_f64_e32 v[2:3], v[97:98], v[8:9]
	v_mul_f64_e32 v[111:112], v[95:96], v[8:9]
	scratch_load_b128 v[8:11], off, off offset:384
	v_fma_f64 v[2:3], v[95:96], v[6:7], -v[2:3]
	v_fma_f64 v[6:7], v[97:98], v[6:7], v[111:112]
	ds_load_b128 v[95:98], v1 offset:688
	s_wait_loadcnt_dscnt 0x902
	v_mul_f64_e32 v[119:120], v[107:108], v[69:70]
	v_mul_f64_e32 v[69:70], v[109:110], v[69:70]
	scratch_load_b128 v[111:114], off, off offset:400
	s_wait_loadcnt_dscnt 0x900
	v_mul_f64_e32 v[121:122], v[95:96], v[73:74]
	v_mul_f64_e32 v[73:74], v[97:98], v[73:74]
	v_add_f64_e32 v[2:3], 0, v[2:3]
	v_add_f64_e32 v[6:7], 0, v[6:7]
	v_fma_f64 v[109:110], v[109:110], v[67:68], v[119:120]
	v_fma_f64 v[107:108], v[107:108], v[67:68], -v[69:70]
	scratch_load_b128 v[67:70], off, off offset:416
	v_fma_f64 v[121:122], v[97:98], v[71:72], v[121:122]
	v_fma_f64 v[123:124], v[95:96], v[71:72], -v[73:74]
	ds_load_b128 v[71:74], v1 offset:720
	s_wait_loadcnt 0x9
	v_mul_f64_e32 v[119:120], v[115:116], v[77:78]
	v_mul_f64_e32 v[77:78], v[117:118], v[77:78]
	scratch_load_b128 v[95:98], off, off offset:432
	v_add_f64_e32 v[6:7], v[6:7], v[109:110]
	v_add_f64_e32 v[2:3], v[2:3], v[107:108]
	ds_load_b128 v[107:110], v1 offset:736
	s_wait_loadcnt_dscnt 0x901
	v_mul_f64_e32 v[125:126], v[71:72], v[81:82]
	v_mul_f64_e32 v[81:82], v[73:74], v[81:82]
	v_fma_f64 v[117:118], v[117:118], v[75:76], v[119:120]
	v_fma_f64 v[75:76], v[115:116], v[75:76], -v[77:78]
	s_wait_loadcnt_dscnt 0x800
	v_mul_f64_e32 v[115:116], v[107:108], v[85:86]
	v_mul_f64_e32 v[85:86], v[109:110], v[85:86]
	v_add_f64_e32 v[6:7], v[6:7], v[121:122]
	v_add_f64_e32 v[2:3], v[2:3], v[123:124]
	v_fma_f64 v[119:120], v[73:74], v[79:80], v[125:126]
	v_fma_f64 v[79:80], v[71:72], v[79:80], -v[81:82]
	v_fma_f64 v[109:110], v[109:110], v[83:84], v[115:116]
	v_fma_f64 v[83:84], v[107:108], v[83:84], -v[85:86]
	v_add_f64_e32 v[6:7], v[6:7], v[117:118]
	v_add_f64_e32 v[2:3], v[2:3], v[75:76]
	ds_load_b128 v[71:74], v1 offset:752
	ds_load_b128 v[75:78], v1 offset:768
	s_wait_loadcnt_dscnt 0x701
	v_mul_f64_e32 v[81:82], v[71:72], v[89:90]
	v_mul_f64_e32 v[89:90], v[73:74], v[89:90]
	s_wait_loadcnt_dscnt 0x600
	v_mul_f64_e32 v[85:86], v[75:76], v[93:94]
	v_mul_f64_e32 v[93:94], v[77:78], v[93:94]
	v_add_f64_e32 v[6:7], v[6:7], v[119:120]
	v_add_f64_e32 v[2:3], v[2:3], v[79:80]
	v_fma_f64 v[107:108], v[73:74], v[87:88], v[81:82]
	v_fma_f64 v[87:88], v[71:72], v[87:88], -v[89:90]
	ds_load_b128 v[71:74], v1 offset:784
	ds_load_b128 v[79:82], v1 offset:800
	v_fma_f64 v[77:78], v[77:78], v[91:92], v[85:86]
	v_fma_f64 v[75:76], v[75:76], v[91:92], -v[93:94]
	v_add_f64_e32 v[6:7], v[6:7], v[109:110]
	v_add_f64_e32 v[2:3], v[2:3], v[83:84]
	s_wait_loadcnt_dscnt 0x501
	v_mul_f64_e32 v[83:84], v[71:72], v[101:102]
	v_mul_f64_e32 v[89:90], v[73:74], v[101:102]
	s_delay_alu instid0(VALU_DEP_4) | instskip(NEXT) | instid1(VALU_DEP_4)
	v_add_f64_e32 v[6:7], v[6:7], v[107:108]
	v_add_f64_e32 v[2:3], v[2:3], v[87:88]
	s_delay_alu instid0(VALU_DEP_4) | instskip(NEXT) | instid1(VALU_DEP_4)
	v_fma_f64 v[83:84], v[73:74], v[99:100], v[83:84]
	v_fma_f64 v[87:88], v[71:72], v[99:100], -v[89:90]
	s_wait_loadcnt_dscnt 0x300
	v_mul_f64_e32 v[85:86], v[79:80], v[10:11]
	v_mul_f64_e32 v[10:11], v[81:82], v[10:11]
	v_add_f64_e32 v[6:7], v[6:7], v[77:78]
	v_add_f64_e32 v[2:3], v[2:3], v[75:76]
	ds_load_b128 v[71:74], v1 offset:816
	ds_load_b128 v[75:78], v1 offset:832
	v_fma_f64 v[81:82], v[81:82], v[8:9], v[85:86]
	v_fma_f64 v[8:9], v[79:80], v[8:9], -v[10:11]
	s_wait_loadcnt_dscnt 0x201
	v_mul_f64_e32 v[89:90], v[71:72], v[113:114]
	v_mul_f64_e32 v[91:92], v[73:74], v[113:114]
	v_add_f64_e32 v[6:7], v[6:7], v[83:84]
	v_add_f64_e32 v[2:3], v[2:3], v[87:88]
	s_wait_loadcnt_dscnt 0x100
	v_mul_f64_e32 v[10:11], v[75:76], v[69:70]
	v_mul_f64_e32 v[69:70], v[77:78], v[69:70]
	v_fma_f64 v[73:74], v[73:74], v[111:112], v[89:90]
	v_fma_f64 v[71:72], v[71:72], v[111:112], -v[91:92]
	v_add_f64_e32 v[79:80], v[6:7], v[81:82]
	v_add_f64_e32 v[2:3], v[2:3], v[8:9]
	ds_load_b128 v[6:9], v1 offset:848
	v_fma_f64 v[10:11], v[77:78], v[67:68], v[10:11]
	v_fma_f64 v[67:68], v[75:76], v[67:68], -v[69:70]
	s_wait_loadcnt_dscnt 0x0
	v_mul_f64_e32 v[81:82], v[6:7], v[97:98]
	v_mul_f64_e32 v[83:84], v[8:9], v[97:98]
	v_add_f64_e32 v[69:70], v[79:80], v[73:74]
	v_add_f64_e32 v[2:3], v[2:3], v[71:72]
	s_delay_alu instid0(VALU_DEP_4) | instskip(NEXT) | instid1(VALU_DEP_4)
	v_fma_f64 v[8:9], v[8:9], v[95:96], v[81:82]
	v_fma_f64 v[6:7], v[6:7], v[95:96], -v[83:84]
	s_delay_alu instid0(VALU_DEP_4) | instskip(NEXT) | instid1(VALU_DEP_4)
	v_add_f64_e32 v[10:11], v[69:70], v[10:11]
	v_add_f64_e32 v[2:3], v[2:3], v[67:68]
	s_delay_alu instid0(VALU_DEP_2) | instskip(NEXT) | instid1(VALU_DEP_2)
	v_add_f64_e32 v[8:9], v[10:11], v[8:9]
	v_add_f64_e32 v[2:3], v[2:3], v[6:7]
	s_delay_alu instid0(VALU_DEP_2) | instskip(NEXT) | instid1(VALU_DEP_2)
	v_add_f64_e64 v[8:9], v[105:106], -v[8:9]
	v_add_f64_e64 v[6:7], v[103:104], -v[2:3]
	scratch_store_b128 off, v[6:9], off offset:224
	v_cmpx_lt_u32_e32 12, v0
	s_cbranch_execz .LBB90_151
; %bb.150:
	scratch_load_b128 v[6:9], off, s13
	v_dual_mov_b32 v2, v1 :: v_dual_mov_b32 v3, v1
	v_mov_b32_e32 v4, v1
	scratch_store_b128 off, v[1:4], off offset:208
	s_wait_loadcnt 0x0
	ds_store_b128 v5, v[6:9]
.LBB90_151:
	s_wait_alu 0xfffe
	s_or_b32 exec_lo, exec_lo, s0
	s_wait_storecnt_dscnt 0x0
	s_barrier_signal -1
	s_barrier_wait -1
	global_inv scope:SCOPE_SE
	s_clause 0x8
	scratch_load_b128 v[6:9], off, off offset:224
	scratch_load_b128 v[67:70], off, off offset:240
	scratch_load_b128 v[71:74], off, off offset:256
	scratch_load_b128 v[75:78], off, off offset:272
	scratch_load_b128 v[79:82], off, off offset:288
	scratch_load_b128 v[83:86], off, off offset:304
	scratch_load_b128 v[87:90], off, off offset:320
	scratch_load_b128 v[91:94], off, off offset:336
	scratch_load_b128 v[95:98], off, off offset:352
	ds_load_b128 v[99:102], v1 offset:640
	ds_load_b128 v[103:106], v1 offset:656
	scratch_load_b128 v[107:110], off, off offset:208
	s_mov_b32 s0, exec_lo
	ds_load_b128 v[115:118], v1 offset:688
	s_wait_loadcnt_dscnt 0x902
	v_mul_f64_e32 v[2:3], v[101:102], v[8:9]
	v_mul_f64_e32 v[111:112], v[99:100], v[8:9]
	scratch_load_b128 v[8:11], off, off offset:368
	s_wait_loadcnt_dscnt 0x901
	v_mul_f64_e32 v[119:120], v[103:104], v[69:70]
	v_mul_f64_e32 v[69:70], v[105:106], v[69:70]
	v_fma_f64 v[2:3], v[99:100], v[6:7], -v[2:3]
	v_fma_f64 v[6:7], v[101:102], v[6:7], v[111:112]
	ds_load_b128 v[99:102], v1 offset:672
	scratch_load_b128 v[111:114], off, off offset:384
	v_fma_f64 v[105:106], v[105:106], v[67:68], v[119:120]
	v_fma_f64 v[103:104], v[103:104], v[67:68], -v[69:70]
	scratch_load_b128 v[67:70], off, off offset:400
	s_wait_loadcnt_dscnt 0x901
	v_mul_f64_e32 v[119:120], v[115:116], v[77:78]
	v_mul_f64_e32 v[77:78], v[117:118], v[77:78]
	s_wait_dscnt 0x0
	v_mul_f64_e32 v[121:122], v[99:100], v[73:74]
	v_mul_f64_e32 v[73:74], v[101:102], v[73:74]
	v_add_f64_e32 v[2:3], 0, v[2:3]
	v_add_f64_e32 v[6:7], 0, v[6:7]
	v_fma_f64 v[117:118], v[117:118], v[75:76], v[119:120]
	v_fma_f64 v[115:116], v[115:116], v[75:76], -v[77:78]
	scratch_load_b128 v[75:78], off, off offset:432
	v_fma_f64 v[121:122], v[101:102], v[71:72], v[121:122]
	v_fma_f64 v[123:124], v[99:100], v[71:72], -v[73:74]
	ds_load_b128 v[71:74], v1 offset:704
	scratch_load_b128 v[99:102], off, off offset:416
	v_add_f64_e32 v[2:3], v[2:3], v[103:104]
	v_add_f64_e32 v[6:7], v[6:7], v[105:106]
	ds_load_b128 v[103:106], v1 offset:720
	s_wait_loadcnt_dscnt 0xa01
	v_mul_f64_e32 v[125:126], v[71:72], v[81:82]
	v_mul_f64_e32 v[81:82], v[73:74], v[81:82]
	s_wait_loadcnt_dscnt 0x900
	v_mul_f64_e32 v[119:120], v[103:104], v[85:86]
	v_mul_f64_e32 v[85:86], v[105:106], v[85:86]
	v_add_f64_e32 v[2:3], v[2:3], v[123:124]
	v_add_f64_e32 v[6:7], v[6:7], v[121:122]
	v_fma_f64 v[121:122], v[73:74], v[79:80], v[125:126]
	v_fma_f64 v[123:124], v[71:72], v[79:80], -v[81:82]
	ds_load_b128 v[71:74], v1 offset:736
	ds_load_b128 v[79:82], v1 offset:752
	v_fma_f64 v[105:106], v[105:106], v[83:84], v[119:120]
	v_fma_f64 v[83:84], v[103:104], v[83:84], -v[85:86]
	s_wait_loadcnt_dscnt 0x700
	v_mul_f64_e32 v[103:104], v[79:80], v[93:94]
	v_mul_f64_e32 v[93:94], v[81:82], v[93:94]
	v_add_f64_e32 v[2:3], v[2:3], v[115:116]
	v_add_f64_e32 v[6:7], v[6:7], v[117:118]
	v_mul_f64_e32 v[115:116], v[71:72], v[89:90]
	v_mul_f64_e32 v[89:90], v[73:74], v[89:90]
	v_fma_f64 v[81:82], v[81:82], v[91:92], v[103:104]
	v_fma_f64 v[79:80], v[79:80], v[91:92], -v[93:94]
	v_add_f64_e32 v[2:3], v[2:3], v[123:124]
	v_add_f64_e32 v[6:7], v[6:7], v[121:122]
	v_fma_f64 v[115:116], v[73:74], v[87:88], v[115:116]
	v_fma_f64 v[87:88], v[71:72], v[87:88], -v[89:90]
	s_delay_alu instid0(VALU_DEP_4) | instskip(NEXT) | instid1(VALU_DEP_4)
	v_add_f64_e32 v[2:3], v[2:3], v[83:84]
	v_add_f64_e32 v[6:7], v[6:7], v[105:106]
	ds_load_b128 v[71:74], v1 offset:768
	ds_load_b128 v[83:86], v1 offset:784
	s_wait_loadcnt_dscnt 0x601
	v_mul_f64_e32 v[89:90], v[71:72], v[97:98]
	v_mul_f64_e32 v[97:98], v[73:74], v[97:98]
	v_add_f64_e32 v[2:3], v[2:3], v[87:88]
	v_add_f64_e32 v[6:7], v[6:7], v[115:116]
	s_wait_loadcnt_dscnt 0x400
	v_mul_f64_e32 v[87:88], v[83:84], v[10:11]
	v_mul_f64_e32 v[10:11], v[85:86], v[10:11]
	v_fma_f64 v[89:90], v[73:74], v[95:96], v[89:90]
	v_fma_f64 v[91:92], v[71:72], v[95:96], -v[97:98]
	v_add_f64_e32 v[2:3], v[2:3], v[79:80]
	v_add_f64_e32 v[6:7], v[6:7], v[81:82]
	ds_load_b128 v[71:74], v1 offset:800
	ds_load_b128 v[79:82], v1 offset:816
	v_fma_f64 v[85:86], v[85:86], v[8:9], v[87:88]
	v_fma_f64 v[8:9], v[83:84], v[8:9], -v[10:11]
	s_wait_loadcnt_dscnt 0x301
	v_mul_f64_e32 v[93:94], v[71:72], v[113:114]
	v_mul_f64_e32 v[95:96], v[73:74], v[113:114]
	s_wait_loadcnt_dscnt 0x200
	v_mul_f64_e32 v[10:11], v[79:80], v[69:70]
	v_mul_f64_e32 v[69:70], v[81:82], v[69:70]
	v_add_f64_e32 v[2:3], v[2:3], v[91:92]
	v_add_f64_e32 v[6:7], v[6:7], v[89:90]
	v_fma_f64 v[73:74], v[73:74], v[111:112], v[93:94]
	v_fma_f64 v[71:72], v[71:72], v[111:112], -v[95:96]
	v_fma_f64 v[10:11], v[81:82], v[67:68], v[10:11]
	v_fma_f64 v[67:68], v[79:80], v[67:68], -v[69:70]
	v_add_f64_e32 v[83:84], v[2:3], v[8:9]
	v_add_f64_e32 v[85:86], v[6:7], v[85:86]
	ds_load_b128 v[6:9], v1 offset:832
	ds_load_b128 v[1:4], v1 offset:848
	s_wait_loadcnt_dscnt 0x1
	v_mul_f64_e32 v[87:88], v[6:7], v[101:102]
	v_mul_f64_e32 v[89:90], v[8:9], v[101:102]
	v_add_f64_e32 v[69:70], v[83:84], v[71:72]
	v_add_f64_e32 v[71:72], v[85:86], v[73:74]
	s_wait_dscnt 0x0
	v_mul_f64_e32 v[73:74], v[1:2], v[77:78]
	v_mul_f64_e32 v[77:78], v[3:4], v[77:78]
	v_fma_f64 v[8:9], v[8:9], v[99:100], v[87:88]
	v_fma_f64 v[6:7], v[6:7], v[99:100], -v[89:90]
	v_add_f64_e32 v[67:68], v[69:70], v[67:68]
	v_add_f64_e32 v[10:11], v[71:72], v[10:11]
	v_fma_f64 v[3:4], v[3:4], v[75:76], v[73:74]
	v_fma_f64 v[1:2], v[1:2], v[75:76], -v[77:78]
	s_delay_alu instid0(VALU_DEP_4) | instskip(NEXT) | instid1(VALU_DEP_4)
	v_add_f64_e32 v[6:7], v[67:68], v[6:7]
	v_add_f64_e32 v[8:9], v[10:11], v[8:9]
	s_delay_alu instid0(VALU_DEP_2) | instskip(NEXT) | instid1(VALU_DEP_2)
	v_add_f64_e32 v[1:2], v[6:7], v[1:2]
	v_add_f64_e32 v[3:4], v[8:9], v[3:4]
	s_delay_alu instid0(VALU_DEP_2) | instskip(NEXT) | instid1(VALU_DEP_2)
	v_add_f64_e64 v[1:2], v[107:108], -v[1:2]
	v_add_f64_e64 v[3:4], v[109:110], -v[3:4]
	scratch_store_b128 off, v[1:4], off offset:208
	v_cmpx_lt_u32_e32 11, v0
	s_cbranch_execz .LBB90_153
; %bb.152:
	scratch_load_b128 v[1:4], off, s25
	v_mov_b32_e32 v6, 0
	s_delay_alu instid0(VALU_DEP_1)
	v_dual_mov_b32 v7, v6 :: v_dual_mov_b32 v8, v6
	v_mov_b32_e32 v9, v6
	scratch_store_b128 off, v[6:9], off offset:192
	s_wait_loadcnt 0x0
	ds_store_b128 v5, v[1:4]
.LBB90_153:
	s_wait_alu 0xfffe
	s_or_b32 exec_lo, exec_lo, s0
	s_wait_storecnt_dscnt 0x0
	s_barrier_signal -1
	s_barrier_wait -1
	global_inv scope:SCOPE_SE
	s_clause 0x7
	scratch_load_b128 v[6:9], off, off offset:208
	scratch_load_b128 v[67:70], off, off offset:224
	;; [unrolled: 1-line block ×8, first 2 shown]
	v_mov_b32_e32 v1, 0
	s_mov_b32 s0, exec_lo
	ds_load_b128 v[95:98], v1 offset:624
	s_clause 0x1
	scratch_load_b128 v[99:102], off, off offset:336
	scratch_load_b128 v[103:106], off, off offset:192
	ds_load_b128 v[107:110], v1 offset:640
	ds_load_b128 v[115:118], v1 offset:672
	s_wait_loadcnt_dscnt 0x902
	v_mul_f64_e32 v[2:3], v[97:98], v[8:9]
	v_mul_f64_e32 v[111:112], v[95:96], v[8:9]
	scratch_load_b128 v[8:11], off, off offset:352
	v_fma_f64 v[2:3], v[95:96], v[6:7], -v[2:3]
	v_fma_f64 v[6:7], v[97:98], v[6:7], v[111:112]
	ds_load_b128 v[95:98], v1 offset:656
	s_wait_loadcnt_dscnt 0x902
	v_mul_f64_e32 v[119:120], v[107:108], v[69:70]
	v_mul_f64_e32 v[69:70], v[109:110], v[69:70]
	scratch_load_b128 v[111:114], off, off offset:368
	s_wait_loadcnt_dscnt 0x900
	v_mul_f64_e32 v[121:122], v[95:96], v[73:74]
	v_mul_f64_e32 v[73:74], v[97:98], v[73:74]
	v_add_f64_e32 v[2:3], 0, v[2:3]
	v_add_f64_e32 v[6:7], 0, v[6:7]
	v_fma_f64 v[109:110], v[109:110], v[67:68], v[119:120]
	v_fma_f64 v[107:108], v[107:108], v[67:68], -v[69:70]
	scratch_load_b128 v[67:70], off, off offset:384
	v_fma_f64 v[121:122], v[97:98], v[71:72], v[121:122]
	v_fma_f64 v[123:124], v[95:96], v[71:72], -v[73:74]
	ds_load_b128 v[71:74], v1 offset:688
	s_wait_loadcnt 0x9
	v_mul_f64_e32 v[119:120], v[115:116], v[77:78]
	v_mul_f64_e32 v[77:78], v[117:118], v[77:78]
	scratch_load_b128 v[95:98], off, off offset:400
	v_add_f64_e32 v[6:7], v[6:7], v[109:110]
	v_add_f64_e32 v[2:3], v[2:3], v[107:108]
	ds_load_b128 v[107:110], v1 offset:704
	s_wait_loadcnt_dscnt 0x901
	v_mul_f64_e32 v[125:126], v[71:72], v[81:82]
	v_mul_f64_e32 v[81:82], v[73:74], v[81:82]
	v_fma_f64 v[117:118], v[117:118], v[75:76], v[119:120]
	v_fma_f64 v[115:116], v[115:116], v[75:76], -v[77:78]
	scratch_load_b128 v[75:78], off, off offset:416
	v_add_f64_e32 v[6:7], v[6:7], v[121:122]
	v_add_f64_e32 v[2:3], v[2:3], v[123:124]
	v_fma_f64 v[121:122], v[73:74], v[79:80], v[125:126]
	v_fma_f64 v[123:124], v[71:72], v[79:80], -v[81:82]
	ds_load_b128 v[71:74], v1 offset:720
	s_wait_loadcnt_dscnt 0x901
	v_mul_f64_e32 v[119:120], v[107:108], v[85:86]
	v_mul_f64_e32 v[85:86], v[109:110], v[85:86]
	scratch_load_b128 v[79:82], off, off offset:432
	s_wait_loadcnt_dscnt 0x900
	v_mul_f64_e32 v[125:126], v[71:72], v[89:90]
	v_mul_f64_e32 v[89:90], v[73:74], v[89:90]
	v_add_f64_e32 v[6:7], v[6:7], v[117:118]
	v_add_f64_e32 v[2:3], v[2:3], v[115:116]
	ds_load_b128 v[115:118], v1 offset:736
	v_fma_f64 v[109:110], v[109:110], v[83:84], v[119:120]
	v_fma_f64 v[83:84], v[107:108], v[83:84], -v[85:86]
	s_wait_loadcnt_dscnt 0x800
	v_mul_f64_e32 v[107:108], v[115:116], v[93:94]
	v_mul_f64_e32 v[93:94], v[117:118], v[93:94]
	v_fma_f64 v[119:120], v[73:74], v[87:88], v[125:126]
	v_fma_f64 v[87:88], v[71:72], v[87:88], -v[89:90]
	v_add_f64_e32 v[6:7], v[6:7], v[121:122]
	v_add_f64_e32 v[2:3], v[2:3], v[123:124]
	v_fma_f64 v[107:108], v[117:118], v[91:92], v[107:108]
	v_fma_f64 v[91:92], v[115:116], v[91:92], -v[93:94]
	s_delay_alu instid0(VALU_DEP_4) | instskip(NEXT) | instid1(VALU_DEP_4)
	v_add_f64_e32 v[6:7], v[6:7], v[109:110]
	v_add_f64_e32 v[2:3], v[2:3], v[83:84]
	ds_load_b128 v[71:74], v1 offset:752
	ds_load_b128 v[83:86], v1 offset:768
	s_wait_loadcnt_dscnt 0x701
	v_mul_f64_e32 v[89:90], v[71:72], v[101:102]
	v_mul_f64_e32 v[101:102], v[73:74], v[101:102]
	v_add_f64_e32 v[6:7], v[6:7], v[119:120]
	v_add_f64_e32 v[2:3], v[2:3], v[87:88]
	s_wait_loadcnt_dscnt 0x500
	v_mul_f64_e32 v[93:94], v[83:84], v[10:11]
	v_mul_f64_e32 v[10:11], v[85:86], v[10:11]
	v_fma_f64 v[109:110], v[73:74], v[99:100], v[89:90]
	v_fma_f64 v[99:100], v[71:72], v[99:100], -v[101:102]
	ds_load_b128 v[71:74], v1 offset:784
	ds_load_b128 v[87:90], v1 offset:800
	v_add_f64_e32 v[6:7], v[6:7], v[107:108]
	v_add_f64_e32 v[2:3], v[2:3], v[91:92]
	v_fma_f64 v[85:86], v[85:86], v[8:9], v[93:94]
	v_fma_f64 v[8:9], v[83:84], v[8:9], -v[10:11]
	s_wait_loadcnt_dscnt 0x401
	v_mul_f64_e32 v[91:92], v[71:72], v[113:114]
	v_mul_f64_e32 v[101:102], v[73:74], v[113:114]
	v_add_f64_e32 v[6:7], v[6:7], v[109:110]
	v_add_f64_e32 v[2:3], v[2:3], v[99:100]
	s_wait_loadcnt_dscnt 0x300
	v_mul_f64_e32 v[10:11], v[87:88], v[69:70]
	v_mul_f64_e32 v[83:84], v[89:90], v[69:70]
	v_fma_f64 v[73:74], v[73:74], v[111:112], v[91:92]
	v_fma_f64 v[91:92], v[71:72], v[111:112], -v[101:102]
	v_add_f64_e32 v[85:86], v[6:7], v[85:86]
	v_add_f64_e32 v[2:3], v[2:3], v[8:9]
	ds_load_b128 v[6:9], v1 offset:816
	ds_load_b128 v[69:72], v1 offset:832
	v_fma_f64 v[10:11], v[89:90], v[67:68], v[10:11]
	v_fma_f64 v[67:68], v[87:88], v[67:68], -v[83:84]
	s_wait_loadcnt_dscnt 0x201
	v_mul_f64_e32 v[93:94], v[6:7], v[97:98]
	v_mul_f64_e32 v[97:98], v[8:9], v[97:98]
	v_add_f64_e32 v[73:74], v[85:86], v[73:74]
	v_add_f64_e32 v[2:3], v[2:3], v[91:92]
	s_wait_loadcnt_dscnt 0x100
	v_mul_f64_e32 v[83:84], v[69:70], v[77:78]
	v_mul_f64_e32 v[77:78], v[71:72], v[77:78]
	v_fma_f64 v[85:86], v[8:9], v[95:96], v[93:94]
	v_fma_f64 v[87:88], v[6:7], v[95:96], -v[97:98]
	ds_load_b128 v[6:9], v1 offset:848
	v_add_f64_e32 v[10:11], v[73:74], v[10:11]
	v_add_f64_e32 v[2:3], v[2:3], v[67:68]
	v_fma_f64 v[71:72], v[71:72], v[75:76], v[83:84]
	v_fma_f64 v[69:70], v[69:70], v[75:76], -v[77:78]
	s_wait_loadcnt_dscnt 0x0
	v_mul_f64_e32 v[67:68], v[6:7], v[81:82]
	v_mul_f64_e32 v[73:74], v[8:9], v[81:82]
	v_add_f64_e32 v[10:11], v[10:11], v[85:86]
	v_add_f64_e32 v[2:3], v[2:3], v[87:88]
	s_delay_alu instid0(VALU_DEP_4) | instskip(NEXT) | instid1(VALU_DEP_4)
	v_fma_f64 v[8:9], v[8:9], v[79:80], v[67:68]
	v_fma_f64 v[6:7], v[6:7], v[79:80], -v[73:74]
	s_delay_alu instid0(VALU_DEP_4) | instskip(NEXT) | instid1(VALU_DEP_4)
	v_add_f64_e32 v[10:11], v[10:11], v[71:72]
	v_add_f64_e32 v[2:3], v[2:3], v[69:70]
	s_delay_alu instid0(VALU_DEP_2) | instskip(NEXT) | instid1(VALU_DEP_2)
	v_add_f64_e32 v[8:9], v[10:11], v[8:9]
	v_add_f64_e32 v[2:3], v[2:3], v[6:7]
	s_delay_alu instid0(VALU_DEP_2) | instskip(NEXT) | instid1(VALU_DEP_2)
	v_add_f64_e64 v[8:9], v[105:106], -v[8:9]
	v_add_f64_e64 v[6:7], v[103:104], -v[2:3]
	scratch_store_b128 off, v[6:9], off offset:192
	v_cmpx_lt_u32_e32 10, v0
	s_cbranch_execz .LBB90_155
; %bb.154:
	scratch_load_b128 v[6:9], off, s11
	v_dual_mov_b32 v2, v1 :: v_dual_mov_b32 v3, v1
	v_mov_b32_e32 v4, v1
	scratch_store_b128 off, v[1:4], off offset:176
	s_wait_loadcnt 0x0
	ds_store_b128 v5, v[6:9]
.LBB90_155:
	s_wait_alu 0xfffe
	s_or_b32 exec_lo, exec_lo, s0
	s_wait_storecnt_dscnt 0x0
	s_barrier_signal -1
	s_barrier_wait -1
	global_inv scope:SCOPE_SE
	s_clause 0x8
	scratch_load_b128 v[6:9], off, off offset:192
	scratch_load_b128 v[67:70], off, off offset:208
	;; [unrolled: 1-line block ×9, first 2 shown]
	ds_load_b128 v[99:102], v1 offset:608
	ds_load_b128 v[103:106], v1 offset:624
	scratch_load_b128 v[107:110], off, off offset:176
	s_mov_b32 s0, exec_lo
	ds_load_b128 v[115:118], v1 offset:656
	s_wait_loadcnt_dscnt 0x902
	v_mul_f64_e32 v[2:3], v[101:102], v[8:9]
	v_mul_f64_e32 v[111:112], v[99:100], v[8:9]
	scratch_load_b128 v[8:11], off, off offset:336
	s_wait_loadcnt_dscnt 0x901
	v_mul_f64_e32 v[119:120], v[103:104], v[69:70]
	v_mul_f64_e32 v[69:70], v[105:106], v[69:70]
	v_fma_f64 v[2:3], v[99:100], v[6:7], -v[2:3]
	v_fma_f64 v[6:7], v[101:102], v[6:7], v[111:112]
	ds_load_b128 v[99:102], v1 offset:640
	scratch_load_b128 v[111:114], off, off offset:352
	v_fma_f64 v[105:106], v[105:106], v[67:68], v[119:120]
	v_fma_f64 v[103:104], v[103:104], v[67:68], -v[69:70]
	scratch_load_b128 v[67:70], off, off offset:368
	s_wait_loadcnt_dscnt 0x901
	v_mul_f64_e32 v[119:120], v[115:116], v[77:78]
	v_mul_f64_e32 v[77:78], v[117:118], v[77:78]
	s_wait_dscnt 0x0
	v_mul_f64_e32 v[121:122], v[99:100], v[73:74]
	v_mul_f64_e32 v[73:74], v[101:102], v[73:74]
	v_add_f64_e32 v[2:3], 0, v[2:3]
	v_add_f64_e32 v[6:7], 0, v[6:7]
	v_fma_f64 v[117:118], v[117:118], v[75:76], v[119:120]
	v_fma_f64 v[115:116], v[115:116], v[75:76], -v[77:78]
	scratch_load_b128 v[75:78], off, off offset:400
	v_fma_f64 v[121:122], v[101:102], v[71:72], v[121:122]
	v_fma_f64 v[123:124], v[99:100], v[71:72], -v[73:74]
	ds_load_b128 v[71:74], v1 offset:672
	scratch_load_b128 v[99:102], off, off offset:384
	v_add_f64_e32 v[2:3], v[2:3], v[103:104]
	v_add_f64_e32 v[6:7], v[6:7], v[105:106]
	ds_load_b128 v[103:106], v1 offset:688
	s_wait_loadcnt_dscnt 0xa01
	v_mul_f64_e32 v[125:126], v[71:72], v[81:82]
	v_mul_f64_e32 v[81:82], v[73:74], v[81:82]
	s_wait_loadcnt_dscnt 0x900
	v_mul_f64_e32 v[119:120], v[103:104], v[85:86]
	v_mul_f64_e32 v[85:86], v[105:106], v[85:86]
	v_add_f64_e32 v[2:3], v[2:3], v[123:124]
	v_add_f64_e32 v[6:7], v[6:7], v[121:122]
	v_fma_f64 v[121:122], v[73:74], v[79:80], v[125:126]
	v_fma_f64 v[123:124], v[71:72], v[79:80], -v[81:82]
	ds_load_b128 v[71:74], v1 offset:704
	scratch_load_b128 v[79:82], off, off offset:416
	v_fma_f64 v[105:106], v[105:106], v[83:84], v[119:120]
	v_fma_f64 v[103:104], v[103:104], v[83:84], -v[85:86]
	scratch_load_b128 v[83:86], off, off offset:432
	v_add_f64_e32 v[2:3], v[2:3], v[115:116]
	v_add_f64_e32 v[6:7], v[6:7], v[117:118]
	ds_load_b128 v[115:118], v1 offset:720
	s_wait_loadcnt_dscnt 0xa01
	v_mul_f64_e32 v[125:126], v[71:72], v[89:90]
	v_mul_f64_e32 v[89:90], v[73:74], v[89:90]
	s_wait_loadcnt_dscnt 0x900
	v_mul_f64_e32 v[119:120], v[115:116], v[93:94]
	v_mul_f64_e32 v[93:94], v[117:118], v[93:94]
	v_add_f64_e32 v[2:3], v[2:3], v[123:124]
	v_add_f64_e32 v[6:7], v[6:7], v[121:122]
	v_fma_f64 v[121:122], v[73:74], v[87:88], v[125:126]
	v_fma_f64 v[123:124], v[71:72], v[87:88], -v[89:90]
	ds_load_b128 v[71:74], v1 offset:736
	ds_load_b128 v[87:90], v1 offset:752
	v_add_f64_e32 v[2:3], v[2:3], v[103:104]
	v_add_f64_e32 v[6:7], v[6:7], v[105:106]
	s_wait_loadcnt_dscnt 0x801
	v_mul_f64_e32 v[103:104], v[71:72], v[97:98]
	v_mul_f64_e32 v[97:98], v[73:74], v[97:98]
	v_fma_f64 v[105:106], v[117:118], v[91:92], v[119:120]
	v_fma_f64 v[91:92], v[115:116], v[91:92], -v[93:94]
	v_add_f64_e32 v[2:3], v[2:3], v[123:124]
	v_add_f64_e32 v[6:7], v[6:7], v[121:122]
	v_fma_f64 v[103:104], v[73:74], v[95:96], v[103:104]
	v_fma_f64 v[95:96], v[71:72], v[95:96], -v[97:98]
	s_wait_loadcnt_dscnt 0x600
	v_mul_f64_e32 v[115:116], v[87:88], v[10:11]
	v_mul_f64_e32 v[10:11], v[89:90], v[10:11]
	v_add_f64_e32 v[2:3], v[2:3], v[91:92]
	v_add_f64_e32 v[6:7], v[6:7], v[105:106]
	ds_load_b128 v[71:74], v1 offset:768
	ds_load_b128 v[91:94], v1 offset:784
	v_fma_f64 v[89:90], v[89:90], v[8:9], v[115:116]
	v_fma_f64 v[8:9], v[87:88], v[8:9], -v[10:11]
	s_wait_loadcnt_dscnt 0x501
	v_mul_f64_e32 v[97:98], v[71:72], v[113:114]
	v_mul_f64_e32 v[105:106], v[73:74], v[113:114]
	s_wait_loadcnt_dscnt 0x400
	v_mul_f64_e32 v[10:11], v[91:92], v[69:70]
	v_mul_f64_e32 v[87:88], v[93:94], v[69:70]
	v_add_f64_e32 v[2:3], v[2:3], v[95:96]
	v_add_f64_e32 v[6:7], v[6:7], v[103:104]
	v_fma_f64 v[73:74], v[73:74], v[111:112], v[97:98]
	v_fma_f64 v[95:96], v[71:72], v[111:112], -v[105:106]
	v_fma_f64 v[10:11], v[93:94], v[67:68], v[10:11]
	v_fma_f64 v[67:68], v[91:92], v[67:68], -v[87:88]
	v_add_f64_e32 v[2:3], v[2:3], v[8:9]
	v_add_f64_e32 v[89:90], v[6:7], v[89:90]
	ds_load_b128 v[6:9], v1 offset:800
	ds_load_b128 v[69:72], v1 offset:816
	s_wait_loadcnt_dscnt 0x201
	v_mul_f64_e32 v[97:98], v[6:7], v[101:102]
	v_mul_f64_e32 v[101:102], v[8:9], v[101:102]
	s_wait_dscnt 0x0
	v_mul_f64_e32 v[87:88], v[69:70], v[77:78]
	v_mul_f64_e32 v[77:78], v[71:72], v[77:78]
	v_add_f64_e32 v[2:3], v[2:3], v[95:96]
	v_add_f64_e32 v[73:74], v[89:90], v[73:74]
	v_fma_f64 v[89:90], v[8:9], v[99:100], v[97:98]
	v_fma_f64 v[91:92], v[6:7], v[99:100], -v[101:102]
	v_fma_f64 v[71:72], v[71:72], v[75:76], v[87:88]
	v_fma_f64 v[69:70], v[69:70], v[75:76], -v[77:78]
	v_add_f64_e32 v[67:68], v[2:3], v[67:68]
	v_add_f64_e32 v[10:11], v[73:74], v[10:11]
	ds_load_b128 v[6:9], v1 offset:832
	ds_load_b128 v[1:4], v1 offset:848
	s_wait_loadcnt_dscnt 0x101
	v_mul_f64_e32 v[73:74], v[6:7], v[81:82]
	v_mul_f64_e32 v[81:82], v[8:9], v[81:82]
	s_wait_loadcnt_dscnt 0x0
	v_mul_f64_e32 v[75:76], v[1:2], v[85:86]
	v_mul_f64_e32 v[77:78], v[3:4], v[85:86]
	v_add_f64_e32 v[67:68], v[67:68], v[91:92]
	v_add_f64_e32 v[10:11], v[10:11], v[89:90]
	v_fma_f64 v[8:9], v[8:9], v[79:80], v[73:74]
	v_fma_f64 v[6:7], v[6:7], v[79:80], -v[81:82]
	v_fma_f64 v[3:4], v[3:4], v[83:84], v[75:76]
	v_fma_f64 v[1:2], v[1:2], v[83:84], -v[77:78]
	v_add_f64_e32 v[67:68], v[67:68], v[69:70]
	v_add_f64_e32 v[10:11], v[10:11], v[71:72]
	s_delay_alu instid0(VALU_DEP_2) | instskip(NEXT) | instid1(VALU_DEP_2)
	v_add_f64_e32 v[6:7], v[67:68], v[6:7]
	v_add_f64_e32 v[8:9], v[10:11], v[8:9]
	s_delay_alu instid0(VALU_DEP_2) | instskip(NEXT) | instid1(VALU_DEP_2)
	;; [unrolled: 3-line block ×3, first 2 shown]
	v_add_f64_e64 v[1:2], v[107:108], -v[1:2]
	v_add_f64_e64 v[3:4], v[109:110], -v[3:4]
	scratch_store_b128 off, v[1:4], off offset:176
	v_cmpx_lt_u32_e32 9, v0
	s_cbranch_execz .LBB90_157
; %bb.156:
	scratch_load_b128 v[1:4], off, s24
	v_mov_b32_e32 v6, 0
	s_delay_alu instid0(VALU_DEP_1)
	v_dual_mov_b32 v7, v6 :: v_dual_mov_b32 v8, v6
	v_mov_b32_e32 v9, v6
	scratch_store_b128 off, v[6:9], off offset:160
	s_wait_loadcnt 0x0
	ds_store_b128 v5, v[1:4]
.LBB90_157:
	s_wait_alu 0xfffe
	s_or_b32 exec_lo, exec_lo, s0
	s_wait_storecnt_dscnt 0x0
	s_barrier_signal -1
	s_barrier_wait -1
	global_inv scope:SCOPE_SE
	s_clause 0x7
	scratch_load_b128 v[6:9], off, off offset:176
	scratch_load_b128 v[67:70], off, off offset:192
	scratch_load_b128 v[71:74], off, off offset:208
	scratch_load_b128 v[75:78], off, off offset:224
	scratch_load_b128 v[79:82], off, off offset:240
	scratch_load_b128 v[83:86], off, off offset:256
	scratch_load_b128 v[87:90], off, off offset:272
	scratch_load_b128 v[91:94], off, off offset:288
	v_mov_b32_e32 v1, 0
	s_mov_b32 s0, exec_lo
	ds_load_b128 v[95:98], v1 offset:592
	s_clause 0x1
	scratch_load_b128 v[99:102], off, off offset:304
	scratch_load_b128 v[103:106], off, off offset:160
	ds_load_b128 v[107:110], v1 offset:608
	ds_load_b128 v[115:118], v1 offset:640
	s_wait_loadcnt_dscnt 0x902
	v_mul_f64_e32 v[2:3], v[97:98], v[8:9]
	v_mul_f64_e32 v[111:112], v[95:96], v[8:9]
	scratch_load_b128 v[8:11], off, off offset:320
	v_fma_f64 v[2:3], v[95:96], v[6:7], -v[2:3]
	v_fma_f64 v[6:7], v[97:98], v[6:7], v[111:112]
	ds_load_b128 v[95:98], v1 offset:624
	s_wait_loadcnt_dscnt 0x902
	v_mul_f64_e32 v[119:120], v[107:108], v[69:70]
	v_mul_f64_e32 v[69:70], v[109:110], v[69:70]
	scratch_load_b128 v[111:114], off, off offset:336
	s_wait_loadcnt_dscnt 0x900
	v_mul_f64_e32 v[121:122], v[95:96], v[73:74]
	v_mul_f64_e32 v[73:74], v[97:98], v[73:74]
	v_add_f64_e32 v[2:3], 0, v[2:3]
	v_add_f64_e32 v[6:7], 0, v[6:7]
	v_fma_f64 v[109:110], v[109:110], v[67:68], v[119:120]
	v_fma_f64 v[107:108], v[107:108], v[67:68], -v[69:70]
	scratch_load_b128 v[67:70], off, off offset:352
	v_fma_f64 v[121:122], v[97:98], v[71:72], v[121:122]
	v_fma_f64 v[123:124], v[95:96], v[71:72], -v[73:74]
	ds_load_b128 v[71:74], v1 offset:656
	s_wait_loadcnt 0x9
	v_mul_f64_e32 v[119:120], v[115:116], v[77:78]
	v_mul_f64_e32 v[77:78], v[117:118], v[77:78]
	scratch_load_b128 v[95:98], off, off offset:368
	v_add_f64_e32 v[6:7], v[6:7], v[109:110]
	v_add_f64_e32 v[2:3], v[2:3], v[107:108]
	ds_load_b128 v[107:110], v1 offset:672
	s_wait_loadcnt_dscnt 0x901
	v_mul_f64_e32 v[125:126], v[71:72], v[81:82]
	v_mul_f64_e32 v[81:82], v[73:74], v[81:82]
	v_fma_f64 v[117:118], v[117:118], v[75:76], v[119:120]
	v_fma_f64 v[115:116], v[115:116], v[75:76], -v[77:78]
	scratch_load_b128 v[75:78], off, off offset:384
	v_add_f64_e32 v[6:7], v[6:7], v[121:122]
	v_add_f64_e32 v[2:3], v[2:3], v[123:124]
	v_fma_f64 v[121:122], v[73:74], v[79:80], v[125:126]
	v_fma_f64 v[123:124], v[71:72], v[79:80], -v[81:82]
	ds_load_b128 v[71:74], v1 offset:688
	s_wait_loadcnt_dscnt 0x901
	v_mul_f64_e32 v[119:120], v[107:108], v[85:86]
	v_mul_f64_e32 v[85:86], v[109:110], v[85:86]
	scratch_load_b128 v[79:82], off, off offset:400
	s_wait_loadcnt_dscnt 0x900
	v_mul_f64_e32 v[125:126], v[71:72], v[89:90]
	v_mul_f64_e32 v[89:90], v[73:74], v[89:90]
	v_add_f64_e32 v[6:7], v[6:7], v[117:118]
	v_add_f64_e32 v[2:3], v[2:3], v[115:116]
	ds_load_b128 v[115:118], v1 offset:704
	v_fma_f64 v[109:110], v[109:110], v[83:84], v[119:120]
	v_fma_f64 v[107:108], v[107:108], v[83:84], -v[85:86]
	scratch_load_b128 v[83:86], off, off offset:416
	v_add_f64_e32 v[6:7], v[6:7], v[121:122]
	v_add_f64_e32 v[2:3], v[2:3], v[123:124]
	v_fma_f64 v[121:122], v[73:74], v[87:88], v[125:126]
	v_fma_f64 v[123:124], v[71:72], v[87:88], -v[89:90]
	ds_load_b128 v[71:74], v1 offset:720
	s_wait_loadcnt_dscnt 0x901
	v_mul_f64_e32 v[119:120], v[115:116], v[93:94]
	v_mul_f64_e32 v[93:94], v[117:118], v[93:94]
	scratch_load_b128 v[87:90], off, off offset:432
	s_wait_loadcnt_dscnt 0x900
	v_mul_f64_e32 v[125:126], v[71:72], v[101:102]
	v_mul_f64_e32 v[101:102], v[73:74], v[101:102]
	v_add_f64_e32 v[6:7], v[6:7], v[109:110]
	v_add_f64_e32 v[2:3], v[2:3], v[107:108]
	ds_load_b128 v[107:110], v1 offset:736
	v_fma_f64 v[117:118], v[117:118], v[91:92], v[119:120]
	v_fma_f64 v[91:92], v[115:116], v[91:92], -v[93:94]
	v_fma_f64 v[119:120], v[73:74], v[99:100], v[125:126]
	v_fma_f64 v[99:100], v[71:72], v[99:100], -v[101:102]
	v_add_f64_e32 v[6:7], v[6:7], v[121:122]
	v_add_f64_e32 v[2:3], v[2:3], v[123:124]
	s_wait_loadcnt_dscnt 0x700
	v_mul_f64_e32 v[115:116], v[107:108], v[10:11]
	v_mul_f64_e32 v[10:11], v[109:110], v[10:11]
	s_delay_alu instid0(VALU_DEP_4) | instskip(NEXT) | instid1(VALU_DEP_4)
	v_add_f64_e32 v[6:7], v[6:7], v[117:118]
	v_add_f64_e32 v[2:3], v[2:3], v[91:92]
	ds_load_b128 v[71:74], v1 offset:752
	ds_load_b128 v[91:94], v1 offset:768
	v_fma_f64 v[109:110], v[109:110], v[8:9], v[115:116]
	v_fma_f64 v[8:9], v[107:108], v[8:9], -v[10:11]
	s_wait_loadcnt_dscnt 0x601
	v_mul_f64_e32 v[101:102], v[71:72], v[113:114]
	v_mul_f64_e32 v[113:114], v[73:74], v[113:114]
	v_add_f64_e32 v[6:7], v[6:7], v[119:120]
	v_add_f64_e32 v[2:3], v[2:3], v[99:100]
	s_wait_loadcnt_dscnt 0x500
	v_mul_f64_e32 v[10:11], v[91:92], v[69:70]
	v_mul_f64_e32 v[99:100], v[93:94], v[69:70]
	v_fma_f64 v[73:74], v[73:74], v[111:112], v[101:102]
	v_fma_f64 v[101:102], v[71:72], v[111:112], -v[113:114]
	v_add_f64_e32 v[107:108], v[6:7], v[109:110]
	v_add_f64_e32 v[2:3], v[2:3], v[8:9]
	ds_load_b128 v[6:9], v1 offset:784
	ds_load_b128 v[69:72], v1 offset:800
	v_fma_f64 v[10:11], v[93:94], v[67:68], v[10:11]
	v_fma_f64 v[67:68], v[91:92], v[67:68], -v[99:100]
	s_wait_loadcnt_dscnt 0x401
	v_mul_f64_e32 v[109:110], v[6:7], v[97:98]
	v_mul_f64_e32 v[97:98], v[8:9], v[97:98]
	v_add_f64_e32 v[73:74], v[107:108], v[73:74]
	v_add_f64_e32 v[2:3], v[2:3], v[101:102]
	s_wait_loadcnt_dscnt 0x300
	v_mul_f64_e32 v[99:100], v[69:70], v[77:78]
	v_mul_f64_e32 v[77:78], v[71:72], v[77:78]
	v_fma_f64 v[101:102], v[8:9], v[95:96], v[109:110]
	v_fma_f64 v[95:96], v[6:7], v[95:96], -v[97:98]
	ds_load_b128 v[6:9], v1 offset:816
	ds_load_b128 v[91:94], v1 offset:832
	v_add_f64_e32 v[10:11], v[73:74], v[10:11]
	v_add_f64_e32 v[2:3], v[2:3], v[67:68]
	v_fma_f64 v[71:72], v[71:72], v[75:76], v[99:100]
	v_fma_f64 v[69:70], v[69:70], v[75:76], -v[77:78]
	s_wait_loadcnt_dscnt 0x201
	v_mul_f64_e32 v[67:68], v[6:7], v[81:82]
	v_mul_f64_e32 v[73:74], v[8:9], v[81:82]
	s_wait_loadcnt_dscnt 0x100
	v_mul_f64_e32 v[75:76], v[91:92], v[85:86]
	v_mul_f64_e32 v[77:78], v[93:94], v[85:86]
	v_add_f64_e32 v[10:11], v[10:11], v[101:102]
	v_add_f64_e32 v[2:3], v[2:3], v[95:96]
	v_fma_f64 v[67:68], v[8:9], v[79:80], v[67:68]
	v_fma_f64 v[73:74], v[6:7], v[79:80], -v[73:74]
	ds_load_b128 v[6:9], v1 offset:848
	v_fma_f64 v[75:76], v[93:94], v[83:84], v[75:76]
	v_fma_f64 v[77:78], v[91:92], v[83:84], -v[77:78]
	v_add_f64_e32 v[10:11], v[10:11], v[71:72]
	v_add_f64_e32 v[2:3], v[2:3], v[69:70]
	s_wait_loadcnt_dscnt 0x0
	v_mul_f64_e32 v[69:70], v[6:7], v[89:90]
	v_mul_f64_e32 v[71:72], v[8:9], v[89:90]
	s_delay_alu instid0(VALU_DEP_4) | instskip(NEXT) | instid1(VALU_DEP_4)
	v_add_f64_e32 v[10:11], v[10:11], v[67:68]
	v_add_f64_e32 v[2:3], v[2:3], v[73:74]
	s_delay_alu instid0(VALU_DEP_4) | instskip(NEXT) | instid1(VALU_DEP_4)
	v_fma_f64 v[8:9], v[8:9], v[87:88], v[69:70]
	v_fma_f64 v[6:7], v[6:7], v[87:88], -v[71:72]
	s_delay_alu instid0(VALU_DEP_4) | instskip(NEXT) | instid1(VALU_DEP_4)
	v_add_f64_e32 v[10:11], v[10:11], v[75:76]
	v_add_f64_e32 v[2:3], v[2:3], v[77:78]
	s_delay_alu instid0(VALU_DEP_2) | instskip(NEXT) | instid1(VALU_DEP_2)
	v_add_f64_e32 v[8:9], v[10:11], v[8:9]
	v_add_f64_e32 v[2:3], v[2:3], v[6:7]
	s_delay_alu instid0(VALU_DEP_2) | instskip(NEXT) | instid1(VALU_DEP_2)
	v_add_f64_e64 v[8:9], v[105:106], -v[8:9]
	v_add_f64_e64 v[6:7], v[103:104], -v[2:3]
	scratch_store_b128 off, v[6:9], off offset:160
	v_cmpx_lt_u32_e32 8, v0
	s_cbranch_execz .LBB90_159
; %bb.158:
	scratch_load_b128 v[6:9], off, s10
	v_dual_mov_b32 v2, v1 :: v_dual_mov_b32 v3, v1
	v_mov_b32_e32 v4, v1
	scratch_store_b128 off, v[1:4], off offset:144
	s_wait_loadcnt 0x0
	ds_store_b128 v5, v[6:9]
.LBB90_159:
	s_wait_alu 0xfffe
	s_or_b32 exec_lo, exec_lo, s0
	s_wait_storecnt_dscnt 0x0
	s_barrier_signal -1
	s_barrier_wait -1
	global_inv scope:SCOPE_SE
	s_clause 0x8
	scratch_load_b128 v[6:9], off, off offset:160
	scratch_load_b128 v[67:70], off, off offset:176
	;; [unrolled: 1-line block ×9, first 2 shown]
	ds_load_b128 v[99:102], v1 offset:576
	ds_load_b128 v[103:106], v1 offset:592
	scratch_load_b128 v[107:110], off, off offset:144
	s_mov_b32 s0, exec_lo
	ds_load_b128 v[115:118], v1 offset:624
	s_wait_loadcnt_dscnt 0x902
	v_mul_f64_e32 v[2:3], v[101:102], v[8:9]
	v_mul_f64_e32 v[111:112], v[99:100], v[8:9]
	scratch_load_b128 v[8:11], off, off offset:304
	s_wait_loadcnt_dscnt 0x901
	v_mul_f64_e32 v[119:120], v[103:104], v[69:70]
	v_mul_f64_e32 v[69:70], v[105:106], v[69:70]
	v_fma_f64 v[2:3], v[99:100], v[6:7], -v[2:3]
	v_fma_f64 v[6:7], v[101:102], v[6:7], v[111:112]
	ds_load_b128 v[99:102], v1 offset:608
	scratch_load_b128 v[111:114], off, off offset:320
	v_fma_f64 v[105:106], v[105:106], v[67:68], v[119:120]
	v_fma_f64 v[103:104], v[103:104], v[67:68], -v[69:70]
	scratch_load_b128 v[67:70], off, off offset:336
	s_wait_loadcnt_dscnt 0x901
	v_mul_f64_e32 v[119:120], v[115:116], v[77:78]
	v_mul_f64_e32 v[77:78], v[117:118], v[77:78]
	s_wait_dscnt 0x0
	v_mul_f64_e32 v[121:122], v[99:100], v[73:74]
	v_mul_f64_e32 v[73:74], v[101:102], v[73:74]
	v_add_f64_e32 v[2:3], 0, v[2:3]
	v_add_f64_e32 v[6:7], 0, v[6:7]
	v_fma_f64 v[117:118], v[117:118], v[75:76], v[119:120]
	v_fma_f64 v[115:116], v[115:116], v[75:76], -v[77:78]
	scratch_load_b128 v[75:78], off, off offset:368
	v_fma_f64 v[121:122], v[101:102], v[71:72], v[121:122]
	v_fma_f64 v[123:124], v[99:100], v[71:72], -v[73:74]
	ds_load_b128 v[71:74], v1 offset:640
	scratch_load_b128 v[99:102], off, off offset:352
	v_add_f64_e32 v[2:3], v[2:3], v[103:104]
	v_add_f64_e32 v[6:7], v[6:7], v[105:106]
	ds_load_b128 v[103:106], v1 offset:656
	s_wait_loadcnt_dscnt 0xa01
	v_mul_f64_e32 v[125:126], v[71:72], v[81:82]
	v_mul_f64_e32 v[81:82], v[73:74], v[81:82]
	s_wait_loadcnt_dscnt 0x900
	v_mul_f64_e32 v[119:120], v[103:104], v[85:86]
	v_mul_f64_e32 v[85:86], v[105:106], v[85:86]
	v_add_f64_e32 v[2:3], v[2:3], v[123:124]
	v_add_f64_e32 v[6:7], v[6:7], v[121:122]
	v_fma_f64 v[121:122], v[73:74], v[79:80], v[125:126]
	v_fma_f64 v[123:124], v[71:72], v[79:80], -v[81:82]
	ds_load_b128 v[71:74], v1 offset:672
	scratch_load_b128 v[79:82], off, off offset:384
	v_fma_f64 v[105:106], v[105:106], v[83:84], v[119:120]
	v_fma_f64 v[103:104], v[103:104], v[83:84], -v[85:86]
	scratch_load_b128 v[83:86], off, off offset:400
	v_add_f64_e32 v[2:3], v[2:3], v[115:116]
	v_add_f64_e32 v[6:7], v[6:7], v[117:118]
	ds_load_b128 v[115:118], v1 offset:688
	s_wait_loadcnt_dscnt 0xa01
	v_mul_f64_e32 v[125:126], v[71:72], v[89:90]
	v_mul_f64_e32 v[89:90], v[73:74], v[89:90]
	s_wait_loadcnt_dscnt 0x900
	v_mul_f64_e32 v[119:120], v[115:116], v[93:94]
	v_mul_f64_e32 v[93:94], v[117:118], v[93:94]
	v_add_f64_e32 v[2:3], v[2:3], v[123:124]
	v_add_f64_e32 v[6:7], v[6:7], v[121:122]
	v_fma_f64 v[121:122], v[73:74], v[87:88], v[125:126]
	v_fma_f64 v[123:124], v[71:72], v[87:88], -v[89:90]
	ds_load_b128 v[71:74], v1 offset:704
	scratch_load_b128 v[87:90], off, off offset:416
	v_fma_f64 v[117:118], v[117:118], v[91:92], v[119:120]
	v_fma_f64 v[115:116], v[115:116], v[91:92], -v[93:94]
	scratch_load_b128 v[91:94], off, off offset:432
	v_add_f64_e32 v[2:3], v[2:3], v[103:104]
	v_add_f64_e32 v[6:7], v[6:7], v[105:106]
	ds_load_b128 v[103:106], v1 offset:720
	s_wait_loadcnt_dscnt 0xa01
	v_mul_f64_e32 v[125:126], v[71:72], v[97:98]
	v_mul_f64_e32 v[97:98], v[73:74], v[97:98]
	v_add_f64_e32 v[2:3], v[2:3], v[123:124]
	v_add_f64_e32 v[6:7], v[6:7], v[121:122]
	s_delay_alu instid0(VALU_DEP_4) | instskip(NEXT) | instid1(VALU_DEP_4)
	v_fma_f64 v[121:122], v[73:74], v[95:96], v[125:126]
	v_fma_f64 v[123:124], v[71:72], v[95:96], -v[97:98]
	ds_load_b128 v[71:74], v1 offset:736
	ds_load_b128 v[95:98], v1 offset:752
	s_wait_loadcnt_dscnt 0x802
	v_mul_f64_e32 v[119:120], v[103:104], v[10:11]
	v_mul_f64_e32 v[10:11], v[105:106], v[10:11]
	v_add_f64_e32 v[2:3], v[2:3], v[115:116]
	v_add_f64_e32 v[6:7], v[6:7], v[117:118]
	s_delay_alu instid0(VALU_DEP_4)
	v_fma_f64 v[105:106], v[105:106], v[8:9], v[119:120]
	s_wait_loadcnt_dscnt 0x701
	v_mul_f64_e32 v[115:116], v[71:72], v[113:114]
	v_mul_f64_e32 v[113:114], v[73:74], v[113:114]
	v_fma_f64 v[8:9], v[103:104], v[8:9], -v[10:11]
	s_wait_loadcnt_dscnt 0x600
	v_mul_f64_e32 v[10:11], v[95:96], v[69:70]
	v_mul_f64_e32 v[103:104], v[97:98], v[69:70]
	v_add_f64_e32 v[2:3], v[2:3], v[123:124]
	v_add_f64_e32 v[6:7], v[6:7], v[121:122]
	v_fma_f64 v[73:74], v[73:74], v[111:112], v[115:116]
	v_fma_f64 v[111:112], v[71:72], v[111:112], -v[113:114]
	v_fma_f64 v[10:11], v[97:98], v[67:68], v[10:11]
	v_fma_f64 v[67:68], v[95:96], v[67:68], -v[103:104]
	v_add_f64_e32 v[2:3], v[2:3], v[8:9]
	v_add_f64_e32 v[105:106], v[6:7], v[105:106]
	ds_load_b128 v[6:9], v1 offset:768
	ds_load_b128 v[69:72], v1 offset:784
	s_wait_loadcnt_dscnt 0x401
	v_mul_f64_e32 v[113:114], v[6:7], v[101:102]
	v_mul_f64_e32 v[101:102], v[8:9], v[101:102]
	s_wait_dscnt 0x0
	v_mul_f64_e32 v[103:104], v[69:70], v[77:78]
	v_mul_f64_e32 v[77:78], v[71:72], v[77:78]
	v_add_f64_e32 v[2:3], v[2:3], v[111:112]
	v_add_f64_e32 v[73:74], v[105:106], v[73:74]
	v_fma_f64 v[105:106], v[8:9], v[99:100], v[113:114]
	v_fma_f64 v[99:100], v[6:7], v[99:100], -v[101:102]
	ds_load_b128 v[6:9], v1 offset:800
	ds_load_b128 v[95:98], v1 offset:816
	v_fma_f64 v[71:72], v[71:72], v[75:76], v[103:104]
	v_fma_f64 v[69:70], v[69:70], v[75:76], -v[77:78]
	v_add_f64_e32 v[2:3], v[2:3], v[67:68]
	v_add_f64_e32 v[10:11], v[73:74], v[10:11]
	s_wait_loadcnt_dscnt 0x301
	v_mul_f64_e32 v[67:68], v[6:7], v[81:82]
	v_mul_f64_e32 v[73:74], v[8:9], v[81:82]
	s_wait_loadcnt_dscnt 0x200
	v_mul_f64_e32 v[75:76], v[95:96], v[85:86]
	v_mul_f64_e32 v[77:78], v[97:98], v[85:86]
	v_add_f64_e32 v[2:3], v[2:3], v[99:100]
	v_add_f64_e32 v[10:11], v[10:11], v[105:106]
	v_fma_f64 v[67:68], v[8:9], v[79:80], v[67:68]
	v_fma_f64 v[73:74], v[6:7], v[79:80], -v[73:74]
	v_fma_f64 v[75:76], v[97:98], v[83:84], v[75:76]
	v_fma_f64 v[77:78], v[95:96], v[83:84], -v[77:78]
	v_add_f64_e32 v[69:70], v[2:3], v[69:70]
	v_add_f64_e32 v[10:11], v[10:11], v[71:72]
	ds_load_b128 v[6:9], v1 offset:832
	ds_load_b128 v[1:4], v1 offset:848
	s_wait_loadcnt_dscnt 0x101
	v_mul_f64_e32 v[71:72], v[6:7], v[89:90]
	v_mul_f64_e32 v[79:80], v[8:9], v[89:90]
	v_add_f64_e32 v[69:70], v[69:70], v[73:74]
	v_add_f64_e32 v[10:11], v[10:11], v[67:68]
	s_wait_loadcnt_dscnt 0x0
	v_mul_f64_e32 v[67:68], v[1:2], v[93:94]
	v_mul_f64_e32 v[73:74], v[3:4], v[93:94]
	v_fma_f64 v[8:9], v[8:9], v[87:88], v[71:72]
	v_fma_f64 v[6:7], v[6:7], v[87:88], -v[79:80]
	v_add_f64_e32 v[69:70], v[69:70], v[77:78]
	v_add_f64_e32 v[10:11], v[10:11], v[75:76]
	v_fma_f64 v[3:4], v[3:4], v[91:92], v[67:68]
	v_fma_f64 v[1:2], v[1:2], v[91:92], -v[73:74]
	s_delay_alu instid0(VALU_DEP_4) | instskip(NEXT) | instid1(VALU_DEP_4)
	v_add_f64_e32 v[6:7], v[69:70], v[6:7]
	v_add_f64_e32 v[8:9], v[10:11], v[8:9]
	s_delay_alu instid0(VALU_DEP_2) | instskip(NEXT) | instid1(VALU_DEP_2)
	v_add_f64_e32 v[1:2], v[6:7], v[1:2]
	v_add_f64_e32 v[3:4], v[8:9], v[3:4]
	s_delay_alu instid0(VALU_DEP_2) | instskip(NEXT) | instid1(VALU_DEP_2)
	v_add_f64_e64 v[1:2], v[107:108], -v[1:2]
	v_add_f64_e64 v[3:4], v[109:110], -v[3:4]
	scratch_store_b128 off, v[1:4], off offset:144
	v_cmpx_lt_u32_e32 7, v0
	s_cbranch_execz .LBB90_161
; %bb.160:
	scratch_load_b128 v[1:4], off, s23
	v_mov_b32_e32 v6, 0
	s_delay_alu instid0(VALU_DEP_1)
	v_dual_mov_b32 v7, v6 :: v_dual_mov_b32 v8, v6
	v_mov_b32_e32 v9, v6
	scratch_store_b128 off, v[6:9], off offset:128
	s_wait_loadcnt 0x0
	ds_store_b128 v5, v[1:4]
.LBB90_161:
	s_wait_alu 0xfffe
	s_or_b32 exec_lo, exec_lo, s0
	s_wait_storecnt_dscnt 0x0
	s_barrier_signal -1
	s_barrier_wait -1
	global_inv scope:SCOPE_SE
	s_clause 0x7
	scratch_load_b128 v[6:9], off, off offset:144
	scratch_load_b128 v[67:70], off, off offset:160
	;; [unrolled: 1-line block ×8, first 2 shown]
	v_mov_b32_e32 v1, 0
	s_mov_b32 s0, exec_lo
	ds_load_b128 v[95:98], v1 offset:560
	s_clause 0x1
	scratch_load_b128 v[99:102], off, off offset:272
	scratch_load_b128 v[103:106], off, off offset:128
	ds_load_b128 v[107:110], v1 offset:576
	ds_load_b128 v[115:118], v1 offset:608
	s_wait_loadcnt_dscnt 0x902
	v_mul_f64_e32 v[2:3], v[97:98], v[8:9]
	v_mul_f64_e32 v[111:112], v[95:96], v[8:9]
	scratch_load_b128 v[8:11], off, off offset:288
	v_fma_f64 v[2:3], v[95:96], v[6:7], -v[2:3]
	v_fma_f64 v[6:7], v[97:98], v[6:7], v[111:112]
	ds_load_b128 v[95:98], v1 offset:592
	s_wait_loadcnt_dscnt 0x902
	v_mul_f64_e32 v[119:120], v[107:108], v[69:70]
	v_mul_f64_e32 v[69:70], v[109:110], v[69:70]
	scratch_load_b128 v[111:114], off, off offset:304
	s_wait_loadcnt_dscnt 0x900
	v_mul_f64_e32 v[121:122], v[95:96], v[73:74]
	v_mul_f64_e32 v[73:74], v[97:98], v[73:74]
	v_add_f64_e32 v[2:3], 0, v[2:3]
	v_add_f64_e32 v[6:7], 0, v[6:7]
	v_fma_f64 v[109:110], v[109:110], v[67:68], v[119:120]
	v_fma_f64 v[107:108], v[107:108], v[67:68], -v[69:70]
	scratch_load_b128 v[67:70], off, off offset:320
	v_fma_f64 v[121:122], v[97:98], v[71:72], v[121:122]
	v_fma_f64 v[123:124], v[95:96], v[71:72], -v[73:74]
	ds_load_b128 v[71:74], v1 offset:624
	s_wait_loadcnt 0x9
	v_mul_f64_e32 v[119:120], v[115:116], v[77:78]
	v_mul_f64_e32 v[77:78], v[117:118], v[77:78]
	scratch_load_b128 v[95:98], off, off offset:336
	v_add_f64_e32 v[6:7], v[6:7], v[109:110]
	v_add_f64_e32 v[2:3], v[2:3], v[107:108]
	ds_load_b128 v[107:110], v1 offset:640
	s_wait_loadcnt_dscnt 0x901
	v_mul_f64_e32 v[125:126], v[71:72], v[81:82]
	v_mul_f64_e32 v[81:82], v[73:74], v[81:82]
	v_fma_f64 v[117:118], v[117:118], v[75:76], v[119:120]
	v_fma_f64 v[115:116], v[115:116], v[75:76], -v[77:78]
	scratch_load_b128 v[75:78], off, off offset:352
	v_add_f64_e32 v[6:7], v[6:7], v[121:122]
	v_add_f64_e32 v[2:3], v[2:3], v[123:124]
	v_fma_f64 v[121:122], v[73:74], v[79:80], v[125:126]
	v_fma_f64 v[123:124], v[71:72], v[79:80], -v[81:82]
	ds_load_b128 v[71:74], v1 offset:656
	s_wait_loadcnt_dscnt 0x901
	v_mul_f64_e32 v[119:120], v[107:108], v[85:86]
	v_mul_f64_e32 v[85:86], v[109:110], v[85:86]
	scratch_load_b128 v[79:82], off, off offset:368
	s_wait_loadcnt_dscnt 0x900
	v_mul_f64_e32 v[125:126], v[71:72], v[89:90]
	v_mul_f64_e32 v[89:90], v[73:74], v[89:90]
	v_add_f64_e32 v[6:7], v[6:7], v[117:118]
	v_add_f64_e32 v[2:3], v[2:3], v[115:116]
	ds_load_b128 v[115:118], v1 offset:672
	v_fma_f64 v[109:110], v[109:110], v[83:84], v[119:120]
	v_fma_f64 v[107:108], v[107:108], v[83:84], -v[85:86]
	scratch_load_b128 v[83:86], off, off offset:384
	v_add_f64_e32 v[6:7], v[6:7], v[121:122]
	v_add_f64_e32 v[2:3], v[2:3], v[123:124]
	v_fma_f64 v[121:122], v[73:74], v[87:88], v[125:126]
	v_fma_f64 v[123:124], v[71:72], v[87:88], -v[89:90]
	ds_load_b128 v[71:74], v1 offset:688
	s_wait_loadcnt_dscnt 0x901
	v_mul_f64_e32 v[119:120], v[115:116], v[93:94]
	v_mul_f64_e32 v[93:94], v[117:118], v[93:94]
	scratch_load_b128 v[87:90], off, off offset:400
	s_wait_loadcnt_dscnt 0x900
	v_mul_f64_e32 v[125:126], v[71:72], v[101:102]
	v_mul_f64_e32 v[101:102], v[73:74], v[101:102]
	v_add_f64_e32 v[6:7], v[6:7], v[109:110]
	v_add_f64_e32 v[2:3], v[2:3], v[107:108]
	ds_load_b128 v[107:110], v1 offset:704
	v_fma_f64 v[117:118], v[117:118], v[91:92], v[119:120]
	v_fma_f64 v[115:116], v[115:116], v[91:92], -v[93:94]
	scratch_load_b128 v[91:94], off, off offset:416
	v_add_f64_e32 v[6:7], v[6:7], v[121:122]
	v_add_f64_e32 v[2:3], v[2:3], v[123:124]
	v_fma_f64 v[121:122], v[73:74], v[99:100], v[125:126]
	v_fma_f64 v[123:124], v[71:72], v[99:100], -v[101:102]
	ds_load_b128 v[71:74], v1 offset:720
	scratch_load_b128 v[99:102], off, off offset:432
	s_wait_loadcnt_dscnt 0x901
	v_mul_f64_e32 v[119:120], v[107:108], v[10:11]
	v_mul_f64_e32 v[10:11], v[109:110], v[10:11]
	v_add_f64_e32 v[6:7], v[6:7], v[117:118]
	v_add_f64_e32 v[2:3], v[2:3], v[115:116]
	ds_load_b128 v[115:118], v1 offset:736
	v_fma_f64 v[109:110], v[109:110], v[8:9], v[119:120]
	v_fma_f64 v[8:9], v[107:108], v[8:9], -v[10:11]
	s_wait_loadcnt_dscnt 0x801
	v_mul_f64_e32 v[125:126], v[71:72], v[113:114]
	v_mul_f64_e32 v[113:114], v[73:74], v[113:114]
	v_add_f64_e32 v[6:7], v[6:7], v[121:122]
	v_add_f64_e32 v[2:3], v[2:3], v[123:124]
	s_wait_loadcnt_dscnt 0x700
	v_mul_f64_e32 v[10:11], v[115:116], v[69:70]
	v_mul_f64_e32 v[107:108], v[117:118], v[69:70]
	v_fma_f64 v[73:74], v[73:74], v[111:112], v[125:126]
	v_fma_f64 v[111:112], v[71:72], v[111:112], -v[113:114]
	v_add_f64_e32 v[109:110], v[6:7], v[109:110]
	v_add_f64_e32 v[2:3], v[2:3], v[8:9]
	ds_load_b128 v[6:9], v1 offset:752
	ds_load_b128 v[69:72], v1 offset:768
	v_fma_f64 v[10:11], v[117:118], v[67:68], v[10:11]
	v_fma_f64 v[67:68], v[115:116], v[67:68], -v[107:108]
	s_wait_loadcnt_dscnt 0x601
	v_mul_f64_e32 v[113:114], v[6:7], v[97:98]
	v_mul_f64_e32 v[97:98], v[8:9], v[97:98]
	v_add_f64_e32 v[73:74], v[109:110], v[73:74]
	v_add_f64_e32 v[2:3], v[2:3], v[111:112]
	s_wait_loadcnt_dscnt 0x500
	v_mul_f64_e32 v[107:108], v[69:70], v[77:78]
	v_mul_f64_e32 v[77:78], v[71:72], v[77:78]
	v_fma_f64 v[109:110], v[8:9], v[95:96], v[113:114]
	v_fma_f64 v[111:112], v[6:7], v[95:96], -v[97:98]
	ds_load_b128 v[6:9], v1 offset:784
	ds_load_b128 v[95:98], v1 offset:800
	v_add_f64_e32 v[10:11], v[73:74], v[10:11]
	v_add_f64_e32 v[2:3], v[2:3], v[67:68]
	v_fma_f64 v[71:72], v[71:72], v[75:76], v[107:108]
	v_fma_f64 v[69:70], v[69:70], v[75:76], -v[77:78]
	s_wait_loadcnt_dscnt 0x401
	v_mul_f64_e32 v[67:68], v[6:7], v[81:82]
	v_mul_f64_e32 v[73:74], v[8:9], v[81:82]
	s_wait_loadcnt_dscnt 0x300
	v_mul_f64_e32 v[75:76], v[95:96], v[85:86]
	v_mul_f64_e32 v[77:78], v[97:98], v[85:86]
	v_add_f64_e32 v[10:11], v[10:11], v[109:110]
	v_add_f64_e32 v[2:3], v[2:3], v[111:112]
	v_fma_f64 v[81:82], v[8:9], v[79:80], v[67:68]
	v_fma_f64 v[73:74], v[6:7], v[79:80], -v[73:74]
	v_fma_f64 v[75:76], v[97:98], v[83:84], v[75:76]
	v_fma_f64 v[77:78], v[95:96], v[83:84], -v[77:78]
	v_add_f64_e32 v[10:11], v[10:11], v[71:72]
	v_add_f64_e32 v[2:3], v[2:3], v[69:70]
	ds_load_b128 v[6:9], v1 offset:816
	ds_load_b128 v[67:70], v1 offset:832
	s_wait_loadcnt_dscnt 0x201
	v_mul_f64_e32 v[71:72], v[6:7], v[89:90]
	v_mul_f64_e32 v[79:80], v[8:9], v[89:90]
	v_add_f64_e32 v[10:11], v[10:11], v[81:82]
	v_add_f64_e32 v[2:3], v[2:3], v[73:74]
	s_wait_loadcnt_dscnt 0x100
	v_mul_f64_e32 v[73:74], v[67:68], v[93:94]
	v_mul_f64_e32 v[81:82], v[69:70], v[93:94]
	v_fma_f64 v[71:72], v[8:9], v[87:88], v[71:72]
	v_fma_f64 v[79:80], v[6:7], v[87:88], -v[79:80]
	ds_load_b128 v[6:9], v1 offset:848
	v_add_f64_e32 v[10:11], v[10:11], v[75:76]
	v_add_f64_e32 v[2:3], v[2:3], v[77:78]
	v_fma_f64 v[69:70], v[69:70], v[91:92], v[73:74]
	v_fma_f64 v[67:68], v[67:68], v[91:92], -v[81:82]
	s_wait_loadcnt_dscnt 0x0
	v_mul_f64_e32 v[75:76], v[6:7], v[101:102]
	v_mul_f64_e32 v[77:78], v[8:9], v[101:102]
	v_add_f64_e32 v[10:11], v[10:11], v[71:72]
	v_add_f64_e32 v[2:3], v[2:3], v[79:80]
	s_delay_alu instid0(VALU_DEP_4) | instskip(NEXT) | instid1(VALU_DEP_4)
	v_fma_f64 v[8:9], v[8:9], v[99:100], v[75:76]
	v_fma_f64 v[6:7], v[6:7], v[99:100], -v[77:78]
	s_delay_alu instid0(VALU_DEP_4) | instskip(NEXT) | instid1(VALU_DEP_4)
	v_add_f64_e32 v[10:11], v[10:11], v[69:70]
	v_add_f64_e32 v[2:3], v[2:3], v[67:68]
	s_delay_alu instid0(VALU_DEP_2) | instskip(NEXT) | instid1(VALU_DEP_2)
	v_add_f64_e32 v[8:9], v[10:11], v[8:9]
	v_add_f64_e32 v[2:3], v[2:3], v[6:7]
	s_delay_alu instid0(VALU_DEP_2) | instskip(NEXT) | instid1(VALU_DEP_2)
	v_add_f64_e64 v[8:9], v[105:106], -v[8:9]
	v_add_f64_e64 v[6:7], v[103:104], -v[2:3]
	scratch_store_b128 off, v[6:9], off offset:128
	v_cmpx_lt_u32_e32 6, v0
	s_cbranch_execz .LBB90_163
; %bb.162:
	scratch_load_b128 v[6:9], off, s5
	v_dual_mov_b32 v2, v1 :: v_dual_mov_b32 v3, v1
	v_mov_b32_e32 v4, v1
	scratch_store_b128 off, v[1:4], off offset:112
	s_wait_loadcnt 0x0
	ds_store_b128 v5, v[6:9]
.LBB90_163:
	s_wait_alu 0xfffe
	s_or_b32 exec_lo, exec_lo, s0
	s_wait_storecnt_dscnt 0x0
	s_barrier_signal -1
	s_barrier_wait -1
	global_inv scope:SCOPE_SE
	s_clause 0x8
	scratch_load_b128 v[6:9], off, off offset:128
	scratch_load_b128 v[67:70], off, off offset:144
	;; [unrolled: 1-line block ×9, first 2 shown]
	ds_load_b128 v[99:102], v1 offset:544
	ds_load_b128 v[103:106], v1 offset:560
	scratch_load_b128 v[107:110], off, off offset:112
	s_mov_b32 s0, exec_lo
	ds_load_b128 v[115:118], v1 offset:592
	s_wait_loadcnt_dscnt 0x902
	v_mul_f64_e32 v[2:3], v[101:102], v[8:9]
	v_mul_f64_e32 v[111:112], v[99:100], v[8:9]
	scratch_load_b128 v[8:11], off, off offset:272
	s_wait_loadcnt_dscnt 0x901
	v_mul_f64_e32 v[119:120], v[103:104], v[69:70]
	v_mul_f64_e32 v[69:70], v[105:106], v[69:70]
	v_fma_f64 v[2:3], v[99:100], v[6:7], -v[2:3]
	v_fma_f64 v[6:7], v[101:102], v[6:7], v[111:112]
	ds_load_b128 v[99:102], v1 offset:576
	scratch_load_b128 v[111:114], off, off offset:288
	v_fma_f64 v[105:106], v[105:106], v[67:68], v[119:120]
	v_fma_f64 v[103:104], v[103:104], v[67:68], -v[69:70]
	scratch_load_b128 v[67:70], off, off offset:304
	s_wait_loadcnt_dscnt 0x901
	v_mul_f64_e32 v[119:120], v[115:116], v[77:78]
	v_mul_f64_e32 v[77:78], v[117:118], v[77:78]
	s_wait_dscnt 0x0
	v_mul_f64_e32 v[121:122], v[99:100], v[73:74]
	v_mul_f64_e32 v[73:74], v[101:102], v[73:74]
	v_add_f64_e32 v[2:3], 0, v[2:3]
	v_add_f64_e32 v[6:7], 0, v[6:7]
	v_fma_f64 v[117:118], v[117:118], v[75:76], v[119:120]
	v_fma_f64 v[115:116], v[115:116], v[75:76], -v[77:78]
	scratch_load_b128 v[75:78], off, off offset:336
	v_fma_f64 v[121:122], v[101:102], v[71:72], v[121:122]
	v_fma_f64 v[123:124], v[99:100], v[71:72], -v[73:74]
	ds_load_b128 v[71:74], v1 offset:608
	scratch_load_b128 v[99:102], off, off offset:320
	v_add_f64_e32 v[2:3], v[2:3], v[103:104]
	v_add_f64_e32 v[6:7], v[6:7], v[105:106]
	ds_load_b128 v[103:106], v1 offset:624
	s_wait_loadcnt_dscnt 0xa01
	v_mul_f64_e32 v[125:126], v[71:72], v[81:82]
	v_mul_f64_e32 v[81:82], v[73:74], v[81:82]
	s_wait_loadcnt_dscnt 0x900
	v_mul_f64_e32 v[119:120], v[103:104], v[85:86]
	v_mul_f64_e32 v[85:86], v[105:106], v[85:86]
	v_add_f64_e32 v[2:3], v[2:3], v[123:124]
	v_add_f64_e32 v[6:7], v[6:7], v[121:122]
	v_fma_f64 v[121:122], v[73:74], v[79:80], v[125:126]
	v_fma_f64 v[123:124], v[71:72], v[79:80], -v[81:82]
	ds_load_b128 v[71:74], v1 offset:640
	scratch_load_b128 v[79:82], off, off offset:352
	v_fma_f64 v[105:106], v[105:106], v[83:84], v[119:120]
	v_fma_f64 v[103:104], v[103:104], v[83:84], -v[85:86]
	scratch_load_b128 v[83:86], off, off offset:368
	v_add_f64_e32 v[2:3], v[2:3], v[115:116]
	v_add_f64_e32 v[6:7], v[6:7], v[117:118]
	ds_load_b128 v[115:118], v1 offset:656
	s_wait_loadcnt_dscnt 0xa01
	v_mul_f64_e32 v[125:126], v[71:72], v[89:90]
	v_mul_f64_e32 v[89:90], v[73:74], v[89:90]
	s_wait_loadcnt_dscnt 0x900
	v_mul_f64_e32 v[119:120], v[115:116], v[93:94]
	v_mul_f64_e32 v[93:94], v[117:118], v[93:94]
	v_add_f64_e32 v[2:3], v[2:3], v[123:124]
	v_add_f64_e32 v[6:7], v[6:7], v[121:122]
	v_fma_f64 v[121:122], v[73:74], v[87:88], v[125:126]
	v_fma_f64 v[123:124], v[71:72], v[87:88], -v[89:90]
	ds_load_b128 v[71:74], v1 offset:672
	scratch_load_b128 v[87:90], off, off offset:384
	v_fma_f64 v[117:118], v[117:118], v[91:92], v[119:120]
	v_fma_f64 v[115:116], v[115:116], v[91:92], -v[93:94]
	scratch_load_b128 v[91:94], off, off offset:400
	v_add_f64_e32 v[2:3], v[2:3], v[103:104]
	v_add_f64_e32 v[6:7], v[6:7], v[105:106]
	ds_load_b128 v[103:106], v1 offset:688
	s_wait_loadcnt_dscnt 0xa01
	v_mul_f64_e32 v[125:126], v[71:72], v[97:98]
	v_mul_f64_e32 v[97:98], v[73:74], v[97:98]
	v_add_f64_e32 v[2:3], v[2:3], v[123:124]
	v_add_f64_e32 v[6:7], v[6:7], v[121:122]
	s_delay_alu instid0(VALU_DEP_4) | instskip(NEXT) | instid1(VALU_DEP_4)
	v_fma_f64 v[121:122], v[73:74], v[95:96], v[125:126]
	v_fma_f64 v[123:124], v[71:72], v[95:96], -v[97:98]
	ds_load_b128 v[71:74], v1 offset:704
	scratch_load_b128 v[95:98], off, off offset:416
	s_wait_loadcnt_dscnt 0x901
	v_mul_f64_e32 v[119:120], v[103:104], v[10:11]
	v_mul_f64_e32 v[10:11], v[105:106], v[10:11]
	v_add_f64_e32 v[2:3], v[2:3], v[115:116]
	v_add_f64_e32 v[6:7], v[6:7], v[117:118]
	ds_load_b128 v[115:118], v1 offset:720
	v_fma_f64 v[105:106], v[105:106], v[8:9], v[119:120]
	s_wait_loadcnt_dscnt 0x801
	v_mul_f64_e32 v[125:126], v[71:72], v[113:114]
	v_mul_f64_e32 v[113:114], v[73:74], v[113:114]
	v_fma_f64 v[10:11], v[103:104], v[8:9], -v[10:11]
	s_wait_loadcnt_dscnt 0x700
	v_mul_f64_e32 v[119:120], v[115:116], v[69:70]
	v_add_f64_e32 v[2:3], v[2:3], v[123:124]
	v_add_f64_e32 v[103:104], v[6:7], v[121:122]
	scratch_load_b128 v[6:9], off, off offset:432
	v_mul_f64_e32 v[121:122], v[117:118], v[69:70]
	v_fma_f64 v[73:74], v[73:74], v[111:112], v[125:126]
	v_fma_f64 v[111:112], v[71:72], v[111:112], -v[113:114]
	v_fma_f64 v[117:118], v[117:118], v[67:68], v[119:120]
	v_add_f64_e32 v[2:3], v[2:3], v[10:11]
	v_add_f64_e32 v[10:11], v[103:104], v[105:106]
	ds_load_b128 v[69:72], v1 offset:736
	ds_load_b128 v[103:106], v1 offset:752
	v_fma_f64 v[67:68], v[115:116], v[67:68], -v[121:122]
	s_wait_loadcnt_dscnt 0x601
	v_mul_f64_e32 v[113:114], v[69:70], v[101:102]
	v_mul_f64_e32 v[101:102], v[71:72], v[101:102]
	v_add_f64_e32 v[2:3], v[2:3], v[111:112]
	v_add_f64_e32 v[10:11], v[10:11], v[73:74]
	s_wait_dscnt 0x0
	v_mul_f64_e32 v[111:112], v[103:104], v[77:78]
	v_mul_f64_e32 v[77:78], v[105:106], v[77:78]
	v_fma_f64 v[113:114], v[71:72], v[99:100], v[113:114]
	v_fma_f64 v[99:100], v[69:70], v[99:100], -v[101:102]
	v_add_f64_e32 v[2:3], v[2:3], v[67:68]
	v_add_f64_e32 v[10:11], v[10:11], v[117:118]
	ds_load_b128 v[67:70], v1 offset:768
	ds_load_b128 v[71:74], v1 offset:784
	v_fma_f64 v[105:106], v[105:106], v[75:76], v[111:112]
	v_fma_f64 v[75:76], v[103:104], v[75:76], -v[77:78]
	s_wait_loadcnt_dscnt 0x501
	v_mul_f64_e32 v[101:102], v[67:68], v[81:82]
	v_mul_f64_e32 v[81:82], v[69:70], v[81:82]
	v_add_f64_e32 v[2:3], v[2:3], v[99:100]
	v_add_f64_e32 v[10:11], v[10:11], v[113:114]
	s_wait_loadcnt_dscnt 0x400
	v_mul_f64_e32 v[99:100], v[71:72], v[85:86]
	v_mul_f64_e32 v[85:86], v[73:74], v[85:86]
	v_fma_f64 v[101:102], v[69:70], v[79:80], v[101:102]
	v_fma_f64 v[79:80], v[67:68], v[79:80], -v[81:82]
	v_add_f64_e32 v[2:3], v[2:3], v[75:76]
	v_add_f64_e32 v[10:11], v[10:11], v[105:106]
	ds_load_b128 v[67:70], v1 offset:800
	ds_load_b128 v[75:78], v1 offset:816
	v_fma_f64 v[73:74], v[73:74], v[83:84], v[99:100]
	v_fma_f64 v[71:72], v[71:72], v[83:84], -v[85:86]
	s_wait_loadcnt_dscnt 0x301
	v_mul_f64_e32 v[81:82], v[67:68], v[89:90]
	v_mul_f64_e32 v[89:90], v[69:70], v[89:90]
	s_wait_loadcnt_dscnt 0x200
	v_mul_f64_e32 v[83:84], v[77:78], v[93:94]
	v_add_f64_e32 v[2:3], v[2:3], v[79:80]
	v_add_f64_e32 v[10:11], v[10:11], v[101:102]
	v_mul_f64_e32 v[79:80], v[75:76], v[93:94]
	v_fma_f64 v[81:82], v[69:70], v[87:88], v[81:82]
	v_fma_f64 v[85:86], v[67:68], v[87:88], -v[89:90]
	v_fma_f64 v[75:76], v[75:76], v[91:92], -v[83:84]
	v_add_f64_e32 v[71:72], v[2:3], v[71:72]
	v_add_f64_e32 v[10:11], v[10:11], v[73:74]
	ds_load_b128 v[67:70], v1 offset:832
	ds_load_b128 v[1:4], v1 offset:848
	v_fma_f64 v[77:78], v[77:78], v[91:92], v[79:80]
	s_wait_loadcnt_dscnt 0x101
	v_mul_f64_e32 v[73:74], v[67:68], v[97:98]
	v_mul_f64_e32 v[87:88], v[69:70], v[97:98]
	v_add_f64_e32 v[71:72], v[71:72], v[85:86]
	v_add_f64_e32 v[10:11], v[10:11], v[81:82]
	s_wait_loadcnt_dscnt 0x0
	v_mul_f64_e32 v[79:80], v[1:2], v[8:9]
	v_mul_f64_e32 v[8:9], v[3:4], v[8:9]
	v_fma_f64 v[69:70], v[69:70], v[95:96], v[73:74]
	v_fma_f64 v[67:68], v[67:68], v[95:96], -v[87:88]
	v_add_f64_e32 v[71:72], v[71:72], v[75:76]
	v_add_f64_e32 v[10:11], v[10:11], v[77:78]
	v_fma_f64 v[3:4], v[3:4], v[6:7], v[79:80]
	v_fma_f64 v[1:2], v[1:2], v[6:7], -v[8:9]
	s_delay_alu instid0(VALU_DEP_4) | instskip(NEXT) | instid1(VALU_DEP_4)
	v_add_f64_e32 v[6:7], v[71:72], v[67:68]
	v_add_f64_e32 v[8:9], v[10:11], v[69:70]
	s_delay_alu instid0(VALU_DEP_2) | instskip(NEXT) | instid1(VALU_DEP_2)
	v_add_f64_e32 v[1:2], v[6:7], v[1:2]
	v_add_f64_e32 v[3:4], v[8:9], v[3:4]
	s_delay_alu instid0(VALU_DEP_2) | instskip(NEXT) | instid1(VALU_DEP_2)
	v_add_f64_e64 v[1:2], v[107:108], -v[1:2]
	v_add_f64_e64 v[3:4], v[109:110], -v[3:4]
	scratch_store_b128 off, v[1:4], off offset:112
	v_cmpx_lt_u32_e32 5, v0
	s_cbranch_execz .LBB90_165
; %bb.164:
	scratch_load_b128 v[1:4], off, s22
	v_mov_b32_e32 v6, 0
	s_delay_alu instid0(VALU_DEP_1)
	v_dual_mov_b32 v7, v6 :: v_dual_mov_b32 v8, v6
	v_mov_b32_e32 v9, v6
	scratch_store_b128 off, v[6:9], off offset:96
	s_wait_loadcnt 0x0
	ds_store_b128 v5, v[1:4]
.LBB90_165:
	s_wait_alu 0xfffe
	s_or_b32 exec_lo, exec_lo, s0
	s_wait_storecnt_dscnt 0x0
	s_barrier_signal -1
	s_barrier_wait -1
	global_inv scope:SCOPE_SE
	s_clause 0x7
	scratch_load_b128 v[6:9], off, off offset:112
	scratch_load_b128 v[67:70], off, off offset:128
	;; [unrolled: 1-line block ×8, first 2 shown]
	v_mov_b32_e32 v1, 0
	s_mov_b32 s0, exec_lo
	ds_load_b128 v[95:98], v1 offset:528
	s_clause 0x1
	scratch_load_b128 v[99:102], off, off offset:240
	scratch_load_b128 v[103:106], off, off offset:96
	ds_load_b128 v[107:110], v1 offset:544
	ds_load_b128 v[115:118], v1 offset:576
	s_wait_loadcnt_dscnt 0x902
	v_mul_f64_e32 v[2:3], v[97:98], v[8:9]
	v_mul_f64_e32 v[111:112], v[95:96], v[8:9]
	scratch_load_b128 v[8:11], off, off offset:256
	v_fma_f64 v[2:3], v[95:96], v[6:7], -v[2:3]
	v_fma_f64 v[6:7], v[97:98], v[6:7], v[111:112]
	ds_load_b128 v[95:98], v1 offset:560
	s_wait_loadcnt_dscnt 0x902
	v_mul_f64_e32 v[119:120], v[107:108], v[69:70]
	v_mul_f64_e32 v[69:70], v[109:110], v[69:70]
	scratch_load_b128 v[111:114], off, off offset:272
	s_wait_loadcnt_dscnt 0x900
	v_mul_f64_e32 v[121:122], v[95:96], v[73:74]
	v_mul_f64_e32 v[73:74], v[97:98], v[73:74]
	v_add_f64_e32 v[2:3], 0, v[2:3]
	v_add_f64_e32 v[6:7], 0, v[6:7]
	v_fma_f64 v[109:110], v[109:110], v[67:68], v[119:120]
	v_fma_f64 v[107:108], v[107:108], v[67:68], -v[69:70]
	scratch_load_b128 v[67:70], off, off offset:288
	v_fma_f64 v[121:122], v[97:98], v[71:72], v[121:122]
	v_fma_f64 v[123:124], v[95:96], v[71:72], -v[73:74]
	ds_load_b128 v[71:74], v1 offset:592
	s_wait_loadcnt 0x9
	v_mul_f64_e32 v[119:120], v[115:116], v[77:78]
	v_mul_f64_e32 v[77:78], v[117:118], v[77:78]
	scratch_load_b128 v[95:98], off, off offset:304
	v_add_f64_e32 v[6:7], v[6:7], v[109:110]
	v_add_f64_e32 v[2:3], v[2:3], v[107:108]
	ds_load_b128 v[107:110], v1 offset:608
	s_wait_loadcnt_dscnt 0x901
	v_mul_f64_e32 v[125:126], v[71:72], v[81:82]
	v_mul_f64_e32 v[81:82], v[73:74], v[81:82]
	v_fma_f64 v[117:118], v[117:118], v[75:76], v[119:120]
	v_fma_f64 v[115:116], v[115:116], v[75:76], -v[77:78]
	scratch_load_b128 v[75:78], off, off offset:320
	v_add_f64_e32 v[6:7], v[6:7], v[121:122]
	v_add_f64_e32 v[2:3], v[2:3], v[123:124]
	v_fma_f64 v[121:122], v[73:74], v[79:80], v[125:126]
	v_fma_f64 v[123:124], v[71:72], v[79:80], -v[81:82]
	ds_load_b128 v[71:74], v1 offset:624
	s_wait_loadcnt_dscnt 0x901
	v_mul_f64_e32 v[119:120], v[107:108], v[85:86]
	v_mul_f64_e32 v[85:86], v[109:110], v[85:86]
	scratch_load_b128 v[79:82], off, off offset:336
	s_wait_loadcnt_dscnt 0x900
	v_mul_f64_e32 v[125:126], v[71:72], v[89:90]
	v_mul_f64_e32 v[89:90], v[73:74], v[89:90]
	v_add_f64_e32 v[6:7], v[6:7], v[117:118]
	v_add_f64_e32 v[2:3], v[2:3], v[115:116]
	ds_load_b128 v[115:118], v1 offset:640
	v_fma_f64 v[109:110], v[109:110], v[83:84], v[119:120]
	v_fma_f64 v[107:108], v[107:108], v[83:84], -v[85:86]
	scratch_load_b128 v[83:86], off, off offset:352
	v_add_f64_e32 v[6:7], v[6:7], v[121:122]
	v_add_f64_e32 v[2:3], v[2:3], v[123:124]
	v_fma_f64 v[121:122], v[73:74], v[87:88], v[125:126]
	v_fma_f64 v[123:124], v[71:72], v[87:88], -v[89:90]
	ds_load_b128 v[71:74], v1 offset:656
	s_wait_loadcnt_dscnt 0x901
	v_mul_f64_e32 v[119:120], v[115:116], v[93:94]
	v_mul_f64_e32 v[93:94], v[117:118], v[93:94]
	scratch_load_b128 v[87:90], off, off offset:368
	s_wait_loadcnt_dscnt 0x900
	v_mul_f64_e32 v[125:126], v[71:72], v[101:102]
	v_mul_f64_e32 v[101:102], v[73:74], v[101:102]
	v_add_f64_e32 v[6:7], v[6:7], v[109:110]
	v_add_f64_e32 v[2:3], v[2:3], v[107:108]
	ds_load_b128 v[107:110], v1 offset:672
	v_fma_f64 v[117:118], v[117:118], v[91:92], v[119:120]
	v_fma_f64 v[115:116], v[115:116], v[91:92], -v[93:94]
	scratch_load_b128 v[91:94], off, off offset:384
	v_add_f64_e32 v[6:7], v[6:7], v[121:122]
	v_add_f64_e32 v[2:3], v[2:3], v[123:124]
	v_fma_f64 v[121:122], v[73:74], v[99:100], v[125:126]
	v_fma_f64 v[123:124], v[71:72], v[99:100], -v[101:102]
	ds_load_b128 v[71:74], v1 offset:688
	scratch_load_b128 v[99:102], off, off offset:400
	s_wait_loadcnt_dscnt 0x901
	v_mul_f64_e32 v[119:120], v[107:108], v[10:11]
	v_mul_f64_e32 v[10:11], v[109:110], v[10:11]
	v_add_f64_e32 v[6:7], v[6:7], v[117:118]
	v_add_f64_e32 v[2:3], v[2:3], v[115:116]
	ds_load_b128 v[115:118], v1 offset:704
	v_fma_f64 v[109:110], v[109:110], v[8:9], v[119:120]
	v_fma_f64 v[10:11], v[107:108], v[8:9], -v[10:11]
	s_wait_loadcnt_dscnt 0x801
	v_mul_f64_e32 v[125:126], v[71:72], v[113:114]
	v_mul_f64_e32 v[113:114], v[73:74], v[113:114]
	v_add_f64_e32 v[107:108], v[6:7], v[121:122]
	v_add_f64_e32 v[2:3], v[2:3], v[123:124]
	scratch_load_b128 v[6:9], off, off offset:416
	v_fma_f64 v[73:74], v[73:74], v[111:112], v[125:126]
	v_fma_f64 v[123:124], v[71:72], v[111:112], -v[113:114]
	ds_load_b128 v[111:114], v1 offset:736
	s_wait_loadcnt_dscnt 0x801
	v_mul_f64_e32 v[119:120], v[115:116], v[69:70]
	v_mul_f64_e32 v[121:122], v[117:118], v[69:70]
	ds_load_b128 v[69:72], v1 offset:720
	v_add_f64_e32 v[2:3], v[2:3], v[10:11]
	v_add_f64_e32 v[10:11], v[107:108], v[109:110]
	scratch_load_b128 v[107:110], off, off offset:432
	s_wait_loadcnt_dscnt 0x800
	v_mul_f64_e32 v[125:126], v[69:70], v[97:98]
	v_mul_f64_e32 v[97:98], v[71:72], v[97:98]
	v_fma_f64 v[117:118], v[117:118], v[67:68], v[119:120]
	v_fma_f64 v[67:68], v[115:116], v[67:68], -v[121:122]
	v_add_f64_e32 v[2:3], v[2:3], v[123:124]
	v_add_f64_e32 v[10:11], v[10:11], v[73:74]
	s_wait_loadcnt 0x7
	v_mul_f64_e32 v[115:116], v[111:112], v[77:78]
	v_mul_f64_e32 v[77:78], v[113:114], v[77:78]
	v_fma_f64 v[119:120], v[71:72], v[95:96], v[125:126]
	v_fma_f64 v[95:96], v[69:70], v[95:96], -v[97:98]
	v_add_f64_e32 v[2:3], v[2:3], v[67:68]
	v_add_f64_e32 v[10:11], v[10:11], v[117:118]
	ds_load_b128 v[67:70], v1 offset:752
	ds_load_b128 v[71:74], v1 offset:768
	v_fma_f64 v[113:114], v[113:114], v[75:76], v[115:116]
	v_fma_f64 v[75:76], v[111:112], v[75:76], -v[77:78]
	s_wait_loadcnt_dscnt 0x601
	v_mul_f64_e32 v[97:98], v[67:68], v[81:82]
	v_mul_f64_e32 v[81:82], v[69:70], v[81:82]
	v_add_f64_e32 v[2:3], v[2:3], v[95:96]
	v_add_f64_e32 v[10:11], v[10:11], v[119:120]
	s_wait_loadcnt_dscnt 0x500
	v_mul_f64_e32 v[95:96], v[71:72], v[85:86]
	v_mul_f64_e32 v[85:86], v[73:74], v[85:86]
	v_fma_f64 v[97:98], v[69:70], v[79:80], v[97:98]
	v_fma_f64 v[79:80], v[67:68], v[79:80], -v[81:82]
	v_add_f64_e32 v[2:3], v[2:3], v[75:76]
	v_add_f64_e32 v[10:11], v[10:11], v[113:114]
	ds_load_b128 v[67:70], v1 offset:784
	ds_load_b128 v[75:78], v1 offset:800
	v_fma_f64 v[73:74], v[73:74], v[83:84], v[95:96]
	v_fma_f64 v[71:72], v[71:72], v[83:84], -v[85:86]
	s_wait_loadcnt_dscnt 0x401
	v_mul_f64_e32 v[81:82], v[67:68], v[89:90]
	v_mul_f64_e32 v[89:90], v[69:70], v[89:90]
	s_wait_loadcnt_dscnt 0x300
	v_mul_f64_e32 v[83:84], v[77:78], v[93:94]
	v_add_f64_e32 v[2:3], v[2:3], v[79:80]
	v_add_f64_e32 v[10:11], v[10:11], v[97:98]
	v_mul_f64_e32 v[79:80], v[75:76], v[93:94]
	v_fma_f64 v[81:82], v[69:70], v[87:88], v[81:82]
	v_fma_f64 v[85:86], v[67:68], v[87:88], -v[89:90]
	v_fma_f64 v[75:76], v[75:76], v[91:92], -v[83:84]
	v_add_f64_e32 v[2:3], v[2:3], v[71:72]
	v_add_f64_e32 v[10:11], v[10:11], v[73:74]
	ds_load_b128 v[67:70], v1 offset:816
	ds_load_b128 v[71:74], v1 offset:832
	v_fma_f64 v[77:78], v[77:78], v[91:92], v[79:80]
	s_wait_loadcnt_dscnt 0x201
	v_mul_f64_e32 v[87:88], v[67:68], v[101:102]
	v_mul_f64_e32 v[89:90], v[69:70], v[101:102]
	v_add_f64_e32 v[2:3], v[2:3], v[85:86]
	v_add_f64_e32 v[10:11], v[10:11], v[81:82]
	s_wait_loadcnt_dscnt 0x100
	v_mul_f64_e32 v[79:80], v[71:72], v[8:9]
	v_mul_f64_e32 v[81:82], v[73:74], v[8:9]
	v_fma_f64 v[69:70], v[69:70], v[99:100], v[87:88]
	v_fma_f64 v[67:68], v[67:68], v[99:100], -v[89:90]
	v_add_f64_e32 v[2:3], v[2:3], v[75:76]
	v_add_f64_e32 v[75:76], v[10:11], v[77:78]
	ds_load_b128 v[8:11], v1 offset:848
	v_fma_f64 v[73:74], v[73:74], v[6:7], v[79:80]
	v_fma_f64 v[6:7], v[71:72], v[6:7], -v[81:82]
	s_wait_loadcnt_dscnt 0x0
	v_mul_f64_e32 v[77:78], v[8:9], v[109:110]
	v_mul_f64_e32 v[83:84], v[10:11], v[109:110]
	v_add_f64_e32 v[2:3], v[2:3], v[67:68]
	v_add_f64_e32 v[67:68], v[75:76], v[69:70]
	s_delay_alu instid0(VALU_DEP_4) | instskip(NEXT) | instid1(VALU_DEP_4)
	v_fma_f64 v[10:11], v[10:11], v[107:108], v[77:78]
	v_fma_f64 v[8:9], v[8:9], v[107:108], -v[83:84]
	s_delay_alu instid0(VALU_DEP_4) | instskip(NEXT) | instid1(VALU_DEP_4)
	v_add_f64_e32 v[2:3], v[2:3], v[6:7]
	v_add_f64_e32 v[6:7], v[67:68], v[73:74]
	s_delay_alu instid0(VALU_DEP_2) | instskip(NEXT) | instid1(VALU_DEP_2)
	v_add_f64_e32 v[2:3], v[2:3], v[8:9]
	v_add_f64_e32 v[8:9], v[6:7], v[10:11]
	s_delay_alu instid0(VALU_DEP_2) | instskip(NEXT) | instid1(VALU_DEP_2)
	v_add_f64_e64 v[6:7], v[103:104], -v[2:3]
	v_add_f64_e64 v[8:9], v[105:106], -v[8:9]
	scratch_store_b128 off, v[6:9], off offset:96
	v_cmpx_lt_u32_e32 4, v0
	s_cbranch_execz .LBB90_167
; %bb.166:
	scratch_load_b128 v[6:9], off, s4
	v_dual_mov_b32 v2, v1 :: v_dual_mov_b32 v3, v1
	v_mov_b32_e32 v4, v1
	scratch_store_b128 off, v[1:4], off offset:80
	s_wait_loadcnt 0x0
	ds_store_b128 v5, v[6:9]
.LBB90_167:
	s_wait_alu 0xfffe
	s_or_b32 exec_lo, exec_lo, s0
	s_wait_storecnt_dscnt 0x0
	s_barrier_signal -1
	s_barrier_wait -1
	global_inv scope:SCOPE_SE
	s_clause 0x8
	scratch_load_b128 v[6:9], off, off offset:96
	scratch_load_b128 v[67:70], off, off offset:112
	;; [unrolled: 1-line block ×9, first 2 shown]
	ds_load_b128 v[99:102], v1 offset:512
	ds_load_b128 v[103:106], v1 offset:528
	scratch_load_b128 v[107:110], off, off offset:80
	s_mov_b32 s0, exec_lo
	ds_load_b128 v[115:118], v1 offset:560
	s_wait_loadcnt_dscnt 0x902
	v_mul_f64_e32 v[2:3], v[101:102], v[8:9]
	v_mul_f64_e32 v[111:112], v[99:100], v[8:9]
	scratch_load_b128 v[8:11], off, off offset:240
	s_wait_loadcnt_dscnt 0x901
	v_mul_f64_e32 v[119:120], v[103:104], v[69:70]
	v_mul_f64_e32 v[69:70], v[105:106], v[69:70]
	v_fma_f64 v[2:3], v[99:100], v[6:7], -v[2:3]
	v_fma_f64 v[6:7], v[101:102], v[6:7], v[111:112]
	ds_load_b128 v[99:102], v1 offset:544
	scratch_load_b128 v[111:114], off, off offset:256
	v_fma_f64 v[105:106], v[105:106], v[67:68], v[119:120]
	v_fma_f64 v[103:104], v[103:104], v[67:68], -v[69:70]
	scratch_load_b128 v[67:70], off, off offset:272
	s_wait_loadcnt_dscnt 0x901
	v_mul_f64_e32 v[119:120], v[115:116], v[77:78]
	v_mul_f64_e32 v[77:78], v[117:118], v[77:78]
	s_wait_dscnt 0x0
	v_mul_f64_e32 v[121:122], v[99:100], v[73:74]
	v_mul_f64_e32 v[73:74], v[101:102], v[73:74]
	v_add_f64_e32 v[2:3], 0, v[2:3]
	v_add_f64_e32 v[6:7], 0, v[6:7]
	v_fma_f64 v[117:118], v[117:118], v[75:76], v[119:120]
	v_fma_f64 v[115:116], v[115:116], v[75:76], -v[77:78]
	scratch_load_b128 v[75:78], off, off offset:304
	v_fma_f64 v[121:122], v[101:102], v[71:72], v[121:122]
	v_fma_f64 v[123:124], v[99:100], v[71:72], -v[73:74]
	ds_load_b128 v[71:74], v1 offset:576
	scratch_load_b128 v[99:102], off, off offset:288
	v_add_f64_e32 v[2:3], v[2:3], v[103:104]
	v_add_f64_e32 v[6:7], v[6:7], v[105:106]
	ds_load_b128 v[103:106], v1 offset:592
	s_wait_loadcnt_dscnt 0xa01
	v_mul_f64_e32 v[125:126], v[71:72], v[81:82]
	v_mul_f64_e32 v[81:82], v[73:74], v[81:82]
	s_wait_loadcnt_dscnt 0x900
	v_mul_f64_e32 v[119:120], v[103:104], v[85:86]
	v_mul_f64_e32 v[85:86], v[105:106], v[85:86]
	v_add_f64_e32 v[2:3], v[2:3], v[123:124]
	v_add_f64_e32 v[6:7], v[6:7], v[121:122]
	v_fma_f64 v[121:122], v[73:74], v[79:80], v[125:126]
	v_fma_f64 v[123:124], v[71:72], v[79:80], -v[81:82]
	ds_load_b128 v[71:74], v1 offset:608
	scratch_load_b128 v[79:82], off, off offset:320
	v_fma_f64 v[105:106], v[105:106], v[83:84], v[119:120]
	v_fma_f64 v[103:104], v[103:104], v[83:84], -v[85:86]
	scratch_load_b128 v[83:86], off, off offset:336
	v_add_f64_e32 v[2:3], v[2:3], v[115:116]
	v_add_f64_e32 v[6:7], v[6:7], v[117:118]
	ds_load_b128 v[115:118], v1 offset:624
	s_wait_loadcnt_dscnt 0xa01
	v_mul_f64_e32 v[125:126], v[71:72], v[89:90]
	v_mul_f64_e32 v[89:90], v[73:74], v[89:90]
	s_wait_loadcnt_dscnt 0x900
	v_mul_f64_e32 v[119:120], v[115:116], v[93:94]
	v_mul_f64_e32 v[93:94], v[117:118], v[93:94]
	v_add_f64_e32 v[2:3], v[2:3], v[123:124]
	v_add_f64_e32 v[6:7], v[6:7], v[121:122]
	v_fma_f64 v[121:122], v[73:74], v[87:88], v[125:126]
	v_fma_f64 v[123:124], v[71:72], v[87:88], -v[89:90]
	ds_load_b128 v[71:74], v1 offset:640
	scratch_load_b128 v[87:90], off, off offset:352
	v_fma_f64 v[117:118], v[117:118], v[91:92], v[119:120]
	v_fma_f64 v[115:116], v[115:116], v[91:92], -v[93:94]
	scratch_load_b128 v[91:94], off, off offset:368
	v_add_f64_e32 v[2:3], v[2:3], v[103:104]
	v_add_f64_e32 v[6:7], v[6:7], v[105:106]
	ds_load_b128 v[103:106], v1 offset:656
	s_wait_loadcnt_dscnt 0xa01
	v_mul_f64_e32 v[125:126], v[71:72], v[97:98]
	v_mul_f64_e32 v[97:98], v[73:74], v[97:98]
	v_add_f64_e32 v[2:3], v[2:3], v[123:124]
	v_add_f64_e32 v[6:7], v[6:7], v[121:122]
	s_delay_alu instid0(VALU_DEP_4) | instskip(NEXT) | instid1(VALU_DEP_4)
	v_fma_f64 v[121:122], v[73:74], v[95:96], v[125:126]
	v_fma_f64 v[123:124], v[71:72], v[95:96], -v[97:98]
	ds_load_b128 v[71:74], v1 offset:672
	scratch_load_b128 v[95:98], off, off offset:384
	s_wait_loadcnt_dscnt 0x901
	v_mul_f64_e32 v[119:120], v[103:104], v[10:11]
	v_mul_f64_e32 v[10:11], v[105:106], v[10:11]
	v_add_f64_e32 v[2:3], v[2:3], v[115:116]
	v_add_f64_e32 v[6:7], v[6:7], v[117:118]
	ds_load_b128 v[115:118], v1 offset:688
	v_fma_f64 v[105:106], v[105:106], v[8:9], v[119:120]
	s_wait_loadcnt_dscnt 0x801
	v_mul_f64_e32 v[125:126], v[71:72], v[113:114]
	v_mul_f64_e32 v[113:114], v[73:74], v[113:114]
	v_fma_f64 v[10:11], v[103:104], v[8:9], -v[10:11]
	s_wait_loadcnt_dscnt 0x700
	v_mul_f64_e32 v[119:120], v[115:116], v[69:70]
	v_add_f64_e32 v[2:3], v[2:3], v[123:124]
	v_add_f64_e32 v[103:104], v[6:7], v[121:122]
	scratch_load_b128 v[6:9], off, off offset:400
	v_mul_f64_e32 v[121:122], v[117:118], v[69:70]
	v_fma_f64 v[73:74], v[73:74], v[111:112], v[125:126]
	v_fma_f64 v[123:124], v[71:72], v[111:112], -v[113:114]
	ds_load_b128 v[69:72], v1 offset:704
	ds_load_b128 v[111:114], v1 offset:720
	v_fma_f64 v[119:120], v[117:118], v[67:68], v[119:120]
	v_add_f64_e32 v[2:3], v[2:3], v[10:11]
	v_add_f64_e32 v[10:11], v[103:104], v[105:106]
	scratch_load_b128 v[103:106], off, off offset:416
	s_wait_loadcnt_dscnt 0x701
	v_mul_f64_e32 v[125:126], v[69:70], v[101:102]
	v_mul_f64_e32 v[101:102], v[71:72], v[101:102]
	v_fma_f64 v[67:68], v[115:116], v[67:68], -v[121:122]
	scratch_load_b128 v[115:118], off, off offset:432
	s_wait_dscnt 0x0
	v_mul_f64_e32 v[121:122], v[111:112], v[77:78]
	v_mul_f64_e32 v[77:78], v[113:114], v[77:78]
	v_add_f64_e32 v[2:3], v[2:3], v[123:124]
	v_add_f64_e32 v[10:11], v[10:11], v[73:74]
	v_fma_f64 v[123:124], v[71:72], v[99:100], v[125:126]
	v_fma_f64 v[99:100], v[69:70], v[99:100], -v[101:102]
	v_fma_f64 v[113:114], v[113:114], v[75:76], v[121:122]
	v_fma_f64 v[75:76], v[111:112], v[75:76], -v[77:78]
	v_add_f64_e32 v[2:3], v[2:3], v[67:68]
	v_add_f64_e32 v[10:11], v[10:11], v[119:120]
	ds_load_b128 v[67:70], v1 offset:736
	ds_load_b128 v[71:74], v1 offset:752
	s_wait_loadcnt_dscnt 0x701
	v_mul_f64_e32 v[101:102], v[67:68], v[81:82]
	v_mul_f64_e32 v[81:82], v[69:70], v[81:82]
	v_add_f64_e32 v[2:3], v[2:3], v[99:100]
	v_add_f64_e32 v[10:11], v[10:11], v[123:124]
	s_wait_loadcnt_dscnt 0x600
	v_mul_f64_e32 v[99:100], v[71:72], v[85:86]
	v_mul_f64_e32 v[85:86], v[73:74], v[85:86]
	v_fma_f64 v[101:102], v[69:70], v[79:80], v[101:102]
	v_fma_f64 v[79:80], v[67:68], v[79:80], -v[81:82]
	v_add_f64_e32 v[2:3], v[2:3], v[75:76]
	v_add_f64_e32 v[10:11], v[10:11], v[113:114]
	ds_load_b128 v[67:70], v1 offset:768
	ds_load_b128 v[75:78], v1 offset:784
	v_fma_f64 v[73:74], v[73:74], v[83:84], v[99:100]
	v_fma_f64 v[71:72], v[71:72], v[83:84], -v[85:86]
	s_wait_loadcnt_dscnt 0x501
	v_mul_f64_e32 v[81:82], v[67:68], v[89:90]
	v_mul_f64_e32 v[89:90], v[69:70], v[89:90]
	s_wait_loadcnt_dscnt 0x400
	v_mul_f64_e32 v[83:84], v[77:78], v[93:94]
	v_add_f64_e32 v[2:3], v[2:3], v[79:80]
	v_add_f64_e32 v[10:11], v[10:11], v[101:102]
	v_mul_f64_e32 v[79:80], v[75:76], v[93:94]
	v_fma_f64 v[81:82], v[69:70], v[87:88], v[81:82]
	v_fma_f64 v[85:86], v[67:68], v[87:88], -v[89:90]
	v_fma_f64 v[75:76], v[75:76], v[91:92], -v[83:84]
	v_add_f64_e32 v[2:3], v[2:3], v[71:72]
	v_add_f64_e32 v[10:11], v[10:11], v[73:74]
	ds_load_b128 v[67:70], v1 offset:800
	ds_load_b128 v[71:74], v1 offset:816
	v_fma_f64 v[77:78], v[77:78], v[91:92], v[79:80]
	s_wait_loadcnt_dscnt 0x301
	v_mul_f64_e32 v[87:88], v[67:68], v[97:98]
	v_mul_f64_e32 v[89:90], v[69:70], v[97:98]
	v_add_f64_e32 v[2:3], v[2:3], v[85:86]
	v_add_f64_e32 v[10:11], v[10:11], v[81:82]
	s_wait_loadcnt_dscnt 0x200
	v_mul_f64_e32 v[79:80], v[71:72], v[8:9]
	v_mul_f64_e32 v[81:82], v[73:74], v[8:9]
	v_fma_f64 v[69:70], v[69:70], v[95:96], v[87:88]
	v_fma_f64 v[67:68], v[67:68], v[95:96], -v[89:90]
	v_add_f64_e32 v[75:76], v[2:3], v[75:76]
	v_add_f64_e32 v[77:78], v[10:11], v[77:78]
	ds_load_b128 v[8:11], v1 offset:832
	ds_load_b128 v[1:4], v1 offset:848
	v_fma_f64 v[73:74], v[73:74], v[6:7], v[79:80]
	v_fma_f64 v[6:7], v[71:72], v[6:7], -v[81:82]
	s_wait_loadcnt_dscnt 0x101
	v_mul_f64_e32 v[83:84], v[8:9], v[105:106]
	v_mul_f64_e32 v[85:86], v[10:11], v[105:106]
	s_wait_loadcnt_dscnt 0x0
	v_mul_f64_e32 v[71:72], v[1:2], v[117:118]
	v_add_f64_e32 v[67:68], v[75:76], v[67:68]
	v_add_f64_e32 v[69:70], v[77:78], v[69:70]
	v_mul_f64_e32 v[75:76], v[3:4], v[117:118]
	v_fma_f64 v[10:11], v[10:11], v[103:104], v[83:84]
	v_fma_f64 v[8:9], v[8:9], v[103:104], -v[85:86]
	v_fma_f64 v[3:4], v[3:4], v[115:116], v[71:72]
	v_add_f64_e32 v[6:7], v[67:68], v[6:7]
	v_add_f64_e32 v[67:68], v[69:70], v[73:74]
	v_fma_f64 v[1:2], v[1:2], v[115:116], -v[75:76]
	s_delay_alu instid0(VALU_DEP_3) | instskip(NEXT) | instid1(VALU_DEP_3)
	v_add_f64_e32 v[6:7], v[6:7], v[8:9]
	v_add_f64_e32 v[8:9], v[67:68], v[10:11]
	s_delay_alu instid0(VALU_DEP_2) | instskip(NEXT) | instid1(VALU_DEP_2)
	v_add_f64_e32 v[1:2], v[6:7], v[1:2]
	v_add_f64_e32 v[3:4], v[8:9], v[3:4]
	s_delay_alu instid0(VALU_DEP_2) | instskip(NEXT) | instid1(VALU_DEP_2)
	v_add_f64_e64 v[1:2], v[107:108], -v[1:2]
	v_add_f64_e64 v[3:4], v[109:110], -v[3:4]
	scratch_store_b128 off, v[1:4], off offset:80
	v_cmpx_lt_u32_e32 3, v0
	s_cbranch_execz .LBB90_169
; %bb.168:
	scratch_load_b128 v[1:4], off, s21
	v_mov_b32_e32 v6, 0
	s_delay_alu instid0(VALU_DEP_1)
	v_dual_mov_b32 v7, v6 :: v_dual_mov_b32 v8, v6
	v_mov_b32_e32 v9, v6
	scratch_store_b128 off, v[6:9], off offset:64
	s_wait_loadcnt 0x0
	ds_store_b128 v5, v[1:4]
.LBB90_169:
	s_wait_alu 0xfffe
	s_or_b32 exec_lo, exec_lo, s0
	s_wait_storecnt_dscnt 0x0
	s_barrier_signal -1
	s_barrier_wait -1
	global_inv scope:SCOPE_SE
	s_clause 0x7
	scratch_load_b128 v[6:9], off, off offset:80
	scratch_load_b128 v[67:70], off, off offset:96
	;; [unrolled: 1-line block ×8, first 2 shown]
	v_mov_b32_e32 v1, 0
	s_mov_b32 s0, exec_lo
	ds_load_b128 v[95:98], v1 offset:496
	s_clause 0x1
	scratch_load_b128 v[99:102], off, off offset:208
	scratch_load_b128 v[103:106], off, off offset:64
	ds_load_b128 v[107:110], v1 offset:512
	ds_load_b128 v[115:118], v1 offset:544
	s_wait_loadcnt_dscnt 0x902
	v_mul_f64_e32 v[2:3], v[97:98], v[8:9]
	v_mul_f64_e32 v[111:112], v[95:96], v[8:9]
	scratch_load_b128 v[8:11], off, off offset:224
	v_fma_f64 v[2:3], v[95:96], v[6:7], -v[2:3]
	v_fma_f64 v[6:7], v[97:98], v[6:7], v[111:112]
	ds_load_b128 v[95:98], v1 offset:528
	s_wait_loadcnt_dscnt 0x902
	v_mul_f64_e32 v[119:120], v[107:108], v[69:70]
	v_mul_f64_e32 v[69:70], v[109:110], v[69:70]
	scratch_load_b128 v[111:114], off, off offset:240
	s_wait_loadcnt_dscnt 0x900
	v_mul_f64_e32 v[121:122], v[95:96], v[73:74]
	v_mul_f64_e32 v[73:74], v[97:98], v[73:74]
	v_add_f64_e32 v[2:3], 0, v[2:3]
	v_add_f64_e32 v[6:7], 0, v[6:7]
	v_fma_f64 v[109:110], v[109:110], v[67:68], v[119:120]
	v_fma_f64 v[107:108], v[107:108], v[67:68], -v[69:70]
	scratch_load_b128 v[67:70], off, off offset:256
	v_fma_f64 v[121:122], v[97:98], v[71:72], v[121:122]
	v_fma_f64 v[123:124], v[95:96], v[71:72], -v[73:74]
	ds_load_b128 v[71:74], v1 offset:560
	s_wait_loadcnt 0x9
	v_mul_f64_e32 v[119:120], v[115:116], v[77:78]
	v_mul_f64_e32 v[77:78], v[117:118], v[77:78]
	scratch_load_b128 v[95:98], off, off offset:272
	v_add_f64_e32 v[6:7], v[6:7], v[109:110]
	v_add_f64_e32 v[2:3], v[2:3], v[107:108]
	ds_load_b128 v[107:110], v1 offset:576
	s_wait_loadcnt_dscnt 0x901
	v_mul_f64_e32 v[125:126], v[71:72], v[81:82]
	v_mul_f64_e32 v[81:82], v[73:74], v[81:82]
	v_fma_f64 v[117:118], v[117:118], v[75:76], v[119:120]
	v_fma_f64 v[115:116], v[115:116], v[75:76], -v[77:78]
	scratch_load_b128 v[75:78], off, off offset:288
	v_add_f64_e32 v[6:7], v[6:7], v[121:122]
	v_add_f64_e32 v[2:3], v[2:3], v[123:124]
	v_fma_f64 v[121:122], v[73:74], v[79:80], v[125:126]
	v_fma_f64 v[123:124], v[71:72], v[79:80], -v[81:82]
	ds_load_b128 v[71:74], v1 offset:592
	s_wait_loadcnt_dscnt 0x901
	v_mul_f64_e32 v[119:120], v[107:108], v[85:86]
	v_mul_f64_e32 v[85:86], v[109:110], v[85:86]
	scratch_load_b128 v[79:82], off, off offset:304
	s_wait_loadcnt_dscnt 0x900
	v_mul_f64_e32 v[125:126], v[71:72], v[89:90]
	v_mul_f64_e32 v[89:90], v[73:74], v[89:90]
	v_add_f64_e32 v[6:7], v[6:7], v[117:118]
	v_add_f64_e32 v[2:3], v[2:3], v[115:116]
	ds_load_b128 v[115:118], v1 offset:608
	v_fma_f64 v[109:110], v[109:110], v[83:84], v[119:120]
	v_fma_f64 v[107:108], v[107:108], v[83:84], -v[85:86]
	scratch_load_b128 v[83:86], off, off offset:320
	v_add_f64_e32 v[6:7], v[6:7], v[121:122]
	v_add_f64_e32 v[2:3], v[2:3], v[123:124]
	v_fma_f64 v[121:122], v[73:74], v[87:88], v[125:126]
	v_fma_f64 v[123:124], v[71:72], v[87:88], -v[89:90]
	ds_load_b128 v[71:74], v1 offset:624
	s_wait_loadcnt_dscnt 0x901
	v_mul_f64_e32 v[119:120], v[115:116], v[93:94]
	v_mul_f64_e32 v[93:94], v[117:118], v[93:94]
	scratch_load_b128 v[87:90], off, off offset:336
	s_wait_loadcnt_dscnt 0x900
	v_mul_f64_e32 v[125:126], v[71:72], v[101:102]
	v_mul_f64_e32 v[101:102], v[73:74], v[101:102]
	v_add_f64_e32 v[6:7], v[6:7], v[109:110]
	v_add_f64_e32 v[2:3], v[2:3], v[107:108]
	ds_load_b128 v[107:110], v1 offset:640
	v_fma_f64 v[117:118], v[117:118], v[91:92], v[119:120]
	v_fma_f64 v[115:116], v[115:116], v[91:92], -v[93:94]
	scratch_load_b128 v[91:94], off, off offset:352
	v_add_f64_e32 v[6:7], v[6:7], v[121:122]
	v_add_f64_e32 v[2:3], v[2:3], v[123:124]
	v_fma_f64 v[121:122], v[73:74], v[99:100], v[125:126]
	v_fma_f64 v[123:124], v[71:72], v[99:100], -v[101:102]
	ds_load_b128 v[71:74], v1 offset:656
	scratch_load_b128 v[99:102], off, off offset:368
	s_wait_loadcnt_dscnt 0x901
	v_mul_f64_e32 v[119:120], v[107:108], v[10:11]
	v_mul_f64_e32 v[10:11], v[109:110], v[10:11]
	v_add_f64_e32 v[6:7], v[6:7], v[117:118]
	v_add_f64_e32 v[2:3], v[2:3], v[115:116]
	ds_load_b128 v[115:118], v1 offset:672
	v_fma_f64 v[109:110], v[109:110], v[8:9], v[119:120]
	v_fma_f64 v[10:11], v[107:108], v[8:9], -v[10:11]
	s_wait_loadcnt_dscnt 0x801
	v_mul_f64_e32 v[125:126], v[71:72], v[113:114]
	v_mul_f64_e32 v[113:114], v[73:74], v[113:114]
	v_add_f64_e32 v[107:108], v[6:7], v[121:122]
	v_add_f64_e32 v[2:3], v[2:3], v[123:124]
	scratch_load_b128 v[6:9], off, off offset:384
	v_fma_f64 v[73:74], v[73:74], v[111:112], v[125:126]
	v_fma_f64 v[123:124], v[71:72], v[111:112], -v[113:114]
	ds_load_b128 v[111:114], v1 offset:704
	s_wait_loadcnt_dscnt 0x801
	v_mul_f64_e32 v[119:120], v[115:116], v[69:70]
	v_mul_f64_e32 v[121:122], v[117:118], v[69:70]
	ds_load_b128 v[69:72], v1 offset:688
	v_add_f64_e32 v[2:3], v[2:3], v[10:11]
	v_add_f64_e32 v[10:11], v[107:108], v[109:110]
	scratch_load_b128 v[107:110], off, off offset:400
	s_wait_loadcnt_dscnt 0x800
	v_mul_f64_e32 v[125:126], v[69:70], v[97:98]
	v_mul_f64_e32 v[97:98], v[71:72], v[97:98]
	v_fma_f64 v[119:120], v[117:118], v[67:68], v[119:120]
	v_fma_f64 v[67:68], v[115:116], v[67:68], -v[121:122]
	scratch_load_b128 v[115:118], off, off offset:416
	v_add_f64_e32 v[2:3], v[2:3], v[123:124]
	v_add_f64_e32 v[10:11], v[10:11], v[73:74]
	s_wait_loadcnt 0x8
	v_mul_f64_e32 v[121:122], v[111:112], v[77:78]
	v_mul_f64_e32 v[77:78], v[113:114], v[77:78]
	v_fma_f64 v[123:124], v[71:72], v[95:96], v[125:126]
	v_fma_f64 v[125:126], v[69:70], v[95:96], -v[97:98]
	scratch_load_b128 v[71:74], off, off offset:432
	ds_load_b128 v[95:98], v1 offset:736
	v_add_f64_e32 v[2:3], v[2:3], v[67:68]
	v_add_f64_e32 v[10:11], v[10:11], v[119:120]
	ds_load_b128 v[67:70], v1 offset:720
	v_fma_f64 v[113:114], v[113:114], v[75:76], v[121:122]
	v_fma_f64 v[75:76], v[111:112], v[75:76], -v[77:78]
	s_wait_loadcnt_dscnt 0x800
	v_mul_f64_e32 v[119:120], v[67:68], v[81:82]
	v_mul_f64_e32 v[81:82], v[69:70], v[81:82]
	s_wait_loadcnt 0x7
	v_mul_f64_e32 v[111:112], v[95:96], v[85:86]
	v_mul_f64_e32 v[85:86], v[97:98], v[85:86]
	v_add_f64_e32 v[2:3], v[2:3], v[125:126]
	v_add_f64_e32 v[10:11], v[10:11], v[123:124]
	v_fma_f64 v[119:120], v[69:70], v[79:80], v[119:120]
	v_fma_f64 v[79:80], v[67:68], v[79:80], -v[81:82]
	v_fma_f64 v[97:98], v[97:98], v[83:84], v[111:112]
	v_fma_f64 v[83:84], v[95:96], v[83:84], -v[85:86]
	v_add_f64_e32 v[2:3], v[2:3], v[75:76]
	v_add_f64_e32 v[10:11], v[10:11], v[113:114]
	ds_load_b128 v[67:70], v1 offset:752
	ds_load_b128 v[75:78], v1 offset:768
	s_wait_loadcnt_dscnt 0x601
	v_mul_f64_e32 v[81:82], v[67:68], v[89:90]
	v_mul_f64_e32 v[89:90], v[69:70], v[89:90]
	s_wait_loadcnt_dscnt 0x500
	v_mul_f64_e32 v[85:86], v[75:76], v[93:94]
	v_mul_f64_e32 v[93:94], v[77:78], v[93:94]
	v_add_f64_e32 v[2:3], v[2:3], v[79:80]
	v_add_f64_e32 v[10:11], v[10:11], v[119:120]
	v_fma_f64 v[95:96], v[69:70], v[87:88], v[81:82]
	v_fma_f64 v[87:88], v[67:68], v[87:88], -v[89:90]
	ds_load_b128 v[67:70], v1 offset:784
	ds_load_b128 v[79:82], v1 offset:800
	v_fma_f64 v[77:78], v[77:78], v[91:92], v[85:86]
	v_fma_f64 v[75:76], v[75:76], v[91:92], -v[93:94]
	v_add_f64_e32 v[2:3], v[2:3], v[83:84]
	v_add_f64_e32 v[10:11], v[10:11], v[97:98]
	s_wait_loadcnt_dscnt 0x401
	v_mul_f64_e32 v[83:84], v[67:68], v[101:102]
	v_mul_f64_e32 v[89:90], v[69:70], v[101:102]
	s_delay_alu instid0(VALU_DEP_4) | instskip(NEXT) | instid1(VALU_DEP_4)
	v_add_f64_e32 v[2:3], v[2:3], v[87:88]
	v_add_f64_e32 v[10:11], v[10:11], v[95:96]
	s_delay_alu instid0(VALU_DEP_4) | instskip(NEXT) | instid1(VALU_DEP_4)
	v_fma_f64 v[83:84], v[69:70], v[99:100], v[83:84]
	v_fma_f64 v[89:90], v[67:68], v[99:100], -v[89:90]
	s_wait_loadcnt_dscnt 0x300
	v_mul_f64_e32 v[85:86], v[79:80], v[8:9]
	v_mul_f64_e32 v[87:88], v[81:82], v[8:9]
	v_add_f64_e32 v[2:3], v[2:3], v[75:76]
	v_add_f64_e32 v[75:76], v[10:11], v[77:78]
	ds_load_b128 v[8:11], v1 offset:816
	ds_load_b128 v[67:70], v1 offset:832
	v_fma_f64 v[81:82], v[81:82], v[6:7], v[85:86]
	v_fma_f64 v[6:7], v[79:80], v[6:7], -v[87:88]
	s_wait_loadcnt_dscnt 0x201
	v_mul_f64_e32 v[77:78], v[8:9], v[109:110]
	v_mul_f64_e32 v[91:92], v[10:11], v[109:110]
	s_wait_loadcnt_dscnt 0x100
	v_mul_f64_e32 v[79:80], v[67:68], v[117:118]
	v_add_f64_e32 v[2:3], v[2:3], v[89:90]
	v_add_f64_e32 v[75:76], v[75:76], v[83:84]
	v_mul_f64_e32 v[83:84], v[69:70], v[117:118]
	v_fma_f64 v[10:11], v[10:11], v[107:108], v[77:78]
	v_fma_f64 v[77:78], v[8:9], v[107:108], -v[91:92]
	v_fma_f64 v[69:70], v[69:70], v[115:116], v[79:80]
	v_add_f64_e32 v[2:3], v[2:3], v[6:7]
	v_add_f64_e32 v[75:76], v[75:76], v[81:82]
	ds_load_b128 v[6:9], v1 offset:848
	v_fma_f64 v[67:68], v[67:68], v[115:116], -v[83:84]
	s_wait_loadcnt_dscnt 0x0
	v_mul_f64_e32 v[81:82], v[6:7], v[73:74]
	v_mul_f64_e32 v[73:74], v[8:9], v[73:74]
	v_add_f64_e32 v[2:3], v[2:3], v[77:78]
	v_add_f64_e32 v[10:11], v[75:76], v[10:11]
	s_delay_alu instid0(VALU_DEP_4) | instskip(NEXT) | instid1(VALU_DEP_4)
	v_fma_f64 v[8:9], v[8:9], v[71:72], v[81:82]
	v_fma_f64 v[6:7], v[6:7], v[71:72], -v[73:74]
	s_delay_alu instid0(VALU_DEP_4) | instskip(NEXT) | instid1(VALU_DEP_4)
	v_add_f64_e32 v[2:3], v[2:3], v[67:68]
	v_add_f64_e32 v[10:11], v[10:11], v[69:70]
	s_delay_alu instid0(VALU_DEP_2) | instskip(NEXT) | instid1(VALU_DEP_2)
	v_add_f64_e32 v[2:3], v[2:3], v[6:7]
	v_add_f64_e32 v[8:9], v[10:11], v[8:9]
	s_delay_alu instid0(VALU_DEP_2) | instskip(NEXT) | instid1(VALU_DEP_2)
	v_add_f64_e64 v[6:7], v[103:104], -v[2:3]
	v_add_f64_e64 v[8:9], v[105:106], -v[8:9]
	scratch_store_b128 off, v[6:9], off offset:64
	v_cmpx_lt_u32_e32 2, v0
	s_cbranch_execz .LBB90_171
; %bb.170:
	scratch_load_b128 v[6:9], off, s34
	v_dual_mov_b32 v2, v1 :: v_dual_mov_b32 v3, v1
	v_mov_b32_e32 v4, v1
	scratch_store_b128 off, v[1:4], off offset:48
	s_wait_loadcnt 0x0
	ds_store_b128 v5, v[6:9]
.LBB90_171:
	s_wait_alu 0xfffe
	s_or_b32 exec_lo, exec_lo, s0
	s_wait_storecnt_dscnt 0x0
	s_barrier_signal -1
	s_barrier_wait -1
	global_inv scope:SCOPE_SE
	s_clause 0x8
	scratch_load_b128 v[6:9], off, off offset:64
	scratch_load_b128 v[67:70], off, off offset:80
	;; [unrolled: 1-line block ×9, first 2 shown]
	ds_load_b128 v[99:102], v1 offset:480
	ds_load_b128 v[103:106], v1 offset:496
	scratch_load_b128 v[107:110], off, off offset:48
	s_mov_b32 s0, exec_lo
	ds_load_b128 v[115:118], v1 offset:528
	s_wait_loadcnt_dscnt 0x902
	v_mul_f64_e32 v[2:3], v[101:102], v[8:9]
	v_mul_f64_e32 v[111:112], v[99:100], v[8:9]
	scratch_load_b128 v[8:11], off, off offset:208
	s_wait_loadcnt_dscnt 0x901
	v_mul_f64_e32 v[119:120], v[103:104], v[69:70]
	v_mul_f64_e32 v[69:70], v[105:106], v[69:70]
	v_fma_f64 v[2:3], v[99:100], v[6:7], -v[2:3]
	v_fma_f64 v[6:7], v[101:102], v[6:7], v[111:112]
	ds_load_b128 v[99:102], v1 offset:512
	scratch_load_b128 v[111:114], off, off offset:224
	v_fma_f64 v[105:106], v[105:106], v[67:68], v[119:120]
	v_fma_f64 v[103:104], v[103:104], v[67:68], -v[69:70]
	scratch_load_b128 v[67:70], off, off offset:240
	s_wait_loadcnt_dscnt 0x901
	v_mul_f64_e32 v[119:120], v[115:116], v[77:78]
	v_mul_f64_e32 v[77:78], v[117:118], v[77:78]
	s_wait_dscnt 0x0
	v_mul_f64_e32 v[121:122], v[99:100], v[73:74]
	v_mul_f64_e32 v[73:74], v[101:102], v[73:74]
	v_add_f64_e32 v[2:3], 0, v[2:3]
	v_add_f64_e32 v[6:7], 0, v[6:7]
	v_fma_f64 v[117:118], v[117:118], v[75:76], v[119:120]
	v_fma_f64 v[115:116], v[115:116], v[75:76], -v[77:78]
	scratch_load_b128 v[75:78], off, off offset:272
	v_fma_f64 v[121:122], v[101:102], v[71:72], v[121:122]
	v_fma_f64 v[123:124], v[99:100], v[71:72], -v[73:74]
	ds_load_b128 v[71:74], v1 offset:544
	scratch_load_b128 v[99:102], off, off offset:256
	v_add_f64_e32 v[2:3], v[2:3], v[103:104]
	v_add_f64_e32 v[6:7], v[6:7], v[105:106]
	ds_load_b128 v[103:106], v1 offset:560
	s_wait_loadcnt_dscnt 0xa01
	v_mul_f64_e32 v[125:126], v[71:72], v[81:82]
	v_mul_f64_e32 v[81:82], v[73:74], v[81:82]
	s_wait_loadcnt_dscnt 0x900
	v_mul_f64_e32 v[119:120], v[103:104], v[85:86]
	v_mul_f64_e32 v[85:86], v[105:106], v[85:86]
	v_add_f64_e32 v[2:3], v[2:3], v[123:124]
	v_add_f64_e32 v[6:7], v[6:7], v[121:122]
	v_fma_f64 v[121:122], v[73:74], v[79:80], v[125:126]
	v_fma_f64 v[123:124], v[71:72], v[79:80], -v[81:82]
	ds_load_b128 v[71:74], v1 offset:576
	scratch_load_b128 v[79:82], off, off offset:288
	v_fma_f64 v[105:106], v[105:106], v[83:84], v[119:120]
	v_fma_f64 v[103:104], v[103:104], v[83:84], -v[85:86]
	scratch_load_b128 v[83:86], off, off offset:304
	v_add_f64_e32 v[2:3], v[2:3], v[115:116]
	v_add_f64_e32 v[6:7], v[6:7], v[117:118]
	ds_load_b128 v[115:118], v1 offset:592
	s_wait_loadcnt_dscnt 0xa01
	v_mul_f64_e32 v[125:126], v[71:72], v[89:90]
	v_mul_f64_e32 v[89:90], v[73:74], v[89:90]
	s_wait_loadcnt_dscnt 0x900
	v_mul_f64_e32 v[119:120], v[115:116], v[93:94]
	v_mul_f64_e32 v[93:94], v[117:118], v[93:94]
	v_add_f64_e32 v[2:3], v[2:3], v[123:124]
	v_add_f64_e32 v[6:7], v[6:7], v[121:122]
	v_fma_f64 v[121:122], v[73:74], v[87:88], v[125:126]
	v_fma_f64 v[123:124], v[71:72], v[87:88], -v[89:90]
	ds_load_b128 v[71:74], v1 offset:608
	scratch_load_b128 v[87:90], off, off offset:320
	v_fma_f64 v[117:118], v[117:118], v[91:92], v[119:120]
	v_fma_f64 v[115:116], v[115:116], v[91:92], -v[93:94]
	scratch_load_b128 v[91:94], off, off offset:336
	v_add_f64_e32 v[2:3], v[2:3], v[103:104]
	v_add_f64_e32 v[6:7], v[6:7], v[105:106]
	ds_load_b128 v[103:106], v1 offset:624
	s_wait_loadcnt_dscnt 0xa01
	v_mul_f64_e32 v[125:126], v[71:72], v[97:98]
	v_mul_f64_e32 v[97:98], v[73:74], v[97:98]
	v_add_f64_e32 v[2:3], v[2:3], v[123:124]
	v_add_f64_e32 v[6:7], v[6:7], v[121:122]
	s_delay_alu instid0(VALU_DEP_4) | instskip(NEXT) | instid1(VALU_DEP_4)
	v_fma_f64 v[121:122], v[73:74], v[95:96], v[125:126]
	v_fma_f64 v[123:124], v[71:72], v[95:96], -v[97:98]
	ds_load_b128 v[71:74], v1 offset:640
	scratch_load_b128 v[95:98], off, off offset:352
	s_wait_loadcnt_dscnt 0x901
	v_mul_f64_e32 v[119:120], v[103:104], v[10:11]
	v_mul_f64_e32 v[10:11], v[105:106], v[10:11]
	v_add_f64_e32 v[2:3], v[2:3], v[115:116]
	v_add_f64_e32 v[6:7], v[6:7], v[117:118]
	ds_load_b128 v[115:118], v1 offset:656
	v_fma_f64 v[105:106], v[105:106], v[8:9], v[119:120]
	s_wait_loadcnt_dscnt 0x801
	v_mul_f64_e32 v[125:126], v[71:72], v[113:114]
	v_mul_f64_e32 v[113:114], v[73:74], v[113:114]
	v_fma_f64 v[10:11], v[103:104], v[8:9], -v[10:11]
	s_wait_loadcnt_dscnt 0x700
	v_mul_f64_e32 v[119:120], v[115:116], v[69:70]
	v_add_f64_e32 v[2:3], v[2:3], v[123:124]
	v_add_f64_e32 v[103:104], v[6:7], v[121:122]
	scratch_load_b128 v[6:9], off, off offset:368
	v_mul_f64_e32 v[121:122], v[117:118], v[69:70]
	v_fma_f64 v[73:74], v[73:74], v[111:112], v[125:126]
	v_fma_f64 v[123:124], v[71:72], v[111:112], -v[113:114]
	ds_load_b128 v[69:72], v1 offset:672
	ds_load_b128 v[111:114], v1 offset:688
	v_fma_f64 v[119:120], v[117:118], v[67:68], v[119:120]
	v_add_f64_e32 v[2:3], v[2:3], v[10:11]
	v_add_f64_e32 v[10:11], v[103:104], v[105:106]
	scratch_load_b128 v[103:106], off, off offset:384
	s_wait_loadcnt_dscnt 0x701
	v_mul_f64_e32 v[125:126], v[69:70], v[101:102]
	v_mul_f64_e32 v[101:102], v[71:72], v[101:102]
	v_fma_f64 v[67:68], v[115:116], v[67:68], -v[121:122]
	scratch_load_b128 v[115:118], off, off offset:400
	s_wait_dscnt 0x0
	v_mul_f64_e32 v[121:122], v[111:112], v[77:78]
	v_mul_f64_e32 v[77:78], v[113:114], v[77:78]
	v_add_f64_e32 v[2:3], v[2:3], v[123:124]
	v_add_f64_e32 v[10:11], v[10:11], v[73:74]
	v_fma_f64 v[123:124], v[71:72], v[99:100], v[125:126]
	v_fma_f64 v[125:126], v[69:70], v[99:100], -v[101:102]
	scratch_load_b128 v[71:74], off, off offset:416
	ds_load_b128 v[99:102], v1 offset:720
	v_fma_f64 v[113:114], v[113:114], v[75:76], v[121:122]
	v_fma_f64 v[111:112], v[111:112], v[75:76], -v[77:78]
	scratch_load_b128 v[75:78], off, off offset:432
	v_add_f64_e32 v[2:3], v[2:3], v[67:68]
	v_add_f64_e32 v[10:11], v[10:11], v[119:120]
	ds_load_b128 v[67:70], v1 offset:704
	s_wait_loadcnt_dscnt 0x801
	v_mul_f64_e32 v[121:122], v[99:100], v[85:86]
	v_mul_f64_e32 v[85:86], v[101:102], v[85:86]
	s_wait_dscnt 0x0
	v_mul_f64_e32 v[119:120], v[67:68], v[81:82]
	v_mul_f64_e32 v[81:82], v[69:70], v[81:82]
	v_add_f64_e32 v[2:3], v[2:3], v[125:126]
	v_add_f64_e32 v[10:11], v[10:11], v[123:124]
	v_fma_f64 v[101:102], v[101:102], v[83:84], v[121:122]
	v_fma_f64 v[83:84], v[99:100], v[83:84], -v[85:86]
	v_fma_f64 v[119:120], v[69:70], v[79:80], v[119:120]
	v_fma_f64 v[123:124], v[67:68], v[79:80], -v[81:82]
	ds_load_b128 v[67:70], v1 offset:736
	ds_load_b128 v[79:82], v1 offset:752
	v_add_f64_e32 v[2:3], v[2:3], v[111:112]
	v_add_f64_e32 v[10:11], v[10:11], v[113:114]
	s_wait_loadcnt_dscnt 0x701
	v_mul_f64_e32 v[111:112], v[67:68], v[89:90]
	v_mul_f64_e32 v[89:90], v[69:70], v[89:90]
	s_wait_loadcnt_dscnt 0x600
	v_mul_f64_e32 v[99:100], v[79:80], v[93:94]
	v_mul_f64_e32 v[93:94], v[81:82], v[93:94]
	v_add_f64_e32 v[2:3], v[2:3], v[123:124]
	v_add_f64_e32 v[10:11], v[10:11], v[119:120]
	v_fma_f64 v[111:112], v[69:70], v[87:88], v[111:112]
	v_fma_f64 v[87:88], v[67:68], v[87:88], -v[89:90]
	v_fma_f64 v[81:82], v[81:82], v[91:92], v[99:100]
	v_fma_f64 v[79:80], v[79:80], v[91:92], -v[93:94]
	v_add_f64_e32 v[2:3], v[2:3], v[83:84]
	v_add_f64_e32 v[10:11], v[10:11], v[101:102]
	ds_load_b128 v[67:70], v1 offset:768
	ds_load_b128 v[83:86], v1 offset:784
	s_wait_loadcnt_dscnt 0x501
	v_mul_f64_e32 v[89:90], v[67:68], v[97:98]
	v_mul_f64_e32 v[97:98], v[69:70], v[97:98]
	v_add_f64_e32 v[2:3], v[2:3], v[87:88]
	v_add_f64_e32 v[10:11], v[10:11], v[111:112]
	s_wait_loadcnt_dscnt 0x400
	v_mul_f64_e32 v[87:88], v[83:84], v[8:9]
	v_mul_f64_e32 v[91:92], v[85:86], v[8:9]
	v_fma_f64 v[89:90], v[69:70], v[95:96], v[89:90]
	v_fma_f64 v[93:94], v[67:68], v[95:96], -v[97:98]
	v_add_f64_e32 v[2:3], v[2:3], v[79:80]
	v_add_f64_e32 v[79:80], v[10:11], v[81:82]
	ds_load_b128 v[8:11], v1 offset:800
	ds_load_b128 v[67:70], v1 offset:816
	v_fma_f64 v[85:86], v[85:86], v[6:7], v[87:88]
	v_fma_f64 v[6:7], v[83:84], v[6:7], -v[91:92]
	s_wait_loadcnt_dscnt 0x301
	v_mul_f64_e32 v[81:82], v[8:9], v[105:106]
	v_mul_f64_e32 v[95:96], v[10:11], v[105:106]
	s_wait_loadcnt_dscnt 0x200
	v_mul_f64_e32 v[83:84], v[67:68], v[117:118]
	v_mul_f64_e32 v[87:88], v[69:70], v[117:118]
	v_add_f64_e32 v[2:3], v[2:3], v[93:94]
	v_add_f64_e32 v[79:80], v[79:80], v[89:90]
	v_fma_f64 v[10:11], v[10:11], v[103:104], v[81:82]
	v_fma_f64 v[81:82], v[8:9], v[103:104], -v[95:96]
	v_fma_f64 v[69:70], v[69:70], v[115:116], v[83:84]
	v_fma_f64 v[67:68], v[67:68], v[115:116], -v[87:88]
	v_add_f64_e32 v[89:90], v[2:3], v[6:7]
	v_add_f64_e32 v[79:80], v[79:80], v[85:86]
	ds_load_b128 v[6:9], v1 offset:832
	ds_load_b128 v[1:4], v1 offset:848
	s_wait_loadcnt_dscnt 0x101
	v_mul_f64_e32 v[85:86], v[6:7], v[73:74]
	v_mul_f64_e32 v[73:74], v[8:9], v[73:74]
	v_add_f64_e32 v[81:82], v[89:90], v[81:82]
	v_add_f64_e32 v[10:11], v[79:80], v[10:11]
	s_wait_loadcnt_dscnt 0x0
	v_mul_f64_e32 v[79:80], v[1:2], v[77:78]
	v_mul_f64_e32 v[77:78], v[3:4], v[77:78]
	v_fma_f64 v[8:9], v[8:9], v[71:72], v[85:86]
	v_fma_f64 v[6:7], v[6:7], v[71:72], -v[73:74]
	v_add_f64_e32 v[67:68], v[81:82], v[67:68]
	v_add_f64_e32 v[10:11], v[10:11], v[69:70]
	v_fma_f64 v[3:4], v[3:4], v[75:76], v[79:80]
	v_fma_f64 v[1:2], v[1:2], v[75:76], -v[77:78]
	s_delay_alu instid0(VALU_DEP_4) | instskip(NEXT) | instid1(VALU_DEP_4)
	v_add_f64_e32 v[6:7], v[67:68], v[6:7]
	v_add_f64_e32 v[8:9], v[10:11], v[8:9]
	s_delay_alu instid0(VALU_DEP_2) | instskip(NEXT) | instid1(VALU_DEP_2)
	v_add_f64_e32 v[1:2], v[6:7], v[1:2]
	v_add_f64_e32 v[3:4], v[8:9], v[3:4]
	s_delay_alu instid0(VALU_DEP_2) | instskip(NEXT) | instid1(VALU_DEP_2)
	v_add_f64_e64 v[1:2], v[107:108], -v[1:2]
	v_add_f64_e64 v[3:4], v[109:110], -v[3:4]
	scratch_store_b128 off, v[1:4], off offset:48
	v_cmpx_lt_u32_e32 1, v0
	s_cbranch_execz .LBB90_173
; %bb.172:
	scratch_load_b128 v[1:4], off, s35
	v_mov_b32_e32 v6, 0
	s_delay_alu instid0(VALU_DEP_1)
	v_dual_mov_b32 v7, v6 :: v_dual_mov_b32 v8, v6
	v_mov_b32_e32 v9, v6
	scratch_store_b128 off, v[6:9], off offset:32
	s_wait_loadcnt 0x0
	ds_store_b128 v5, v[1:4]
.LBB90_173:
	s_wait_alu 0xfffe
	s_or_b32 exec_lo, exec_lo, s0
	s_wait_storecnt_dscnt 0x0
	s_barrier_signal -1
	s_barrier_wait -1
	global_inv scope:SCOPE_SE
	s_clause 0x7
	scratch_load_b128 v[6:9], off, off offset:48
	scratch_load_b128 v[67:70], off, off offset:64
	;; [unrolled: 1-line block ×8, first 2 shown]
	v_mov_b32_e32 v1, 0
	s_mov_b32 s0, exec_lo
	ds_load_b128 v[95:98], v1 offset:464
	s_clause 0x1
	scratch_load_b128 v[99:102], off, off offset:176
	scratch_load_b128 v[103:106], off, off offset:32
	ds_load_b128 v[107:110], v1 offset:480
	ds_load_b128 v[115:118], v1 offset:512
	s_wait_loadcnt_dscnt 0x902
	v_mul_f64_e32 v[2:3], v[97:98], v[8:9]
	v_mul_f64_e32 v[111:112], v[95:96], v[8:9]
	scratch_load_b128 v[8:11], off, off offset:192
	v_fma_f64 v[2:3], v[95:96], v[6:7], -v[2:3]
	v_fma_f64 v[6:7], v[97:98], v[6:7], v[111:112]
	ds_load_b128 v[95:98], v1 offset:496
	s_wait_loadcnt_dscnt 0x902
	v_mul_f64_e32 v[119:120], v[107:108], v[69:70]
	v_mul_f64_e32 v[69:70], v[109:110], v[69:70]
	scratch_load_b128 v[111:114], off, off offset:208
	s_wait_loadcnt_dscnt 0x900
	v_mul_f64_e32 v[121:122], v[95:96], v[73:74]
	v_mul_f64_e32 v[73:74], v[97:98], v[73:74]
	v_add_f64_e32 v[2:3], 0, v[2:3]
	v_add_f64_e32 v[6:7], 0, v[6:7]
	v_fma_f64 v[109:110], v[109:110], v[67:68], v[119:120]
	v_fma_f64 v[107:108], v[107:108], v[67:68], -v[69:70]
	scratch_load_b128 v[67:70], off, off offset:224
	v_fma_f64 v[121:122], v[97:98], v[71:72], v[121:122]
	v_fma_f64 v[123:124], v[95:96], v[71:72], -v[73:74]
	ds_load_b128 v[71:74], v1 offset:528
	s_wait_loadcnt 0x9
	v_mul_f64_e32 v[119:120], v[115:116], v[77:78]
	v_mul_f64_e32 v[77:78], v[117:118], v[77:78]
	scratch_load_b128 v[95:98], off, off offset:240
	v_add_f64_e32 v[6:7], v[6:7], v[109:110]
	v_add_f64_e32 v[2:3], v[2:3], v[107:108]
	ds_load_b128 v[107:110], v1 offset:544
	s_wait_loadcnt_dscnt 0x901
	v_mul_f64_e32 v[125:126], v[71:72], v[81:82]
	v_mul_f64_e32 v[81:82], v[73:74], v[81:82]
	v_fma_f64 v[117:118], v[117:118], v[75:76], v[119:120]
	v_fma_f64 v[115:116], v[115:116], v[75:76], -v[77:78]
	scratch_load_b128 v[75:78], off, off offset:256
	v_add_f64_e32 v[6:7], v[6:7], v[121:122]
	v_add_f64_e32 v[2:3], v[2:3], v[123:124]
	v_fma_f64 v[121:122], v[73:74], v[79:80], v[125:126]
	v_fma_f64 v[123:124], v[71:72], v[79:80], -v[81:82]
	ds_load_b128 v[71:74], v1 offset:560
	s_wait_loadcnt_dscnt 0x901
	v_mul_f64_e32 v[119:120], v[107:108], v[85:86]
	v_mul_f64_e32 v[85:86], v[109:110], v[85:86]
	scratch_load_b128 v[79:82], off, off offset:272
	s_wait_loadcnt_dscnt 0x900
	v_mul_f64_e32 v[125:126], v[71:72], v[89:90]
	v_mul_f64_e32 v[89:90], v[73:74], v[89:90]
	v_add_f64_e32 v[6:7], v[6:7], v[117:118]
	v_add_f64_e32 v[2:3], v[2:3], v[115:116]
	ds_load_b128 v[115:118], v1 offset:576
	v_fma_f64 v[109:110], v[109:110], v[83:84], v[119:120]
	v_fma_f64 v[107:108], v[107:108], v[83:84], -v[85:86]
	scratch_load_b128 v[83:86], off, off offset:288
	v_add_f64_e32 v[6:7], v[6:7], v[121:122]
	v_add_f64_e32 v[2:3], v[2:3], v[123:124]
	v_fma_f64 v[121:122], v[73:74], v[87:88], v[125:126]
	v_fma_f64 v[123:124], v[71:72], v[87:88], -v[89:90]
	ds_load_b128 v[71:74], v1 offset:592
	s_wait_loadcnt_dscnt 0x901
	v_mul_f64_e32 v[119:120], v[115:116], v[93:94]
	v_mul_f64_e32 v[93:94], v[117:118], v[93:94]
	scratch_load_b128 v[87:90], off, off offset:304
	s_wait_loadcnt_dscnt 0x900
	v_mul_f64_e32 v[125:126], v[71:72], v[101:102]
	v_mul_f64_e32 v[101:102], v[73:74], v[101:102]
	v_add_f64_e32 v[6:7], v[6:7], v[109:110]
	v_add_f64_e32 v[2:3], v[2:3], v[107:108]
	ds_load_b128 v[107:110], v1 offset:608
	v_fma_f64 v[117:118], v[117:118], v[91:92], v[119:120]
	v_fma_f64 v[115:116], v[115:116], v[91:92], -v[93:94]
	scratch_load_b128 v[91:94], off, off offset:320
	v_add_f64_e32 v[6:7], v[6:7], v[121:122]
	v_add_f64_e32 v[2:3], v[2:3], v[123:124]
	v_fma_f64 v[121:122], v[73:74], v[99:100], v[125:126]
	v_fma_f64 v[123:124], v[71:72], v[99:100], -v[101:102]
	ds_load_b128 v[71:74], v1 offset:624
	scratch_load_b128 v[99:102], off, off offset:336
	s_wait_loadcnt_dscnt 0x901
	v_mul_f64_e32 v[119:120], v[107:108], v[10:11]
	v_mul_f64_e32 v[10:11], v[109:110], v[10:11]
	v_add_f64_e32 v[6:7], v[6:7], v[117:118]
	v_add_f64_e32 v[2:3], v[2:3], v[115:116]
	ds_load_b128 v[115:118], v1 offset:640
	v_fma_f64 v[109:110], v[109:110], v[8:9], v[119:120]
	v_fma_f64 v[10:11], v[107:108], v[8:9], -v[10:11]
	s_wait_loadcnt_dscnt 0x801
	v_mul_f64_e32 v[125:126], v[71:72], v[113:114]
	v_mul_f64_e32 v[113:114], v[73:74], v[113:114]
	v_add_f64_e32 v[107:108], v[6:7], v[121:122]
	v_add_f64_e32 v[2:3], v[2:3], v[123:124]
	scratch_load_b128 v[6:9], off, off offset:352
	v_fma_f64 v[73:74], v[73:74], v[111:112], v[125:126]
	v_fma_f64 v[123:124], v[71:72], v[111:112], -v[113:114]
	ds_load_b128 v[111:114], v1 offset:672
	s_wait_loadcnt_dscnt 0x801
	v_mul_f64_e32 v[119:120], v[115:116], v[69:70]
	v_mul_f64_e32 v[121:122], v[117:118], v[69:70]
	ds_load_b128 v[69:72], v1 offset:656
	v_add_f64_e32 v[2:3], v[2:3], v[10:11]
	v_add_f64_e32 v[10:11], v[107:108], v[109:110]
	scratch_load_b128 v[107:110], off, off offset:368
	s_wait_loadcnt_dscnt 0x800
	v_mul_f64_e32 v[125:126], v[69:70], v[97:98]
	v_mul_f64_e32 v[97:98], v[71:72], v[97:98]
	v_fma_f64 v[119:120], v[117:118], v[67:68], v[119:120]
	v_fma_f64 v[67:68], v[115:116], v[67:68], -v[121:122]
	scratch_load_b128 v[115:118], off, off offset:384
	v_add_f64_e32 v[2:3], v[2:3], v[123:124]
	v_add_f64_e32 v[10:11], v[10:11], v[73:74]
	s_wait_loadcnt 0x8
	v_mul_f64_e32 v[121:122], v[111:112], v[77:78]
	v_mul_f64_e32 v[77:78], v[113:114], v[77:78]
	v_fma_f64 v[123:124], v[71:72], v[95:96], v[125:126]
	v_fma_f64 v[125:126], v[69:70], v[95:96], -v[97:98]
	scratch_load_b128 v[71:74], off, off offset:400
	ds_load_b128 v[95:98], v1 offset:704
	v_add_f64_e32 v[2:3], v[2:3], v[67:68]
	v_add_f64_e32 v[10:11], v[10:11], v[119:120]
	ds_load_b128 v[67:70], v1 offset:688
	v_fma_f64 v[113:114], v[113:114], v[75:76], v[121:122]
	v_fma_f64 v[111:112], v[111:112], v[75:76], -v[77:78]
	scratch_load_b128 v[75:78], off, off offset:416
	s_wait_loadcnt_dscnt 0x900
	v_mul_f64_e32 v[119:120], v[67:68], v[81:82]
	v_mul_f64_e32 v[81:82], v[69:70], v[81:82]
	s_wait_loadcnt 0x8
	v_mul_f64_e32 v[121:122], v[95:96], v[85:86]
	v_mul_f64_e32 v[85:86], v[97:98], v[85:86]
	v_add_f64_e32 v[2:3], v[2:3], v[125:126]
	v_add_f64_e32 v[10:11], v[10:11], v[123:124]
	v_fma_f64 v[119:120], v[69:70], v[79:80], v[119:120]
	v_fma_f64 v[123:124], v[67:68], v[79:80], -v[81:82]
	ds_load_b128 v[67:70], v1 offset:720
	scratch_load_b128 v[79:82], off, off offset:432
	v_fma_f64 v[97:98], v[97:98], v[83:84], v[121:122]
	v_fma_f64 v[83:84], v[95:96], v[83:84], -v[85:86]
	v_add_f64_e32 v[2:3], v[2:3], v[111:112]
	v_add_f64_e32 v[10:11], v[10:11], v[113:114]
	ds_load_b128 v[111:114], v1 offset:736
	s_wait_loadcnt_dscnt 0x801
	v_mul_f64_e32 v[125:126], v[67:68], v[89:90]
	v_mul_f64_e32 v[89:90], v[69:70], v[89:90]
	s_wait_loadcnt_dscnt 0x700
	v_mul_f64_e32 v[95:96], v[111:112], v[93:94]
	v_mul_f64_e32 v[93:94], v[113:114], v[93:94]
	v_add_f64_e32 v[2:3], v[2:3], v[123:124]
	v_add_f64_e32 v[10:11], v[10:11], v[119:120]
	v_fma_f64 v[119:120], v[69:70], v[87:88], v[125:126]
	v_fma_f64 v[87:88], v[67:68], v[87:88], -v[89:90]
	v_fma_f64 v[95:96], v[113:114], v[91:92], v[95:96]
	v_fma_f64 v[91:92], v[111:112], v[91:92], -v[93:94]
	v_add_f64_e32 v[2:3], v[2:3], v[83:84]
	v_add_f64_e32 v[10:11], v[10:11], v[97:98]
	ds_load_b128 v[67:70], v1 offset:752
	ds_load_b128 v[83:86], v1 offset:768
	s_wait_loadcnt_dscnt 0x601
	v_mul_f64_e32 v[89:90], v[67:68], v[101:102]
	v_mul_f64_e32 v[97:98], v[69:70], v[101:102]
	v_add_f64_e32 v[2:3], v[2:3], v[87:88]
	v_add_f64_e32 v[10:11], v[10:11], v[119:120]
	s_wait_loadcnt_dscnt 0x500
	v_mul_f64_e32 v[87:88], v[83:84], v[8:9]
	v_mul_f64_e32 v[93:94], v[85:86], v[8:9]
	v_fma_f64 v[89:90], v[69:70], v[99:100], v[89:90]
	v_fma_f64 v[97:98], v[67:68], v[99:100], -v[97:98]
	v_add_f64_e32 v[2:3], v[2:3], v[91:92]
	v_add_f64_e32 v[91:92], v[10:11], v[95:96]
	ds_load_b128 v[8:11], v1 offset:784
	ds_load_b128 v[67:70], v1 offset:800
	v_fma_f64 v[85:86], v[85:86], v[6:7], v[87:88]
	v_fma_f64 v[6:7], v[83:84], v[6:7], -v[93:94]
	s_wait_loadcnt_dscnt 0x401
	v_mul_f64_e32 v[95:96], v[8:9], v[109:110]
	v_mul_f64_e32 v[99:100], v[10:11], v[109:110]
	s_wait_loadcnt_dscnt 0x300
	v_mul_f64_e32 v[87:88], v[67:68], v[117:118]
	v_add_f64_e32 v[2:3], v[2:3], v[97:98]
	v_add_f64_e32 v[83:84], v[91:92], v[89:90]
	v_mul_f64_e32 v[89:90], v[69:70], v[117:118]
	v_fma_f64 v[10:11], v[10:11], v[107:108], v[95:96]
	v_fma_f64 v[91:92], v[8:9], v[107:108], -v[99:100]
	v_fma_f64 v[69:70], v[69:70], v[115:116], v[87:88]
	v_add_f64_e32 v[2:3], v[2:3], v[6:7]
	v_add_f64_e32 v[93:94], v[83:84], v[85:86]
	ds_load_b128 v[6:9], v1 offset:816
	ds_load_b128 v[83:86], v1 offset:832
	v_fma_f64 v[67:68], v[67:68], v[115:116], -v[89:90]
	s_wait_loadcnt_dscnt 0x201
	v_mul_f64_e32 v[95:96], v[6:7], v[73:74]
	v_mul_f64_e32 v[73:74], v[8:9], v[73:74]
	s_wait_loadcnt_dscnt 0x100
	v_mul_f64_e32 v[87:88], v[83:84], v[77:78]
	v_mul_f64_e32 v[77:78], v[85:86], v[77:78]
	v_add_f64_e32 v[2:3], v[2:3], v[91:92]
	v_add_f64_e32 v[10:11], v[93:94], v[10:11]
	v_fma_f64 v[89:90], v[8:9], v[71:72], v[95:96]
	v_fma_f64 v[71:72], v[6:7], v[71:72], -v[73:74]
	ds_load_b128 v[6:9], v1 offset:848
	v_fma_f64 v[73:74], v[85:86], v[75:76], v[87:88]
	v_fma_f64 v[75:76], v[83:84], v[75:76], -v[77:78]
	v_add_f64_e32 v[2:3], v[2:3], v[67:68]
	v_add_f64_e32 v[10:11], v[10:11], v[69:70]
	s_wait_loadcnt_dscnt 0x0
	v_mul_f64_e32 v[67:68], v[6:7], v[81:82]
	v_mul_f64_e32 v[69:70], v[8:9], v[81:82]
	s_delay_alu instid0(VALU_DEP_4) | instskip(NEXT) | instid1(VALU_DEP_4)
	v_add_f64_e32 v[2:3], v[2:3], v[71:72]
	v_add_f64_e32 v[10:11], v[10:11], v[89:90]
	s_delay_alu instid0(VALU_DEP_4) | instskip(NEXT) | instid1(VALU_DEP_4)
	v_fma_f64 v[8:9], v[8:9], v[79:80], v[67:68]
	v_fma_f64 v[6:7], v[6:7], v[79:80], -v[69:70]
	s_delay_alu instid0(VALU_DEP_4) | instskip(NEXT) | instid1(VALU_DEP_4)
	v_add_f64_e32 v[2:3], v[2:3], v[75:76]
	v_add_f64_e32 v[10:11], v[10:11], v[73:74]
	s_delay_alu instid0(VALU_DEP_2) | instskip(NEXT) | instid1(VALU_DEP_2)
	v_add_f64_e32 v[2:3], v[2:3], v[6:7]
	v_add_f64_e32 v[8:9], v[10:11], v[8:9]
	s_delay_alu instid0(VALU_DEP_2) | instskip(NEXT) | instid1(VALU_DEP_2)
	v_add_f64_e64 v[6:7], v[103:104], -v[2:3]
	v_add_f64_e64 v[8:9], v[105:106], -v[8:9]
	scratch_store_b128 off, v[6:9], off offset:32
	v_cmpx_ne_u32_e32 0, v0
	s_cbranch_execz .LBB90_175
; %bb.174:
	scratch_load_b128 v[6:9], off, off offset:16
	v_dual_mov_b32 v2, v1 :: v_dual_mov_b32 v3, v1
	v_mov_b32_e32 v4, v1
	scratch_store_b128 off, v[1:4], off offset:16
	s_wait_loadcnt 0x0
	ds_store_b128 v5, v[6:9]
.LBB90_175:
	s_wait_alu 0xfffe
	s_or_b32 exec_lo, exec_lo, s0
	s_wait_storecnt_dscnt 0x0
	s_barrier_signal -1
	s_barrier_wait -1
	global_inv scope:SCOPE_SE
	s_clause 0x8
	scratch_load_b128 v[2:5], off, off offset:32
	scratch_load_b128 v[6:9], off, off offset:48
	;; [unrolled: 1-line block ×9, first 2 shown]
	ds_load_b128 v[95:98], v1 offset:448
	ds_load_b128 v[99:102], v1 offset:464
	s_clause 0x1
	scratch_load_b128 v[103:106], off, off offset:16
	scratch_load_b128 v[107:110], off, off offset:176
	s_and_b32 vcc_lo, exec_lo, s12
	s_wait_loadcnt_dscnt 0xa01
	v_mul_f64_e32 v[10:11], v[97:98], v[4:5]
	v_mul_f64_e32 v[4:5], v[95:96], v[4:5]
	s_wait_loadcnt_dscnt 0x900
	v_mul_f64_e32 v[111:112], v[99:100], v[8:9]
	v_mul_f64_e32 v[113:114], v[101:102], v[8:9]
	s_delay_alu instid0(VALU_DEP_4) | instskip(NEXT) | instid1(VALU_DEP_4)
	v_fma_f64 v[115:116], v[95:96], v[2:3], -v[10:11]
	v_fma_f64 v[117:118], v[97:98], v[2:3], v[4:5]
	ds_load_b128 v[2:5], v1 offset:480
	ds_load_b128 v[95:98], v1 offset:496
	scratch_load_b128 v[8:11], off, off offset:192
	v_fma_f64 v[111:112], v[101:102], v[6:7], v[111:112]
	v_fma_f64 v[6:7], v[99:100], v[6:7], -v[113:114]
	scratch_load_b128 v[99:102], off, off offset:208
	s_wait_loadcnt_dscnt 0xa01
	v_mul_f64_e32 v[119:120], v[2:3], v[69:70]
	v_mul_f64_e32 v[69:70], v[4:5], v[69:70]
	v_add_f64_e32 v[113:114], 0, v[115:116]
	v_add_f64_e32 v[115:116], 0, v[117:118]
	s_wait_loadcnt_dscnt 0x900
	v_mul_f64_e32 v[117:118], v[95:96], v[73:74]
	v_mul_f64_e32 v[73:74], v[97:98], v[73:74]
	v_fma_f64 v[119:120], v[4:5], v[67:68], v[119:120]
	v_fma_f64 v[121:122], v[2:3], v[67:68], -v[69:70]
	ds_load_b128 v[2:5], v1 offset:512
	scratch_load_b128 v[67:70], off, off offset:224
	v_add_f64_e32 v[6:7], v[113:114], v[6:7]
	v_add_f64_e32 v[115:116], v[115:116], v[111:112]
	ds_load_b128 v[111:114], v1 offset:528
	v_fma_f64 v[97:98], v[97:98], v[71:72], v[117:118]
	v_fma_f64 v[95:96], v[95:96], v[71:72], -v[73:74]
	scratch_load_b128 v[71:74], off, off offset:240
	s_wait_loadcnt_dscnt 0xa01
	v_mul_f64_e32 v[123:124], v[2:3], v[77:78]
	v_mul_f64_e32 v[77:78], v[4:5], v[77:78]
	s_wait_loadcnt_dscnt 0x900
	v_mul_f64_e32 v[117:118], v[111:112], v[81:82]
	v_mul_f64_e32 v[81:82], v[113:114], v[81:82]
	v_add_f64_e32 v[6:7], v[6:7], v[121:122]
	v_add_f64_e32 v[115:116], v[115:116], v[119:120]
	v_fma_f64 v[119:120], v[4:5], v[75:76], v[123:124]
	v_fma_f64 v[121:122], v[2:3], v[75:76], -v[77:78]
	ds_load_b128 v[2:5], v1 offset:544
	scratch_load_b128 v[75:78], off, off offset:256
	v_fma_f64 v[113:114], v[113:114], v[79:80], v[117:118]
	v_fma_f64 v[111:112], v[111:112], v[79:80], -v[81:82]
	scratch_load_b128 v[79:82], off, off offset:272
	v_add_f64_e32 v[6:7], v[6:7], v[95:96]
	v_add_f64_e32 v[115:116], v[115:116], v[97:98]
	ds_load_b128 v[95:98], v1 offset:560
	s_wait_loadcnt_dscnt 0xa01
	v_mul_f64_e32 v[123:124], v[2:3], v[85:86]
	v_mul_f64_e32 v[85:86], v[4:5], v[85:86]
	s_wait_loadcnt_dscnt 0x900
	v_mul_f64_e32 v[117:118], v[95:96], v[89:90]
	v_mul_f64_e32 v[89:90], v[97:98], v[89:90]
	v_add_f64_e32 v[6:7], v[6:7], v[121:122]
	v_add_f64_e32 v[115:116], v[115:116], v[119:120]
	v_fma_f64 v[119:120], v[4:5], v[83:84], v[123:124]
	v_fma_f64 v[121:122], v[2:3], v[83:84], -v[85:86]
	ds_load_b128 v[2:5], v1 offset:576
	scratch_load_b128 v[83:86], off, off offset:288
	v_fma_f64 v[97:98], v[97:98], v[87:88], v[117:118]
	v_fma_f64 v[95:96], v[95:96], v[87:88], -v[89:90]
	scratch_load_b128 v[87:90], off, off offset:304
	v_add_f64_e32 v[6:7], v[6:7], v[111:112]
	v_add_f64_e32 v[115:116], v[115:116], v[113:114]
	ds_load_b128 v[111:114], v1 offset:592
	;; [unrolled: 18-line block ×3, first 2 shown]
	s_wait_loadcnt_dscnt 0x901
	v_mul_f64_e32 v[123:124], v[2:3], v[10:11]
	v_mul_f64_e32 v[10:11], v[4:5], v[10:11]
	s_wait_loadcnt_dscnt 0x800
	v_mul_f64_e32 v[117:118], v[95:96], v[101:102]
	v_mul_f64_e32 v[101:102], v[97:98], v[101:102]
	v_add_f64_e32 v[6:7], v[6:7], v[121:122]
	v_add_f64_e32 v[115:116], v[115:116], v[119:120]
	v_fma_f64 v[119:120], v[4:5], v[8:9], v[123:124]
	v_fma_f64 v[10:11], v[2:3], v[8:9], -v[10:11]
	ds_load_b128 v[2:5], v1 offset:640
	v_fma_f64 v[117:118], v[97:98], v[99:100], v[117:118]
	v_fma_f64 v[99:100], v[95:96], v[99:100], -v[101:102]
	scratch_load_b128 v[95:98], off, off offset:368
	v_add_f64_e32 v[121:122], v[6:7], v[111:112]
	v_add_f64_e32 v[115:116], v[115:116], v[113:114]
	scratch_load_b128 v[6:9], off, off offset:352
	ds_load_b128 v[111:114], v1 offset:656
	s_wait_loadcnt_dscnt 0x901
	v_mul_f64_e32 v[123:124], v[2:3], v[69:70]
	v_mul_f64_e32 v[69:70], v[4:5], v[69:70]
	v_add_f64_e32 v[10:11], v[121:122], v[10:11]
	v_add_f64_e32 v[101:102], v[115:116], v[119:120]
	s_wait_loadcnt_dscnt 0x800
	v_mul_f64_e32 v[115:116], v[111:112], v[73:74]
	v_mul_f64_e32 v[73:74], v[113:114], v[73:74]
	v_fma_f64 v[119:120], v[4:5], v[67:68], v[123:124]
	v_fma_f64 v[121:122], v[2:3], v[67:68], -v[69:70]
	ds_load_b128 v[2:5], v1 offset:672
	scratch_load_b128 v[67:70], off, off offset:384
	v_add_f64_e32 v[10:11], v[10:11], v[99:100]
	v_add_f64_e32 v[117:118], v[101:102], v[117:118]
	ds_load_b128 v[99:102], v1 offset:688
	s_wait_loadcnt_dscnt 0x801
	v_mul_f64_e32 v[123:124], v[2:3], v[77:78]
	v_mul_f64_e32 v[77:78], v[4:5], v[77:78]
	v_fma_f64 v[113:114], v[113:114], v[71:72], v[115:116]
	v_fma_f64 v[111:112], v[111:112], v[71:72], -v[73:74]
	scratch_load_b128 v[71:74], off, off offset:400
	v_add_f64_e32 v[10:11], v[10:11], v[121:122]
	v_add_f64_e32 v[115:116], v[117:118], v[119:120]
	s_wait_loadcnt_dscnt 0x800
	v_mul_f64_e32 v[117:118], v[99:100], v[81:82]
	v_mul_f64_e32 v[81:82], v[101:102], v[81:82]
	v_fma_f64 v[119:120], v[4:5], v[75:76], v[123:124]
	v_fma_f64 v[121:122], v[2:3], v[75:76], -v[77:78]
	ds_load_b128 v[2:5], v1 offset:704
	scratch_load_b128 v[75:78], off, off offset:416
	v_add_f64_e32 v[10:11], v[10:11], v[111:112]
	v_add_f64_e32 v[115:116], v[115:116], v[113:114]
	ds_load_b128 v[111:114], v1 offset:720
	s_wait_loadcnt_dscnt 0x801
	v_mul_f64_e32 v[123:124], v[2:3], v[85:86]
	v_mul_f64_e32 v[85:86], v[4:5], v[85:86]
	v_fma_f64 v[101:102], v[101:102], v[79:80], v[117:118]
	v_fma_f64 v[99:100], v[99:100], v[79:80], -v[81:82]
	scratch_load_b128 v[79:82], off, off offset:432
	s_wait_loadcnt_dscnt 0x800
	v_mul_f64_e32 v[117:118], v[111:112], v[89:90]
	v_mul_f64_e32 v[89:90], v[113:114], v[89:90]
	v_add_f64_e32 v[10:11], v[10:11], v[121:122]
	v_add_f64_e32 v[115:116], v[115:116], v[119:120]
	v_fma_f64 v[119:120], v[4:5], v[83:84], v[123:124]
	v_fma_f64 v[121:122], v[2:3], v[83:84], -v[85:86]
	ds_load_b128 v[2:5], v1 offset:736
	ds_load_b128 v[83:86], v1 offset:752
	v_fma_f64 v[113:114], v[113:114], v[87:88], v[117:118]
	v_fma_f64 v[87:88], v[111:112], v[87:88], -v[89:90]
	v_add_f64_e32 v[10:11], v[10:11], v[99:100]
	v_add_f64_e32 v[99:100], v[115:116], v[101:102]
	s_wait_loadcnt_dscnt 0x701
	v_mul_f64_e32 v[101:102], v[2:3], v[93:94]
	v_mul_f64_e32 v[93:94], v[4:5], v[93:94]
	s_delay_alu instid0(VALU_DEP_4) | instskip(NEXT) | instid1(VALU_DEP_4)
	v_add_f64_e32 v[10:11], v[10:11], v[121:122]
	v_add_f64_e32 v[89:90], v[99:100], v[119:120]
	s_wait_loadcnt_dscnt 0x600
	v_mul_f64_e32 v[99:100], v[83:84], v[109:110]
	v_mul_f64_e32 v[109:110], v[85:86], v[109:110]
	v_fma_f64 v[101:102], v[4:5], v[91:92], v[101:102]
	v_fma_f64 v[91:92], v[2:3], v[91:92], -v[93:94]
	v_add_f64_e32 v[10:11], v[10:11], v[87:88]
	v_add_f64_e32 v[93:94], v[89:90], v[113:114]
	ds_load_b128 v[2:5], v1 offset:768
	ds_load_b128 v[87:90], v1 offset:784
	v_fma_f64 v[85:86], v[85:86], v[107:108], v[99:100]
	v_fma_f64 v[83:84], v[83:84], v[107:108], -v[109:110]
	s_wait_loadcnt_dscnt 0x401
	v_mul_f64_e32 v[111:112], v[2:3], v[8:9]
	v_mul_f64_e32 v[8:9], v[4:5], v[8:9]
	v_add_f64_e32 v[10:11], v[10:11], v[91:92]
	v_add_f64_e32 v[91:92], v[93:94], v[101:102]
	s_wait_dscnt 0x0
	v_mul_f64_e32 v[93:94], v[87:88], v[97:98]
	v_mul_f64_e32 v[97:98], v[89:90], v[97:98]
	v_fma_f64 v[99:100], v[4:5], v[6:7], v[111:112]
	v_fma_f64 v[101:102], v[2:3], v[6:7], -v[8:9]
	ds_load_b128 v[2:5], v1 offset:800
	ds_load_b128 v[6:9], v1 offset:816
	v_add_f64_e32 v[10:11], v[10:11], v[83:84]
	v_add_f64_e32 v[83:84], v[91:92], v[85:86]
	v_fma_f64 v[89:90], v[89:90], v[95:96], v[93:94]
	v_fma_f64 v[87:88], v[87:88], v[95:96], -v[97:98]
	s_wait_loadcnt_dscnt 0x301
	v_mul_f64_e32 v[85:86], v[2:3], v[69:70]
	v_mul_f64_e32 v[69:70], v[4:5], v[69:70]
	s_wait_loadcnt_dscnt 0x200
	v_mul_f64_e32 v[91:92], v[6:7], v[73:74]
	v_mul_f64_e32 v[73:74], v[8:9], v[73:74]
	v_add_f64_e32 v[10:11], v[10:11], v[101:102]
	v_add_f64_e32 v[83:84], v[83:84], v[99:100]
	v_fma_f64 v[85:86], v[4:5], v[67:68], v[85:86]
	v_fma_f64 v[93:94], v[2:3], v[67:68], -v[69:70]
	ds_load_b128 v[2:5], v1 offset:832
	ds_load_b128 v[67:70], v1 offset:848
	v_fma_f64 v[8:9], v[8:9], v[71:72], v[91:92]
	v_fma_f64 v[6:7], v[6:7], v[71:72], -v[73:74]
	s_wait_loadcnt_dscnt 0x101
	v_mul_f64_e32 v[0:1], v[2:3], v[77:78]
	v_mul_f64_e32 v[77:78], v[4:5], v[77:78]
	v_add_f64_e32 v[10:11], v[10:11], v[87:88]
	v_add_f64_e32 v[83:84], v[83:84], v[89:90]
	s_wait_loadcnt_dscnt 0x0
	v_mul_f64_e32 v[73:74], v[67:68], v[81:82]
	v_mul_f64_e32 v[81:82], v[69:70], v[81:82]
	v_fma_f64 v[0:1], v[4:5], v[75:76], v[0:1]
	v_fma_f64 v[2:3], v[2:3], v[75:76], -v[77:78]
	v_add_f64_e32 v[10:11], v[10:11], v[93:94]
	v_add_f64_e32 v[71:72], v[83:84], v[85:86]
	s_delay_alu instid0(VALU_DEP_2) | instskip(NEXT) | instid1(VALU_DEP_2)
	v_add_f64_e32 v[4:5], v[10:11], v[6:7]
	v_add_f64_e32 v[6:7], v[71:72], v[8:9]
	v_fma_f64 v[8:9], v[69:70], v[79:80], v[73:74]
	v_fma_f64 v[10:11], v[67:68], v[79:80], -v[81:82]
	s_delay_alu instid0(VALU_DEP_4) | instskip(NEXT) | instid1(VALU_DEP_4)
	v_add_f64_e32 v[2:3], v[4:5], v[2:3]
	v_add_f64_e32 v[0:1], v[6:7], v[0:1]
	s_delay_alu instid0(VALU_DEP_2) | instskip(NEXT) | instid1(VALU_DEP_2)
	v_add_f64_e32 v[2:3], v[2:3], v[10:11]
	v_add_f64_e32 v[4:5], v[0:1], v[8:9]
	s_delay_alu instid0(VALU_DEP_2) | instskip(NEXT) | instid1(VALU_DEP_2)
	v_add_f64_e64 v[0:1], v[103:104], -v[2:3]
	v_add_f64_e64 v[2:3], v[105:106], -v[4:5]
	scratch_store_b128 off, v[0:3], off offset:16
	s_wait_alu 0xfffe
	s_cbranch_vccz .LBB90_228
; %bb.176:
	v_mov_b32_e32 v0, 0
	global_load_b32 v1, v0, s[2:3] offset:100
	s_wait_loadcnt 0x0
	v_cmp_ne_u32_e32 vcc_lo, 26, v1
	s_cbranch_vccz .LBB90_178
; %bb.177:
	v_lshlrev_b32_e32 v1, 4, v1
	s_delay_alu instid0(VALU_DEP_1)
	v_add_nc_u32_e32 v9, 16, v1
	s_clause 0x1
	scratch_load_b128 v[1:4], v9, off offset:-16
	scratch_load_b128 v[5:8], off, s33
	s_wait_loadcnt 0x1
	scratch_store_b128 off, v[1:4], s33
	s_wait_loadcnt 0x0
	scratch_store_b128 v9, v[5:8], off offset:-16
.LBB90_178:
	global_load_b32 v0, v0, s[2:3] offset:96
	s_wait_loadcnt 0x0
	v_cmp_eq_u32_e32 vcc_lo, 25, v0
	s_cbranch_vccnz .LBB90_180
; %bb.179:
	v_lshlrev_b32_e32 v0, 4, v0
	s_delay_alu instid0(VALU_DEP_1)
	v_add_nc_u32_e32 v8, 16, v0
	s_clause 0x1
	scratch_load_b128 v[0:3], v8, off offset:-16
	scratch_load_b128 v[4:7], off, s19
	s_wait_loadcnt 0x1
	scratch_store_b128 off, v[0:3], s19
	s_wait_loadcnt 0x0
	scratch_store_b128 v8, v[4:7], off offset:-16
.LBB90_180:
	v_mov_b32_e32 v0, 0
	global_load_b32 v1, v0, s[2:3] offset:92
	s_wait_loadcnt 0x0
	v_cmp_eq_u32_e32 vcc_lo, 24, v1
	s_cbranch_vccnz .LBB90_182
; %bb.181:
	v_lshlrev_b32_e32 v1, 4, v1
	s_delay_alu instid0(VALU_DEP_1)
	v_add_nc_u32_e32 v9, 16, v1
	s_clause 0x1
	scratch_load_b128 v[1:4], v9, off offset:-16
	scratch_load_b128 v[5:8], off, s31
	s_wait_loadcnt 0x1
	scratch_store_b128 off, v[1:4], s31
	s_wait_loadcnt 0x0
	scratch_store_b128 v9, v[5:8], off offset:-16
.LBB90_182:
	global_load_b32 v0, v0, s[2:3] offset:88
	s_wait_loadcnt 0x0
	v_cmp_eq_u32_e32 vcc_lo, 23, v0
	s_cbranch_vccnz .LBB90_184
; %bb.183:
	v_lshlrev_b32_e32 v0, 4, v0
	s_delay_alu instid0(VALU_DEP_1)
	v_add_nc_u32_e32 v8, 16, v0
	s_clause 0x1
	scratch_load_b128 v[0:3], v8, off offset:-16
	scratch_load_b128 v[4:7], off, s18
	s_wait_loadcnt 0x1
	scratch_store_b128 off, v[0:3], s18
	s_wait_loadcnt 0x0
	scratch_store_b128 v8, v[4:7], off offset:-16
.LBB90_184:
	v_mov_b32_e32 v0, 0
	global_load_b32 v1, v0, s[2:3] offset:84
	s_wait_loadcnt 0x0
	v_cmp_eq_u32_e32 vcc_lo, 22, v1
	s_cbranch_vccnz .LBB90_186
; %bb.185:
	v_lshlrev_b32_e32 v1, 4, v1
	s_delay_alu instid0(VALU_DEP_1)
	v_add_nc_u32_e32 v9, 16, v1
	s_clause 0x1
	scratch_load_b128 v[1:4], v9, off offset:-16
	scratch_load_b128 v[5:8], off, s30
	s_wait_loadcnt 0x1
	scratch_store_b128 off, v[1:4], s30
	s_wait_loadcnt 0x0
	scratch_store_b128 v9, v[5:8], off offset:-16
.LBB90_186:
	;; [unrolled: 33-line block ×12, first 2 shown]
	global_load_b32 v0, v0, s[2:3]
	s_wait_loadcnt 0x0
	v_cmp_eq_u32_e32 vcc_lo, 1, v0
	s_cbranch_vccnz .LBB90_228
; %bb.227:
	v_lshlrev_b32_e32 v0, 4, v0
	s_delay_alu instid0(VALU_DEP_1)
	v_add_nc_u32_e32 v8, 16, v0
	scratch_load_b128 v[0:3], v8, off offset:-16
	scratch_load_b128 v[4:7], off, off offset:16
	s_wait_loadcnt 0x1
	scratch_store_b128 off, v[0:3], off offset:16
	s_wait_loadcnt 0x0
	scratch_store_b128 v8, v[4:7], off offset:-16
.LBB90_228:
	scratch_load_b128 v[0:3], off, off offset:16
	s_wait_loadcnt 0x0
	flat_store_b128 v[13:14], v[0:3]
	scratch_load_b128 v[0:3], off, s35
	s_wait_loadcnt 0x0
	flat_store_b128 v[15:16], v[0:3]
	scratch_load_b128 v[0:3], off, s34
	;; [unrolled: 3-line block ×26, first 2 shown]
	s_wait_loadcnt 0x0
	flat_store_b128 v[65:66], v[0:3]
	s_nop 0
	s_sendmsg sendmsg(MSG_DEALLOC_VGPRS)
	s_endpgm
	.section	.rodata,"a",@progbits
	.p2align	6, 0x0
	.amdhsa_kernel _ZN9rocsolver6v33100L18getri_kernel_smallILi27E19rocblas_complex_numIdEPKPS3_EEvT1_iilPiilS8_bb
		.amdhsa_group_segment_fixed_size 872
		.amdhsa_private_segment_fixed_size 464
		.amdhsa_kernarg_size 60
		.amdhsa_user_sgpr_count 2
		.amdhsa_user_sgpr_dispatch_ptr 0
		.amdhsa_user_sgpr_queue_ptr 0
		.amdhsa_user_sgpr_kernarg_segment_ptr 1
		.amdhsa_user_sgpr_dispatch_id 0
		.amdhsa_user_sgpr_private_segment_size 0
		.amdhsa_wavefront_size32 1
		.amdhsa_uses_dynamic_stack 0
		.amdhsa_enable_private_segment 1
		.amdhsa_system_sgpr_workgroup_id_x 1
		.amdhsa_system_sgpr_workgroup_id_y 0
		.amdhsa_system_sgpr_workgroup_id_z 0
		.amdhsa_system_sgpr_workgroup_info 0
		.amdhsa_system_vgpr_workitem_id 0
		.amdhsa_next_free_vgpr 127
		.amdhsa_next_free_sgpr 39
		.amdhsa_reserve_vcc 1
		.amdhsa_float_round_mode_32 0
		.amdhsa_float_round_mode_16_64 0
		.amdhsa_float_denorm_mode_32 3
		.amdhsa_float_denorm_mode_16_64 3
		.amdhsa_fp16_overflow 0
		.amdhsa_workgroup_processor_mode 1
		.amdhsa_memory_ordered 1
		.amdhsa_forward_progress 1
		.amdhsa_inst_pref_size 255
		.amdhsa_round_robin_scheduling 0
		.amdhsa_exception_fp_ieee_invalid_op 0
		.amdhsa_exception_fp_denorm_src 0
		.amdhsa_exception_fp_ieee_div_zero 0
		.amdhsa_exception_fp_ieee_overflow 0
		.amdhsa_exception_fp_ieee_underflow 0
		.amdhsa_exception_fp_ieee_inexact 0
		.amdhsa_exception_int_div_zero 0
	.end_amdhsa_kernel
	.section	.text._ZN9rocsolver6v33100L18getri_kernel_smallILi27E19rocblas_complex_numIdEPKPS3_EEvT1_iilPiilS8_bb,"axG",@progbits,_ZN9rocsolver6v33100L18getri_kernel_smallILi27E19rocblas_complex_numIdEPKPS3_EEvT1_iilPiilS8_bb,comdat
.Lfunc_end90:
	.size	_ZN9rocsolver6v33100L18getri_kernel_smallILi27E19rocblas_complex_numIdEPKPS3_EEvT1_iilPiilS8_bb, .Lfunc_end90-_ZN9rocsolver6v33100L18getri_kernel_smallILi27E19rocblas_complex_numIdEPKPS3_EEvT1_iilPiilS8_bb
                                        ; -- End function
	.set _ZN9rocsolver6v33100L18getri_kernel_smallILi27E19rocblas_complex_numIdEPKPS3_EEvT1_iilPiilS8_bb.num_vgpr, 127
	.set _ZN9rocsolver6v33100L18getri_kernel_smallILi27E19rocblas_complex_numIdEPKPS3_EEvT1_iilPiilS8_bb.num_agpr, 0
	.set _ZN9rocsolver6v33100L18getri_kernel_smallILi27E19rocblas_complex_numIdEPKPS3_EEvT1_iilPiilS8_bb.numbered_sgpr, 39
	.set _ZN9rocsolver6v33100L18getri_kernel_smallILi27E19rocblas_complex_numIdEPKPS3_EEvT1_iilPiilS8_bb.num_named_barrier, 0
	.set _ZN9rocsolver6v33100L18getri_kernel_smallILi27E19rocblas_complex_numIdEPKPS3_EEvT1_iilPiilS8_bb.private_seg_size, 464
	.set _ZN9rocsolver6v33100L18getri_kernel_smallILi27E19rocblas_complex_numIdEPKPS3_EEvT1_iilPiilS8_bb.uses_vcc, 1
	.set _ZN9rocsolver6v33100L18getri_kernel_smallILi27E19rocblas_complex_numIdEPKPS3_EEvT1_iilPiilS8_bb.uses_flat_scratch, 1
	.set _ZN9rocsolver6v33100L18getri_kernel_smallILi27E19rocblas_complex_numIdEPKPS3_EEvT1_iilPiilS8_bb.has_dyn_sized_stack, 0
	.set _ZN9rocsolver6v33100L18getri_kernel_smallILi27E19rocblas_complex_numIdEPKPS3_EEvT1_iilPiilS8_bb.has_recursion, 0
	.set _ZN9rocsolver6v33100L18getri_kernel_smallILi27E19rocblas_complex_numIdEPKPS3_EEvT1_iilPiilS8_bb.has_indirect_call, 0
	.section	.AMDGPU.csdata,"",@progbits
; Kernel info:
; codeLenInByte = 38072
; TotalNumSgprs: 41
; NumVgprs: 127
; ScratchSize: 464
; MemoryBound: 0
; FloatMode: 240
; IeeeMode: 1
; LDSByteSize: 872 bytes/workgroup (compile time only)
; SGPRBlocks: 0
; VGPRBlocks: 15
; NumSGPRsForWavesPerEU: 41
; NumVGPRsForWavesPerEU: 127
; Occupancy: 10
; WaveLimiterHint : 1
; COMPUTE_PGM_RSRC2:SCRATCH_EN: 1
; COMPUTE_PGM_RSRC2:USER_SGPR: 2
; COMPUTE_PGM_RSRC2:TRAP_HANDLER: 0
; COMPUTE_PGM_RSRC2:TGID_X_EN: 1
; COMPUTE_PGM_RSRC2:TGID_Y_EN: 0
; COMPUTE_PGM_RSRC2:TGID_Z_EN: 0
; COMPUTE_PGM_RSRC2:TIDIG_COMP_CNT: 0
	.section	.text._ZN9rocsolver6v33100L18getri_kernel_smallILi28E19rocblas_complex_numIdEPKPS3_EEvT1_iilPiilS8_bb,"axG",@progbits,_ZN9rocsolver6v33100L18getri_kernel_smallILi28E19rocblas_complex_numIdEPKPS3_EEvT1_iilPiilS8_bb,comdat
	.globl	_ZN9rocsolver6v33100L18getri_kernel_smallILi28E19rocblas_complex_numIdEPKPS3_EEvT1_iilPiilS8_bb ; -- Begin function _ZN9rocsolver6v33100L18getri_kernel_smallILi28E19rocblas_complex_numIdEPKPS3_EEvT1_iilPiilS8_bb
	.p2align	8
	.type	_ZN9rocsolver6v33100L18getri_kernel_smallILi28E19rocblas_complex_numIdEPKPS3_EEvT1_iilPiilS8_bb,@function
_ZN9rocsolver6v33100L18getri_kernel_smallILi28E19rocblas_complex_numIdEPKPS3_EEvT1_iilPiilS8_bb: ; @_ZN9rocsolver6v33100L18getri_kernel_smallILi28E19rocblas_complex_numIdEPKPS3_EEvT1_iilPiilS8_bb
; %bb.0:
	s_mov_b32 s2, exec_lo
	v_cmpx_gt_u32_e32 28, v0
	s_cbranch_execz .LBB91_126
; %bb.1:
	s_clause 0x1
	s_load_b32 s13, s[0:1], 0x38
	s_load_b64 s[2:3], s[0:1], 0x0
	s_mov_b32 s8, ttmp9
	s_load_b128 s[4:7], s[0:1], 0x28
	s_wait_kmcnt 0x0
	s_bitcmp1_b32 s13, 8
	s_cselect_b32 s12, -1, 0
	s_ashr_i32 s9, ttmp9, 31
	s_delay_alu instid0(SALU_CYCLE_1) | instskip(NEXT) | instid1(SALU_CYCLE_1)
	s_lshl_b64 s[10:11], s[8:9], 3
	s_add_nc_u64 s[2:3], s[2:3], s[10:11]
	s_load_b64 s[10:11], s[2:3], 0x0
	s_bfe_u32 s2, s13, 0x10008
	s_delay_alu instid0(SALU_CYCLE_1)
	s_cmp_eq_u32 s2, 0
                                        ; implicit-def: $sgpr2_sgpr3
	s_cbranch_scc1 .LBB91_3
; %bb.2:
	s_load_b96 s[16:18], s[0:1], 0x18
	s_mul_u64 s[2:3], s[4:5], s[8:9]
	s_delay_alu instid0(SALU_CYCLE_1)
	s_lshl_b64 s[2:3], s[2:3], 2
	s_wait_kmcnt 0x0
	s_ashr_i32 s5, s18, 31
	s_mov_b32 s4, s18
	s_add_nc_u64 s[2:3], s[16:17], s[2:3]
	s_lshl_b64 s[4:5], s[4:5], 2
	s_delay_alu instid0(SALU_CYCLE_1)
	s_add_nc_u64 s[2:3], s[2:3], s[4:5]
.LBB91_3:
	s_clause 0x1
	s_load_b64 s[4:5], s[0:1], 0x8
	s_load_b32 s37, s[0:1], 0x38
	v_lshlrev_b32_e32 v69, 4, v0
	s_mov_b32 s36, 32
	s_mov_b32 s35, 48
	;; [unrolled: 1-line block ×3, first 2 shown]
	s_movk_i32 s22, 0x50
	s_wait_kmcnt 0x0
	s_ashr_i32 s1, s4, 31
	s_mov_b32 s0, s4
	v_add3_u32 v5, s5, s5, v0
	s_lshl_b64 s[0:1], s[0:1], 4
	s_delay_alu instid0(SALU_CYCLE_1)
	s_add_nc_u64 s[0:1], s[10:11], s[0:1]
	s_ashr_i32 s11, s5, 31
	v_add_co_u32 v13, s4, s0, v69
	s_wait_alu 0xf1ff
	v_add_co_ci_u32_e64 v14, null, s1, 0, s4
	s_mov_b32 s10, s5
	v_ashrrev_i32_e32 v6, 31, v5
	s_lshl_b64 s[10:11], s[10:11], 4
	flat_load_b128 v[1:4], v[13:14]
	v_add_co_u32 v15, vcc_lo, v13, s10
	s_delay_alu instid0(VALU_DEP_1) | instskip(SKIP_2) | instid1(VALU_DEP_2)
	v_add_co_ci_u32_e64 v16, null, s11, v14, vcc_lo
	v_lshlrev_b64_e32 v[6:7], 4, v[5:6]
	v_add_nc_u32_e32 v5, s5, v5
	v_add_co_u32 v17, vcc_lo, s0, v6
	s_wait_alu 0xfffd
	s_delay_alu instid0(VALU_DEP_3) | instskip(NEXT) | instid1(VALU_DEP_3)
	v_add_co_ci_u32_e64 v18, null, s1, v7, vcc_lo
	v_ashrrev_i32_e32 v6, 31, v5
	s_delay_alu instid0(VALU_DEP_1) | instskip(SKIP_1) | instid1(VALU_DEP_2)
	v_lshlrev_b64_e32 v[6:7], 4, v[5:6]
	v_add_nc_u32_e32 v5, s5, v5
	v_add_co_u32 v19, vcc_lo, s0, v6
	s_wait_alu 0xfffd
	s_delay_alu instid0(VALU_DEP_3) | instskip(NEXT) | instid1(VALU_DEP_3)
	v_add_co_ci_u32_e64 v20, null, s1, v7, vcc_lo
	v_ashrrev_i32_e32 v6, 31, v5
	s_delay_alu instid0(VALU_DEP_1) | instskip(SKIP_1) | instid1(VALU_DEP_2)
	;; [unrolled: 8-line block ×20, first 2 shown]
	v_lshlrev_b64_e32 v[6:7], 4, v[5:6]
	v_add_nc_u32_e32 v5, s5, v5
	v_add_co_u32 v57, vcc_lo, s0, v6
	s_wait_alu 0xfffd
	s_delay_alu instid0(VALU_DEP_3) | instskip(NEXT) | instid1(VALU_DEP_3)
	v_add_co_ci_u32_e64 v58, null, s1, v7, vcc_lo
	v_ashrrev_i32_e32 v6, 31, v5
	s_delay_alu instid0(VALU_DEP_1)
	v_lshlrev_b64_e32 v[6:7], 4, v[5:6]
	s_wait_loadcnt_dscnt 0x0
	scratch_store_b128 off, v[1:4], off offset:16
	flat_load_b128 v[1:4], v[15:16]
	v_add_nc_u32_e32 v5, s5, v5
	v_add_co_u32 v59, vcc_lo, s0, v6
	s_wait_alu 0xfffd
	v_add_co_ci_u32_e64 v60, null, s1, v7, vcc_lo
	s_delay_alu instid0(VALU_DEP_3) | instskip(NEXT) | instid1(VALU_DEP_1)
	v_ashrrev_i32_e32 v6, 31, v5
	v_lshlrev_b64_e32 v[6:7], 4, v[5:6]
	v_add_nc_u32_e32 v5, s5, v5
	s_delay_alu instid0(VALU_DEP_2) | instskip(SKIP_1) | instid1(VALU_DEP_3)
	v_add_co_u32 v61, vcc_lo, s0, v6
	s_wait_alu 0xfffd
	v_add_co_ci_u32_e64 v62, null, s1, v7, vcc_lo
	s_delay_alu instid0(VALU_DEP_3) | instskip(NEXT) | instid1(VALU_DEP_1)
	v_ashrrev_i32_e32 v6, 31, v5
	v_lshlrev_b64_e32 v[6:7], 4, v[5:6]
	v_add_nc_u32_e32 v5, s5, v5
	s_delay_alu instid0(VALU_DEP_2) | instskip(SKIP_1) | instid1(VALU_DEP_3)
	;; [unrolled: 8-line block ×3, first 2 shown]
	v_add_co_u32 v65, vcc_lo, s0, v6
	s_wait_alu 0xfffd
	v_add_co_ci_u32_e64 v66, null, s1, v7, vcc_lo
	s_delay_alu instid0(VALU_DEP_3) | instskip(NEXT) | instid1(VALU_DEP_1)
	v_ashrrev_i32_e32 v6, 31, v5
	v_lshlrev_b64_e32 v[5:6], 4, v[5:6]
	s_delay_alu instid0(VALU_DEP_1) | instskip(SKIP_1) | instid1(VALU_DEP_2)
	v_add_co_u32 v67, vcc_lo, s0, v5
	s_wait_alu 0xfffd
	v_add_co_ci_u32_e64 v68, null, s1, v6, vcc_lo
	s_movk_i32 s0, 0x50
	s_movk_i32 s1, 0x70
	s_wait_alu 0xfffe
	s_add_co_i32 s4, s0, 16
	s_movk_i32 s0, 0x60
	s_add_co_i32 s5, s1, 16
	s_wait_alu 0xfffe
	s_add_co_i32 s23, s0, 16
	s_movk_i32 s0, 0x80
	s_movk_i32 s1, 0x90
	s_wait_alu 0xfffe
	s_add_co_i32 s24, s0, 16
	s_add_co_i32 s10, s1, 16
	s_movk_i32 s0, 0xa0
	s_movk_i32 s1, 0xb0
	s_wait_alu 0xfffe
	s_add_co_i32 s25, s0, 16
	;; [unrolled: 5-line block ×10, first 2 shown]
	s_add_co_i32 s20, s1, 16
	s_bitcmp0_b32 s37, 0
	s_mov_b32 s1, -1
	s_wait_loadcnt_dscnt 0x0
	scratch_store_b128 off, v[1:4], off offset:32
	flat_load_b128 v[1:4], v[17:18]
	s_wait_loadcnt_dscnt 0x0
	scratch_store_b128 off, v[1:4], off offset:48
	flat_load_b128 v[1:4], v[19:20]
	;; [unrolled: 3-line block ×26, first 2 shown]
	s_wait_loadcnt_dscnt 0x0
	scratch_store_b128 off, v[1:4], off offset:448
	s_cbranch_scc1 .LBB91_124
; %bb.4:
	v_cmp_eq_u32_e64 s0, 0, v0
	s_and_saveexec_b32 s1, s0
; %bb.5:
	v_mov_b32_e32 v1, 0
	ds_store_b32 v1, v1 offset:896
; %bb.6:
	s_wait_alu 0xfffe
	s_or_b32 exec_lo, exec_lo, s1
	s_wait_storecnt_dscnt 0x0
	s_barrier_signal -1
	s_barrier_wait -1
	global_inv scope:SCOPE_SE
	scratch_load_b128 v[1:4], v69, off offset:16
	s_wait_loadcnt 0x0
	v_cmp_eq_f64_e32 vcc_lo, 0, v[1:2]
	v_cmp_eq_f64_e64 s1, 0, v[3:4]
	s_and_b32 s1, vcc_lo, s1
	s_wait_alu 0xfffe
	s_and_saveexec_b32 s37, s1
	s_cbranch_execz .LBB91_10
; %bb.7:
	v_mov_b32_e32 v1, 0
	s_mov_b32 s38, 0
	ds_load_b32 v2, v1 offset:896
	s_wait_dscnt 0x0
	v_readfirstlane_b32 s1, v2
	v_add_nc_u32_e32 v2, 1, v0
	s_cmp_eq_u32 s1, 0
	s_delay_alu instid0(VALU_DEP_1) | instskip(SKIP_1) | instid1(SALU_CYCLE_1)
	v_cmp_gt_i32_e32 vcc_lo, s1, v2
	s_cselect_b32 s39, -1, 0
	s_or_b32 s39, s39, vcc_lo
	s_delay_alu instid0(SALU_CYCLE_1)
	s_and_b32 exec_lo, exec_lo, s39
	s_cbranch_execz .LBB91_10
; %bb.8:
	v_mov_b32_e32 v3, s1
.LBB91_9:                               ; =>This Inner Loop Header: Depth=1
	ds_cmpstore_rtn_b32 v3, v1, v2, v3 offset:896
	s_wait_dscnt 0x0
	v_cmp_ne_u32_e32 vcc_lo, 0, v3
	v_cmp_le_i32_e64 s1, v3, v2
	s_and_b32 s1, vcc_lo, s1
	s_wait_alu 0xfffe
	s_and_b32 s1, exec_lo, s1
	s_wait_alu 0xfffe
	s_or_b32 s38, s1, s38
	s_delay_alu instid0(SALU_CYCLE_1)
	s_and_not1_b32 exec_lo, exec_lo, s38
	s_cbranch_execnz .LBB91_9
.LBB91_10:
	s_or_b32 exec_lo, exec_lo, s37
	v_mov_b32_e32 v1, 0
	s_barrier_signal -1
	s_barrier_wait -1
	global_inv scope:SCOPE_SE
	ds_load_b32 v2, v1 offset:896
	s_and_saveexec_b32 s1, s0
	s_cbranch_execz .LBB91_12
; %bb.11:
	s_lshl_b64 s[38:39], s[8:9], 2
	s_delay_alu instid0(SALU_CYCLE_1)
	s_add_nc_u64 s[38:39], s[6:7], s[38:39]
	s_wait_dscnt 0x0
	global_store_b32 v1, v2, s[38:39]
.LBB91_12:
	s_wait_alu 0xfffe
	s_or_b32 exec_lo, exec_lo, s1
	s_wait_dscnt 0x0
	v_cmp_ne_u32_e32 vcc_lo, 0, v2
	s_mov_b32 s1, 0
	s_cbranch_vccnz .LBB91_124
; %bb.13:
	v_add_nc_u32_e32 v70, 16, v69
                                        ; implicit-def: $vgpr1_vgpr2
                                        ; implicit-def: $vgpr9_vgpr10
	scratch_load_b128 v[5:8], v70, off
	s_wait_loadcnt 0x0
	v_cmp_ngt_f64_e64 s1, |v[5:6]|, |v[7:8]|
	s_wait_alu 0xfffe
	s_and_saveexec_b32 s37, s1
	s_delay_alu instid0(SALU_CYCLE_1)
	s_xor_b32 s1, exec_lo, s37
	s_cbranch_execz .LBB91_15
; %bb.14:
	v_div_scale_f64 v[1:2], null, v[7:8], v[7:8], v[5:6]
	v_div_scale_f64 v[11:12], vcc_lo, v[5:6], v[7:8], v[5:6]
	s_delay_alu instid0(VALU_DEP_2) | instskip(NEXT) | instid1(TRANS32_DEP_1)
	v_rcp_f64_e32 v[3:4], v[1:2]
	v_fma_f64 v[9:10], -v[1:2], v[3:4], 1.0
	s_delay_alu instid0(VALU_DEP_1) | instskip(NEXT) | instid1(VALU_DEP_1)
	v_fma_f64 v[3:4], v[3:4], v[9:10], v[3:4]
	v_fma_f64 v[9:10], -v[1:2], v[3:4], 1.0
	s_delay_alu instid0(VALU_DEP_1) | instskip(NEXT) | instid1(VALU_DEP_1)
	v_fma_f64 v[3:4], v[3:4], v[9:10], v[3:4]
	v_mul_f64_e32 v[9:10], v[11:12], v[3:4]
	s_delay_alu instid0(VALU_DEP_1) | instskip(SKIP_1) | instid1(VALU_DEP_1)
	v_fma_f64 v[1:2], -v[1:2], v[9:10], v[11:12]
	s_wait_alu 0xfffd
	v_div_fmas_f64 v[1:2], v[1:2], v[3:4], v[9:10]
	s_delay_alu instid0(VALU_DEP_1) | instskip(NEXT) | instid1(VALU_DEP_1)
	v_div_fixup_f64 v[1:2], v[1:2], v[7:8], v[5:6]
	v_fma_f64 v[3:4], v[5:6], v[1:2], v[7:8]
	s_delay_alu instid0(VALU_DEP_1) | instskip(SKIP_1) | instid1(VALU_DEP_2)
	v_div_scale_f64 v[5:6], null, v[3:4], v[3:4], 1.0
	v_div_scale_f64 v[11:12], vcc_lo, 1.0, v[3:4], 1.0
	v_rcp_f64_e32 v[7:8], v[5:6]
	s_delay_alu instid0(TRANS32_DEP_1) | instskip(NEXT) | instid1(VALU_DEP_1)
	v_fma_f64 v[9:10], -v[5:6], v[7:8], 1.0
	v_fma_f64 v[7:8], v[7:8], v[9:10], v[7:8]
	s_delay_alu instid0(VALU_DEP_1) | instskip(NEXT) | instid1(VALU_DEP_1)
	v_fma_f64 v[9:10], -v[5:6], v[7:8], 1.0
	v_fma_f64 v[7:8], v[7:8], v[9:10], v[7:8]
	s_delay_alu instid0(VALU_DEP_1) | instskip(NEXT) | instid1(VALU_DEP_1)
	v_mul_f64_e32 v[9:10], v[11:12], v[7:8]
	v_fma_f64 v[5:6], -v[5:6], v[9:10], v[11:12]
	s_wait_alu 0xfffd
	s_delay_alu instid0(VALU_DEP_1) | instskip(NEXT) | instid1(VALU_DEP_1)
	v_div_fmas_f64 v[5:6], v[5:6], v[7:8], v[9:10]
	v_div_fixup_f64 v[3:4], v[5:6], v[3:4], 1.0
                                        ; implicit-def: $vgpr5_vgpr6
	s_delay_alu instid0(VALU_DEP_1) | instskip(SKIP_1) | instid1(VALU_DEP_2)
	v_mul_f64_e32 v[1:2], v[1:2], v[3:4]
	v_xor_b32_e32 v4, 0x80000000, v4
	v_xor_b32_e32 v10, 0x80000000, v2
	s_delay_alu instid0(VALU_DEP_3)
	v_mov_b32_e32 v9, v1
.LBB91_15:
	s_wait_alu 0xfffe
	s_and_not1_saveexec_b32 s1, s1
	s_cbranch_execz .LBB91_17
; %bb.16:
	v_div_scale_f64 v[1:2], null, v[5:6], v[5:6], v[7:8]
	v_div_scale_f64 v[11:12], vcc_lo, v[7:8], v[5:6], v[7:8]
	s_delay_alu instid0(VALU_DEP_2) | instskip(NEXT) | instid1(TRANS32_DEP_1)
	v_rcp_f64_e32 v[3:4], v[1:2]
	v_fma_f64 v[9:10], -v[1:2], v[3:4], 1.0
	s_delay_alu instid0(VALU_DEP_1) | instskip(NEXT) | instid1(VALU_DEP_1)
	v_fma_f64 v[3:4], v[3:4], v[9:10], v[3:4]
	v_fma_f64 v[9:10], -v[1:2], v[3:4], 1.0
	s_delay_alu instid0(VALU_DEP_1) | instskip(NEXT) | instid1(VALU_DEP_1)
	v_fma_f64 v[3:4], v[3:4], v[9:10], v[3:4]
	v_mul_f64_e32 v[9:10], v[11:12], v[3:4]
	s_delay_alu instid0(VALU_DEP_1) | instskip(SKIP_1) | instid1(VALU_DEP_1)
	v_fma_f64 v[1:2], -v[1:2], v[9:10], v[11:12]
	s_wait_alu 0xfffd
	v_div_fmas_f64 v[1:2], v[1:2], v[3:4], v[9:10]
	s_delay_alu instid0(VALU_DEP_1) | instskip(NEXT) | instid1(VALU_DEP_1)
	v_div_fixup_f64 v[3:4], v[1:2], v[5:6], v[7:8]
	v_fma_f64 v[1:2], v[7:8], v[3:4], v[5:6]
	s_delay_alu instid0(VALU_DEP_1) | instskip(NEXT) | instid1(VALU_DEP_1)
	v_div_scale_f64 v[5:6], null, v[1:2], v[1:2], 1.0
	v_rcp_f64_e32 v[7:8], v[5:6]
	s_delay_alu instid0(TRANS32_DEP_1) | instskip(NEXT) | instid1(VALU_DEP_1)
	v_fma_f64 v[9:10], -v[5:6], v[7:8], 1.0
	v_fma_f64 v[7:8], v[7:8], v[9:10], v[7:8]
	s_delay_alu instid0(VALU_DEP_1) | instskip(NEXT) | instid1(VALU_DEP_1)
	v_fma_f64 v[9:10], -v[5:6], v[7:8], 1.0
	v_fma_f64 v[7:8], v[7:8], v[9:10], v[7:8]
	v_div_scale_f64 v[9:10], vcc_lo, 1.0, v[1:2], 1.0
	s_delay_alu instid0(VALU_DEP_1) | instskip(NEXT) | instid1(VALU_DEP_1)
	v_mul_f64_e32 v[11:12], v[9:10], v[7:8]
	v_fma_f64 v[5:6], -v[5:6], v[11:12], v[9:10]
	s_wait_alu 0xfffd
	s_delay_alu instid0(VALU_DEP_1) | instskip(NEXT) | instid1(VALU_DEP_1)
	v_div_fmas_f64 v[5:6], v[5:6], v[7:8], v[11:12]
	v_div_fixup_f64 v[1:2], v[5:6], v[1:2], 1.0
	s_delay_alu instid0(VALU_DEP_1)
	v_mul_f64_e64 v[3:4], v[3:4], -v[1:2]
	v_xor_b32_e32 v10, 0x80000000, v2
	v_mov_b32_e32 v9, v1
.LBB91_17:
	s_wait_alu 0xfffe
	s_or_b32 exec_lo, exec_lo, s1
	scratch_store_b128 v70, v[1:4], off
	scratch_load_b128 v[71:74], off, s36
	v_xor_b32_e32 v12, 0x80000000, v4
	v_mov_b32_e32 v11, v3
	v_add_nc_u32_e32 v5, 0x1c0, v69
	ds_store_b128 v69, v[9:12]
	s_wait_loadcnt 0x0
	ds_store_b128 v69, v[71:74] offset:448
	s_wait_storecnt_dscnt 0x0
	s_barrier_signal -1
	s_barrier_wait -1
	global_inv scope:SCOPE_SE
	s_and_saveexec_b32 s1, s0
	s_cbranch_execz .LBB91_19
; %bb.18:
	scratch_load_b128 v[1:4], v70, off
	ds_load_b128 v[6:9], v5
	v_mov_b32_e32 v10, 0
	ds_load_b128 v[71:74], v10 offset:16
	s_wait_loadcnt_dscnt 0x1
	v_mul_f64_e32 v[10:11], v[6:7], v[3:4]
	v_mul_f64_e32 v[3:4], v[8:9], v[3:4]
	s_delay_alu instid0(VALU_DEP_2) | instskip(NEXT) | instid1(VALU_DEP_2)
	v_fma_f64 v[8:9], v[8:9], v[1:2], v[10:11]
	v_fma_f64 v[1:2], v[6:7], v[1:2], -v[3:4]
	s_delay_alu instid0(VALU_DEP_2) | instskip(NEXT) | instid1(VALU_DEP_2)
	v_add_f64_e32 v[3:4], 0, v[8:9]
	v_add_f64_e32 v[1:2], 0, v[1:2]
	s_wait_dscnt 0x0
	s_delay_alu instid0(VALU_DEP_2) | instskip(NEXT) | instid1(VALU_DEP_2)
	v_mul_f64_e32 v[6:7], v[3:4], v[73:74]
	v_mul_f64_e32 v[8:9], v[1:2], v[73:74]
	s_delay_alu instid0(VALU_DEP_2) | instskip(NEXT) | instid1(VALU_DEP_2)
	v_fma_f64 v[1:2], v[1:2], v[71:72], -v[6:7]
	v_fma_f64 v[3:4], v[3:4], v[71:72], v[8:9]
	scratch_store_b128 off, v[1:4], off offset:32
.LBB91_19:
	s_wait_alu 0xfffe
	s_or_b32 exec_lo, exec_lo, s1
	s_wait_loadcnt 0x0
	s_wait_storecnt 0x0
	s_barrier_signal -1
	s_barrier_wait -1
	global_inv scope:SCOPE_SE
	scratch_load_b128 v[1:4], off, s35
	s_mov_b32 s1, exec_lo
	s_wait_loadcnt 0x0
	ds_store_b128 v5, v[1:4]
	s_wait_dscnt 0x0
	s_barrier_signal -1
	s_barrier_wait -1
	global_inv scope:SCOPE_SE
	v_cmpx_gt_u32_e32 2, v0
	s_cbranch_execz .LBB91_23
; %bb.20:
	scratch_load_b128 v[1:4], v70, off
	ds_load_b128 v[6:9], v5
	s_wait_loadcnt_dscnt 0x0
	v_mul_f64_e32 v[10:11], v[8:9], v[3:4]
	v_mul_f64_e32 v[3:4], v[6:7], v[3:4]
	s_delay_alu instid0(VALU_DEP_2) | instskip(NEXT) | instid1(VALU_DEP_2)
	v_fma_f64 v[6:7], v[6:7], v[1:2], -v[10:11]
	v_fma_f64 v[3:4], v[8:9], v[1:2], v[3:4]
	s_delay_alu instid0(VALU_DEP_2) | instskip(NEXT) | instid1(VALU_DEP_2)
	v_add_f64_e32 v[1:2], 0, v[6:7]
	v_add_f64_e32 v[3:4], 0, v[3:4]
	s_and_saveexec_b32 s37, s0
	s_cbranch_execz .LBB91_22
; %bb.21:
	scratch_load_b128 v[6:9], off, off offset:32
	v_mov_b32_e32 v10, 0
	ds_load_b128 v[71:74], v10 offset:464
	s_wait_loadcnt_dscnt 0x0
	v_mul_f64_e32 v[10:11], v[71:72], v[8:9]
	v_mul_f64_e32 v[8:9], v[73:74], v[8:9]
	s_delay_alu instid0(VALU_DEP_2) | instskip(NEXT) | instid1(VALU_DEP_2)
	v_fma_f64 v[10:11], v[73:74], v[6:7], v[10:11]
	v_fma_f64 v[6:7], v[71:72], v[6:7], -v[8:9]
	s_delay_alu instid0(VALU_DEP_2) | instskip(NEXT) | instid1(VALU_DEP_2)
	v_add_f64_e32 v[3:4], v[3:4], v[10:11]
	v_add_f64_e32 v[1:2], v[1:2], v[6:7]
.LBB91_22:
	s_or_b32 exec_lo, exec_lo, s37
	v_mov_b32_e32 v6, 0
	ds_load_b128 v[6:9], v6 offset:32
	s_wait_dscnt 0x0
	v_mul_f64_e32 v[10:11], v[3:4], v[8:9]
	v_mul_f64_e32 v[8:9], v[1:2], v[8:9]
	s_delay_alu instid0(VALU_DEP_2) | instskip(NEXT) | instid1(VALU_DEP_2)
	v_fma_f64 v[1:2], v[1:2], v[6:7], -v[10:11]
	v_fma_f64 v[3:4], v[3:4], v[6:7], v[8:9]
	scratch_store_b128 off, v[1:4], off offset:48
.LBB91_23:
	s_wait_alu 0xfffe
	s_or_b32 exec_lo, exec_lo, s1
	s_wait_loadcnt 0x0
	s_wait_storecnt 0x0
	s_barrier_signal -1
	s_barrier_wait -1
	global_inv scope:SCOPE_SE
	scratch_load_b128 v[1:4], off, s21
	v_add_nc_u32_e32 v6, -1, v0
	s_mov_b32 s0, exec_lo
	s_wait_loadcnt 0x0
	ds_store_b128 v5, v[1:4]
	s_wait_dscnt 0x0
	s_barrier_signal -1
	s_barrier_wait -1
	global_inv scope:SCOPE_SE
	v_cmpx_gt_u32_e32 3, v0
	s_cbranch_execz .LBB91_27
; %bb.24:
	v_dual_mov_b32 v1, 0 :: v_dual_add_nc_u32 v8, 0x1c0, v69
	v_mov_b32_e32 v3, 0
	v_dual_mov_b32 v2, 0 :: v_dual_add_nc_u32 v7, -1, v0
	v_mov_b32_e32 v4, 0
	v_or_b32_e32 v9, 8, v70
	s_mov_b32 s1, 0
.LBB91_25:                              ; =>This Inner Loop Header: Depth=1
	scratch_load_b128 v[71:74], v9, off offset:-8
	ds_load_b128 v[75:78], v8
	v_add_nc_u32_e32 v7, 1, v7
	v_add_nc_u32_e32 v8, 16, v8
	v_add_nc_u32_e32 v9, 16, v9
	s_delay_alu instid0(VALU_DEP_3)
	v_cmp_lt_u32_e32 vcc_lo, 1, v7
	s_wait_alu 0xfffe
	s_or_b32 s1, vcc_lo, s1
	s_wait_loadcnt_dscnt 0x0
	v_mul_f64_e32 v[10:11], v[77:78], v[73:74]
	v_mul_f64_e32 v[73:74], v[75:76], v[73:74]
	s_delay_alu instid0(VALU_DEP_2) | instskip(NEXT) | instid1(VALU_DEP_2)
	v_fma_f64 v[10:11], v[75:76], v[71:72], -v[10:11]
	v_fma_f64 v[71:72], v[77:78], v[71:72], v[73:74]
	s_delay_alu instid0(VALU_DEP_2) | instskip(NEXT) | instid1(VALU_DEP_2)
	v_add_f64_e32 v[3:4], v[3:4], v[10:11]
	v_add_f64_e32 v[1:2], v[1:2], v[71:72]
	s_wait_alu 0xfffe
	s_and_not1_b32 exec_lo, exec_lo, s1
	s_cbranch_execnz .LBB91_25
; %bb.26:
	s_or_b32 exec_lo, exec_lo, s1
	v_mov_b32_e32 v7, 0
	ds_load_b128 v[7:10], v7 offset:48
	s_wait_dscnt 0x0
	v_mul_f64_e32 v[11:12], v[1:2], v[9:10]
	v_mul_f64_e32 v[71:72], v[3:4], v[9:10]
	s_delay_alu instid0(VALU_DEP_2) | instskip(NEXT) | instid1(VALU_DEP_2)
	v_fma_f64 v[9:10], v[3:4], v[7:8], -v[11:12]
	v_fma_f64 v[11:12], v[1:2], v[7:8], v[71:72]
	scratch_store_b128 off, v[9:12], off offset:64
.LBB91_27:
	s_wait_alu 0xfffe
	s_or_b32 exec_lo, exec_lo, s0
	s_wait_loadcnt 0x0
	s_wait_storecnt 0x0
	s_barrier_signal -1
	s_barrier_wait -1
	global_inv scope:SCOPE_SE
	scratch_load_b128 v[1:4], off, s22
	s_mov_b32 s0, exec_lo
	s_wait_loadcnt 0x0
	ds_store_b128 v5, v[1:4]
	s_wait_dscnt 0x0
	s_barrier_signal -1
	s_barrier_wait -1
	global_inv scope:SCOPE_SE
	v_cmpx_gt_u32_e32 4, v0
	s_cbranch_execz .LBB91_31
; %bb.28:
	v_dual_mov_b32 v1, 0 :: v_dual_add_nc_u32 v8, 0x1c0, v69
	v_mov_b32_e32 v3, 0
	v_dual_mov_b32 v2, 0 :: v_dual_add_nc_u32 v7, -1, v0
	v_mov_b32_e32 v4, 0
	v_or_b32_e32 v9, 8, v70
	s_mov_b32 s1, 0
.LBB91_29:                              ; =>This Inner Loop Header: Depth=1
	scratch_load_b128 v[71:74], v9, off offset:-8
	ds_load_b128 v[75:78], v8
	v_add_nc_u32_e32 v7, 1, v7
	v_add_nc_u32_e32 v8, 16, v8
	v_add_nc_u32_e32 v9, 16, v9
	s_delay_alu instid0(VALU_DEP_3)
	v_cmp_lt_u32_e32 vcc_lo, 2, v7
	s_wait_alu 0xfffe
	s_or_b32 s1, vcc_lo, s1
	s_wait_loadcnt_dscnt 0x0
	v_mul_f64_e32 v[10:11], v[77:78], v[73:74]
	v_mul_f64_e32 v[73:74], v[75:76], v[73:74]
	s_delay_alu instid0(VALU_DEP_2) | instskip(NEXT) | instid1(VALU_DEP_2)
	v_fma_f64 v[10:11], v[75:76], v[71:72], -v[10:11]
	v_fma_f64 v[71:72], v[77:78], v[71:72], v[73:74]
	s_delay_alu instid0(VALU_DEP_2) | instskip(NEXT) | instid1(VALU_DEP_2)
	v_add_f64_e32 v[3:4], v[3:4], v[10:11]
	v_add_f64_e32 v[1:2], v[1:2], v[71:72]
	s_wait_alu 0xfffe
	s_and_not1_b32 exec_lo, exec_lo, s1
	s_cbranch_execnz .LBB91_29
; %bb.30:
	s_or_b32 exec_lo, exec_lo, s1
	v_mov_b32_e32 v7, 0
	ds_load_b128 v[7:10], v7 offset:64
	s_wait_dscnt 0x0
	v_mul_f64_e32 v[11:12], v[1:2], v[9:10]
	v_mul_f64_e32 v[71:72], v[3:4], v[9:10]
	s_delay_alu instid0(VALU_DEP_2) | instskip(NEXT) | instid1(VALU_DEP_2)
	v_fma_f64 v[9:10], v[3:4], v[7:8], -v[11:12]
	v_fma_f64 v[11:12], v[1:2], v[7:8], v[71:72]
	scratch_store_b128 off, v[9:12], off offset:80
.LBB91_31:
	s_wait_alu 0xfffe
	s_or_b32 exec_lo, exec_lo, s0
	s_wait_loadcnt 0x0
	s_wait_storecnt 0x0
	s_barrier_signal -1
	s_barrier_wait -1
	global_inv scope:SCOPE_SE
	scratch_load_b128 v[1:4], off, s4
	s_mov_b32 s0, exec_lo
	s_wait_loadcnt 0x0
	ds_store_b128 v5, v[1:4]
	s_wait_dscnt 0x0
	s_barrier_signal -1
	s_barrier_wait -1
	global_inv scope:SCOPE_SE
	v_cmpx_gt_u32_e32 5, v0
	s_cbranch_execz .LBB91_35
; %bb.32:
	v_dual_mov_b32 v1, 0 :: v_dual_add_nc_u32 v8, 0x1c0, v69
	v_mov_b32_e32 v3, 0
	v_dual_mov_b32 v2, 0 :: v_dual_add_nc_u32 v7, -1, v0
	v_mov_b32_e32 v4, 0
	v_or_b32_e32 v9, 8, v70
	s_mov_b32 s1, 0
.LBB91_33:                              ; =>This Inner Loop Header: Depth=1
	scratch_load_b128 v[71:74], v9, off offset:-8
	ds_load_b128 v[75:78], v8
	v_add_nc_u32_e32 v7, 1, v7
	v_add_nc_u32_e32 v8, 16, v8
	v_add_nc_u32_e32 v9, 16, v9
	s_delay_alu instid0(VALU_DEP_3)
	v_cmp_lt_u32_e32 vcc_lo, 3, v7
	s_wait_alu 0xfffe
	s_or_b32 s1, vcc_lo, s1
	s_wait_loadcnt_dscnt 0x0
	v_mul_f64_e32 v[10:11], v[77:78], v[73:74]
	v_mul_f64_e32 v[73:74], v[75:76], v[73:74]
	s_delay_alu instid0(VALU_DEP_2) | instskip(NEXT) | instid1(VALU_DEP_2)
	v_fma_f64 v[10:11], v[75:76], v[71:72], -v[10:11]
	v_fma_f64 v[71:72], v[77:78], v[71:72], v[73:74]
	s_delay_alu instid0(VALU_DEP_2) | instskip(NEXT) | instid1(VALU_DEP_2)
	v_add_f64_e32 v[3:4], v[3:4], v[10:11]
	v_add_f64_e32 v[1:2], v[1:2], v[71:72]
	s_wait_alu 0xfffe
	s_and_not1_b32 exec_lo, exec_lo, s1
	s_cbranch_execnz .LBB91_33
; %bb.34:
	s_or_b32 exec_lo, exec_lo, s1
	v_mov_b32_e32 v7, 0
	ds_load_b128 v[7:10], v7 offset:80
	s_wait_dscnt 0x0
	v_mul_f64_e32 v[11:12], v[1:2], v[9:10]
	v_mul_f64_e32 v[71:72], v[3:4], v[9:10]
	s_delay_alu instid0(VALU_DEP_2) | instskip(NEXT) | instid1(VALU_DEP_2)
	v_fma_f64 v[9:10], v[3:4], v[7:8], -v[11:12]
	v_fma_f64 v[11:12], v[1:2], v[7:8], v[71:72]
	scratch_store_b128 off, v[9:12], off offset:96
.LBB91_35:
	s_wait_alu 0xfffe
	s_or_b32 exec_lo, exec_lo, s0
	s_wait_loadcnt 0x0
	s_wait_storecnt 0x0
	s_barrier_signal -1
	s_barrier_wait -1
	global_inv scope:SCOPE_SE
	scratch_load_b128 v[1:4], off, s23
	s_mov_b32 s0, exec_lo
	s_wait_loadcnt 0x0
	ds_store_b128 v5, v[1:4]
	s_wait_dscnt 0x0
	s_barrier_signal -1
	s_barrier_wait -1
	global_inv scope:SCOPE_SE
	v_cmpx_gt_u32_e32 6, v0
	s_cbranch_execz .LBB91_39
; %bb.36:
	v_dual_mov_b32 v1, 0 :: v_dual_add_nc_u32 v8, 0x1c0, v69
	v_mov_b32_e32 v3, 0
	v_dual_mov_b32 v2, 0 :: v_dual_add_nc_u32 v7, -1, v0
	v_mov_b32_e32 v4, 0
	v_or_b32_e32 v9, 8, v70
	s_mov_b32 s1, 0
.LBB91_37:                              ; =>This Inner Loop Header: Depth=1
	scratch_load_b128 v[71:74], v9, off offset:-8
	ds_load_b128 v[75:78], v8
	v_add_nc_u32_e32 v7, 1, v7
	v_add_nc_u32_e32 v8, 16, v8
	v_add_nc_u32_e32 v9, 16, v9
	s_delay_alu instid0(VALU_DEP_3)
	v_cmp_lt_u32_e32 vcc_lo, 4, v7
	s_wait_alu 0xfffe
	s_or_b32 s1, vcc_lo, s1
	s_wait_loadcnt_dscnt 0x0
	v_mul_f64_e32 v[10:11], v[77:78], v[73:74]
	v_mul_f64_e32 v[73:74], v[75:76], v[73:74]
	s_delay_alu instid0(VALU_DEP_2) | instskip(NEXT) | instid1(VALU_DEP_2)
	v_fma_f64 v[10:11], v[75:76], v[71:72], -v[10:11]
	v_fma_f64 v[71:72], v[77:78], v[71:72], v[73:74]
	s_delay_alu instid0(VALU_DEP_2) | instskip(NEXT) | instid1(VALU_DEP_2)
	v_add_f64_e32 v[3:4], v[3:4], v[10:11]
	v_add_f64_e32 v[1:2], v[1:2], v[71:72]
	s_wait_alu 0xfffe
	s_and_not1_b32 exec_lo, exec_lo, s1
	s_cbranch_execnz .LBB91_37
; %bb.38:
	s_or_b32 exec_lo, exec_lo, s1
	v_mov_b32_e32 v7, 0
	ds_load_b128 v[7:10], v7 offset:96
	s_wait_dscnt 0x0
	v_mul_f64_e32 v[11:12], v[1:2], v[9:10]
	v_mul_f64_e32 v[71:72], v[3:4], v[9:10]
	s_delay_alu instid0(VALU_DEP_2) | instskip(NEXT) | instid1(VALU_DEP_2)
	v_fma_f64 v[9:10], v[3:4], v[7:8], -v[11:12]
	v_fma_f64 v[11:12], v[1:2], v[7:8], v[71:72]
	scratch_store_b128 off, v[9:12], off offset:112
.LBB91_39:
	s_wait_alu 0xfffe
	s_or_b32 exec_lo, exec_lo, s0
	s_wait_loadcnt 0x0
	s_wait_storecnt 0x0
	s_barrier_signal -1
	s_barrier_wait -1
	global_inv scope:SCOPE_SE
	scratch_load_b128 v[1:4], off, s5
	s_mov_b32 s0, exec_lo
	s_wait_loadcnt 0x0
	ds_store_b128 v5, v[1:4]
	s_wait_dscnt 0x0
	s_barrier_signal -1
	s_barrier_wait -1
	global_inv scope:SCOPE_SE
	v_cmpx_gt_u32_e32 7, v0
	s_cbranch_execz .LBB91_43
; %bb.40:
	v_dual_mov_b32 v1, 0 :: v_dual_add_nc_u32 v8, 0x1c0, v69
	v_mov_b32_e32 v3, 0
	v_dual_mov_b32 v2, 0 :: v_dual_add_nc_u32 v7, -1, v0
	v_mov_b32_e32 v4, 0
	v_or_b32_e32 v9, 8, v70
	s_mov_b32 s1, 0
.LBB91_41:                              ; =>This Inner Loop Header: Depth=1
	scratch_load_b128 v[71:74], v9, off offset:-8
	ds_load_b128 v[75:78], v8
	v_add_nc_u32_e32 v7, 1, v7
	v_add_nc_u32_e32 v8, 16, v8
	v_add_nc_u32_e32 v9, 16, v9
	s_delay_alu instid0(VALU_DEP_3)
	v_cmp_lt_u32_e32 vcc_lo, 5, v7
	s_wait_alu 0xfffe
	s_or_b32 s1, vcc_lo, s1
	s_wait_loadcnt_dscnt 0x0
	v_mul_f64_e32 v[10:11], v[77:78], v[73:74]
	v_mul_f64_e32 v[73:74], v[75:76], v[73:74]
	s_delay_alu instid0(VALU_DEP_2) | instskip(NEXT) | instid1(VALU_DEP_2)
	v_fma_f64 v[10:11], v[75:76], v[71:72], -v[10:11]
	v_fma_f64 v[71:72], v[77:78], v[71:72], v[73:74]
	s_delay_alu instid0(VALU_DEP_2) | instskip(NEXT) | instid1(VALU_DEP_2)
	v_add_f64_e32 v[3:4], v[3:4], v[10:11]
	v_add_f64_e32 v[1:2], v[1:2], v[71:72]
	s_wait_alu 0xfffe
	s_and_not1_b32 exec_lo, exec_lo, s1
	s_cbranch_execnz .LBB91_41
; %bb.42:
	s_or_b32 exec_lo, exec_lo, s1
	v_mov_b32_e32 v7, 0
	ds_load_b128 v[7:10], v7 offset:112
	s_wait_dscnt 0x0
	v_mul_f64_e32 v[11:12], v[1:2], v[9:10]
	v_mul_f64_e32 v[71:72], v[3:4], v[9:10]
	s_delay_alu instid0(VALU_DEP_2) | instskip(NEXT) | instid1(VALU_DEP_2)
	v_fma_f64 v[9:10], v[3:4], v[7:8], -v[11:12]
	v_fma_f64 v[11:12], v[1:2], v[7:8], v[71:72]
	scratch_store_b128 off, v[9:12], off offset:128
.LBB91_43:
	s_wait_alu 0xfffe
	s_or_b32 exec_lo, exec_lo, s0
	s_wait_loadcnt 0x0
	s_wait_storecnt 0x0
	s_barrier_signal -1
	s_barrier_wait -1
	global_inv scope:SCOPE_SE
	scratch_load_b128 v[1:4], off, s24
	s_mov_b32 s0, exec_lo
	s_wait_loadcnt 0x0
	ds_store_b128 v5, v[1:4]
	s_wait_dscnt 0x0
	s_barrier_signal -1
	s_barrier_wait -1
	global_inv scope:SCOPE_SE
	v_cmpx_gt_u32_e32 8, v0
	s_cbranch_execz .LBB91_47
; %bb.44:
	v_dual_mov_b32 v1, 0 :: v_dual_add_nc_u32 v8, 0x1c0, v69
	v_mov_b32_e32 v3, 0
	v_dual_mov_b32 v2, 0 :: v_dual_add_nc_u32 v7, -1, v0
	v_mov_b32_e32 v4, 0
	v_or_b32_e32 v9, 8, v70
	s_mov_b32 s1, 0
.LBB91_45:                              ; =>This Inner Loop Header: Depth=1
	scratch_load_b128 v[71:74], v9, off offset:-8
	ds_load_b128 v[75:78], v8
	v_add_nc_u32_e32 v7, 1, v7
	v_add_nc_u32_e32 v8, 16, v8
	v_add_nc_u32_e32 v9, 16, v9
	s_delay_alu instid0(VALU_DEP_3)
	v_cmp_lt_u32_e32 vcc_lo, 6, v7
	s_wait_alu 0xfffe
	s_or_b32 s1, vcc_lo, s1
	s_wait_loadcnt_dscnt 0x0
	v_mul_f64_e32 v[10:11], v[77:78], v[73:74]
	v_mul_f64_e32 v[73:74], v[75:76], v[73:74]
	s_delay_alu instid0(VALU_DEP_2) | instskip(NEXT) | instid1(VALU_DEP_2)
	v_fma_f64 v[10:11], v[75:76], v[71:72], -v[10:11]
	v_fma_f64 v[71:72], v[77:78], v[71:72], v[73:74]
	s_delay_alu instid0(VALU_DEP_2) | instskip(NEXT) | instid1(VALU_DEP_2)
	v_add_f64_e32 v[3:4], v[3:4], v[10:11]
	v_add_f64_e32 v[1:2], v[1:2], v[71:72]
	s_wait_alu 0xfffe
	s_and_not1_b32 exec_lo, exec_lo, s1
	s_cbranch_execnz .LBB91_45
; %bb.46:
	s_or_b32 exec_lo, exec_lo, s1
	v_mov_b32_e32 v7, 0
	ds_load_b128 v[7:10], v7 offset:128
	s_wait_dscnt 0x0
	v_mul_f64_e32 v[11:12], v[1:2], v[9:10]
	v_mul_f64_e32 v[71:72], v[3:4], v[9:10]
	s_delay_alu instid0(VALU_DEP_2) | instskip(NEXT) | instid1(VALU_DEP_2)
	v_fma_f64 v[9:10], v[3:4], v[7:8], -v[11:12]
	v_fma_f64 v[11:12], v[1:2], v[7:8], v[71:72]
	scratch_store_b128 off, v[9:12], off offset:144
.LBB91_47:
	s_wait_alu 0xfffe
	s_or_b32 exec_lo, exec_lo, s0
	s_wait_loadcnt 0x0
	s_wait_storecnt 0x0
	s_barrier_signal -1
	s_barrier_wait -1
	global_inv scope:SCOPE_SE
	scratch_load_b128 v[1:4], off, s10
	s_mov_b32 s0, exec_lo
	s_wait_loadcnt 0x0
	ds_store_b128 v5, v[1:4]
	s_wait_dscnt 0x0
	s_barrier_signal -1
	s_barrier_wait -1
	global_inv scope:SCOPE_SE
	v_cmpx_gt_u32_e32 9, v0
	s_cbranch_execz .LBB91_51
; %bb.48:
	v_dual_mov_b32 v1, 0 :: v_dual_add_nc_u32 v8, 0x1c0, v69
	v_mov_b32_e32 v3, 0
	v_dual_mov_b32 v2, 0 :: v_dual_add_nc_u32 v7, -1, v0
	v_mov_b32_e32 v4, 0
	v_or_b32_e32 v9, 8, v70
	s_mov_b32 s1, 0
.LBB91_49:                              ; =>This Inner Loop Header: Depth=1
	scratch_load_b128 v[71:74], v9, off offset:-8
	ds_load_b128 v[75:78], v8
	v_add_nc_u32_e32 v7, 1, v7
	v_add_nc_u32_e32 v8, 16, v8
	v_add_nc_u32_e32 v9, 16, v9
	s_delay_alu instid0(VALU_DEP_3)
	v_cmp_lt_u32_e32 vcc_lo, 7, v7
	s_wait_alu 0xfffe
	s_or_b32 s1, vcc_lo, s1
	s_wait_loadcnt_dscnt 0x0
	v_mul_f64_e32 v[10:11], v[77:78], v[73:74]
	v_mul_f64_e32 v[73:74], v[75:76], v[73:74]
	s_delay_alu instid0(VALU_DEP_2) | instskip(NEXT) | instid1(VALU_DEP_2)
	v_fma_f64 v[10:11], v[75:76], v[71:72], -v[10:11]
	v_fma_f64 v[71:72], v[77:78], v[71:72], v[73:74]
	s_delay_alu instid0(VALU_DEP_2) | instskip(NEXT) | instid1(VALU_DEP_2)
	v_add_f64_e32 v[3:4], v[3:4], v[10:11]
	v_add_f64_e32 v[1:2], v[1:2], v[71:72]
	s_wait_alu 0xfffe
	s_and_not1_b32 exec_lo, exec_lo, s1
	s_cbranch_execnz .LBB91_49
; %bb.50:
	s_or_b32 exec_lo, exec_lo, s1
	v_mov_b32_e32 v7, 0
	ds_load_b128 v[7:10], v7 offset:144
	s_wait_dscnt 0x0
	v_mul_f64_e32 v[11:12], v[1:2], v[9:10]
	v_mul_f64_e32 v[71:72], v[3:4], v[9:10]
	s_delay_alu instid0(VALU_DEP_2) | instskip(NEXT) | instid1(VALU_DEP_2)
	v_fma_f64 v[9:10], v[3:4], v[7:8], -v[11:12]
	v_fma_f64 v[11:12], v[1:2], v[7:8], v[71:72]
	scratch_store_b128 off, v[9:12], off offset:160
.LBB91_51:
	s_wait_alu 0xfffe
	s_or_b32 exec_lo, exec_lo, s0
	s_wait_loadcnt 0x0
	s_wait_storecnt 0x0
	s_barrier_signal -1
	s_barrier_wait -1
	global_inv scope:SCOPE_SE
	scratch_load_b128 v[1:4], off, s25
	s_mov_b32 s0, exec_lo
	s_wait_loadcnt 0x0
	ds_store_b128 v5, v[1:4]
	s_wait_dscnt 0x0
	s_barrier_signal -1
	s_barrier_wait -1
	global_inv scope:SCOPE_SE
	v_cmpx_gt_u32_e32 10, v0
	s_cbranch_execz .LBB91_55
; %bb.52:
	v_dual_mov_b32 v1, 0 :: v_dual_add_nc_u32 v8, 0x1c0, v69
	v_mov_b32_e32 v3, 0
	v_dual_mov_b32 v2, 0 :: v_dual_add_nc_u32 v7, -1, v0
	v_mov_b32_e32 v4, 0
	v_or_b32_e32 v9, 8, v70
	s_mov_b32 s1, 0
.LBB91_53:                              ; =>This Inner Loop Header: Depth=1
	scratch_load_b128 v[71:74], v9, off offset:-8
	ds_load_b128 v[75:78], v8
	v_add_nc_u32_e32 v7, 1, v7
	v_add_nc_u32_e32 v8, 16, v8
	v_add_nc_u32_e32 v9, 16, v9
	s_delay_alu instid0(VALU_DEP_3)
	v_cmp_lt_u32_e32 vcc_lo, 8, v7
	s_wait_alu 0xfffe
	s_or_b32 s1, vcc_lo, s1
	s_wait_loadcnt_dscnt 0x0
	v_mul_f64_e32 v[10:11], v[77:78], v[73:74]
	v_mul_f64_e32 v[73:74], v[75:76], v[73:74]
	s_delay_alu instid0(VALU_DEP_2) | instskip(NEXT) | instid1(VALU_DEP_2)
	v_fma_f64 v[10:11], v[75:76], v[71:72], -v[10:11]
	v_fma_f64 v[71:72], v[77:78], v[71:72], v[73:74]
	s_delay_alu instid0(VALU_DEP_2) | instskip(NEXT) | instid1(VALU_DEP_2)
	v_add_f64_e32 v[3:4], v[3:4], v[10:11]
	v_add_f64_e32 v[1:2], v[1:2], v[71:72]
	s_wait_alu 0xfffe
	s_and_not1_b32 exec_lo, exec_lo, s1
	s_cbranch_execnz .LBB91_53
; %bb.54:
	s_or_b32 exec_lo, exec_lo, s1
	v_mov_b32_e32 v7, 0
	ds_load_b128 v[7:10], v7 offset:160
	s_wait_dscnt 0x0
	v_mul_f64_e32 v[11:12], v[1:2], v[9:10]
	v_mul_f64_e32 v[71:72], v[3:4], v[9:10]
	s_delay_alu instid0(VALU_DEP_2) | instskip(NEXT) | instid1(VALU_DEP_2)
	v_fma_f64 v[9:10], v[3:4], v[7:8], -v[11:12]
	v_fma_f64 v[11:12], v[1:2], v[7:8], v[71:72]
	scratch_store_b128 off, v[9:12], off offset:176
.LBB91_55:
	s_wait_alu 0xfffe
	s_or_b32 exec_lo, exec_lo, s0
	s_wait_loadcnt 0x0
	s_wait_storecnt 0x0
	s_barrier_signal -1
	s_barrier_wait -1
	global_inv scope:SCOPE_SE
	scratch_load_b128 v[1:4], off, s11
	s_mov_b32 s0, exec_lo
	s_wait_loadcnt 0x0
	ds_store_b128 v5, v[1:4]
	s_wait_dscnt 0x0
	s_barrier_signal -1
	s_barrier_wait -1
	global_inv scope:SCOPE_SE
	v_cmpx_gt_u32_e32 11, v0
	s_cbranch_execz .LBB91_59
; %bb.56:
	v_dual_mov_b32 v1, 0 :: v_dual_add_nc_u32 v8, 0x1c0, v69
	v_mov_b32_e32 v3, 0
	v_dual_mov_b32 v2, 0 :: v_dual_add_nc_u32 v7, -1, v0
	v_mov_b32_e32 v4, 0
	v_or_b32_e32 v9, 8, v70
	s_mov_b32 s1, 0
.LBB91_57:                              ; =>This Inner Loop Header: Depth=1
	scratch_load_b128 v[71:74], v9, off offset:-8
	ds_load_b128 v[75:78], v8
	v_add_nc_u32_e32 v7, 1, v7
	v_add_nc_u32_e32 v8, 16, v8
	v_add_nc_u32_e32 v9, 16, v9
	s_delay_alu instid0(VALU_DEP_3)
	v_cmp_lt_u32_e32 vcc_lo, 9, v7
	s_wait_alu 0xfffe
	s_or_b32 s1, vcc_lo, s1
	s_wait_loadcnt_dscnt 0x0
	v_mul_f64_e32 v[10:11], v[77:78], v[73:74]
	v_mul_f64_e32 v[73:74], v[75:76], v[73:74]
	s_delay_alu instid0(VALU_DEP_2) | instskip(NEXT) | instid1(VALU_DEP_2)
	v_fma_f64 v[10:11], v[75:76], v[71:72], -v[10:11]
	v_fma_f64 v[71:72], v[77:78], v[71:72], v[73:74]
	s_delay_alu instid0(VALU_DEP_2) | instskip(NEXT) | instid1(VALU_DEP_2)
	v_add_f64_e32 v[3:4], v[3:4], v[10:11]
	v_add_f64_e32 v[1:2], v[1:2], v[71:72]
	s_wait_alu 0xfffe
	s_and_not1_b32 exec_lo, exec_lo, s1
	s_cbranch_execnz .LBB91_57
; %bb.58:
	s_or_b32 exec_lo, exec_lo, s1
	v_mov_b32_e32 v7, 0
	ds_load_b128 v[7:10], v7 offset:176
	s_wait_dscnt 0x0
	v_mul_f64_e32 v[11:12], v[1:2], v[9:10]
	v_mul_f64_e32 v[71:72], v[3:4], v[9:10]
	s_delay_alu instid0(VALU_DEP_2) | instskip(NEXT) | instid1(VALU_DEP_2)
	v_fma_f64 v[9:10], v[3:4], v[7:8], -v[11:12]
	v_fma_f64 v[11:12], v[1:2], v[7:8], v[71:72]
	scratch_store_b128 off, v[9:12], off offset:192
.LBB91_59:
	s_wait_alu 0xfffe
	s_or_b32 exec_lo, exec_lo, s0
	s_wait_loadcnt 0x0
	s_wait_storecnt 0x0
	s_barrier_signal -1
	s_barrier_wait -1
	global_inv scope:SCOPE_SE
	scratch_load_b128 v[1:4], off, s26
	s_mov_b32 s0, exec_lo
	s_wait_loadcnt 0x0
	ds_store_b128 v5, v[1:4]
	s_wait_dscnt 0x0
	s_barrier_signal -1
	s_barrier_wait -1
	global_inv scope:SCOPE_SE
	v_cmpx_gt_u32_e32 12, v0
	s_cbranch_execz .LBB91_63
; %bb.60:
	v_dual_mov_b32 v1, 0 :: v_dual_add_nc_u32 v8, 0x1c0, v69
	v_mov_b32_e32 v3, 0
	v_dual_mov_b32 v2, 0 :: v_dual_add_nc_u32 v7, -1, v0
	v_mov_b32_e32 v4, 0
	v_or_b32_e32 v9, 8, v70
	s_mov_b32 s1, 0
.LBB91_61:                              ; =>This Inner Loop Header: Depth=1
	scratch_load_b128 v[71:74], v9, off offset:-8
	ds_load_b128 v[75:78], v8
	v_add_nc_u32_e32 v7, 1, v7
	v_add_nc_u32_e32 v8, 16, v8
	v_add_nc_u32_e32 v9, 16, v9
	s_delay_alu instid0(VALU_DEP_3)
	v_cmp_lt_u32_e32 vcc_lo, 10, v7
	s_wait_alu 0xfffe
	s_or_b32 s1, vcc_lo, s1
	s_wait_loadcnt_dscnt 0x0
	v_mul_f64_e32 v[10:11], v[77:78], v[73:74]
	v_mul_f64_e32 v[73:74], v[75:76], v[73:74]
	s_delay_alu instid0(VALU_DEP_2) | instskip(NEXT) | instid1(VALU_DEP_2)
	v_fma_f64 v[10:11], v[75:76], v[71:72], -v[10:11]
	v_fma_f64 v[71:72], v[77:78], v[71:72], v[73:74]
	s_delay_alu instid0(VALU_DEP_2) | instskip(NEXT) | instid1(VALU_DEP_2)
	v_add_f64_e32 v[3:4], v[3:4], v[10:11]
	v_add_f64_e32 v[1:2], v[1:2], v[71:72]
	s_wait_alu 0xfffe
	s_and_not1_b32 exec_lo, exec_lo, s1
	s_cbranch_execnz .LBB91_61
; %bb.62:
	s_or_b32 exec_lo, exec_lo, s1
	v_mov_b32_e32 v7, 0
	ds_load_b128 v[7:10], v7 offset:192
	s_wait_dscnt 0x0
	v_mul_f64_e32 v[11:12], v[1:2], v[9:10]
	v_mul_f64_e32 v[71:72], v[3:4], v[9:10]
	s_delay_alu instid0(VALU_DEP_2) | instskip(NEXT) | instid1(VALU_DEP_2)
	v_fma_f64 v[9:10], v[3:4], v[7:8], -v[11:12]
	v_fma_f64 v[11:12], v[1:2], v[7:8], v[71:72]
	scratch_store_b128 off, v[9:12], off offset:208
.LBB91_63:
	s_wait_alu 0xfffe
	s_or_b32 exec_lo, exec_lo, s0
	s_wait_loadcnt 0x0
	s_wait_storecnt 0x0
	s_barrier_signal -1
	s_barrier_wait -1
	global_inv scope:SCOPE_SE
	scratch_load_b128 v[1:4], off, s13
	s_mov_b32 s0, exec_lo
	s_wait_loadcnt 0x0
	ds_store_b128 v5, v[1:4]
	s_wait_dscnt 0x0
	s_barrier_signal -1
	s_barrier_wait -1
	global_inv scope:SCOPE_SE
	v_cmpx_gt_u32_e32 13, v0
	s_cbranch_execz .LBB91_67
; %bb.64:
	v_dual_mov_b32 v1, 0 :: v_dual_add_nc_u32 v8, 0x1c0, v69
	v_mov_b32_e32 v3, 0
	v_dual_mov_b32 v2, 0 :: v_dual_add_nc_u32 v7, -1, v0
	v_mov_b32_e32 v4, 0
	v_or_b32_e32 v9, 8, v70
	s_mov_b32 s1, 0
.LBB91_65:                              ; =>This Inner Loop Header: Depth=1
	scratch_load_b128 v[71:74], v9, off offset:-8
	ds_load_b128 v[75:78], v8
	v_add_nc_u32_e32 v7, 1, v7
	v_add_nc_u32_e32 v8, 16, v8
	v_add_nc_u32_e32 v9, 16, v9
	s_delay_alu instid0(VALU_DEP_3)
	v_cmp_lt_u32_e32 vcc_lo, 11, v7
	s_wait_alu 0xfffe
	s_or_b32 s1, vcc_lo, s1
	s_wait_loadcnt_dscnt 0x0
	v_mul_f64_e32 v[10:11], v[77:78], v[73:74]
	v_mul_f64_e32 v[73:74], v[75:76], v[73:74]
	s_delay_alu instid0(VALU_DEP_2) | instskip(NEXT) | instid1(VALU_DEP_2)
	v_fma_f64 v[10:11], v[75:76], v[71:72], -v[10:11]
	v_fma_f64 v[71:72], v[77:78], v[71:72], v[73:74]
	s_delay_alu instid0(VALU_DEP_2) | instskip(NEXT) | instid1(VALU_DEP_2)
	v_add_f64_e32 v[3:4], v[3:4], v[10:11]
	v_add_f64_e32 v[1:2], v[1:2], v[71:72]
	s_wait_alu 0xfffe
	s_and_not1_b32 exec_lo, exec_lo, s1
	s_cbranch_execnz .LBB91_65
; %bb.66:
	s_or_b32 exec_lo, exec_lo, s1
	v_mov_b32_e32 v7, 0
	ds_load_b128 v[7:10], v7 offset:208
	s_wait_dscnt 0x0
	v_mul_f64_e32 v[11:12], v[1:2], v[9:10]
	v_mul_f64_e32 v[71:72], v[3:4], v[9:10]
	s_delay_alu instid0(VALU_DEP_2) | instskip(NEXT) | instid1(VALU_DEP_2)
	v_fma_f64 v[9:10], v[3:4], v[7:8], -v[11:12]
	v_fma_f64 v[11:12], v[1:2], v[7:8], v[71:72]
	scratch_store_b128 off, v[9:12], off offset:224
.LBB91_67:
	s_wait_alu 0xfffe
	s_or_b32 exec_lo, exec_lo, s0
	s_wait_loadcnt 0x0
	s_wait_storecnt 0x0
	s_barrier_signal -1
	s_barrier_wait -1
	global_inv scope:SCOPE_SE
	scratch_load_b128 v[1:4], off, s27
	s_mov_b32 s0, exec_lo
	s_wait_loadcnt 0x0
	ds_store_b128 v5, v[1:4]
	s_wait_dscnt 0x0
	s_barrier_signal -1
	s_barrier_wait -1
	global_inv scope:SCOPE_SE
	v_cmpx_gt_u32_e32 14, v0
	s_cbranch_execz .LBB91_71
; %bb.68:
	v_dual_mov_b32 v1, 0 :: v_dual_add_nc_u32 v8, 0x1c0, v69
	v_mov_b32_e32 v3, 0
	v_dual_mov_b32 v2, 0 :: v_dual_add_nc_u32 v7, -1, v0
	v_mov_b32_e32 v4, 0
	v_or_b32_e32 v9, 8, v70
	s_mov_b32 s1, 0
.LBB91_69:                              ; =>This Inner Loop Header: Depth=1
	scratch_load_b128 v[71:74], v9, off offset:-8
	ds_load_b128 v[75:78], v8
	v_add_nc_u32_e32 v7, 1, v7
	v_add_nc_u32_e32 v8, 16, v8
	v_add_nc_u32_e32 v9, 16, v9
	s_delay_alu instid0(VALU_DEP_3)
	v_cmp_lt_u32_e32 vcc_lo, 12, v7
	s_wait_alu 0xfffe
	s_or_b32 s1, vcc_lo, s1
	s_wait_loadcnt_dscnt 0x0
	v_mul_f64_e32 v[10:11], v[77:78], v[73:74]
	v_mul_f64_e32 v[73:74], v[75:76], v[73:74]
	s_delay_alu instid0(VALU_DEP_2) | instskip(NEXT) | instid1(VALU_DEP_2)
	v_fma_f64 v[10:11], v[75:76], v[71:72], -v[10:11]
	v_fma_f64 v[71:72], v[77:78], v[71:72], v[73:74]
	s_delay_alu instid0(VALU_DEP_2) | instskip(NEXT) | instid1(VALU_DEP_2)
	v_add_f64_e32 v[3:4], v[3:4], v[10:11]
	v_add_f64_e32 v[1:2], v[1:2], v[71:72]
	s_wait_alu 0xfffe
	s_and_not1_b32 exec_lo, exec_lo, s1
	s_cbranch_execnz .LBB91_69
; %bb.70:
	s_or_b32 exec_lo, exec_lo, s1
	v_mov_b32_e32 v7, 0
	ds_load_b128 v[7:10], v7 offset:224
	s_wait_dscnt 0x0
	v_mul_f64_e32 v[11:12], v[1:2], v[9:10]
	v_mul_f64_e32 v[71:72], v[3:4], v[9:10]
	s_delay_alu instid0(VALU_DEP_2) | instskip(NEXT) | instid1(VALU_DEP_2)
	v_fma_f64 v[9:10], v[3:4], v[7:8], -v[11:12]
	v_fma_f64 v[11:12], v[1:2], v[7:8], v[71:72]
	scratch_store_b128 off, v[9:12], off offset:240
.LBB91_71:
	s_wait_alu 0xfffe
	s_or_b32 exec_lo, exec_lo, s0
	s_wait_loadcnt 0x0
	s_wait_storecnt 0x0
	s_barrier_signal -1
	s_barrier_wait -1
	global_inv scope:SCOPE_SE
	scratch_load_b128 v[1:4], off, s14
	s_mov_b32 s0, exec_lo
	s_wait_loadcnt 0x0
	ds_store_b128 v5, v[1:4]
	s_wait_dscnt 0x0
	s_barrier_signal -1
	s_barrier_wait -1
	global_inv scope:SCOPE_SE
	v_cmpx_gt_u32_e32 15, v0
	s_cbranch_execz .LBB91_75
; %bb.72:
	v_dual_mov_b32 v1, 0 :: v_dual_add_nc_u32 v8, 0x1c0, v69
	v_mov_b32_e32 v3, 0
	v_dual_mov_b32 v2, 0 :: v_dual_add_nc_u32 v7, -1, v0
	v_mov_b32_e32 v4, 0
	v_or_b32_e32 v9, 8, v70
	s_mov_b32 s1, 0
.LBB91_73:                              ; =>This Inner Loop Header: Depth=1
	scratch_load_b128 v[71:74], v9, off offset:-8
	ds_load_b128 v[75:78], v8
	v_add_nc_u32_e32 v7, 1, v7
	v_add_nc_u32_e32 v8, 16, v8
	v_add_nc_u32_e32 v9, 16, v9
	s_delay_alu instid0(VALU_DEP_3)
	v_cmp_lt_u32_e32 vcc_lo, 13, v7
	s_wait_alu 0xfffe
	s_or_b32 s1, vcc_lo, s1
	s_wait_loadcnt_dscnt 0x0
	v_mul_f64_e32 v[10:11], v[77:78], v[73:74]
	v_mul_f64_e32 v[73:74], v[75:76], v[73:74]
	s_delay_alu instid0(VALU_DEP_2) | instskip(NEXT) | instid1(VALU_DEP_2)
	v_fma_f64 v[10:11], v[75:76], v[71:72], -v[10:11]
	v_fma_f64 v[71:72], v[77:78], v[71:72], v[73:74]
	s_delay_alu instid0(VALU_DEP_2) | instskip(NEXT) | instid1(VALU_DEP_2)
	v_add_f64_e32 v[3:4], v[3:4], v[10:11]
	v_add_f64_e32 v[1:2], v[1:2], v[71:72]
	s_wait_alu 0xfffe
	s_and_not1_b32 exec_lo, exec_lo, s1
	s_cbranch_execnz .LBB91_73
; %bb.74:
	s_or_b32 exec_lo, exec_lo, s1
	v_mov_b32_e32 v7, 0
	ds_load_b128 v[7:10], v7 offset:240
	s_wait_dscnt 0x0
	v_mul_f64_e32 v[11:12], v[1:2], v[9:10]
	v_mul_f64_e32 v[71:72], v[3:4], v[9:10]
	s_delay_alu instid0(VALU_DEP_2) | instskip(NEXT) | instid1(VALU_DEP_2)
	v_fma_f64 v[9:10], v[3:4], v[7:8], -v[11:12]
	v_fma_f64 v[11:12], v[1:2], v[7:8], v[71:72]
	scratch_store_b128 off, v[9:12], off offset:256
.LBB91_75:
	s_wait_alu 0xfffe
	s_or_b32 exec_lo, exec_lo, s0
	s_wait_loadcnt 0x0
	s_wait_storecnt 0x0
	s_barrier_signal -1
	s_barrier_wait -1
	global_inv scope:SCOPE_SE
	scratch_load_b128 v[1:4], off, s28
	s_mov_b32 s0, exec_lo
	s_wait_loadcnt 0x0
	ds_store_b128 v5, v[1:4]
	s_wait_dscnt 0x0
	s_barrier_signal -1
	s_barrier_wait -1
	global_inv scope:SCOPE_SE
	v_cmpx_gt_u32_e32 16, v0
	s_cbranch_execz .LBB91_79
; %bb.76:
	v_dual_mov_b32 v1, 0 :: v_dual_add_nc_u32 v8, 0x1c0, v69
	v_mov_b32_e32 v3, 0
	v_dual_mov_b32 v2, 0 :: v_dual_add_nc_u32 v7, -1, v0
	v_mov_b32_e32 v4, 0
	v_or_b32_e32 v9, 8, v70
	s_mov_b32 s1, 0
.LBB91_77:                              ; =>This Inner Loop Header: Depth=1
	scratch_load_b128 v[71:74], v9, off offset:-8
	ds_load_b128 v[75:78], v8
	v_add_nc_u32_e32 v7, 1, v7
	v_add_nc_u32_e32 v8, 16, v8
	v_add_nc_u32_e32 v9, 16, v9
	s_delay_alu instid0(VALU_DEP_3)
	v_cmp_lt_u32_e32 vcc_lo, 14, v7
	s_wait_alu 0xfffe
	s_or_b32 s1, vcc_lo, s1
	s_wait_loadcnt_dscnt 0x0
	v_mul_f64_e32 v[10:11], v[77:78], v[73:74]
	v_mul_f64_e32 v[73:74], v[75:76], v[73:74]
	s_delay_alu instid0(VALU_DEP_2) | instskip(NEXT) | instid1(VALU_DEP_2)
	v_fma_f64 v[10:11], v[75:76], v[71:72], -v[10:11]
	v_fma_f64 v[71:72], v[77:78], v[71:72], v[73:74]
	s_delay_alu instid0(VALU_DEP_2) | instskip(NEXT) | instid1(VALU_DEP_2)
	v_add_f64_e32 v[3:4], v[3:4], v[10:11]
	v_add_f64_e32 v[1:2], v[1:2], v[71:72]
	s_wait_alu 0xfffe
	s_and_not1_b32 exec_lo, exec_lo, s1
	s_cbranch_execnz .LBB91_77
; %bb.78:
	s_or_b32 exec_lo, exec_lo, s1
	v_mov_b32_e32 v7, 0
	ds_load_b128 v[7:10], v7 offset:256
	s_wait_dscnt 0x0
	v_mul_f64_e32 v[11:12], v[1:2], v[9:10]
	v_mul_f64_e32 v[71:72], v[3:4], v[9:10]
	s_delay_alu instid0(VALU_DEP_2) | instskip(NEXT) | instid1(VALU_DEP_2)
	v_fma_f64 v[9:10], v[3:4], v[7:8], -v[11:12]
	v_fma_f64 v[11:12], v[1:2], v[7:8], v[71:72]
	scratch_store_b128 off, v[9:12], off offset:272
.LBB91_79:
	s_wait_alu 0xfffe
	s_or_b32 exec_lo, exec_lo, s0
	s_wait_loadcnt 0x0
	s_wait_storecnt 0x0
	s_barrier_signal -1
	s_barrier_wait -1
	global_inv scope:SCOPE_SE
	scratch_load_b128 v[1:4], off, s15
	s_mov_b32 s0, exec_lo
	s_wait_loadcnt 0x0
	ds_store_b128 v5, v[1:4]
	s_wait_dscnt 0x0
	s_barrier_signal -1
	s_barrier_wait -1
	global_inv scope:SCOPE_SE
	v_cmpx_gt_u32_e32 17, v0
	s_cbranch_execz .LBB91_83
; %bb.80:
	v_dual_mov_b32 v1, 0 :: v_dual_add_nc_u32 v8, 0x1c0, v69
	v_mov_b32_e32 v3, 0
	v_dual_mov_b32 v2, 0 :: v_dual_add_nc_u32 v7, -1, v0
	v_mov_b32_e32 v4, 0
	v_or_b32_e32 v9, 8, v70
	s_mov_b32 s1, 0
.LBB91_81:                              ; =>This Inner Loop Header: Depth=1
	scratch_load_b128 v[71:74], v9, off offset:-8
	ds_load_b128 v[75:78], v8
	v_add_nc_u32_e32 v7, 1, v7
	v_add_nc_u32_e32 v8, 16, v8
	v_add_nc_u32_e32 v9, 16, v9
	s_delay_alu instid0(VALU_DEP_3)
	v_cmp_lt_u32_e32 vcc_lo, 15, v7
	s_wait_alu 0xfffe
	s_or_b32 s1, vcc_lo, s1
	s_wait_loadcnt_dscnt 0x0
	v_mul_f64_e32 v[10:11], v[77:78], v[73:74]
	v_mul_f64_e32 v[73:74], v[75:76], v[73:74]
	s_delay_alu instid0(VALU_DEP_2) | instskip(NEXT) | instid1(VALU_DEP_2)
	v_fma_f64 v[10:11], v[75:76], v[71:72], -v[10:11]
	v_fma_f64 v[71:72], v[77:78], v[71:72], v[73:74]
	s_delay_alu instid0(VALU_DEP_2) | instskip(NEXT) | instid1(VALU_DEP_2)
	v_add_f64_e32 v[3:4], v[3:4], v[10:11]
	v_add_f64_e32 v[1:2], v[1:2], v[71:72]
	s_wait_alu 0xfffe
	s_and_not1_b32 exec_lo, exec_lo, s1
	s_cbranch_execnz .LBB91_81
; %bb.82:
	s_or_b32 exec_lo, exec_lo, s1
	v_mov_b32_e32 v7, 0
	ds_load_b128 v[7:10], v7 offset:272
	s_wait_dscnt 0x0
	v_mul_f64_e32 v[11:12], v[1:2], v[9:10]
	v_mul_f64_e32 v[71:72], v[3:4], v[9:10]
	s_delay_alu instid0(VALU_DEP_2) | instskip(NEXT) | instid1(VALU_DEP_2)
	v_fma_f64 v[9:10], v[3:4], v[7:8], -v[11:12]
	v_fma_f64 v[11:12], v[1:2], v[7:8], v[71:72]
	scratch_store_b128 off, v[9:12], off offset:288
.LBB91_83:
	s_wait_alu 0xfffe
	s_or_b32 exec_lo, exec_lo, s0
	s_wait_loadcnt 0x0
	s_wait_storecnt 0x0
	s_barrier_signal -1
	s_barrier_wait -1
	global_inv scope:SCOPE_SE
	scratch_load_b128 v[1:4], off, s29
	s_mov_b32 s0, exec_lo
	s_wait_loadcnt 0x0
	ds_store_b128 v5, v[1:4]
	s_wait_dscnt 0x0
	s_barrier_signal -1
	s_barrier_wait -1
	global_inv scope:SCOPE_SE
	v_cmpx_gt_u32_e32 18, v0
	s_cbranch_execz .LBB91_87
; %bb.84:
	v_dual_mov_b32 v1, 0 :: v_dual_add_nc_u32 v8, 0x1c0, v69
	v_mov_b32_e32 v3, 0
	v_dual_mov_b32 v2, 0 :: v_dual_add_nc_u32 v7, -1, v0
	v_mov_b32_e32 v4, 0
	v_or_b32_e32 v9, 8, v70
	s_mov_b32 s1, 0
.LBB91_85:                              ; =>This Inner Loop Header: Depth=1
	scratch_load_b128 v[71:74], v9, off offset:-8
	ds_load_b128 v[75:78], v8
	v_add_nc_u32_e32 v7, 1, v7
	v_add_nc_u32_e32 v8, 16, v8
	v_add_nc_u32_e32 v9, 16, v9
	s_delay_alu instid0(VALU_DEP_3)
	v_cmp_lt_u32_e32 vcc_lo, 16, v7
	s_wait_alu 0xfffe
	s_or_b32 s1, vcc_lo, s1
	s_wait_loadcnt_dscnt 0x0
	v_mul_f64_e32 v[10:11], v[77:78], v[73:74]
	v_mul_f64_e32 v[73:74], v[75:76], v[73:74]
	s_delay_alu instid0(VALU_DEP_2) | instskip(NEXT) | instid1(VALU_DEP_2)
	v_fma_f64 v[10:11], v[75:76], v[71:72], -v[10:11]
	v_fma_f64 v[71:72], v[77:78], v[71:72], v[73:74]
	s_delay_alu instid0(VALU_DEP_2) | instskip(NEXT) | instid1(VALU_DEP_2)
	v_add_f64_e32 v[3:4], v[3:4], v[10:11]
	v_add_f64_e32 v[1:2], v[1:2], v[71:72]
	s_wait_alu 0xfffe
	s_and_not1_b32 exec_lo, exec_lo, s1
	s_cbranch_execnz .LBB91_85
; %bb.86:
	s_or_b32 exec_lo, exec_lo, s1
	v_mov_b32_e32 v7, 0
	ds_load_b128 v[7:10], v7 offset:288
	s_wait_dscnt 0x0
	v_mul_f64_e32 v[11:12], v[1:2], v[9:10]
	v_mul_f64_e32 v[71:72], v[3:4], v[9:10]
	s_delay_alu instid0(VALU_DEP_2) | instskip(NEXT) | instid1(VALU_DEP_2)
	v_fma_f64 v[9:10], v[3:4], v[7:8], -v[11:12]
	v_fma_f64 v[11:12], v[1:2], v[7:8], v[71:72]
	scratch_store_b128 off, v[9:12], off offset:304
.LBB91_87:
	s_wait_alu 0xfffe
	s_or_b32 exec_lo, exec_lo, s0
	s_wait_loadcnt 0x0
	s_wait_storecnt 0x0
	s_barrier_signal -1
	s_barrier_wait -1
	global_inv scope:SCOPE_SE
	scratch_load_b128 v[1:4], off, s16
	s_mov_b32 s0, exec_lo
	s_wait_loadcnt 0x0
	ds_store_b128 v5, v[1:4]
	s_wait_dscnt 0x0
	s_barrier_signal -1
	s_barrier_wait -1
	global_inv scope:SCOPE_SE
	v_cmpx_gt_u32_e32 19, v0
	s_cbranch_execz .LBB91_91
; %bb.88:
	v_dual_mov_b32 v1, 0 :: v_dual_add_nc_u32 v8, 0x1c0, v69
	v_mov_b32_e32 v3, 0
	v_dual_mov_b32 v2, 0 :: v_dual_add_nc_u32 v7, -1, v0
	v_mov_b32_e32 v4, 0
	v_or_b32_e32 v9, 8, v70
	s_mov_b32 s1, 0
.LBB91_89:                              ; =>This Inner Loop Header: Depth=1
	scratch_load_b128 v[71:74], v9, off offset:-8
	ds_load_b128 v[75:78], v8
	v_add_nc_u32_e32 v7, 1, v7
	v_add_nc_u32_e32 v8, 16, v8
	v_add_nc_u32_e32 v9, 16, v9
	s_delay_alu instid0(VALU_DEP_3)
	v_cmp_lt_u32_e32 vcc_lo, 17, v7
	s_wait_alu 0xfffe
	s_or_b32 s1, vcc_lo, s1
	s_wait_loadcnt_dscnt 0x0
	v_mul_f64_e32 v[10:11], v[77:78], v[73:74]
	v_mul_f64_e32 v[73:74], v[75:76], v[73:74]
	s_delay_alu instid0(VALU_DEP_2) | instskip(NEXT) | instid1(VALU_DEP_2)
	v_fma_f64 v[10:11], v[75:76], v[71:72], -v[10:11]
	v_fma_f64 v[71:72], v[77:78], v[71:72], v[73:74]
	s_delay_alu instid0(VALU_DEP_2) | instskip(NEXT) | instid1(VALU_DEP_2)
	v_add_f64_e32 v[3:4], v[3:4], v[10:11]
	v_add_f64_e32 v[1:2], v[1:2], v[71:72]
	s_wait_alu 0xfffe
	s_and_not1_b32 exec_lo, exec_lo, s1
	s_cbranch_execnz .LBB91_89
; %bb.90:
	s_or_b32 exec_lo, exec_lo, s1
	v_mov_b32_e32 v7, 0
	ds_load_b128 v[7:10], v7 offset:304
	s_wait_dscnt 0x0
	v_mul_f64_e32 v[11:12], v[1:2], v[9:10]
	v_mul_f64_e32 v[71:72], v[3:4], v[9:10]
	s_delay_alu instid0(VALU_DEP_2) | instskip(NEXT) | instid1(VALU_DEP_2)
	v_fma_f64 v[9:10], v[3:4], v[7:8], -v[11:12]
	v_fma_f64 v[11:12], v[1:2], v[7:8], v[71:72]
	scratch_store_b128 off, v[9:12], off offset:320
.LBB91_91:
	s_wait_alu 0xfffe
	s_or_b32 exec_lo, exec_lo, s0
	s_wait_loadcnt 0x0
	s_wait_storecnt 0x0
	s_barrier_signal -1
	s_barrier_wait -1
	global_inv scope:SCOPE_SE
	scratch_load_b128 v[1:4], off, s30
	s_mov_b32 s0, exec_lo
	s_wait_loadcnt 0x0
	ds_store_b128 v5, v[1:4]
	s_wait_dscnt 0x0
	s_barrier_signal -1
	s_barrier_wait -1
	global_inv scope:SCOPE_SE
	v_cmpx_gt_u32_e32 20, v0
	s_cbranch_execz .LBB91_95
; %bb.92:
	v_dual_mov_b32 v1, 0 :: v_dual_add_nc_u32 v8, 0x1c0, v69
	v_mov_b32_e32 v3, 0
	v_dual_mov_b32 v2, 0 :: v_dual_add_nc_u32 v7, -1, v0
	v_mov_b32_e32 v4, 0
	v_or_b32_e32 v9, 8, v70
	s_mov_b32 s1, 0
.LBB91_93:                              ; =>This Inner Loop Header: Depth=1
	scratch_load_b128 v[71:74], v9, off offset:-8
	ds_load_b128 v[75:78], v8
	v_add_nc_u32_e32 v7, 1, v7
	v_add_nc_u32_e32 v8, 16, v8
	v_add_nc_u32_e32 v9, 16, v9
	s_delay_alu instid0(VALU_DEP_3)
	v_cmp_lt_u32_e32 vcc_lo, 18, v7
	s_wait_alu 0xfffe
	s_or_b32 s1, vcc_lo, s1
	s_wait_loadcnt_dscnt 0x0
	v_mul_f64_e32 v[10:11], v[77:78], v[73:74]
	v_mul_f64_e32 v[73:74], v[75:76], v[73:74]
	s_delay_alu instid0(VALU_DEP_2) | instskip(NEXT) | instid1(VALU_DEP_2)
	v_fma_f64 v[10:11], v[75:76], v[71:72], -v[10:11]
	v_fma_f64 v[71:72], v[77:78], v[71:72], v[73:74]
	s_delay_alu instid0(VALU_DEP_2) | instskip(NEXT) | instid1(VALU_DEP_2)
	v_add_f64_e32 v[3:4], v[3:4], v[10:11]
	v_add_f64_e32 v[1:2], v[1:2], v[71:72]
	s_wait_alu 0xfffe
	s_and_not1_b32 exec_lo, exec_lo, s1
	s_cbranch_execnz .LBB91_93
; %bb.94:
	s_or_b32 exec_lo, exec_lo, s1
	v_mov_b32_e32 v7, 0
	ds_load_b128 v[7:10], v7 offset:320
	s_wait_dscnt 0x0
	v_mul_f64_e32 v[11:12], v[1:2], v[9:10]
	v_mul_f64_e32 v[71:72], v[3:4], v[9:10]
	s_delay_alu instid0(VALU_DEP_2) | instskip(NEXT) | instid1(VALU_DEP_2)
	v_fma_f64 v[9:10], v[3:4], v[7:8], -v[11:12]
	v_fma_f64 v[11:12], v[1:2], v[7:8], v[71:72]
	scratch_store_b128 off, v[9:12], off offset:336
.LBB91_95:
	s_wait_alu 0xfffe
	s_or_b32 exec_lo, exec_lo, s0
	s_wait_loadcnt 0x0
	s_wait_storecnt 0x0
	s_barrier_signal -1
	s_barrier_wait -1
	global_inv scope:SCOPE_SE
	scratch_load_b128 v[1:4], off, s17
	s_mov_b32 s0, exec_lo
	s_wait_loadcnt 0x0
	ds_store_b128 v5, v[1:4]
	s_wait_dscnt 0x0
	s_barrier_signal -1
	s_barrier_wait -1
	global_inv scope:SCOPE_SE
	v_cmpx_gt_u32_e32 21, v0
	s_cbranch_execz .LBB91_99
; %bb.96:
	v_dual_mov_b32 v1, 0 :: v_dual_add_nc_u32 v8, 0x1c0, v69
	v_mov_b32_e32 v3, 0
	v_dual_mov_b32 v2, 0 :: v_dual_add_nc_u32 v7, -1, v0
	v_mov_b32_e32 v4, 0
	v_or_b32_e32 v9, 8, v70
	s_mov_b32 s1, 0
.LBB91_97:                              ; =>This Inner Loop Header: Depth=1
	scratch_load_b128 v[71:74], v9, off offset:-8
	ds_load_b128 v[75:78], v8
	v_add_nc_u32_e32 v7, 1, v7
	v_add_nc_u32_e32 v8, 16, v8
	v_add_nc_u32_e32 v9, 16, v9
	s_delay_alu instid0(VALU_DEP_3)
	v_cmp_lt_u32_e32 vcc_lo, 19, v7
	s_wait_alu 0xfffe
	s_or_b32 s1, vcc_lo, s1
	s_wait_loadcnt_dscnt 0x0
	v_mul_f64_e32 v[10:11], v[77:78], v[73:74]
	v_mul_f64_e32 v[73:74], v[75:76], v[73:74]
	s_delay_alu instid0(VALU_DEP_2) | instskip(NEXT) | instid1(VALU_DEP_2)
	v_fma_f64 v[10:11], v[75:76], v[71:72], -v[10:11]
	v_fma_f64 v[71:72], v[77:78], v[71:72], v[73:74]
	s_delay_alu instid0(VALU_DEP_2) | instskip(NEXT) | instid1(VALU_DEP_2)
	v_add_f64_e32 v[3:4], v[3:4], v[10:11]
	v_add_f64_e32 v[1:2], v[1:2], v[71:72]
	s_wait_alu 0xfffe
	s_and_not1_b32 exec_lo, exec_lo, s1
	s_cbranch_execnz .LBB91_97
; %bb.98:
	s_or_b32 exec_lo, exec_lo, s1
	v_mov_b32_e32 v7, 0
	ds_load_b128 v[7:10], v7 offset:336
	s_wait_dscnt 0x0
	v_mul_f64_e32 v[11:12], v[1:2], v[9:10]
	v_mul_f64_e32 v[71:72], v[3:4], v[9:10]
	s_delay_alu instid0(VALU_DEP_2) | instskip(NEXT) | instid1(VALU_DEP_2)
	v_fma_f64 v[9:10], v[3:4], v[7:8], -v[11:12]
	v_fma_f64 v[11:12], v[1:2], v[7:8], v[71:72]
	scratch_store_b128 off, v[9:12], off offset:352
.LBB91_99:
	s_wait_alu 0xfffe
	s_or_b32 exec_lo, exec_lo, s0
	s_wait_loadcnt 0x0
	s_wait_storecnt 0x0
	s_barrier_signal -1
	s_barrier_wait -1
	global_inv scope:SCOPE_SE
	scratch_load_b128 v[1:4], off, s31
	s_mov_b32 s0, exec_lo
	s_wait_loadcnt 0x0
	ds_store_b128 v5, v[1:4]
	s_wait_dscnt 0x0
	s_barrier_signal -1
	s_barrier_wait -1
	global_inv scope:SCOPE_SE
	v_cmpx_gt_u32_e32 22, v0
	s_cbranch_execz .LBB91_103
; %bb.100:
	v_dual_mov_b32 v1, 0 :: v_dual_add_nc_u32 v8, 0x1c0, v69
	v_mov_b32_e32 v3, 0
	v_dual_mov_b32 v2, 0 :: v_dual_add_nc_u32 v7, -1, v0
	v_mov_b32_e32 v4, 0
	v_or_b32_e32 v9, 8, v70
	s_mov_b32 s1, 0
.LBB91_101:                             ; =>This Inner Loop Header: Depth=1
	scratch_load_b128 v[71:74], v9, off offset:-8
	ds_load_b128 v[75:78], v8
	v_add_nc_u32_e32 v7, 1, v7
	v_add_nc_u32_e32 v8, 16, v8
	v_add_nc_u32_e32 v9, 16, v9
	s_delay_alu instid0(VALU_DEP_3)
	v_cmp_lt_u32_e32 vcc_lo, 20, v7
	s_wait_alu 0xfffe
	s_or_b32 s1, vcc_lo, s1
	s_wait_loadcnt_dscnt 0x0
	v_mul_f64_e32 v[10:11], v[77:78], v[73:74]
	v_mul_f64_e32 v[73:74], v[75:76], v[73:74]
	s_delay_alu instid0(VALU_DEP_2) | instskip(NEXT) | instid1(VALU_DEP_2)
	v_fma_f64 v[10:11], v[75:76], v[71:72], -v[10:11]
	v_fma_f64 v[71:72], v[77:78], v[71:72], v[73:74]
	s_delay_alu instid0(VALU_DEP_2) | instskip(NEXT) | instid1(VALU_DEP_2)
	v_add_f64_e32 v[3:4], v[3:4], v[10:11]
	v_add_f64_e32 v[1:2], v[1:2], v[71:72]
	s_wait_alu 0xfffe
	s_and_not1_b32 exec_lo, exec_lo, s1
	s_cbranch_execnz .LBB91_101
; %bb.102:
	s_or_b32 exec_lo, exec_lo, s1
	v_mov_b32_e32 v7, 0
	ds_load_b128 v[7:10], v7 offset:352
	s_wait_dscnt 0x0
	v_mul_f64_e32 v[11:12], v[1:2], v[9:10]
	v_mul_f64_e32 v[71:72], v[3:4], v[9:10]
	s_delay_alu instid0(VALU_DEP_2) | instskip(NEXT) | instid1(VALU_DEP_2)
	v_fma_f64 v[9:10], v[3:4], v[7:8], -v[11:12]
	v_fma_f64 v[11:12], v[1:2], v[7:8], v[71:72]
	scratch_store_b128 off, v[9:12], off offset:368
.LBB91_103:
	s_wait_alu 0xfffe
	s_or_b32 exec_lo, exec_lo, s0
	s_wait_loadcnt 0x0
	s_wait_storecnt 0x0
	s_barrier_signal -1
	s_barrier_wait -1
	global_inv scope:SCOPE_SE
	scratch_load_b128 v[1:4], off, s18
	s_mov_b32 s0, exec_lo
	s_wait_loadcnt 0x0
	ds_store_b128 v5, v[1:4]
	s_wait_dscnt 0x0
	s_barrier_signal -1
	s_barrier_wait -1
	global_inv scope:SCOPE_SE
	v_cmpx_gt_u32_e32 23, v0
	s_cbranch_execz .LBB91_107
; %bb.104:
	v_dual_mov_b32 v1, 0 :: v_dual_add_nc_u32 v8, 0x1c0, v69
	v_mov_b32_e32 v3, 0
	v_dual_mov_b32 v2, 0 :: v_dual_add_nc_u32 v7, -1, v0
	v_mov_b32_e32 v4, 0
	v_or_b32_e32 v9, 8, v70
	s_mov_b32 s1, 0
.LBB91_105:                             ; =>This Inner Loop Header: Depth=1
	scratch_load_b128 v[71:74], v9, off offset:-8
	ds_load_b128 v[75:78], v8
	v_add_nc_u32_e32 v7, 1, v7
	v_add_nc_u32_e32 v8, 16, v8
	v_add_nc_u32_e32 v9, 16, v9
	s_delay_alu instid0(VALU_DEP_3)
	v_cmp_lt_u32_e32 vcc_lo, 21, v7
	s_wait_alu 0xfffe
	s_or_b32 s1, vcc_lo, s1
	s_wait_loadcnt_dscnt 0x0
	v_mul_f64_e32 v[10:11], v[77:78], v[73:74]
	v_mul_f64_e32 v[73:74], v[75:76], v[73:74]
	s_delay_alu instid0(VALU_DEP_2) | instskip(NEXT) | instid1(VALU_DEP_2)
	v_fma_f64 v[10:11], v[75:76], v[71:72], -v[10:11]
	v_fma_f64 v[71:72], v[77:78], v[71:72], v[73:74]
	s_delay_alu instid0(VALU_DEP_2) | instskip(NEXT) | instid1(VALU_DEP_2)
	v_add_f64_e32 v[3:4], v[3:4], v[10:11]
	v_add_f64_e32 v[1:2], v[1:2], v[71:72]
	s_wait_alu 0xfffe
	s_and_not1_b32 exec_lo, exec_lo, s1
	s_cbranch_execnz .LBB91_105
; %bb.106:
	s_or_b32 exec_lo, exec_lo, s1
	v_mov_b32_e32 v7, 0
	ds_load_b128 v[7:10], v7 offset:368
	s_wait_dscnt 0x0
	v_mul_f64_e32 v[11:12], v[1:2], v[9:10]
	v_mul_f64_e32 v[71:72], v[3:4], v[9:10]
	s_delay_alu instid0(VALU_DEP_2) | instskip(NEXT) | instid1(VALU_DEP_2)
	v_fma_f64 v[9:10], v[3:4], v[7:8], -v[11:12]
	v_fma_f64 v[11:12], v[1:2], v[7:8], v[71:72]
	scratch_store_b128 off, v[9:12], off offset:384
.LBB91_107:
	s_wait_alu 0xfffe
	s_or_b32 exec_lo, exec_lo, s0
	s_wait_loadcnt 0x0
	s_wait_storecnt 0x0
	s_barrier_signal -1
	s_barrier_wait -1
	global_inv scope:SCOPE_SE
	scratch_load_b128 v[1:4], off, s33
	;; [unrolled: 58-line block ×5, first 2 shown]
	s_mov_b32 s0, exec_lo
	s_wait_loadcnt 0x0
	ds_store_b128 v5, v[1:4]
	s_wait_dscnt 0x0
	s_barrier_signal -1
	s_barrier_wait -1
	global_inv scope:SCOPE_SE
	v_cmpx_ne_u32_e32 27, v0
	s_cbranch_execz .LBB91_123
; %bb.120:
	v_mov_b32_e32 v1, 0
	v_dual_mov_b32 v2, 0 :: v_dual_mov_b32 v3, 0
	v_mov_b32_e32 v4, 0
	v_or_b32_e32 v7, 8, v70
	s_mov_b32 s1, 0
.LBB91_121:                             ; =>This Inner Loop Header: Depth=1
	scratch_load_b128 v[8:11], v7, off offset:-8
	ds_load_b128 v[69:72], v5
	v_add_nc_u32_e32 v6, 1, v6
	v_add_nc_u32_e32 v5, 16, v5
	v_add_nc_u32_e32 v7, 16, v7
	s_delay_alu instid0(VALU_DEP_3)
	v_cmp_lt_u32_e32 vcc_lo, 25, v6
	s_wait_alu 0xfffe
	s_or_b32 s1, vcc_lo, s1
	s_wait_loadcnt_dscnt 0x0
	v_mul_f64_e32 v[73:74], v[71:72], v[10:11]
	v_mul_f64_e32 v[10:11], v[69:70], v[10:11]
	s_delay_alu instid0(VALU_DEP_2) | instskip(NEXT) | instid1(VALU_DEP_2)
	v_fma_f64 v[69:70], v[69:70], v[8:9], -v[73:74]
	v_fma_f64 v[8:9], v[71:72], v[8:9], v[10:11]
	s_delay_alu instid0(VALU_DEP_2) | instskip(NEXT) | instid1(VALU_DEP_2)
	v_add_f64_e32 v[3:4], v[3:4], v[69:70]
	v_add_f64_e32 v[1:2], v[1:2], v[8:9]
	s_wait_alu 0xfffe
	s_and_not1_b32 exec_lo, exec_lo, s1
	s_cbranch_execnz .LBB91_121
; %bb.122:
	s_or_b32 exec_lo, exec_lo, s1
	v_mov_b32_e32 v5, 0
	ds_load_b128 v[5:8], v5 offset:432
	s_wait_dscnt 0x0
	v_mul_f64_e32 v[9:10], v[1:2], v[7:8]
	v_mul_f64_e32 v[7:8], v[3:4], v[7:8]
	s_delay_alu instid0(VALU_DEP_2) | instskip(NEXT) | instid1(VALU_DEP_2)
	v_fma_f64 v[3:4], v[3:4], v[5:6], -v[9:10]
	v_fma_f64 v[5:6], v[1:2], v[5:6], v[7:8]
	scratch_store_b128 off, v[3:6], off offset:448
.LBB91_123:
	s_wait_alu 0xfffe
	s_or_b32 exec_lo, exec_lo, s0
	s_mov_b32 s1, -1
	s_wait_loadcnt 0x0
	s_wait_storecnt 0x0
	s_barrier_signal -1
	s_barrier_wait -1
	global_inv scope:SCOPE_SE
.LBB91_124:
	s_wait_alu 0xfffe
	s_and_b32 vcc_lo, exec_lo, s1
	s_wait_alu 0xfffe
	s_cbranch_vccz .LBB91_126
; %bb.125:
	v_mov_b32_e32 v1, 0
	s_lshl_b64 s[0:1], s[8:9], 2
	s_wait_alu 0xfffe
	s_add_nc_u64 s[0:1], s[6:7], s[0:1]
	global_load_b32 v1, v1, s[0:1]
	s_wait_loadcnt 0x0
	v_cmp_ne_u32_e32 vcc_lo, 0, v1
	s_cbranch_vccz .LBB91_127
.LBB91_126:
	s_nop 0
	s_sendmsg sendmsg(MSG_DEALLOC_VGPRS)
	s_endpgm
.LBB91_127:
	v_lshl_add_u32 v5, v0, 4, 0x1c0
	s_mov_b32 s0, exec_lo
	v_cmpx_eq_u32_e32 27, v0
	s_cbranch_execz .LBB91_129
; %bb.128:
	scratch_load_b128 v[1:4], off, s34
	v_mov_b32_e32 v6, 0
	s_delay_alu instid0(VALU_DEP_1)
	v_dual_mov_b32 v7, v6 :: v_dual_mov_b32 v8, v6
	v_mov_b32_e32 v9, v6
	scratch_store_b128 off, v[6:9], off offset:432
	s_wait_loadcnt 0x0
	ds_store_b128 v5, v[1:4]
.LBB91_129:
	s_wait_alu 0xfffe
	s_or_b32 exec_lo, exec_lo, s0
	s_wait_storecnt_dscnt 0x0
	s_barrier_signal -1
	s_barrier_wait -1
	global_inv scope:SCOPE_SE
	s_clause 0x1
	scratch_load_b128 v[6:9], off, off offset:448
	scratch_load_b128 v[69:72], off, off offset:432
	v_mov_b32_e32 v1, 0
	s_mov_b32 s0, exec_lo
	ds_load_b128 v[73:76], v1 offset:880
	s_wait_loadcnt_dscnt 0x100
	v_mul_f64_e32 v[2:3], v[75:76], v[8:9]
	v_mul_f64_e32 v[8:9], v[73:74], v[8:9]
	s_delay_alu instid0(VALU_DEP_2) | instskip(NEXT) | instid1(VALU_DEP_2)
	v_fma_f64 v[2:3], v[73:74], v[6:7], -v[2:3]
	v_fma_f64 v[6:7], v[75:76], v[6:7], v[8:9]
	s_delay_alu instid0(VALU_DEP_2) | instskip(NEXT) | instid1(VALU_DEP_2)
	v_add_f64_e32 v[2:3], 0, v[2:3]
	v_add_f64_e32 v[8:9], 0, v[6:7]
	s_wait_loadcnt 0x0
	s_delay_alu instid0(VALU_DEP_2) | instskip(NEXT) | instid1(VALU_DEP_2)
	v_add_f64_e64 v[6:7], v[69:70], -v[2:3]
	v_add_f64_e64 v[8:9], v[71:72], -v[8:9]
	scratch_store_b128 off, v[6:9], off offset:432
	v_cmpx_lt_u32_e32 25, v0
	s_cbranch_execz .LBB91_131
; %bb.130:
	scratch_load_b128 v[6:9], off, s19
	v_dual_mov_b32 v2, v1 :: v_dual_mov_b32 v3, v1
	v_mov_b32_e32 v4, v1
	scratch_store_b128 off, v[1:4], off offset:416
	s_wait_loadcnt 0x0
	ds_store_b128 v5, v[6:9]
.LBB91_131:
	s_wait_alu 0xfffe
	s_or_b32 exec_lo, exec_lo, s0
	s_wait_storecnt_dscnt 0x0
	s_barrier_signal -1
	s_barrier_wait -1
	global_inv scope:SCOPE_SE
	s_clause 0x2
	scratch_load_b128 v[6:9], off, off offset:432
	scratch_load_b128 v[69:72], off, off offset:448
	;; [unrolled: 1-line block ×3, first 2 shown]
	ds_load_b128 v[77:80], v1 offset:864
	ds_load_b128 v[1:4], v1 offset:880
	s_mov_b32 s0, exec_lo
	s_wait_loadcnt_dscnt 0x201
	v_mul_f64_e32 v[10:11], v[79:80], v[8:9]
	v_mul_f64_e32 v[8:9], v[77:78], v[8:9]
	s_wait_loadcnt_dscnt 0x100
	v_mul_f64_e32 v[81:82], v[1:2], v[71:72]
	v_mul_f64_e32 v[71:72], v[3:4], v[71:72]
	s_delay_alu instid0(VALU_DEP_4) | instskip(NEXT) | instid1(VALU_DEP_4)
	v_fma_f64 v[10:11], v[77:78], v[6:7], -v[10:11]
	v_fma_f64 v[6:7], v[79:80], v[6:7], v[8:9]
	s_delay_alu instid0(VALU_DEP_4) | instskip(NEXT) | instid1(VALU_DEP_4)
	v_fma_f64 v[3:4], v[3:4], v[69:70], v[81:82]
	v_fma_f64 v[1:2], v[1:2], v[69:70], -v[71:72]
	s_delay_alu instid0(VALU_DEP_4) | instskip(NEXT) | instid1(VALU_DEP_4)
	v_add_f64_e32 v[8:9], 0, v[10:11]
	v_add_f64_e32 v[6:7], 0, v[6:7]
	s_delay_alu instid0(VALU_DEP_2) | instskip(NEXT) | instid1(VALU_DEP_2)
	v_add_f64_e32 v[1:2], v[8:9], v[1:2]
	v_add_f64_e32 v[3:4], v[6:7], v[3:4]
	s_wait_loadcnt 0x0
	s_delay_alu instid0(VALU_DEP_2) | instskip(NEXT) | instid1(VALU_DEP_2)
	v_add_f64_e64 v[1:2], v[73:74], -v[1:2]
	v_add_f64_e64 v[3:4], v[75:76], -v[3:4]
	scratch_store_b128 off, v[1:4], off offset:416
	v_cmpx_lt_u32_e32 24, v0
	s_cbranch_execz .LBB91_133
; %bb.132:
	scratch_load_b128 v[1:4], off, s33
	v_mov_b32_e32 v6, 0
	s_delay_alu instid0(VALU_DEP_1)
	v_dual_mov_b32 v7, v6 :: v_dual_mov_b32 v8, v6
	v_mov_b32_e32 v9, v6
	scratch_store_b128 off, v[6:9], off offset:400
	s_wait_loadcnt 0x0
	ds_store_b128 v5, v[1:4]
.LBB91_133:
	s_wait_alu 0xfffe
	s_or_b32 exec_lo, exec_lo, s0
	s_wait_storecnt_dscnt 0x0
	s_barrier_signal -1
	s_barrier_wait -1
	global_inv scope:SCOPE_SE
	s_clause 0x3
	scratch_load_b128 v[6:9], off, off offset:416
	scratch_load_b128 v[69:72], off, off offset:432
	;; [unrolled: 1-line block ×4, first 2 shown]
	v_mov_b32_e32 v1, 0
	ds_load_b128 v[81:84], v1 offset:848
	ds_load_b128 v[85:88], v1 offset:864
	s_mov_b32 s0, exec_lo
	s_wait_loadcnt_dscnt 0x301
	v_mul_f64_e32 v[2:3], v[83:84], v[8:9]
	v_mul_f64_e32 v[8:9], v[81:82], v[8:9]
	s_wait_loadcnt_dscnt 0x200
	v_mul_f64_e32 v[10:11], v[85:86], v[71:72]
	v_mul_f64_e32 v[71:72], v[87:88], v[71:72]
	s_delay_alu instid0(VALU_DEP_4) | instskip(NEXT) | instid1(VALU_DEP_4)
	v_fma_f64 v[2:3], v[81:82], v[6:7], -v[2:3]
	v_fma_f64 v[81:82], v[83:84], v[6:7], v[8:9]
	ds_load_b128 v[6:9], v1 offset:880
	v_fma_f64 v[10:11], v[87:88], v[69:70], v[10:11]
	v_fma_f64 v[69:70], v[85:86], v[69:70], -v[71:72]
	s_wait_loadcnt_dscnt 0x100
	v_mul_f64_e32 v[83:84], v[6:7], v[75:76]
	v_mul_f64_e32 v[75:76], v[8:9], v[75:76]
	v_add_f64_e32 v[2:3], 0, v[2:3]
	v_add_f64_e32 v[71:72], 0, v[81:82]
	s_delay_alu instid0(VALU_DEP_4) | instskip(NEXT) | instid1(VALU_DEP_4)
	v_fma_f64 v[8:9], v[8:9], v[73:74], v[83:84]
	v_fma_f64 v[6:7], v[6:7], v[73:74], -v[75:76]
	s_delay_alu instid0(VALU_DEP_4) | instskip(NEXT) | instid1(VALU_DEP_4)
	v_add_f64_e32 v[2:3], v[2:3], v[69:70]
	v_add_f64_e32 v[10:11], v[71:72], v[10:11]
	s_delay_alu instid0(VALU_DEP_2) | instskip(NEXT) | instid1(VALU_DEP_2)
	v_add_f64_e32 v[2:3], v[2:3], v[6:7]
	v_add_f64_e32 v[8:9], v[10:11], v[8:9]
	s_wait_loadcnt 0x0
	s_delay_alu instid0(VALU_DEP_2) | instskip(NEXT) | instid1(VALU_DEP_2)
	v_add_f64_e64 v[6:7], v[77:78], -v[2:3]
	v_add_f64_e64 v[8:9], v[79:80], -v[8:9]
	scratch_store_b128 off, v[6:9], off offset:400
	v_cmpx_lt_u32_e32 23, v0
	s_cbranch_execz .LBB91_135
; %bb.134:
	scratch_load_b128 v[6:9], off, s18
	v_dual_mov_b32 v2, v1 :: v_dual_mov_b32 v3, v1
	v_mov_b32_e32 v4, v1
	scratch_store_b128 off, v[1:4], off offset:384
	s_wait_loadcnt 0x0
	ds_store_b128 v5, v[6:9]
.LBB91_135:
	s_wait_alu 0xfffe
	s_or_b32 exec_lo, exec_lo, s0
	s_wait_storecnt_dscnt 0x0
	s_barrier_signal -1
	s_barrier_wait -1
	global_inv scope:SCOPE_SE
	s_clause 0x4
	scratch_load_b128 v[6:9], off, off offset:400
	scratch_load_b128 v[69:72], off, off offset:416
	;; [unrolled: 1-line block ×5, first 2 shown]
	ds_load_b128 v[85:88], v1 offset:832
	ds_load_b128 v[89:92], v1 offset:848
	s_mov_b32 s0, exec_lo
	s_wait_loadcnt_dscnt 0x401
	v_mul_f64_e32 v[2:3], v[87:88], v[8:9]
	v_mul_f64_e32 v[8:9], v[85:86], v[8:9]
	s_wait_loadcnt_dscnt 0x300
	v_mul_f64_e32 v[10:11], v[89:90], v[71:72]
	v_mul_f64_e32 v[71:72], v[91:92], v[71:72]
	s_delay_alu instid0(VALU_DEP_4) | instskip(NEXT) | instid1(VALU_DEP_4)
	v_fma_f64 v[85:86], v[85:86], v[6:7], -v[2:3]
	v_fma_f64 v[87:88], v[87:88], v[6:7], v[8:9]
	ds_load_b128 v[6:9], v1 offset:864
	ds_load_b128 v[1:4], v1 offset:880
	v_fma_f64 v[10:11], v[91:92], v[69:70], v[10:11]
	v_fma_f64 v[69:70], v[89:90], v[69:70], -v[71:72]
	s_wait_loadcnt_dscnt 0x201
	v_mul_f64_e32 v[93:94], v[6:7], v[75:76]
	v_mul_f64_e32 v[75:76], v[8:9], v[75:76]
	v_add_f64_e32 v[71:72], 0, v[85:86]
	v_add_f64_e32 v[85:86], 0, v[87:88]
	s_wait_loadcnt_dscnt 0x100
	v_mul_f64_e32 v[87:88], v[1:2], v[79:80]
	v_mul_f64_e32 v[79:80], v[3:4], v[79:80]
	v_fma_f64 v[8:9], v[8:9], v[73:74], v[93:94]
	v_fma_f64 v[6:7], v[6:7], v[73:74], -v[75:76]
	v_add_f64_e32 v[69:70], v[71:72], v[69:70]
	v_add_f64_e32 v[10:11], v[85:86], v[10:11]
	v_fma_f64 v[3:4], v[3:4], v[77:78], v[87:88]
	v_fma_f64 v[1:2], v[1:2], v[77:78], -v[79:80]
	s_delay_alu instid0(VALU_DEP_4) | instskip(NEXT) | instid1(VALU_DEP_4)
	v_add_f64_e32 v[6:7], v[69:70], v[6:7]
	v_add_f64_e32 v[8:9], v[10:11], v[8:9]
	s_delay_alu instid0(VALU_DEP_2) | instskip(NEXT) | instid1(VALU_DEP_2)
	v_add_f64_e32 v[1:2], v[6:7], v[1:2]
	v_add_f64_e32 v[3:4], v[8:9], v[3:4]
	s_wait_loadcnt 0x0
	s_delay_alu instid0(VALU_DEP_2) | instskip(NEXT) | instid1(VALU_DEP_2)
	v_add_f64_e64 v[1:2], v[81:82], -v[1:2]
	v_add_f64_e64 v[3:4], v[83:84], -v[3:4]
	scratch_store_b128 off, v[1:4], off offset:384
	v_cmpx_lt_u32_e32 22, v0
	s_cbranch_execz .LBB91_137
; %bb.136:
	scratch_load_b128 v[1:4], off, s31
	v_mov_b32_e32 v6, 0
	s_delay_alu instid0(VALU_DEP_1)
	v_dual_mov_b32 v7, v6 :: v_dual_mov_b32 v8, v6
	v_mov_b32_e32 v9, v6
	scratch_store_b128 off, v[6:9], off offset:368
	s_wait_loadcnt 0x0
	ds_store_b128 v5, v[1:4]
.LBB91_137:
	s_wait_alu 0xfffe
	s_or_b32 exec_lo, exec_lo, s0
	s_wait_storecnt_dscnt 0x0
	s_barrier_signal -1
	s_barrier_wait -1
	global_inv scope:SCOPE_SE
	s_clause 0x5
	scratch_load_b128 v[6:9], off, off offset:384
	scratch_load_b128 v[69:72], off, off offset:400
	;; [unrolled: 1-line block ×6, first 2 shown]
	v_mov_b32_e32 v1, 0
	ds_load_b128 v[89:92], v1 offset:816
	ds_load_b128 v[93:96], v1 offset:832
	s_mov_b32 s0, exec_lo
	s_wait_loadcnt_dscnt 0x501
	v_mul_f64_e32 v[2:3], v[91:92], v[8:9]
	v_mul_f64_e32 v[8:9], v[89:90], v[8:9]
	s_wait_loadcnt_dscnt 0x400
	v_mul_f64_e32 v[10:11], v[93:94], v[71:72]
	v_mul_f64_e32 v[71:72], v[95:96], v[71:72]
	s_delay_alu instid0(VALU_DEP_4) | instskip(NEXT) | instid1(VALU_DEP_4)
	v_fma_f64 v[2:3], v[89:90], v[6:7], -v[2:3]
	v_fma_f64 v[97:98], v[91:92], v[6:7], v[8:9]
	ds_load_b128 v[6:9], v1 offset:848
	ds_load_b128 v[89:92], v1 offset:864
	v_fma_f64 v[10:11], v[95:96], v[69:70], v[10:11]
	v_fma_f64 v[69:70], v[93:94], v[69:70], -v[71:72]
	s_wait_loadcnt_dscnt 0x301
	v_mul_f64_e32 v[99:100], v[6:7], v[75:76]
	v_mul_f64_e32 v[75:76], v[8:9], v[75:76]
	s_wait_loadcnt_dscnt 0x200
	v_mul_f64_e32 v[93:94], v[89:90], v[79:80]
	v_mul_f64_e32 v[79:80], v[91:92], v[79:80]
	v_add_f64_e32 v[2:3], 0, v[2:3]
	v_add_f64_e32 v[71:72], 0, v[97:98]
	v_fma_f64 v[95:96], v[8:9], v[73:74], v[99:100]
	v_fma_f64 v[73:74], v[6:7], v[73:74], -v[75:76]
	ds_load_b128 v[6:9], v1 offset:880
	v_fma_f64 v[75:76], v[91:92], v[77:78], v[93:94]
	v_fma_f64 v[77:78], v[89:90], v[77:78], -v[79:80]
	v_add_f64_e32 v[2:3], v[2:3], v[69:70]
	v_add_f64_e32 v[10:11], v[71:72], v[10:11]
	s_wait_loadcnt_dscnt 0x100
	v_mul_f64_e32 v[69:70], v[6:7], v[83:84]
	v_mul_f64_e32 v[71:72], v[8:9], v[83:84]
	s_delay_alu instid0(VALU_DEP_4) | instskip(NEXT) | instid1(VALU_DEP_4)
	v_add_f64_e32 v[2:3], v[2:3], v[73:74]
	v_add_f64_e32 v[10:11], v[10:11], v[95:96]
	s_delay_alu instid0(VALU_DEP_4) | instskip(NEXT) | instid1(VALU_DEP_4)
	v_fma_f64 v[8:9], v[8:9], v[81:82], v[69:70]
	v_fma_f64 v[6:7], v[6:7], v[81:82], -v[71:72]
	s_delay_alu instid0(VALU_DEP_4) | instskip(NEXT) | instid1(VALU_DEP_4)
	v_add_f64_e32 v[2:3], v[2:3], v[77:78]
	v_add_f64_e32 v[10:11], v[10:11], v[75:76]
	s_delay_alu instid0(VALU_DEP_2) | instskip(NEXT) | instid1(VALU_DEP_2)
	v_add_f64_e32 v[2:3], v[2:3], v[6:7]
	v_add_f64_e32 v[8:9], v[10:11], v[8:9]
	s_wait_loadcnt 0x0
	s_delay_alu instid0(VALU_DEP_2) | instskip(NEXT) | instid1(VALU_DEP_2)
	v_add_f64_e64 v[6:7], v[85:86], -v[2:3]
	v_add_f64_e64 v[8:9], v[87:88], -v[8:9]
	scratch_store_b128 off, v[6:9], off offset:368
	v_cmpx_lt_u32_e32 21, v0
	s_cbranch_execz .LBB91_139
; %bb.138:
	scratch_load_b128 v[6:9], off, s17
	v_dual_mov_b32 v2, v1 :: v_dual_mov_b32 v3, v1
	v_mov_b32_e32 v4, v1
	scratch_store_b128 off, v[1:4], off offset:352
	s_wait_loadcnt 0x0
	ds_store_b128 v5, v[6:9]
.LBB91_139:
	s_wait_alu 0xfffe
	s_or_b32 exec_lo, exec_lo, s0
	s_wait_storecnt_dscnt 0x0
	s_barrier_signal -1
	s_barrier_wait -1
	global_inv scope:SCOPE_SE
	s_clause 0x5
	scratch_load_b128 v[6:9], off, off offset:368
	scratch_load_b128 v[69:72], off, off offset:384
	;; [unrolled: 1-line block ×6, first 2 shown]
	ds_load_b128 v[89:92], v1 offset:800
	ds_load_b128 v[97:100], v1 offset:816
	scratch_load_b128 v[93:96], off, off offset:352
	s_mov_b32 s0, exec_lo
	s_wait_loadcnt_dscnt 0x601
	v_mul_f64_e32 v[2:3], v[91:92], v[8:9]
	v_mul_f64_e32 v[8:9], v[89:90], v[8:9]
	s_wait_loadcnt_dscnt 0x500
	v_mul_f64_e32 v[10:11], v[97:98], v[71:72]
	v_mul_f64_e32 v[71:72], v[99:100], v[71:72]
	s_delay_alu instid0(VALU_DEP_4) | instskip(NEXT) | instid1(VALU_DEP_4)
	v_fma_f64 v[2:3], v[89:90], v[6:7], -v[2:3]
	v_fma_f64 v[101:102], v[91:92], v[6:7], v[8:9]
	ds_load_b128 v[6:9], v1 offset:832
	ds_load_b128 v[89:92], v1 offset:848
	v_fma_f64 v[10:11], v[99:100], v[69:70], v[10:11]
	v_fma_f64 v[69:70], v[97:98], v[69:70], -v[71:72]
	s_wait_loadcnt_dscnt 0x401
	v_mul_f64_e32 v[103:104], v[6:7], v[75:76]
	v_mul_f64_e32 v[75:76], v[8:9], v[75:76]
	s_wait_loadcnt_dscnt 0x300
	v_mul_f64_e32 v[97:98], v[89:90], v[79:80]
	v_mul_f64_e32 v[79:80], v[91:92], v[79:80]
	v_add_f64_e32 v[2:3], 0, v[2:3]
	v_add_f64_e32 v[71:72], 0, v[101:102]
	v_fma_f64 v[99:100], v[8:9], v[73:74], v[103:104]
	v_fma_f64 v[73:74], v[6:7], v[73:74], -v[75:76]
	s_delay_alu instid0(VALU_DEP_4) | instskip(NEXT) | instid1(VALU_DEP_4)
	v_add_f64_e32 v[69:70], v[2:3], v[69:70]
	v_add_f64_e32 v[10:11], v[71:72], v[10:11]
	ds_load_b128 v[6:9], v1 offset:864
	ds_load_b128 v[1:4], v1 offset:880
	s_wait_loadcnt_dscnt 0x201
	v_mul_f64_e32 v[71:72], v[6:7], v[83:84]
	v_mul_f64_e32 v[75:76], v[8:9], v[83:84]
	v_fma_f64 v[83:84], v[91:92], v[77:78], v[97:98]
	v_fma_f64 v[77:78], v[89:90], v[77:78], -v[79:80]
	s_wait_loadcnt_dscnt 0x100
	v_mul_f64_e32 v[79:80], v[3:4], v[87:88]
	v_add_f64_e32 v[69:70], v[69:70], v[73:74]
	v_add_f64_e32 v[10:11], v[10:11], v[99:100]
	v_mul_f64_e32 v[73:74], v[1:2], v[87:88]
	v_fma_f64 v[8:9], v[8:9], v[81:82], v[71:72]
	v_fma_f64 v[6:7], v[6:7], v[81:82], -v[75:76]
	v_fma_f64 v[1:2], v[1:2], v[85:86], -v[79:80]
	v_add_f64_e32 v[69:70], v[69:70], v[77:78]
	v_add_f64_e32 v[10:11], v[10:11], v[83:84]
	v_fma_f64 v[3:4], v[3:4], v[85:86], v[73:74]
	s_delay_alu instid0(VALU_DEP_3) | instskip(NEXT) | instid1(VALU_DEP_3)
	v_add_f64_e32 v[6:7], v[69:70], v[6:7]
	v_add_f64_e32 v[8:9], v[10:11], v[8:9]
	s_delay_alu instid0(VALU_DEP_2) | instskip(NEXT) | instid1(VALU_DEP_2)
	v_add_f64_e32 v[1:2], v[6:7], v[1:2]
	v_add_f64_e32 v[3:4], v[8:9], v[3:4]
	s_wait_loadcnt 0x0
	s_delay_alu instid0(VALU_DEP_2) | instskip(NEXT) | instid1(VALU_DEP_2)
	v_add_f64_e64 v[1:2], v[93:94], -v[1:2]
	v_add_f64_e64 v[3:4], v[95:96], -v[3:4]
	scratch_store_b128 off, v[1:4], off offset:352
	v_cmpx_lt_u32_e32 20, v0
	s_cbranch_execz .LBB91_141
; %bb.140:
	scratch_load_b128 v[1:4], off, s30
	v_mov_b32_e32 v6, 0
	s_delay_alu instid0(VALU_DEP_1)
	v_dual_mov_b32 v7, v6 :: v_dual_mov_b32 v8, v6
	v_mov_b32_e32 v9, v6
	scratch_store_b128 off, v[6:9], off offset:336
	s_wait_loadcnt 0x0
	ds_store_b128 v5, v[1:4]
.LBB91_141:
	s_wait_alu 0xfffe
	s_or_b32 exec_lo, exec_lo, s0
	s_wait_storecnt_dscnt 0x0
	s_barrier_signal -1
	s_barrier_wait -1
	global_inv scope:SCOPE_SE
	s_clause 0x6
	scratch_load_b128 v[6:9], off, off offset:352
	scratch_load_b128 v[69:72], off, off offset:368
	;; [unrolled: 1-line block ×7, first 2 shown]
	v_mov_b32_e32 v1, 0
	scratch_load_b128 v[97:100], off, off offset:336
	s_mov_b32 s0, exec_lo
	ds_load_b128 v[93:96], v1 offset:784
	ds_load_b128 v[101:104], v1 offset:800
	s_wait_loadcnt_dscnt 0x701
	v_mul_f64_e32 v[2:3], v[95:96], v[8:9]
	v_mul_f64_e32 v[8:9], v[93:94], v[8:9]
	s_wait_loadcnt_dscnt 0x600
	v_mul_f64_e32 v[10:11], v[101:102], v[71:72]
	v_mul_f64_e32 v[71:72], v[103:104], v[71:72]
	s_delay_alu instid0(VALU_DEP_4) | instskip(NEXT) | instid1(VALU_DEP_4)
	v_fma_f64 v[2:3], v[93:94], v[6:7], -v[2:3]
	v_fma_f64 v[105:106], v[95:96], v[6:7], v[8:9]
	ds_load_b128 v[6:9], v1 offset:816
	ds_load_b128 v[93:96], v1 offset:832
	v_fma_f64 v[10:11], v[103:104], v[69:70], v[10:11]
	v_fma_f64 v[69:70], v[101:102], v[69:70], -v[71:72]
	s_wait_loadcnt_dscnt 0x501
	v_mul_f64_e32 v[107:108], v[6:7], v[75:76]
	v_mul_f64_e32 v[75:76], v[8:9], v[75:76]
	s_wait_loadcnt_dscnt 0x400
	v_mul_f64_e32 v[101:102], v[93:94], v[79:80]
	v_mul_f64_e32 v[79:80], v[95:96], v[79:80]
	v_add_f64_e32 v[2:3], 0, v[2:3]
	v_add_f64_e32 v[71:72], 0, v[105:106]
	v_fma_f64 v[103:104], v[8:9], v[73:74], v[107:108]
	v_fma_f64 v[73:74], v[6:7], v[73:74], -v[75:76]
	v_fma_f64 v[95:96], v[95:96], v[77:78], v[101:102]
	v_fma_f64 v[77:78], v[93:94], v[77:78], -v[79:80]
	v_add_f64_e32 v[2:3], v[2:3], v[69:70]
	v_add_f64_e32 v[10:11], v[71:72], v[10:11]
	ds_load_b128 v[6:9], v1 offset:848
	ds_load_b128 v[69:72], v1 offset:864
	s_wait_loadcnt_dscnt 0x301
	v_mul_f64_e32 v[75:76], v[6:7], v[83:84]
	v_mul_f64_e32 v[83:84], v[8:9], v[83:84]
	s_wait_loadcnt_dscnt 0x200
	v_mul_f64_e32 v[79:80], v[71:72], v[87:88]
	v_add_f64_e32 v[2:3], v[2:3], v[73:74]
	v_add_f64_e32 v[10:11], v[10:11], v[103:104]
	v_mul_f64_e32 v[73:74], v[69:70], v[87:88]
	v_fma_f64 v[75:76], v[8:9], v[81:82], v[75:76]
	v_fma_f64 v[81:82], v[6:7], v[81:82], -v[83:84]
	ds_load_b128 v[6:9], v1 offset:880
	v_fma_f64 v[69:70], v[69:70], v[85:86], -v[79:80]
	v_add_f64_e32 v[2:3], v[2:3], v[77:78]
	v_add_f64_e32 v[10:11], v[10:11], v[95:96]
	v_fma_f64 v[71:72], v[71:72], v[85:86], v[73:74]
	s_wait_loadcnt_dscnt 0x100
	v_mul_f64_e32 v[77:78], v[6:7], v[91:92]
	v_mul_f64_e32 v[83:84], v[8:9], v[91:92]
	v_add_f64_e32 v[2:3], v[2:3], v[81:82]
	v_add_f64_e32 v[10:11], v[10:11], v[75:76]
	s_delay_alu instid0(VALU_DEP_4) | instskip(NEXT) | instid1(VALU_DEP_4)
	v_fma_f64 v[8:9], v[8:9], v[89:90], v[77:78]
	v_fma_f64 v[6:7], v[6:7], v[89:90], -v[83:84]
	s_delay_alu instid0(VALU_DEP_4) | instskip(NEXT) | instid1(VALU_DEP_4)
	v_add_f64_e32 v[2:3], v[2:3], v[69:70]
	v_add_f64_e32 v[10:11], v[10:11], v[71:72]
	s_delay_alu instid0(VALU_DEP_2) | instskip(NEXT) | instid1(VALU_DEP_2)
	v_add_f64_e32 v[2:3], v[2:3], v[6:7]
	v_add_f64_e32 v[8:9], v[10:11], v[8:9]
	s_wait_loadcnt 0x0
	s_delay_alu instid0(VALU_DEP_2) | instskip(NEXT) | instid1(VALU_DEP_2)
	v_add_f64_e64 v[6:7], v[97:98], -v[2:3]
	v_add_f64_e64 v[8:9], v[99:100], -v[8:9]
	scratch_store_b128 off, v[6:9], off offset:336
	v_cmpx_lt_u32_e32 19, v0
	s_cbranch_execz .LBB91_143
; %bb.142:
	scratch_load_b128 v[6:9], off, s16
	v_dual_mov_b32 v2, v1 :: v_dual_mov_b32 v3, v1
	v_mov_b32_e32 v4, v1
	scratch_store_b128 off, v[1:4], off offset:320
	s_wait_loadcnt 0x0
	ds_store_b128 v5, v[6:9]
.LBB91_143:
	s_wait_alu 0xfffe
	s_or_b32 exec_lo, exec_lo, s0
	s_wait_storecnt_dscnt 0x0
	s_barrier_signal -1
	s_barrier_wait -1
	global_inv scope:SCOPE_SE
	s_clause 0x7
	scratch_load_b128 v[6:9], off, off offset:336
	scratch_load_b128 v[69:72], off, off offset:352
	;; [unrolled: 1-line block ×8, first 2 shown]
	ds_load_b128 v[97:100], v1 offset:768
	ds_load_b128 v[101:104], v1 offset:784
	scratch_load_b128 v[105:108], off, off offset:320
	s_mov_b32 s0, exec_lo
	s_wait_loadcnt_dscnt 0x801
	v_mul_f64_e32 v[2:3], v[99:100], v[8:9]
	v_mul_f64_e32 v[8:9], v[97:98], v[8:9]
	s_wait_loadcnt_dscnt 0x700
	v_mul_f64_e32 v[10:11], v[101:102], v[71:72]
	v_mul_f64_e32 v[71:72], v[103:104], v[71:72]
	s_delay_alu instid0(VALU_DEP_4) | instskip(NEXT) | instid1(VALU_DEP_4)
	v_fma_f64 v[2:3], v[97:98], v[6:7], -v[2:3]
	v_fma_f64 v[109:110], v[99:100], v[6:7], v[8:9]
	ds_load_b128 v[6:9], v1 offset:800
	ds_load_b128 v[97:100], v1 offset:816
	v_fma_f64 v[10:11], v[103:104], v[69:70], v[10:11]
	v_fma_f64 v[69:70], v[101:102], v[69:70], -v[71:72]
	s_wait_loadcnt_dscnt 0x601
	v_mul_f64_e32 v[111:112], v[6:7], v[75:76]
	v_mul_f64_e32 v[75:76], v[8:9], v[75:76]
	s_wait_loadcnt_dscnt 0x500
	v_mul_f64_e32 v[101:102], v[97:98], v[79:80]
	v_mul_f64_e32 v[79:80], v[99:100], v[79:80]
	v_add_f64_e32 v[2:3], 0, v[2:3]
	v_add_f64_e32 v[71:72], 0, v[109:110]
	v_fma_f64 v[103:104], v[8:9], v[73:74], v[111:112]
	v_fma_f64 v[73:74], v[6:7], v[73:74], -v[75:76]
	v_fma_f64 v[99:100], v[99:100], v[77:78], v[101:102]
	v_fma_f64 v[77:78], v[97:98], v[77:78], -v[79:80]
	v_add_f64_e32 v[2:3], v[2:3], v[69:70]
	v_add_f64_e32 v[10:11], v[71:72], v[10:11]
	ds_load_b128 v[6:9], v1 offset:832
	ds_load_b128 v[69:72], v1 offset:848
	s_wait_loadcnt_dscnt 0x401
	v_mul_f64_e32 v[75:76], v[6:7], v[83:84]
	v_mul_f64_e32 v[83:84], v[8:9], v[83:84]
	s_wait_loadcnt_dscnt 0x300
	v_mul_f64_e32 v[79:80], v[71:72], v[87:88]
	v_add_f64_e32 v[2:3], v[2:3], v[73:74]
	v_add_f64_e32 v[10:11], v[10:11], v[103:104]
	v_mul_f64_e32 v[73:74], v[69:70], v[87:88]
	v_fma_f64 v[75:76], v[8:9], v[81:82], v[75:76]
	v_fma_f64 v[81:82], v[6:7], v[81:82], -v[83:84]
	v_fma_f64 v[69:70], v[69:70], v[85:86], -v[79:80]
	v_add_f64_e32 v[77:78], v[2:3], v[77:78]
	v_add_f64_e32 v[10:11], v[10:11], v[99:100]
	ds_load_b128 v[6:9], v1 offset:864
	ds_load_b128 v[1:4], v1 offset:880
	v_fma_f64 v[71:72], v[71:72], v[85:86], v[73:74]
	s_wait_loadcnt_dscnt 0x201
	v_mul_f64_e32 v[83:84], v[6:7], v[91:92]
	v_mul_f64_e32 v[87:88], v[8:9], v[91:92]
	v_add_f64_e32 v[73:74], v[77:78], v[81:82]
	v_add_f64_e32 v[10:11], v[10:11], v[75:76]
	s_wait_loadcnt_dscnt 0x100
	v_mul_f64_e32 v[75:76], v[1:2], v[95:96]
	v_mul_f64_e32 v[77:78], v[3:4], v[95:96]
	v_fma_f64 v[8:9], v[8:9], v[89:90], v[83:84]
	v_fma_f64 v[6:7], v[6:7], v[89:90], -v[87:88]
	v_add_f64_e32 v[69:70], v[73:74], v[69:70]
	v_add_f64_e32 v[10:11], v[10:11], v[71:72]
	v_fma_f64 v[3:4], v[3:4], v[93:94], v[75:76]
	v_fma_f64 v[1:2], v[1:2], v[93:94], -v[77:78]
	s_delay_alu instid0(VALU_DEP_4) | instskip(NEXT) | instid1(VALU_DEP_4)
	v_add_f64_e32 v[6:7], v[69:70], v[6:7]
	v_add_f64_e32 v[8:9], v[10:11], v[8:9]
	s_delay_alu instid0(VALU_DEP_2) | instskip(NEXT) | instid1(VALU_DEP_2)
	v_add_f64_e32 v[1:2], v[6:7], v[1:2]
	v_add_f64_e32 v[3:4], v[8:9], v[3:4]
	s_wait_loadcnt 0x0
	s_delay_alu instid0(VALU_DEP_2) | instskip(NEXT) | instid1(VALU_DEP_2)
	v_add_f64_e64 v[1:2], v[105:106], -v[1:2]
	v_add_f64_e64 v[3:4], v[107:108], -v[3:4]
	scratch_store_b128 off, v[1:4], off offset:320
	v_cmpx_lt_u32_e32 18, v0
	s_cbranch_execz .LBB91_145
; %bb.144:
	scratch_load_b128 v[1:4], off, s29
	v_mov_b32_e32 v6, 0
	s_delay_alu instid0(VALU_DEP_1)
	v_dual_mov_b32 v7, v6 :: v_dual_mov_b32 v8, v6
	v_mov_b32_e32 v9, v6
	scratch_store_b128 off, v[6:9], off offset:304
	s_wait_loadcnt 0x0
	ds_store_b128 v5, v[1:4]
.LBB91_145:
	s_wait_alu 0xfffe
	s_or_b32 exec_lo, exec_lo, s0
	s_wait_storecnt_dscnt 0x0
	s_barrier_signal -1
	s_barrier_wait -1
	global_inv scope:SCOPE_SE
	s_clause 0x7
	scratch_load_b128 v[6:9], off, off offset:320
	scratch_load_b128 v[69:72], off, off offset:336
	;; [unrolled: 1-line block ×8, first 2 shown]
	v_mov_b32_e32 v1, 0
	s_mov_b32 s0, exec_lo
	ds_load_b128 v[97:100], v1 offset:752
	s_clause 0x1
	scratch_load_b128 v[101:104], off, off offset:448
	scratch_load_b128 v[105:108], off, off offset:304
	ds_load_b128 v[109:112], v1 offset:768
	s_wait_loadcnt_dscnt 0x901
	v_mul_f64_e32 v[2:3], v[99:100], v[8:9]
	v_mul_f64_e32 v[8:9], v[97:98], v[8:9]
	s_wait_loadcnt_dscnt 0x800
	v_mul_f64_e32 v[10:11], v[109:110], v[71:72]
	v_mul_f64_e32 v[71:72], v[111:112], v[71:72]
	s_delay_alu instid0(VALU_DEP_4) | instskip(NEXT) | instid1(VALU_DEP_4)
	v_fma_f64 v[2:3], v[97:98], v[6:7], -v[2:3]
	v_fma_f64 v[113:114], v[99:100], v[6:7], v[8:9]
	ds_load_b128 v[6:9], v1 offset:784
	ds_load_b128 v[97:100], v1 offset:800
	v_fma_f64 v[10:11], v[111:112], v[69:70], v[10:11]
	v_fma_f64 v[69:70], v[109:110], v[69:70], -v[71:72]
	s_wait_loadcnt_dscnt 0x701
	v_mul_f64_e32 v[115:116], v[6:7], v[75:76]
	v_mul_f64_e32 v[75:76], v[8:9], v[75:76]
	s_wait_loadcnt_dscnt 0x600
	v_mul_f64_e32 v[109:110], v[97:98], v[79:80]
	v_mul_f64_e32 v[79:80], v[99:100], v[79:80]
	v_add_f64_e32 v[2:3], 0, v[2:3]
	v_add_f64_e32 v[71:72], 0, v[113:114]
	v_fma_f64 v[111:112], v[8:9], v[73:74], v[115:116]
	v_fma_f64 v[73:74], v[6:7], v[73:74], -v[75:76]
	v_fma_f64 v[99:100], v[99:100], v[77:78], v[109:110]
	v_fma_f64 v[77:78], v[97:98], v[77:78], -v[79:80]
	v_add_f64_e32 v[2:3], v[2:3], v[69:70]
	v_add_f64_e32 v[10:11], v[71:72], v[10:11]
	ds_load_b128 v[6:9], v1 offset:816
	ds_load_b128 v[69:72], v1 offset:832
	s_wait_loadcnt_dscnt 0x501
	v_mul_f64_e32 v[75:76], v[6:7], v[83:84]
	v_mul_f64_e32 v[83:84], v[8:9], v[83:84]
	s_wait_loadcnt_dscnt 0x400
	v_mul_f64_e32 v[79:80], v[69:70], v[87:88]
	v_mul_f64_e32 v[87:88], v[71:72], v[87:88]
	v_add_f64_e32 v[2:3], v[2:3], v[73:74]
	v_add_f64_e32 v[10:11], v[10:11], v[111:112]
	v_fma_f64 v[97:98], v[8:9], v[81:82], v[75:76]
	v_fma_f64 v[81:82], v[6:7], v[81:82], -v[83:84]
	ds_load_b128 v[6:9], v1 offset:848
	ds_load_b128 v[73:76], v1 offset:864
	v_fma_f64 v[71:72], v[71:72], v[85:86], v[79:80]
	v_fma_f64 v[69:70], v[69:70], v[85:86], -v[87:88]
	v_add_f64_e32 v[2:3], v[2:3], v[77:78]
	v_add_f64_e32 v[10:11], v[10:11], v[99:100]
	s_wait_loadcnt_dscnt 0x301
	v_mul_f64_e32 v[77:78], v[6:7], v[91:92]
	v_mul_f64_e32 v[83:84], v[8:9], v[91:92]
	s_wait_loadcnt_dscnt 0x200
	v_mul_f64_e32 v[79:80], v[73:74], v[95:96]
	v_add_f64_e32 v[2:3], v[2:3], v[81:82]
	v_add_f64_e32 v[10:11], v[10:11], v[97:98]
	v_mul_f64_e32 v[81:82], v[75:76], v[95:96]
	v_fma_f64 v[77:78], v[8:9], v[89:90], v[77:78]
	v_fma_f64 v[83:84], v[6:7], v[89:90], -v[83:84]
	ds_load_b128 v[6:9], v1 offset:880
	v_fma_f64 v[75:76], v[75:76], v[93:94], v[79:80]
	v_add_f64_e32 v[2:3], v[2:3], v[69:70]
	v_add_f64_e32 v[10:11], v[10:11], v[71:72]
	s_wait_loadcnt_dscnt 0x100
	v_mul_f64_e32 v[69:70], v[6:7], v[103:104]
	v_mul_f64_e32 v[71:72], v[8:9], v[103:104]
	v_fma_f64 v[73:74], v[73:74], v[93:94], -v[81:82]
	v_add_f64_e32 v[2:3], v[2:3], v[83:84]
	v_add_f64_e32 v[10:11], v[10:11], v[77:78]
	v_fma_f64 v[8:9], v[8:9], v[101:102], v[69:70]
	v_fma_f64 v[6:7], v[6:7], v[101:102], -v[71:72]
	s_delay_alu instid0(VALU_DEP_4) | instskip(NEXT) | instid1(VALU_DEP_4)
	v_add_f64_e32 v[2:3], v[2:3], v[73:74]
	v_add_f64_e32 v[10:11], v[10:11], v[75:76]
	s_delay_alu instid0(VALU_DEP_2) | instskip(NEXT) | instid1(VALU_DEP_2)
	v_add_f64_e32 v[2:3], v[2:3], v[6:7]
	v_add_f64_e32 v[8:9], v[10:11], v[8:9]
	s_wait_loadcnt 0x0
	s_delay_alu instid0(VALU_DEP_2) | instskip(NEXT) | instid1(VALU_DEP_2)
	v_add_f64_e64 v[6:7], v[105:106], -v[2:3]
	v_add_f64_e64 v[8:9], v[107:108], -v[8:9]
	scratch_store_b128 off, v[6:9], off offset:304
	v_cmpx_lt_u32_e32 17, v0
	s_cbranch_execz .LBB91_147
; %bb.146:
	scratch_load_b128 v[6:9], off, s15
	v_dual_mov_b32 v2, v1 :: v_dual_mov_b32 v3, v1
	v_mov_b32_e32 v4, v1
	scratch_store_b128 off, v[1:4], off offset:288
	s_wait_loadcnt 0x0
	ds_store_b128 v5, v[6:9]
.LBB91_147:
	s_wait_alu 0xfffe
	s_or_b32 exec_lo, exec_lo, s0
	s_wait_storecnt_dscnt 0x0
	s_barrier_signal -1
	s_barrier_wait -1
	global_inv scope:SCOPE_SE
	s_clause 0x8
	scratch_load_b128 v[6:9], off, off offset:304
	scratch_load_b128 v[69:72], off, off offset:320
	;; [unrolled: 1-line block ×9, first 2 shown]
	ds_load_b128 v[101:104], v1 offset:736
	ds_load_b128 v[105:108], v1 offset:752
	scratch_load_b128 v[109:112], off, off offset:288
	s_mov_b32 s0, exec_lo
	s_wait_loadcnt_dscnt 0x901
	v_mul_f64_e32 v[2:3], v[103:104], v[8:9]
	v_mul_f64_e32 v[113:114], v[101:102], v[8:9]
	scratch_load_b128 v[8:11], off, off offset:448
	s_wait_loadcnt_dscnt 0x900
	v_mul_f64_e32 v[117:118], v[105:106], v[71:72]
	v_mul_f64_e32 v[71:72], v[107:108], v[71:72]
	v_fma_f64 v[2:3], v[101:102], v[6:7], -v[2:3]
	v_fma_f64 v[6:7], v[103:104], v[6:7], v[113:114]
	ds_load_b128 v[101:104], v1 offset:768
	ds_load_b128 v[113:116], v1 offset:784
	v_fma_f64 v[107:108], v[107:108], v[69:70], v[117:118]
	v_fma_f64 v[69:70], v[105:106], v[69:70], -v[71:72]
	s_wait_loadcnt_dscnt 0x801
	v_mul_f64_e32 v[119:120], v[101:102], v[75:76]
	v_mul_f64_e32 v[75:76], v[103:104], v[75:76]
	s_wait_loadcnt_dscnt 0x700
	v_mul_f64_e32 v[105:106], v[113:114], v[79:80]
	v_mul_f64_e32 v[79:80], v[115:116], v[79:80]
	v_add_f64_e32 v[2:3], 0, v[2:3]
	v_add_f64_e32 v[6:7], 0, v[6:7]
	v_fma_f64 v[103:104], v[103:104], v[73:74], v[119:120]
	v_fma_f64 v[101:102], v[101:102], v[73:74], -v[75:76]
	v_fma_f64 v[105:106], v[115:116], v[77:78], v[105:106]
	v_fma_f64 v[77:78], v[113:114], v[77:78], -v[79:80]
	v_add_f64_e32 v[2:3], v[2:3], v[69:70]
	v_add_f64_e32 v[6:7], v[6:7], v[107:108]
	ds_load_b128 v[69:72], v1 offset:800
	ds_load_b128 v[73:76], v1 offset:816
	s_wait_loadcnt_dscnt 0x601
	v_mul_f64_e32 v[107:108], v[69:70], v[83:84]
	v_mul_f64_e32 v[83:84], v[71:72], v[83:84]
	v_add_f64_e32 v[2:3], v[2:3], v[101:102]
	v_add_f64_e32 v[6:7], v[6:7], v[103:104]
	s_wait_loadcnt_dscnt 0x500
	v_mul_f64_e32 v[101:102], v[73:74], v[87:88]
	v_mul_f64_e32 v[87:88], v[75:76], v[87:88]
	v_fma_f64 v[103:104], v[71:72], v[81:82], v[107:108]
	v_fma_f64 v[81:82], v[69:70], v[81:82], -v[83:84]
	v_add_f64_e32 v[2:3], v[2:3], v[77:78]
	v_add_f64_e32 v[6:7], v[6:7], v[105:106]
	ds_load_b128 v[69:72], v1 offset:832
	ds_load_b128 v[77:80], v1 offset:848
	v_fma_f64 v[75:76], v[75:76], v[85:86], v[101:102]
	v_fma_f64 v[73:74], v[73:74], v[85:86], -v[87:88]
	s_wait_loadcnt_dscnt 0x401
	v_mul_f64_e32 v[83:84], v[69:70], v[91:92]
	v_mul_f64_e32 v[91:92], v[71:72], v[91:92]
	s_wait_loadcnt_dscnt 0x300
	v_mul_f64_e32 v[85:86], v[79:80], v[95:96]
	v_add_f64_e32 v[2:3], v[2:3], v[81:82]
	v_add_f64_e32 v[6:7], v[6:7], v[103:104]
	v_mul_f64_e32 v[81:82], v[77:78], v[95:96]
	v_fma_f64 v[83:84], v[71:72], v[89:90], v[83:84]
	v_fma_f64 v[87:88], v[69:70], v[89:90], -v[91:92]
	v_fma_f64 v[77:78], v[77:78], v[93:94], -v[85:86]
	v_add_f64_e32 v[73:74], v[2:3], v[73:74]
	v_add_f64_e32 v[6:7], v[6:7], v[75:76]
	ds_load_b128 v[69:72], v1 offset:864
	ds_load_b128 v[1:4], v1 offset:880
	v_fma_f64 v[79:80], v[79:80], v[93:94], v[81:82]
	s_wait_loadcnt_dscnt 0x201
	v_mul_f64_e32 v[75:76], v[69:70], v[99:100]
	v_mul_f64_e32 v[89:90], v[71:72], v[99:100]
	v_add_f64_e32 v[73:74], v[73:74], v[87:88]
	v_add_f64_e32 v[6:7], v[6:7], v[83:84]
	s_wait_loadcnt_dscnt 0x0
	v_mul_f64_e32 v[81:82], v[1:2], v[10:11]
	v_mul_f64_e32 v[10:11], v[3:4], v[10:11]
	v_fma_f64 v[71:72], v[71:72], v[97:98], v[75:76]
	v_fma_f64 v[69:70], v[69:70], v[97:98], -v[89:90]
	v_add_f64_e32 v[73:74], v[73:74], v[77:78]
	v_add_f64_e32 v[6:7], v[6:7], v[79:80]
	v_fma_f64 v[3:4], v[3:4], v[8:9], v[81:82]
	v_fma_f64 v[1:2], v[1:2], v[8:9], -v[10:11]
	s_delay_alu instid0(VALU_DEP_4) | instskip(NEXT) | instid1(VALU_DEP_4)
	v_add_f64_e32 v[8:9], v[73:74], v[69:70]
	v_add_f64_e32 v[6:7], v[6:7], v[71:72]
	s_delay_alu instid0(VALU_DEP_2) | instskip(NEXT) | instid1(VALU_DEP_2)
	v_add_f64_e32 v[1:2], v[8:9], v[1:2]
	v_add_f64_e32 v[3:4], v[6:7], v[3:4]
	s_delay_alu instid0(VALU_DEP_2) | instskip(NEXT) | instid1(VALU_DEP_2)
	v_add_f64_e64 v[1:2], v[109:110], -v[1:2]
	v_add_f64_e64 v[3:4], v[111:112], -v[3:4]
	scratch_store_b128 off, v[1:4], off offset:288
	v_cmpx_lt_u32_e32 16, v0
	s_cbranch_execz .LBB91_149
; %bb.148:
	scratch_load_b128 v[1:4], off, s28
	v_mov_b32_e32 v6, 0
	s_delay_alu instid0(VALU_DEP_1)
	v_dual_mov_b32 v7, v6 :: v_dual_mov_b32 v8, v6
	v_mov_b32_e32 v9, v6
	scratch_store_b128 off, v[6:9], off offset:272
	s_wait_loadcnt 0x0
	ds_store_b128 v5, v[1:4]
.LBB91_149:
	s_wait_alu 0xfffe
	s_or_b32 exec_lo, exec_lo, s0
	s_wait_storecnt_dscnt 0x0
	s_barrier_signal -1
	s_barrier_wait -1
	global_inv scope:SCOPE_SE
	s_clause 0x7
	scratch_load_b128 v[6:9], off, off offset:288
	scratch_load_b128 v[69:72], off, off offset:304
	;; [unrolled: 1-line block ×8, first 2 shown]
	v_mov_b32_e32 v1, 0
	s_mov_b32 s0, exec_lo
	ds_load_b128 v[97:100], v1 offset:720
	s_clause 0x1
	scratch_load_b128 v[101:104], off, off offset:416
	scratch_load_b128 v[105:108], off, off offset:272
	ds_load_b128 v[109:112], v1 offset:736
	ds_load_b128 v[117:120], v1 offset:768
	s_wait_loadcnt_dscnt 0x902
	v_mul_f64_e32 v[2:3], v[99:100], v[8:9]
	v_mul_f64_e32 v[113:114], v[97:98], v[8:9]
	scratch_load_b128 v[8:11], off, off offset:432
	v_fma_f64 v[2:3], v[97:98], v[6:7], -v[2:3]
	v_fma_f64 v[6:7], v[99:100], v[6:7], v[113:114]
	ds_load_b128 v[97:100], v1 offset:752
	s_wait_loadcnt_dscnt 0x902
	v_mul_f64_e32 v[121:122], v[109:110], v[71:72]
	v_mul_f64_e32 v[71:72], v[111:112], v[71:72]
	scratch_load_b128 v[113:116], off, off offset:448
	s_wait_loadcnt_dscnt 0x900
	v_mul_f64_e32 v[123:124], v[97:98], v[75:76]
	v_mul_f64_e32 v[75:76], v[99:100], v[75:76]
	v_add_f64_e32 v[2:3], 0, v[2:3]
	v_add_f64_e32 v[6:7], 0, v[6:7]
	v_fma_f64 v[111:112], v[111:112], v[69:70], v[121:122]
	v_fma_f64 v[69:70], v[109:110], v[69:70], -v[71:72]
	s_wait_loadcnt 0x8
	v_mul_f64_e32 v[109:110], v[117:118], v[79:80]
	v_mul_f64_e32 v[79:80], v[119:120], v[79:80]
	v_fma_f64 v[99:100], v[99:100], v[73:74], v[123:124]
	v_fma_f64 v[97:98], v[97:98], v[73:74], -v[75:76]
	v_add_f64_e32 v[6:7], v[6:7], v[111:112]
	v_add_f64_e32 v[2:3], v[2:3], v[69:70]
	ds_load_b128 v[69:72], v1 offset:784
	ds_load_b128 v[73:76], v1 offset:800
	v_fma_f64 v[109:110], v[119:120], v[77:78], v[109:110]
	v_fma_f64 v[77:78], v[117:118], v[77:78], -v[79:80]
	s_wait_loadcnt_dscnt 0x701
	v_mul_f64_e32 v[111:112], v[69:70], v[83:84]
	v_mul_f64_e32 v[83:84], v[71:72], v[83:84]
	v_add_f64_e32 v[6:7], v[6:7], v[99:100]
	v_add_f64_e32 v[2:3], v[2:3], v[97:98]
	s_wait_loadcnt_dscnt 0x600
	v_mul_f64_e32 v[97:98], v[73:74], v[87:88]
	v_mul_f64_e32 v[87:88], v[75:76], v[87:88]
	v_fma_f64 v[99:100], v[71:72], v[81:82], v[111:112]
	v_fma_f64 v[81:82], v[69:70], v[81:82], -v[83:84]
	v_add_f64_e32 v[6:7], v[6:7], v[109:110]
	v_add_f64_e32 v[2:3], v[2:3], v[77:78]
	ds_load_b128 v[69:72], v1 offset:816
	ds_load_b128 v[77:80], v1 offset:832
	v_fma_f64 v[75:76], v[75:76], v[85:86], v[97:98]
	v_fma_f64 v[73:74], v[73:74], v[85:86], -v[87:88]
	s_wait_loadcnt_dscnt 0x501
	v_mul_f64_e32 v[83:84], v[69:70], v[91:92]
	v_mul_f64_e32 v[91:92], v[71:72], v[91:92]
	s_wait_loadcnt_dscnt 0x400
	v_mul_f64_e32 v[85:86], v[79:80], v[95:96]
	v_add_f64_e32 v[6:7], v[6:7], v[99:100]
	v_add_f64_e32 v[2:3], v[2:3], v[81:82]
	v_mul_f64_e32 v[81:82], v[77:78], v[95:96]
	v_fma_f64 v[83:84], v[71:72], v[89:90], v[83:84]
	v_fma_f64 v[87:88], v[69:70], v[89:90], -v[91:92]
	v_fma_f64 v[77:78], v[77:78], v[93:94], -v[85:86]
	v_add_f64_e32 v[6:7], v[6:7], v[75:76]
	v_add_f64_e32 v[2:3], v[2:3], v[73:74]
	ds_load_b128 v[69:72], v1 offset:848
	ds_load_b128 v[73:76], v1 offset:864
	v_fma_f64 v[79:80], v[79:80], v[93:94], v[81:82]
	s_wait_loadcnt_dscnt 0x301
	v_mul_f64_e32 v[89:90], v[69:70], v[103:104]
	v_mul_f64_e32 v[91:92], v[71:72], v[103:104]
	v_add_f64_e32 v[6:7], v[6:7], v[83:84]
	v_add_f64_e32 v[2:3], v[2:3], v[87:88]
	s_wait_loadcnt_dscnt 0x100
	v_mul_f64_e32 v[81:82], v[73:74], v[10:11]
	v_mul_f64_e32 v[10:11], v[75:76], v[10:11]
	v_fma_f64 v[83:84], v[71:72], v[101:102], v[89:90]
	v_fma_f64 v[85:86], v[69:70], v[101:102], -v[91:92]
	ds_load_b128 v[69:72], v1 offset:880
	v_add_f64_e32 v[6:7], v[6:7], v[79:80]
	v_add_f64_e32 v[2:3], v[2:3], v[77:78]
	v_fma_f64 v[75:76], v[75:76], v[8:9], v[81:82]
	v_fma_f64 v[8:9], v[73:74], v[8:9], -v[10:11]
	s_wait_loadcnt_dscnt 0x0
	v_mul_f64_e32 v[77:78], v[69:70], v[115:116]
	v_mul_f64_e32 v[79:80], v[71:72], v[115:116]
	v_add_f64_e32 v[6:7], v[6:7], v[83:84]
	v_add_f64_e32 v[2:3], v[2:3], v[85:86]
	s_delay_alu instid0(VALU_DEP_4) | instskip(NEXT) | instid1(VALU_DEP_4)
	v_fma_f64 v[10:11], v[71:72], v[113:114], v[77:78]
	v_fma_f64 v[69:70], v[69:70], v[113:114], -v[79:80]
	s_delay_alu instid0(VALU_DEP_4) | instskip(NEXT) | instid1(VALU_DEP_4)
	v_add_f64_e32 v[6:7], v[6:7], v[75:76]
	v_add_f64_e32 v[2:3], v[2:3], v[8:9]
	s_delay_alu instid0(VALU_DEP_2) | instskip(NEXT) | instid1(VALU_DEP_2)
	v_add_f64_e32 v[8:9], v[6:7], v[10:11]
	v_add_f64_e32 v[2:3], v[2:3], v[69:70]
	s_delay_alu instid0(VALU_DEP_2) | instskip(NEXT) | instid1(VALU_DEP_2)
	v_add_f64_e64 v[8:9], v[107:108], -v[8:9]
	v_add_f64_e64 v[6:7], v[105:106], -v[2:3]
	scratch_store_b128 off, v[6:9], off offset:272
	v_cmpx_lt_u32_e32 15, v0
	s_cbranch_execz .LBB91_151
; %bb.150:
	scratch_load_b128 v[6:9], off, s14
	v_dual_mov_b32 v2, v1 :: v_dual_mov_b32 v3, v1
	v_mov_b32_e32 v4, v1
	scratch_store_b128 off, v[1:4], off offset:256
	s_wait_loadcnt 0x0
	ds_store_b128 v5, v[6:9]
.LBB91_151:
	s_wait_alu 0xfffe
	s_or_b32 exec_lo, exec_lo, s0
	s_wait_storecnt_dscnt 0x0
	s_barrier_signal -1
	s_barrier_wait -1
	global_inv scope:SCOPE_SE
	s_clause 0x8
	scratch_load_b128 v[6:9], off, off offset:272
	scratch_load_b128 v[69:72], off, off offset:288
	;; [unrolled: 1-line block ×9, first 2 shown]
	ds_load_b128 v[101:104], v1 offset:704
	ds_load_b128 v[105:108], v1 offset:720
	scratch_load_b128 v[109:112], off, off offset:256
	s_mov_b32 s0, exec_lo
	ds_load_b128 v[117:120], v1 offset:752
	s_wait_loadcnt_dscnt 0x902
	v_mul_f64_e32 v[2:3], v[103:104], v[8:9]
	v_mul_f64_e32 v[113:114], v[101:102], v[8:9]
	scratch_load_b128 v[8:11], off, off offset:416
	s_wait_loadcnt_dscnt 0x901
	v_mul_f64_e32 v[121:122], v[105:106], v[71:72]
	v_mul_f64_e32 v[71:72], v[107:108], v[71:72]
	v_fma_f64 v[2:3], v[101:102], v[6:7], -v[2:3]
	v_fma_f64 v[6:7], v[103:104], v[6:7], v[113:114]
	ds_load_b128 v[101:104], v1 offset:736
	scratch_load_b128 v[113:116], off, off offset:432
	v_fma_f64 v[107:108], v[107:108], v[69:70], v[121:122]
	v_fma_f64 v[105:106], v[105:106], v[69:70], -v[71:72]
	scratch_load_b128 v[69:72], off, off offset:448
	s_wait_loadcnt_dscnt 0x901
	v_mul_f64_e32 v[121:122], v[117:118], v[79:80]
	v_mul_f64_e32 v[79:80], v[119:120], v[79:80]
	s_wait_dscnt 0x0
	v_mul_f64_e32 v[123:124], v[101:102], v[75:76]
	v_mul_f64_e32 v[75:76], v[103:104], v[75:76]
	v_add_f64_e32 v[2:3], 0, v[2:3]
	v_add_f64_e32 v[6:7], 0, v[6:7]
	s_delay_alu instid0(VALU_DEP_4) | instskip(NEXT) | instid1(VALU_DEP_4)
	v_fma_f64 v[123:124], v[103:104], v[73:74], v[123:124]
	v_fma_f64 v[125:126], v[101:102], v[73:74], -v[75:76]
	ds_load_b128 v[73:76], v1 offset:768
	ds_load_b128 v[101:104], v1 offset:784
	v_add_f64_e32 v[2:3], v[2:3], v[105:106]
	v_add_f64_e32 v[6:7], v[6:7], v[107:108]
	v_fma_f64 v[107:108], v[119:120], v[77:78], v[121:122]
	v_fma_f64 v[77:78], v[117:118], v[77:78], -v[79:80]
	s_wait_loadcnt_dscnt 0x801
	v_mul_f64_e32 v[105:106], v[73:74], v[83:84]
	v_mul_f64_e32 v[83:84], v[75:76], v[83:84]
	s_wait_loadcnt_dscnt 0x700
	v_mul_f64_e32 v[117:118], v[101:102], v[87:88]
	v_mul_f64_e32 v[87:88], v[103:104], v[87:88]
	v_add_f64_e32 v[2:3], v[2:3], v[125:126]
	v_add_f64_e32 v[6:7], v[6:7], v[123:124]
	v_fma_f64 v[105:106], v[75:76], v[81:82], v[105:106]
	v_fma_f64 v[81:82], v[73:74], v[81:82], -v[83:84]
	v_fma_f64 v[103:104], v[103:104], v[85:86], v[117:118]
	v_fma_f64 v[85:86], v[101:102], v[85:86], -v[87:88]
	v_add_f64_e32 v[2:3], v[2:3], v[77:78]
	v_add_f64_e32 v[6:7], v[6:7], v[107:108]
	ds_load_b128 v[73:76], v1 offset:800
	ds_load_b128 v[77:80], v1 offset:816
	s_wait_loadcnt_dscnt 0x601
	v_mul_f64_e32 v[83:84], v[73:74], v[91:92]
	v_mul_f64_e32 v[91:92], v[75:76], v[91:92]
	s_wait_loadcnt_dscnt 0x500
	v_mul_f64_e32 v[87:88], v[77:78], v[95:96]
	v_mul_f64_e32 v[95:96], v[79:80], v[95:96]
	v_add_f64_e32 v[2:3], v[2:3], v[81:82]
	v_add_f64_e32 v[6:7], v[6:7], v[105:106]
	v_fma_f64 v[101:102], v[75:76], v[89:90], v[83:84]
	v_fma_f64 v[89:90], v[73:74], v[89:90], -v[91:92]
	ds_load_b128 v[73:76], v1 offset:832
	ds_load_b128 v[81:84], v1 offset:848
	v_fma_f64 v[79:80], v[79:80], v[93:94], v[87:88]
	v_fma_f64 v[77:78], v[77:78], v[93:94], -v[95:96]
	v_add_f64_e32 v[2:3], v[2:3], v[85:86]
	v_add_f64_e32 v[6:7], v[6:7], v[103:104]
	s_wait_loadcnt_dscnt 0x401
	v_mul_f64_e32 v[85:86], v[73:74], v[99:100]
	v_mul_f64_e32 v[91:92], v[75:76], v[99:100]
	s_delay_alu instid0(VALU_DEP_4) | instskip(NEXT) | instid1(VALU_DEP_4)
	v_add_f64_e32 v[2:3], v[2:3], v[89:90]
	v_add_f64_e32 v[6:7], v[6:7], v[101:102]
	s_delay_alu instid0(VALU_DEP_4) | instskip(NEXT) | instid1(VALU_DEP_4)
	v_fma_f64 v[85:86], v[75:76], v[97:98], v[85:86]
	v_fma_f64 v[89:90], v[73:74], v[97:98], -v[91:92]
	s_wait_loadcnt_dscnt 0x200
	v_mul_f64_e32 v[87:88], v[81:82], v[10:11]
	v_mul_f64_e32 v[10:11], v[83:84], v[10:11]
	v_add_f64_e32 v[77:78], v[2:3], v[77:78]
	v_add_f64_e32 v[6:7], v[6:7], v[79:80]
	ds_load_b128 v[73:76], v1 offset:864
	ds_load_b128 v[1:4], v1 offset:880
	v_fma_f64 v[83:84], v[83:84], v[8:9], v[87:88]
	v_fma_f64 v[8:9], v[81:82], v[8:9], -v[10:11]
	s_wait_loadcnt_dscnt 0x101
	v_mul_f64_e32 v[79:80], v[73:74], v[115:116]
	v_mul_f64_e32 v[91:92], v[75:76], v[115:116]
	v_add_f64_e32 v[10:11], v[77:78], v[89:90]
	v_add_f64_e32 v[6:7], v[6:7], v[85:86]
	s_wait_loadcnt_dscnt 0x0
	v_mul_f64_e32 v[77:78], v[1:2], v[71:72]
	v_mul_f64_e32 v[71:72], v[3:4], v[71:72]
	v_fma_f64 v[75:76], v[75:76], v[113:114], v[79:80]
	v_fma_f64 v[73:74], v[73:74], v[113:114], -v[91:92]
	v_add_f64_e32 v[8:9], v[10:11], v[8:9]
	v_add_f64_e32 v[6:7], v[6:7], v[83:84]
	v_fma_f64 v[3:4], v[3:4], v[69:70], v[77:78]
	v_fma_f64 v[1:2], v[1:2], v[69:70], -v[71:72]
	s_delay_alu instid0(VALU_DEP_4) | instskip(NEXT) | instid1(VALU_DEP_4)
	v_add_f64_e32 v[8:9], v[8:9], v[73:74]
	v_add_f64_e32 v[6:7], v[6:7], v[75:76]
	s_delay_alu instid0(VALU_DEP_2) | instskip(NEXT) | instid1(VALU_DEP_2)
	v_add_f64_e32 v[1:2], v[8:9], v[1:2]
	v_add_f64_e32 v[3:4], v[6:7], v[3:4]
	s_delay_alu instid0(VALU_DEP_2) | instskip(NEXT) | instid1(VALU_DEP_2)
	v_add_f64_e64 v[1:2], v[109:110], -v[1:2]
	v_add_f64_e64 v[3:4], v[111:112], -v[3:4]
	scratch_store_b128 off, v[1:4], off offset:256
	v_cmpx_lt_u32_e32 14, v0
	s_cbranch_execz .LBB91_153
; %bb.152:
	scratch_load_b128 v[1:4], off, s27
	v_mov_b32_e32 v6, 0
	s_delay_alu instid0(VALU_DEP_1)
	v_dual_mov_b32 v7, v6 :: v_dual_mov_b32 v8, v6
	v_mov_b32_e32 v9, v6
	scratch_store_b128 off, v[6:9], off offset:240
	s_wait_loadcnt 0x0
	ds_store_b128 v5, v[1:4]
.LBB91_153:
	s_wait_alu 0xfffe
	s_or_b32 exec_lo, exec_lo, s0
	s_wait_storecnt_dscnt 0x0
	s_barrier_signal -1
	s_barrier_wait -1
	global_inv scope:SCOPE_SE
	s_clause 0x7
	scratch_load_b128 v[6:9], off, off offset:256
	scratch_load_b128 v[69:72], off, off offset:272
	;; [unrolled: 1-line block ×8, first 2 shown]
	v_mov_b32_e32 v1, 0
	s_mov_b32 s0, exec_lo
	ds_load_b128 v[97:100], v1 offset:688
	s_clause 0x1
	scratch_load_b128 v[101:104], off, off offset:384
	scratch_load_b128 v[105:108], off, off offset:240
	ds_load_b128 v[109:112], v1 offset:704
	ds_load_b128 v[117:120], v1 offset:736
	s_wait_loadcnt_dscnt 0x902
	v_mul_f64_e32 v[2:3], v[99:100], v[8:9]
	v_mul_f64_e32 v[113:114], v[97:98], v[8:9]
	scratch_load_b128 v[8:11], off, off offset:400
	v_fma_f64 v[2:3], v[97:98], v[6:7], -v[2:3]
	v_fma_f64 v[6:7], v[99:100], v[6:7], v[113:114]
	ds_load_b128 v[97:100], v1 offset:720
	s_wait_loadcnt_dscnt 0x902
	v_mul_f64_e32 v[121:122], v[109:110], v[71:72]
	v_mul_f64_e32 v[71:72], v[111:112], v[71:72]
	scratch_load_b128 v[113:116], off, off offset:416
	s_wait_loadcnt_dscnt 0x900
	v_mul_f64_e32 v[123:124], v[97:98], v[75:76]
	v_mul_f64_e32 v[75:76], v[99:100], v[75:76]
	v_add_f64_e32 v[2:3], 0, v[2:3]
	v_add_f64_e32 v[6:7], 0, v[6:7]
	v_fma_f64 v[111:112], v[111:112], v[69:70], v[121:122]
	v_fma_f64 v[109:110], v[109:110], v[69:70], -v[71:72]
	scratch_load_b128 v[69:72], off, off offset:432
	v_fma_f64 v[123:124], v[99:100], v[73:74], v[123:124]
	v_fma_f64 v[125:126], v[97:98], v[73:74], -v[75:76]
	ds_load_b128 v[73:76], v1 offset:752
	s_wait_loadcnt 0x9
	v_mul_f64_e32 v[121:122], v[117:118], v[79:80]
	v_mul_f64_e32 v[79:80], v[119:120], v[79:80]
	scratch_load_b128 v[97:100], off, off offset:448
	v_add_f64_e32 v[6:7], v[6:7], v[111:112]
	v_add_f64_e32 v[2:3], v[2:3], v[109:110]
	ds_load_b128 v[109:112], v1 offset:768
	s_wait_loadcnt_dscnt 0x901
	v_mul_f64_e32 v[127:128], v[73:74], v[83:84]
	v_mul_f64_e32 v[83:84], v[75:76], v[83:84]
	v_fma_f64 v[119:120], v[119:120], v[77:78], v[121:122]
	v_fma_f64 v[77:78], v[117:118], v[77:78], -v[79:80]
	s_wait_loadcnt_dscnt 0x800
	v_mul_f64_e32 v[117:118], v[109:110], v[87:88]
	v_mul_f64_e32 v[87:88], v[111:112], v[87:88]
	v_add_f64_e32 v[6:7], v[6:7], v[123:124]
	v_add_f64_e32 v[2:3], v[2:3], v[125:126]
	v_fma_f64 v[121:122], v[75:76], v[81:82], v[127:128]
	v_fma_f64 v[81:82], v[73:74], v[81:82], -v[83:84]
	v_fma_f64 v[111:112], v[111:112], v[85:86], v[117:118]
	v_fma_f64 v[85:86], v[109:110], v[85:86], -v[87:88]
	v_add_f64_e32 v[6:7], v[6:7], v[119:120]
	v_add_f64_e32 v[2:3], v[2:3], v[77:78]
	ds_load_b128 v[73:76], v1 offset:784
	ds_load_b128 v[77:80], v1 offset:800
	s_wait_loadcnt_dscnt 0x701
	v_mul_f64_e32 v[83:84], v[73:74], v[91:92]
	v_mul_f64_e32 v[91:92], v[75:76], v[91:92]
	s_wait_loadcnt_dscnt 0x600
	v_mul_f64_e32 v[87:88], v[77:78], v[95:96]
	v_mul_f64_e32 v[95:96], v[79:80], v[95:96]
	v_add_f64_e32 v[6:7], v[6:7], v[121:122]
	v_add_f64_e32 v[2:3], v[2:3], v[81:82]
	v_fma_f64 v[109:110], v[75:76], v[89:90], v[83:84]
	v_fma_f64 v[89:90], v[73:74], v[89:90], -v[91:92]
	ds_load_b128 v[73:76], v1 offset:816
	ds_load_b128 v[81:84], v1 offset:832
	v_fma_f64 v[79:80], v[79:80], v[93:94], v[87:88]
	v_fma_f64 v[77:78], v[77:78], v[93:94], -v[95:96]
	v_add_f64_e32 v[6:7], v[6:7], v[111:112]
	v_add_f64_e32 v[2:3], v[2:3], v[85:86]
	s_wait_loadcnt_dscnt 0x501
	v_mul_f64_e32 v[85:86], v[73:74], v[103:104]
	v_mul_f64_e32 v[91:92], v[75:76], v[103:104]
	s_delay_alu instid0(VALU_DEP_4) | instskip(NEXT) | instid1(VALU_DEP_4)
	v_add_f64_e32 v[6:7], v[6:7], v[109:110]
	v_add_f64_e32 v[2:3], v[2:3], v[89:90]
	s_delay_alu instid0(VALU_DEP_4) | instskip(NEXT) | instid1(VALU_DEP_4)
	v_fma_f64 v[85:86], v[75:76], v[101:102], v[85:86]
	v_fma_f64 v[89:90], v[73:74], v[101:102], -v[91:92]
	s_wait_loadcnt_dscnt 0x300
	v_mul_f64_e32 v[87:88], v[81:82], v[10:11]
	v_mul_f64_e32 v[10:11], v[83:84], v[10:11]
	v_add_f64_e32 v[6:7], v[6:7], v[79:80]
	v_add_f64_e32 v[2:3], v[2:3], v[77:78]
	ds_load_b128 v[73:76], v1 offset:848
	ds_load_b128 v[77:80], v1 offset:864
	v_fma_f64 v[83:84], v[83:84], v[8:9], v[87:88]
	v_fma_f64 v[8:9], v[81:82], v[8:9], -v[10:11]
	s_wait_loadcnt_dscnt 0x201
	v_mul_f64_e32 v[91:92], v[73:74], v[115:116]
	v_mul_f64_e32 v[93:94], v[75:76], v[115:116]
	v_add_f64_e32 v[6:7], v[6:7], v[85:86]
	v_add_f64_e32 v[2:3], v[2:3], v[89:90]
	s_wait_loadcnt_dscnt 0x100
	v_mul_f64_e32 v[10:11], v[77:78], v[71:72]
	v_mul_f64_e32 v[71:72], v[79:80], v[71:72]
	v_fma_f64 v[75:76], v[75:76], v[113:114], v[91:92]
	v_fma_f64 v[73:74], v[73:74], v[113:114], -v[93:94]
	v_add_f64_e32 v[81:82], v[6:7], v[83:84]
	v_add_f64_e32 v[2:3], v[2:3], v[8:9]
	ds_load_b128 v[6:9], v1 offset:880
	v_fma_f64 v[10:11], v[79:80], v[69:70], v[10:11]
	v_fma_f64 v[69:70], v[77:78], v[69:70], -v[71:72]
	s_wait_loadcnt_dscnt 0x0
	v_mul_f64_e32 v[83:84], v[6:7], v[99:100]
	v_mul_f64_e32 v[85:86], v[8:9], v[99:100]
	v_add_f64_e32 v[71:72], v[81:82], v[75:76]
	v_add_f64_e32 v[2:3], v[2:3], v[73:74]
	s_delay_alu instid0(VALU_DEP_4) | instskip(NEXT) | instid1(VALU_DEP_4)
	v_fma_f64 v[8:9], v[8:9], v[97:98], v[83:84]
	v_fma_f64 v[6:7], v[6:7], v[97:98], -v[85:86]
	s_delay_alu instid0(VALU_DEP_4) | instskip(NEXT) | instid1(VALU_DEP_4)
	v_add_f64_e32 v[10:11], v[71:72], v[10:11]
	v_add_f64_e32 v[2:3], v[2:3], v[69:70]
	s_delay_alu instid0(VALU_DEP_2) | instskip(NEXT) | instid1(VALU_DEP_2)
	v_add_f64_e32 v[8:9], v[10:11], v[8:9]
	v_add_f64_e32 v[2:3], v[2:3], v[6:7]
	s_delay_alu instid0(VALU_DEP_2) | instskip(NEXT) | instid1(VALU_DEP_2)
	v_add_f64_e64 v[8:9], v[107:108], -v[8:9]
	v_add_f64_e64 v[6:7], v[105:106], -v[2:3]
	scratch_store_b128 off, v[6:9], off offset:240
	v_cmpx_lt_u32_e32 13, v0
	s_cbranch_execz .LBB91_155
; %bb.154:
	scratch_load_b128 v[6:9], off, s13
	v_dual_mov_b32 v2, v1 :: v_dual_mov_b32 v3, v1
	v_mov_b32_e32 v4, v1
	scratch_store_b128 off, v[1:4], off offset:224
	s_wait_loadcnt 0x0
	ds_store_b128 v5, v[6:9]
.LBB91_155:
	s_wait_alu 0xfffe
	s_or_b32 exec_lo, exec_lo, s0
	s_wait_storecnt_dscnt 0x0
	s_barrier_signal -1
	s_barrier_wait -1
	global_inv scope:SCOPE_SE
	s_clause 0x8
	scratch_load_b128 v[6:9], off, off offset:240
	scratch_load_b128 v[69:72], off, off offset:256
	;; [unrolled: 1-line block ×9, first 2 shown]
	ds_load_b128 v[101:104], v1 offset:672
	ds_load_b128 v[105:108], v1 offset:688
	scratch_load_b128 v[109:112], off, off offset:224
	s_mov_b32 s0, exec_lo
	ds_load_b128 v[117:120], v1 offset:720
	s_wait_loadcnt_dscnt 0x902
	v_mul_f64_e32 v[2:3], v[103:104], v[8:9]
	v_mul_f64_e32 v[113:114], v[101:102], v[8:9]
	scratch_load_b128 v[8:11], off, off offset:384
	s_wait_loadcnt_dscnt 0x901
	v_mul_f64_e32 v[121:122], v[105:106], v[71:72]
	v_mul_f64_e32 v[71:72], v[107:108], v[71:72]
	v_fma_f64 v[2:3], v[101:102], v[6:7], -v[2:3]
	v_fma_f64 v[6:7], v[103:104], v[6:7], v[113:114]
	ds_load_b128 v[101:104], v1 offset:704
	scratch_load_b128 v[113:116], off, off offset:400
	v_fma_f64 v[107:108], v[107:108], v[69:70], v[121:122]
	v_fma_f64 v[105:106], v[105:106], v[69:70], -v[71:72]
	scratch_load_b128 v[69:72], off, off offset:416
	s_wait_loadcnt_dscnt 0x901
	v_mul_f64_e32 v[121:122], v[117:118], v[79:80]
	v_mul_f64_e32 v[79:80], v[119:120], v[79:80]
	s_wait_dscnt 0x0
	v_mul_f64_e32 v[123:124], v[101:102], v[75:76]
	v_mul_f64_e32 v[75:76], v[103:104], v[75:76]
	v_add_f64_e32 v[2:3], 0, v[2:3]
	v_add_f64_e32 v[6:7], 0, v[6:7]
	v_fma_f64 v[119:120], v[119:120], v[77:78], v[121:122]
	v_fma_f64 v[117:118], v[117:118], v[77:78], -v[79:80]
	scratch_load_b128 v[77:80], off, off offset:448
	v_fma_f64 v[123:124], v[103:104], v[73:74], v[123:124]
	v_fma_f64 v[125:126], v[101:102], v[73:74], -v[75:76]
	ds_load_b128 v[73:76], v1 offset:736
	scratch_load_b128 v[101:104], off, off offset:432
	v_add_f64_e32 v[2:3], v[2:3], v[105:106]
	v_add_f64_e32 v[6:7], v[6:7], v[107:108]
	ds_load_b128 v[105:108], v1 offset:752
	s_wait_loadcnt_dscnt 0xa01
	v_mul_f64_e32 v[127:128], v[73:74], v[83:84]
	v_mul_f64_e32 v[83:84], v[75:76], v[83:84]
	s_wait_loadcnt_dscnt 0x900
	v_mul_f64_e32 v[121:122], v[105:106], v[87:88]
	v_mul_f64_e32 v[87:88], v[107:108], v[87:88]
	v_add_f64_e32 v[2:3], v[2:3], v[125:126]
	v_add_f64_e32 v[6:7], v[6:7], v[123:124]
	v_fma_f64 v[123:124], v[75:76], v[81:82], v[127:128]
	v_fma_f64 v[125:126], v[73:74], v[81:82], -v[83:84]
	ds_load_b128 v[73:76], v1 offset:768
	ds_load_b128 v[81:84], v1 offset:784
	v_fma_f64 v[107:108], v[107:108], v[85:86], v[121:122]
	v_fma_f64 v[85:86], v[105:106], v[85:86], -v[87:88]
	s_wait_loadcnt_dscnt 0x700
	v_mul_f64_e32 v[105:106], v[81:82], v[95:96]
	v_mul_f64_e32 v[95:96], v[83:84], v[95:96]
	v_add_f64_e32 v[2:3], v[2:3], v[117:118]
	v_add_f64_e32 v[6:7], v[6:7], v[119:120]
	v_mul_f64_e32 v[117:118], v[73:74], v[91:92]
	v_mul_f64_e32 v[91:92], v[75:76], v[91:92]
	v_fma_f64 v[83:84], v[83:84], v[93:94], v[105:106]
	v_fma_f64 v[81:82], v[81:82], v[93:94], -v[95:96]
	v_add_f64_e32 v[2:3], v[2:3], v[125:126]
	v_add_f64_e32 v[6:7], v[6:7], v[123:124]
	v_fma_f64 v[117:118], v[75:76], v[89:90], v[117:118]
	v_fma_f64 v[89:90], v[73:74], v[89:90], -v[91:92]
	s_delay_alu instid0(VALU_DEP_4) | instskip(NEXT) | instid1(VALU_DEP_4)
	v_add_f64_e32 v[2:3], v[2:3], v[85:86]
	v_add_f64_e32 v[6:7], v[6:7], v[107:108]
	ds_load_b128 v[73:76], v1 offset:800
	ds_load_b128 v[85:88], v1 offset:816
	s_wait_loadcnt_dscnt 0x601
	v_mul_f64_e32 v[91:92], v[73:74], v[99:100]
	v_mul_f64_e32 v[99:100], v[75:76], v[99:100]
	v_add_f64_e32 v[2:3], v[2:3], v[89:90]
	v_add_f64_e32 v[6:7], v[6:7], v[117:118]
	s_wait_loadcnt_dscnt 0x400
	v_mul_f64_e32 v[89:90], v[85:86], v[10:11]
	v_mul_f64_e32 v[10:11], v[87:88], v[10:11]
	v_fma_f64 v[91:92], v[75:76], v[97:98], v[91:92]
	v_fma_f64 v[93:94], v[73:74], v[97:98], -v[99:100]
	v_add_f64_e32 v[2:3], v[2:3], v[81:82]
	v_add_f64_e32 v[6:7], v[6:7], v[83:84]
	ds_load_b128 v[73:76], v1 offset:832
	ds_load_b128 v[81:84], v1 offset:848
	v_fma_f64 v[87:88], v[87:88], v[8:9], v[89:90]
	v_fma_f64 v[8:9], v[85:86], v[8:9], -v[10:11]
	s_wait_loadcnt_dscnt 0x301
	v_mul_f64_e32 v[95:96], v[73:74], v[115:116]
	v_mul_f64_e32 v[97:98], v[75:76], v[115:116]
	s_wait_loadcnt_dscnt 0x200
	v_mul_f64_e32 v[10:11], v[81:82], v[71:72]
	v_mul_f64_e32 v[71:72], v[83:84], v[71:72]
	v_add_f64_e32 v[2:3], v[2:3], v[93:94]
	v_add_f64_e32 v[6:7], v[6:7], v[91:92]
	v_fma_f64 v[75:76], v[75:76], v[113:114], v[95:96]
	v_fma_f64 v[73:74], v[73:74], v[113:114], -v[97:98]
	v_fma_f64 v[10:11], v[83:84], v[69:70], v[10:11]
	v_fma_f64 v[69:70], v[81:82], v[69:70], -v[71:72]
	v_add_f64_e32 v[85:86], v[2:3], v[8:9]
	v_add_f64_e32 v[87:88], v[6:7], v[87:88]
	ds_load_b128 v[6:9], v1 offset:864
	ds_load_b128 v[1:4], v1 offset:880
	s_wait_loadcnt_dscnt 0x1
	v_mul_f64_e32 v[89:90], v[6:7], v[103:104]
	v_mul_f64_e32 v[91:92], v[8:9], v[103:104]
	v_add_f64_e32 v[71:72], v[85:86], v[73:74]
	v_add_f64_e32 v[73:74], v[87:88], v[75:76]
	s_wait_dscnt 0x0
	v_mul_f64_e32 v[75:76], v[1:2], v[79:80]
	v_mul_f64_e32 v[79:80], v[3:4], v[79:80]
	v_fma_f64 v[8:9], v[8:9], v[101:102], v[89:90]
	v_fma_f64 v[6:7], v[6:7], v[101:102], -v[91:92]
	v_add_f64_e32 v[69:70], v[71:72], v[69:70]
	v_add_f64_e32 v[10:11], v[73:74], v[10:11]
	v_fma_f64 v[3:4], v[3:4], v[77:78], v[75:76]
	v_fma_f64 v[1:2], v[1:2], v[77:78], -v[79:80]
	s_delay_alu instid0(VALU_DEP_4) | instskip(NEXT) | instid1(VALU_DEP_4)
	v_add_f64_e32 v[6:7], v[69:70], v[6:7]
	v_add_f64_e32 v[8:9], v[10:11], v[8:9]
	s_delay_alu instid0(VALU_DEP_2) | instskip(NEXT) | instid1(VALU_DEP_2)
	v_add_f64_e32 v[1:2], v[6:7], v[1:2]
	v_add_f64_e32 v[3:4], v[8:9], v[3:4]
	s_delay_alu instid0(VALU_DEP_2) | instskip(NEXT) | instid1(VALU_DEP_2)
	v_add_f64_e64 v[1:2], v[109:110], -v[1:2]
	v_add_f64_e64 v[3:4], v[111:112], -v[3:4]
	scratch_store_b128 off, v[1:4], off offset:224
	v_cmpx_lt_u32_e32 12, v0
	s_cbranch_execz .LBB91_157
; %bb.156:
	scratch_load_b128 v[1:4], off, s26
	v_mov_b32_e32 v6, 0
	s_delay_alu instid0(VALU_DEP_1)
	v_dual_mov_b32 v7, v6 :: v_dual_mov_b32 v8, v6
	v_mov_b32_e32 v9, v6
	scratch_store_b128 off, v[6:9], off offset:208
	s_wait_loadcnt 0x0
	ds_store_b128 v5, v[1:4]
.LBB91_157:
	s_wait_alu 0xfffe
	s_or_b32 exec_lo, exec_lo, s0
	s_wait_storecnt_dscnt 0x0
	s_barrier_signal -1
	s_barrier_wait -1
	global_inv scope:SCOPE_SE
	s_clause 0x7
	scratch_load_b128 v[6:9], off, off offset:224
	scratch_load_b128 v[69:72], off, off offset:240
	scratch_load_b128 v[73:76], off, off offset:256
	scratch_load_b128 v[77:80], off, off offset:272
	scratch_load_b128 v[81:84], off, off offset:288
	scratch_load_b128 v[85:88], off, off offset:304
	scratch_load_b128 v[89:92], off, off offset:320
	scratch_load_b128 v[93:96], off, off offset:336
	v_mov_b32_e32 v1, 0
	s_mov_b32 s0, exec_lo
	ds_load_b128 v[97:100], v1 offset:656
	s_clause 0x1
	scratch_load_b128 v[101:104], off, off offset:352
	scratch_load_b128 v[105:108], off, off offset:208
	ds_load_b128 v[109:112], v1 offset:672
	ds_load_b128 v[117:120], v1 offset:704
	s_wait_loadcnt_dscnt 0x902
	v_mul_f64_e32 v[2:3], v[99:100], v[8:9]
	v_mul_f64_e32 v[113:114], v[97:98], v[8:9]
	scratch_load_b128 v[8:11], off, off offset:368
	v_fma_f64 v[2:3], v[97:98], v[6:7], -v[2:3]
	v_fma_f64 v[6:7], v[99:100], v[6:7], v[113:114]
	ds_load_b128 v[97:100], v1 offset:688
	s_wait_loadcnt_dscnt 0x902
	v_mul_f64_e32 v[121:122], v[109:110], v[71:72]
	v_mul_f64_e32 v[71:72], v[111:112], v[71:72]
	scratch_load_b128 v[113:116], off, off offset:384
	s_wait_loadcnt_dscnt 0x900
	v_mul_f64_e32 v[123:124], v[97:98], v[75:76]
	v_mul_f64_e32 v[75:76], v[99:100], v[75:76]
	v_add_f64_e32 v[2:3], 0, v[2:3]
	v_add_f64_e32 v[6:7], 0, v[6:7]
	v_fma_f64 v[111:112], v[111:112], v[69:70], v[121:122]
	v_fma_f64 v[109:110], v[109:110], v[69:70], -v[71:72]
	scratch_load_b128 v[69:72], off, off offset:400
	v_fma_f64 v[123:124], v[99:100], v[73:74], v[123:124]
	v_fma_f64 v[125:126], v[97:98], v[73:74], -v[75:76]
	ds_load_b128 v[73:76], v1 offset:720
	s_wait_loadcnt 0x9
	v_mul_f64_e32 v[121:122], v[117:118], v[79:80]
	v_mul_f64_e32 v[79:80], v[119:120], v[79:80]
	scratch_load_b128 v[97:100], off, off offset:416
	v_add_f64_e32 v[6:7], v[6:7], v[111:112]
	v_add_f64_e32 v[2:3], v[2:3], v[109:110]
	ds_load_b128 v[109:112], v1 offset:736
	s_wait_loadcnt_dscnt 0x901
	v_mul_f64_e32 v[127:128], v[73:74], v[83:84]
	v_mul_f64_e32 v[83:84], v[75:76], v[83:84]
	v_fma_f64 v[119:120], v[119:120], v[77:78], v[121:122]
	v_fma_f64 v[117:118], v[117:118], v[77:78], -v[79:80]
	scratch_load_b128 v[77:80], off, off offset:432
	v_add_f64_e32 v[6:7], v[6:7], v[123:124]
	v_add_f64_e32 v[2:3], v[2:3], v[125:126]
	v_fma_f64 v[123:124], v[75:76], v[81:82], v[127:128]
	v_fma_f64 v[125:126], v[73:74], v[81:82], -v[83:84]
	ds_load_b128 v[73:76], v1 offset:752
	s_wait_loadcnt_dscnt 0x901
	v_mul_f64_e32 v[121:122], v[109:110], v[87:88]
	v_mul_f64_e32 v[87:88], v[111:112], v[87:88]
	scratch_load_b128 v[81:84], off, off offset:448
	s_wait_loadcnt_dscnt 0x900
	v_mul_f64_e32 v[127:128], v[73:74], v[91:92]
	v_mul_f64_e32 v[91:92], v[75:76], v[91:92]
	v_add_f64_e32 v[6:7], v[6:7], v[119:120]
	v_add_f64_e32 v[2:3], v[2:3], v[117:118]
	ds_load_b128 v[117:120], v1 offset:768
	v_fma_f64 v[111:112], v[111:112], v[85:86], v[121:122]
	v_fma_f64 v[85:86], v[109:110], v[85:86], -v[87:88]
	s_wait_loadcnt_dscnt 0x800
	v_mul_f64_e32 v[109:110], v[117:118], v[95:96]
	v_mul_f64_e32 v[95:96], v[119:120], v[95:96]
	v_fma_f64 v[121:122], v[75:76], v[89:90], v[127:128]
	v_fma_f64 v[89:90], v[73:74], v[89:90], -v[91:92]
	v_add_f64_e32 v[6:7], v[6:7], v[123:124]
	v_add_f64_e32 v[2:3], v[2:3], v[125:126]
	v_fma_f64 v[109:110], v[119:120], v[93:94], v[109:110]
	v_fma_f64 v[93:94], v[117:118], v[93:94], -v[95:96]
	s_delay_alu instid0(VALU_DEP_4) | instskip(NEXT) | instid1(VALU_DEP_4)
	v_add_f64_e32 v[6:7], v[6:7], v[111:112]
	v_add_f64_e32 v[2:3], v[2:3], v[85:86]
	ds_load_b128 v[73:76], v1 offset:784
	ds_load_b128 v[85:88], v1 offset:800
	s_wait_loadcnt_dscnt 0x701
	v_mul_f64_e32 v[91:92], v[73:74], v[103:104]
	v_mul_f64_e32 v[103:104], v[75:76], v[103:104]
	v_add_f64_e32 v[6:7], v[6:7], v[121:122]
	v_add_f64_e32 v[2:3], v[2:3], v[89:90]
	s_wait_loadcnt_dscnt 0x500
	v_mul_f64_e32 v[95:96], v[85:86], v[10:11]
	v_mul_f64_e32 v[10:11], v[87:88], v[10:11]
	v_fma_f64 v[111:112], v[75:76], v[101:102], v[91:92]
	v_fma_f64 v[101:102], v[73:74], v[101:102], -v[103:104]
	ds_load_b128 v[73:76], v1 offset:816
	ds_load_b128 v[89:92], v1 offset:832
	v_add_f64_e32 v[6:7], v[6:7], v[109:110]
	v_add_f64_e32 v[2:3], v[2:3], v[93:94]
	v_fma_f64 v[87:88], v[87:88], v[8:9], v[95:96]
	v_fma_f64 v[8:9], v[85:86], v[8:9], -v[10:11]
	s_wait_loadcnt_dscnt 0x401
	v_mul_f64_e32 v[93:94], v[73:74], v[115:116]
	v_mul_f64_e32 v[103:104], v[75:76], v[115:116]
	v_add_f64_e32 v[6:7], v[6:7], v[111:112]
	v_add_f64_e32 v[2:3], v[2:3], v[101:102]
	s_wait_loadcnt_dscnt 0x300
	v_mul_f64_e32 v[10:11], v[89:90], v[71:72]
	v_mul_f64_e32 v[85:86], v[91:92], v[71:72]
	v_fma_f64 v[75:76], v[75:76], v[113:114], v[93:94]
	v_fma_f64 v[93:94], v[73:74], v[113:114], -v[103:104]
	v_add_f64_e32 v[87:88], v[6:7], v[87:88]
	v_add_f64_e32 v[2:3], v[2:3], v[8:9]
	ds_load_b128 v[6:9], v1 offset:848
	ds_load_b128 v[71:74], v1 offset:864
	v_fma_f64 v[10:11], v[91:92], v[69:70], v[10:11]
	v_fma_f64 v[69:70], v[89:90], v[69:70], -v[85:86]
	s_wait_loadcnt_dscnt 0x201
	v_mul_f64_e32 v[95:96], v[6:7], v[99:100]
	v_mul_f64_e32 v[99:100], v[8:9], v[99:100]
	v_add_f64_e32 v[75:76], v[87:88], v[75:76]
	v_add_f64_e32 v[2:3], v[2:3], v[93:94]
	s_wait_loadcnt_dscnt 0x100
	v_mul_f64_e32 v[85:86], v[71:72], v[79:80]
	v_mul_f64_e32 v[79:80], v[73:74], v[79:80]
	v_fma_f64 v[87:88], v[8:9], v[97:98], v[95:96]
	v_fma_f64 v[89:90], v[6:7], v[97:98], -v[99:100]
	ds_load_b128 v[6:9], v1 offset:880
	v_add_f64_e32 v[10:11], v[75:76], v[10:11]
	v_add_f64_e32 v[2:3], v[2:3], v[69:70]
	v_fma_f64 v[73:74], v[73:74], v[77:78], v[85:86]
	v_fma_f64 v[71:72], v[71:72], v[77:78], -v[79:80]
	s_wait_loadcnt_dscnt 0x0
	v_mul_f64_e32 v[69:70], v[6:7], v[83:84]
	v_mul_f64_e32 v[75:76], v[8:9], v[83:84]
	v_add_f64_e32 v[10:11], v[10:11], v[87:88]
	v_add_f64_e32 v[2:3], v[2:3], v[89:90]
	s_delay_alu instid0(VALU_DEP_4) | instskip(NEXT) | instid1(VALU_DEP_4)
	v_fma_f64 v[8:9], v[8:9], v[81:82], v[69:70]
	v_fma_f64 v[6:7], v[6:7], v[81:82], -v[75:76]
	s_delay_alu instid0(VALU_DEP_4) | instskip(NEXT) | instid1(VALU_DEP_4)
	v_add_f64_e32 v[10:11], v[10:11], v[73:74]
	v_add_f64_e32 v[2:3], v[2:3], v[71:72]
	s_delay_alu instid0(VALU_DEP_2) | instskip(NEXT) | instid1(VALU_DEP_2)
	v_add_f64_e32 v[8:9], v[10:11], v[8:9]
	v_add_f64_e32 v[2:3], v[2:3], v[6:7]
	s_delay_alu instid0(VALU_DEP_2) | instskip(NEXT) | instid1(VALU_DEP_2)
	v_add_f64_e64 v[8:9], v[107:108], -v[8:9]
	v_add_f64_e64 v[6:7], v[105:106], -v[2:3]
	scratch_store_b128 off, v[6:9], off offset:208
	v_cmpx_lt_u32_e32 11, v0
	s_cbranch_execz .LBB91_159
; %bb.158:
	scratch_load_b128 v[6:9], off, s11
	v_dual_mov_b32 v2, v1 :: v_dual_mov_b32 v3, v1
	v_mov_b32_e32 v4, v1
	scratch_store_b128 off, v[1:4], off offset:192
	s_wait_loadcnt 0x0
	ds_store_b128 v5, v[6:9]
.LBB91_159:
	s_wait_alu 0xfffe
	s_or_b32 exec_lo, exec_lo, s0
	s_wait_storecnt_dscnt 0x0
	s_barrier_signal -1
	s_barrier_wait -1
	global_inv scope:SCOPE_SE
	s_clause 0x8
	scratch_load_b128 v[6:9], off, off offset:208
	scratch_load_b128 v[69:72], off, off offset:224
	;; [unrolled: 1-line block ×9, first 2 shown]
	ds_load_b128 v[101:104], v1 offset:640
	ds_load_b128 v[105:108], v1 offset:656
	scratch_load_b128 v[109:112], off, off offset:192
	s_mov_b32 s0, exec_lo
	ds_load_b128 v[117:120], v1 offset:688
	s_wait_loadcnt_dscnt 0x902
	v_mul_f64_e32 v[2:3], v[103:104], v[8:9]
	v_mul_f64_e32 v[113:114], v[101:102], v[8:9]
	scratch_load_b128 v[8:11], off, off offset:352
	s_wait_loadcnt_dscnt 0x901
	v_mul_f64_e32 v[121:122], v[105:106], v[71:72]
	v_mul_f64_e32 v[71:72], v[107:108], v[71:72]
	v_fma_f64 v[2:3], v[101:102], v[6:7], -v[2:3]
	v_fma_f64 v[6:7], v[103:104], v[6:7], v[113:114]
	ds_load_b128 v[101:104], v1 offset:672
	scratch_load_b128 v[113:116], off, off offset:368
	v_fma_f64 v[107:108], v[107:108], v[69:70], v[121:122]
	v_fma_f64 v[105:106], v[105:106], v[69:70], -v[71:72]
	scratch_load_b128 v[69:72], off, off offset:384
	s_wait_loadcnt_dscnt 0x901
	v_mul_f64_e32 v[121:122], v[117:118], v[79:80]
	v_mul_f64_e32 v[79:80], v[119:120], v[79:80]
	s_wait_dscnt 0x0
	v_mul_f64_e32 v[123:124], v[101:102], v[75:76]
	v_mul_f64_e32 v[75:76], v[103:104], v[75:76]
	v_add_f64_e32 v[2:3], 0, v[2:3]
	v_add_f64_e32 v[6:7], 0, v[6:7]
	v_fma_f64 v[119:120], v[119:120], v[77:78], v[121:122]
	v_fma_f64 v[117:118], v[117:118], v[77:78], -v[79:80]
	scratch_load_b128 v[77:80], off, off offset:416
	v_fma_f64 v[123:124], v[103:104], v[73:74], v[123:124]
	v_fma_f64 v[125:126], v[101:102], v[73:74], -v[75:76]
	ds_load_b128 v[73:76], v1 offset:704
	scratch_load_b128 v[101:104], off, off offset:400
	v_add_f64_e32 v[2:3], v[2:3], v[105:106]
	v_add_f64_e32 v[6:7], v[6:7], v[107:108]
	ds_load_b128 v[105:108], v1 offset:720
	s_wait_loadcnt_dscnt 0xa01
	v_mul_f64_e32 v[127:128], v[73:74], v[83:84]
	v_mul_f64_e32 v[83:84], v[75:76], v[83:84]
	s_wait_loadcnt_dscnt 0x900
	v_mul_f64_e32 v[121:122], v[105:106], v[87:88]
	v_mul_f64_e32 v[87:88], v[107:108], v[87:88]
	v_add_f64_e32 v[2:3], v[2:3], v[125:126]
	v_add_f64_e32 v[6:7], v[6:7], v[123:124]
	v_fma_f64 v[123:124], v[75:76], v[81:82], v[127:128]
	v_fma_f64 v[125:126], v[73:74], v[81:82], -v[83:84]
	ds_load_b128 v[73:76], v1 offset:736
	scratch_load_b128 v[81:84], off, off offset:432
	v_fma_f64 v[107:108], v[107:108], v[85:86], v[121:122]
	v_fma_f64 v[105:106], v[105:106], v[85:86], -v[87:88]
	scratch_load_b128 v[85:88], off, off offset:448
	v_add_f64_e32 v[2:3], v[2:3], v[117:118]
	v_add_f64_e32 v[6:7], v[6:7], v[119:120]
	ds_load_b128 v[117:120], v1 offset:752
	s_wait_loadcnt_dscnt 0xa01
	v_mul_f64_e32 v[127:128], v[73:74], v[91:92]
	v_mul_f64_e32 v[91:92], v[75:76], v[91:92]
	s_wait_loadcnt_dscnt 0x900
	v_mul_f64_e32 v[121:122], v[117:118], v[95:96]
	v_mul_f64_e32 v[95:96], v[119:120], v[95:96]
	v_add_f64_e32 v[2:3], v[2:3], v[125:126]
	v_add_f64_e32 v[6:7], v[6:7], v[123:124]
	v_fma_f64 v[123:124], v[75:76], v[89:90], v[127:128]
	v_fma_f64 v[125:126], v[73:74], v[89:90], -v[91:92]
	ds_load_b128 v[73:76], v1 offset:768
	ds_load_b128 v[89:92], v1 offset:784
	v_add_f64_e32 v[2:3], v[2:3], v[105:106]
	v_add_f64_e32 v[6:7], v[6:7], v[107:108]
	s_wait_loadcnt_dscnt 0x801
	v_mul_f64_e32 v[105:106], v[73:74], v[99:100]
	v_mul_f64_e32 v[99:100], v[75:76], v[99:100]
	v_fma_f64 v[107:108], v[119:120], v[93:94], v[121:122]
	v_fma_f64 v[93:94], v[117:118], v[93:94], -v[95:96]
	v_add_f64_e32 v[2:3], v[2:3], v[125:126]
	v_add_f64_e32 v[6:7], v[6:7], v[123:124]
	v_fma_f64 v[105:106], v[75:76], v[97:98], v[105:106]
	v_fma_f64 v[97:98], v[73:74], v[97:98], -v[99:100]
	s_wait_loadcnt_dscnt 0x600
	v_mul_f64_e32 v[117:118], v[89:90], v[10:11]
	v_mul_f64_e32 v[10:11], v[91:92], v[10:11]
	v_add_f64_e32 v[2:3], v[2:3], v[93:94]
	v_add_f64_e32 v[6:7], v[6:7], v[107:108]
	ds_load_b128 v[73:76], v1 offset:800
	ds_load_b128 v[93:96], v1 offset:816
	v_fma_f64 v[91:92], v[91:92], v[8:9], v[117:118]
	v_fma_f64 v[8:9], v[89:90], v[8:9], -v[10:11]
	s_wait_loadcnt_dscnt 0x501
	v_mul_f64_e32 v[99:100], v[73:74], v[115:116]
	v_mul_f64_e32 v[107:108], v[75:76], v[115:116]
	s_wait_loadcnt_dscnt 0x400
	v_mul_f64_e32 v[10:11], v[93:94], v[71:72]
	v_mul_f64_e32 v[89:90], v[95:96], v[71:72]
	v_add_f64_e32 v[2:3], v[2:3], v[97:98]
	v_add_f64_e32 v[6:7], v[6:7], v[105:106]
	v_fma_f64 v[75:76], v[75:76], v[113:114], v[99:100]
	v_fma_f64 v[97:98], v[73:74], v[113:114], -v[107:108]
	v_fma_f64 v[10:11], v[95:96], v[69:70], v[10:11]
	v_fma_f64 v[69:70], v[93:94], v[69:70], -v[89:90]
	v_add_f64_e32 v[2:3], v[2:3], v[8:9]
	v_add_f64_e32 v[91:92], v[6:7], v[91:92]
	ds_load_b128 v[6:9], v1 offset:832
	ds_load_b128 v[71:74], v1 offset:848
	s_wait_loadcnt_dscnt 0x201
	v_mul_f64_e32 v[99:100], v[6:7], v[103:104]
	v_mul_f64_e32 v[103:104], v[8:9], v[103:104]
	s_wait_dscnt 0x0
	v_mul_f64_e32 v[89:90], v[71:72], v[79:80]
	v_mul_f64_e32 v[79:80], v[73:74], v[79:80]
	v_add_f64_e32 v[2:3], v[2:3], v[97:98]
	v_add_f64_e32 v[75:76], v[91:92], v[75:76]
	v_fma_f64 v[91:92], v[8:9], v[101:102], v[99:100]
	v_fma_f64 v[93:94], v[6:7], v[101:102], -v[103:104]
	v_fma_f64 v[73:74], v[73:74], v[77:78], v[89:90]
	v_fma_f64 v[71:72], v[71:72], v[77:78], -v[79:80]
	v_add_f64_e32 v[69:70], v[2:3], v[69:70]
	v_add_f64_e32 v[10:11], v[75:76], v[10:11]
	ds_load_b128 v[6:9], v1 offset:864
	ds_load_b128 v[1:4], v1 offset:880
	s_wait_loadcnt_dscnt 0x101
	v_mul_f64_e32 v[75:76], v[6:7], v[83:84]
	v_mul_f64_e32 v[83:84], v[8:9], v[83:84]
	s_wait_loadcnt_dscnt 0x0
	v_mul_f64_e32 v[77:78], v[1:2], v[87:88]
	v_mul_f64_e32 v[79:80], v[3:4], v[87:88]
	v_add_f64_e32 v[69:70], v[69:70], v[93:94]
	v_add_f64_e32 v[10:11], v[10:11], v[91:92]
	v_fma_f64 v[8:9], v[8:9], v[81:82], v[75:76]
	v_fma_f64 v[6:7], v[6:7], v[81:82], -v[83:84]
	v_fma_f64 v[3:4], v[3:4], v[85:86], v[77:78]
	v_fma_f64 v[1:2], v[1:2], v[85:86], -v[79:80]
	v_add_f64_e32 v[69:70], v[69:70], v[71:72]
	v_add_f64_e32 v[10:11], v[10:11], v[73:74]
	s_delay_alu instid0(VALU_DEP_2) | instskip(NEXT) | instid1(VALU_DEP_2)
	v_add_f64_e32 v[6:7], v[69:70], v[6:7]
	v_add_f64_e32 v[8:9], v[10:11], v[8:9]
	s_delay_alu instid0(VALU_DEP_2) | instskip(NEXT) | instid1(VALU_DEP_2)
	;; [unrolled: 3-line block ×3, first 2 shown]
	v_add_f64_e64 v[1:2], v[109:110], -v[1:2]
	v_add_f64_e64 v[3:4], v[111:112], -v[3:4]
	scratch_store_b128 off, v[1:4], off offset:192
	v_cmpx_lt_u32_e32 10, v0
	s_cbranch_execz .LBB91_161
; %bb.160:
	scratch_load_b128 v[1:4], off, s25
	v_mov_b32_e32 v6, 0
	s_delay_alu instid0(VALU_DEP_1)
	v_dual_mov_b32 v7, v6 :: v_dual_mov_b32 v8, v6
	v_mov_b32_e32 v9, v6
	scratch_store_b128 off, v[6:9], off offset:176
	s_wait_loadcnt 0x0
	ds_store_b128 v5, v[1:4]
.LBB91_161:
	s_wait_alu 0xfffe
	s_or_b32 exec_lo, exec_lo, s0
	s_wait_storecnt_dscnt 0x0
	s_barrier_signal -1
	s_barrier_wait -1
	global_inv scope:SCOPE_SE
	s_clause 0x7
	scratch_load_b128 v[6:9], off, off offset:192
	scratch_load_b128 v[69:72], off, off offset:208
	;; [unrolled: 1-line block ×8, first 2 shown]
	v_mov_b32_e32 v1, 0
	s_mov_b32 s0, exec_lo
	ds_load_b128 v[97:100], v1 offset:624
	s_clause 0x1
	scratch_load_b128 v[101:104], off, off offset:320
	scratch_load_b128 v[105:108], off, off offset:176
	ds_load_b128 v[109:112], v1 offset:640
	ds_load_b128 v[117:120], v1 offset:672
	s_wait_loadcnt_dscnt 0x902
	v_mul_f64_e32 v[2:3], v[99:100], v[8:9]
	v_mul_f64_e32 v[113:114], v[97:98], v[8:9]
	scratch_load_b128 v[8:11], off, off offset:336
	v_fma_f64 v[2:3], v[97:98], v[6:7], -v[2:3]
	v_fma_f64 v[6:7], v[99:100], v[6:7], v[113:114]
	ds_load_b128 v[97:100], v1 offset:656
	s_wait_loadcnt_dscnt 0x902
	v_mul_f64_e32 v[121:122], v[109:110], v[71:72]
	v_mul_f64_e32 v[71:72], v[111:112], v[71:72]
	scratch_load_b128 v[113:116], off, off offset:352
	s_wait_loadcnt_dscnt 0x900
	v_mul_f64_e32 v[123:124], v[97:98], v[75:76]
	v_mul_f64_e32 v[75:76], v[99:100], v[75:76]
	v_add_f64_e32 v[2:3], 0, v[2:3]
	v_add_f64_e32 v[6:7], 0, v[6:7]
	v_fma_f64 v[111:112], v[111:112], v[69:70], v[121:122]
	v_fma_f64 v[109:110], v[109:110], v[69:70], -v[71:72]
	scratch_load_b128 v[69:72], off, off offset:368
	v_fma_f64 v[123:124], v[99:100], v[73:74], v[123:124]
	v_fma_f64 v[125:126], v[97:98], v[73:74], -v[75:76]
	ds_load_b128 v[73:76], v1 offset:688
	s_wait_loadcnt 0x9
	v_mul_f64_e32 v[121:122], v[117:118], v[79:80]
	v_mul_f64_e32 v[79:80], v[119:120], v[79:80]
	scratch_load_b128 v[97:100], off, off offset:384
	v_add_f64_e32 v[6:7], v[6:7], v[111:112]
	v_add_f64_e32 v[2:3], v[2:3], v[109:110]
	ds_load_b128 v[109:112], v1 offset:704
	s_wait_loadcnt_dscnt 0x901
	v_mul_f64_e32 v[127:128], v[73:74], v[83:84]
	v_mul_f64_e32 v[83:84], v[75:76], v[83:84]
	v_fma_f64 v[119:120], v[119:120], v[77:78], v[121:122]
	v_fma_f64 v[117:118], v[117:118], v[77:78], -v[79:80]
	scratch_load_b128 v[77:80], off, off offset:400
	v_add_f64_e32 v[6:7], v[6:7], v[123:124]
	v_add_f64_e32 v[2:3], v[2:3], v[125:126]
	v_fma_f64 v[123:124], v[75:76], v[81:82], v[127:128]
	v_fma_f64 v[125:126], v[73:74], v[81:82], -v[83:84]
	ds_load_b128 v[73:76], v1 offset:720
	s_wait_loadcnt_dscnt 0x901
	v_mul_f64_e32 v[121:122], v[109:110], v[87:88]
	v_mul_f64_e32 v[87:88], v[111:112], v[87:88]
	scratch_load_b128 v[81:84], off, off offset:416
	s_wait_loadcnt_dscnt 0x900
	v_mul_f64_e32 v[127:128], v[73:74], v[91:92]
	v_mul_f64_e32 v[91:92], v[75:76], v[91:92]
	v_add_f64_e32 v[6:7], v[6:7], v[119:120]
	v_add_f64_e32 v[2:3], v[2:3], v[117:118]
	ds_load_b128 v[117:120], v1 offset:736
	v_fma_f64 v[111:112], v[111:112], v[85:86], v[121:122]
	v_fma_f64 v[109:110], v[109:110], v[85:86], -v[87:88]
	scratch_load_b128 v[85:88], off, off offset:432
	v_add_f64_e32 v[6:7], v[6:7], v[123:124]
	v_add_f64_e32 v[2:3], v[2:3], v[125:126]
	v_fma_f64 v[123:124], v[75:76], v[89:90], v[127:128]
	v_fma_f64 v[125:126], v[73:74], v[89:90], -v[91:92]
	ds_load_b128 v[73:76], v1 offset:752
	s_wait_loadcnt_dscnt 0x901
	v_mul_f64_e32 v[121:122], v[117:118], v[95:96]
	v_mul_f64_e32 v[95:96], v[119:120], v[95:96]
	scratch_load_b128 v[89:92], off, off offset:448
	s_wait_loadcnt_dscnt 0x900
	v_mul_f64_e32 v[127:128], v[73:74], v[103:104]
	v_mul_f64_e32 v[103:104], v[75:76], v[103:104]
	v_add_f64_e32 v[6:7], v[6:7], v[111:112]
	v_add_f64_e32 v[2:3], v[2:3], v[109:110]
	ds_load_b128 v[109:112], v1 offset:768
	v_fma_f64 v[119:120], v[119:120], v[93:94], v[121:122]
	v_fma_f64 v[93:94], v[117:118], v[93:94], -v[95:96]
	v_fma_f64 v[121:122], v[75:76], v[101:102], v[127:128]
	v_fma_f64 v[101:102], v[73:74], v[101:102], -v[103:104]
	v_add_f64_e32 v[6:7], v[6:7], v[123:124]
	v_add_f64_e32 v[2:3], v[2:3], v[125:126]
	s_wait_loadcnt_dscnt 0x700
	v_mul_f64_e32 v[117:118], v[109:110], v[10:11]
	v_mul_f64_e32 v[10:11], v[111:112], v[10:11]
	s_delay_alu instid0(VALU_DEP_4) | instskip(NEXT) | instid1(VALU_DEP_4)
	v_add_f64_e32 v[6:7], v[6:7], v[119:120]
	v_add_f64_e32 v[2:3], v[2:3], v[93:94]
	ds_load_b128 v[73:76], v1 offset:784
	ds_load_b128 v[93:96], v1 offset:800
	v_fma_f64 v[111:112], v[111:112], v[8:9], v[117:118]
	v_fma_f64 v[8:9], v[109:110], v[8:9], -v[10:11]
	s_wait_loadcnt_dscnt 0x601
	v_mul_f64_e32 v[103:104], v[73:74], v[115:116]
	v_mul_f64_e32 v[115:116], v[75:76], v[115:116]
	v_add_f64_e32 v[6:7], v[6:7], v[121:122]
	v_add_f64_e32 v[2:3], v[2:3], v[101:102]
	s_wait_loadcnt_dscnt 0x500
	v_mul_f64_e32 v[10:11], v[93:94], v[71:72]
	v_mul_f64_e32 v[101:102], v[95:96], v[71:72]
	v_fma_f64 v[75:76], v[75:76], v[113:114], v[103:104]
	v_fma_f64 v[103:104], v[73:74], v[113:114], -v[115:116]
	v_add_f64_e32 v[109:110], v[6:7], v[111:112]
	v_add_f64_e32 v[2:3], v[2:3], v[8:9]
	ds_load_b128 v[6:9], v1 offset:816
	ds_load_b128 v[71:74], v1 offset:832
	v_fma_f64 v[10:11], v[95:96], v[69:70], v[10:11]
	v_fma_f64 v[69:70], v[93:94], v[69:70], -v[101:102]
	s_wait_loadcnt_dscnt 0x401
	v_mul_f64_e32 v[111:112], v[6:7], v[99:100]
	v_mul_f64_e32 v[99:100], v[8:9], v[99:100]
	v_add_f64_e32 v[75:76], v[109:110], v[75:76]
	v_add_f64_e32 v[2:3], v[2:3], v[103:104]
	s_wait_loadcnt_dscnt 0x300
	v_mul_f64_e32 v[101:102], v[71:72], v[79:80]
	v_mul_f64_e32 v[79:80], v[73:74], v[79:80]
	v_fma_f64 v[103:104], v[8:9], v[97:98], v[111:112]
	v_fma_f64 v[97:98], v[6:7], v[97:98], -v[99:100]
	ds_load_b128 v[6:9], v1 offset:848
	ds_load_b128 v[93:96], v1 offset:864
	v_add_f64_e32 v[10:11], v[75:76], v[10:11]
	v_add_f64_e32 v[2:3], v[2:3], v[69:70]
	v_fma_f64 v[73:74], v[73:74], v[77:78], v[101:102]
	v_fma_f64 v[71:72], v[71:72], v[77:78], -v[79:80]
	s_wait_loadcnt_dscnt 0x201
	v_mul_f64_e32 v[69:70], v[6:7], v[83:84]
	v_mul_f64_e32 v[75:76], v[8:9], v[83:84]
	s_wait_loadcnt_dscnt 0x100
	v_mul_f64_e32 v[77:78], v[93:94], v[87:88]
	v_mul_f64_e32 v[79:80], v[95:96], v[87:88]
	v_add_f64_e32 v[10:11], v[10:11], v[103:104]
	v_add_f64_e32 v[2:3], v[2:3], v[97:98]
	v_fma_f64 v[69:70], v[8:9], v[81:82], v[69:70]
	v_fma_f64 v[75:76], v[6:7], v[81:82], -v[75:76]
	ds_load_b128 v[6:9], v1 offset:880
	v_fma_f64 v[77:78], v[95:96], v[85:86], v[77:78]
	v_fma_f64 v[79:80], v[93:94], v[85:86], -v[79:80]
	v_add_f64_e32 v[10:11], v[10:11], v[73:74]
	v_add_f64_e32 v[2:3], v[2:3], v[71:72]
	s_wait_loadcnt_dscnt 0x0
	v_mul_f64_e32 v[71:72], v[6:7], v[91:92]
	v_mul_f64_e32 v[73:74], v[8:9], v[91:92]
	s_delay_alu instid0(VALU_DEP_4) | instskip(NEXT) | instid1(VALU_DEP_4)
	v_add_f64_e32 v[10:11], v[10:11], v[69:70]
	v_add_f64_e32 v[2:3], v[2:3], v[75:76]
	s_delay_alu instid0(VALU_DEP_4) | instskip(NEXT) | instid1(VALU_DEP_4)
	v_fma_f64 v[8:9], v[8:9], v[89:90], v[71:72]
	v_fma_f64 v[6:7], v[6:7], v[89:90], -v[73:74]
	s_delay_alu instid0(VALU_DEP_4) | instskip(NEXT) | instid1(VALU_DEP_4)
	v_add_f64_e32 v[10:11], v[10:11], v[77:78]
	v_add_f64_e32 v[2:3], v[2:3], v[79:80]
	s_delay_alu instid0(VALU_DEP_2) | instskip(NEXT) | instid1(VALU_DEP_2)
	v_add_f64_e32 v[8:9], v[10:11], v[8:9]
	v_add_f64_e32 v[2:3], v[2:3], v[6:7]
	s_delay_alu instid0(VALU_DEP_2) | instskip(NEXT) | instid1(VALU_DEP_2)
	v_add_f64_e64 v[8:9], v[107:108], -v[8:9]
	v_add_f64_e64 v[6:7], v[105:106], -v[2:3]
	scratch_store_b128 off, v[6:9], off offset:176
	v_cmpx_lt_u32_e32 9, v0
	s_cbranch_execz .LBB91_163
; %bb.162:
	scratch_load_b128 v[6:9], off, s10
	v_dual_mov_b32 v2, v1 :: v_dual_mov_b32 v3, v1
	v_mov_b32_e32 v4, v1
	scratch_store_b128 off, v[1:4], off offset:160
	s_wait_loadcnt 0x0
	ds_store_b128 v5, v[6:9]
.LBB91_163:
	s_wait_alu 0xfffe
	s_or_b32 exec_lo, exec_lo, s0
	s_wait_storecnt_dscnt 0x0
	s_barrier_signal -1
	s_barrier_wait -1
	global_inv scope:SCOPE_SE
	s_clause 0x8
	scratch_load_b128 v[6:9], off, off offset:176
	scratch_load_b128 v[69:72], off, off offset:192
	;; [unrolled: 1-line block ×9, first 2 shown]
	ds_load_b128 v[101:104], v1 offset:608
	ds_load_b128 v[105:108], v1 offset:624
	scratch_load_b128 v[109:112], off, off offset:160
	s_mov_b32 s0, exec_lo
	ds_load_b128 v[117:120], v1 offset:656
	s_wait_loadcnt_dscnt 0x902
	v_mul_f64_e32 v[2:3], v[103:104], v[8:9]
	v_mul_f64_e32 v[113:114], v[101:102], v[8:9]
	scratch_load_b128 v[8:11], off, off offset:320
	s_wait_loadcnt_dscnt 0x901
	v_mul_f64_e32 v[121:122], v[105:106], v[71:72]
	v_mul_f64_e32 v[71:72], v[107:108], v[71:72]
	v_fma_f64 v[2:3], v[101:102], v[6:7], -v[2:3]
	v_fma_f64 v[6:7], v[103:104], v[6:7], v[113:114]
	ds_load_b128 v[101:104], v1 offset:640
	scratch_load_b128 v[113:116], off, off offset:336
	v_fma_f64 v[107:108], v[107:108], v[69:70], v[121:122]
	v_fma_f64 v[105:106], v[105:106], v[69:70], -v[71:72]
	scratch_load_b128 v[69:72], off, off offset:352
	s_wait_loadcnt_dscnt 0x901
	v_mul_f64_e32 v[121:122], v[117:118], v[79:80]
	v_mul_f64_e32 v[79:80], v[119:120], v[79:80]
	s_wait_dscnt 0x0
	v_mul_f64_e32 v[123:124], v[101:102], v[75:76]
	v_mul_f64_e32 v[75:76], v[103:104], v[75:76]
	v_add_f64_e32 v[2:3], 0, v[2:3]
	v_add_f64_e32 v[6:7], 0, v[6:7]
	v_fma_f64 v[119:120], v[119:120], v[77:78], v[121:122]
	v_fma_f64 v[117:118], v[117:118], v[77:78], -v[79:80]
	scratch_load_b128 v[77:80], off, off offset:384
	v_fma_f64 v[123:124], v[103:104], v[73:74], v[123:124]
	v_fma_f64 v[125:126], v[101:102], v[73:74], -v[75:76]
	ds_load_b128 v[73:76], v1 offset:672
	scratch_load_b128 v[101:104], off, off offset:368
	v_add_f64_e32 v[2:3], v[2:3], v[105:106]
	v_add_f64_e32 v[6:7], v[6:7], v[107:108]
	ds_load_b128 v[105:108], v1 offset:688
	s_wait_loadcnt_dscnt 0xa01
	v_mul_f64_e32 v[127:128], v[73:74], v[83:84]
	v_mul_f64_e32 v[83:84], v[75:76], v[83:84]
	s_wait_loadcnt_dscnt 0x900
	v_mul_f64_e32 v[121:122], v[105:106], v[87:88]
	v_mul_f64_e32 v[87:88], v[107:108], v[87:88]
	v_add_f64_e32 v[2:3], v[2:3], v[125:126]
	v_add_f64_e32 v[6:7], v[6:7], v[123:124]
	v_fma_f64 v[123:124], v[75:76], v[81:82], v[127:128]
	v_fma_f64 v[125:126], v[73:74], v[81:82], -v[83:84]
	ds_load_b128 v[73:76], v1 offset:704
	scratch_load_b128 v[81:84], off, off offset:400
	v_fma_f64 v[107:108], v[107:108], v[85:86], v[121:122]
	v_fma_f64 v[105:106], v[105:106], v[85:86], -v[87:88]
	scratch_load_b128 v[85:88], off, off offset:416
	v_add_f64_e32 v[2:3], v[2:3], v[117:118]
	v_add_f64_e32 v[6:7], v[6:7], v[119:120]
	ds_load_b128 v[117:120], v1 offset:720
	s_wait_loadcnt_dscnt 0xa01
	v_mul_f64_e32 v[127:128], v[73:74], v[91:92]
	v_mul_f64_e32 v[91:92], v[75:76], v[91:92]
	s_wait_loadcnt_dscnt 0x900
	v_mul_f64_e32 v[121:122], v[117:118], v[95:96]
	v_mul_f64_e32 v[95:96], v[119:120], v[95:96]
	v_add_f64_e32 v[2:3], v[2:3], v[125:126]
	v_add_f64_e32 v[6:7], v[6:7], v[123:124]
	v_fma_f64 v[123:124], v[75:76], v[89:90], v[127:128]
	v_fma_f64 v[125:126], v[73:74], v[89:90], -v[91:92]
	ds_load_b128 v[73:76], v1 offset:736
	scratch_load_b128 v[89:92], off, off offset:432
	v_fma_f64 v[119:120], v[119:120], v[93:94], v[121:122]
	v_fma_f64 v[117:118], v[117:118], v[93:94], -v[95:96]
	scratch_load_b128 v[93:96], off, off offset:448
	v_add_f64_e32 v[2:3], v[2:3], v[105:106]
	v_add_f64_e32 v[6:7], v[6:7], v[107:108]
	ds_load_b128 v[105:108], v1 offset:752
	s_wait_loadcnt_dscnt 0xa01
	v_mul_f64_e32 v[127:128], v[73:74], v[99:100]
	v_mul_f64_e32 v[99:100], v[75:76], v[99:100]
	v_add_f64_e32 v[2:3], v[2:3], v[125:126]
	v_add_f64_e32 v[6:7], v[6:7], v[123:124]
	s_delay_alu instid0(VALU_DEP_4) | instskip(NEXT) | instid1(VALU_DEP_4)
	v_fma_f64 v[123:124], v[75:76], v[97:98], v[127:128]
	v_fma_f64 v[125:126], v[73:74], v[97:98], -v[99:100]
	ds_load_b128 v[73:76], v1 offset:768
	ds_load_b128 v[97:100], v1 offset:784
	s_wait_loadcnt_dscnt 0x802
	v_mul_f64_e32 v[121:122], v[105:106], v[10:11]
	v_mul_f64_e32 v[10:11], v[107:108], v[10:11]
	v_add_f64_e32 v[2:3], v[2:3], v[117:118]
	v_add_f64_e32 v[6:7], v[6:7], v[119:120]
	s_delay_alu instid0(VALU_DEP_4)
	v_fma_f64 v[107:108], v[107:108], v[8:9], v[121:122]
	s_wait_loadcnt_dscnt 0x701
	v_mul_f64_e32 v[117:118], v[73:74], v[115:116]
	v_mul_f64_e32 v[115:116], v[75:76], v[115:116]
	v_fma_f64 v[8:9], v[105:106], v[8:9], -v[10:11]
	s_wait_loadcnt_dscnt 0x600
	v_mul_f64_e32 v[10:11], v[97:98], v[71:72]
	v_mul_f64_e32 v[105:106], v[99:100], v[71:72]
	v_add_f64_e32 v[2:3], v[2:3], v[125:126]
	v_add_f64_e32 v[6:7], v[6:7], v[123:124]
	v_fma_f64 v[75:76], v[75:76], v[113:114], v[117:118]
	v_fma_f64 v[113:114], v[73:74], v[113:114], -v[115:116]
	v_fma_f64 v[10:11], v[99:100], v[69:70], v[10:11]
	v_fma_f64 v[69:70], v[97:98], v[69:70], -v[105:106]
	v_add_f64_e32 v[2:3], v[2:3], v[8:9]
	v_add_f64_e32 v[107:108], v[6:7], v[107:108]
	ds_load_b128 v[6:9], v1 offset:800
	ds_load_b128 v[71:74], v1 offset:816
	s_wait_loadcnt_dscnt 0x401
	v_mul_f64_e32 v[115:116], v[6:7], v[103:104]
	v_mul_f64_e32 v[103:104], v[8:9], v[103:104]
	s_wait_dscnt 0x0
	v_mul_f64_e32 v[105:106], v[71:72], v[79:80]
	v_mul_f64_e32 v[79:80], v[73:74], v[79:80]
	v_add_f64_e32 v[2:3], v[2:3], v[113:114]
	v_add_f64_e32 v[75:76], v[107:108], v[75:76]
	v_fma_f64 v[107:108], v[8:9], v[101:102], v[115:116]
	v_fma_f64 v[101:102], v[6:7], v[101:102], -v[103:104]
	ds_load_b128 v[6:9], v1 offset:832
	ds_load_b128 v[97:100], v1 offset:848
	v_fma_f64 v[73:74], v[73:74], v[77:78], v[105:106]
	v_fma_f64 v[71:72], v[71:72], v[77:78], -v[79:80]
	v_add_f64_e32 v[2:3], v[2:3], v[69:70]
	v_add_f64_e32 v[10:11], v[75:76], v[10:11]
	s_wait_loadcnt_dscnt 0x301
	v_mul_f64_e32 v[69:70], v[6:7], v[83:84]
	v_mul_f64_e32 v[75:76], v[8:9], v[83:84]
	s_wait_loadcnt_dscnt 0x200
	v_mul_f64_e32 v[77:78], v[97:98], v[87:88]
	v_mul_f64_e32 v[79:80], v[99:100], v[87:88]
	v_add_f64_e32 v[2:3], v[2:3], v[101:102]
	v_add_f64_e32 v[10:11], v[10:11], v[107:108]
	v_fma_f64 v[69:70], v[8:9], v[81:82], v[69:70]
	v_fma_f64 v[75:76], v[6:7], v[81:82], -v[75:76]
	v_fma_f64 v[77:78], v[99:100], v[85:86], v[77:78]
	v_fma_f64 v[79:80], v[97:98], v[85:86], -v[79:80]
	v_add_f64_e32 v[71:72], v[2:3], v[71:72]
	v_add_f64_e32 v[10:11], v[10:11], v[73:74]
	ds_load_b128 v[6:9], v1 offset:864
	ds_load_b128 v[1:4], v1 offset:880
	s_wait_loadcnt_dscnt 0x101
	v_mul_f64_e32 v[73:74], v[6:7], v[91:92]
	v_mul_f64_e32 v[81:82], v[8:9], v[91:92]
	v_add_f64_e32 v[71:72], v[71:72], v[75:76]
	v_add_f64_e32 v[10:11], v[10:11], v[69:70]
	s_wait_loadcnt_dscnt 0x0
	v_mul_f64_e32 v[69:70], v[1:2], v[95:96]
	v_mul_f64_e32 v[75:76], v[3:4], v[95:96]
	v_fma_f64 v[8:9], v[8:9], v[89:90], v[73:74]
	v_fma_f64 v[6:7], v[6:7], v[89:90], -v[81:82]
	v_add_f64_e32 v[71:72], v[71:72], v[79:80]
	v_add_f64_e32 v[10:11], v[10:11], v[77:78]
	v_fma_f64 v[3:4], v[3:4], v[93:94], v[69:70]
	v_fma_f64 v[1:2], v[1:2], v[93:94], -v[75:76]
	s_delay_alu instid0(VALU_DEP_4) | instskip(NEXT) | instid1(VALU_DEP_4)
	v_add_f64_e32 v[6:7], v[71:72], v[6:7]
	v_add_f64_e32 v[8:9], v[10:11], v[8:9]
	s_delay_alu instid0(VALU_DEP_2) | instskip(NEXT) | instid1(VALU_DEP_2)
	v_add_f64_e32 v[1:2], v[6:7], v[1:2]
	v_add_f64_e32 v[3:4], v[8:9], v[3:4]
	s_delay_alu instid0(VALU_DEP_2) | instskip(NEXT) | instid1(VALU_DEP_2)
	v_add_f64_e64 v[1:2], v[109:110], -v[1:2]
	v_add_f64_e64 v[3:4], v[111:112], -v[3:4]
	scratch_store_b128 off, v[1:4], off offset:160
	v_cmpx_lt_u32_e32 8, v0
	s_cbranch_execz .LBB91_165
; %bb.164:
	scratch_load_b128 v[1:4], off, s24
	v_mov_b32_e32 v6, 0
	s_delay_alu instid0(VALU_DEP_1)
	v_dual_mov_b32 v7, v6 :: v_dual_mov_b32 v8, v6
	v_mov_b32_e32 v9, v6
	scratch_store_b128 off, v[6:9], off offset:144
	s_wait_loadcnt 0x0
	ds_store_b128 v5, v[1:4]
.LBB91_165:
	s_wait_alu 0xfffe
	s_or_b32 exec_lo, exec_lo, s0
	s_wait_storecnt_dscnt 0x0
	s_barrier_signal -1
	s_barrier_wait -1
	global_inv scope:SCOPE_SE
	s_clause 0x7
	scratch_load_b128 v[6:9], off, off offset:160
	scratch_load_b128 v[69:72], off, off offset:176
	;; [unrolled: 1-line block ×8, first 2 shown]
	v_mov_b32_e32 v1, 0
	s_mov_b32 s0, exec_lo
	ds_load_b128 v[97:100], v1 offset:592
	s_clause 0x1
	scratch_load_b128 v[101:104], off, off offset:288
	scratch_load_b128 v[105:108], off, off offset:144
	ds_load_b128 v[109:112], v1 offset:608
	ds_load_b128 v[117:120], v1 offset:640
	s_wait_loadcnt_dscnt 0x902
	v_mul_f64_e32 v[2:3], v[99:100], v[8:9]
	v_mul_f64_e32 v[113:114], v[97:98], v[8:9]
	scratch_load_b128 v[8:11], off, off offset:304
	v_fma_f64 v[2:3], v[97:98], v[6:7], -v[2:3]
	v_fma_f64 v[6:7], v[99:100], v[6:7], v[113:114]
	ds_load_b128 v[97:100], v1 offset:624
	s_wait_loadcnt_dscnt 0x902
	v_mul_f64_e32 v[121:122], v[109:110], v[71:72]
	v_mul_f64_e32 v[71:72], v[111:112], v[71:72]
	scratch_load_b128 v[113:116], off, off offset:320
	s_wait_loadcnt_dscnt 0x900
	v_mul_f64_e32 v[123:124], v[97:98], v[75:76]
	v_mul_f64_e32 v[75:76], v[99:100], v[75:76]
	v_add_f64_e32 v[2:3], 0, v[2:3]
	v_add_f64_e32 v[6:7], 0, v[6:7]
	v_fma_f64 v[111:112], v[111:112], v[69:70], v[121:122]
	v_fma_f64 v[109:110], v[109:110], v[69:70], -v[71:72]
	scratch_load_b128 v[69:72], off, off offset:336
	v_fma_f64 v[123:124], v[99:100], v[73:74], v[123:124]
	v_fma_f64 v[125:126], v[97:98], v[73:74], -v[75:76]
	ds_load_b128 v[73:76], v1 offset:656
	s_wait_loadcnt 0x9
	v_mul_f64_e32 v[121:122], v[117:118], v[79:80]
	v_mul_f64_e32 v[79:80], v[119:120], v[79:80]
	scratch_load_b128 v[97:100], off, off offset:352
	v_add_f64_e32 v[6:7], v[6:7], v[111:112]
	v_add_f64_e32 v[2:3], v[2:3], v[109:110]
	ds_load_b128 v[109:112], v1 offset:672
	s_wait_loadcnt_dscnt 0x901
	v_mul_f64_e32 v[127:128], v[73:74], v[83:84]
	v_mul_f64_e32 v[83:84], v[75:76], v[83:84]
	v_fma_f64 v[119:120], v[119:120], v[77:78], v[121:122]
	v_fma_f64 v[117:118], v[117:118], v[77:78], -v[79:80]
	scratch_load_b128 v[77:80], off, off offset:368
	v_add_f64_e32 v[6:7], v[6:7], v[123:124]
	v_add_f64_e32 v[2:3], v[2:3], v[125:126]
	v_fma_f64 v[123:124], v[75:76], v[81:82], v[127:128]
	v_fma_f64 v[125:126], v[73:74], v[81:82], -v[83:84]
	ds_load_b128 v[73:76], v1 offset:688
	s_wait_loadcnt_dscnt 0x901
	v_mul_f64_e32 v[121:122], v[109:110], v[87:88]
	v_mul_f64_e32 v[87:88], v[111:112], v[87:88]
	scratch_load_b128 v[81:84], off, off offset:384
	s_wait_loadcnt_dscnt 0x900
	v_mul_f64_e32 v[127:128], v[73:74], v[91:92]
	v_mul_f64_e32 v[91:92], v[75:76], v[91:92]
	v_add_f64_e32 v[6:7], v[6:7], v[119:120]
	v_add_f64_e32 v[2:3], v[2:3], v[117:118]
	ds_load_b128 v[117:120], v1 offset:704
	v_fma_f64 v[111:112], v[111:112], v[85:86], v[121:122]
	v_fma_f64 v[109:110], v[109:110], v[85:86], -v[87:88]
	scratch_load_b128 v[85:88], off, off offset:400
	v_add_f64_e32 v[6:7], v[6:7], v[123:124]
	v_add_f64_e32 v[2:3], v[2:3], v[125:126]
	v_fma_f64 v[123:124], v[75:76], v[89:90], v[127:128]
	v_fma_f64 v[125:126], v[73:74], v[89:90], -v[91:92]
	ds_load_b128 v[73:76], v1 offset:720
	s_wait_loadcnt_dscnt 0x901
	v_mul_f64_e32 v[121:122], v[117:118], v[95:96]
	v_mul_f64_e32 v[95:96], v[119:120], v[95:96]
	scratch_load_b128 v[89:92], off, off offset:416
	s_wait_loadcnt_dscnt 0x900
	v_mul_f64_e32 v[127:128], v[73:74], v[103:104]
	v_mul_f64_e32 v[103:104], v[75:76], v[103:104]
	v_add_f64_e32 v[6:7], v[6:7], v[111:112]
	v_add_f64_e32 v[2:3], v[2:3], v[109:110]
	ds_load_b128 v[109:112], v1 offset:736
	v_fma_f64 v[119:120], v[119:120], v[93:94], v[121:122]
	v_fma_f64 v[117:118], v[117:118], v[93:94], -v[95:96]
	scratch_load_b128 v[93:96], off, off offset:432
	v_add_f64_e32 v[6:7], v[6:7], v[123:124]
	v_add_f64_e32 v[2:3], v[2:3], v[125:126]
	v_fma_f64 v[123:124], v[75:76], v[101:102], v[127:128]
	v_fma_f64 v[125:126], v[73:74], v[101:102], -v[103:104]
	ds_load_b128 v[73:76], v1 offset:752
	scratch_load_b128 v[101:104], off, off offset:448
	s_wait_loadcnt_dscnt 0x901
	v_mul_f64_e32 v[121:122], v[109:110], v[10:11]
	v_mul_f64_e32 v[10:11], v[111:112], v[10:11]
	v_add_f64_e32 v[6:7], v[6:7], v[119:120]
	v_add_f64_e32 v[2:3], v[2:3], v[117:118]
	ds_load_b128 v[117:120], v1 offset:768
	v_fma_f64 v[111:112], v[111:112], v[8:9], v[121:122]
	v_fma_f64 v[8:9], v[109:110], v[8:9], -v[10:11]
	s_wait_loadcnt_dscnt 0x801
	v_mul_f64_e32 v[127:128], v[73:74], v[115:116]
	v_mul_f64_e32 v[115:116], v[75:76], v[115:116]
	v_add_f64_e32 v[6:7], v[6:7], v[123:124]
	v_add_f64_e32 v[2:3], v[2:3], v[125:126]
	s_wait_loadcnt_dscnt 0x700
	v_mul_f64_e32 v[10:11], v[117:118], v[71:72]
	v_mul_f64_e32 v[109:110], v[119:120], v[71:72]
	v_fma_f64 v[75:76], v[75:76], v[113:114], v[127:128]
	v_fma_f64 v[113:114], v[73:74], v[113:114], -v[115:116]
	v_add_f64_e32 v[111:112], v[6:7], v[111:112]
	v_add_f64_e32 v[2:3], v[2:3], v[8:9]
	ds_load_b128 v[6:9], v1 offset:784
	ds_load_b128 v[71:74], v1 offset:800
	v_fma_f64 v[10:11], v[119:120], v[69:70], v[10:11]
	v_fma_f64 v[69:70], v[117:118], v[69:70], -v[109:110]
	s_wait_loadcnt_dscnt 0x601
	v_mul_f64_e32 v[115:116], v[6:7], v[99:100]
	v_mul_f64_e32 v[99:100], v[8:9], v[99:100]
	v_add_f64_e32 v[75:76], v[111:112], v[75:76]
	v_add_f64_e32 v[2:3], v[2:3], v[113:114]
	s_wait_loadcnt_dscnt 0x500
	v_mul_f64_e32 v[109:110], v[71:72], v[79:80]
	v_mul_f64_e32 v[79:80], v[73:74], v[79:80]
	v_fma_f64 v[111:112], v[8:9], v[97:98], v[115:116]
	v_fma_f64 v[113:114], v[6:7], v[97:98], -v[99:100]
	ds_load_b128 v[6:9], v1 offset:816
	ds_load_b128 v[97:100], v1 offset:832
	v_add_f64_e32 v[10:11], v[75:76], v[10:11]
	v_add_f64_e32 v[2:3], v[2:3], v[69:70]
	v_fma_f64 v[73:74], v[73:74], v[77:78], v[109:110]
	v_fma_f64 v[71:72], v[71:72], v[77:78], -v[79:80]
	s_wait_loadcnt_dscnt 0x401
	v_mul_f64_e32 v[69:70], v[6:7], v[83:84]
	v_mul_f64_e32 v[75:76], v[8:9], v[83:84]
	s_wait_loadcnt_dscnt 0x300
	v_mul_f64_e32 v[77:78], v[97:98], v[87:88]
	v_mul_f64_e32 v[79:80], v[99:100], v[87:88]
	v_add_f64_e32 v[10:11], v[10:11], v[111:112]
	v_add_f64_e32 v[2:3], v[2:3], v[113:114]
	v_fma_f64 v[83:84], v[8:9], v[81:82], v[69:70]
	v_fma_f64 v[75:76], v[6:7], v[81:82], -v[75:76]
	v_fma_f64 v[77:78], v[99:100], v[85:86], v[77:78]
	v_fma_f64 v[79:80], v[97:98], v[85:86], -v[79:80]
	v_add_f64_e32 v[10:11], v[10:11], v[73:74]
	v_add_f64_e32 v[2:3], v[2:3], v[71:72]
	ds_load_b128 v[6:9], v1 offset:848
	ds_load_b128 v[69:72], v1 offset:864
	s_wait_loadcnt_dscnt 0x201
	v_mul_f64_e32 v[73:74], v[6:7], v[91:92]
	v_mul_f64_e32 v[81:82], v[8:9], v[91:92]
	v_add_f64_e32 v[10:11], v[10:11], v[83:84]
	v_add_f64_e32 v[2:3], v[2:3], v[75:76]
	s_wait_loadcnt_dscnt 0x100
	v_mul_f64_e32 v[75:76], v[69:70], v[95:96]
	v_mul_f64_e32 v[83:84], v[71:72], v[95:96]
	v_fma_f64 v[73:74], v[8:9], v[89:90], v[73:74]
	v_fma_f64 v[81:82], v[6:7], v[89:90], -v[81:82]
	ds_load_b128 v[6:9], v1 offset:880
	v_add_f64_e32 v[10:11], v[10:11], v[77:78]
	v_add_f64_e32 v[2:3], v[2:3], v[79:80]
	v_fma_f64 v[71:72], v[71:72], v[93:94], v[75:76]
	v_fma_f64 v[69:70], v[69:70], v[93:94], -v[83:84]
	s_wait_loadcnt_dscnt 0x0
	v_mul_f64_e32 v[77:78], v[6:7], v[103:104]
	v_mul_f64_e32 v[79:80], v[8:9], v[103:104]
	v_add_f64_e32 v[10:11], v[10:11], v[73:74]
	v_add_f64_e32 v[2:3], v[2:3], v[81:82]
	s_delay_alu instid0(VALU_DEP_4) | instskip(NEXT) | instid1(VALU_DEP_4)
	v_fma_f64 v[8:9], v[8:9], v[101:102], v[77:78]
	v_fma_f64 v[6:7], v[6:7], v[101:102], -v[79:80]
	s_delay_alu instid0(VALU_DEP_4) | instskip(NEXT) | instid1(VALU_DEP_4)
	v_add_f64_e32 v[10:11], v[10:11], v[71:72]
	v_add_f64_e32 v[2:3], v[2:3], v[69:70]
	s_delay_alu instid0(VALU_DEP_2) | instskip(NEXT) | instid1(VALU_DEP_2)
	v_add_f64_e32 v[8:9], v[10:11], v[8:9]
	v_add_f64_e32 v[2:3], v[2:3], v[6:7]
	s_delay_alu instid0(VALU_DEP_2) | instskip(NEXT) | instid1(VALU_DEP_2)
	v_add_f64_e64 v[8:9], v[107:108], -v[8:9]
	v_add_f64_e64 v[6:7], v[105:106], -v[2:3]
	scratch_store_b128 off, v[6:9], off offset:144
	v_cmpx_lt_u32_e32 7, v0
	s_cbranch_execz .LBB91_167
; %bb.166:
	scratch_load_b128 v[6:9], off, s5
	v_dual_mov_b32 v2, v1 :: v_dual_mov_b32 v3, v1
	v_mov_b32_e32 v4, v1
	scratch_store_b128 off, v[1:4], off offset:128
	s_wait_loadcnt 0x0
	ds_store_b128 v5, v[6:9]
.LBB91_167:
	s_wait_alu 0xfffe
	s_or_b32 exec_lo, exec_lo, s0
	s_wait_storecnt_dscnt 0x0
	s_barrier_signal -1
	s_barrier_wait -1
	global_inv scope:SCOPE_SE
	s_clause 0x8
	scratch_load_b128 v[6:9], off, off offset:144
	scratch_load_b128 v[69:72], off, off offset:160
	;; [unrolled: 1-line block ×9, first 2 shown]
	ds_load_b128 v[101:104], v1 offset:576
	ds_load_b128 v[105:108], v1 offset:592
	scratch_load_b128 v[109:112], off, off offset:128
	s_mov_b32 s0, exec_lo
	ds_load_b128 v[117:120], v1 offset:624
	s_wait_loadcnt_dscnt 0x902
	v_mul_f64_e32 v[2:3], v[103:104], v[8:9]
	v_mul_f64_e32 v[113:114], v[101:102], v[8:9]
	scratch_load_b128 v[8:11], off, off offset:288
	s_wait_loadcnt_dscnt 0x901
	v_mul_f64_e32 v[121:122], v[105:106], v[71:72]
	v_mul_f64_e32 v[71:72], v[107:108], v[71:72]
	v_fma_f64 v[2:3], v[101:102], v[6:7], -v[2:3]
	v_fma_f64 v[6:7], v[103:104], v[6:7], v[113:114]
	ds_load_b128 v[101:104], v1 offset:608
	scratch_load_b128 v[113:116], off, off offset:304
	v_fma_f64 v[107:108], v[107:108], v[69:70], v[121:122]
	v_fma_f64 v[105:106], v[105:106], v[69:70], -v[71:72]
	scratch_load_b128 v[69:72], off, off offset:320
	s_wait_loadcnt_dscnt 0x901
	v_mul_f64_e32 v[121:122], v[117:118], v[79:80]
	v_mul_f64_e32 v[79:80], v[119:120], v[79:80]
	s_wait_dscnt 0x0
	v_mul_f64_e32 v[123:124], v[101:102], v[75:76]
	v_mul_f64_e32 v[75:76], v[103:104], v[75:76]
	v_add_f64_e32 v[2:3], 0, v[2:3]
	v_add_f64_e32 v[6:7], 0, v[6:7]
	v_fma_f64 v[119:120], v[119:120], v[77:78], v[121:122]
	v_fma_f64 v[117:118], v[117:118], v[77:78], -v[79:80]
	scratch_load_b128 v[77:80], off, off offset:352
	v_fma_f64 v[123:124], v[103:104], v[73:74], v[123:124]
	v_fma_f64 v[125:126], v[101:102], v[73:74], -v[75:76]
	ds_load_b128 v[73:76], v1 offset:640
	scratch_load_b128 v[101:104], off, off offset:336
	v_add_f64_e32 v[2:3], v[2:3], v[105:106]
	v_add_f64_e32 v[6:7], v[6:7], v[107:108]
	ds_load_b128 v[105:108], v1 offset:656
	s_wait_loadcnt_dscnt 0xa01
	v_mul_f64_e32 v[127:128], v[73:74], v[83:84]
	v_mul_f64_e32 v[83:84], v[75:76], v[83:84]
	s_wait_loadcnt_dscnt 0x900
	v_mul_f64_e32 v[121:122], v[105:106], v[87:88]
	v_mul_f64_e32 v[87:88], v[107:108], v[87:88]
	v_add_f64_e32 v[2:3], v[2:3], v[125:126]
	v_add_f64_e32 v[6:7], v[6:7], v[123:124]
	v_fma_f64 v[123:124], v[75:76], v[81:82], v[127:128]
	v_fma_f64 v[125:126], v[73:74], v[81:82], -v[83:84]
	ds_load_b128 v[73:76], v1 offset:672
	scratch_load_b128 v[81:84], off, off offset:368
	v_fma_f64 v[107:108], v[107:108], v[85:86], v[121:122]
	v_fma_f64 v[105:106], v[105:106], v[85:86], -v[87:88]
	scratch_load_b128 v[85:88], off, off offset:384
	v_add_f64_e32 v[2:3], v[2:3], v[117:118]
	v_add_f64_e32 v[6:7], v[6:7], v[119:120]
	ds_load_b128 v[117:120], v1 offset:688
	s_wait_loadcnt_dscnt 0xa01
	v_mul_f64_e32 v[127:128], v[73:74], v[91:92]
	v_mul_f64_e32 v[91:92], v[75:76], v[91:92]
	s_wait_loadcnt_dscnt 0x900
	v_mul_f64_e32 v[121:122], v[117:118], v[95:96]
	v_mul_f64_e32 v[95:96], v[119:120], v[95:96]
	v_add_f64_e32 v[2:3], v[2:3], v[125:126]
	v_add_f64_e32 v[6:7], v[6:7], v[123:124]
	v_fma_f64 v[123:124], v[75:76], v[89:90], v[127:128]
	v_fma_f64 v[125:126], v[73:74], v[89:90], -v[91:92]
	ds_load_b128 v[73:76], v1 offset:704
	scratch_load_b128 v[89:92], off, off offset:400
	v_fma_f64 v[119:120], v[119:120], v[93:94], v[121:122]
	v_fma_f64 v[117:118], v[117:118], v[93:94], -v[95:96]
	scratch_load_b128 v[93:96], off, off offset:416
	v_add_f64_e32 v[2:3], v[2:3], v[105:106]
	v_add_f64_e32 v[6:7], v[6:7], v[107:108]
	ds_load_b128 v[105:108], v1 offset:720
	s_wait_loadcnt_dscnt 0xa01
	v_mul_f64_e32 v[127:128], v[73:74], v[99:100]
	v_mul_f64_e32 v[99:100], v[75:76], v[99:100]
	v_add_f64_e32 v[2:3], v[2:3], v[125:126]
	v_add_f64_e32 v[6:7], v[6:7], v[123:124]
	s_delay_alu instid0(VALU_DEP_4) | instskip(NEXT) | instid1(VALU_DEP_4)
	v_fma_f64 v[123:124], v[75:76], v[97:98], v[127:128]
	v_fma_f64 v[125:126], v[73:74], v[97:98], -v[99:100]
	ds_load_b128 v[73:76], v1 offset:736
	scratch_load_b128 v[97:100], off, off offset:432
	s_wait_loadcnt_dscnt 0x901
	v_mul_f64_e32 v[121:122], v[105:106], v[10:11]
	v_mul_f64_e32 v[10:11], v[107:108], v[10:11]
	v_add_f64_e32 v[2:3], v[2:3], v[117:118]
	v_add_f64_e32 v[6:7], v[6:7], v[119:120]
	ds_load_b128 v[117:120], v1 offset:752
	v_fma_f64 v[107:108], v[107:108], v[8:9], v[121:122]
	s_wait_loadcnt_dscnt 0x801
	v_mul_f64_e32 v[127:128], v[73:74], v[115:116]
	v_mul_f64_e32 v[115:116], v[75:76], v[115:116]
	v_fma_f64 v[10:11], v[105:106], v[8:9], -v[10:11]
	s_wait_loadcnt_dscnt 0x700
	v_mul_f64_e32 v[121:122], v[117:118], v[71:72]
	v_add_f64_e32 v[2:3], v[2:3], v[125:126]
	v_add_f64_e32 v[105:106], v[6:7], v[123:124]
	scratch_load_b128 v[6:9], off, off offset:448
	v_mul_f64_e32 v[123:124], v[119:120], v[71:72]
	v_fma_f64 v[75:76], v[75:76], v[113:114], v[127:128]
	v_fma_f64 v[113:114], v[73:74], v[113:114], -v[115:116]
	v_fma_f64 v[119:120], v[119:120], v[69:70], v[121:122]
	v_add_f64_e32 v[2:3], v[2:3], v[10:11]
	v_add_f64_e32 v[10:11], v[105:106], v[107:108]
	ds_load_b128 v[71:74], v1 offset:768
	ds_load_b128 v[105:108], v1 offset:784
	v_fma_f64 v[69:70], v[117:118], v[69:70], -v[123:124]
	s_wait_loadcnt_dscnt 0x601
	v_mul_f64_e32 v[115:116], v[71:72], v[103:104]
	v_mul_f64_e32 v[103:104], v[73:74], v[103:104]
	v_add_f64_e32 v[2:3], v[2:3], v[113:114]
	v_add_f64_e32 v[10:11], v[10:11], v[75:76]
	s_wait_dscnt 0x0
	v_mul_f64_e32 v[113:114], v[105:106], v[79:80]
	v_mul_f64_e32 v[79:80], v[107:108], v[79:80]
	v_fma_f64 v[115:116], v[73:74], v[101:102], v[115:116]
	v_fma_f64 v[101:102], v[71:72], v[101:102], -v[103:104]
	v_add_f64_e32 v[2:3], v[2:3], v[69:70]
	v_add_f64_e32 v[10:11], v[10:11], v[119:120]
	ds_load_b128 v[69:72], v1 offset:800
	ds_load_b128 v[73:76], v1 offset:816
	v_fma_f64 v[107:108], v[107:108], v[77:78], v[113:114]
	v_fma_f64 v[77:78], v[105:106], v[77:78], -v[79:80]
	s_wait_loadcnt_dscnt 0x501
	v_mul_f64_e32 v[103:104], v[69:70], v[83:84]
	v_mul_f64_e32 v[83:84], v[71:72], v[83:84]
	v_add_f64_e32 v[2:3], v[2:3], v[101:102]
	v_add_f64_e32 v[10:11], v[10:11], v[115:116]
	s_wait_loadcnt_dscnt 0x400
	v_mul_f64_e32 v[101:102], v[73:74], v[87:88]
	v_mul_f64_e32 v[87:88], v[75:76], v[87:88]
	v_fma_f64 v[103:104], v[71:72], v[81:82], v[103:104]
	v_fma_f64 v[81:82], v[69:70], v[81:82], -v[83:84]
	v_add_f64_e32 v[2:3], v[2:3], v[77:78]
	v_add_f64_e32 v[10:11], v[10:11], v[107:108]
	ds_load_b128 v[69:72], v1 offset:832
	ds_load_b128 v[77:80], v1 offset:848
	v_fma_f64 v[75:76], v[75:76], v[85:86], v[101:102]
	v_fma_f64 v[73:74], v[73:74], v[85:86], -v[87:88]
	s_wait_loadcnt_dscnt 0x301
	v_mul_f64_e32 v[83:84], v[69:70], v[91:92]
	v_mul_f64_e32 v[91:92], v[71:72], v[91:92]
	s_wait_loadcnt_dscnt 0x200
	v_mul_f64_e32 v[85:86], v[79:80], v[95:96]
	v_add_f64_e32 v[2:3], v[2:3], v[81:82]
	v_add_f64_e32 v[10:11], v[10:11], v[103:104]
	v_mul_f64_e32 v[81:82], v[77:78], v[95:96]
	v_fma_f64 v[83:84], v[71:72], v[89:90], v[83:84]
	v_fma_f64 v[87:88], v[69:70], v[89:90], -v[91:92]
	v_fma_f64 v[77:78], v[77:78], v[93:94], -v[85:86]
	v_add_f64_e32 v[73:74], v[2:3], v[73:74]
	v_add_f64_e32 v[10:11], v[10:11], v[75:76]
	ds_load_b128 v[69:72], v1 offset:864
	ds_load_b128 v[1:4], v1 offset:880
	v_fma_f64 v[79:80], v[79:80], v[93:94], v[81:82]
	s_wait_loadcnt_dscnt 0x101
	v_mul_f64_e32 v[75:76], v[69:70], v[99:100]
	v_mul_f64_e32 v[89:90], v[71:72], v[99:100]
	v_add_f64_e32 v[73:74], v[73:74], v[87:88]
	v_add_f64_e32 v[10:11], v[10:11], v[83:84]
	s_wait_loadcnt_dscnt 0x0
	v_mul_f64_e32 v[81:82], v[1:2], v[8:9]
	v_mul_f64_e32 v[8:9], v[3:4], v[8:9]
	v_fma_f64 v[71:72], v[71:72], v[97:98], v[75:76]
	v_fma_f64 v[69:70], v[69:70], v[97:98], -v[89:90]
	v_add_f64_e32 v[73:74], v[73:74], v[77:78]
	v_add_f64_e32 v[10:11], v[10:11], v[79:80]
	v_fma_f64 v[3:4], v[3:4], v[6:7], v[81:82]
	v_fma_f64 v[1:2], v[1:2], v[6:7], -v[8:9]
	s_delay_alu instid0(VALU_DEP_4) | instskip(NEXT) | instid1(VALU_DEP_4)
	v_add_f64_e32 v[6:7], v[73:74], v[69:70]
	v_add_f64_e32 v[8:9], v[10:11], v[71:72]
	s_delay_alu instid0(VALU_DEP_2) | instskip(NEXT) | instid1(VALU_DEP_2)
	v_add_f64_e32 v[1:2], v[6:7], v[1:2]
	v_add_f64_e32 v[3:4], v[8:9], v[3:4]
	s_delay_alu instid0(VALU_DEP_2) | instskip(NEXT) | instid1(VALU_DEP_2)
	v_add_f64_e64 v[1:2], v[109:110], -v[1:2]
	v_add_f64_e64 v[3:4], v[111:112], -v[3:4]
	scratch_store_b128 off, v[1:4], off offset:128
	v_cmpx_lt_u32_e32 6, v0
	s_cbranch_execz .LBB91_169
; %bb.168:
	scratch_load_b128 v[1:4], off, s23
	v_mov_b32_e32 v6, 0
	s_delay_alu instid0(VALU_DEP_1)
	v_dual_mov_b32 v7, v6 :: v_dual_mov_b32 v8, v6
	v_mov_b32_e32 v9, v6
	scratch_store_b128 off, v[6:9], off offset:112
	s_wait_loadcnt 0x0
	ds_store_b128 v5, v[1:4]
.LBB91_169:
	s_wait_alu 0xfffe
	s_or_b32 exec_lo, exec_lo, s0
	s_wait_storecnt_dscnt 0x0
	s_barrier_signal -1
	s_barrier_wait -1
	global_inv scope:SCOPE_SE
	s_clause 0x7
	scratch_load_b128 v[6:9], off, off offset:128
	scratch_load_b128 v[69:72], off, off offset:144
	;; [unrolled: 1-line block ×8, first 2 shown]
	v_mov_b32_e32 v1, 0
	s_mov_b32 s0, exec_lo
	ds_load_b128 v[97:100], v1 offset:560
	s_clause 0x1
	scratch_load_b128 v[101:104], off, off offset:256
	scratch_load_b128 v[105:108], off, off offset:112
	ds_load_b128 v[109:112], v1 offset:576
	ds_load_b128 v[117:120], v1 offset:608
	s_wait_loadcnt_dscnt 0x902
	v_mul_f64_e32 v[2:3], v[99:100], v[8:9]
	v_mul_f64_e32 v[113:114], v[97:98], v[8:9]
	scratch_load_b128 v[8:11], off, off offset:272
	v_fma_f64 v[2:3], v[97:98], v[6:7], -v[2:3]
	v_fma_f64 v[6:7], v[99:100], v[6:7], v[113:114]
	ds_load_b128 v[97:100], v1 offset:592
	s_wait_loadcnt_dscnt 0x902
	v_mul_f64_e32 v[121:122], v[109:110], v[71:72]
	v_mul_f64_e32 v[71:72], v[111:112], v[71:72]
	scratch_load_b128 v[113:116], off, off offset:288
	s_wait_loadcnt_dscnt 0x900
	v_mul_f64_e32 v[123:124], v[97:98], v[75:76]
	v_mul_f64_e32 v[75:76], v[99:100], v[75:76]
	v_add_f64_e32 v[2:3], 0, v[2:3]
	v_add_f64_e32 v[6:7], 0, v[6:7]
	v_fma_f64 v[111:112], v[111:112], v[69:70], v[121:122]
	v_fma_f64 v[109:110], v[109:110], v[69:70], -v[71:72]
	scratch_load_b128 v[69:72], off, off offset:304
	v_fma_f64 v[123:124], v[99:100], v[73:74], v[123:124]
	v_fma_f64 v[125:126], v[97:98], v[73:74], -v[75:76]
	ds_load_b128 v[73:76], v1 offset:624
	s_wait_loadcnt 0x9
	v_mul_f64_e32 v[121:122], v[117:118], v[79:80]
	v_mul_f64_e32 v[79:80], v[119:120], v[79:80]
	scratch_load_b128 v[97:100], off, off offset:320
	v_add_f64_e32 v[6:7], v[6:7], v[111:112]
	v_add_f64_e32 v[2:3], v[2:3], v[109:110]
	ds_load_b128 v[109:112], v1 offset:640
	s_wait_loadcnt_dscnt 0x901
	v_mul_f64_e32 v[127:128], v[73:74], v[83:84]
	v_mul_f64_e32 v[83:84], v[75:76], v[83:84]
	v_fma_f64 v[119:120], v[119:120], v[77:78], v[121:122]
	v_fma_f64 v[117:118], v[117:118], v[77:78], -v[79:80]
	scratch_load_b128 v[77:80], off, off offset:336
	v_add_f64_e32 v[6:7], v[6:7], v[123:124]
	v_add_f64_e32 v[2:3], v[2:3], v[125:126]
	v_fma_f64 v[123:124], v[75:76], v[81:82], v[127:128]
	v_fma_f64 v[125:126], v[73:74], v[81:82], -v[83:84]
	ds_load_b128 v[73:76], v1 offset:656
	s_wait_loadcnt_dscnt 0x901
	v_mul_f64_e32 v[121:122], v[109:110], v[87:88]
	v_mul_f64_e32 v[87:88], v[111:112], v[87:88]
	scratch_load_b128 v[81:84], off, off offset:352
	s_wait_loadcnt_dscnt 0x900
	v_mul_f64_e32 v[127:128], v[73:74], v[91:92]
	v_mul_f64_e32 v[91:92], v[75:76], v[91:92]
	v_add_f64_e32 v[6:7], v[6:7], v[119:120]
	v_add_f64_e32 v[2:3], v[2:3], v[117:118]
	ds_load_b128 v[117:120], v1 offset:672
	v_fma_f64 v[111:112], v[111:112], v[85:86], v[121:122]
	v_fma_f64 v[109:110], v[109:110], v[85:86], -v[87:88]
	scratch_load_b128 v[85:88], off, off offset:368
	v_add_f64_e32 v[6:7], v[6:7], v[123:124]
	v_add_f64_e32 v[2:3], v[2:3], v[125:126]
	v_fma_f64 v[123:124], v[75:76], v[89:90], v[127:128]
	v_fma_f64 v[125:126], v[73:74], v[89:90], -v[91:92]
	ds_load_b128 v[73:76], v1 offset:688
	s_wait_loadcnt_dscnt 0x901
	v_mul_f64_e32 v[121:122], v[117:118], v[95:96]
	v_mul_f64_e32 v[95:96], v[119:120], v[95:96]
	scratch_load_b128 v[89:92], off, off offset:384
	s_wait_loadcnt_dscnt 0x900
	v_mul_f64_e32 v[127:128], v[73:74], v[103:104]
	v_mul_f64_e32 v[103:104], v[75:76], v[103:104]
	v_add_f64_e32 v[6:7], v[6:7], v[111:112]
	v_add_f64_e32 v[2:3], v[2:3], v[109:110]
	ds_load_b128 v[109:112], v1 offset:704
	v_fma_f64 v[119:120], v[119:120], v[93:94], v[121:122]
	v_fma_f64 v[117:118], v[117:118], v[93:94], -v[95:96]
	scratch_load_b128 v[93:96], off, off offset:400
	v_add_f64_e32 v[6:7], v[6:7], v[123:124]
	v_add_f64_e32 v[2:3], v[2:3], v[125:126]
	v_fma_f64 v[123:124], v[75:76], v[101:102], v[127:128]
	v_fma_f64 v[125:126], v[73:74], v[101:102], -v[103:104]
	ds_load_b128 v[73:76], v1 offset:720
	scratch_load_b128 v[101:104], off, off offset:416
	s_wait_loadcnt_dscnt 0x901
	v_mul_f64_e32 v[121:122], v[109:110], v[10:11]
	v_mul_f64_e32 v[10:11], v[111:112], v[10:11]
	v_add_f64_e32 v[6:7], v[6:7], v[119:120]
	v_add_f64_e32 v[2:3], v[2:3], v[117:118]
	ds_load_b128 v[117:120], v1 offset:736
	v_fma_f64 v[111:112], v[111:112], v[8:9], v[121:122]
	v_fma_f64 v[10:11], v[109:110], v[8:9], -v[10:11]
	s_wait_loadcnt_dscnt 0x801
	v_mul_f64_e32 v[127:128], v[73:74], v[115:116]
	v_mul_f64_e32 v[115:116], v[75:76], v[115:116]
	v_add_f64_e32 v[109:110], v[6:7], v[123:124]
	v_add_f64_e32 v[2:3], v[2:3], v[125:126]
	scratch_load_b128 v[6:9], off, off offset:432
	v_fma_f64 v[75:76], v[75:76], v[113:114], v[127:128]
	v_fma_f64 v[125:126], v[73:74], v[113:114], -v[115:116]
	ds_load_b128 v[113:116], v1 offset:768
	s_wait_loadcnt_dscnt 0x801
	v_mul_f64_e32 v[121:122], v[117:118], v[71:72]
	v_mul_f64_e32 v[123:124], v[119:120], v[71:72]
	ds_load_b128 v[71:74], v1 offset:752
	v_add_f64_e32 v[2:3], v[2:3], v[10:11]
	v_add_f64_e32 v[10:11], v[109:110], v[111:112]
	scratch_load_b128 v[109:112], off, off offset:448
	s_wait_loadcnt_dscnt 0x800
	v_mul_f64_e32 v[127:128], v[71:72], v[99:100]
	v_mul_f64_e32 v[99:100], v[73:74], v[99:100]
	v_fma_f64 v[119:120], v[119:120], v[69:70], v[121:122]
	v_fma_f64 v[69:70], v[117:118], v[69:70], -v[123:124]
	v_add_f64_e32 v[2:3], v[2:3], v[125:126]
	v_add_f64_e32 v[10:11], v[10:11], v[75:76]
	s_wait_loadcnt 0x7
	v_mul_f64_e32 v[117:118], v[113:114], v[79:80]
	v_mul_f64_e32 v[79:80], v[115:116], v[79:80]
	v_fma_f64 v[121:122], v[73:74], v[97:98], v[127:128]
	v_fma_f64 v[97:98], v[71:72], v[97:98], -v[99:100]
	v_add_f64_e32 v[2:3], v[2:3], v[69:70]
	v_add_f64_e32 v[10:11], v[10:11], v[119:120]
	ds_load_b128 v[69:72], v1 offset:784
	ds_load_b128 v[73:76], v1 offset:800
	v_fma_f64 v[115:116], v[115:116], v[77:78], v[117:118]
	v_fma_f64 v[77:78], v[113:114], v[77:78], -v[79:80]
	s_wait_loadcnt_dscnt 0x601
	v_mul_f64_e32 v[99:100], v[69:70], v[83:84]
	v_mul_f64_e32 v[83:84], v[71:72], v[83:84]
	v_add_f64_e32 v[2:3], v[2:3], v[97:98]
	v_add_f64_e32 v[10:11], v[10:11], v[121:122]
	s_wait_loadcnt_dscnt 0x500
	v_mul_f64_e32 v[97:98], v[73:74], v[87:88]
	v_mul_f64_e32 v[87:88], v[75:76], v[87:88]
	v_fma_f64 v[99:100], v[71:72], v[81:82], v[99:100]
	v_fma_f64 v[81:82], v[69:70], v[81:82], -v[83:84]
	v_add_f64_e32 v[2:3], v[2:3], v[77:78]
	v_add_f64_e32 v[10:11], v[10:11], v[115:116]
	ds_load_b128 v[69:72], v1 offset:816
	ds_load_b128 v[77:80], v1 offset:832
	v_fma_f64 v[75:76], v[75:76], v[85:86], v[97:98]
	v_fma_f64 v[73:74], v[73:74], v[85:86], -v[87:88]
	s_wait_loadcnt_dscnt 0x401
	v_mul_f64_e32 v[83:84], v[69:70], v[91:92]
	v_mul_f64_e32 v[91:92], v[71:72], v[91:92]
	s_wait_loadcnt_dscnt 0x300
	v_mul_f64_e32 v[85:86], v[79:80], v[95:96]
	v_add_f64_e32 v[2:3], v[2:3], v[81:82]
	v_add_f64_e32 v[10:11], v[10:11], v[99:100]
	v_mul_f64_e32 v[81:82], v[77:78], v[95:96]
	v_fma_f64 v[83:84], v[71:72], v[89:90], v[83:84]
	v_fma_f64 v[87:88], v[69:70], v[89:90], -v[91:92]
	v_fma_f64 v[77:78], v[77:78], v[93:94], -v[85:86]
	v_add_f64_e32 v[2:3], v[2:3], v[73:74]
	v_add_f64_e32 v[10:11], v[10:11], v[75:76]
	ds_load_b128 v[69:72], v1 offset:848
	ds_load_b128 v[73:76], v1 offset:864
	v_fma_f64 v[79:80], v[79:80], v[93:94], v[81:82]
	s_wait_loadcnt_dscnt 0x201
	v_mul_f64_e32 v[89:90], v[69:70], v[103:104]
	v_mul_f64_e32 v[91:92], v[71:72], v[103:104]
	v_add_f64_e32 v[2:3], v[2:3], v[87:88]
	v_add_f64_e32 v[10:11], v[10:11], v[83:84]
	s_wait_loadcnt_dscnt 0x100
	v_mul_f64_e32 v[81:82], v[73:74], v[8:9]
	v_mul_f64_e32 v[83:84], v[75:76], v[8:9]
	v_fma_f64 v[71:72], v[71:72], v[101:102], v[89:90]
	v_fma_f64 v[69:70], v[69:70], v[101:102], -v[91:92]
	v_add_f64_e32 v[2:3], v[2:3], v[77:78]
	v_add_f64_e32 v[77:78], v[10:11], v[79:80]
	ds_load_b128 v[8:11], v1 offset:880
	v_fma_f64 v[75:76], v[75:76], v[6:7], v[81:82]
	v_fma_f64 v[6:7], v[73:74], v[6:7], -v[83:84]
	s_wait_loadcnt_dscnt 0x0
	v_mul_f64_e32 v[79:80], v[8:9], v[111:112]
	v_mul_f64_e32 v[85:86], v[10:11], v[111:112]
	v_add_f64_e32 v[2:3], v[2:3], v[69:70]
	v_add_f64_e32 v[69:70], v[77:78], v[71:72]
	s_delay_alu instid0(VALU_DEP_4) | instskip(NEXT) | instid1(VALU_DEP_4)
	v_fma_f64 v[10:11], v[10:11], v[109:110], v[79:80]
	v_fma_f64 v[8:9], v[8:9], v[109:110], -v[85:86]
	s_delay_alu instid0(VALU_DEP_4) | instskip(NEXT) | instid1(VALU_DEP_4)
	v_add_f64_e32 v[2:3], v[2:3], v[6:7]
	v_add_f64_e32 v[6:7], v[69:70], v[75:76]
	s_delay_alu instid0(VALU_DEP_2) | instskip(NEXT) | instid1(VALU_DEP_2)
	v_add_f64_e32 v[2:3], v[2:3], v[8:9]
	v_add_f64_e32 v[8:9], v[6:7], v[10:11]
	s_delay_alu instid0(VALU_DEP_2) | instskip(NEXT) | instid1(VALU_DEP_2)
	v_add_f64_e64 v[6:7], v[105:106], -v[2:3]
	v_add_f64_e64 v[8:9], v[107:108], -v[8:9]
	scratch_store_b128 off, v[6:9], off offset:112
	v_cmpx_lt_u32_e32 5, v0
	s_cbranch_execz .LBB91_171
; %bb.170:
	scratch_load_b128 v[6:9], off, s4
	v_dual_mov_b32 v2, v1 :: v_dual_mov_b32 v3, v1
	v_mov_b32_e32 v4, v1
	scratch_store_b128 off, v[1:4], off offset:96
	s_wait_loadcnt 0x0
	ds_store_b128 v5, v[6:9]
.LBB91_171:
	s_wait_alu 0xfffe
	s_or_b32 exec_lo, exec_lo, s0
	s_wait_storecnt_dscnt 0x0
	s_barrier_signal -1
	s_barrier_wait -1
	global_inv scope:SCOPE_SE
	s_clause 0x8
	scratch_load_b128 v[6:9], off, off offset:112
	scratch_load_b128 v[69:72], off, off offset:128
	;; [unrolled: 1-line block ×9, first 2 shown]
	ds_load_b128 v[101:104], v1 offset:544
	ds_load_b128 v[105:108], v1 offset:560
	scratch_load_b128 v[109:112], off, off offset:96
	s_mov_b32 s0, exec_lo
	ds_load_b128 v[117:120], v1 offset:592
	s_wait_loadcnt_dscnt 0x902
	v_mul_f64_e32 v[2:3], v[103:104], v[8:9]
	v_mul_f64_e32 v[113:114], v[101:102], v[8:9]
	scratch_load_b128 v[8:11], off, off offset:256
	s_wait_loadcnt_dscnt 0x901
	v_mul_f64_e32 v[121:122], v[105:106], v[71:72]
	v_mul_f64_e32 v[71:72], v[107:108], v[71:72]
	v_fma_f64 v[2:3], v[101:102], v[6:7], -v[2:3]
	v_fma_f64 v[6:7], v[103:104], v[6:7], v[113:114]
	ds_load_b128 v[101:104], v1 offset:576
	scratch_load_b128 v[113:116], off, off offset:272
	v_fma_f64 v[107:108], v[107:108], v[69:70], v[121:122]
	v_fma_f64 v[105:106], v[105:106], v[69:70], -v[71:72]
	scratch_load_b128 v[69:72], off, off offset:288
	s_wait_loadcnt_dscnt 0x901
	v_mul_f64_e32 v[121:122], v[117:118], v[79:80]
	v_mul_f64_e32 v[79:80], v[119:120], v[79:80]
	s_wait_dscnt 0x0
	v_mul_f64_e32 v[123:124], v[101:102], v[75:76]
	v_mul_f64_e32 v[75:76], v[103:104], v[75:76]
	v_add_f64_e32 v[2:3], 0, v[2:3]
	v_add_f64_e32 v[6:7], 0, v[6:7]
	v_fma_f64 v[119:120], v[119:120], v[77:78], v[121:122]
	v_fma_f64 v[117:118], v[117:118], v[77:78], -v[79:80]
	scratch_load_b128 v[77:80], off, off offset:320
	v_fma_f64 v[123:124], v[103:104], v[73:74], v[123:124]
	v_fma_f64 v[125:126], v[101:102], v[73:74], -v[75:76]
	ds_load_b128 v[73:76], v1 offset:608
	scratch_load_b128 v[101:104], off, off offset:304
	v_add_f64_e32 v[2:3], v[2:3], v[105:106]
	v_add_f64_e32 v[6:7], v[6:7], v[107:108]
	ds_load_b128 v[105:108], v1 offset:624
	s_wait_loadcnt_dscnt 0xa01
	v_mul_f64_e32 v[127:128], v[73:74], v[83:84]
	v_mul_f64_e32 v[83:84], v[75:76], v[83:84]
	s_wait_loadcnt_dscnt 0x900
	v_mul_f64_e32 v[121:122], v[105:106], v[87:88]
	v_mul_f64_e32 v[87:88], v[107:108], v[87:88]
	v_add_f64_e32 v[2:3], v[2:3], v[125:126]
	v_add_f64_e32 v[6:7], v[6:7], v[123:124]
	v_fma_f64 v[123:124], v[75:76], v[81:82], v[127:128]
	v_fma_f64 v[125:126], v[73:74], v[81:82], -v[83:84]
	ds_load_b128 v[73:76], v1 offset:640
	scratch_load_b128 v[81:84], off, off offset:336
	v_fma_f64 v[107:108], v[107:108], v[85:86], v[121:122]
	v_fma_f64 v[105:106], v[105:106], v[85:86], -v[87:88]
	scratch_load_b128 v[85:88], off, off offset:352
	v_add_f64_e32 v[2:3], v[2:3], v[117:118]
	v_add_f64_e32 v[6:7], v[6:7], v[119:120]
	ds_load_b128 v[117:120], v1 offset:656
	s_wait_loadcnt_dscnt 0xa01
	v_mul_f64_e32 v[127:128], v[73:74], v[91:92]
	v_mul_f64_e32 v[91:92], v[75:76], v[91:92]
	s_wait_loadcnt_dscnt 0x900
	v_mul_f64_e32 v[121:122], v[117:118], v[95:96]
	v_mul_f64_e32 v[95:96], v[119:120], v[95:96]
	v_add_f64_e32 v[2:3], v[2:3], v[125:126]
	v_add_f64_e32 v[6:7], v[6:7], v[123:124]
	v_fma_f64 v[123:124], v[75:76], v[89:90], v[127:128]
	v_fma_f64 v[125:126], v[73:74], v[89:90], -v[91:92]
	ds_load_b128 v[73:76], v1 offset:672
	scratch_load_b128 v[89:92], off, off offset:368
	v_fma_f64 v[119:120], v[119:120], v[93:94], v[121:122]
	v_fma_f64 v[117:118], v[117:118], v[93:94], -v[95:96]
	scratch_load_b128 v[93:96], off, off offset:384
	v_add_f64_e32 v[2:3], v[2:3], v[105:106]
	v_add_f64_e32 v[6:7], v[6:7], v[107:108]
	ds_load_b128 v[105:108], v1 offset:688
	s_wait_loadcnt_dscnt 0xa01
	v_mul_f64_e32 v[127:128], v[73:74], v[99:100]
	v_mul_f64_e32 v[99:100], v[75:76], v[99:100]
	v_add_f64_e32 v[2:3], v[2:3], v[125:126]
	v_add_f64_e32 v[6:7], v[6:7], v[123:124]
	s_delay_alu instid0(VALU_DEP_4) | instskip(NEXT) | instid1(VALU_DEP_4)
	v_fma_f64 v[123:124], v[75:76], v[97:98], v[127:128]
	v_fma_f64 v[125:126], v[73:74], v[97:98], -v[99:100]
	ds_load_b128 v[73:76], v1 offset:704
	scratch_load_b128 v[97:100], off, off offset:400
	s_wait_loadcnt_dscnt 0x901
	v_mul_f64_e32 v[121:122], v[105:106], v[10:11]
	v_mul_f64_e32 v[10:11], v[107:108], v[10:11]
	v_add_f64_e32 v[2:3], v[2:3], v[117:118]
	v_add_f64_e32 v[6:7], v[6:7], v[119:120]
	ds_load_b128 v[117:120], v1 offset:720
	v_fma_f64 v[107:108], v[107:108], v[8:9], v[121:122]
	s_wait_loadcnt_dscnt 0x801
	v_mul_f64_e32 v[127:128], v[73:74], v[115:116]
	v_mul_f64_e32 v[115:116], v[75:76], v[115:116]
	v_fma_f64 v[10:11], v[105:106], v[8:9], -v[10:11]
	s_wait_loadcnt_dscnt 0x700
	v_mul_f64_e32 v[121:122], v[117:118], v[71:72]
	v_add_f64_e32 v[2:3], v[2:3], v[125:126]
	v_add_f64_e32 v[105:106], v[6:7], v[123:124]
	scratch_load_b128 v[6:9], off, off offset:416
	v_mul_f64_e32 v[123:124], v[119:120], v[71:72]
	v_fma_f64 v[75:76], v[75:76], v[113:114], v[127:128]
	v_fma_f64 v[125:126], v[73:74], v[113:114], -v[115:116]
	ds_load_b128 v[71:74], v1 offset:736
	ds_load_b128 v[113:116], v1 offset:752
	v_fma_f64 v[121:122], v[119:120], v[69:70], v[121:122]
	v_add_f64_e32 v[2:3], v[2:3], v[10:11]
	v_add_f64_e32 v[10:11], v[105:106], v[107:108]
	scratch_load_b128 v[105:108], off, off offset:432
	s_wait_loadcnt_dscnt 0x701
	v_mul_f64_e32 v[127:128], v[71:72], v[103:104]
	v_mul_f64_e32 v[103:104], v[73:74], v[103:104]
	v_fma_f64 v[69:70], v[117:118], v[69:70], -v[123:124]
	scratch_load_b128 v[117:120], off, off offset:448
	s_wait_dscnt 0x0
	v_mul_f64_e32 v[123:124], v[113:114], v[79:80]
	v_mul_f64_e32 v[79:80], v[115:116], v[79:80]
	v_add_f64_e32 v[2:3], v[2:3], v[125:126]
	v_add_f64_e32 v[10:11], v[10:11], v[75:76]
	v_fma_f64 v[125:126], v[73:74], v[101:102], v[127:128]
	v_fma_f64 v[101:102], v[71:72], v[101:102], -v[103:104]
	v_fma_f64 v[115:116], v[115:116], v[77:78], v[123:124]
	v_fma_f64 v[77:78], v[113:114], v[77:78], -v[79:80]
	v_add_f64_e32 v[2:3], v[2:3], v[69:70]
	v_add_f64_e32 v[10:11], v[10:11], v[121:122]
	ds_load_b128 v[69:72], v1 offset:768
	ds_load_b128 v[73:76], v1 offset:784
	s_wait_loadcnt_dscnt 0x701
	v_mul_f64_e32 v[103:104], v[69:70], v[83:84]
	v_mul_f64_e32 v[83:84], v[71:72], v[83:84]
	v_add_f64_e32 v[2:3], v[2:3], v[101:102]
	v_add_f64_e32 v[10:11], v[10:11], v[125:126]
	s_wait_loadcnt_dscnt 0x600
	v_mul_f64_e32 v[101:102], v[73:74], v[87:88]
	v_mul_f64_e32 v[87:88], v[75:76], v[87:88]
	v_fma_f64 v[103:104], v[71:72], v[81:82], v[103:104]
	v_fma_f64 v[81:82], v[69:70], v[81:82], -v[83:84]
	v_add_f64_e32 v[2:3], v[2:3], v[77:78]
	v_add_f64_e32 v[10:11], v[10:11], v[115:116]
	ds_load_b128 v[69:72], v1 offset:800
	ds_load_b128 v[77:80], v1 offset:816
	v_fma_f64 v[75:76], v[75:76], v[85:86], v[101:102]
	v_fma_f64 v[73:74], v[73:74], v[85:86], -v[87:88]
	s_wait_loadcnt_dscnt 0x501
	v_mul_f64_e32 v[83:84], v[69:70], v[91:92]
	v_mul_f64_e32 v[91:92], v[71:72], v[91:92]
	s_wait_loadcnt_dscnt 0x400
	v_mul_f64_e32 v[85:86], v[79:80], v[95:96]
	v_add_f64_e32 v[2:3], v[2:3], v[81:82]
	v_add_f64_e32 v[10:11], v[10:11], v[103:104]
	v_mul_f64_e32 v[81:82], v[77:78], v[95:96]
	v_fma_f64 v[83:84], v[71:72], v[89:90], v[83:84]
	v_fma_f64 v[87:88], v[69:70], v[89:90], -v[91:92]
	v_fma_f64 v[77:78], v[77:78], v[93:94], -v[85:86]
	v_add_f64_e32 v[2:3], v[2:3], v[73:74]
	v_add_f64_e32 v[10:11], v[10:11], v[75:76]
	ds_load_b128 v[69:72], v1 offset:832
	ds_load_b128 v[73:76], v1 offset:848
	v_fma_f64 v[79:80], v[79:80], v[93:94], v[81:82]
	s_wait_loadcnt_dscnt 0x301
	v_mul_f64_e32 v[89:90], v[69:70], v[99:100]
	v_mul_f64_e32 v[91:92], v[71:72], v[99:100]
	v_add_f64_e32 v[2:3], v[2:3], v[87:88]
	v_add_f64_e32 v[10:11], v[10:11], v[83:84]
	s_wait_loadcnt_dscnt 0x200
	v_mul_f64_e32 v[81:82], v[73:74], v[8:9]
	v_mul_f64_e32 v[83:84], v[75:76], v[8:9]
	v_fma_f64 v[71:72], v[71:72], v[97:98], v[89:90]
	v_fma_f64 v[69:70], v[69:70], v[97:98], -v[91:92]
	v_add_f64_e32 v[77:78], v[2:3], v[77:78]
	v_add_f64_e32 v[79:80], v[10:11], v[79:80]
	ds_load_b128 v[8:11], v1 offset:864
	ds_load_b128 v[1:4], v1 offset:880
	v_fma_f64 v[75:76], v[75:76], v[6:7], v[81:82]
	v_fma_f64 v[6:7], v[73:74], v[6:7], -v[83:84]
	s_wait_loadcnt_dscnt 0x101
	v_mul_f64_e32 v[85:86], v[8:9], v[107:108]
	v_mul_f64_e32 v[87:88], v[10:11], v[107:108]
	s_wait_loadcnt_dscnt 0x0
	v_mul_f64_e32 v[73:74], v[1:2], v[119:120]
	v_add_f64_e32 v[69:70], v[77:78], v[69:70]
	v_add_f64_e32 v[71:72], v[79:80], v[71:72]
	v_mul_f64_e32 v[77:78], v[3:4], v[119:120]
	v_fma_f64 v[10:11], v[10:11], v[105:106], v[85:86]
	v_fma_f64 v[8:9], v[8:9], v[105:106], -v[87:88]
	v_fma_f64 v[3:4], v[3:4], v[117:118], v[73:74]
	v_add_f64_e32 v[6:7], v[69:70], v[6:7]
	v_add_f64_e32 v[69:70], v[71:72], v[75:76]
	v_fma_f64 v[1:2], v[1:2], v[117:118], -v[77:78]
	s_delay_alu instid0(VALU_DEP_3) | instskip(NEXT) | instid1(VALU_DEP_3)
	v_add_f64_e32 v[6:7], v[6:7], v[8:9]
	v_add_f64_e32 v[8:9], v[69:70], v[10:11]
	s_delay_alu instid0(VALU_DEP_2) | instskip(NEXT) | instid1(VALU_DEP_2)
	v_add_f64_e32 v[1:2], v[6:7], v[1:2]
	v_add_f64_e32 v[3:4], v[8:9], v[3:4]
	s_delay_alu instid0(VALU_DEP_2) | instskip(NEXT) | instid1(VALU_DEP_2)
	v_add_f64_e64 v[1:2], v[109:110], -v[1:2]
	v_add_f64_e64 v[3:4], v[111:112], -v[3:4]
	scratch_store_b128 off, v[1:4], off offset:96
	v_cmpx_lt_u32_e32 4, v0
	s_cbranch_execz .LBB91_173
; %bb.172:
	scratch_load_b128 v[1:4], off, s22
	v_mov_b32_e32 v6, 0
	s_delay_alu instid0(VALU_DEP_1)
	v_dual_mov_b32 v7, v6 :: v_dual_mov_b32 v8, v6
	v_mov_b32_e32 v9, v6
	scratch_store_b128 off, v[6:9], off offset:80
	s_wait_loadcnt 0x0
	ds_store_b128 v5, v[1:4]
.LBB91_173:
	s_wait_alu 0xfffe
	s_or_b32 exec_lo, exec_lo, s0
	s_wait_storecnt_dscnt 0x0
	s_barrier_signal -1
	s_barrier_wait -1
	global_inv scope:SCOPE_SE
	s_clause 0x7
	scratch_load_b128 v[6:9], off, off offset:96
	scratch_load_b128 v[69:72], off, off offset:112
	;; [unrolled: 1-line block ×8, first 2 shown]
	v_mov_b32_e32 v1, 0
	s_mov_b32 s0, exec_lo
	ds_load_b128 v[97:100], v1 offset:528
	s_clause 0x1
	scratch_load_b128 v[101:104], off, off offset:224
	scratch_load_b128 v[105:108], off, off offset:80
	ds_load_b128 v[109:112], v1 offset:544
	ds_load_b128 v[117:120], v1 offset:576
	s_wait_loadcnt_dscnt 0x902
	v_mul_f64_e32 v[2:3], v[99:100], v[8:9]
	v_mul_f64_e32 v[113:114], v[97:98], v[8:9]
	scratch_load_b128 v[8:11], off, off offset:240
	v_fma_f64 v[2:3], v[97:98], v[6:7], -v[2:3]
	v_fma_f64 v[6:7], v[99:100], v[6:7], v[113:114]
	ds_load_b128 v[97:100], v1 offset:560
	s_wait_loadcnt_dscnt 0x902
	v_mul_f64_e32 v[121:122], v[109:110], v[71:72]
	v_mul_f64_e32 v[71:72], v[111:112], v[71:72]
	scratch_load_b128 v[113:116], off, off offset:256
	s_wait_loadcnt_dscnt 0x900
	v_mul_f64_e32 v[123:124], v[97:98], v[75:76]
	v_mul_f64_e32 v[75:76], v[99:100], v[75:76]
	v_add_f64_e32 v[2:3], 0, v[2:3]
	v_add_f64_e32 v[6:7], 0, v[6:7]
	v_fma_f64 v[111:112], v[111:112], v[69:70], v[121:122]
	v_fma_f64 v[109:110], v[109:110], v[69:70], -v[71:72]
	scratch_load_b128 v[69:72], off, off offset:272
	v_fma_f64 v[123:124], v[99:100], v[73:74], v[123:124]
	v_fma_f64 v[125:126], v[97:98], v[73:74], -v[75:76]
	ds_load_b128 v[73:76], v1 offset:592
	s_wait_loadcnt 0x9
	v_mul_f64_e32 v[121:122], v[117:118], v[79:80]
	v_mul_f64_e32 v[79:80], v[119:120], v[79:80]
	scratch_load_b128 v[97:100], off, off offset:288
	v_add_f64_e32 v[6:7], v[6:7], v[111:112]
	v_add_f64_e32 v[2:3], v[2:3], v[109:110]
	ds_load_b128 v[109:112], v1 offset:608
	s_wait_loadcnt_dscnt 0x901
	v_mul_f64_e32 v[127:128], v[73:74], v[83:84]
	v_mul_f64_e32 v[83:84], v[75:76], v[83:84]
	v_fma_f64 v[119:120], v[119:120], v[77:78], v[121:122]
	v_fma_f64 v[117:118], v[117:118], v[77:78], -v[79:80]
	scratch_load_b128 v[77:80], off, off offset:304
	v_add_f64_e32 v[6:7], v[6:7], v[123:124]
	v_add_f64_e32 v[2:3], v[2:3], v[125:126]
	v_fma_f64 v[123:124], v[75:76], v[81:82], v[127:128]
	v_fma_f64 v[125:126], v[73:74], v[81:82], -v[83:84]
	ds_load_b128 v[73:76], v1 offset:624
	s_wait_loadcnt_dscnt 0x901
	v_mul_f64_e32 v[121:122], v[109:110], v[87:88]
	v_mul_f64_e32 v[87:88], v[111:112], v[87:88]
	scratch_load_b128 v[81:84], off, off offset:320
	s_wait_loadcnt_dscnt 0x900
	v_mul_f64_e32 v[127:128], v[73:74], v[91:92]
	v_mul_f64_e32 v[91:92], v[75:76], v[91:92]
	v_add_f64_e32 v[6:7], v[6:7], v[119:120]
	v_add_f64_e32 v[2:3], v[2:3], v[117:118]
	ds_load_b128 v[117:120], v1 offset:640
	v_fma_f64 v[111:112], v[111:112], v[85:86], v[121:122]
	v_fma_f64 v[109:110], v[109:110], v[85:86], -v[87:88]
	scratch_load_b128 v[85:88], off, off offset:336
	v_add_f64_e32 v[6:7], v[6:7], v[123:124]
	v_add_f64_e32 v[2:3], v[2:3], v[125:126]
	v_fma_f64 v[123:124], v[75:76], v[89:90], v[127:128]
	v_fma_f64 v[125:126], v[73:74], v[89:90], -v[91:92]
	ds_load_b128 v[73:76], v1 offset:656
	s_wait_loadcnt_dscnt 0x901
	v_mul_f64_e32 v[121:122], v[117:118], v[95:96]
	v_mul_f64_e32 v[95:96], v[119:120], v[95:96]
	scratch_load_b128 v[89:92], off, off offset:352
	s_wait_loadcnt_dscnt 0x900
	v_mul_f64_e32 v[127:128], v[73:74], v[103:104]
	v_mul_f64_e32 v[103:104], v[75:76], v[103:104]
	v_add_f64_e32 v[6:7], v[6:7], v[111:112]
	v_add_f64_e32 v[2:3], v[2:3], v[109:110]
	ds_load_b128 v[109:112], v1 offset:672
	v_fma_f64 v[119:120], v[119:120], v[93:94], v[121:122]
	v_fma_f64 v[117:118], v[117:118], v[93:94], -v[95:96]
	scratch_load_b128 v[93:96], off, off offset:368
	v_add_f64_e32 v[6:7], v[6:7], v[123:124]
	v_add_f64_e32 v[2:3], v[2:3], v[125:126]
	v_fma_f64 v[123:124], v[75:76], v[101:102], v[127:128]
	v_fma_f64 v[125:126], v[73:74], v[101:102], -v[103:104]
	ds_load_b128 v[73:76], v1 offset:688
	scratch_load_b128 v[101:104], off, off offset:384
	s_wait_loadcnt_dscnt 0x901
	v_mul_f64_e32 v[121:122], v[109:110], v[10:11]
	v_mul_f64_e32 v[10:11], v[111:112], v[10:11]
	v_add_f64_e32 v[6:7], v[6:7], v[119:120]
	v_add_f64_e32 v[2:3], v[2:3], v[117:118]
	ds_load_b128 v[117:120], v1 offset:704
	v_fma_f64 v[111:112], v[111:112], v[8:9], v[121:122]
	v_fma_f64 v[10:11], v[109:110], v[8:9], -v[10:11]
	s_wait_loadcnt_dscnt 0x801
	v_mul_f64_e32 v[127:128], v[73:74], v[115:116]
	v_mul_f64_e32 v[115:116], v[75:76], v[115:116]
	v_add_f64_e32 v[109:110], v[6:7], v[123:124]
	v_add_f64_e32 v[2:3], v[2:3], v[125:126]
	scratch_load_b128 v[6:9], off, off offset:400
	v_fma_f64 v[75:76], v[75:76], v[113:114], v[127:128]
	v_fma_f64 v[125:126], v[73:74], v[113:114], -v[115:116]
	ds_load_b128 v[113:116], v1 offset:736
	s_wait_loadcnt_dscnt 0x801
	v_mul_f64_e32 v[121:122], v[117:118], v[71:72]
	v_mul_f64_e32 v[123:124], v[119:120], v[71:72]
	ds_load_b128 v[71:74], v1 offset:720
	v_add_f64_e32 v[2:3], v[2:3], v[10:11]
	v_add_f64_e32 v[10:11], v[109:110], v[111:112]
	scratch_load_b128 v[109:112], off, off offset:416
	s_wait_loadcnt_dscnt 0x800
	v_mul_f64_e32 v[127:128], v[71:72], v[99:100]
	v_mul_f64_e32 v[99:100], v[73:74], v[99:100]
	v_fma_f64 v[121:122], v[119:120], v[69:70], v[121:122]
	v_fma_f64 v[69:70], v[117:118], v[69:70], -v[123:124]
	scratch_load_b128 v[117:120], off, off offset:432
	v_add_f64_e32 v[2:3], v[2:3], v[125:126]
	v_add_f64_e32 v[10:11], v[10:11], v[75:76]
	s_wait_loadcnt 0x8
	v_mul_f64_e32 v[123:124], v[113:114], v[79:80]
	v_mul_f64_e32 v[79:80], v[115:116], v[79:80]
	v_fma_f64 v[125:126], v[73:74], v[97:98], v[127:128]
	v_fma_f64 v[127:128], v[71:72], v[97:98], -v[99:100]
	scratch_load_b128 v[73:76], off, off offset:448
	ds_load_b128 v[97:100], v1 offset:768
	v_add_f64_e32 v[2:3], v[2:3], v[69:70]
	v_add_f64_e32 v[10:11], v[10:11], v[121:122]
	ds_load_b128 v[69:72], v1 offset:752
	v_fma_f64 v[115:116], v[115:116], v[77:78], v[123:124]
	v_fma_f64 v[77:78], v[113:114], v[77:78], -v[79:80]
	s_wait_loadcnt_dscnt 0x800
	v_mul_f64_e32 v[121:122], v[69:70], v[83:84]
	v_mul_f64_e32 v[83:84], v[71:72], v[83:84]
	s_wait_loadcnt 0x7
	v_mul_f64_e32 v[113:114], v[97:98], v[87:88]
	v_mul_f64_e32 v[87:88], v[99:100], v[87:88]
	v_add_f64_e32 v[2:3], v[2:3], v[127:128]
	v_add_f64_e32 v[10:11], v[10:11], v[125:126]
	v_fma_f64 v[121:122], v[71:72], v[81:82], v[121:122]
	v_fma_f64 v[81:82], v[69:70], v[81:82], -v[83:84]
	v_fma_f64 v[99:100], v[99:100], v[85:86], v[113:114]
	v_fma_f64 v[85:86], v[97:98], v[85:86], -v[87:88]
	v_add_f64_e32 v[2:3], v[2:3], v[77:78]
	v_add_f64_e32 v[10:11], v[10:11], v[115:116]
	ds_load_b128 v[69:72], v1 offset:784
	ds_load_b128 v[77:80], v1 offset:800
	s_wait_loadcnt_dscnt 0x601
	v_mul_f64_e32 v[83:84], v[69:70], v[91:92]
	v_mul_f64_e32 v[91:92], v[71:72], v[91:92]
	s_wait_loadcnt_dscnt 0x500
	v_mul_f64_e32 v[87:88], v[77:78], v[95:96]
	v_mul_f64_e32 v[95:96], v[79:80], v[95:96]
	v_add_f64_e32 v[2:3], v[2:3], v[81:82]
	v_add_f64_e32 v[10:11], v[10:11], v[121:122]
	v_fma_f64 v[97:98], v[71:72], v[89:90], v[83:84]
	v_fma_f64 v[89:90], v[69:70], v[89:90], -v[91:92]
	ds_load_b128 v[69:72], v1 offset:816
	ds_load_b128 v[81:84], v1 offset:832
	v_fma_f64 v[79:80], v[79:80], v[93:94], v[87:88]
	v_fma_f64 v[77:78], v[77:78], v[93:94], -v[95:96]
	v_add_f64_e32 v[2:3], v[2:3], v[85:86]
	v_add_f64_e32 v[10:11], v[10:11], v[99:100]
	s_wait_loadcnt_dscnt 0x401
	v_mul_f64_e32 v[85:86], v[69:70], v[103:104]
	v_mul_f64_e32 v[91:92], v[71:72], v[103:104]
	s_delay_alu instid0(VALU_DEP_4) | instskip(NEXT) | instid1(VALU_DEP_4)
	v_add_f64_e32 v[2:3], v[2:3], v[89:90]
	v_add_f64_e32 v[10:11], v[10:11], v[97:98]
	s_delay_alu instid0(VALU_DEP_4) | instskip(NEXT) | instid1(VALU_DEP_4)
	v_fma_f64 v[85:86], v[71:72], v[101:102], v[85:86]
	v_fma_f64 v[91:92], v[69:70], v[101:102], -v[91:92]
	s_wait_loadcnt_dscnt 0x300
	v_mul_f64_e32 v[87:88], v[81:82], v[8:9]
	v_mul_f64_e32 v[89:90], v[83:84], v[8:9]
	v_add_f64_e32 v[2:3], v[2:3], v[77:78]
	v_add_f64_e32 v[77:78], v[10:11], v[79:80]
	ds_load_b128 v[8:11], v1 offset:848
	ds_load_b128 v[69:72], v1 offset:864
	v_fma_f64 v[83:84], v[83:84], v[6:7], v[87:88]
	v_fma_f64 v[6:7], v[81:82], v[6:7], -v[89:90]
	s_wait_loadcnt_dscnt 0x201
	v_mul_f64_e32 v[79:80], v[8:9], v[111:112]
	v_mul_f64_e32 v[93:94], v[10:11], v[111:112]
	s_wait_loadcnt_dscnt 0x100
	v_mul_f64_e32 v[81:82], v[69:70], v[119:120]
	v_add_f64_e32 v[2:3], v[2:3], v[91:92]
	v_add_f64_e32 v[77:78], v[77:78], v[85:86]
	v_mul_f64_e32 v[85:86], v[71:72], v[119:120]
	v_fma_f64 v[10:11], v[10:11], v[109:110], v[79:80]
	v_fma_f64 v[79:80], v[8:9], v[109:110], -v[93:94]
	v_fma_f64 v[71:72], v[71:72], v[117:118], v[81:82]
	v_add_f64_e32 v[2:3], v[2:3], v[6:7]
	v_add_f64_e32 v[77:78], v[77:78], v[83:84]
	ds_load_b128 v[6:9], v1 offset:880
	v_fma_f64 v[69:70], v[69:70], v[117:118], -v[85:86]
	s_wait_loadcnt_dscnt 0x0
	v_mul_f64_e32 v[83:84], v[6:7], v[75:76]
	v_mul_f64_e32 v[75:76], v[8:9], v[75:76]
	v_add_f64_e32 v[2:3], v[2:3], v[79:80]
	v_add_f64_e32 v[10:11], v[77:78], v[10:11]
	s_delay_alu instid0(VALU_DEP_4) | instskip(NEXT) | instid1(VALU_DEP_4)
	v_fma_f64 v[8:9], v[8:9], v[73:74], v[83:84]
	v_fma_f64 v[6:7], v[6:7], v[73:74], -v[75:76]
	s_delay_alu instid0(VALU_DEP_4) | instskip(NEXT) | instid1(VALU_DEP_4)
	v_add_f64_e32 v[2:3], v[2:3], v[69:70]
	v_add_f64_e32 v[10:11], v[10:11], v[71:72]
	s_delay_alu instid0(VALU_DEP_2) | instskip(NEXT) | instid1(VALU_DEP_2)
	v_add_f64_e32 v[2:3], v[2:3], v[6:7]
	v_add_f64_e32 v[8:9], v[10:11], v[8:9]
	s_delay_alu instid0(VALU_DEP_2) | instskip(NEXT) | instid1(VALU_DEP_2)
	v_add_f64_e64 v[6:7], v[105:106], -v[2:3]
	v_add_f64_e64 v[8:9], v[107:108], -v[8:9]
	scratch_store_b128 off, v[6:9], off offset:80
	v_cmpx_lt_u32_e32 3, v0
	s_cbranch_execz .LBB91_175
; %bb.174:
	scratch_load_b128 v[6:9], off, s21
	v_dual_mov_b32 v2, v1 :: v_dual_mov_b32 v3, v1
	v_mov_b32_e32 v4, v1
	scratch_store_b128 off, v[1:4], off offset:64
	s_wait_loadcnt 0x0
	ds_store_b128 v5, v[6:9]
.LBB91_175:
	s_wait_alu 0xfffe
	s_or_b32 exec_lo, exec_lo, s0
	s_wait_storecnt_dscnt 0x0
	s_barrier_signal -1
	s_barrier_wait -1
	global_inv scope:SCOPE_SE
	s_clause 0x8
	scratch_load_b128 v[6:9], off, off offset:80
	scratch_load_b128 v[69:72], off, off offset:96
	;; [unrolled: 1-line block ×9, first 2 shown]
	ds_load_b128 v[101:104], v1 offset:512
	ds_load_b128 v[105:108], v1 offset:528
	scratch_load_b128 v[109:112], off, off offset:64
	s_mov_b32 s0, exec_lo
	ds_load_b128 v[117:120], v1 offset:560
	s_wait_loadcnt_dscnt 0x902
	v_mul_f64_e32 v[2:3], v[103:104], v[8:9]
	v_mul_f64_e32 v[113:114], v[101:102], v[8:9]
	scratch_load_b128 v[8:11], off, off offset:224
	s_wait_loadcnt_dscnt 0x901
	v_mul_f64_e32 v[121:122], v[105:106], v[71:72]
	v_mul_f64_e32 v[71:72], v[107:108], v[71:72]
	v_fma_f64 v[2:3], v[101:102], v[6:7], -v[2:3]
	v_fma_f64 v[6:7], v[103:104], v[6:7], v[113:114]
	ds_load_b128 v[101:104], v1 offset:544
	scratch_load_b128 v[113:116], off, off offset:240
	v_fma_f64 v[107:108], v[107:108], v[69:70], v[121:122]
	v_fma_f64 v[105:106], v[105:106], v[69:70], -v[71:72]
	scratch_load_b128 v[69:72], off, off offset:256
	s_wait_loadcnt_dscnt 0x901
	v_mul_f64_e32 v[121:122], v[117:118], v[79:80]
	v_mul_f64_e32 v[79:80], v[119:120], v[79:80]
	s_wait_dscnt 0x0
	v_mul_f64_e32 v[123:124], v[101:102], v[75:76]
	v_mul_f64_e32 v[75:76], v[103:104], v[75:76]
	v_add_f64_e32 v[2:3], 0, v[2:3]
	v_add_f64_e32 v[6:7], 0, v[6:7]
	v_fma_f64 v[119:120], v[119:120], v[77:78], v[121:122]
	v_fma_f64 v[117:118], v[117:118], v[77:78], -v[79:80]
	scratch_load_b128 v[77:80], off, off offset:288
	v_fma_f64 v[123:124], v[103:104], v[73:74], v[123:124]
	v_fma_f64 v[125:126], v[101:102], v[73:74], -v[75:76]
	ds_load_b128 v[73:76], v1 offset:576
	scratch_load_b128 v[101:104], off, off offset:272
	v_add_f64_e32 v[2:3], v[2:3], v[105:106]
	v_add_f64_e32 v[6:7], v[6:7], v[107:108]
	ds_load_b128 v[105:108], v1 offset:592
	s_wait_loadcnt_dscnt 0xa01
	v_mul_f64_e32 v[127:128], v[73:74], v[83:84]
	v_mul_f64_e32 v[83:84], v[75:76], v[83:84]
	s_wait_loadcnt_dscnt 0x900
	v_mul_f64_e32 v[121:122], v[105:106], v[87:88]
	v_mul_f64_e32 v[87:88], v[107:108], v[87:88]
	v_add_f64_e32 v[2:3], v[2:3], v[125:126]
	v_add_f64_e32 v[6:7], v[6:7], v[123:124]
	v_fma_f64 v[123:124], v[75:76], v[81:82], v[127:128]
	v_fma_f64 v[125:126], v[73:74], v[81:82], -v[83:84]
	ds_load_b128 v[73:76], v1 offset:608
	scratch_load_b128 v[81:84], off, off offset:304
	v_fma_f64 v[107:108], v[107:108], v[85:86], v[121:122]
	v_fma_f64 v[105:106], v[105:106], v[85:86], -v[87:88]
	scratch_load_b128 v[85:88], off, off offset:320
	v_add_f64_e32 v[2:3], v[2:3], v[117:118]
	v_add_f64_e32 v[6:7], v[6:7], v[119:120]
	ds_load_b128 v[117:120], v1 offset:624
	s_wait_loadcnt_dscnt 0xa01
	v_mul_f64_e32 v[127:128], v[73:74], v[91:92]
	v_mul_f64_e32 v[91:92], v[75:76], v[91:92]
	s_wait_loadcnt_dscnt 0x900
	v_mul_f64_e32 v[121:122], v[117:118], v[95:96]
	v_mul_f64_e32 v[95:96], v[119:120], v[95:96]
	v_add_f64_e32 v[2:3], v[2:3], v[125:126]
	v_add_f64_e32 v[6:7], v[6:7], v[123:124]
	v_fma_f64 v[123:124], v[75:76], v[89:90], v[127:128]
	v_fma_f64 v[125:126], v[73:74], v[89:90], -v[91:92]
	ds_load_b128 v[73:76], v1 offset:640
	scratch_load_b128 v[89:92], off, off offset:336
	v_fma_f64 v[119:120], v[119:120], v[93:94], v[121:122]
	v_fma_f64 v[117:118], v[117:118], v[93:94], -v[95:96]
	scratch_load_b128 v[93:96], off, off offset:352
	v_add_f64_e32 v[2:3], v[2:3], v[105:106]
	v_add_f64_e32 v[6:7], v[6:7], v[107:108]
	ds_load_b128 v[105:108], v1 offset:656
	s_wait_loadcnt_dscnt 0xa01
	v_mul_f64_e32 v[127:128], v[73:74], v[99:100]
	v_mul_f64_e32 v[99:100], v[75:76], v[99:100]
	v_add_f64_e32 v[2:3], v[2:3], v[125:126]
	v_add_f64_e32 v[6:7], v[6:7], v[123:124]
	s_delay_alu instid0(VALU_DEP_4) | instskip(NEXT) | instid1(VALU_DEP_4)
	v_fma_f64 v[123:124], v[75:76], v[97:98], v[127:128]
	v_fma_f64 v[125:126], v[73:74], v[97:98], -v[99:100]
	ds_load_b128 v[73:76], v1 offset:672
	scratch_load_b128 v[97:100], off, off offset:368
	s_wait_loadcnt_dscnt 0x901
	v_mul_f64_e32 v[121:122], v[105:106], v[10:11]
	v_mul_f64_e32 v[10:11], v[107:108], v[10:11]
	v_add_f64_e32 v[2:3], v[2:3], v[117:118]
	v_add_f64_e32 v[6:7], v[6:7], v[119:120]
	ds_load_b128 v[117:120], v1 offset:688
	v_fma_f64 v[107:108], v[107:108], v[8:9], v[121:122]
	s_wait_loadcnt_dscnt 0x801
	v_mul_f64_e32 v[127:128], v[73:74], v[115:116]
	v_mul_f64_e32 v[115:116], v[75:76], v[115:116]
	v_fma_f64 v[10:11], v[105:106], v[8:9], -v[10:11]
	s_wait_loadcnt_dscnt 0x700
	v_mul_f64_e32 v[121:122], v[117:118], v[71:72]
	v_add_f64_e32 v[2:3], v[2:3], v[125:126]
	v_add_f64_e32 v[105:106], v[6:7], v[123:124]
	scratch_load_b128 v[6:9], off, off offset:384
	v_mul_f64_e32 v[123:124], v[119:120], v[71:72]
	v_fma_f64 v[75:76], v[75:76], v[113:114], v[127:128]
	v_fma_f64 v[125:126], v[73:74], v[113:114], -v[115:116]
	ds_load_b128 v[71:74], v1 offset:704
	ds_load_b128 v[113:116], v1 offset:720
	v_fma_f64 v[121:122], v[119:120], v[69:70], v[121:122]
	v_add_f64_e32 v[2:3], v[2:3], v[10:11]
	v_add_f64_e32 v[10:11], v[105:106], v[107:108]
	scratch_load_b128 v[105:108], off, off offset:400
	s_wait_loadcnt_dscnt 0x701
	v_mul_f64_e32 v[127:128], v[71:72], v[103:104]
	v_mul_f64_e32 v[103:104], v[73:74], v[103:104]
	v_fma_f64 v[69:70], v[117:118], v[69:70], -v[123:124]
	scratch_load_b128 v[117:120], off, off offset:416
	s_wait_dscnt 0x0
	v_mul_f64_e32 v[123:124], v[113:114], v[79:80]
	v_mul_f64_e32 v[79:80], v[115:116], v[79:80]
	v_add_f64_e32 v[2:3], v[2:3], v[125:126]
	v_add_f64_e32 v[10:11], v[10:11], v[75:76]
	v_fma_f64 v[125:126], v[73:74], v[101:102], v[127:128]
	v_fma_f64 v[127:128], v[71:72], v[101:102], -v[103:104]
	scratch_load_b128 v[73:76], off, off offset:432
	ds_load_b128 v[101:104], v1 offset:752
	v_fma_f64 v[115:116], v[115:116], v[77:78], v[123:124]
	v_fma_f64 v[113:114], v[113:114], v[77:78], -v[79:80]
	scratch_load_b128 v[77:80], off, off offset:448
	v_add_f64_e32 v[2:3], v[2:3], v[69:70]
	v_add_f64_e32 v[10:11], v[10:11], v[121:122]
	ds_load_b128 v[69:72], v1 offset:736
	s_wait_loadcnt_dscnt 0x801
	v_mul_f64_e32 v[123:124], v[101:102], v[87:88]
	v_mul_f64_e32 v[87:88], v[103:104], v[87:88]
	s_wait_dscnt 0x0
	v_mul_f64_e32 v[121:122], v[69:70], v[83:84]
	v_mul_f64_e32 v[83:84], v[71:72], v[83:84]
	v_add_f64_e32 v[2:3], v[2:3], v[127:128]
	v_add_f64_e32 v[10:11], v[10:11], v[125:126]
	v_fma_f64 v[103:104], v[103:104], v[85:86], v[123:124]
	v_fma_f64 v[85:86], v[101:102], v[85:86], -v[87:88]
	v_fma_f64 v[121:122], v[71:72], v[81:82], v[121:122]
	v_fma_f64 v[125:126], v[69:70], v[81:82], -v[83:84]
	ds_load_b128 v[69:72], v1 offset:768
	ds_load_b128 v[81:84], v1 offset:784
	v_add_f64_e32 v[2:3], v[2:3], v[113:114]
	v_add_f64_e32 v[10:11], v[10:11], v[115:116]
	s_wait_loadcnt_dscnt 0x701
	v_mul_f64_e32 v[113:114], v[69:70], v[91:92]
	v_mul_f64_e32 v[91:92], v[71:72], v[91:92]
	s_wait_loadcnt_dscnt 0x600
	v_mul_f64_e32 v[101:102], v[81:82], v[95:96]
	v_mul_f64_e32 v[95:96], v[83:84], v[95:96]
	v_add_f64_e32 v[2:3], v[2:3], v[125:126]
	v_add_f64_e32 v[10:11], v[10:11], v[121:122]
	v_fma_f64 v[113:114], v[71:72], v[89:90], v[113:114]
	v_fma_f64 v[89:90], v[69:70], v[89:90], -v[91:92]
	v_fma_f64 v[83:84], v[83:84], v[93:94], v[101:102]
	v_fma_f64 v[81:82], v[81:82], v[93:94], -v[95:96]
	v_add_f64_e32 v[2:3], v[2:3], v[85:86]
	v_add_f64_e32 v[10:11], v[10:11], v[103:104]
	ds_load_b128 v[69:72], v1 offset:800
	ds_load_b128 v[85:88], v1 offset:816
	s_wait_loadcnt_dscnt 0x501
	v_mul_f64_e32 v[91:92], v[69:70], v[99:100]
	v_mul_f64_e32 v[99:100], v[71:72], v[99:100]
	v_add_f64_e32 v[2:3], v[2:3], v[89:90]
	v_add_f64_e32 v[10:11], v[10:11], v[113:114]
	s_wait_loadcnt_dscnt 0x400
	v_mul_f64_e32 v[89:90], v[85:86], v[8:9]
	v_mul_f64_e32 v[93:94], v[87:88], v[8:9]
	v_fma_f64 v[91:92], v[71:72], v[97:98], v[91:92]
	v_fma_f64 v[95:96], v[69:70], v[97:98], -v[99:100]
	v_add_f64_e32 v[2:3], v[2:3], v[81:82]
	v_add_f64_e32 v[81:82], v[10:11], v[83:84]
	ds_load_b128 v[8:11], v1 offset:832
	ds_load_b128 v[69:72], v1 offset:848
	v_fma_f64 v[87:88], v[87:88], v[6:7], v[89:90]
	v_fma_f64 v[6:7], v[85:86], v[6:7], -v[93:94]
	s_wait_loadcnt_dscnt 0x301
	v_mul_f64_e32 v[83:84], v[8:9], v[107:108]
	v_mul_f64_e32 v[97:98], v[10:11], v[107:108]
	s_wait_loadcnt_dscnt 0x200
	v_mul_f64_e32 v[85:86], v[69:70], v[119:120]
	v_mul_f64_e32 v[89:90], v[71:72], v[119:120]
	v_add_f64_e32 v[2:3], v[2:3], v[95:96]
	v_add_f64_e32 v[81:82], v[81:82], v[91:92]
	v_fma_f64 v[10:11], v[10:11], v[105:106], v[83:84]
	v_fma_f64 v[83:84], v[8:9], v[105:106], -v[97:98]
	v_fma_f64 v[71:72], v[71:72], v[117:118], v[85:86]
	v_fma_f64 v[69:70], v[69:70], v[117:118], -v[89:90]
	v_add_f64_e32 v[91:92], v[2:3], v[6:7]
	v_add_f64_e32 v[81:82], v[81:82], v[87:88]
	ds_load_b128 v[6:9], v1 offset:864
	ds_load_b128 v[1:4], v1 offset:880
	s_wait_loadcnt_dscnt 0x101
	v_mul_f64_e32 v[87:88], v[6:7], v[75:76]
	v_mul_f64_e32 v[75:76], v[8:9], v[75:76]
	v_add_f64_e32 v[83:84], v[91:92], v[83:84]
	v_add_f64_e32 v[10:11], v[81:82], v[10:11]
	s_wait_loadcnt_dscnt 0x0
	v_mul_f64_e32 v[81:82], v[1:2], v[79:80]
	v_mul_f64_e32 v[79:80], v[3:4], v[79:80]
	v_fma_f64 v[8:9], v[8:9], v[73:74], v[87:88]
	v_fma_f64 v[6:7], v[6:7], v[73:74], -v[75:76]
	v_add_f64_e32 v[69:70], v[83:84], v[69:70]
	v_add_f64_e32 v[10:11], v[10:11], v[71:72]
	v_fma_f64 v[3:4], v[3:4], v[77:78], v[81:82]
	v_fma_f64 v[1:2], v[1:2], v[77:78], -v[79:80]
	s_delay_alu instid0(VALU_DEP_4) | instskip(NEXT) | instid1(VALU_DEP_4)
	v_add_f64_e32 v[6:7], v[69:70], v[6:7]
	v_add_f64_e32 v[8:9], v[10:11], v[8:9]
	s_delay_alu instid0(VALU_DEP_2) | instskip(NEXT) | instid1(VALU_DEP_2)
	v_add_f64_e32 v[1:2], v[6:7], v[1:2]
	v_add_f64_e32 v[3:4], v[8:9], v[3:4]
	s_delay_alu instid0(VALU_DEP_2) | instskip(NEXT) | instid1(VALU_DEP_2)
	v_add_f64_e64 v[1:2], v[109:110], -v[1:2]
	v_add_f64_e64 v[3:4], v[111:112], -v[3:4]
	scratch_store_b128 off, v[1:4], off offset:64
	v_cmpx_lt_u32_e32 2, v0
	s_cbranch_execz .LBB91_177
; %bb.176:
	scratch_load_b128 v[1:4], off, s35
	v_mov_b32_e32 v6, 0
	s_delay_alu instid0(VALU_DEP_1)
	v_dual_mov_b32 v7, v6 :: v_dual_mov_b32 v8, v6
	v_mov_b32_e32 v9, v6
	scratch_store_b128 off, v[6:9], off offset:48
	s_wait_loadcnt 0x0
	ds_store_b128 v5, v[1:4]
.LBB91_177:
	s_wait_alu 0xfffe
	s_or_b32 exec_lo, exec_lo, s0
	s_wait_storecnt_dscnt 0x0
	s_barrier_signal -1
	s_barrier_wait -1
	global_inv scope:SCOPE_SE
	s_clause 0x7
	scratch_load_b128 v[6:9], off, off offset:64
	scratch_load_b128 v[69:72], off, off offset:80
	;; [unrolled: 1-line block ×8, first 2 shown]
	v_mov_b32_e32 v1, 0
	s_mov_b32 s0, exec_lo
	ds_load_b128 v[97:100], v1 offset:496
	s_clause 0x1
	scratch_load_b128 v[101:104], off, off offset:192
	scratch_load_b128 v[105:108], off, off offset:48
	ds_load_b128 v[109:112], v1 offset:512
	ds_load_b128 v[117:120], v1 offset:544
	s_wait_loadcnt_dscnt 0x902
	v_mul_f64_e32 v[2:3], v[99:100], v[8:9]
	v_mul_f64_e32 v[113:114], v[97:98], v[8:9]
	scratch_load_b128 v[8:11], off, off offset:208
	v_fma_f64 v[2:3], v[97:98], v[6:7], -v[2:3]
	v_fma_f64 v[6:7], v[99:100], v[6:7], v[113:114]
	ds_load_b128 v[97:100], v1 offset:528
	s_wait_loadcnt_dscnt 0x902
	v_mul_f64_e32 v[121:122], v[109:110], v[71:72]
	v_mul_f64_e32 v[71:72], v[111:112], v[71:72]
	scratch_load_b128 v[113:116], off, off offset:224
	s_wait_loadcnt_dscnt 0x900
	v_mul_f64_e32 v[123:124], v[97:98], v[75:76]
	v_mul_f64_e32 v[75:76], v[99:100], v[75:76]
	v_add_f64_e32 v[2:3], 0, v[2:3]
	v_add_f64_e32 v[6:7], 0, v[6:7]
	v_fma_f64 v[111:112], v[111:112], v[69:70], v[121:122]
	v_fma_f64 v[109:110], v[109:110], v[69:70], -v[71:72]
	scratch_load_b128 v[69:72], off, off offset:240
	v_fma_f64 v[123:124], v[99:100], v[73:74], v[123:124]
	v_fma_f64 v[125:126], v[97:98], v[73:74], -v[75:76]
	ds_load_b128 v[73:76], v1 offset:560
	s_wait_loadcnt 0x9
	v_mul_f64_e32 v[121:122], v[117:118], v[79:80]
	v_mul_f64_e32 v[79:80], v[119:120], v[79:80]
	scratch_load_b128 v[97:100], off, off offset:256
	v_add_f64_e32 v[6:7], v[6:7], v[111:112]
	v_add_f64_e32 v[2:3], v[2:3], v[109:110]
	ds_load_b128 v[109:112], v1 offset:576
	s_wait_loadcnt_dscnt 0x901
	v_mul_f64_e32 v[127:128], v[73:74], v[83:84]
	v_mul_f64_e32 v[83:84], v[75:76], v[83:84]
	v_fma_f64 v[119:120], v[119:120], v[77:78], v[121:122]
	v_fma_f64 v[117:118], v[117:118], v[77:78], -v[79:80]
	scratch_load_b128 v[77:80], off, off offset:272
	v_add_f64_e32 v[6:7], v[6:7], v[123:124]
	v_add_f64_e32 v[2:3], v[2:3], v[125:126]
	v_fma_f64 v[123:124], v[75:76], v[81:82], v[127:128]
	v_fma_f64 v[125:126], v[73:74], v[81:82], -v[83:84]
	ds_load_b128 v[73:76], v1 offset:592
	s_wait_loadcnt_dscnt 0x901
	v_mul_f64_e32 v[121:122], v[109:110], v[87:88]
	v_mul_f64_e32 v[87:88], v[111:112], v[87:88]
	scratch_load_b128 v[81:84], off, off offset:288
	s_wait_loadcnt_dscnt 0x900
	v_mul_f64_e32 v[127:128], v[73:74], v[91:92]
	v_mul_f64_e32 v[91:92], v[75:76], v[91:92]
	v_add_f64_e32 v[6:7], v[6:7], v[119:120]
	v_add_f64_e32 v[2:3], v[2:3], v[117:118]
	ds_load_b128 v[117:120], v1 offset:608
	v_fma_f64 v[111:112], v[111:112], v[85:86], v[121:122]
	v_fma_f64 v[109:110], v[109:110], v[85:86], -v[87:88]
	scratch_load_b128 v[85:88], off, off offset:304
	v_add_f64_e32 v[6:7], v[6:7], v[123:124]
	v_add_f64_e32 v[2:3], v[2:3], v[125:126]
	v_fma_f64 v[123:124], v[75:76], v[89:90], v[127:128]
	v_fma_f64 v[125:126], v[73:74], v[89:90], -v[91:92]
	ds_load_b128 v[73:76], v1 offset:624
	s_wait_loadcnt_dscnt 0x901
	v_mul_f64_e32 v[121:122], v[117:118], v[95:96]
	v_mul_f64_e32 v[95:96], v[119:120], v[95:96]
	scratch_load_b128 v[89:92], off, off offset:320
	s_wait_loadcnt_dscnt 0x900
	v_mul_f64_e32 v[127:128], v[73:74], v[103:104]
	v_mul_f64_e32 v[103:104], v[75:76], v[103:104]
	v_add_f64_e32 v[6:7], v[6:7], v[111:112]
	v_add_f64_e32 v[2:3], v[2:3], v[109:110]
	ds_load_b128 v[109:112], v1 offset:640
	v_fma_f64 v[119:120], v[119:120], v[93:94], v[121:122]
	v_fma_f64 v[117:118], v[117:118], v[93:94], -v[95:96]
	scratch_load_b128 v[93:96], off, off offset:336
	v_add_f64_e32 v[6:7], v[6:7], v[123:124]
	v_add_f64_e32 v[2:3], v[2:3], v[125:126]
	v_fma_f64 v[123:124], v[75:76], v[101:102], v[127:128]
	v_fma_f64 v[125:126], v[73:74], v[101:102], -v[103:104]
	ds_load_b128 v[73:76], v1 offset:656
	scratch_load_b128 v[101:104], off, off offset:352
	s_wait_loadcnt_dscnt 0x901
	v_mul_f64_e32 v[121:122], v[109:110], v[10:11]
	v_mul_f64_e32 v[10:11], v[111:112], v[10:11]
	v_add_f64_e32 v[6:7], v[6:7], v[119:120]
	v_add_f64_e32 v[2:3], v[2:3], v[117:118]
	ds_load_b128 v[117:120], v1 offset:672
	v_fma_f64 v[111:112], v[111:112], v[8:9], v[121:122]
	v_fma_f64 v[10:11], v[109:110], v[8:9], -v[10:11]
	s_wait_loadcnt_dscnt 0x801
	v_mul_f64_e32 v[127:128], v[73:74], v[115:116]
	v_mul_f64_e32 v[115:116], v[75:76], v[115:116]
	v_add_f64_e32 v[109:110], v[6:7], v[123:124]
	v_add_f64_e32 v[2:3], v[2:3], v[125:126]
	scratch_load_b128 v[6:9], off, off offset:368
	v_fma_f64 v[75:76], v[75:76], v[113:114], v[127:128]
	v_fma_f64 v[125:126], v[73:74], v[113:114], -v[115:116]
	ds_load_b128 v[113:116], v1 offset:704
	s_wait_loadcnt_dscnt 0x801
	v_mul_f64_e32 v[121:122], v[117:118], v[71:72]
	v_mul_f64_e32 v[123:124], v[119:120], v[71:72]
	ds_load_b128 v[71:74], v1 offset:688
	v_add_f64_e32 v[2:3], v[2:3], v[10:11]
	v_add_f64_e32 v[10:11], v[109:110], v[111:112]
	scratch_load_b128 v[109:112], off, off offset:384
	s_wait_loadcnt_dscnt 0x800
	v_mul_f64_e32 v[127:128], v[71:72], v[99:100]
	v_mul_f64_e32 v[99:100], v[73:74], v[99:100]
	v_fma_f64 v[121:122], v[119:120], v[69:70], v[121:122]
	v_fma_f64 v[69:70], v[117:118], v[69:70], -v[123:124]
	scratch_load_b128 v[117:120], off, off offset:400
	v_add_f64_e32 v[2:3], v[2:3], v[125:126]
	v_add_f64_e32 v[10:11], v[10:11], v[75:76]
	s_wait_loadcnt 0x8
	v_mul_f64_e32 v[123:124], v[113:114], v[79:80]
	v_mul_f64_e32 v[79:80], v[115:116], v[79:80]
	v_fma_f64 v[125:126], v[73:74], v[97:98], v[127:128]
	v_fma_f64 v[127:128], v[71:72], v[97:98], -v[99:100]
	scratch_load_b128 v[73:76], off, off offset:416
	ds_load_b128 v[97:100], v1 offset:736
	v_add_f64_e32 v[2:3], v[2:3], v[69:70]
	v_add_f64_e32 v[10:11], v[10:11], v[121:122]
	ds_load_b128 v[69:72], v1 offset:720
	v_fma_f64 v[115:116], v[115:116], v[77:78], v[123:124]
	v_fma_f64 v[113:114], v[113:114], v[77:78], -v[79:80]
	scratch_load_b128 v[77:80], off, off offset:432
	s_wait_loadcnt_dscnt 0x900
	v_mul_f64_e32 v[121:122], v[69:70], v[83:84]
	v_mul_f64_e32 v[83:84], v[71:72], v[83:84]
	s_wait_loadcnt 0x8
	v_mul_f64_e32 v[123:124], v[97:98], v[87:88]
	v_mul_f64_e32 v[87:88], v[99:100], v[87:88]
	v_add_f64_e32 v[2:3], v[2:3], v[127:128]
	v_add_f64_e32 v[10:11], v[10:11], v[125:126]
	v_fma_f64 v[121:122], v[71:72], v[81:82], v[121:122]
	v_fma_f64 v[125:126], v[69:70], v[81:82], -v[83:84]
	ds_load_b128 v[69:72], v1 offset:752
	scratch_load_b128 v[81:84], off, off offset:448
	v_fma_f64 v[99:100], v[99:100], v[85:86], v[123:124]
	v_fma_f64 v[85:86], v[97:98], v[85:86], -v[87:88]
	v_add_f64_e32 v[2:3], v[2:3], v[113:114]
	v_add_f64_e32 v[10:11], v[10:11], v[115:116]
	ds_load_b128 v[113:116], v1 offset:768
	s_wait_loadcnt_dscnt 0x801
	v_mul_f64_e32 v[127:128], v[69:70], v[91:92]
	v_mul_f64_e32 v[91:92], v[71:72], v[91:92]
	s_wait_loadcnt_dscnt 0x700
	v_mul_f64_e32 v[97:98], v[113:114], v[95:96]
	v_mul_f64_e32 v[95:96], v[115:116], v[95:96]
	v_add_f64_e32 v[2:3], v[2:3], v[125:126]
	v_add_f64_e32 v[10:11], v[10:11], v[121:122]
	v_fma_f64 v[121:122], v[71:72], v[89:90], v[127:128]
	v_fma_f64 v[89:90], v[69:70], v[89:90], -v[91:92]
	v_fma_f64 v[97:98], v[115:116], v[93:94], v[97:98]
	v_fma_f64 v[93:94], v[113:114], v[93:94], -v[95:96]
	v_add_f64_e32 v[2:3], v[2:3], v[85:86]
	v_add_f64_e32 v[10:11], v[10:11], v[99:100]
	ds_load_b128 v[69:72], v1 offset:784
	ds_load_b128 v[85:88], v1 offset:800
	s_wait_loadcnt_dscnt 0x601
	v_mul_f64_e32 v[91:92], v[69:70], v[103:104]
	v_mul_f64_e32 v[99:100], v[71:72], v[103:104]
	v_add_f64_e32 v[2:3], v[2:3], v[89:90]
	v_add_f64_e32 v[10:11], v[10:11], v[121:122]
	s_wait_loadcnt_dscnt 0x500
	v_mul_f64_e32 v[89:90], v[85:86], v[8:9]
	v_mul_f64_e32 v[95:96], v[87:88], v[8:9]
	v_fma_f64 v[91:92], v[71:72], v[101:102], v[91:92]
	v_fma_f64 v[99:100], v[69:70], v[101:102], -v[99:100]
	v_add_f64_e32 v[2:3], v[2:3], v[93:94]
	v_add_f64_e32 v[93:94], v[10:11], v[97:98]
	ds_load_b128 v[8:11], v1 offset:816
	ds_load_b128 v[69:72], v1 offset:832
	v_fma_f64 v[87:88], v[87:88], v[6:7], v[89:90]
	v_fma_f64 v[6:7], v[85:86], v[6:7], -v[95:96]
	s_wait_loadcnt_dscnt 0x401
	v_mul_f64_e32 v[97:98], v[8:9], v[111:112]
	v_mul_f64_e32 v[101:102], v[10:11], v[111:112]
	s_wait_loadcnt_dscnt 0x300
	v_mul_f64_e32 v[89:90], v[69:70], v[119:120]
	v_add_f64_e32 v[2:3], v[2:3], v[99:100]
	v_add_f64_e32 v[85:86], v[93:94], v[91:92]
	v_mul_f64_e32 v[91:92], v[71:72], v[119:120]
	v_fma_f64 v[10:11], v[10:11], v[109:110], v[97:98]
	v_fma_f64 v[93:94], v[8:9], v[109:110], -v[101:102]
	v_fma_f64 v[71:72], v[71:72], v[117:118], v[89:90]
	v_add_f64_e32 v[2:3], v[2:3], v[6:7]
	v_add_f64_e32 v[95:96], v[85:86], v[87:88]
	ds_load_b128 v[6:9], v1 offset:848
	ds_load_b128 v[85:88], v1 offset:864
	v_fma_f64 v[69:70], v[69:70], v[117:118], -v[91:92]
	s_wait_loadcnt_dscnt 0x201
	v_mul_f64_e32 v[97:98], v[6:7], v[75:76]
	v_mul_f64_e32 v[75:76], v[8:9], v[75:76]
	s_wait_loadcnt_dscnt 0x100
	v_mul_f64_e32 v[89:90], v[85:86], v[79:80]
	v_mul_f64_e32 v[79:80], v[87:88], v[79:80]
	v_add_f64_e32 v[2:3], v[2:3], v[93:94]
	v_add_f64_e32 v[10:11], v[95:96], v[10:11]
	v_fma_f64 v[91:92], v[8:9], v[73:74], v[97:98]
	v_fma_f64 v[73:74], v[6:7], v[73:74], -v[75:76]
	ds_load_b128 v[6:9], v1 offset:880
	v_fma_f64 v[75:76], v[87:88], v[77:78], v[89:90]
	v_fma_f64 v[77:78], v[85:86], v[77:78], -v[79:80]
	v_add_f64_e32 v[2:3], v[2:3], v[69:70]
	v_add_f64_e32 v[10:11], v[10:11], v[71:72]
	s_wait_loadcnt_dscnt 0x0
	v_mul_f64_e32 v[69:70], v[6:7], v[83:84]
	v_mul_f64_e32 v[71:72], v[8:9], v[83:84]
	s_delay_alu instid0(VALU_DEP_4) | instskip(NEXT) | instid1(VALU_DEP_4)
	v_add_f64_e32 v[2:3], v[2:3], v[73:74]
	v_add_f64_e32 v[10:11], v[10:11], v[91:92]
	s_delay_alu instid0(VALU_DEP_4) | instskip(NEXT) | instid1(VALU_DEP_4)
	v_fma_f64 v[8:9], v[8:9], v[81:82], v[69:70]
	v_fma_f64 v[6:7], v[6:7], v[81:82], -v[71:72]
	s_delay_alu instid0(VALU_DEP_4) | instskip(NEXT) | instid1(VALU_DEP_4)
	v_add_f64_e32 v[2:3], v[2:3], v[77:78]
	v_add_f64_e32 v[10:11], v[10:11], v[75:76]
	s_delay_alu instid0(VALU_DEP_2) | instskip(NEXT) | instid1(VALU_DEP_2)
	v_add_f64_e32 v[2:3], v[2:3], v[6:7]
	v_add_f64_e32 v[8:9], v[10:11], v[8:9]
	s_delay_alu instid0(VALU_DEP_2) | instskip(NEXT) | instid1(VALU_DEP_2)
	v_add_f64_e64 v[6:7], v[105:106], -v[2:3]
	v_add_f64_e64 v[8:9], v[107:108], -v[8:9]
	scratch_store_b128 off, v[6:9], off offset:48
	v_cmpx_lt_u32_e32 1, v0
	s_cbranch_execz .LBB91_179
; %bb.178:
	scratch_load_b128 v[6:9], off, s36
	v_dual_mov_b32 v2, v1 :: v_dual_mov_b32 v3, v1
	v_mov_b32_e32 v4, v1
	scratch_store_b128 off, v[1:4], off offset:32
	s_wait_loadcnt 0x0
	ds_store_b128 v5, v[6:9]
.LBB91_179:
	s_wait_alu 0xfffe
	s_or_b32 exec_lo, exec_lo, s0
	s_wait_storecnt_dscnt 0x0
	s_barrier_signal -1
	s_barrier_wait -1
	global_inv scope:SCOPE_SE
	s_clause 0x8
	scratch_load_b128 v[6:9], off, off offset:48
	scratch_load_b128 v[69:72], off, off offset:64
	;; [unrolled: 1-line block ×9, first 2 shown]
	ds_load_b128 v[101:104], v1 offset:480
	ds_load_b128 v[105:108], v1 offset:496
	scratch_load_b128 v[109:112], off, off offset:32
	s_mov_b32 s0, exec_lo
	ds_load_b128 v[117:120], v1 offset:528
	s_wait_loadcnt_dscnt 0x902
	v_mul_f64_e32 v[2:3], v[103:104], v[8:9]
	v_mul_f64_e32 v[113:114], v[101:102], v[8:9]
	scratch_load_b128 v[8:11], off, off offset:192
	s_wait_loadcnt_dscnt 0x901
	v_mul_f64_e32 v[121:122], v[105:106], v[71:72]
	v_mul_f64_e32 v[71:72], v[107:108], v[71:72]
	v_fma_f64 v[2:3], v[101:102], v[6:7], -v[2:3]
	v_fma_f64 v[6:7], v[103:104], v[6:7], v[113:114]
	ds_load_b128 v[101:104], v1 offset:512
	scratch_load_b128 v[113:116], off, off offset:208
	v_fma_f64 v[107:108], v[107:108], v[69:70], v[121:122]
	v_fma_f64 v[105:106], v[105:106], v[69:70], -v[71:72]
	scratch_load_b128 v[69:72], off, off offset:224
	s_wait_loadcnt_dscnt 0x901
	v_mul_f64_e32 v[121:122], v[117:118], v[79:80]
	v_mul_f64_e32 v[79:80], v[119:120], v[79:80]
	s_wait_dscnt 0x0
	v_mul_f64_e32 v[123:124], v[101:102], v[75:76]
	v_mul_f64_e32 v[75:76], v[103:104], v[75:76]
	v_add_f64_e32 v[2:3], 0, v[2:3]
	v_add_f64_e32 v[6:7], 0, v[6:7]
	v_fma_f64 v[119:120], v[119:120], v[77:78], v[121:122]
	v_fma_f64 v[117:118], v[117:118], v[77:78], -v[79:80]
	scratch_load_b128 v[77:80], off, off offset:256
	v_fma_f64 v[123:124], v[103:104], v[73:74], v[123:124]
	v_fma_f64 v[125:126], v[101:102], v[73:74], -v[75:76]
	ds_load_b128 v[73:76], v1 offset:544
	scratch_load_b128 v[101:104], off, off offset:240
	v_add_f64_e32 v[2:3], v[2:3], v[105:106]
	v_add_f64_e32 v[6:7], v[6:7], v[107:108]
	ds_load_b128 v[105:108], v1 offset:560
	s_wait_loadcnt_dscnt 0xa01
	v_mul_f64_e32 v[127:128], v[73:74], v[83:84]
	v_mul_f64_e32 v[83:84], v[75:76], v[83:84]
	s_wait_loadcnt_dscnt 0x900
	v_mul_f64_e32 v[121:122], v[105:106], v[87:88]
	v_mul_f64_e32 v[87:88], v[107:108], v[87:88]
	v_add_f64_e32 v[2:3], v[2:3], v[125:126]
	v_add_f64_e32 v[6:7], v[6:7], v[123:124]
	v_fma_f64 v[123:124], v[75:76], v[81:82], v[127:128]
	v_fma_f64 v[125:126], v[73:74], v[81:82], -v[83:84]
	ds_load_b128 v[73:76], v1 offset:576
	scratch_load_b128 v[81:84], off, off offset:272
	v_fma_f64 v[107:108], v[107:108], v[85:86], v[121:122]
	v_fma_f64 v[105:106], v[105:106], v[85:86], -v[87:88]
	scratch_load_b128 v[85:88], off, off offset:288
	v_add_f64_e32 v[2:3], v[2:3], v[117:118]
	v_add_f64_e32 v[6:7], v[6:7], v[119:120]
	ds_load_b128 v[117:120], v1 offset:592
	s_wait_loadcnt_dscnt 0xa01
	v_mul_f64_e32 v[127:128], v[73:74], v[91:92]
	v_mul_f64_e32 v[91:92], v[75:76], v[91:92]
	s_wait_loadcnt_dscnt 0x900
	v_mul_f64_e32 v[121:122], v[117:118], v[95:96]
	v_mul_f64_e32 v[95:96], v[119:120], v[95:96]
	v_add_f64_e32 v[2:3], v[2:3], v[125:126]
	v_add_f64_e32 v[6:7], v[6:7], v[123:124]
	v_fma_f64 v[123:124], v[75:76], v[89:90], v[127:128]
	v_fma_f64 v[125:126], v[73:74], v[89:90], -v[91:92]
	ds_load_b128 v[73:76], v1 offset:608
	scratch_load_b128 v[89:92], off, off offset:304
	v_fma_f64 v[119:120], v[119:120], v[93:94], v[121:122]
	v_fma_f64 v[117:118], v[117:118], v[93:94], -v[95:96]
	scratch_load_b128 v[93:96], off, off offset:320
	v_add_f64_e32 v[2:3], v[2:3], v[105:106]
	v_add_f64_e32 v[6:7], v[6:7], v[107:108]
	ds_load_b128 v[105:108], v1 offset:624
	s_wait_loadcnt_dscnt 0xa01
	v_mul_f64_e32 v[127:128], v[73:74], v[99:100]
	v_mul_f64_e32 v[99:100], v[75:76], v[99:100]
	v_add_f64_e32 v[2:3], v[2:3], v[125:126]
	v_add_f64_e32 v[6:7], v[6:7], v[123:124]
	s_delay_alu instid0(VALU_DEP_4) | instskip(NEXT) | instid1(VALU_DEP_4)
	v_fma_f64 v[123:124], v[75:76], v[97:98], v[127:128]
	v_fma_f64 v[125:126], v[73:74], v[97:98], -v[99:100]
	ds_load_b128 v[73:76], v1 offset:640
	scratch_load_b128 v[97:100], off, off offset:336
	s_wait_loadcnt_dscnt 0x901
	v_mul_f64_e32 v[121:122], v[105:106], v[10:11]
	v_mul_f64_e32 v[10:11], v[107:108], v[10:11]
	v_add_f64_e32 v[2:3], v[2:3], v[117:118]
	v_add_f64_e32 v[6:7], v[6:7], v[119:120]
	ds_load_b128 v[117:120], v1 offset:656
	v_fma_f64 v[107:108], v[107:108], v[8:9], v[121:122]
	s_wait_loadcnt_dscnt 0x801
	v_mul_f64_e32 v[127:128], v[73:74], v[115:116]
	v_mul_f64_e32 v[115:116], v[75:76], v[115:116]
	v_fma_f64 v[10:11], v[105:106], v[8:9], -v[10:11]
	s_wait_loadcnt_dscnt 0x700
	v_mul_f64_e32 v[121:122], v[117:118], v[71:72]
	v_add_f64_e32 v[2:3], v[2:3], v[125:126]
	v_add_f64_e32 v[105:106], v[6:7], v[123:124]
	scratch_load_b128 v[6:9], off, off offset:352
	v_mul_f64_e32 v[123:124], v[119:120], v[71:72]
	v_fma_f64 v[75:76], v[75:76], v[113:114], v[127:128]
	v_fma_f64 v[125:126], v[73:74], v[113:114], -v[115:116]
	ds_load_b128 v[71:74], v1 offset:672
	ds_load_b128 v[113:116], v1 offset:688
	v_fma_f64 v[121:122], v[119:120], v[69:70], v[121:122]
	v_add_f64_e32 v[2:3], v[2:3], v[10:11]
	v_add_f64_e32 v[10:11], v[105:106], v[107:108]
	scratch_load_b128 v[105:108], off, off offset:368
	s_wait_loadcnt_dscnt 0x701
	v_mul_f64_e32 v[127:128], v[71:72], v[103:104]
	v_mul_f64_e32 v[103:104], v[73:74], v[103:104]
	v_fma_f64 v[69:70], v[117:118], v[69:70], -v[123:124]
	scratch_load_b128 v[117:120], off, off offset:384
	s_wait_dscnt 0x0
	v_mul_f64_e32 v[123:124], v[113:114], v[79:80]
	v_mul_f64_e32 v[79:80], v[115:116], v[79:80]
	v_add_f64_e32 v[2:3], v[2:3], v[125:126]
	v_add_f64_e32 v[10:11], v[10:11], v[75:76]
	v_fma_f64 v[125:126], v[73:74], v[101:102], v[127:128]
	v_fma_f64 v[127:128], v[71:72], v[101:102], -v[103:104]
	scratch_load_b128 v[73:76], off, off offset:400
	ds_load_b128 v[101:104], v1 offset:720
	v_fma_f64 v[115:116], v[115:116], v[77:78], v[123:124]
	v_fma_f64 v[113:114], v[113:114], v[77:78], -v[79:80]
	scratch_load_b128 v[77:80], off, off offset:416
	v_add_f64_e32 v[2:3], v[2:3], v[69:70]
	v_add_f64_e32 v[10:11], v[10:11], v[121:122]
	ds_load_b128 v[69:72], v1 offset:704
	s_wait_loadcnt_dscnt 0x801
	v_mul_f64_e32 v[123:124], v[101:102], v[87:88]
	v_mul_f64_e32 v[87:88], v[103:104], v[87:88]
	s_wait_dscnt 0x0
	v_mul_f64_e32 v[121:122], v[69:70], v[83:84]
	v_mul_f64_e32 v[83:84], v[71:72], v[83:84]
	v_add_f64_e32 v[2:3], v[2:3], v[127:128]
	v_add_f64_e32 v[10:11], v[10:11], v[125:126]
	v_fma_f64 v[103:104], v[103:104], v[85:86], v[123:124]
	v_fma_f64 v[101:102], v[101:102], v[85:86], -v[87:88]
	scratch_load_b128 v[85:88], off, off offset:448
	v_fma_f64 v[121:122], v[71:72], v[81:82], v[121:122]
	v_fma_f64 v[125:126], v[69:70], v[81:82], -v[83:84]
	ds_load_b128 v[69:72], v1 offset:736
	scratch_load_b128 v[81:84], off, off offset:432
	v_add_f64_e32 v[2:3], v[2:3], v[113:114]
	v_add_f64_e32 v[10:11], v[10:11], v[115:116]
	ds_load_b128 v[113:116], v1 offset:752
	s_wait_loadcnt_dscnt 0x901
	v_mul_f64_e32 v[127:128], v[69:70], v[91:92]
	v_mul_f64_e32 v[91:92], v[71:72], v[91:92]
	v_add_f64_e32 v[2:3], v[2:3], v[125:126]
	v_add_f64_e32 v[10:11], v[10:11], v[121:122]
	s_wait_loadcnt_dscnt 0x800
	v_mul_f64_e32 v[121:122], v[113:114], v[95:96]
	v_mul_f64_e32 v[95:96], v[115:116], v[95:96]
	v_fma_f64 v[123:124], v[71:72], v[89:90], v[127:128]
	v_fma_f64 v[125:126], v[69:70], v[89:90], -v[91:92]
	ds_load_b128 v[69:72], v1 offset:768
	ds_load_b128 v[89:92], v1 offset:784
	v_add_f64_e32 v[2:3], v[2:3], v[101:102]
	v_add_f64_e32 v[10:11], v[10:11], v[103:104]
	s_wait_loadcnt_dscnt 0x701
	v_mul_f64_e32 v[101:102], v[69:70], v[99:100]
	v_mul_f64_e32 v[99:100], v[71:72], v[99:100]
	v_fma_f64 v[103:104], v[115:116], v[93:94], v[121:122]
	v_fma_f64 v[93:94], v[113:114], v[93:94], -v[95:96]
	v_add_f64_e32 v[2:3], v[2:3], v[125:126]
	v_add_f64_e32 v[10:11], v[10:11], v[123:124]
	v_fma_f64 v[101:102], v[71:72], v[97:98], v[101:102]
	v_fma_f64 v[97:98], v[69:70], v[97:98], -v[99:100]
	s_wait_loadcnt_dscnt 0x600
	v_mul_f64_e32 v[95:96], v[89:90], v[8:9]
	v_mul_f64_e32 v[113:114], v[91:92], v[8:9]
	v_add_f64_e32 v[2:3], v[2:3], v[93:94]
	v_add_f64_e32 v[93:94], v[10:11], v[103:104]
	ds_load_b128 v[8:11], v1 offset:800
	ds_load_b128 v[69:72], v1 offset:816
	v_fma_f64 v[91:92], v[91:92], v[6:7], v[95:96]
	v_fma_f64 v[6:7], v[89:90], v[6:7], -v[113:114]
	s_wait_loadcnt_dscnt 0x501
	v_mul_f64_e32 v[99:100], v[8:9], v[107:108]
	v_mul_f64_e32 v[103:104], v[10:11], v[107:108]
	s_wait_loadcnt_dscnt 0x400
	v_mul_f64_e32 v[95:96], v[71:72], v[119:120]
	v_add_f64_e32 v[2:3], v[2:3], v[97:98]
	v_add_f64_e32 v[89:90], v[93:94], v[101:102]
	v_mul_f64_e32 v[93:94], v[69:70], v[119:120]
	v_fma_f64 v[10:11], v[10:11], v[105:106], v[99:100]
	v_fma_f64 v[97:98], v[8:9], v[105:106], -v[103:104]
	v_fma_f64 v[69:70], v[69:70], v[117:118], -v[95:96]
	v_add_f64_e32 v[2:3], v[2:3], v[6:7]
	v_add_f64_e32 v[99:100], v[89:90], v[91:92]
	ds_load_b128 v[6:9], v1 offset:832
	ds_load_b128 v[89:92], v1 offset:848
	v_fma_f64 v[71:72], v[71:72], v[117:118], v[93:94]
	s_wait_loadcnt_dscnt 0x301
	v_mul_f64_e32 v[101:102], v[6:7], v[75:76]
	v_mul_f64_e32 v[75:76], v[8:9], v[75:76]
	s_wait_loadcnt_dscnt 0x200
	v_mul_f64_e32 v[93:94], v[89:90], v[79:80]
	v_mul_f64_e32 v[79:80], v[91:92], v[79:80]
	v_add_f64_e32 v[2:3], v[2:3], v[97:98]
	v_add_f64_e32 v[10:11], v[99:100], v[10:11]
	v_fma_f64 v[95:96], v[8:9], v[73:74], v[101:102]
	v_fma_f64 v[73:74], v[6:7], v[73:74], -v[75:76]
	s_delay_alu instid0(VALU_DEP_4) | instskip(NEXT) | instid1(VALU_DEP_4)
	v_add_f64_e32 v[69:70], v[2:3], v[69:70]
	v_add_f64_e32 v[10:11], v[10:11], v[71:72]
	ds_load_b128 v[6:9], v1 offset:864
	ds_load_b128 v[1:4], v1 offset:880
	s_wait_loadcnt_dscnt 0x1
	v_mul_f64_e32 v[71:72], v[6:7], v[83:84]
	v_mul_f64_e32 v[75:76], v[8:9], v[83:84]
	v_fma_f64 v[83:84], v[91:92], v[77:78], v[93:94]
	v_fma_f64 v[77:78], v[89:90], v[77:78], -v[79:80]
	s_wait_dscnt 0x0
	v_mul_f64_e32 v[79:80], v[3:4], v[87:88]
	v_add_f64_e32 v[69:70], v[69:70], v[73:74]
	v_add_f64_e32 v[10:11], v[10:11], v[95:96]
	v_mul_f64_e32 v[73:74], v[1:2], v[87:88]
	v_fma_f64 v[8:9], v[8:9], v[81:82], v[71:72]
	v_fma_f64 v[6:7], v[6:7], v[81:82], -v[75:76]
	v_fma_f64 v[1:2], v[1:2], v[85:86], -v[79:80]
	v_add_f64_e32 v[69:70], v[69:70], v[77:78]
	v_add_f64_e32 v[10:11], v[10:11], v[83:84]
	v_fma_f64 v[3:4], v[3:4], v[85:86], v[73:74]
	s_delay_alu instid0(VALU_DEP_3) | instskip(NEXT) | instid1(VALU_DEP_3)
	v_add_f64_e32 v[6:7], v[69:70], v[6:7]
	v_add_f64_e32 v[8:9], v[10:11], v[8:9]
	s_delay_alu instid0(VALU_DEP_2) | instskip(NEXT) | instid1(VALU_DEP_2)
	v_add_f64_e32 v[1:2], v[6:7], v[1:2]
	v_add_f64_e32 v[3:4], v[8:9], v[3:4]
	s_delay_alu instid0(VALU_DEP_2) | instskip(NEXT) | instid1(VALU_DEP_2)
	v_add_f64_e64 v[1:2], v[109:110], -v[1:2]
	v_add_f64_e64 v[3:4], v[111:112], -v[3:4]
	scratch_store_b128 off, v[1:4], off offset:32
	v_cmpx_ne_u32_e32 0, v0
	s_cbranch_execz .LBB91_181
; %bb.180:
	scratch_load_b128 v[0:3], off, off offset:16
	v_mov_b32_e32 v6, 0
	s_delay_alu instid0(VALU_DEP_1)
	v_dual_mov_b32 v7, v6 :: v_dual_mov_b32 v8, v6
	v_mov_b32_e32 v9, v6
	scratch_store_b128 off, v[6:9], off offset:16
	s_wait_loadcnt 0x0
	ds_store_b128 v5, v[0:3]
.LBB91_181:
	s_wait_alu 0xfffe
	s_or_b32 exec_lo, exec_lo, s0
	s_wait_storecnt_dscnt 0x0
	s_barrier_signal -1
	s_barrier_wait -1
	global_inv scope:SCOPE_SE
	s_clause 0x7
	scratch_load_b128 v[1:4], off, off offset:32
	scratch_load_b128 v[5:8], off, off offset:48
	;; [unrolled: 1-line block ×8, first 2 shown]
	v_mov_b32_e32 v0, 0
	s_and_b32 vcc_lo, exec_lo, s12
	ds_load_b128 v[89:92], v0 offset:464
	s_clause 0x1
	scratch_load_b128 v[93:96], off, off offset:160
	scratch_load_b128 v[97:100], off, off offset:16
	ds_load_b128 v[101:104], v0 offset:480
	scratch_load_b128 v[105:108], off, off offset:176
	s_wait_loadcnt_dscnt 0xa01
	v_mul_f64_e32 v[109:110], v[91:92], v[3:4]
	v_mul_f64_e32 v[3:4], v[89:90], v[3:4]
	s_delay_alu instid0(VALU_DEP_2) | instskip(NEXT) | instid1(VALU_DEP_2)
	v_fma_f64 v[115:116], v[89:90], v[1:2], -v[109:110]
	v_fma_f64 v[117:118], v[91:92], v[1:2], v[3:4]
	ds_load_b128 v[1:4], v0 offset:496
	s_wait_loadcnt_dscnt 0x901
	v_mul_f64_e32 v[113:114], v[101:102], v[7:8]
	v_mul_f64_e32 v[7:8], v[103:104], v[7:8]
	scratch_load_b128 v[89:92], off, off offset:192
	ds_load_b128 v[109:112], v0 offset:512
	s_wait_loadcnt_dscnt 0x901
	v_mul_f64_e32 v[119:120], v[1:2], v[11:12]
	v_mul_f64_e32 v[11:12], v[3:4], v[11:12]
	v_fma_f64 v[103:104], v[103:104], v[5:6], v[113:114]
	v_fma_f64 v[101:102], v[101:102], v[5:6], -v[7:8]
	v_add_f64_e32 v[113:114], 0, v[115:116]
	v_add_f64_e32 v[115:116], 0, v[117:118]
	scratch_load_b128 v[5:8], off, off offset:208
	v_fma_f64 v[119:120], v[3:4], v[9:10], v[119:120]
	v_fma_f64 v[121:122], v[1:2], v[9:10], -v[11:12]
	ds_load_b128 v[1:4], v0 offset:528
	s_wait_loadcnt_dscnt 0x901
	v_mul_f64_e32 v[117:118], v[109:110], v[71:72]
	v_mul_f64_e32 v[71:72], v[111:112], v[71:72]
	scratch_load_b128 v[9:12], off, off offset:224
	v_add_f64_e32 v[113:114], v[113:114], v[101:102]
	v_add_f64_e32 v[115:116], v[115:116], v[103:104]
	s_wait_loadcnt_dscnt 0x900
	v_mul_f64_e32 v[123:124], v[1:2], v[75:76]
	v_mul_f64_e32 v[75:76], v[3:4], v[75:76]
	ds_load_b128 v[101:104], v0 offset:544
	v_fma_f64 v[111:112], v[111:112], v[69:70], v[117:118]
	v_fma_f64 v[109:110], v[109:110], v[69:70], -v[71:72]
	scratch_load_b128 v[69:72], off, off offset:240
	v_add_f64_e32 v[113:114], v[113:114], v[121:122]
	v_add_f64_e32 v[115:116], v[115:116], v[119:120]
	v_fma_f64 v[119:120], v[3:4], v[73:74], v[123:124]
	v_fma_f64 v[121:122], v[1:2], v[73:74], -v[75:76]
	ds_load_b128 v[1:4], v0 offset:560
	s_wait_loadcnt_dscnt 0x901
	v_mul_f64_e32 v[117:118], v[101:102], v[79:80]
	v_mul_f64_e32 v[79:80], v[103:104], v[79:80]
	scratch_load_b128 v[73:76], off, off offset:256
	s_wait_loadcnt_dscnt 0x900
	v_mul_f64_e32 v[123:124], v[1:2], v[83:84]
	v_mul_f64_e32 v[83:84], v[3:4], v[83:84]
	v_add_f64_e32 v[113:114], v[113:114], v[109:110]
	v_add_f64_e32 v[115:116], v[115:116], v[111:112]
	ds_load_b128 v[109:112], v0 offset:576
	v_fma_f64 v[103:104], v[103:104], v[77:78], v[117:118]
	v_fma_f64 v[101:102], v[101:102], v[77:78], -v[79:80]
	scratch_load_b128 v[77:80], off, off offset:272
	v_add_f64_e32 v[113:114], v[113:114], v[121:122]
	v_add_f64_e32 v[115:116], v[115:116], v[119:120]
	v_fma_f64 v[119:120], v[3:4], v[81:82], v[123:124]
	v_fma_f64 v[121:122], v[1:2], v[81:82], -v[83:84]
	ds_load_b128 v[1:4], v0 offset:592
	s_wait_loadcnt_dscnt 0x901
	v_mul_f64_e32 v[117:118], v[109:110], v[87:88]
	v_mul_f64_e32 v[87:88], v[111:112], v[87:88]
	scratch_load_b128 v[81:84], off, off offset:288
	s_wait_loadcnt_dscnt 0x900
	v_mul_f64_e32 v[123:124], v[1:2], v[95:96]
	v_mul_f64_e32 v[95:96], v[3:4], v[95:96]
	v_add_f64_e32 v[113:114], v[113:114], v[101:102]
	v_add_f64_e32 v[115:116], v[115:116], v[103:104]
	ds_load_b128 v[101:104], v0 offset:608
	v_fma_f64 v[111:112], v[111:112], v[85:86], v[117:118]
	v_fma_f64 v[109:110], v[109:110], v[85:86], -v[87:88]
	scratch_load_b128 v[85:88], off, off offset:304
	v_add_f64_e32 v[113:114], v[113:114], v[121:122]
	v_add_f64_e32 v[115:116], v[115:116], v[119:120]
	v_fma_f64 v[121:122], v[3:4], v[93:94], v[123:124]
	v_fma_f64 v[123:124], v[1:2], v[93:94], -v[95:96]
	ds_load_b128 v[1:4], v0 offset:624
	s_wait_loadcnt_dscnt 0x801
	v_mul_f64_e32 v[117:118], v[101:102], v[107:108]
	v_mul_f64_e32 v[119:120], v[103:104], v[107:108]
	scratch_load_b128 v[93:96], off, off offset:320
	v_add_f64_e32 v[113:114], v[113:114], v[109:110]
	v_add_f64_e32 v[111:112], v[115:116], v[111:112]
	ds_load_b128 v[107:110], v0 offset:640
	v_fma_f64 v[117:118], v[103:104], v[105:106], v[117:118]
	v_fma_f64 v[105:106], v[101:102], v[105:106], -v[119:120]
	scratch_load_b128 v[101:104], off, off offset:336
	s_wait_loadcnt_dscnt 0x901
	v_mul_f64_e32 v[115:116], v[1:2], v[91:92]
	v_mul_f64_e32 v[91:92], v[3:4], v[91:92]
	v_add_f64_e32 v[113:114], v[113:114], v[123:124]
	v_add_f64_e32 v[111:112], v[111:112], v[121:122]
	s_delay_alu instid0(VALU_DEP_4) | instskip(NEXT) | instid1(VALU_DEP_4)
	v_fma_f64 v[115:116], v[3:4], v[89:90], v[115:116]
	v_fma_f64 v[121:122], v[1:2], v[89:90], -v[91:92]
	ds_load_b128 v[1:4], v0 offset:656
	s_wait_loadcnt_dscnt 0x801
	v_mul_f64_e32 v[119:120], v[107:108], v[7:8]
	v_mul_f64_e32 v[7:8], v[109:110], v[7:8]
	scratch_load_b128 v[89:92], off, off offset:352
	s_wait_loadcnt_dscnt 0x800
	v_mul_f64_e32 v[123:124], v[1:2], v[11:12]
	v_add_f64_e32 v[105:106], v[113:114], v[105:106]
	v_add_f64_e32 v[117:118], v[111:112], v[117:118]
	v_mul_f64_e32 v[11:12], v[3:4], v[11:12]
	ds_load_b128 v[111:114], v0 offset:672
	v_fma_f64 v[109:110], v[109:110], v[5:6], v[119:120]
	v_fma_f64 v[107:108], v[107:108], v[5:6], -v[7:8]
	scratch_load_b128 v[5:8], off, off offset:368
	v_fma_f64 v[119:120], v[3:4], v[9:10], v[123:124]
	v_add_f64_e32 v[105:106], v[105:106], v[121:122]
	v_add_f64_e32 v[115:116], v[117:118], v[115:116]
	v_fma_f64 v[121:122], v[1:2], v[9:10], -v[11:12]
	ds_load_b128 v[1:4], v0 offset:688
	s_wait_loadcnt_dscnt 0x801
	v_mul_f64_e32 v[117:118], v[111:112], v[71:72]
	v_mul_f64_e32 v[71:72], v[113:114], v[71:72]
	scratch_load_b128 v[9:12], off, off offset:384
	v_add_f64_e32 v[123:124], v[105:106], v[107:108]
	v_add_f64_e32 v[109:110], v[115:116], v[109:110]
	s_wait_loadcnt_dscnt 0x800
	v_mul_f64_e32 v[115:116], v[1:2], v[75:76]
	v_mul_f64_e32 v[75:76], v[3:4], v[75:76]
	v_fma_f64 v[113:114], v[113:114], v[69:70], v[117:118]
	v_fma_f64 v[111:112], v[111:112], v[69:70], -v[71:72]
	ds_load_b128 v[105:108], v0 offset:704
	scratch_load_b128 v[69:72], off, off offset:400
	v_add_f64_e32 v[117:118], v[123:124], v[121:122]
	v_add_f64_e32 v[109:110], v[109:110], v[119:120]
	v_fma_f64 v[115:116], v[3:4], v[73:74], v[115:116]
	v_fma_f64 v[121:122], v[1:2], v[73:74], -v[75:76]
	ds_load_b128 v[1:4], v0 offset:720
	s_wait_loadcnt_dscnt 0x801
	v_mul_f64_e32 v[119:120], v[105:106], v[79:80]
	v_mul_f64_e32 v[79:80], v[107:108], v[79:80]
	scratch_load_b128 v[73:76], off, off offset:416
	s_wait_loadcnt_dscnt 0x800
	v_mul_f64_e32 v[123:124], v[1:2], v[83:84]
	v_mul_f64_e32 v[83:84], v[3:4], v[83:84]
	v_add_f64_e32 v[117:118], v[117:118], v[111:112]
	v_add_f64_e32 v[113:114], v[109:110], v[113:114]
	ds_load_b128 v[109:112], v0 offset:736
	v_fma_f64 v[107:108], v[107:108], v[77:78], v[119:120]
	v_fma_f64 v[105:106], v[105:106], v[77:78], -v[79:80]
	scratch_load_b128 v[77:80], off, off offset:432
	v_fma_f64 v[119:120], v[3:4], v[81:82], v[123:124]
	v_add_f64_e32 v[117:118], v[117:118], v[121:122]
	v_add_f64_e32 v[113:114], v[113:114], v[115:116]
	v_fma_f64 v[121:122], v[1:2], v[81:82], -v[83:84]
	ds_load_b128 v[1:4], v0 offset:752
	s_wait_loadcnt_dscnt 0x801
	v_mul_f64_e32 v[115:116], v[109:110], v[87:88]
	v_mul_f64_e32 v[87:88], v[111:112], v[87:88]
	scratch_load_b128 v[81:84], off, off offset:448
	s_wait_loadcnt_dscnt 0x800
	v_mul_f64_e32 v[123:124], v[1:2], v[95:96]
	v_mul_f64_e32 v[95:96], v[3:4], v[95:96]
	v_add_f64_e32 v[117:118], v[117:118], v[105:106]
	v_add_f64_e32 v[113:114], v[113:114], v[107:108]
	ds_load_b128 v[105:108], v0 offset:768
	v_fma_f64 v[111:112], v[111:112], v[85:86], v[115:116]
	v_fma_f64 v[85:86], v[109:110], v[85:86], -v[87:88]
	v_fma_f64 v[115:116], v[3:4], v[93:94], v[123:124]
	v_fma_f64 v[93:94], v[1:2], v[93:94], -v[95:96]
	v_add_f64_e32 v[87:88], v[117:118], v[121:122]
	v_add_f64_e32 v[109:110], v[113:114], v[119:120]
	s_wait_loadcnt_dscnt 0x700
	v_mul_f64_e32 v[113:114], v[105:106], v[103:104]
	v_mul_f64_e32 v[103:104], v[107:108], v[103:104]
	s_delay_alu instid0(VALU_DEP_4) | instskip(NEXT) | instid1(VALU_DEP_4)
	v_add_f64_e32 v[95:96], v[87:88], v[85:86]
	v_add_f64_e32 v[109:110], v[109:110], v[111:112]
	ds_load_b128 v[1:4], v0 offset:784
	ds_load_b128 v[85:88], v0 offset:800
	v_fma_f64 v[107:108], v[107:108], v[101:102], v[113:114]
	v_fma_f64 v[101:102], v[105:106], v[101:102], -v[103:104]
	s_wait_loadcnt_dscnt 0x601
	v_mul_f64_e32 v[111:112], v[1:2], v[91:92]
	v_mul_f64_e32 v[91:92], v[3:4], v[91:92]
	s_wait_loadcnt_dscnt 0x500
	v_mul_f64_e32 v[103:104], v[85:86], v[7:8]
	v_mul_f64_e32 v[7:8], v[87:88], v[7:8]
	v_add_f64_e32 v[93:94], v[95:96], v[93:94]
	v_add_f64_e32 v[95:96], v[109:110], v[115:116]
	v_fma_f64 v[105:106], v[3:4], v[89:90], v[111:112]
	v_fma_f64 v[109:110], v[1:2], v[89:90], -v[91:92]
	ds_load_b128 v[1:4], v0 offset:816
	ds_load_b128 v[89:92], v0 offset:832
	v_fma_f64 v[87:88], v[87:88], v[5:6], v[103:104]
	v_fma_f64 v[5:6], v[85:86], v[5:6], -v[7:8]
	v_add_f64_e32 v[93:94], v[93:94], v[101:102]
	v_add_f64_e32 v[95:96], v[95:96], v[107:108]
	s_wait_loadcnt_dscnt 0x401
	v_mul_f64_e32 v[101:102], v[1:2], v[11:12]
	v_mul_f64_e32 v[11:12], v[3:4], v[11:12]
	s_delay_alu instid0(VALU_DEP_4) | instskip(NEXT) | instid1(VALU_DEP_4)
	v_add_f64_e32 v[7:8], v[93:94], v[109:110]
	v_add_f64_e32 v[85:86], v[95:96], v[105:106]
	s_wait_loadcnt_dscnt 0x300
	v_mul_f64_e32 v[93:94], v[89:90], v[71:72]
	v_mul_f64_e32 v[71:72], v[91:92], v[71:72]
	v_fma_f64 v[95:96], v[3:4], v[9:10], v[101:102]
	v_fma_f64 v[9:10], v[1:2], v[9:10], -v[11:12]
	v_add_f64_e32 v[11:12], v[7:8], v[5:6]
	v_add_f64_e32 v[85:86], v[85:86], v[87:88]
	ds_load_b128 v[1:4], v0 offset:848
	ds_load_b128 v[5:8], v0 offset:864
	v_fma_f64 v[91:92], v[91:92], v[69:70], v[93:94]
	v_fma_f64 v[69:70], v[89:90], v[69:70], -v[71:72]
	s_wait_loadcnt_dscnt 0x201
	v_mul_f64_e32 v[87:88], v[1:2], v[75:76]
	v_mul_f64_e32 v[75:76], v[3:4], v[75:76]
	s_wait_loadcnt_dscnt 0x100
	v_mul_f64_e32 v[71:72], v[5:6], v[79:80]
	v_mul_f64_e32 v[79:80], v[7:8], v[79:80]
	v_add_f64_e32 v[9:10], v[11:12], v[9:10]
	v_add_f64_e32 v[11:12], v[85:86], v[95:96]
	v_fma_f64 v[85:86], v[3:4], v[73:74], v[87:88]
	v_fma_f64 v[73:74], v[1:2], v[73:74], -v[75:76]
	ds_load_b128 v[1:4], v0 offset:880
	v_fma_f64 v[7:8], v[7:8], v[77:78], v[71:72]
	v_fma_f64 v[5:6], v[5:6], v[77:78], -v[79:80]
	v_add_f64_e32 v[9:10], v[9:10], v[69:70]
	v_add_f64_e32 v[11:12], v[11:12], v[91:92]
	s_wait_loadcnt_dscnt 0x0
	v_mul_f64_e32 v[69:70], v[1:2], v[83:84]
	v_mul_f64_e32 v[75:76], v[3:4], v[83:84]
	s_delay_alu instid0(VALU_DEP_4) | instskip(NEXT) | instid1(VALU_DEP_4)
	v_add_f64_e32 v[9:10], v[9:10], v[73:74]
	v_add_f64_e32 v[11:12], v[11:12], v[85:86]
	s_delay_alu instid0(VALU_DEP_4) | instskip(NEXT) | instid1(VALU_DEP_4)
	v_fma_f64 v[3:4], v[3:4], v[81:82], v[69:70]
	v_fma_f64 v[1:2], v[1:2], v[81:82], -v[75:76]
	s_delay_alu instid0(VALU_DEP_4) | instskip(NEXT) | instid1(VALU_DEP_4)
	v_add_f64_e32 v[5:6], v[9:10], v[5:6]
	v_add_f64_e32 v[7:8], v[11:12], v[7:8]
	s_delay_alu instid0(VALU_DEP_2) | instskip(NEXT) | instid1(VALU_DEP_2)
	v_add_f64_e32 v[1:2], v[5:6], v[1:2]
	v_add_f64_e32 v[3:4], v[7:8], v[3:4]
	s_delay_alu instid0(VALU_DEP_2) | instskip(NEXT) | instid1(VALU_DEP_2)
	v_add_f64_e64 v[1:2], v[97:98], -v[1:2]
	v_add_f64_e64 v[3:4], v[99:100], -v[3:4]
	scratch_store_b128 off, v[1:4], off offset:16
	s_wait_alu 0xfffe
	s_cbranch_vccz .LBB91_236
; %bb.182:
	global_load_b32 v0, v0, s[2:3] offset:104
	s_wait_loadcnt 0x0
	v_cmp_ne_u32_e32 vcc_lo, 27, v0
	s_cbranch_vccz .LBB91_184
; %bb.183:
	v_lshlrev_b32_e32 v0, 4, v0
	s_delay_alu instid0(VALU_DEP_1)
	v_add_nc_u32_e32 v8, 16, v0
	s_clause 0x1
	scratch_load_b128 v[0:3], v8, off offset:-16
	scratch_load_b128 v[4:7], off, s34
	s_wait_loadcnt 0x1
	scratch_store_b128 off, v[0:3], s34
	s_wait_loadcnt 0x0
	scratch_store_b128 v8, v[4:7], off offset:-16
.LBB91_184:
	v_mov_b32_e32 v0, 0
	global_load_b32 v1, v0, s[2:3] offset:100
	s_wait_loadcnt 0x0
	v_cmp_eq_u32_e32 vcc_lo, 26, v1
	s_cbranch_vccnz .LBB91_186
; %bb.185:
	v_lshlrev_b32_e32 v1, 4, v1
	s_delay_alu instid0(VALU_DEP_1)
	v_add_nc_u32_e32 v9, 16, v1
	s_clause 0x1
	scratch_load_b128 v[1:4], v9, off offset:-16
	scratch_load_b128 v[5:8], off, s19
	s_wait_loadcnt 0x1
	scratch_store_b128 off, v[1:4], s19
	s_wait_loadcnt 0x0
	scratch_store_b128 v9, v[5:8], off offset:-16
.LBB91_186:
	global_load_b32 v0, v0, s[2:3] offset:96
	s_wait_loadcnt 0x0
	v_cmp_eq_u32_e32 vcc_lo, 25, v0
	s_cbranch_vccnz .LBB91_188
; %bb.187:
	v_lshlrev_b32_e32 v0, 4, v0
	s_delay_alu instid0(VALU_DEP_1)
	v_add_nc_u32_e32 v8, 16, v0
	s_clause 0x1
	scratch_load_b128 v[0:3], v8, off offset:-16
	scratch_load_b128 v[4:7], off, s33
	s_wait_loadcnt 0x1
	scratch_store_b128 off, v[0:3], s33
	s_wait_loadcnt 0x0
	scratch_store_b128 v8, v[4:7], off offset:-16
.LBB91_188:
	v_mov_b32_e32 v0, 0
	global_load_b32 v1, v0, s[2:3] offset:92
	s_wait_loadcnt 0x0
	v_cmp_eq_u32_e32 vcc_lo, 24, v1
	s_cbranch_vccnz .LBB91_190
; %bb.189:
	v_lshlrev_b32_e32 v1, 4, v1
	s_delay_alu instid0(VALU_DEP_1)
	v_add_nc_u32_e32 v9, 16, v1
	s_clause 0x1
	scratch_load_b128 v[1:4], v9, off offset:-16
	scratch_load_b128 v[5:8], off, s18
	s_wait_loadcnt 0x1
	scratch_store_b128 off, v[1:4], s18
	s_wait_loadcnt 0x0
	scratch_store_b128 v9, v[5:8], off offset:-16
.LBB91_190:
	global_load_b32 v0, v0, s[2:3] offset:88
	s_wait_loadcnt 0x0
	v_cmp_eq_u32_e32 vcc_lo, 23, v0
	s_cbranch_vccnz .LBB91_192
; %bb.191:
	v_lshlrev_b32_e32 v0, 4, v0
	s_delay_alu instid0(VALU_DEP_1)
	v_add_nc_u32_e32 v8, 16, v0
	s_clause 0x1
	scratch_load_b128 v[0:3], v8, off offset:-16
	scratch_load_b128 v[4:7], off, s31
	s_wait_loadcnt 0x1
	scratch_store_b128 off, v[0:3], s31
	s_wait_loadcnt 0x0
	scratch_store_b128 v8, v[4:7], off offset:-16
.LBB91_192:
	;; [unrolled: 33-line block ×12, first 2 shown]
	v_mov_b32_e32 v0, 0
	global_load_b32 v1, v0, s[2:3] offset:4
	s_wait_loadcnt 0x0
	v_cmp_eq_u32_e32 vcc_lo, 2, v1
	s_cbranch_vccnz .LBB91_234
; %bb.233:
	v_lshlrev_b32_e32 v1, 4, v1
	s_delay_alu instid0(VALU_DEP_1)
	v_add_nc_u32_e32 v9, 16, v1
	s_clause 0x1
	scratch_load_b128 v[1:4], v9, off offset:-16
	scratch_load_b128 v[5:8], off, s36
	s_wait_loadcnt 0x1
	scratch_store_b128 off, v[1:4], s36
	s_wait_loadcnt 0x0
	scratch_store_b128 v9, v[5:8], off offset:-16
.LBB91_234:
	global_load_b32 v0, v0, s[2:3]
	s_wait_loadcnt 0x0
	v_cmp_eq_u32_e32 vcc_lo, 1, v0
	s_cbranch_vccnz .LBB91_236
; %bb.235:
	v_lshlrev_b32_e32 v0, 4, v0
	s_delay_alu instid0(VALU_DEP_1)
	v_add_nc_u32_e32 v8, 16, v0
	scratch_load_b128 v[0:3], v8, off offset:-16
	scratch_load_b128 v[4:7], off, off offset:16
	s_wait_loadcnt 0x1
	scratch_store_b128 off, v[0:3], off offset:16
	s_wait_loadcnt 0x0
	scratch_store_b128 v8, v[4:7], off offset:-16
.LBB91_236:
	scratch_load_b128 v[0:3], off, off offset:16
	s_wait_loadcnt 0x0
	flat_store_b128 v[13:14], v[0:3]
	scratch_load_b128 v[0:3], off, s36
	s_wait_loadcnt 0x0
	flat_store_b128 v[15:16], v[0:3]
	scratch_load_b128 v[0:3], off, s35
	;; [unrolled: 3-line block ×27, first 2 shown]
	s_wait_loadcnt 0x0
	flat_store_b128 v[67:68], v[0:3]
	s_nop 0
	s_sendmsg sendmsg(MSG_DEALLOC_VGPRS)
	s_endpgm
	.section	.rodata,"a",@progbits
	.p2align	6, 0x0
	.amdhsa_kernel _ZN9rocsolver6v33100L18getri_kernel_smallILi28E19rocblas_complex_numIdEPKPS3_EEvT1_iilPiilS8_bb
		.amdhsa_group_segment_fixed_size 904
		.amdhsa_private_segment_fixed_size 480
		.amdhsa_kernarg_size 60
		.amdhsa_user_sgpr_count 2
		.amdhsa_user_sgpr_dispatch_ptr 0
		.amdhsa_user_sgpr_queue_ptr 0
		.amdhsa_user_sgpr_kernarg_segment_ptr 1
		.amdhsa_user_sgpr_dispatch_id 0
		.amdhsa_user_sgpr_private_segment_size 0
		.amdhsa_wavefront_size32 1
		.amdhsa_uses_dynamic_stack 0
		.amdhsa_enable_private_segment 1
		.amdhsa_system_sgpr_workgroup_id_x 1
		.amdhsa_system_sgpr_workgroup_id_y 0
		.amdhsa_system_sgpr_workgroup_id_z 0
		.amdhsa_system_sgpr_workgroup_info 0
		.amdhsa_system_vgpr_workitem_id 0
		.amdhsa_next_free_vgpr 129
		.amdhsa_next_free_sgpr 40
		.amdhsa_reserve_vcc 1
		.amdhsa_float_round_mode_32 0
		.amdhsa_float_round_mode_16_64 0
		.amdhsa_float_denorm_mode_32 3
		.amdhsa_float_denorm_mode_16_64 3
		.amdhsa_fp16_overflow 0
		.amdhsa_workgroup_processor_mode 1
		.amdhsa_memory_ordered 1
		.amdhsa_forward_progress 1
		.amdhsa_inst_pref_size 255
		.amdhsa_round_robin_scheduling 0
		.amdhsa_exception_fp_ieee_invalid_op 0
		.amdhsa_exception_fp_denorm_src 0
		.amdhsa_exception_fp_ieee_div_zero 0
		.amdhsa_exception_fp_ieee_overflow 0
		.amdhsa_exception_fp_ieee_underflow 0
		.amdhsa_exception_fp_ieee_inexact 0
		.amdhsa_exception_int_div_zero 0
	.end_amdhsa_kernel
	.section	.text._ZN9rocsolver6v33100L18getri_kernel_smallILi28E19rocblas_complex_numIdEPKPS3_EEvT1_iilPiilS8_bb,"axG",@progbits,_ZN9rocsolver6v33100L18getri_kernel_smallILi28E19rocblas_complex_numIdEPKPS3_EEvT1_iilPiilS8_bb,comdat
.Lfunc_end91:
	.size	_ZN9rocsolver6v33100L18getri_kernel_smallILi28E19rocblas_complex_numIdEPKPS3_EEvT1_iilPiilS8_bb, .Lfunc_end91-_ZN9rocsolver6v33100L18getri_kernel_smallILi28E19rocblas_complex_numIdEPKPS3_EEvT1_iilPiilS8_bb
                                        ; -- End function
	.set _ZN9rocsolver6v33100L18getri_kernel_smallILi28E19rocblas_complex_numIdEPKPS3_EEvT1_iilPiilS8_bb.num_vgpr, 129
	.set _ZN9rocsolver6v33100L18getri_kernel_smallILi28E19rocblas_complex_numIdEPKPS3_EEvT1_iilPiilS8_bb.num_agpr, 0
	.set _ZN9rocsolver6v33100L18getri_kernel_smallILi28E19rocblas_complex_numIdEPKPS3_EEvT1_iilPiilS8_bb.numbered_sgpr, 40
	.set _ZN9rocsolver6v33100L18getri_kernel_smallILi28E19rocblas_complex_numIdEPKPS3_EEvT1_iilPiilS8_bb.num_named_barrier, 0
	.set _ZN9rocsolver6v33100L18getri_kernel_smallILi28E19rocblas_complex_numIdEPKPS3_EEvT1_iilPiilS8_bb.private_seg_size, 480
	.set _ZN9rocsolver6v33100L18getri_kernel_smallILi28E19rocblas_complex_numIdEPKPS3_EEvT1_iilPiilS8_bb.uses_vcc, 1
	.set _ZN9rocsolver6v33100L18getri_kernel_smallILi28E19rocblas_complex_numIdEPKPS3_EEvT1_iilPiilS8_bb.uses_flat_scratch, 1
	.set _ZN9rocsolver6v33100L18getri_kernel_smallILi28E19rocblas_complex_numIdEPKPS3_EEvT1_iilPiilS8_bb.has_dyn_sized_stack, 0
	.set _ZN9rocsolver6v33100L18getri_kernel_smallILi28E19rocblas_complex_numIdEPKPS3_EEvT1_iilPiilS8_bb.has_recursion, 0
	.set _ZN9rocsolver6v33100L18getri_kernel_smallILi28E19rocblas_complex_numIdEPKPS3_EEvT1_iilPiilS8_bb.has_indirect_call, 0
	.section	.AMDGPU.csdata,"",@progbits
; Kernel info:
; codeLenInByte = 40268
; TotalNumSgprs: 42
; NumVgprs: 129
; ScratchSize: 480
; MemoryBound: 0
; FloatMode: 240
; IeeeMode: 1
; LDSByteSize: 904 bytes/workgroup (compile time only)
; SGPRBlocks: 0
; VGPRBlocks: 16
; NumSGPRsForWavesPerEU: 42
; NumVGPRsForWavesPerEU: 129
; Occupancy: 10
; WaveLimiterHint : 1
; COMPUTE_PGM_RSRC2:SCRATCH_EN: 1
; COMPUTE_PGM_RSRC2:USER_SGPR: 2
; COMPUTE_PGM_RSRC2:TRAP_HANDLER: 0
; COMPUTE_PGM_RSRC2:TGID_X_EN: 1
; COMPUTE_PGM_RSRC2:TGID_Y_EN: 0
; COMPUTE_PGM_RSRC2:TGID_Z_EN: 0
; COMPUTE_PGM_RSRC2:TIDIG_COMP_CNT: 0
	.section	.text._ZN9rocsolver6v33100L18getri_kernel_smallILi29E19rocblas_complex_numIdEPKPS3_EEvT1_iilPiilS8_bb,"axG",@progbits,_ZN9rocsolver6v33100L18getri_kernel_smallILi29E19rocblas_complex_numIdEPKPS3_EEvT1_iilPiilS8_bb,comdat
	.globl	_ZN9rocsolver6v33100L18getri_kernel_smallILi29E19rocblas_complex_numIdEPKPS3_EEvT1_iilPiilS8_bb ; -- Begin function _ZN9rocsolver6v33100L18getri_kernel_smallILi29E19rocblas_complex_numIdEPKPS3_EEvT1_iilPiilS8_bb
	.p2align	8
	.type	_ZN9rocsolver6v33100L18getri_kernel_smallILi29E19rocblas_complex_numIdEPKPS3_EEvT1_iilPiilS8_bb,@function
_ZN9rocsolver6v33100L18getri_kernel_smallILi29E19rocblas_complex_numIdEPKPS3_EEvT1_iilPiilS8_bb: ; @_ZN9rocsolver6v33100L18getri_kernel_smallILi29E19rocblas_complex_numIdEPKPS3_EEvT1_iilPiilS8_bb
; %bb.0:
	s_mov_b32 s2, exec_lo
	v_cmpx_gt_u32_e32 29, v0
	s_cbranch_execz .LBB92_130
; %bb.1:
	s_clause 0x1
	s_load_b32 s13, s[0:1], 0x38
	s_load_b64 s[2:3], s[0:1], 0x0
	s_mov_b32 s8, ttmp9
	s_load_b128 s[4:7], s[0:1], 0x28
	s_wait_kmcnt 0x0
	s_bitcmp1_b32 s13, 8
	s_cselect_b32 s12, -1, 0
	s_ashr_i32 s9, ttmp9, 31
	s_delay_alu instid0(SALU_CYCLE_1) | instskip(NEXT) | instid1(SALU_CYCLE_1)
	s_lshl_b64 s[10:11], s[8:9], 3
	s_add_nc_u64 s[2:3], s[2:3], s[10:11]
	s_load_b64 s[10:11], s[2:3], 0x0
	s_bfe_u32 s2, s13, 0x10008
	s_delay_alu instid0(SALU_CYCLE_1)
	s_cmp_eq_u32 s2, 0
                                        ; implicit-def: $sgpr2_sgpr3
	s_cbranch_scc1 .LBB92_3
; %bb.2:
	s_load_b96 s[16:18], s[0:1], 0x18
	s_mul_u64 s[2:3], s[4:5], s[8:9]
	s_delay_alu instid0(SALU_CYCLE_1)
	s_lshl_b64 s[2:3], s[2:3], 2
	s_wait_kmcnt 0x0
	s_ashr_i32 s5, s18, 31
	s_mov_b32 s4, s18
	s_add_nc_u64 s[2:3], s[16:17], s[2:3]
	s_lshl_b64 s[4:5], s[4:5], 2
	s_delay_alu instid0(SALU_CYCLE_1)
	s_add_nc_u64 s[2:3], s[2:3], s[4:5]
.LBB92_3:
	s_clause 0x1
	s_load_b64 s[4:5], s[0:1], 0x8
	s_load_b32 s38, s[0:1], 0x38
	v_lshlrev_b32_e32 v71, 4, v0
	s_mov_b32 s37, 32
	s_mov_b32 s36, 48
	s_mov_b32 s22, 64
	s_wait_kmcnt 0x0
	s_ashr_i32 s1, s4, 31
	s_mov_b32 s0, s4
	v_add3_u32 v5, s5, s5, v0
	s_lshl_b64 s[0:1], s[0:1], 4
	s_delay_alu instid0(SALU_CYCLE_1)
	s_add_nc_u64 s[0:1], s[10:11], s[0:1]
	s_ashr_i32 s11, s5, 31
	v_add_co_u32 v13, s4, s0, v71
	s_wait_alu 0xf1ff
	v_add_co_ci_u32_e64 v14, null, s1, 0, s4
	s_mov_b32 s10, s5
	v_ashrrev_i32_e32 v6, 31, v5
	s_lshl_b64 s[10:11], s[10:11], 4
	flat_load_b128 v[1:4], v[13:14]
	v_add_co_u32 v15, vcc_lo, v13, s10
	s_delay_alu instid0(VALU_DEP_1) | instskip(SKIP_3) | instid1(VALU_DEP_2)
	v_add_co_ci_u32_e64 v16, null, s11, v14, vcc_lo
	v_lshlrev_b64_e32 v[6:7], 4, v[5:6]
	v_add_nc_u32_e32 v5, s5, v5
	s_movk_i32 s4, 0x50
	v_add_co_u32 v17, vcc_lo, s0, v6
	s_wait_alu 0xfffd
	s_delay_alu instid0(VALU_DEP_3) | instskip(SKIP_1) | instid1(VALU_DEP_1)
	v_add_co_ci_u32_e64 v18, null, s1, v7, vcc_lo
	v_ashrrev_i32_e32 v6, 31, v5
	v_lshlrev_b64_e32 v[6:7], 4, v[5:6]
	v_add_nc_u32_e32 v5, s5, v5
	s_delay_alu instid0(VALU_DEP_2) | instskip(SKIP_1) | instid1(VALU_DEP_3)
	v_add_co_u32 v19, vcc_lo, s0, v6
	s_wait_alu 0xfffd
	v_add_co_ci_u32_e64 v20, null, s1, v7, vcc_lo
	s_delay_alu instid0(VALU_DEP_3) | instskip(NEXT) | instid1(VALU_DEP_1)
	v_ashrrev_i32_e32 v6, 31, v5
	v_lshlrev_b64_e32 v[6:7], 4, v[5:6]
	v_add_nc_u32_e32 v5, s5, v5
	s_delay_alu instid0(VALU_DEP_2) | instskip(SKIP_1) | instid1(VALU_DEP_3)
	v_add_co_u32 v21, vcc_lo, s0, v6
	s_wait_alu 0xfffd
	v_add_co_ci_u32_e64 v22, null, s1, v7, vcc_lo
	s_delay_alu instid0(VALU_DEP_3) | instskip(NEXT) | instid1(VALU_DEP_1)
	;; [unrolled: 8-line block ×20, first 2 shown]
	v_ashrrev_i32_e32 v6, 31, v5
	v_lshlrev_b64_e32 v[6:7], 4, v[5:6]
	s_wait_loadcnt_dscnt 0x0
	scratch_store_b128 off, v[1:4], off offset:16
	flat_load_b128 v[1:4], v[15:16]
	v_add_nc_u32_e32 v5, s5, v5
	v_add_co_u32 v59, vcc_lo, s0, v6
	s_wait_alu 0xfffd
	v_add_co_ci_u32_e64 v60, null, s1, v7, vcc_lo
	s_delay_alu instid0(VALU_DEP_3) | instskip(NEXT) | instid1(VALU_DEP_1)
	v_ashrrev_i32_e32 v6, 31, v5
	v_lshlrev_b64_e32 v[6:7], 4, v[5:6]
	v_add_nc_u32_e32 v5, s5, v5
	s_delay_alu instid0(VALU_DEP_2) | instskip(SKIP_1) | instid1(VALU_DEP_3)
	v_add_co_u32 v61, vcc_lo, s0, v6
	s_wait_alu 0xfffd
	v_add_co_ci_u32_e64 v62, null, s1, v7, vcc_lo
	s_delay_alu instid0(VALU_DEP_3) | instskip(NEXT) | instid1(VALU_DEP_1)
	v_ashrrev_i32_e32 v6, 31, v5
	v_lshlrev_b64_e32 v[6:7], 4, v[5:6]
	v_add_nc_u32_e32 v5, s5, v5
	s_delay_alu instid0(VALU_DEP_2) | instskip(SKIP_1) | instid1(VALU_DEP_3)
	;; [unrolled: 8-line block ×4, first 2 shown]
	v_add_co_u32 v67, vcc_lo, s0, v6
	s_wait_alu 0xfffd
	v_add_co_ci_u32_e64 v68, null, s1, v7, vcc_lo
	s_delay_alu instid0(VALU_DEP_3) | instskip(NEXT) | instid1(VALU_DEP_1)
	v_ashrrev_i32_e32 v6, 31, v5
	v_lshlrev_b64_e32 v[5:6], 4, v[5:6]
	s_delay_alu instid0(VALU_DEP_1) | instskip(SKIP_1) | instid1(VALU_DEP_2)
	v_add_co_u32 v69, vcc_lo, s0, v5
	s_wait_alu 0xfffd
	v_add_co_ci_u32_e64 v70, null, s1, v6, vcc_lo
	s_movk_i32 s0, 0x50
	s_movk_i32 s1, 0x60
	s_wait_alu 0xfffe
	s_add_co_i32 s23, s0, 16
	s_add_co_i32 s5, s1, 16
	s_movk_i32 s0, 0x70
	s_movk_i32 s1, 0x80
	s_wait_alu 0xfffe
	s_add_co_i32 s24, s0, 16
	s_add_co_i32 s10, s1, 16
	s_movk_i32 s0, 0x90
	s_movk_i32 s1, 0xa0
	s_wait_alu 0xfffe
	s_add_co_i32 s25, s0, 16
	s_add_co_i32 s11, s1, 16
	s_movk_i32 s0, 0xb0
	s_movk_i32 s1, 0xc0
	s_wait_alu 0xfffe
	s_add_co_i32 s26, s0, 16
	s_add_co_i32 s13, s1, 16
	s_movk_i32 s0, 0xd0
	s_movk_i32 s1, 0xe0
	s_wait_alu 0xfffe
	s_add_co_i32 s27, s0, 16
	s_add_co_i32 s14, s1, 16
	s_movk_i32 s0, 0xf0
	s_movk_i32 s1, 0x100
	s_wait_alu 0xfffe
	s_add_co_i32 s28, s0, 16
	s_add_co_i32 s15, s1, 16
	s_movk_i32 s0, 0x110
	s_movk_i32 s1, 0x120
	s_wait_alu 0xfffe
	s_add_co_i32 s29, s0, 16
	s_add_co_i32 s16, s1, 16
	s_movk_i32 s0, 0x130
	s_movk_i32 s1, 0x140
	s_wait_alu 0xfffe
	s_add_co_i32 s30, s0, 16
	s_add_co_i32 s17, s1, 16
	s_movk_i32 s0, 0x150
	s_movk_i32 s1, 0x160
	s_wait_alu 0xfffe
	s_add_co_i32 s31, s0, 16
	s_add_co_i32 s18, s1, 16
	s_movk_i32 s0, 0x170
	s_movk_i32 s1, 0x180
	s_wait_alu 0xfffe
	s_add_co_i32 s33, s0, 16
	s_add_co_i32 s19, s1, 16
	s_movk_i32 s0, 0x190
	s_movk_i32 s1, 0x1a0
	s_wait_alu 0xfffe
	s_add_co_i32 s34, s0, 16
	s_add_co_i32 s20, s1, 16
	s_movk_i32 s0, 0x1b0
	s_movk_i32 s1, 0x1c0
	s_wait_alu 0xfffe
	s_add_co_i32 s35, s0, 16
	s_add_co_i32 s21, s1, 16
	s_bitcmp0_b32 s38, 0
	s_mov_b32 s1, -1
	s_wait_loadcnt_dscnt 0x0
	scratch_store_b128 off, v[1:4], off offset:32
	flat_load_b128 v[1:4], v[17:18]
	s_wait_loadcnt_dscnt 0x0
	scratch_store_b128 off, v[1:4], off offset:48
	flat_load_b128 v[1:4], v[19:20]
	;; [unrolled: 3-line block ×27, first 2 shown]
	s_wait_loadcnt_dscnt 0x0
	scratch_store_b128 off, v[1:4], off offset:464
	s_cbranch_scc1 .LBB92_128
; %bb.4:
	v_cmp_eq_u32_e64 s0, 0, v0
	s_and_saveexec_b32 s1, s0
; %bb.5:
	v_mov_b32_e32 v1, 0
	ds_store_b32 v1, v1 offset:928
; %bb.6:
	s_wait_alu 0xfffe
	s_or_b32 exec_lo, exec_lo, s1
	s_wait_storecnt_dscnt 0x0
	s_barrier_signal -1
	s_barrier_wait -1
	global_inv scope:SCOPE_SE
	scratch_load_b128 v[1:4], v71, off offset:16
	s_wait_loadcnt 0x0
	v_cmp_eq_f64_e32 vcc_lo, 0, v[1:2]
	v_cmp_eq_f64_e64 s1, 0, v[3:4]
	s_and_b32 s1, vcc_lo, s1
	s_wait_alu 0xfffe
	s_and_saveexec_b32 s38, s1
	s_cbranch_execz .LBB92_10
; %bb.7:
	v_mov_b32_e32 v1, 0
	s_mov_b32 s39, 0
	ds_load_b32 v2, v1 offset:928
	s_wait_dscnt 0x0
	v_readfirstlane_b32 s1, v2
	v_add_nc_u32_e32 v2, 1, v0
	s_cmp_eq_u32 s1, 0
	s_delay_alu instid0(VALU_DEP_1) | instskip(SKIP_1) | instid1(SALU_CYCLE_1)
	v_cmp_gt_i32_e32 vcc_lo, s1, v2
	s_cselect_b32 s40, -1, 0
	s_or_b32 s40, s40, vcc_lo
	s_delay_alu instid0(SALU_CYCLE_1)
	s_and_b32 exec_lo, exec_lo, s40
	s_cbranch_execz .LBB92_10
; %bb.8:
	v_mov_b32_e32 v3, s1
.LBB92_9:                               ; =>This Inner Loop Header: Depth=1
	ds_cmpstore_rtn_b32 v3, v1, v2, v3 offset:928
	s_wait_dscnt 0x0
	v_cmp_ne_u32_e32 vcc_lo, 0, v3
	v_cmp_le_i32_e64 s1, v3, v2
	s_and_b32 s1, vcc_lo, s1
	s_wait_alu 0xfffe
	s_and_b32 s1, exec_lo, s1
	s_wait_alu 0xfffe
	s_or_b32 s39, s1, s39
	s_delay_alu instid0(SALU_CYCLE_1)
	s_and_not1_b32 exec_lo, exec_lo, s39
	s_cbranch_execnz .LBB92_9
.LBB92_10:
	s_or_b32 exec_lo, exec_lo, s38
	v_mov_b32_e32 v1, 0
	s_barrier_signal -1
	s_barrier_wait -1
	global_inv scope:SCOPE_SE
	ds_load_b32 v2, v1 offset:928
	s_and_saveexec_b32 s1, s0
	s_cbranch_execz .LBB92_12
; %bb.11:
	s_lshl_b64 s[38:39], s[8:9], 2
	s_delay_alu instid0(SALU_CYCLE_1)
	s_add_nc_u64 s[38:39], s[6:7], s[38:39]
	s_wait_dscnt 0x0
	global_store_b32 v1, v2, s[38:39]
.LBB92_12:
	s_wait_alu 0xfffe
	s_or_b32 exec_lo, exec_lo, s1
	s_wait_dscnt 0x0
	v_cmp_ne_u32_e32 vcc_lo, 0, v2
	s_mov_b32 s1, 0
	s_cbranch_vccnz .LBB92_128
; %bb.13:
	v_add_nc_u32_e32 v72, 16, v71
                                        ; implicit-def: $vgpr1_vgpr2
                                        ; implicit-def: $vgpr9_vgpr10
	scratch_load_b128 v[5:8], v72, off
	s_wait_loadcnt 0x0
	v_cmp_ngt_f64_e64 s1, |v[5:6]|, |v[7:8]|
	s_wait_alu 0xfffe
	s_and_saveexec_b32 s38, s1
	s_delay_alu instid0(SALU_CYCLE_1)
	s_xor_b32 s1, exec_lo, s38
	s_cbranch_execz .LBB92_15
; %bb.14:
	v_div_scale_f64 v[1:2], null, v[7:8], v[7:8], v[5:6]
	v_div_scale_f64 v[11:12], vcc_lo, v[5:6], v[7:8], v[5:6]
	s_delay_alu instid0(VALU_DEP_2) | instskip(NEXT) | instid1(TRANS32_DEP_1)
	v_rcp_f64_e32 v[3:4], v[1:2]
	v_fma_f64 v[9:10], -v[1:2], v[3:4], 1.0
	s_delay_alu instid0(VALU_DEP_1) | instskip(NEXT) | instid1(VALU_DEP_1)
	v_fma_f64 v[3:4], v[3:4], v[9:10], v[3:4]
	v_fma_f64 v[9:10], -v[1:2], v[3:4], 1.0
	s_delay_alu instid0(VALU_DEP_1) | instskip(NEXT) | instid1(VALU_DEP_1)
	v_fma_f64 v[3:4], v[3:4], v[9:10], v[3:4]
	v_mul_f64_e32 v[9:10], v[11:12], v[3:4]
	s_delay_alu instid0(VALU_DEP_1) | instskip(SKIP_1) | instid1(VALU_DEP_1)
	v_fma_f64 v[1:2], -v[1:2], v[9:10], v[11:12]
	s_wait_alu 0xfffd
	v_div_fmas_f64 v[1:2], v[1:2], v[3:4], v[9:10]
	s_delay_alu instid0(VALU_DEP_1) | instskip(NEXT) | instid1(VALU_DEP_1)
	v_div_fixup_f64 v[1:2], v[1:2], v[7:8], v[5:6]
	v_fma_f64 v[3:4], v[5:6], v[1:2], v[7:8]
	s_delay_alu instid0(VALU_DEP_1) | instskip(SKIP_1) | instid1(VALU_DEP_2)
	v_div_scale_f64 v[5:6], null, v[3:4], v[3:4], 1.0
	v_div_scale_f64 v[11:12], vcc_lo, 1.0, v[3:4], 1.0
	v_rcp_f64_e32 v[7:8], v[5:6]
	s_delay_alu instid0(TRANS32_DEP_1) | instskip(NEXT) | instid1(VALU_DEP_1)
	v_fma_f64 v[9:10], -v[5:6], v[7:8], 1.0
	v_fma_f64 v[7:8], v[7:8], v[9:10], v[7:8]
	s_delay_alu instid0(VALU_DEP_1) | instskip(NEXT) | instid1(VALU_DEP_1)
	v_fma_f64 v[9:10], -v[5:6], v[7:8], 1.0
	v_fma_f64 v[7:8], v[7:8], v[9:10], v[7:8]
	s_delay_alu instid0(VALU_DEP_1) | instskip(NEXT) | instid1(VALU_DEP_1)
	v_mul_f64_e32 v[9:10], v[11:12], v[7:8]
	v_fma_f64 v[5:6], -v[5:6], v[9:10], v[11:12]
	s_wait_alu 0xfffd
	s_delay_alu instid0(VALU_DEP_1) | instskip(NEXT) | instid1(VALU_DEP_1)
	v_div_fmas_f64 v[5:6], v[5:6], v[7:8], v[9:10]
	v_div_fixup_f64 v[3:4], v[5:6], v[3:4], 1.0
                                        ; implicit-def: $vgpr5_vgpr6
	s_delay_alu instid0(VALU_DEP_1) | instskip(SKIP_1) | instid1(VALU_DEP_2)
	v_mul_f64_e32 v[1:2], v[1:2], v[3:4]
	v_xor_b32_e32 v4, 0x80000000, v4
	v_xor_b32_e32 v10, 0x80000000, v2
	s_delay_alu instid0(VALU_DEP_3)
	v_mov_b32_e32 v9, v1
.LBB92_15:
	s_wait_alu 0xfffe
	s_and_not1_saveexec_b32 s1, s1
	s_cbranch_execz .LBB92_17
; %bb.16:
	v_div_scale_f64 v[1:2], null, v[5:6], v[5:6], v[7:8]
	v_div_scale_f64 v[11:12], vcc_lo, v[7:8], v[5:6], v[7:8]
	s_delay_alu instid0(VALU_DEP_2) | instskip(NEXT) | instid1(TRANS32_DEP_1)
	v_rcp_f64_e32 v[3:4], v[1:2]
	v_fma_f64 v[9:10], -v[1:2], v[3:4], 1.0
	s_delay_alu instid0(VALU_DEP_1) | instskip(NEXT) | instid1(VALU_DEP_1)
	v_fma_f64 v[3:4], v[3:4], v[9:10], v[3:4]
	v_fma_f64 v[9:10], -v[1:2], v[3:4], 1.0
	s_delay_alu instid0(VALU_DEP_1) | instskip(NEXT) | instid1(VALU_DEP_1)
	v_fma_f64 v[3:4], v[3:4], v[9:10], v[3:4]
	v_mul_f64_e32 v[9:10], v[11:12], v[3:4]
	s_delay_alu instid0(VALU_DEP_1) | instskip(SKIP_1) | instid1(VALU_DEP_1)
	v_fma_f64 v[1:2], -v[1:2], v[9:10], v[11:12]
	s_wait_alu 0xfffd
	v_div_fmas_f64 v[1:2], v[1:2], v[3:4], v[9:10]
	s_delay_alu instid0(VALU_DEP_1) | instskip(NEXT) | instid1(VALU_DEP_1)
	v_div_fixup_f64 v[3:4], v[1:2], v[5:6], v[7:8]
	v_fma_f64 v[1:2], v[7:8], v[3:4], v[5:6]
	s_delay_alu instid0(VALU_DEP_1) | instskip(NEXT) | instid1(VALU_DEP_1)
	v_div_scale_f64 v[5:6], null, v[1:2], v[1:2], 1.0
	v_rcp_f64_e32 v[7:8], v[5:6]
	s_delay_alu instid0(TRANS32_DEP_1) | instskip(NEXT) | instid1(VALU_DEP_1)
	v_fma_f64 v[9:10], -v[5:6], v[7:8], 1.0
	v_fma_f64 v[7:8], v[7:8], v[9:10], v[7:8]
	s_delay_alu instid0(VALU_DEP_1) | instskip(NEXT) | instid1(VALU_DEP_1)
	v_fma_f64 v[9:10], -v[5:6], v[7:8], 1.0
	v_fma_f64 v[7:8], v[7:8], v[9:10], v[7:8]
	v_div_scale_f64 v[9:10], vcc_lo, 1.0, v[1:2], 1.0
	s_delay_alu instid0(VALU_DEP_1) | instskip(NEXT) | instid1(VALU_DEP_1)
	v_mul_f64_e32 v[11:12], v[9:10], v[7:8]
	v_fma_f64 v[5:6], -v[5:6], v[11:12], v[9:10]
	s_wait_alu 0xfffd
	s_delay_alu instid0(VALU_DEP_1) | instskip(NEXT) | instid1(VALU_DEP_1)
	v_div_fmas_f64 v[5:6], v[5:6], v[7:8], v[11:12]
	v_div_fixup_f64 v[1:2], v[5:6], v[1:2], 1.0
	s_delay_alu instid0(VALU_DEP_1)
	v_mul_f64_e64 v[3:4], v[3:4], -v[1:2]
	v_xor_b32_e32 v10, 0x80000000, v2
	v_mov_b32_e32 v9, v1
.LBB92_17:
	s_wait_alu 0xfffe
	s_or_b32 exec_lo, exec_lo, s1
	scratch_store_b128 v72, v[1:4], off
	scratch_load_b128 v[73:76], off, s37
	v_xor_b32_e32 v12, 0x80000000, v4
	v_mov_b32_e32 v11, v3
	v_add_nc_u32_e32 v5, 0x1d0, v71
	ds_store_b128 v71, v[9:12]
	s_wait_loadcnt 0x0
	ds_store_b128 v71, v[73:76] offset:464
	s_wait_storecnt_dscnt 0x0
	s_barrier_signal -1
	s_barrier_wait -1
	global_inv scope:SCOPE_SE
	s_and_saveexec_b32 s1, s0
	s_cbranch_execz .LBB92_19
; %bb.18:
	scratch_load_b128 v[1:4], v72, off
	ds_load_b128 v[6:9], v5
	v_mov_b32_e32 v10, 0
	ds_load_b128 v[73:76], v10 offset:16
	s_wait_loadcnt_dscnt 0x1
	v_mul_f64_e32 v[10:11], v[6:7], v[3:4]
	v_mul_f64_e32 v[3:4], v[8:9], v[3:4]
	s_delay_alu instid0(VALU_DEP_2) | instskip(NEXT) | instid1(VALU_DEP_2)
	v_fma_f64 v[8:9], v[8:9], v[1:2], v[10:11]
	v_fma_f64 v[1:2], v[6:7], v[1:2], -v[3:4]
	s_delay_alu instid0(VALU_DEP_2) | instskip(NEXT) | instid1(VALU_DEP_2)
	v_add_f64_e32 v[3:4], 0, v[8:9]
	v_add_f64_e32 v[1:2], 0, v[1:2]
	s_wait_dscnt 0x0
	s_delay_alu instid0(VALU_DEP_2) | instskip(NEXT) | instid1(VALU_DEP_2)
	v_mul_f64_e32 v[6:7], v[3:4], v[75:76]
	v_mul_f64_e32 v[8:9], v[1:2], v[75:76]
	s_delay_alu instid0(VALU_DEP_2) | instskip(NEXT) | instid1(VALU_DEP_2)
	v_fma_f64 v[1:2], v[1:2], v[73:74], -v[6:7]
	v_fma_f64 v[3:4], v[3:4], v[73:74], v[8:9]
	scratch_store_b128 off, v[1:4], off offset:32
.LBB92_19:
	s_wait_alu 0xfffe
	s_or_b32 exec_lo, exec_lo, s1
	s_wait_loadcnt 0x0
	s_wait_storecnt 0x0
	s_barrier_signal -1
	s_barrier_wait -1
	global_inv scope:SCOPE_SE
	scratch_load_b128 v[1:4], off, s36
	s_mov_b32 s1, exec_lo
	s_wait_loadcnt 0x0
	ds_store_b128 v5, v[1:4]
	s_wait_dscnt 0x0
	s_barrier_signal -1
	s_barrier_wait -1
	global_inv scope:SCOPE_SE
	v_cmpx_gt_u32_e32 2, v0
	s_cbranch_execz .LBB92_23
; %bb.20:
	scratch_load_b128 v[1:4], v72, off
	ds_load_b128 v[6:9], v5
	s_wait_loadcnt_dscnt 0x0
	v_mul_f64_e32 v[10:11], v[8:9], v[3:4]
	v_mul_f64_e32 v[3:4], v[6:7], v[3:4]
	s_delay_alu instid0(VALU_DEP_2) | instskip(NEXT) | instid1(VALU_DEP_2)
	v_fma_f64 v[6:7], v[6:7], v[1:2], -v[10:11]
	v_fma_f64 v[3:4], v[8:9], v[1:2], v[3:4]
	s_delay_alu instid0(VALU_DEP_2) | instskip(NEXT) | instid1(VALU_DEP_2)
	v_add_f64_e32 v[1:2], 0, v[6:7]
	v_add_f64_e32 v[3:4], 0, v[3:4]
	s_and_saveexec_b32 s38, s0
	s_cbranch_execz .LBB92_22
; %bb.21:
	scratch_load_b128 v[6:9], off, off offset:32
	v_mov_b32_e32 v10, 0
	ds_load_b128 v[73:76], v10 offset:480
	s_wait_loadcnt_dscnt 0x0
	v_mul_f64_e32 v[10:11], v[73:74], v[8:9]
	v_mul_f64_e32 v[8:9], v[75:76], v[8:9]
	s_delay_alu instid0(VALU_DEP_2) | instskip(NEXT) | instid1(VALU_DEP_2)
	v_fma_f64 v[10:11], v[75:76], v[6:7], v[10:11]
	v_fma_f64 v[6:7], v[73:74], v[6:7], -v[8:9]
	s_delay_alu instid0(VALU_DEP_2) | instskip(NEXT) | instid1(VALU_DEP_2)
	v_add_f64_e32 v[3:4], v[3:4], v[10:11]
	v_add_f64_e32 v[1:2], v[1:2], v[6:7]
.LBB92_22:
	s_or_b32 exec_lo, exec_lo, s38
	v_mov_b32_e32 v6, 0
	ds_load_b128 v[6:9], v6 offset:32
	s_wait_dscnt 0x0
	v_mul_f64_e32 v[10:11], v[3:4], v[8:9]
	v_mul_f64_e32 v[8:9], v[1:2], v[8:9]
	s_delay_alu instid0(VALU_DEP_2) | instskip(NEXT) | instid1(VALU_DEP_2)
	v_fma_f64 v[1:2], v[1:2], v[6:7], -v[10:11]
	v_fma_f64 v[3:4], v[3:4], v[6:7], v[8:9]
	scratch_store_b128 off, v[1:4], off offset:48
.LBB92_23:
	s_wait_alu 0xfffe
	s_or_b32 exec_lo, exec_lo, s1
	s_wait_loadcnt 0x0
	s_wait_storecnt 0x0
	s_barrier_signal -1
	s_barrier_wait -1
	global_inv scope:SCOPE_SE
	scratch_load_b128 v[1:4], off, s22
	v_add_nc_u32_e32 v6, -1, v0
	s_mov_b32 s0, exec_lo
	s_wait_loadcnt 0x0
	ds_store_b128 v5, v[1:4]
	s_wait_dscnt 0x0
	s_barrier_signal -1
	s_barrier_wait -1
	global_inv scope:SCOPE_SE
	v_cmpx_gt_u32_e32 3, v0
	s_cbranch_execz .LBB92_27
; %bb.24:
	v_dual_mov_b32 v1, 0 :: v_dual_add_nc_u32 v8, 0x1d0, v71
	v_mov_b32_e32 v3, 0
	v_dual_mov_b32 v2, 0 :: v_dual_add_nc_u32 v7, -1, v0
	v_mov_b32_e32 v4, 0
	v_or_b32_e32 v9, 8, v72
	s_mov_b32 s1, 0
.LBB92_25:                              ; =>This Inner Loop Header: Depth=1
	scratch_load_b128 v[73:76], v9, off offset:-8
	ds_load_b128 v[77:80], v8
	v_add_nc_u32_e32 v7, 1, v7
	v_add_nc_u32_e32 v8, 16, v8
	v_add_nc_u32_e32 v9, 16, v9
	s_delay_alu instid0(VALU_DEP_3)
	v_cmp_lt_u32_e32 vcc_lo, 1, v7
	s_wait_alu 0xfffe
	s_or_b32 s1, vcc_lo, s1
	s_wait_loadcnt_dscnt 0x0
	v_mul_f64_e32 v[10:11], v[79:80], v[75:76]
	v_mul_f64_e32 v[75:76], v[77:78], v[75:76]
	s_delay_alu instid0(VALU_DEP_2) | instskip(NEXT) | instid1(VALU_DEP_2)
	v_fma_f64 v[10:11], v[77:78], v[73:74], -v[10:11]
	v_fma_f64 v[73:74], v[79:80], v[73:74], v[75:76]
	s_delay_alu instid0(VALU_DEP_2) | instskip(NEXT) | instid1(VALU_DEP_2)
	v_add_f64_e32 v[3:4], v[3:4], v[10:11]
	v_add_f64_e32 v[1:2], v[1:2], v[73:74]
	s_wait_alu 0xfffe
	s_and_not1_b32 exec_lo, exec_lo, s1
	s_cbranch_execnz .LBB92_25
; %bb.26:
	s_or_b32 exec_lo, exec_lo, s1
	v_mov_b32_e32 v7, 0
	ds_load_b128 v[7:10], v7 offset:48
	s_wait_dscnt 0x0
	v_mul_f64_e32 v[11:12], v[1:2], v[9:10]
	v_mul_f64_e32 v[73:74], v[3:4], v[9:10]
	s_delay_alu instid0(VALU_DEP_2) | instskip(NEXT) | instid1(VALU_DEP_2)
	v_fma_f64 v[9:10], v[3:4], v[7:8], -v[11:12]
	v_fma_f64 v[11:12], v[1:2], v[7:8], v[73:74]
	scratch_store_b128 off, v[9:12], off offset:64
.LBB92_27:
	s_wait_alu 0xfffe
	s_or_b32 exec_lo, exec_lo, s0
	s_wait_loadcnt 0x0
	s_wait_storecnt 0x0
	s_barrier_signal -1
	s_barrier_wait -1
	global_inv scope:SCOPE_SE
	scratch_load_b128 v[1:4], off, s4
	s_mov_b32 s0, exec_lo
	s_wait_loadcnt 0x0
	ds_store_b128 v5, v[1:4]
	s_wait_dscnt 0x0
	s_barrier_signal -1
	s_barrier_wait -1
	global_inv scope:SCOPE_SE
	v_cmpx_gt_u32_e32 4, v0
	s_cbranch_execz .LBB92_31
; %bb.28:
	v_dual_mov_b32 v1, 0 :: v_dual_add_nc_u32 v8, 0x1d0, v71
	v_mov_b32_e32 v3, 0
	v_dual_mov_b32 v2, 0 :: v_dual_add_nc_u32 v7, -1, v0
	v_mov_b32_e32 v4, 0
	v_or_b32_e32 v9, 8, v72
	s_mov_b32 s1, 0
.LBB92_29:                              ; =>This Inner Loop Header: Depth=1
	scratch_load_b128 v[73:76], v9, off offset:-8
	ds_load_b128 v[77:80], v8
	v_add_nc_u32_e32 v7, 1, v7
	v_add_nc_u32_e32 v8, 16, v8
	v_add_nc_u32_e32 v9, 16, v9
	s_delay_alu instid0(VALU_DEP_3)
	v_cmp_lt_u32_e32 vcc_lo, 2, v7
	s_wait_alu 0xfffe
	s_or_b32 s1, vcc_lo, s1
	s_wait_loadcnt_dscnt 0x0
	v_mul_f64_e32 v[10:11], v[79:80], v[75:76]
	v_mul_f64_e32 v[75:76], v[77:78], v[75:76]
	s_delay_alu instid0(VALU_DEP_2) | instskip(NEXT) | instid1(VALU_DEP_2)
	v_fma_f64 v[10:11], v[77:78], v[73:74], -v[10:11]
	v_fma_f64 v[73:74], v[79:80], v[73:74], v[75:76]
	s_delay_alu instid0(VALU_DEP_2) | instskip(NEXT) | instid1(VALU_DEP_2)
	v_add_f64_e32 v[3:4], v[3:4], v[10:11]
	v_add_f64_e32 v[1:2], v[1:2], v[73:74]
	s_wait_alu 0xfffe
	s_and_not1_b32 exec_lo, exec_lo, s1
	s_cbranch_execnz .LBB92_29
; %bb.30:
	s_or_b32 exec_lo, exec_lo, s1
	v_mov_b32_e32 v7, 0
	ds_load_b128 v[7:10], v7 offset:64
	s_wait_dscnt 0x0
	v_mul_f64_e32 v[11:12], v[1:2], v[9:10]
	v_mul_f64_e32 v[73:74], v[3:4], v[9:10]
	s_delay_alu instid0(VALU_DEP_2) | instskip(NEXT) | instid1(VALU_DEP_2)
	v_fma_f64 v[9:10], v[3:4], v[7:8], -v[11:12]
	v_fma_f64 v[11:12], v[1:2], v[7:8], v[73:74]
	scratch_store_b128 off, v[9:12], off offset:80
.LBB92_31:
	s_wait_alu 0xfffe
	s_or_b32 exec_lo, exec_lo, s0
	s_wait_loadcnt 0x0
	s_wait_storecnt 0x0
	s_barrier_signal -1
	s_barrier_wait -1
	global_inv scope:SCOPE_SE
	scratch_load_b128 v[1:4], off, s23
	;; [unrolled: 58-line block ×19, first 2 shown]
	s_mov_b32 s0, exec_lo
	s_wait_loadcnt 0x0
	ds_store_b128 v5, v[1:4]
	s_wait_dscnt 0x0
	s_barrier_signal -1
	s_barrier_wait -1
	global_inv scope:SCOPE_SE
	v_cmpx_gt_u32_e32 22, v0
	s_cbranch_execz .LBB92_103
; %bb.100:
	v_dual_mov_b32 v1, 0 :: v_dual_add_nc_u32 v8, 0x1d0, v71
	v_mov_b32_e32 v3, 0
	v_dual_mov_b32 v2, 0 :: v_dual_add_nc_u32 v7, -1, v0
	v_mov_b32_e32 v4, 0
	v_or_b32_e32 v9, 8, v72
	s_mov_b32 s1, 0
.LBB92_101:                             ; =>This Inner Loop Header: Depth=1
	scratch_load_b128 v[73:76], v9, off offset:-8
	ds_load_b128 v[77:80], v8
	v_add_nc_u32_e32 v7, 1, v7
	v_add_nc_u32_e32 v8, 16, v8
	v_add_nc_u32_e32 v9, 16, v9
	s_delay_alu instid0(VALU_DEP_3)
	v_cmp_lt_u32_e32 vcc_lo, 20, v7
	s_wait_alu 0xfffe
	s_or_b32 s1, vcc_lo, s1
	s_wait_loadcnt_dscnt 0x0
	v_mul_f64_e32 v[10:11], v[79:80], v[75:76]
	v_mul_f64_e32 v[75:76], v[77:78], v[75:76]
	s_delay_alu instid0(VALU_DEP_2) | instskip(NEXT) | instid1(VALU_DEP_2)
	v_fma_f64 v[10:11], v[77:78], v[73:74], -v[10:11]
	v_fma_f64 v[73:74], v[79:80], v[73:74], v[75:76]
	s_delay_alu instid0(VALU_DEP_2) | instskip(NEXT) | instid1(VALU_DEP_2)
	v_add_f64_e32 v[3:4], v[3:4], v[10:11]
	v_add_f64_e32 v[1:2], v[1:2], v[73:74]
	s_wait_alu 0xfffe
	s_and_not1_b32 exec_lo, exec_lo, s1
	s_cbranch_execnz .LBB92_101
; %bb.102:
	s_or_b32 exec_lo, exec_lo, s1
	v_mov_b32_e32 v7, 0
	ds_load_b128 v[7:10], v7 offset:352
	s_wait_dscnt 0x0
	v_mul_f64_e32 v[11:12], v[1:2], v[9:10]
	v_mul_f64_e32 v[73:74], v[3:4], v[9:10]
	s_delay_alu instid0(VALU_DEP_2) | instskip(NEXT) | instid1(VALU_DEP_2)
	v_fma_f64 v[9:10], v[3:4], v[7:8], -v[11:12]
	v_fma_f64 v[11:12], v[1:2], v[7:8], v[73:74]
	scratch_store_b128 off, v[9:12], off offset:368
.LBB92_103:
	s_wait_alu 0xfffe
	s_or_b32 exec_lo, exec_lo, s0
	s_wait_loadcnt 0x0
	s_wait_storecnt 0x0
	s_barrier_signal -1
	s_barrier_wait -1
	global_inv scope:SCOPE_SE
	scratch_load_b128 v[1:4], off, s33
	s_mov_b32 s0, exec_lo
	s_wait_loadcnt 0x0
	ds_store_b128 v5, v[1:4]
	s_wait_dscnt 0x0
	s_barrier_signal -1
	s_barrier_wait -1
	global_inv scope:SCOPE_SE
	v_cmpx_gt_u32_e32 23, v0
	s_cbranch_execz .LBB92_107
; %bb.104:
	v_dual_mov_b32 v1, 0 :: v_dual_add_nc_u32 v8, 0x1d0, v71
	v_mov_b32_e32 v3, 0
	v_dual_mov_b32 v2, 0 :: v_dual_add_nc_u32 v7, -1, v0
	v_mov_b32_e32 v4, 0
	v_or_b32_e32 v9, 8, v72
	s_mov_b32 s1, 0
.LBB92_105:                             ; =>This Inner Loop Header: Depth=1
	scratch_load_b128 v[73:76], v9, off offset:-8
	ds_load_b128 v[77:80], v8
	v_add_nc_u32_e32 v7, 1, v7
	v_add_nc_u32_e32 v8, 16, v8
	v_add_nc_u32_e32 v9, 16, v9
	s_delay_alu instid0(VALU_DEP_3)
	v_cmp_lt_u32_e32 vcc_lo, 21, v7
	s_wait_alu 0xfffe
	s_or_b32 s1, vcc_lo, s1
	s_wait_loadcnt_dscnt 0x0
	v_mul_f64_e32 v[10:11], v[79:80], v[75:76]
	v_mul_f64_e32 v[75:76], v[77:78], v[75:76]
	s_delay_alu instid0(VALU_DEP_2) | instskip(NEXT) | instid1(VALU_DEP_2)
	v_fma_f64 v[10:11], v[77:78], v[73:74], -v[10:11]
	v_fma_f64 v[73:74], v[79:80], v[73:74], v[75:76]
	s_delay_alu instid0(VALU_DEP_2) | instskip(NEXT) | instid1(VALU_DEP_2)
	v_add_f64_e32 v[3:4], v[3:4], v[10:11]
	v_add_f64_e32 v[1:2], v[1:2], v[73:74]
	s_wait_alu 0xfffe
	s_and_not1_b32 exec_lo, exec_lo, s1
	s_cbranch_execnz .LBB92_105
; %bb.106:
	s_or_b32 exec_lo, exec_lo, s1
	v_mov_b32_e32 v7, 0
	ds_load_b128 v[7:10], v7 offset:368
	s_wait_dscnt 0x0
	v_mul_f64_e32 v[11:12], v[1:2], v[9:10]
	v_mul_f64_e32 v[73:74], v[3:4], v[9:10]
	s_delay_alu instid0(VALU_DEP_2) | instskip(NEXT) | instid1(VALU_DEP_2)
	v_fma_f64 v[9:10], v[3:4], v[7:8], -v[11:12]
	v_fma_f64 v[11:12], v[1:2], v[7:8], v[73:74]
	scratch_store_b128 off, v[9:12], off offset:384
.LBB92_107:
	s_wait_alu 0xfffe
	s_or_b32 exec_lo, exec_lo, s0
	s_wait_loadcnt 0x0
	s_wait_storecnt 0x0
	s_barrier_signal -1
	s_barrier_wait -1
	global_inv scope:SCOPE_SE
	scratch_load_b128 v[1:4], off, s19
	;; [unrolled: 58-line block ×6, first 2 shown]
	s_mov_b32 s0, exec_lo
	s_wait_loadcnt 0x0
	ds_store_b128 v5, v[1:4]
	s_wait_dscnt 0x0
	s_barrier_signal -1
	s_barrier_wait -1
	global_inv scope:SCOPE_SE
	v_cmpx_ne_u32_e32 28, v0
	s_cbranch_execz .LBB92_127
; %bb.124:
	v_mov_b32_e32 v1, 0
	v_dual_mov_b32 v2, 0 :: v_dual_mov_b32 v3, 0
	v_mov_b32_e32 v4, 0
	v_or_b32_e32 v7, 8, v72
	s_mov_b32 s1, 0
.LBB92_125:                             ; =>This Inner Loop Header: Depth=1
	scratch_load_b128 v[8:11], v7, off offset:-8
	ds_load_b128 v[71:74], v5
	v_add_nc_u32_e32 v6, 1, v6
	v_add_nc_u32_e32 v5, 16, v5
	;; [unrolled: 1-line block ×3, first 2 shown]
	s_delay_alu instid0(VALU_DEP_3)
	v_cmp_lt_u32_e32 vcc_lo, 26, v6
	s_wait_alu 0xfffe
	s_or_b32 s1, vcc_lo, s1
	s_wait_loadcnt_dscnt 0x0
	v_mul_f64_e32 v[75:76], v[73:74], v[10:11]
	v_mul_f64_e32 v[10:11], v[71:72], v[10:11]
	s_delay_alu instid0(VALU_DEP_2) | instskip(NEXT) | instid1(VALU_DEP_2)
	v_fma_f64 v[71:72], v[71:72], v[8:9], -v[75:76]
	v_fma_f64 v[8:9], v[73:74], v[8:9], v[10:11]
	s_delay_alu instid0(VALU_DEP_2) | instskip(NEXT) | instid1(VALU_DEP_2)
	v_add_f64_e32 v[3:4], v[3:4], v[71:72]
	v_add_f64_e32 v[1:2], v[1:2], v[8:9]
	s_wait_alu 0xfffe
	s_and_not1_b32 exec_lo, exec_lo, s1
	s_cbranch_execnz .LBB92_125
; %bb.126:
	s_or_b32 exec_lo, exec_lo, s1
	v_mov_b32_e32 v5, 0
	ds_load_b128 v[5:8], v5 offset:448
	s_wait_dscnt 0x0
	v_mul_f64_e32 v[9:10], v[1:2], v[7:8]
	v_mul_f64_e32 v[7:8], v[3:4], v[7:8]
	s_delay_alu instid0(VALU_DEP_2) | instskip(NEXT) | instid1(VALU_DEP_2)
	v_fma_f64 v[3:4], v[3:4], v[5:6], -v[9:10]
	v_fma_f64 v[5:6], v[1:2], v[5:6], v[7:8]
	scratch_store_b128 off, v[3:6], off offset:464
.LBB92_127:
	s_wait_alu 0xfffe
	s_or_b32 exec_lo, exec_lo, s0
	s_mov_b32 s1, -1
	s_wait_loadcnt 0x0
	s_wait_storecnt 0x0
	s_barrier_signal -1
	s_barrier_wait -1
	global_inv scope:SCOPE_SE
.LBB92_128:
	s_wait_alu 0xfffe
	s_and_b32 vcc_lo, exec_lo, s1
	s_wait_alu 0xfffe
	s_cbranch_vccz .LBB92_130
; %bb.129:
	v_mov_b32_e32 v1, 0
	s_lshl_b64 s[0:1], s[8:9], 2
	s_wait_alu 0xfffe
	s_add_nc_u64 s[0:1], s[6:7], s[0:1]
	global_load_b32 v1, v1, s[0:1]
	s_wait_loadcnt 0x0
	v_cmp_ne_u32_e32 vcc_lo, 0, v1
	s_cbranch_vccz .LBB92_131
.LBB92_130:
	s_nop 0
	s_sendmsg sendmsg(MSG_DEALLOC_VGPRS)
	s_endpgm
.LBB92_131:
	v_lshl_add_u32 v5, v0, 4, 0x1d0
	s_mov_b32 s0, exec_lo
	v_cmpx_eq_u32_e32 28, v0
	s_cbranch_execz .LBB92_133
; %bb.132:
	scratch_load_b128 v[1:4], off, s35
	v_mov_b32_e32 v6, 0
	s_delay_alu instid0(VALU_DEP_1)
	v_dual_mov_b32 v7, v6 :: v_dual_mov_b32 v8, v6
	v_mov_b32_e32 v9, v6
	scratch_store_b128 off, v[6:9], off offset:448
	s_wait_loadcnt 0x0
	ds_store_b128 v5, v[1:4]
.LBB92_133:
	s_wait_alu 0xfffe
	s_or_b32 exec_lo, exec_lo, s0
	s_wait_storecnt_dscnt 0x0
	s_barrier_signal -1
	s_barrier_wait -1
	global_inv scope:SCOPE_SE
	s_clause 0x1
	scratch_load_b128 v[6:9], off, off offset:464
	scratch_load_b128 v[71:74], off, off offset:448
	v_mov_b32_e32 v1, 0
	s_mov_b32 s0, exec_lo
	ds_load_b128 v[75:78], v1 offset:912
	s_wait_loadcnt_dscnt 0x100
	v_mul_f64_e32 v[2:3], v[77:78], v[8:9]
	v_mul_f64_e32 v[8:9], v[75:76], v[8:9]
	s_delay_alu instid0(VALU_DEP_2) | instskip(NEXT) | instid1(VALU_DEP_2)
	v_fma_f64 v[2:3], v[75:76], v[6:7], -v[2:3]
	v_fma_f64 v[6:7], v[77:78], v[6:7], v[8:9]
	s_delay_alu instid0(VALU_DEP_2) | instskip(NEXT) | instid1(VALU_DEP_2)
	v_add_f64_e32 v[2:3], 0, v[2:3]
	v_add_f64_e32 v[8:9], 0, v[6:7]
	s_wait_loadcnt 0x0
	s_delay_alu instid0(VALU_DEP_2) | instskip(NEXT) | instid1(VALU_DEP_2)
	v_add_f64_e64 v[6:7], v[71:72], -v[2:3]
	v_add_f64_e64 v[8:9], v[73:74], -v[8:9]
	scratch_store_b128 off, v[6:9], off offset:448
	v_cmpx_lt_u32_e32 26, v0
	s_cbranch_execz .LBB92_135
; %bb.134:
	scratch_load_b128 v[6:9], off, s20
	v_dual_mov_b32 v2, v1 :: v_dual_mov_b32 v3, v1
	v_mov_b32_e32 v4, v1
	scratch_store_b128 off, v[1:4], off offset:432
	s_wait_loadcnt 0x0
	ds_store_b128 v5, v[6:9]
.LBB92_135:
	s_wait_alu 0xfffe
	s_or_b32 exec_lo, exec_lo, s0
	s_wait_storecnt_dscnt 0x0
	s_barrier_signal -1
	s_barrier_wait -1
	global_inv scope:SCOPE_SE
	s_clause 0x2
	scratch_load_b128 v[6:9], off, off offset:448
	scratch_load_b128 v[71:74], off, off offset:464
	;; [unrolled: 1-line block ×3, first 2 shown]
	ds_load_b128 v[79:82], v1 offset:896
	ds_load_b128 v[1:4], v1 offset:912
	s_mov_b32 s0, exec_lo
	s_wait_loadcnt_dscnt 0x201
	v_mul_f64_e32 v[10:11], v[81:82], v[8:9]
	v_mul_f64_e32 v[8:9], v[79:80], v[8:9]
	s_wait_loadcnt_dscnt 0x100
	v_mul_f64_e32 v[83:84], v[1:2], v[73:74]
	v_mul_f64_e32 v[73:74], v[3:4], v[73:74]
	s_delay_alu instid0(VALU_DEP_4) | instskip(NEXT) | instid1(VALU_DEP_4)
	v_fma_f64 v[10:11], v[79:80], v[6:7], -v[10:11]
	v_fma_f64 v[6:7], v[81:82], v[6:7], v[8:9]
	s_delay_alu instid0(VALU_DEP_4) | instskip(NEXT) | instid1(VALU_DEP_4)
	v_fma_f64 v[3:4], v[3:4], v[71:72], v[83:84]
	v_fma_f64 v[1:2], v[1:2], v[71:72], -v[73:74]
	s_delay_alu instid0(VALU_DEP_4) | instskip(NEXT) | instid1(VALU_DEP_4)
	v_add_f64_e32 v[8:9], 0, v[10:11]
	v_add_f64_e32 v[6:7], 0, v[6:7]
	s_delay_alu instid0(VALU_DEP_2) | instskip(NEXT) | instid1(VALU_DEP_2)
	v_add_f64_e32 v[1:2], v[8:9], v[1:2]
	v_add_f64_e32 v[3:4], v[6:7], v[3:4]
	s_wait_loadcnt 0x0
	s_delay_alu instid0(VALU_DEP_2) | instskip(NEXT) | instid1(VALU_DEP_2)
	v_add_f64_e64 v[1:2], v[75:76], -v[1:2]
	v_add_f64_e64 v[3:4], v[77:78], -v[3:4]
	scratch_store_b128 off, v[1:4], off offset:432
	v_cmpx_lt_u32_e32 25, v0
	s_cbranch_execz .LBB92_137
; %bb.136:
	scratch_load_b128 v[1:4], off, s34
	v_mov_b32_e32 v6, 0
	s_delay_alu instid0(VALU_DEP_1)
	v_dual_mov_b32 v7, v6 :: v_dual_mov_b32 v8, v6
	v_mov_b32_e32 v9, v6
	scratch_store_b128 off, v[6:9], off offset:416
	s_wait_loadcnt 0x0
	ds_store_b128 v5, v[1:4]
.LBB92_137:
	s_wait_alu 0xfffe
	s_or_b32 exec_lo, exec_lo, s0
	s_wait_storecnt_dscnt 0x0
	s_barrier_signal -1
	s_barrier_wait -1
	global_inv scope:SCOPE_SE
	s_clause 0x3
	scratch_load_b128 v[6:9], off, off offset:432
	scratch_load_b128 v[71:74], off, off offset:448
	;; [unrolled: 1-line block ×4, first 2 shown]
	v_mov_b32_e32 v1, 0
	ds_load_b128 v[83:86], v1 offset:880
	ds_load_b128 v[87:90], v1 offset:896
	s_mov_b32 s0, exec_lo
	s_wait_loadcnt_dscnt 0x301
	v_mul_f64_e32 v[2:3], v[85:86], v[8:9]
	v_mul_f64_e32 v[8:9], v[83:84], v[8:9]
	s_wait_loadcnt_dscnt 0x200
	v_mul_f64_e32 v[10:11], v[87:88], v[73:74]
	v_mul_f64_e32 v[73:74], v[89:90], v[73:74]
	s_delay_alu instid0(VALU_DEP_4) | instskip(NEXT) | instid1(VALU_DEP_4)
	v_fma_f64 v[2:3], v[83:84], v[6:7], -v[2:3]
	v_fma_f64 v[83:84], v[85:86], v[6:7], v[8:9]
	ds_load_b128 v[6:9], v1 offset:912
	v_fma_f64 v[10:11], v[89:90], v[71:72], v[10:11]
	v_fma_f64 v[71:72], v[87:88], v[71:72], -v[73:74]
	s_wait_loadcnt_dscnt 0x100
	v_mul_f64_e32 v[85:86], v[6:7], v[77:78]
	v_mul_f64_e32 v[77:78], v[8:9], v[77:78]
	v_add_f64_e32 v[2:3], 0, v[2:3]
	v_add_f64_e32 v[73:74], 0, v[83:84]
	s_delay_alu instid0(VALU_DEP_4) | instskip(NEXT) | instid1(VALU_DEP_4)
	v_fma_f64 v[8:9], v[8:9], v[75:76], v[85:86]
	v_fma_f64 v[6:7], v[6:7], v[75:76], -v[77:78]
	s_delay_alu instid0(VALU_DEP_4) | instskip(NEXT) | instid1(VALU_DEP_4)
	v_add_f64_e32 v[2:3], v[2:3], v[71:72]
	v_add_f64_e32 v[10:11], v[73:74], v[10:11]
	s_delay_alu instid0(VALU_DEP_2) | instskip(NEXT) | instid1(VALU_DEP_2)
	v_add_f64_e32 v[2:3], v[2:3], v[6:7]
	v_add_f64_e32 v[8:9], v[10:11], v[8:9]
	s_wait_loadcnt 0x0
	s_delay_alu instid0(VALU_DEP_2) | instskip(NEXT) | instid1(VALU_DEP_2)
	v_add_f64_e64 v[6:7], v[79:80], -v[2:3]
	v_add_f64_e64 v[8:9], v[81:82], -v[8:9]
	scratch_store_b128 off, v[6:9], off offset:416
	v_cmpx_lt_u32_e32 24, v0
	s_cbranch_execz .LBB92_139
; %bb.138:
	scratch_load_b128 v[6:9], off, s19
	v_dual_mov_b32 v2, v1 :: v_dual_mov_b32 v3, v1
	v_mov_b32_e32 v4, v1
	scratch_store_b128 off, v[1:4], off offset:400
	s_wait_loadcnt 0x0
	ds_store_b128 v5, v[6:9]
.LBB92_139:
	s_wait_alu 0xfffe
	s_or_b32 exec_lo, exec_lo, s0
	s_wait_storecnt_dscnt 0x0
	s_barrier_signal -1
	s_barrier_wait -1
	global_inv scope:SCOPE_SE
	s_clause 0x4
	scratch_load_b128 v[6:9], off, off offset:416
	scratch_load_b128 v[71:74], off, off offset:432
	;; [unrolled: 1-line block ×5, first 2 shown]
	ds_load_b128 v[87:90], v1 offset:864
	ds_load_b128 v[91:94], v1 offset:880
	s_mov_b32 s0, exec_lo
	s_wait_loadcnt_dscnt 0x401
	v_mul_f64_e32 v[2:3], v[89:90], v[8:9]
	v_mul_f64_e32 v[8:9], v[87:88], v[8:9]
	s_wait_loadcnt_dscnt 0x300
	v_mul_f64_e32 v[10:11], v[91:92], v[73:74]
	v_mul_f64_e32 v[73:74], v[93:94], v[73:74]
	s_delay_alu instid0(VALU_DEP_4) | instskip(NEXT) | instid1(VALU_DEP_4)
	v_fma_f64 v[87:88], v[87:88], v[6:7], -v[2:3]
	v_fma_f64 v[89:90], v[89:90], v[6:7], v[8:9]
	ds_load_b128 v[6:9], v1 offset:896
	ds_load_b128 v[1:4], v1 offset:912
	v_fma_f64 v[10:11], v[93:94], v[71:72], v[10:11]
	v_fma_f64 v[71:72], v[91:92], v[71:72], -v[73:74]
	s_wait_loadcnt_dscnt 0x201
	v_mul_f64_e32 v[95:96], v[6:7], v[77:78]
	v_mul_f64_e32 v[77:78], v[8:9], v[77:78]
	v_add_f64_e32 v[73:74], 0, v[87:88]
	v_add_f64_e32 v[87:88], 0, v[89:90]
	s_wait_loadcnt_dscnt 0x100
	v_mul_f64_e32 v[89:90], v[1:2], v[81:82]
	v_mul_f64_e32 v[81:82], v[3:4], v[81:82]
	v_fma_f64 v[8:9], v[8:9], v[75:76], v[95:96]
	v_fma_f64 v[6:7], v[6:7], v[75:76], -v[77:78]
	v_add_f64_e32 v[71:72], v[73:74], v[71:72]
	v_add_f64_e32 v[10:11], v[87:88], v[10:11]
	v_fma_f64 v[3:4], v[3:4], v[79:80], v[89:90]
	v_fma_f64 v[1:2], v[1:2], v[79:80], -v[81:82]
	s_delay_alu instid0(VALU_DEP_4) | instskip(NEXT) | instid1(VALU_DEP_4)
	v_add_f64_e32 v[6:7], v[71:72], v[6:7]
	v_add_f64_e32 v[8:9], v[10:11], v[8:9]
	s_delay_alu instid0(VALU_DEP_2) | instskip(NEXT) | instid1(VALU_DEP_2)
	v_add_f64_e32 v[1:2], v[6:7], v[1:2]
	v_add_f64_e32 v[3:4], v[8:9], v[3:4]
	s_wait_loadcnt 0x0
	s_delay_alu instid0(VALU_DEP_2) | instskip(NEXT) | instid1(VALU_DEP_2)
	v_add_f64_e64 v[1:2], v[83:84], -v[1:2]
	v_add_f64_e64 v[3:4], v[85:86], -v[3:4]
	scratch_store_b128 off, v[1:4], off offset:400
	v_cmpx_lt_u32_e32 23, v0
	s_cbranch_execz .LBB92_141
; %bb.140:
	scratch_load_b128 v[1:4], off, s33
	v_mov_b32_e32 v6, 0
	s_delay_alu instid0(VALU_DEP_1)
	v_dual_mov_b32 v7, v6 :: v_dual_mov_b32 v8, v6
	v_mov_b32_e32 v9, v6
	scratch_store_b128 off, v[6:9], off offset:384
	s_wait_loadcnt 0x0
	ds_store_b128 v5, v[1:4]
.LBB92_141:
	s_wait_alu 0xfffe
	s_or_b32 exec_lo, exec_lo, s0
	s_wait_storecnt_dscnt 0x0
	s_barrier_signal -1
	s_barrier_wait -1
	global_inv scope:SCOPE_SE
	s_clause 0x5
	scratch_load_b128 v[6:9], off, off offset:400
	scratch_load_b128 v[71:74], off, off offset:416
	;; [unrolled: 1-line block ×6, first 2 shown]
	v_mov_b32_e32 v1, 0
	ds_load_b128 v[91:94], v1 offset:848
	ds_load_b128 v[95:98], v1 offset:864
	s_mov_b32 s0, exec_lo
	s_wait_loadcnt_dscnt 0x501
	v_mul_f64_e32 v[2:3], v[93:94], v[8:9]
	v_mul_f64_e32 v[8:9], v[91:92], v[8:9]
	s_wait_loadcnt_dscnt 0x400
	v_mul_f64_e32 v[10:11], v[95:96], v[73:74]
	v_mul_f64_e32 v[73:74], v[97:98], v[73:74]
	s_delay_alu instid0(VALU_DEP_4) | instskip(NEXT) | instid1(VALU_DEP_4)
	v_fma_f64 v[2:3], v[91:92], v[6:7], -v[2:3]
	v_fma_f64 v[99:100], v[93:94], v[6:7], v[8:9]
	ds_load_b128 v[6:9], v1 offset:880
	ds_load_b128 v[91:94], v1 offset:896
	v_fma_f64 v[10:11], v[97:98], v[71:72], v[10:11]
	v_fma_f64 v[71:72], v[95:96], v[71:72], -v[73:74]
	s_wait_loadcnt_dscnt 0x301
	v_mul_f64_e32 v[101:102], v[6:7], v[77:78]
	v_mul_f64_e32 v[77:78], v[8:9], v[77:78]
	s_wait_loadcnt_dscnt 0x200
	v_mul_f64_e32 v[95:96], v[91:92], v[81:82]
	v_mul_f64_e32 v[81:82], v[93:94], v[81:82]
	v_add_f64_e32 v[2:3], 0, v[2:3]
	v_add_f64_e32 v[73:74], 0, v[99:100]
	v_fma_f64 v[97:98], v[8:9], v[75:76], v[101:102]
	v_fma_f64 v[75:76], v[6:7], v[75:76], -v[77:78]
	ds_load_b128 v[6:9], v1 offset:912
	v_fma_f64 v[77:78], v[93:94], v[79:80], v[95:96]
	v_fma_f64 v[79:80], v[91:92], v[79:80], -v[81:82]
	v_add_f64_e32 v[2:3], v[2:3], v[71:72]
	v_add_f64_e32 v[10:11], v[73:74], v[10:11]
	s_wait_loadcnt_dscnt 0x100
	v_mul_f64_e32 v[71:72], v[6:7], v[85:86]
	v_mul_f64_e32 v[73:74], v[8:9], v[85:86]
	s_delay_alu instid0(VALU_DEP_4) | instskip(NEXT) | instid1(VALU_DEP_4)
	v_add_f64_e32 v[2:3], v[2:3], v[75:76]
	v_add_f64_e32 v[10:11], v[10:11], v[97:98]
	s_delay_alu instid0(VALU_DEP_4) | instskip(NEXT) | instid1(VALU_DEP_4)
	v_fma_f64 v[8:9], v[8:9], v[83:84], v[71:72]
	v_fma_f64 v[6:7], v[6:7], v[83:84], -v[73:74]
	s_delay_alu instid0(VALU_DEP_4) | instskip(NEXT) | instid1(VALU_DEP_4)
	v_add_f64_e32 v[2:3], v[2:3], v[79:80]
	v_add_f64_e32 v[10:11], v[10:11], v[77:78]
	s_delay_alu instid0(VALU_DEP_2) | instskip(NEXT) | instid1(VALU_DEP_2)
	v_add_f64_e32 v[2:3], v[2:3], v[6:7]
	v_add_f64_e32 v[8:9], v[10:11], v[8:9]
	s_wait_loadcnt 0x0
	s_delay_alu instid0(VALU_DEP_2) | instskip(NEXT) | instid1(VALU_DEP_2)
	v_add_f64_e64 v[6:7], v[87:88], -v[2:3]
	v_add_f64_e64 v[8:9], v[89:90], -v[8:9]
	scratch_store_b128 off, v[6:9], off offset:384
	v_cmpx_lt_u32_e32 22, v0
	s_cbranch_execz .LBB92_143
; %bb.142:
	scratch_load_b128 v[6:9], off, s18
	v_dual_mov_b32 v2, v1 :: v_dual_mov_b32 v3, v1
	v_mov_b32_e32 v4, v1
	scratch_store_b128 off, v[1:4], off offset:368
	s_wait_loadcnt 0x0
	ds_store_b128 v5, v[6:9]
.LBB92_143:
	s_wait_alu 0xfffe
	s_or_b32 exec_lo, exec_lo, s0
	s_wait_storecnt_dscnt 0x0
	s_barrier_signal -1
	s_barrier_wait -1
	global_inv scope:SCOPE_SE
	s_clause 0x5
	scratch_load_b128 v[6:9], off, off offset:384
	scratch_load_b128 v[71:74], off, off offset:400
	;; [unrolled: 1-line block ×6, first 2 shown]
	ds_load_b128 v[91:94], v1 offset:832
	ds_load_b128 v[99:102], v1 offset:848
	scratch_load_b128 v[95:98], off, off offset:368
	s_mov_b32 s0, exec_lo
	s_wait_loadcnt_dscnt 0x601
	v_mul_f64_e32 v[2:3], v[93:94], v[8:9]
	v_mul_f64_e32 v[8:9], v[91:92], v[8:9]
	s_wait_loadcnt_dscnt 0x500
	v_mul_f64_e32 v[10:11], v[99:100], v[73:74]
	v_mul_f64_e32 v[73:74], v[101:102], v[73:74]
	s_delay_alu instid0(VALU_DEP_4) | instskip(NEXT) | instid1(VALU_DEP_4)
	v_fma_f64 v[2:3], v[91:92], v[6:7], -v[2:3]
	v_fma_f64 v[103:104], v[93:94], v[6:7], v[8:9]
	ds_load_b128 v[6:9], v1 offset:864
	ds_load_b128 v[91:94], v1 offset:880
	v_fma_f64 v[10:11], v[101:102], v[71:72], v[10:11]
	v_fma_f64 v[71:72], v[99:100], v[71:72], -v[73:74]
	s_wait_loadcnt_dscnt 0x401
	v_mul_f64_e32 v[105:106], v[6:7], v[77:78]
	v_mul_f64_e32 v[77:78], v[8:9], v[77:78]
	s_wait_loadcnt_dscnt 0x300
	v_mul_f64_e32 v[99:100], v[91:92], v[81:82]
	v_mul_f64_e32 v[81:82], v[93:94], v[81:82]
	v_add_f64_e32 v[2:3], 0, v[2:3]
	v_add_f64_e32 v[73:74], 0, v[103:104]
	v_fma_f64 v[101:102], v[8:9], v[75:76], v[105:106]
	v_fma_f64 v[75:76], v[6:7], v[75:76], -v[77:78]
	s_delay_alu instid0(VALU_DEP_4) | instskip(NEXT) | instid1(VALU_DEP_4)
	v_add_f64_e32 v[71:72], v[2:3], v[71:72]
	v_add_f64_e32 v[10:11], v[73:74], v[10:11]
	ds_load_b128 v[6:9], v1 offset:896
	ds_load_b128 v[1:4], v1 offset:912
	s_wait_loadcnt_dscnt 0x201
	v_mul_f64_e32 v[73:74], v[6:7], v[85:86]
	v_mul_f64_e32 v[77:78], v[8:9], v[85:86]
	v_fma_f64 v[85:86], v[93:94], v[79:80], v[99:100]
	v_fma_f64 v[79:80], v[91:92], v[79:80], -v[81:82]
	s_wait_loadcnt_dscnt 0x100
	v_mul_f64_e32 v[81:82], v[3:4], v[89:90]
	v_add_f64_e32 v[71:72], v[71:72], v[75:76]
	v_add_f64_e32 v[10:11], v[10:11], v[101:102]
	v_mul_f64_e32 v[75:76], v[1:2], v[89:90]
	v_fma_f64 v[8:9], v[8:9], v[83:84], v[73:74]
	v_fma_f64 v[6:7], v[6:7], v[83:84], -v[77:78]
	v_fma_f64 v[1:2], v[1:2], v[87:88], -v[81:82]
	v_add_f64_e32 v[71:72], v[71:72], v[79:80]
	v_add_f64_e32 v[10:11], v[10:11], v[85:86]
	v_fma_f64 v[3:4], v[3:4], v[87:88], v[75:76]
	s_delay_alu instid0(VALU_DEP_3) | instskip(NEXT) | instid1(VALU_DEP_3)
	v_add_f64_e32 v[6:7], v[71:72], v[6:7]
	v_add_f64_e32 v[8:9], v[10:11], v[8:9]
	s_delay_alu instid0(VALU_DEP_2) | instskip(NEXT) | instid1(VALU_DEP_2)
	v_add_f64_e32 v[1:2], v[6:7], v[1:2]
	v_add_f64_e32 v[3:4], v[8:9], v[3:4]
	s_wait_loadcnt 0x0
	s_delay_alu instid0(VALU_DEP_2) | instskip(NEXT) | instid1(VALU_DEP_2)
	v_add_f64_e64 v[1:2], v[95:96], -v[1:2]
	v_add_f64_e64 v[3:4], v[97:98], -v[3:4]
	scratch_store_b128 off, v[1:4], off offset:368
	v_cmpx_lt_u32_e32 21, v0
	s_cbranch_execz .LBB92_145
; %bb.144:
	scratch_load_b128 v[1:4], off, s31
	v_mov_b32_e32 v6, 0
	s_delay_alu instid0(VALU_DEP_1)
	v_dual_mov_b32 v7, v6 :: v_dual_mov_b32 v8, v6
	v_mov_b32_e32 v9, v6
	scratch_store_b128 off, v[6:9], off offset:352
	s_wait_loadcnt 0x0
	ds_store_b128 v5, v[1:4]
.LBB92_145:
	s_wait_alu 0xfffe
	s_or_b32 exec_lo, exec_lo, s0
	s_wait_storecnt_dscnt 0x0
	s_barrier_signal -1
	s_barrier_wait -1
	global_inv scope:SCOPE_SE
	s_clause 0x6
	scratch_load_b128 v[6:9], off, off offset:368
	scratch_load_b128 v[71:74], off, off offset:384
	;; [unrolled: 1-line block ×7, first 2 shown]
	v_mov_b32_e32 v1, 0
	scratch_load_b128 v[99:102], off, off offset:352
	s_mov_b32 s0, exec_lo
	ds_load_b128 v[95:98], v1 offset:816
	ds_load_b128 v[103:106], v1 offset:832
	s_wait_loadcnt_dscnt 0x701
	v_mul_f64_e32 v[2:3], v[97:98], v[8:9]
	v_mul_f64_e32 v[8:9], v[95:96], v[8:9]
	s_wait_loadcnt_dscnt 0x600
	v_mul_f64_e32 v[10:11], v[103:104], v[73:74]
	v_mul_f64_e32 v[73:74], v[105:106], v[73:74]
	s_delay_alu instid0(VALU_DEP_4) | instskip(NEXT) | instid1(VALU_DEP_4)
	v_fma_f64 v[2:3], v[95:96], v[6:7], -v[2:3]
	v_fma_f64 v[107:108], v[97:98], v[6:7], v[8:9]
	ds_load_b128 v[6:9], v1 offset:848
	ds_load_b128 v[95:98], v1 offset:864
	v_fma_f64 v[10:11], v[105:106], v[71:72], v[10:11]
	v_fma_f64 v[71:72], v[103:104], v[71:72], -v[73:74]
	s_wait_loadcnt_dscnt 0x501
	v_mul_f64_e32 v[109:110], v[6:7], v[77:78]
	v_mul_f64_e32 v[77:78], v[8:9], v[77:78]
	s_wait_loadcnt_dscnt 0x400
	v_mul_f64_e32 v[103:104], v[95:96], v[81:82]
	v_mul_f64_e32 v[81:82], v[97:98], v[81:82]
	v_add_f64_e32 v[2:3], 0, v[2:3]
	v_add_f64_e32 v[73:74], 0, v[107:108]
	v_fma_f64 v[105:106], v[8:9], v[75:76], v[109:110]
	v_fma_f64 v[75:76], v[6:7], v[75:76], -v[77:78]
	v_fma_f64 v[97:98], v[97:98], v[79:80], v[103:104]
	v_fma_f64 v[79:80], v[95:96], v[79:80], -v[81:82]
	v_add_f64_e32 v[2:3], v[2:3], v[71:72]
	v_add_f64_e32 v[10:11], v[73:74], v[10:11]
	ds_load_b128 v[6:9], v1 offset:880
	ds_load_b128 v[71:74], v1 offset:896
	s_wait_loadcnt_dscnt 0x301
	v_mul_f64_e32 v[77:78], v[6:7], v[85:86]
	v_mul_f64_e32 v[85:86], v[8:9], v[85:86]
	s_wait_loadcnt_dscnt 0x200
	v_mul_f64_e32 v[81:82], v[73:74], v[89:90]
	v_add_f64_e32 v[2:3], v[2:3], v[75:76]
	v_add_f64_e32 v[10:11], v[10:11], v[105:106]
	v_mul_f64_e32 v[75:76], v[71:72], v[89:90]
	v_fma_f64 v[77:78], v[8:9], v[83:84], v[77:78]
	v_fma_f64 v[83:84], v[6:7], v[83:84], -v[85:86]
	ds_load_b128 v[6:9], v1 offset:912
	v_fma_f64 v[71:72], v[71:72], v[87:88], -v[81:82]
	v_add_f64_e32 v[2:3], v[2:3], v[79:80]
	v_add_f64_e32 v[10:11], v[10:11], v[97:98]
	v_fma_f64 v[73:74], v[73:74], v[87:88], v[75:76]
	s_wait_loadcnt_dscnt 0x100
	v_mul_f64_e32 v[79:80], v[6:7], v[93:94]
	v_mul_f64_e32 v[85:86], v[8:9], v[93:94]
	v_add_f64_e32 v[2:3], v[2:3], v[83:84]
	v_add_f64_e32 v[10:11], v[10:11], v[77:78]
	s_delay_alu instid0(VALU_DEP_4) | instskip(NEXT) | instid1(VALU_DEP_4)
	v_fma_f64 v[8:9], v[8:9], v[91:92], v[79:80]
	v_fma_f64 v[6:7], v[6:7], v[91:92], -v[85:86]
	s_delay_alu instid0(VALU_DEP_4) | instskip(NEXT) | instid1(VALU_DEP_4)
	v_add_f64_e32 v[2:3], v[2:3], v[71:72]
	v_add_f64_e32 v[10:11], v[10:11], v[73:74]
	s_delay_alu instid0(VALU_DEP_2) | instskip(NEXT) | instid1(VALU_DEP_2)
	v_add_f64_e32 v[2:3], v[2:3], v[6:7]
	v_add_f64_e32 v[8:9], v[10:11], v[8:9]
	s_wait_loadcnt 0x0
	s_delay_alu instid0(VALU_DEP_2) | instskip(NEXT) | instid1(VALU_DEP_2)
	v_add_f64_e64 v[6:7], v[99:100], -v[2:3]
	v_add_f64_e64 v[8:9], v[101:102], -v[8:9]
	scratch_store_b128 off, v[6:9], off offset:352
	v_cmpx_lt_u32_e32 20, v0
	s_cbranch_execz .LBB92_147
; %bb.146:
	scratch_load_b128 v[6:9], off, s17
	v_dual_mov_b32 v2, v1 :: v_dual_mov_b32 v3, v1
	v_mov_b32_e32 v4, v1
	scratch_store_b128 off, v[1:4], off offset:336
	s_wait_loadcnt 0x0
	ds_store_b128 v5, v[6:9]
.LBB92_147:
	s_wait_alu 0xfffe
	s_or_b32 exec_lo, exec_lo, s0
	s_wait_storecnt_dscnt 0x0
	s_barrier_signal -1
	s_barrier_wait -1
	global_inv scope:SCOPE_SE
	s_clause 0x7
	scratch_load_b128 v[6:9], off, off offset:352
	scratch_load_b128 v[71:74], off, off offset:368
	;; [unrolled: 1-line block ×8, first 2 shown]
	ds_load_b128 v[99:102], v1 offset:800
	ds_load_b128 v[103:106], v1 offset:816
	scratch_load_b128 v[107:110], off, off offset:336
	s_mov_b32 s0, exec_lo
	s_wait_loadcnt_dscnt 0x801
	v_mul_f64_e32 v[2:3], v[101:102], v[8:9]
	v_mul_f64_e32 v[8:9], v[99:100], v[8:9]
	s_wait_loadcnt_dscnt 0x700
	v_mul_f64_e32 v[10:11], v[103:104], v[73:74]
	v_mul_f64_e32 v[73:74], v[105:106], v[73:74]
	s_delay_alu instid0(VALU_DEP_4) | instskip(NEXT) | instid1(VALU_DEP_4)
	v_fma_f64 v[2:3], v[99:100], v[6:7], -v[2:3]
	v_fma_f64 v[111:112], v[101:102], v[6:7], v[8:9]
	ds_load_b128 v[6:9], v1 offset:832
	ds_load_b128 v[99:102], v1 offset:848
	v_fma_f64 v[10:11], v[105:106], v[71:72], v[10:11]
	v_fma_f64 v[71:72], v[103:104], v[71:72], -v[73:74]
	s_wait_loadcnt_dscnt 0x601
	v_mul_f64_e32 v[113:114], v[6:7], v[77:78]
	v_mul_f64_e32 v[77:78], v[8:9], v[77:78]
	s_wait_loadcnt_dscnt 0x500
	v_mul_f64_e32 v[103:104], v[99:100], v[81:82]
	v_mul_f64_e32 v[81:82], v[101:102], v[81:82]
	v_add_f64_e32 v[2:3], 0, v[2:3]
	v_add_f64_e32 v[73:74], 0, v[111:112]
	v_fma_f64 v[105:106], v[8:9], v[75:76], v[113:114]
	v_fma_f64 v[75:76], v[6:7], v[75:76], -v[77:78]
	v_fma_f64 v[101:102], v[101:102], v[79:80], v[103:104]
	v_fma_f64 v[79:80], v[99:100], v[79:80], -v[81:82]
	v_add_f64_e32 v[2:3], v[2:3], v[71:72]
	v_add_f64_e32 v[10:11], v[73:74], v[10:11]
	ds_load_b128 v[6:9], v1 offset:864
	ds_load_b128 v[71:74], v1 offset:880
	s_wait_loadcnt_dscnt 0x401
	v_mul_f64_e32 v[77:78], v[6:7], v[85:86]
	v_mul_f64_e32 v[85:86], v[8:9], v[85:86]
	s_wait_loadcnt_dscnt 0x300
	v_mul_f64_e32 v[81:82], v[73:74], v[89:90]
	v_add_f64_e32 v[2:3], v[2:3], v[75:76]
	v_add_f64_e32 v[10:11], v[10:11], v[105:106]
	v_mul_f64_e32 v[75:76], v[71:72], v[89:90]
	v_fma_f64 v[77:78], v[8:9], v[83:84], v[77:78]
	v_fma_f64 v[83:84], v[6:7], v[83:84], -v[85:86]
	v_fma_f64 v[71:72], v[71:72], v[87:88], -v[81:82]
	v_add_f64_e32 v[79:80], v[2:3], v[79:80]
	v_add_f64_e32 v[10:11], v[10:11], v[101:102]
	ds_load_b128 v[6:9], v1 offset:896
	ds_load_b128 v[1:4], v1 offset:912
	v_fma_f64 v[73:74], v[73:74], v[87:88], v[75:76]
	s_wait_loadcnt_dscnt 0x201
	v_mul_f64_e32 v[85:86], v[6:7], v[93:94]
	v_mul_f64_e32 v[89:90], v[8:9], v[93:94]
	v_add_f64_e32 v[75:76], v[79:80], v[83:84]
	v_add_f64_e32 v[10:11], v[10:11], v[77:78]
	s_wait_loadcnt_dscnt 0x100
	v_mul_f64_e32 v[77:78], v[1:2], v[97:98]
	v_mul_f64_e32 v[79:80], v[3:4], v[97:98]
	v_fma_f64 v[8:9], v[8:9], v[91:92], v[85:86]
	v_fma_f64 v[6:7], v[6:7], v[91:92], -v[89:90]
	v_add_f64_e32 v[71:72], v[75:76], v[71:72]
	v_add_f64_e32 v[10:11], v[10:11], v[73:74]
	v_fma_f64 v[3:4], v[3:4], v[95:96], v[77:78]
	v_fma_f64 v[1:2], v[1:2], v[95:96], -v[79:80]
	s_delay_alu instid0(VALU_DEP_4) | instskip(NEXT) | instid1(VALU_DEP_4)
	v_add_f64_e32 v[6:7], v[71:72], v[6:7]
	v_add_f64_e32 v[8:9], v[10:11], v[8:9]
	s_delay_alu instid0(VALU_DEP_2) | instskip(NEXT) | instid1(VALU_DEP_2)
	v_add_f64_e32 v[1:2], v[6:7], v[1:2]
	v_add_f64_e32 v[3:4], v[8:9], v[3:4]
	s_wait_loadcnt 0x0
	s_delay_alu instid0(VALU_DEP_2) | instskip(NEXT) | instid1(VALU_DEP_2)
	v_add_f64_e64 v[1:2], v[107:108], -v[1:2]
	v_add_f64_e64 v[3:4], v[109:110], -v[3:4]
	scratch_store_b128 off, v[1:4], off offset:336
	v_cmpx_lt_u32_e32 19, v0
	s_cbranch_execz .LBB92_149
; %bb.148:
	scratch_load_b128 v[1:4], off, s30
	v_mov_b32_e32 v6, 0
	s_delay_alu instid0(VALU_DEP_1)
	v_dual_mov_b32 v7, v6 :: v_dual_mov_b32 v8, v6
	v_mov_b32_e32 v9, v6
	scratch_store_b128 off, v[6:9], off offset:320
	s_wait_loadcnt 0x0
	ds_store_b128 v5, v[1:4]
.LBB92_149:
	s_wait_alu 0xfffe
	s_or_b32 exec_lo, exec_lo, s0
	s_wait_storecnt_dscnt 0x0
	s_barrier_signal -1
	s_barrier_wait -1
	global_inv scope:SCOPE_SE
	s_clause 0x7
	scratch_load_b128 v[6:9], off, off offset:336
	scratch_load_b128 v[71:74], off, off offset:352
	;; [unrolled: 1-line block ×8, first 2 shown]
	v_mov_b32_e32 v1, 0
	s_mov_b32 s0, exec_lo
	ds_load_b128 v[99:102], v1 offset:784
	s_clause 0x1
	scratch_load_b128 v[103:106], off, off offset:464
	scratch_load_b128 v[107:110], off, off offset:320
	ds_load_b128 v[111:114], v1 offset:800
	s_wait_loadcnt_dscnt 0x901
	v_mul_f64_e32 v[2:3], v[101:102], v[8:9]
	v_mul_f64_e32 v[8:9], v[99:100], v[8:9]
	s_wait_loadcnt_dscnt 0x800
	v_mul_f64_e32 v[10:11], v[111:112], v[73:74]
	v_mul_f64_e32 v[73:74], v[113:114], v[73:74]
	s_delay_alu instid0(VALU_DEP_4) | instskip(NEXT) | instid1(VALU_DEP_4)
	v_fma_f64 v[2:3], v[99:100], v[6:7], -v[2:3]
	v_fma_f64 v[115:116], v[101:102], v[6:7], v[8:9]
	ds_load_b128 v[6:9], v1 offset:816
	ds_load_b128 v[99:102], v1 offset:832
	v_fma_f64 v[10:11], v[113:114], v[71:72], v[10:11]
	v_fma_f64 v[71:72], v[111:112], v[71:72], -v[73:74]
	s_wait_loadcnt_dscnt 0x701
	v_mul_f64_e32 v[117:118], v[6:7], v[77:78]
	v_mul_f64_e32 v[77:78], v[8:9], v[77:78]
	s_wait_loadcnt_dscnt 0x600
	v_mul_f64_e32 v[111:112], v[99:100], v[81:82]
	v_mul_f64_e32 v[81:82], v[101:102], v[81:82]
	v_add_f64_e32 v[2:3], 0, v[2:3]
	v_add_f64_e32 v[73:74], 0, v[115:116]
	v_fma_f64 v[113:114], v[8:9], v[75:76], v[117:118]
	v_fma_f64 v[75:76], v[6:7], v[75:76], -v[77:78]
	v_fma_f64 v[101:102], v[101:102], v[79:80], v[111:112]
	v_fma_f64 v[79:80], v[99:100], v[79:80], -v[81:82]
	v_add_f64_e32 v[2:3], v[2:3], v[71:72]
	v_add_f64_e32 v[10:11], v[73:74], v[10:11]
	ds_load_b128 v[6:9], v1 offset:848
	ds_load_b128 v[71:74], v1 offset:864
	s_wait_loadcnt_dscnt 0x501
	v_mul_f64_e32 v[77:78], v[6:7], v[85:86]
	v_mul_f64_e32 v[85:86], v[8:9], v[85:86]
	s_wait_loadcnt_dscnt 0x400
	v_mul_f64_e32 v[81:82], v[71:72], v[89:90]
	v_mul_f64_e32 v[89:90], v[73:74], v[89:90]
	v_add_f64_e32 v[2:3], v[2:3], v[75:76]
	v_add_f64_e32 v[10:11], v[10:11], v[113:114]
	v_fma_f64 v[99:100], v[8:9], v[83:84], v[77:78]
	v_fma_f64 v[83:84], v[6:7], v[83:84], -v[85:86]
	ds_load_b128 v[6:9], v1 offset:880
	ds_load_b128 v[75:78], v1 offset:896
	v_fma_f64 v[73:74], v[73:74], v[87:88], v[81:82]
	v_fma_f64 v[71:72], v[71:72], v[87:88], -v[89:90]
	v_add_f64_e32 v[2:3], v[2:3], v[79:80]
	v_add_f64_e32 v[10:11], v[10:11], v[101:102]
	s_wait_loadcnt_dscnt 0x301
	v_mul_f64_e32 v[79:80], v[6:7], v[93:94]
	v_mul_f64_e32 v[85:86], v[8:9], v[93:94]
	s_wait_loadcnt_dscnt 0x200
	v_mul_f64_e32 v[81:82], v[75:76], v[97:98]
	v_add_f64_e32 v[2:3], v[2:3], v[83:84]
	v_add_f64_e32 v[10:11], v[10:11], v[99:100]
	v_mul_f64_e32 v[83:84], v[77:78], v[97:98]
	v_fma_f64 v[79:80], v[8:9], v[91:92], v[79:80]
	v_fma_f64 v[85:86], v[6:7], v[91:92], -v[85:86]
	ds_load_b128 v[6:9], v1 offset:912
	v_fma_f64 v[77:78], v[77:78], v[95:96], v[81:82]
	v_add_f64_e32 v[2:3], v[2:3], v[71:72]
	v_add_f64_e32 v[10:11], v[10:11], v[73:74]
	s_wait_loadcnt_dscnt 0x100
	v_mul_f64_e32 v[71:72], v[6:7], v[105:106]
	v_mul_f64_e32 v[73:74], v[8:9], v[105:106]
	v_fma_f64 v[75:76], v[75:76], v[95:96], -v[83:84]
	v_add_f64_e32 v[2:3], v[2:3], v[85:86]
	v_add_f64_e32 v[10:11], v[10:11], v[79:80]
	v_fma_f64 v[8:9], v[8:9], v[103:104], v[71:72]
	v_fma_f64 v[6:7], v[6:7], v[103:104], -v[73:74]
	s_delay_alu instid0(VALU_DEP_4) | instskip(NEXT) | instid1(VALU_DEP_4)
	v_add_f64_e32 v[2:3], v[2:3], v[75:76]
	v_add_f64_e32 v[10:11], v[10:11], v[77:78]
	s_delay_alu instid0(VALU_DEP_2) | instskip(NEXT) | instid1(VALU_DEP_2)
	v_add_f64_e32 v[2:3], v[2:3], v[6:7]
	v_add_f64_e32 v[8:9], v[10:11], v[8:9]
	s_wait_loadcnt 0x0
	s_delay_alu instid0(VALU_DEP_2) | instskip(NEXT) | instid1(VALU_DEP_2)
	v_add_f64_e64 v[6:7], v[107:108], -v[2:3]
	v_add_f64_e64 v[8:9], v[109:110], -v[8:9]
	scratch_store_b128 off, v[6:9], off offset:320
	v_cmpx_lt_u32_e32 18, v0
	s_cbranch_execz .LBB92_151
; %bb.150:
	scratch_load_b128 v[6:9], off, s16
	v_dual_mov_b32 v2, v1 :: v_dual_mov_b32 v3, v1
	v_mov_b32_e32 v4, v1
	scratch_store_b128 off, v[1:4], off offset:304
	s_wait_loadcnt 0x0
	ds_store_b128 v5, v[6:9]
.LBB92_151:
	s_wait_alu 0xfffe
	s_or_b32 exec_lo, exec_lo, s0
	s_wait_storecnt_dscnt 0x0
	s_barrier_signal -1
	s_barrier_wait -1
	global_inv scope:SCOPE_SE
	s_clause 0x8
	scratch_load_b128 v[6:9], off, off offset:320
	scratch_load_b128 v[71:74], off, off offset:336
	;; [unrolled: 1-line block ×9, first 2 shown]
	ds_load_b128 v[103:106], v1 offset:768
	ds_load_b128 v[107:110], v1 offset:784
	scratch_load_b128 v[111:114], off, off offset:304
	s_mov_b32 s0, exec_lo
	s_wait_loadcnt_dscnt 0x901
	v_mul_f64_e32 v[2:3], v[105:106], v[8:9]
	v_mul_f64_e32 v[115:116], v[103:104], v[8:9]
	scratch_load_b128 v[8:11], off, off offset:464
	s_wait_loadcnt_dscnt 0x900
	v_mul_f64_e32 v[119:120], v[107:108], v[73:74]
	v_mul_f64_e32 v[73:74], v[109:110], v[73:74]
	v_fma_f64 v[2:3], v[103:104], v[6:7], -v[2:3]
	v_fma_f64 v[6:7], v[105:106], v[6:7], v[115:116]
	ds_load_b128 v[103:106], v1 offset:800
	ds_load_b128 v[115:118], v1 offset:816
	v_fma_f64 v[109:110], v[109:110], v[71:72], v[119:120]
	v_fma_f64 v[71:72], v[107:108], v[71:72], -v[73:74]
	s_wait_loadcnt_dscnt 0x801
	v_mul_f64_e32 v[121:122], v[103:104], v[77:78]
	v_mul_f64_e32 v[77:78], v[105:106], v[77:78]
	s_wait_loadcnt_dscnt 0x700
	v_mul_f64_e32 v[107:108], v[115:116], v[81:82]
	v_mul_f64_e32 v[81:82], v[117:118], v[81:82]
	v_add_f64_e32 v[2:3], 0, v[2:3]
	v_add_f64_e32 v[6:7], 0, v[6:7]
	v_fma_f64 v[105:106], v[105:106], v[75:76], v[121:122]
	v_fma_f64 v[103:104], v[103:104], v[75:76], -v[77:78]
	v_fma_f64 v[107:108], v[117:118], v[79:80], v[107:108]
	v_fma_f64 v[79:80], v[115:116], v[79:80], -v[81:82]
	v_add_f64_e32 v[2:3], v[2:3], v[71:72]
	v_add_f64_e32 v[6:7], v[6:7], v[109:110]
	ds_load_b128 v[71:74], v1 offset:832
	ds_load_b128 v[75:78], v1 offset:848
	s_wait_loadcnt_dscnt 0x601
	v_mul_f64_e32 v[109:110], v[71:72], v[85:86]
	v_mul_f64_e32 v[85:86], v[73:74], v[85:86]
	v_add_f64_e32 v[2:3], v[2:3], v[103:104]
	v_add_f64_e32 v[6:7], v[6:7], v[105:106]
	s_wait_loadcnt_dscnt 0x500
	v_mul_f64_e32 v[103:104], v[75:76], v[89:90]
	v_mul_f64_e32 v[89:90], v[77:78], v[89:90]
	v_fma_f64 v[105:106], v[73:74], v[83:84], v[109:110]
	v_fma_f64 v[83:84], v[71:72], v[83:84], -v[85:86]
	v_add_f64_e32 v[2:3], v[2:3], v[79:80]
	v_add_f64_e32 v[6:7], v[6:7], v[107:108]
	ds_load_b128 v[71:74], v1 offset:864
	ds_load_b128 v[79:82], v1 offset:880
	v_fma_f64 v[77:78], v[77:78], v[87:88], v[103:104]
	v_fma_f64 v[75:76], v[75:76], v[87:88], -v[89:90]
	s_wait_loadcnt_dscnt 0x401
	v_mul_f64_e32 v[85:86], v[71:72], v[93:94]
	v_mul_f64_e32 v[93:94], v[73:74], v[93:94]
	s_wait_loadcnt_dscnt 0x300
	v_mul_f64_e32 v[87:88], v[81:82], v[97:98]
	v_add_f64_e32 v[2:3], v[2:3], v[83:84]
	v_add_f64_e32 v[6:7], v[6:7], v[105:106]
	v_mul_f64_e32 v[83:84], v[79:80], v[97:98]
	v_fma_f64 v[85:86], v[73:74], v[91:92], v[85:86]
	v_fma_f64 v[89:90], v[71:72], v[91:92], -v[93:94]
	v_fma_f64 v[79:80], v[79:80], v[95:96], -v[87:88]
	v_add_f64_e32 v[75:76], v[2:3], v[75:76]
	v_add_f64_e32 v[6:7], v[6:7], v[77:78]
	ds_load_b128 v[71:74], v1 offset:896
	ds_load_b128 v[1:4], v1 offset:912
	v_fma_f64 v[81:82], v[81:82], v[95:96], v[83:84]
	s_wait_loadcnt_dscnt 0x201
	v_mul_f64_e32 v[77:78], v[71:72], v[101:102]
	v_mul_f64_e32 v[91:92], v[73:74], v[101:102]
	v_add_f64_e32 v[75:76], v[75:76], v[89:90]
	v_add_f64_e32 v[6:7], v[6:7], v[85:86]
	s_wait_loadcnt_dscnt 0x0
	v_mul_f64_e32 v[83:84], v[1:2], v[10:11]
	v_mul_f64_e32 v[10:11], v[3:4], v[10:11]
	v_fma_f64 v[73:74], v[73:74], v[99:100], v[77:78]
	v_fma_f64 v[71:72], v[71:72], v[99:100], -v[91:92]
	v_add_f64_e32 v[75:76], v[75:76], v[79:80]
	v_add_f64_e32 v[6:7], v[6:7], v[81:82]
	v_fma_f64 v[3:4], v[3:4], v[8:9], v[83:84]
	v_fma_f64 v[1:2], v[1:2], v[8:9], -v[10:11]
	s_delay_alu instid0(VALU_DEP_4) | instskip(NEXT) | instid1(VALU_DEP_4)
	v_add_f64_e32 v[8:9], v[75:76], v[71:72]
	v_add_f64_e32 v[6:7], v[6:7], v[73:74]
	s_delay_alu instid0(VALU_DEP_2) | instskip(NEXT) | instid1(VALU_DEP_2)
	v_add_f64_e32 v[1:2], v[8:9], v[1:2]
	v_add_f64_e32 v[3:4], v[6:7], v[3:4]
	s_delay_alu instid0(VALU_DEP_2) | instskip(NEXT) | instid1(VALU_DEP_2)
	v_add_f64_e64 v[1:2], v[111:112], -v[1:2]
	v_add_f64_e64 v[3:4], v[113:114], -v[3:4]
	scratch_store_b128 off, v[1:4], off offset:304
	v_cmpx_lt_u32_e32 17, v0
	s_cbranch_execz .LBB92_153
; %bb.152:
	scratch_load_b128 v[1:4], off, s29
	v_mov_b32_e32 v6, 0
	s_delay_alu instid0(VALU_DEP_1)
	v_dual_mov_b32 v7, v6 :: v_dual_mov_b32 v8, v6
	v_mov_b32_e32 v9, v6
	scratch_store_b128 off, v[6:9], off offset:288
	s_wait_loadcnt 0x0
	ds_store_b128 v5, v[1:4]
.LBB92_153:
	s_wait_alu 0xfffe
	s_or_b32 exec_lo, exec_lo, s0
	s_wait_storecnt_dscnt 0x0
	s_barrier_signal -1
	s_barrier_wait -1
	global_inv scope:SCOPE_SE
	s_clause 0x7
	scratch_load_b128 v[6:9], off, off offset:304
	scratch_load_b128 v[71:74], off, off offset:320
	;; [unrolled: 1-line block ×8, first 2 shown]
	v_mov_b32_e32 v1, 0
	s_mov_b32 s0, exec_lo
	ds_load_b128 v[99:102], v1 offset:752
	s_clause 0x1
	scratch_load_b128 v[103:106], off, off offset:432
	scratch_load_b128 v[107:110], off, off offset:288
	ds_load_b128 v[111:114], v1 offset:768
	ds_load_b128 v[119:122], v1 offset:800
	s_wait_loadcnt_dscnt 0x902
	v_mul_f64_e32 v[2:3], v[101:102], v[8:9]
	v_mul_f64_e32 v[115:116], v[99:100], v[8:9]
	scratch_load_b128 v[8:11], off, off offset:448
	v_fma_f64 v[2:3], v[99:100], v[6:7], -v[2:3]
	v_fma_f64 v[6:7], v[101:102], v[6:7], v[115:116]
	ds_load_b128 v[99:102], v1 offset:784
	s_wait_loadcnt_dscnt 0x902
	v_mul_f64_e32 v[123:124], v[111:112], v[73:74]
	v_mul_f64_e32 v[73:74], v[113:114], v[73:74]
	scratch_load_b128 v[115:118], off, off offset:464
	s_wait_loadcnt_dscnt 0x900
	v_mul_f64_e32 v[125:126], v[99:100], v[77:78]
	v_mul_f64_e32 v[77:78], v[101:102], v[77:78]
	v_add_f64_e32 v[2:3], 0, v[2:3]
	v_add_f64_e32 v[6:7], 0, v[6:7]
	v_fma_f64 v[113:114], v[113:114], v[71:72], v[123:124]
	v_fma_f64 v[71:72], v[111:112], v[71:72], -v[73:74]
	s_wait_loadcnt 0x8
	v_mul_f64_e32 v[111:112], v[119:120], v[81:82]
	v_mul_f64_e32 v[81:82], v[121:122], v[81:82]
	v_fma_f64 v[101:102], v[101:102], v[75:76], v[125:126]
	v_fma_f64 v[99:100], v[99:100], v[75:76], -v[77:78]
	v_add_f64_e32 v[6:7], v[6:7], v[113:114]
	v_add_f64_e32 v[2:3], v[2:3], v[71:72]
	ds_load_b128 v[71:74], v1 offset:816
	ds_load_b128 v[75:78], v1 offset:832
	v_fma_f64 v[111:112], v[121:122], v[79:80], v[111:112]
	v_fma_f64 v[79:80], v[119:120], v[79:80], -v[81:82]
	s_wait_loadcnt_dscnt 0x701
	v_mul_f64_e32 v[113:114], v[71:72], v[85:86]
	v_mul_f64_e32 v[85:86], v[73:74], v[85:86]
	v_add_f64_e32 v[6:7], v[6:7], v[101:102]
	v_add_f64_e32 v[2:3], v[2:3], v[99:100]
	s_wait_loadcnt_dscnt 0x600
	v_mul_f64_e32 v[99:100], v[75:76], v[89:90]
	v_mul_f64_e32 v[89:90], v[77:78], v[89:90]
	v_fma_f64 v[101:102], v[73:74], v[83:84], v[113:114]
	v_fma_f64 v[83:84], v[71:72], v[83:84], -v[85:86]
	v_add_f64_e32 v[6:7], v[6:7], v[111:112]
	v_add_f64_e32 v[2:3], v[2:3], v[79:80]
	ds_load_b128 v[71:74], v1 offset:848
	ds_load_b128 v[79:82], v1 offset:864
	v_fma_f64 v[77:78], v[77:78], v[87:88], v[99:100]
	v_fma_f64 v[75:76], v[75:76], v[87:88], -v[89:90]
	s_wait_loadcnt_dscnt 0x501
	v_mul_f64_e32 v[85:86], v[71:72], v[93:94]
	v_mul_f64_e32 v[93:94], v[73:74], v[93:94]
	s_wait_loadcnt_dscnt 0x400
	v_mul_f64_e32 v[87:88], v[81:82], v[97:98]
	v_add_f64_e32 v[6:7], v[6:7], v[101:102]
	v_add_f64_e32 v[2:3], v[2:3], v[83:84]
	v_mul_f64_e32 v[83:84], v[79:80], v[97:98]
	v_fma_f64 v[85:86], v[73:74], v[91:92], v[85:86]
	v_fma_f64 v[89:90], v[71:72], v[91:92], -v[93:94]
	v_fma_f64 v[79:80], v[79:80], v[95:96], -v[87:88]
	v_add_f64_e32 v[6:7], v[6:7], v[77:78]
	v_add_f64_e32 v[2:3], v[2:3], v[75:76]
	ds_load_b128 v[71:74], v1 offset:880
	ds_load_b128 v[75:78], v1 offset:896
	v_fma_f64 v[81:82], v[81:82], v[95:96], v[83:84]
	s_wait_loadcnt_dscnt 0x301
	v_mul_f64_e32 v[91:92], v[71:72], v[105:106]
	v_mul_f64_e32 v[93:94], v[73:74], v[105:106]
	v_add_f64_e32 v[6:7], v[6:7], v[85:86]
	v_add_f64_e32 v[2:3], v[2:3], v[89:90]
	s_wait_loadcnt_dscnt 0x100
	v_mul_f64_e32 v[83:84], v[75:76], v[10:11]
	v_mul_f64_e32 v[10:11], v[77:78], v[10:11]
	v_fma_f64 v[85:86], v[73:74], v[103:104], v[91:92]
	v_fma_f64 v[87:88], v[71:72], v[103:104], -v[93:94]
	ds_load_b128 v[71:74], v1 offset:912
	v_add_f64_e32 v[6:7], v[6:7], v[81:82]
	v_add_f64_e32 v[2:3], v[2:3], v[79:80]
	v_fma_f64 v[77:78], v[77:78], v[8:9], v[83:84]
	v_fma_f64 v[8:9], v[75:76], v[8:9], -v[10:11]
	s_wait_loadcnt_dscnt 0x0
	v_mul_f64_e32 v[79:80], v[71:72], v[117:118]
	v_mul_f64_e32 v[81:82], v[73:74], v[117:118]
	v_add_f64_e32 v[6:7], v[6:7], v[85:86]
	v_add_f64_e32 v[2:3], v[2:3], v[87:88]
	s_delay_alu instid0(VALU_DEP_4) | instskip(NEXT) | instid1(VALU_DEP_4)
	v_fma_f64 v[10:11], v[73:74], v[115:116], v[79:80]
	v_fma_f64 v[71:72], v[71:72], v[115:116], -v[81:82]
	s_delay_alu instid0(VALU_DEP_4) | instskip(NEXT) | instid1(VALU_DEP_4)
	v_add_f64_e32 v[6:7], v[6:7], v[77:78]
	v_add_f64_e32 v[2:3], v[2:3], v[8:9]
	s_delay_alu instid0(VALU_DEP_2) | instskip(NEXT) | instid1(VALU_DEP_2)
	v_add_f64_e32 v[8:9], v[6:7], v[10:11]
	v_add_f64_e32 v[2:3], v[2:3], v[71:72]
	s_delay_alu instid0(VALU_DEP_2) | instskip(NEXT) | instid1(VALU_DEP_2)
	v_add_f64_e64 v[8:9], v[109:110], -v[8:9]
	v_add_f64_e64 v[6:7], v[107:108], -v[2:3]
	scratch_store_b128 off, v[6:9], off offset:288
	v_cmpx_lt_u32_e32 16, v0
	s_cbranch_execz .LBB92_155
; %bb.154:
	scratch_load_b128 v[6:9], off, s15
	v_dual_mov_b32 v2, v1 :: v_dual_mov_b32 v3, v1
	v_mov_b32_e32 v4, v1
	scratch_store_b128 off, v[1:4], off offset:272
	s_wait_loadcnt 0x0
	ds_store_b128 v5, v[6:9]
.LBB92_155:
	s_wait_alu 0xfffe
	s_or_b32 exec_lo, exec_lo, s0
	s_wait_storecnt_dscnt 0x0
	s_barrier_signal -1
	s_barrier_wait -1
	global_inv scope:SCOPE_SE
	s_clause 0x8
	scratch_load_b128 v[6:9], off, off offset:288
	scratch_load_b128 v[71:74], off, off offset:304
	;; [unrolled: 1-line block ×9, first 2 shown]
	ds_load_b128 v[103:106], v1 offset:736
	ds_load_b128 v[107:110], v1 offset:752
	scratch_load_b128 v[111:114], off, off offset:272
	s_mov_b32 s0, exec_lo
	ds_load_b128 v[119:122], v1 offset:784
	s_wait_loadcnt_dscnt 0x902
	v_mul_f64_e32 v[2:3], v[105:106], v[8:9]
	v_mul_f64_e32 v[115:116], v[103:104], v[8:9]
	scratch_load_b128 v[8:11], off, off offset:432
	s_wait_loadcnt_dscnt 0x901
	v_mul_f64_e32 v[123:124], v[107:108], v[73:74]
	v_mul_f64_e32 v[73:74], v[109:110], v[73:74]
	v_fma_f64 v[2:3], v[103:104], v[6:7], -v[2:3]
	v_fma_f64 v[6:7], v[105:106], v[6:7], v[115:116]
	ds_load_b128 v[103:106], v1 offset:768
	scratch_load_b128 v[115:118], off, off offset:448
	v_fma_f64 v[109:110], v[109:110], v[71:72], v[123:124]
	v_fma_f64 v[107:108], v[107:108], v[71:72], -v[73:74]
	scratch_load_b128 v[71:74], off, off offset:464
	s_wait_loadcnt_dscnt 0x901
	v_mul_f64_e32 v[123:124], v[119:120], v[81:82]
	v_mul_f64_e32 v[81:82], v[121:122], v[81:82]
	s_wait_dscnt 0x0
	v_mul_f64_e32 v[125:126], v[103:104], v[77:78]
	v_mul_f64_e32 v[77:78], v[105:106], v[77:78]
	v_add_f64_e32 v[2:3], 0, v[2:3]
	v_add_f64_e32 v[6:7], 0, v[6:7]
	s_delay_alu instid0(VALU_DEP_4) | instskip(NEXT) | instid1(VALU_DEP_4)
	v_fma_f64 v[125:126], v[105:106], v[75:76], v[125:126]
	v_fma_f64 v[127:128], v[103:104], v[75:76], -v[77:78]
	ds_load_b128 v[75:78], v1 offset:800
	ds_load_b128 v[103:106], v1 offset:816
	v_add_f64_e32 v[2:3], v[2:3], v[107:108]
	v_add_f64_e32 v[6:7], v[6:7], v[109:110]
	v_fma_f64 v[109:110], v[121:122], v[79:80], v[123:124]
	v_fma_f64 v[79:80], v[119:120], v[79:80], -v[81:82]
	s_wait_loadcnt_dscnt 0x801
	v_mul_f64_e32 v[107:108], v[75:76], v[85:86]
	v_mul_f64_e32 v[85:86], v[77:78], v[85:86]
	s_wait_loadcnt_dscnt 0x700
	v_mul_f64_e32 v[119:120], v[103:104], v[89:90]
	v_mul_f64_e32 v[89:90], v[105:106], v[89:90]
	v_add_f64_e32 v[2:3], v[2:3], v[127:128]
	v_add_f64_e32 v[6:7], v[6:7], v[125:126]
	v_fma_f64 v[107:108], v[77:78], v[83:84], v[107:108]
	v_fma_f64 v[83:84], v[75:76], v[83:84], -v[85:86]
	v_fma_f64 v[105:106], v[105:106], v[87:88], v[119:120]
	v_fma_f64 v[87:88], v[103:104], v[87:88], -v[89:90]
	v_add_f64_e32 v[2:3], v[2:3], v[79:80]
	v_add_f64_e32 v[6:7], v[6:7], v[109:110]
	ds_load_b128 v[75:78], v1 offset:832
	ds_load_b128 v[79:82], v1 offset:848
	s_wait_loadcnt_dscnt 0x601
	v_mul_f64_e32 v[85:86], v[75:76], v[93:94]
	v_mul_f64_e32 v[93:94], v[77:78], v[93:94]
	s_wait_loadcnt_dscnt 0x500
	v_mul_f64_e32 v[89:90], v[79:80], v[97:98]
	v_mul_f64_e32 v[97:98], v[81:82], v[97:98]
	v_add_f64_e32 v[2:3], v[2:3], v[83:84]
	v_add_f64_e32 v[6:7], v[6:7], v[107:108]
	v_fma_f64 v[103:104], v[77:78], v[91:92], v[85:86]
	v_fma_f64 v[91:92], v[75:76], v[91:92], -v[93:94]
	ds_load_b128 v[75:78], v1 offset:864
	ds_load_b128 v[83:86], v1 offset:880
	v_fma_f64 v[81:82], v[81:82], v[95:96], v[89:90]
	v_fma_f64 v[79:80], v[79:80], v[95:96], -v[97:98]
	v_add_f64_e32 v[2:3], v[2:3], v[87:88]
	v_add_f64_e32 v[6:7], v[6:7], v[105:106]
	s_wait_loadcnt_dscnt 0x401
	v_mul_f64_e32 v[87:88], v[75:76], v[101:102]
	v_mul_f64_e32 v[93:94], v[77:78], v[101:102]
	s_delay_alu instid0(VALU_DEP_4) | instskip(NEXT) | instid1(VALU_DEP_4)
	v_add_f64_e32 v[2:3], v[2:3], v[91:92]
	v_add_f64_e32 v[6:7], v[6:7], v[103:104]
	s_delay_alu instid0(VALU_DEP_4) | instskip(NEXT) | instid1(VALU_DEP_4)
	v_fma_f64 v[87:88], v[77:78], v[99:100], v[87:88]
	v_fma_f64 v[91:92], v[75:76], v[99:100], -v[93:94]
	s_wait_loadcnt_dscnt 0x200
	v_mul_f64_e32 v[89:90], v[83:84], v[10:11]
	v_mul_f64_e32 v[10:11], v[85:86], v[10:11]
	v_add_f64_e32 v[79:80], v[2:3], v[79:80]
	v_add_f64_e32 v[6:7], v[6:7], v[81:82]
	ds_load_b128 v[75:78], v1 offset:896
	ds_load_b128 v[1:4], v1 offset:912
	v_fma_f64 v[85:86], v[85:86], v[8:9], v[89:90]
	v_fma_f64 v[8:9], v[83:84], v[8:9], -v[10:11]
	s_wait_loadcnt_dscnt 0x101
	v_mul_f64_e32 v[81:82], v[75:76], v[117:118]
	v_mul_f64_e32 v[93:94], v[77:78], v[117:118]
	v_add_f64_e32 v[10:11], v[79:80], v[91:92]
	v_add_f64_e32 v[6:7], v[6:7], v[87:88]
	s_wait_loadcnt_dscnt 0x0
	v_mul_f64_e32 v[79:80], v[1:2], v[73:74]
	v_mul_f64_e32 v[73:74], v[3:4], v[73:74]
	v_fma_f64 v[77:78], v[77:78], v[115:116], v[81:82]
	v_fma_f64 v[75:76], v[75:76], v[115:116], -v[93:94]
	v_add_f64_e32 v[8:9], v[10:11], v[8:9]
	v_add_f64_e32 v[6:7], v[6:7], v[85:86]
	v_fma_f64 v[3:4], v[3:4], v[71:72], v[79:80]
	v_fma_f64 v[1:2], v[1:2], v[71:72], -v[73:74]
	s_delay_alu instid0(VALU_DEP_4) | instskip(NEXT) | instid1(VALU_DEP_4)
	v_add_f64_e32 v[8:9], v[8:9], v[75:76]
	v_add_f64_e32 v[6:7], v[6:7], v[77:78]
	s_delay_alu instid0(VALU_DEP_2) | instskip(NEXT) | instid1(VALU_DEP_2)
	v_add_f64_e32 v[1:2], v[8:9], v[1:2]
	v_add_f64_e32 v[3:4], v[6:7], v[3:4]
	s_delay_alu instid0(VALU_DEP_2) | instskip(NEXT) | instid1(VALU_DEP_2)
	v_add_f64_e64 v[1:2], v[111:112], -v[1:2]
	v_add_f64_e64 v[3:4], v[113:114], -v[3:4]
	scratch_store_b128 off, v[1:4], off offset:272
	v_cmpx_lt_u32_e32 15, v0
	s_cbranch_execz .LBB92_157
; %bb.156:
	scratch_load_b128 v[1:4], off, s28
	v_mov_b32_e32 v6, 0
	s_delay_alu instid0(VALU_DEP_1)
	v_dual_mov_b32 v7, v6 :: v_dual_mov_b32 v8, v6
	v_mov_b32_e32 v9, v6
	scratch_store_b128 off, v[6:9], off offset:256
	s_wait_loadcnt 0x0
	ds_store_b128 v5, v[1:4]
.LBB92_157:
	s_wait_alu 0xfffe
	s_or_b32 exec_lo, exec_lo, s0
	s_wait_storecnt_dscnt 0x0
	s_barrier_signal -1
	s_barrier_wait -1
	global_inv scope:SCOPE_SE
	s_clause 0x7
	scratch_load_b128 v[6:9], off, off offset:272
	scratch_load_b128 v[71:74], off, off offset:288
	;; [unrolled: 1-line block ×8, first 2 shown]
	v_mov_b32_e32 v1, 0
	s_mov_b32 s0, exec_lo
	ds_load_b128 v[99:102], v1 offset:720
	s_clause 0x1
	scratch_load_b128 v[103:106], off, off offset:400
	scratch_load_b128 v[107:110], off, off offset:256
	ds_load_b128 v[111:114], v1 offset:736
	ds_load_b128 v[119:122], v1 offset:768
	s_wait_loadcnt_dscnt 0x902
	v_mul_f64_e32 v[2:3], v[101:102], v[8:9]
	v_mul_f64_e32 v[115:116], v[99:100], v[8:9]
	scratch_load_b128 v[8:11], off, off offset:416
	v_fma_f64 v[2:3], v[99:100], v[6:7], -v[2:3]
	v_fma_f64 v[6:7], v[101:102], v[6:7], v[115:116]
	ds_load_b128 v[99:102], v1 offset:752
	s_wait_loadcnt_dscnt 0x902
	v_mul_f64_e32 v[123:124], v[111:112], v[73:74]
	v_mul_f64_e32 v[73:74], v[113:114], v[73:74]
	scratch_load_b128 v[115:118], off, off offset:432
	s_wait_loadcnt_dscnt 0x900
	v_mul_f64_e32 v[125:126], v[99:100], v[77:78]
	v_mul_f64_e32 v[77:78], v[101:102], v[77:78]
	v_add_f64_e32 v[2:3], 0, v[2:3]
	v_add_f64_e32 v[6:7], 0, v[6:7]
	v_fma_f64 v[113:114], v[113:114], v[71:72], v[123:124]
	v_fma_f64 v[111:112], v[111:112], v[71:72], -v[73:74]
	scratch_load_b128 v[71:74], off, off offset:448
	v_fma_f64 v[125:126], v[101:102], v[75:76], v[125:126]
	v_fma_f64 v[127:128], v[99:100], v[75:76], -v[77:78]
	ds_load_b128 v[75:78], v1 offset:784
	s_wait_loadcnt 0x9
	v_mul_f64_e32 v[123:124], v[119:120], v[81:82]
	v_mul_f64_e32 v[81:82], v[121:122], v[81:82]
	scratch_load_b128 v[99:102], off, off offset:464
	v_add_f64_e32 v[6:7], v[6:7], v[113:114]
	v_add_f64_e32 v[2:3], v[2:3], v[111:112]
	ds_load_b128 v[111:114], v1 offset:800
	s_wait_loadcnt_dscnt 0x901
	v_mul_f64_e32 v[129:130], v[75:76], v[85:86]
	v_mul_f64_e32 v[85:86], v[77:78], v[85:86]
	v_fma_f64 v[121:122], v[121:122], v[79:80], v[123:124]
	v_fma_f64 v[79:80], v[119:120], v[79:80], -v[81:82]
	s_wait_loadcnt_dscnt 0x800
	v_mul_f64_e32 v[119:120], v[111:112], v[89:90]
	v_mul_f64_e32 v[89:90], v[113:114], v[89:90]
	v_add_f64_e32 v[6:7], v[6:7], v[125:126]
	v_add_f64_e32 v[2:3], v[2:3], v[127:128]
	v_fma_f64 v[123:124], v[77:78], v[83:84], v[129:130]
	v_fma_f64 v[83:84], v[75:76], v[83:84], -v[85:86]
	v_fma_f64 v[113:114], v[113:114], v[87:88], v[119:120]
	v_fma_f64 v[87:88], v[111:112], v[87:88], -v[89:90]
	v_add_f64_e32 v[6:7], v[6:7], v[121:122]
	v_add_f64_e32 v[2:3], v[2:3], v[79:80]
	ds_load_b128 v[75:78], v1 offset:816
	ds_load_b128 v[79:82], v1 offset:832
	s_wait_loadcnt_dscnt 0x701
	v_mul_f64_e32 v[85:86], v[75:76], v[93:94]
	v_mul_f64_e32 v[93:94], v[77:78], v[93:94]
	s_wait_loadcnt_dscnt 0x600
	v_mul_f64_e32 v[89:90], v[79:80], v[97:98]
	v_mul_f64_e32 v[97:98], v[81:82], v[97:98]
	v_add_f64_e32 v[6:7], v[6:7], v[123:124]
	v_add_f64_e32 v[2:3], v[2:3], v[83:84]
	v_fma_f64 v[111:112], v[77:78], v[91:92], v[85:86]
	v_fma_f64 v[91:92], v[75:76], v[91:92], -v[93:94]
	ds_load_b128 v[75:78], v1 offset:848
	ds_load_b128 v[83:86], v1 offset:864
	v_fma_f64 v[81:82], v[81:82], v[95:96], v[89:90]
	v_fma_f64 v[79:80], v[79:80], v[95:96], -v[97:98]
	v_add_f64_e32 v[6:7], v[6:7], v[113:114]
	v_add_f64_e32 v[2:3], v[2:3], v[87:88]
	s_wait_loadcnt_dscnt 0x501
	v_mul_f64_e32 v[87:88], v[75:76], v[105:106]
	v_mul_f64_e32 v[93:94], v[77:78], v[105:106]
	s_delay_alu instid0(VALU_DEP_4) | instskip(NEXT) | instid1(VALU_DEP_4)
	v_add_f64_e32 v[6:7], v[6:7], v[111:112]
	v_add_f64_e32 v[2:3], v[2:3], v[91:92]
	s_delay_alu instid0(VALU_DEP_4) | instskip(NEXT) | instid1(VALU_DEP_4)
	v_fma_f64 v[87:88], v[77:78], v[103:104], v[87:88]
	v_fma_f64 v[91:92], v[75:76], v[103:104], -v[93:94]
	s_wait_loadcnt_dscnt 0x300
	v_mul_f64_e32 v[89:90], v[83:84], v[10:11]
	v_mul_f64_e32 v[10:11], v[85:86], v[10:11]
	v_add_f64_e32 v[6:7], v[6:7], v[81:82]
	v_add_f64_e32 v[2:3], v[2:3], v[79:80]
	ds_load_b128 v[75:78], v1 offset:880
	ds_load_b128 v[79:82], v1 offset:896
	v_fma_f64 v[85:86], v[85:86], v[8:9], v[89:90]
	v_fma_f64 v[8:9], v[83:84], v[8:9], -v[10:11]
	s_wait_loadcnt_dscnt 0x201
	v_mul_f64_e32 v[93:94], v[75:76], v[117:118]
	v_mul_f64_e32 v[95:96], v[77:78], v[117:118]
	v_add_f64_e32 v[6:7], v[6:7], v[87:88]
	v_add_f64_e32 v[2:3], v[2:3], v[91:92]
	s_wait_loadcnt_dscnt 0x100
	v_mul_f64_e32 v[10:11], v[79:80], v[73:74]
	v_mul_f64_e32 v[73:74], v[81:82], v[73:74]
	v_fma_f64 v[77:78], v[77:78], v[115:116], v[93:94]
	v_fma_f64 v[75:76], v[75:76], v[115:116], -v[95:96]
	v_add_f64_e32 v[83:84], v[6:7], v[85:86]
	v_add_f64_e32 v[2:3], v[2:3], v[8:9]
	ds_load_b128 v[6:9], v1 offset:912
	v_fma_f64 v[10:11], v[81:82], v[71:72], v[10:11]
	v_fma_f64 v[71:72], v[79:80], v[71:72], -v[73:74]
	s_wait_loadcnt_dscnt 0x0
	v_mul_f64_e32 v[85:86], v[6:7], v[101:102]
	v_mul_f64_e32 v[87:88], v[8:9], v[101:102]
	v_add_f64_e32 v[73:74], v[83:84], v[77:78]
	v_add_f64_e32 v[2:3], v[2:3], v[75:76]
	s_delay_alu instid0(VALU_DEP_4) | instskip(NEXT) | instid1(VALU_DEP_4)
	v_fma_f64 v[8:9], v[8:9], v[99:100], v[85:86]
	v_fma_f64 v[6:7], v[6:7], v[99:100], -v[87:88]
	s_delay_alu instid0(VALU_DEP_4) | instskip(NEXT) | instid1(VALU_DEP_4)
	v_add_f64_e32 v[10:11], v[73:74], v[10:11]
	v_add_f64_e32 v[2:3], v[2:3], v[71:72]
	s_delay_alu instid0(VALU_DEP_2) | instskip(NEXT) | instid1(VALU_DEP_2)
	v_add_f64_e32 v[8:9], v[10:11], v[8:9]
	v_add_f64_e32 v[2:3], v[2:3], v[6:7]
	s_delay_alu instid0(VALU_DEP_2) | instskip(NEXT) | instid1(VALU_DEP_2)
	v_add_f64_e64 v[8:9], v[109:110], -v[8:9]
	v_add_f64_e64 v[6:7], v[107:108], -v[2:3]
	scratch_store_b128 off, v[6:9], off offset:256
	v_cmpx_lt_u32_e32 14, v0
	s_cbranch_execz .LBB92_159
; %bb.158:
	scratch_load_b128 v[6:9], off, s14
	v_dual_mov_b32 v2, v1 :: v_dual_mov_b32 v3, v1
	v_mov_b32_e32 v4, v1
	scratch_store_b128 off, v[1:4], off offset:240
	s_wait_loadcnt 0x0
	ds_store_b128 v5, v[6:9]
.LBB92_159:
	s_wait_alu 0xfffe
	s_or_b32 exec_lo, exec_lo, s0
	s_wait_storecnt_dscnt 0x0
	s_barrier_signal -1
	s_barrier_wait -1
	global_inv scope:SCOPE_SE
	s_clause 0x8
	scratch_load_b128 v[6:9], off, off offset:256
	scratch_load_b128 v[71:74], off, off offset:272
	;; [unrolled: 1-line block ×9, first 2 shown]
	ds_load_b128 v[103:106], v1 offset:704
	ds_load_b128 v[107:110], v1 offset:720
	scratch_load_b128 v[111:114], off, off offset:240
	s_mov_b32 s0, exec_lo
	ds_load_b128 v[119:122], v1 offset:752
	s_wait_loadcnt_dscnt 0x902
	v_mul_f64_e32 v[2:3], v[105:106], v[8:9]
	v_mul_f64_e32 v[115:116], v[103:104], v[8:9]
	scratch_load_b128 v[8:11], off, off offset:400
	s_wait_loadcnt_dscnt 0x901
	v_mul_f64_e32 v[123:124], v[107:108], v[73:74]
	v_mul_f64_e32 v[73:74], v[109:110], v[73:74]
	v_fma_f64 v[2:3], v[103:104], v[6:7], -v[2:3]
	v_fma_f64 v[6:7], v[105:106], v[6:7], v[115:116]
	ds_load_b128 v[103:106], v1 offset:736
	scratch_load_b128 v[115:118], off, off offset:416
	v_fma_f64 v[109:110], v[109:110], v[71:72], v[123:124]
	v_fma_f64 v[107:108], v[107:108], v[71:72], -v[73:74]
	scratch_load_b128 v[71:74], off, off offset:432
	s_wait_loadcnt_dscnt 0x901
	v_mul_f64_e32 v[123:124], v[119:120], v[81:82]
	v_mul_f64_e32 v[81:82], v[121:122], v[81:82]
	s_wait_dscnt 0x0
	v_mul_f64_e32 v[125:126], v[103:104], v[77:78]
	v_mul_f64_e32 v[77:78], v[105:106], v[77:78]
	v_add_f64_e32 v[2:3], 0, v[2:3]
	v_add_f64_e32 v[6:7], 0, v[6:7]
	v_fma_f64 v[121:122], v[121:122], v[79:80], v[123:124]
	v_fma_f64 v[119:120], v[119:120], v[79:80], -v[81:82]
	scratch_load_b128 v[79:82], off, off offset:464
	v_fma_f64 v[125:126], v[105:106], v[75:76], v[125:126]
	v_fma_f64 v[127:128], v[103:104], v[75:76], -v[77:78]
	ds_load_b128 v[75:78], v1 offset:768
	scratch_load_b128 v[103:106], off, off offset:448
	v_add_f64_e32 v[2:3], v[2:3], v[107:108]
	v_add_f64_e32 v[6:7], v[6:7], v[109:110]
	ds_load_b128 v[107:110], v1 offset:784
	s_wait_loadcnt_dscnt 0xa01
	v_mul_f64_e32 v[129:130], v[75:76], v[85:86]
	v_mul_f64_e32 v[85:86], v[77:78], v[85:86]
	s_wait_loadcnt_dscnt 0x900
	v_mul_f64_e32 v[123:124], v[107:108], v[89:90]
	v_mul_f64_e32 v[89:90], v[109:110], v[89:90]
	v_add_f64_e32 v[2:3], v[2:3], v[127:128]
	v_add_f64_e32 v[6:7], v[6:7], v[125:126]
	v_fma_f64 v[125:126], v[77:78], v[83:84], v[129:130]
	v_fma_f64 v[127:128], v[75:76], v[83:84], -v[85:86]
	ds_load_b128 v[75:78], v1 offset:800
	ds_load_b128 v[83:86], v1 offset:816
	v_fma_f64 v[109:110], v[109:110], v[87:88], v[123:124]
	v_fma_f64 v[87:88], v[107:108], v[87:88], -v[89:90]
	s_wait_loadcnt_dscnt 0x700
	v_mul_f64_e32 v[107:108], v[83:84], v[97:98]
	v_mul_f64_e32 v[97:98], v[85:86], v[97:98]
	v_add_f64_e32 v[2:3], v[2:3], v[119:120]
	v_add_f64_e32 v[6:7], v[6:7], v[121:122]
	v_mul_f64_e32 v[119:120], v[75:76], v[93:94]
	v_mul_f64_e32 v[93:94], v[77:78], v[93:94]
	v_fma_f64 v[85:86], v[85:86], v[95:96], v[107:108]
	v_fma_f64 v[83:84], v[83:84], v[95:96], -v[97:98]
	v_add_f64_e32 v[2:3], v[2:3], v[127:128]
	v_add_f64_e32 v[6:7], v[6:7], v[125:126]
	v_fma_f64 v[119:120], v[77:78], v[91:92], v[119:120]
	v_fma_f64 v[91:92], v[75:76], v[91:92], -v[93:94]
	s_delay_alu instid0(VALU_DEP_4) | instskip(NEXT) | instid1(VALU_DEP_4)
	v_add_f64_e32 v[2:3], v[2:3], v[87:88]
	v_add_f64_e32 v[6:7], v[6:7], v[109:110]
	ds_load_b128 v[75:78], v1 offset:832
	ds_load_b128 v[87:90], v1 offset:848
	s_wait_loadcnt_dscnt 0x601
	v_mul_f64_e32 v[93:94], v[75:76], v[101:102]
	v_mul_f64_e32 v[101:102], v[77:78], v[101:102]
	v_add_f64_e32 v[2:3], v[2:3], v[91:92]
	v_add_f64_e32 v[6:7], v[6:7], v[119:120]
	s_wait_loadcnt_dscnt 0x400
	v_mul_f64_e32 v[91:92], v[87:88], v[10:11]
	v_mul_f64_e32 v[10:11], v[89:90], v[10:11]
	v_fma_f64 v[93:94], v[77:78], v[99:100], v[93:94]
	v_fma_f64 v[95:96], v[75:76], v[99:100], -v[101:102]
	v_add_f64_e32 v[2:3], v[2:3], v[83:84]
	v_add_f64_e32 v[6:7], v[6:7], v[85:86]
	ds_load_b128 v[75:78], v1 offset:864
	ds_load_b128 v[83:86], v1 offset:880
	v_fma_f64 v[89:90], v[89:90], v[8:9], v[91:92]
	v_fma_f64 v[8:9], v[87:88], v[8:9], -v[10:11]
	s_wait_loadcnt_dscnt 0x301
	v_mul_f64_e32 v[97:98], v[75:76], v[117:118]
	v_mul_f64_e32 v[99:100], v[77:78], v[117:118]
	s_wait_loadcnt_dscnt 0x200
	v_mul_f64_e32 v[10:11], v[83:84], v[73:74]
	v_mul_f64_e32 v[73:74], v[85:86], v[73:74]
	v_add_f64_e32 v[2:3], v[2:3], v[95:96]
	v_add_f64_e32 v[6:7], v[6:7], v[93:94]
	v_fma_f64 v[77:78], v[77:78], v[115:116], v[97:98]
	v_fma_f64 v[75:76], v[75:76], v[115:116], -v[99:100]
	v_fma_f64 v[10:11], v[85:86], v[71:72], v[10:11]
	v_fma_f64 v[71:72], v[83:84], v[71:72], -v[73:74]
	v_add_f64_e32 v[87:88], v[2:3], v[8:9]
	v_add_f64_e32 v[89:90], v[6:7], v[89:90]
	ds_load_b128 v[6:9], v1 offset:896
	ds_load_b128 v[1:4], v1 offset:912
	s_wait_loadcnt_dscnt 0x1
	v_mul_f64_e32 v[91:92], v[6:7], v[105:106]
	v_mul_f64_e32 v[93:94], v[8:9], v[105:106]
	v_add_f64_e32 v[73:74], v[87:88], v[75:76]
	v_add_f64_e32 v[75:76], v[89:90], v[77:78]
	s_wait_dscnt 0x0
	v_mul_f64_e32 v[77:78], v[1:2], v[81:82]
	v_mul_f64_e32 v[81:82], v[3:4], v[81:82]
	v_fma_f64 v[8:9], v[8:9], v[103:104], v[91:92]
	v_fma_f64 v[6:7], v[6:7], v[103:104], -v[93:94]
	v_add_f64_e32 v[71:72], v[73:74], v[71:72]
	v_add_f64_e32 v[10:11], v[75:76], v[10:11]
	v_fma_f64 v[3:4], v[3:4], v[79:80], v[77:78]
	v_fma_f64 v[1:2], v[1:2], v[79:80], -v[81:82]
	s_delay_alu instid0(VALU_DEP_4) | instskip(NEXT) | instid1(VALU_DEP_4)
	v_add_f64_e32 v[6:7], v[71:72], v[6:7]
	v_add_f64_e32 v[8:9], v[10:11], v[8:9]
	s_delay_alu instid0(VALU_DEP_2) | instskip(NEXT) | instid1(VALU_DEP_2)
	v_add_f64_e32 v[1:2], v[6:7], v[1:2]
	v_add_f64_e32 v[3:4], v[8:9], v[3:4]
	s_delay_alu instid0(VALU_DEP_2) | instskip(NEXT) | instid1(VALU_DEP_2)
	v_add_f64_e64 v[1:2], v[111:112], -v[1:2]
	v_add_f64_e64 v[3:4], v[113:114], -v[3:4]
	scratch_store_b128 off, v[1:4], off offset:240
	v_cmpx_lt_u32_e32 13, v0
	s_cbranch_execz .LBB92_161
; %bb.160:
	scratch_load_b128 v[1:4], off, s27
	v_mov_b32_e32 v6, 0
	s_delay_alu instid0(VALU_DEP_1)
	v_dual_mov_b32 v7, v6 :: v_dual_mov_b32 v8, v6
	v_mov_b32_e32 v9, v6
	scratch_store_b128 off, v[6:9], off offset:224
	s_wait_loadcnt 0x0
	ds_store_b128 v5, v[1:4]
.LBB92_161:
	s_wait_alu 0xfffe
	s_or_b32 exec_lo, exec_lo, s0
	s_wait_storecnt_dscnt 0x0
	s_barrier_signal -1
	s_barrier_wait -1
	global_inv scope:SCOPE_SE
	s_clause 0x7
	scratch_load_b128 v[6:9], off, off offset:240
	scratch_load_b128 v[71:74], off, off offset:256
	scratch_load_b128 v[75:78], off, off offset:272
	scratch_load_b128 v[79:82], off, off offset:288
	scratch_load_b128 v[83:86], off, off offset:304
	scratch_load_b128 v[87:90], off, off offset:320
	scratch_load_b128 v[91:94], off, off offset:336
	scratch_load_b128 v[95:98], off, off offset:352
	v_mov_b32_e32 v1, 0
	s_mov_b32 s0, exec_lo
	ds_load_b128 v[99:102], v1 offset:688
	s_clause 0x1
	scratch_load_b128 v[103:106], off, off offset:368
	scratch_load_b128 v[107:110], off, off offset:224
	ds_load_b128 v[111:114], v1 offset:704
	ds_load_b128 v[119:122], v1 offset:736
	s_wait_loadcnt_dscnt 0x902
	v_mul_f64_e32 v[2:3], v[101:102], v[8:9]
	v_mul_f64_e32 v[115:116], v[99:100], v[8:9]
	scratch_load_b128 v[8:11], off, off offset:384
	v_fma_f64 v[2:3], v[99:100], v[6:7], -v[2:3]
	v_fma_f64 v[6:7], v[101:102], v[6:7], v[115:116]
	ds_load_b128 v[99:102], v1 offset:720
	s_wait_loadcnt_dscnt 0x902
	v_mul_f64_e32 v[123:124], v[111:112], v[73:74]
	v_mul_f64_e32 v[73:74], v[113:114], v[73:74]
	scratch_load_b128 v[115:118], off, off offset:400
	s_wait_loadcnt_dscnt 0x900
	v_mul_f64_e32 v[125:126], v[99:100], v[77:78]
	v_mul_f64_e32 v[77:78], v[101:102], v[77:78]
	v_add_f64_e32 v[2:3], 0, v[2:3]
	v_add_f64_e32 v[6:7], 0, v[6:7]
	v_fma_f64 v[113:114], v[113:114], v[71:72], v[123:124]
	v_fma_f64 v[111:112], v[111:112], v[71:72], -v[73:74]
	scratch_load_b128 v[71:74], off, off offset:416
	v_fma_f64 v[125:126], v[101:102], v[75:76], v[125:126]
	v_fma_f64 v[127:128], v[99:100], v[75:76], -v[77:78]
	ds_load_b128 v[75:78], v1 offset:752
	s_wait_loadcnt 0x9
	v_mul_f64_e32 v[123:124], v[119:120], v[81:82]
	v_mul_f64_e32 v[81:82], v[121:122], v[81:82]
	scratch_load_b128 v[99:102], off, off offset:432
	v_add_f64_e32 v[6:7], v[6:7], v[113:114]
	v_add_f64_e32 v[2:3], v[2:3], v[111:112]
	ds_load_b128 v[111:114], v1 offset:768
	s_wait_loadcnt_dscnt 0x901
	v_mul_f64_e32 v[129:130], v[75:76], v[85:86]
	v_mul_f64_e32 v[85:86], v[77:78], v[85:86]
	v_fma_f64 v[121:122], v[121:122], v[79:80], v[123:124]
	v_fma_f64 v[119:120], v[119:120], v[79:80], -v[81:82]
	scratch_load_b128 v[79:82], off, off offset:448
	v_add_f64_e32 v[6:7], v[6:7], v[125:126]
	v_add_f64_e32 v[2:3], v[2:3], v[127:128]
	v_fma_f64 v[125:126], v[77:78], v[83:84], v[129:130]
	v_fma_f64 v[127:128], v[75:76], v[83:84], -v[85:86]
	ds_load_b128 v[75:78], v1 offset:784
	s_wait_loadcnt_dscnt 0x901
	v_mul_f64_e32 v[123:124], v[111:112], v[89:90]
	v_mul_f64_e32 v[89:90], v[113:114], v[89:90]
	scratch_load_b128 v[83:86], off, off offset:464
	s_wait_loadcnt_dscnt 0x900
	v_mul_f64_e32 v[129:130], v[75:76], v[93:94]
	v_mul_f64_e32 v[93:94], v[77:78], v[93:94]
	v_add_f64_e32 v[6:7], v[6:7], v[121:122]
	v_add_f64_e32 v[2:3], v[2:3], v[119:120]
	ds_load_b128 v[119:122], v1 offset:800
	v_fma_f64 v[113:114], v[113:114], v[87:88], v[123:124]
	v_fma_f64 v[87:88], v[111:112], v[87:88], -v[89:90]
	s_wait_loadcnt_dscnt 0x800
	v_mul_f64_e32 v[111:112], v[119:120], v[97:98]
	v_mul_f64_e32 v[97:98], v[121:122], v[97:98]
	v_fma_f64 v[123:124], v[77:78], v[91:92], v[129:130]
	v_fma_f64 v[91:92], v[75:76], v[91:92], -v[93:94]
	v_add_f64_e32 v[6:7], v[6:7], v[125:126]
	v_add_f64_e32 v[2:3], v[2:3], v[127:128]
	v_fma_f64 v[111:112], v[121:122], v[95:96], v[111:112]
	v_fma_f64 v[95:96], v[119:120], v[95:96], -v[97:98]
	s_delay_alu instid0(VALU_DEP_4) | instskip(NEXT) | instid1(VALU_DEP_4)
	v_add_f64_e32 v[6:7], v[6:7], v[113:114]
	v_add_f64_e32 v[2:3], v[2:3], v[87:88]
	ds_load_b128 v[75:78], v1 offset:816
	ds_load_b128 v[87:90], v1 offset:832
	s_wait_loadcnt_dscnt 0x701
	v_mul_f64_e32 v[93:94], v[75:76], v[105:106]
	v_mul_f64_e32 v[105:106], v[77:78], v[105:106]
	v_add_f64_e32 v[6:7], v[6:7], v[123:124]
	v_add_f64_e32 v[2:3], v[2:3], v[91:92]
	s_wait_loadcnt_dscnt 0x500
	v_mul_f64_e32 v[97:98], v[87:88], v[10:11]
	v_mul_f64_e32 v[10:11], v[89:90], v[10:11]
	v_fma_f64 v[113:114], v[77:78], v[103:104], v[93:94]
	v_fma_f64 v[103:104], v[75:76], v[103:104], -v[105:106]
	ds_load_b128 v[75:78], v1 offset:848
	ds_load_b128 v[91:94], v1 offset:864
	v_add_f64_e32 v[6:7], v[6:7], v[111:112]
	v_add_f64_e32 v[2:3], v[2:3], v[95:96]
	v_fma_f64 v[89:90], v[89:90], v[8:9], v[97:98]
	v_fma_f64 v[8:9], v[87:88], v[8:9], -v[10:11]
	s_wait_loadcnt_dscnt 0x401
	v_mul_f64_e32 v[95:96], v[75:76], v[117:118]
	v_mul_f64_e32 v[105:106], v[77:78], v[117:118]
	v_add_f64_e32 v[6:7], v[6:7], v[113:114]
	v_add_f64_e32 v[2:3], v[2:3], v[103:104]
	s_wait_loadcnt_dscnt 0x300
	v_mul_f64_e32 v[10:11], v[91:92], v[73:74]
	v_mul_f64_e32 v[87:88], v[93:94], v[73:74]
	v_fma_f64 v[77:78], v[77:78], v[115:116], v[95:96]
	v_fma_f64 v[95:96], v[75:76], v[115:116], -v[105:106]
	v_add_f64_e32 v[89:90], v[6:7], v[89:90]
	v_add_f64_e32 v[2:3], v[2:3], v[8:9]
	ds_load_b128 v[6:9], v1 offset:880
	ds_load_b128 v[73:76], v1 offset:896
	v_fma_f64 v[10:11], v[93:94], v[71:72], v[10:11]
	v_fma_f64 v[71:72], v[91:92], v[71:72], -v[87:88]
	s_wait_loadcnt_dscnt 0x201
	v_mul_f64_e32 v[97:98], v[6:7], v[101:102]
	v_mul_f64_e32 v[101:102], v[8:9], v[101:102]
	v_add_f64_e32 v[77:78], v[89:90], v[77:78]
	v_add_f64_e32 v[2:3], v[2:3], v[95:96]
	s_wait_loadcnt_dscnt 0x100
	v_mul_f64_e32 v[87:88], v[73:74], v[81:82]
	v_mul_f64_e32 v[81:82], v[75:76], v[81:82]
	v_fma_f64 v[89:90], v[8:9], v[99:100], v[97:98]
	v_fma_f64 v[91:92], v[6:7], v[99:100], -v[101:102]
	ds_load_b128 v[6:9], v1 offset:912
	v_add_f64_e32 v[10:11], v[77:78], v[10:11]
	v_add_f64_e32 v[2:3], v[2:3], v[71:72]
	v_fma_f64 v[75:76], v[75:76], v[79:80], v[87:88]
	v_fma_f64 v[73:74], v[73:74], v[79:80], -v[81:82]
	s_wait_loadcnt_dscnt 0x0
	v_mul_f64_e32 v[71:72], v[6:7], v[85:86]
	v_mul_f64_e32 v[77:78], v[8:9], v[85:86]
	v_add_f64_e32 v[10:11], v[10:11], v[89:90]
	v_add_f64_e32 v[2:3], v[2:3], v[91:92]
	s_delay_alu instid0(VALU_DEP_4) | instskip(NEXT) | instid1(VALU_DEP_4)
	v_fma_f64 v[8:9], v[8:9], v[83:84], v[71:72]
	v_fma_f64 v[6:7], v[6:7], v[83:84], -v[77:78]
	s_delay_alu instid0(VALU_DEP_4) | instskip(NEXT) | instid1(VALU_DEP_4)
	v_add_f64_e32 v[10:11], v[10:11], v[75:76]
	v_add_f64_e32 v[2:3], v[2:3], v[73:74]
	s_delay_alu instid0(VALU_DEP_2) | instskip(NEXT) | instid1(VALU_DEP_2)
	v_add_f64_e32 v[8:9], v[10:11], v[8:9]
	v_add_f64_e32 v[2:3], v[2:3], v[6:7]
	s_delay_alu instid0(VALU_DEP_2) | instskip(NEXT) | instid1(VALU_DEP_2)
	v_add_f64_e64 v[8:9], v[109:110], -v[8:9]
	v_add_f64_e64 v[6:7], v[107:108], -v[2:3]
	scratch_store_b128 off, v[6:9], off offset:224
	v_cmpx_lt_u32_e32 12, v0
	s_cbranch_execz .LBB92_163
; %bb.162:
	scratch_load_b128 v[6:9], off, s13
	v_dual_mov_b32 v2, v1 :: v_dual_mov_b32 v3, v1
	v_mov_b32_e32 v4, v1
	scratch_store_b128 off, v[1:4], off offset:208
	s_wait_loadcnt 0x0
	ds_store_b128 v5, v[6:9]
.LBB92_163:
	s_wait_alu 0xfffe
	s_or_b32 exec_lo, exec_lo, s0
	s_wait_storecnt_dscnt 0x0
	s_barrier_signal -1
	s_barrier_wait -1
	global_inv scope:SCOPE_SE
	s_clause 0x8
	scratch_load_b128 v[6:9], off, off offset:224
	scratch_load_b128 v[71:74], off, off offset:240
	;; [unrolled: 1-line block ×9, first 2 shown]
	ds_load_b128 v[103:106], v1 offset:672
	ds_load_b128 v[107:110], v1 offset:688
	scratch_load_b128 v[111:114], off, off offset:208
	s_mov_b32 s0, exec_lo
	ds_load_b128 v[119:122], v1 offset:720
	s_wait_loadcnt_dscnt 0x902
	v_mul_f64_e32 v[2:3], v[105:106], v[8:9]
	v_mul_f64_e32 v[115:116], v[103:104], v[8:9]
	scratch_load_b128 v[8:11], off, off offset:368
	s_wait_loadcnt_dscnt 0x901
	v_mul_f64_e32 v[123:124], v[107:108], v[73:74]
	v_mul_f64_e32 v[73:74], v[109:110], v[73:74]
	v_fma_f64 v[2:3], v[103:104], v[6:7], -v[2:3]
	v_fma_f64 v[6:7], v[105:106], v[6:7], v[115:116]
	ds_load_b128 v[103:106], v1 offset:704
	scratch_load_b128 v[115:118], off, off offset:384
	v_fma_f64 v[109:110], v[109:110], v[71:72], v[123:124]
	v_fma_f64 v[107:108], v[107:108], v[71:72], -v[73:74]
	scratch_load_b128 v[71:74], off, off offset:400
	s_wait_loadcnt_dscnt 0x901
	v_mul_f64_e32 v[123:124], v[119:120], v[81:82]
	v_mul_f64_e32 v[81:82], v[121:122], v[81:82]
	s_wait_dscnt 0x0
	v_mul_f64_e32 v[125:126], v[103:104], v[77:78]
	v_mul_f64_e32 v[77:78], v[105:106], v[77:78]
	v_add_f64_e32 v[2:3], 0, v[2:3]
	v_add_f64_e32 v[6:7], 0, v[6:7]
	v_fma_f64 v[121:122], v[121:122], v[79:80], v[123:124]
	v_fma_f64 v[119:120], v[119:120], v[79:80], -v[81:82]
	scratch_load_b128 v[79:82], off, off offset:432
	v_fma_f64 v[125:126], v[105:106], v[75:76], v[125:126]
	v_fma_f64 v[127:128], v[103:104], v[75:76], -v[77:78]
	ds_load_b128 v[75:78], v1 offset:736
	scratch_load_b128 v[103:106], off, off offset:416
	v_add_f64_e32 v[2:3], v[2:3], v[107:108]
	v_add_f64_e32 v[6:7], v[6:7], v[109:110]
	ds_load_b128 v[107:110], v1 offset:752
	s_wait_loadcnt_dscnt 0xa01
	v_mul_f64_e32 v[129:130], v[75:76], v[85:86]
	v_mul_f64_e32 v[85:86], v[77:78], v[85:86]
	s_wait_loadcnt_dscnt 0x900
	v_mul_f64_e32 v[123:124], v[107:108], v[89:90]
	v_mul_f64_e32 v[89:90], v[109:110], v[89:90]
	v_add_f64_e32 v[2:3], v[2:3], v[127:128]
	v_add_f64_e32 v[6:7], v[6:7], v[125:126]
	v_fma_f64 v[125:126], v[77:78], v[83:84], v[129:130]
	v_fma_f64 v[127:128], v[75:76], v[83:84], -v[85:86]
	ds_load_b128 v[75:78], v1 offset:768
	scratch_load_b128 v[83:86], off, off offset:448
	v_fma_f64 v[109:110], v[109:110], v[87:88], v[123:124]
	v_fma_f64 v[107:108], v[107:108], v[87:88], -v[89:90]
	scratch_load_b128 v[87:90], off, off offset:464
	v_add_f64_e32 v[2:3], v[2:3], v[119:120]
	v_add_f64_e32 v[6:7], v[6:7], v[121:122]
	ds_load_b128 v[119:122], v1 offset:784
	s_wait_loadcnt_dscnt 0xa01
	v_mul_f64_e32 v[129:130], v[75:76], v[93:94]
	v_mul_f64_e32 v[93:94], v[77:78], v[93:94]
	s_wait_loadcnt_dscnt 0x900
	v_mul_f64_e32 v[123:124], v[119:120], v[97:98]
	v_mul_f64_e32 v[97:98], v[121:122], v[97:98]
	v_add_f64_e32 v[2:3], v[2:3], v[127:128]
	v_add_f64_e32 v[6:7], v[6:7], v[125:126]
	v_fma_f64 v[125:126], v[77:78], v[91:92], v[129:130]
	v_fma_f64 v[127:128], v[75:76], v[91:92], -v[93:94]
	ds_load_b128 v[75:78], v1 offset:800
	ds_load_b128 v[91:94], v1 offset:816
	v_add_f64_e32 v[2:3], v[2:3], v[107:108]
	v_add_f64_e32 v[6:7], v[6:7], v[109:110]
	s_wait_loadcnt_dscnt 0x801
	v_mul_f64_e32 v[107:108], v[75:76], v[101:102]
	v_mul_f64_e32 v[101:102], v[77:78], v[101:102]
	v_fma_f64 v[109:110], v[121:122], v[95:96], v[123:124]
	v_fma_f64 v[95:96], v[119:120], v[95:96], -v[97:98]
	v_add_f64_e32 v[2:3], v[2:3], v[127:128]
	v_add_f64_e32 v[6:7], v[6:7], v[125:126]
	v_fma_f64 v[107:108], v[77:78], v[99:100], v[107:108]
	v_fma_f64 v[99:100], v[75:76], v[99:100], -v[101:102]
	s_wait_loadcnt_dscnt 0x600
	v_mul_f64_e32 v[119:120], v[91:92], v[10:11]
	v_mul_f64_e32 v[10:11], v[93:94], v[10:11]
	v_add_f64_e32 v[2:3], v[2:3], v[95:96]
	v_add_f64_e32 v[6:7], v[6:7], v[109:110]
	ds_load_b128 v[75:78], v1 offset:832
	ds_load_b128 v[95:98], v1 offset:848
	v_fma_f64 v[93:94], v[93:94], v[8:9], v[119:120]
	v_fma_f64 v[8:9], v[91:92], v[8:9], -v[10:11]
	s_wait_loadcnt_dscnt 0x501
	v_mul_f64_e32 v[101:102], v[75:76], v[117:118]
	v_mul_f64_e32 v[109:110], v[77:78], v[117:118]
	s_wait_loadcnt_dscnt 0x400
	v_mul_f64_e32 v[10:11], v[95:96], v[73:74]
	v_mul_f64_e32 v[91:92], v[97:98], v[73:74]
	v_add_f64_e32 v[2:3], v[2:3], v[99:100]
	v_add_f64_e32 v[6:7], v[6:7], v[107:108]
	v_fma_f64 v[77:78], v[77:78], v[115:116], v[101:102]
	v_fma_f64 v[99:100], v[75:76], v[115:116], -v[109:110]
	v_fma_f64 v[10:11], v[97:98], v[71:72], v[10:11]
	v_fma_f64 v[71:72], v[95:96], v[71:72], -v[91:92]
	v_add_f64_e32 v[2:3], v[2:3], v[8:9]
	v_add_f64_e32 v[93:94], v[6:7], v[93:94]
	ds_load_b128 v[6:9], v1 offset:864
	ds_load_b128 v[73:76], v1 offset:880
	s_wait_loadcnt_dscnt 0x201
	v_mul_f64_e32 v[101:102], v[6:7], v[105:106]
	v_mul_f64_e32 v[105:106], v[8:9], v[105:106]
	s_wait_dscnt 0x0
	v_mul_f64_e32 v[91:92], v[73:74], v[81:82]
	v_mul_f64_e32 v[81:82], v[75:76], v[81:82]
	v_add_f64_e32 v[2:3], v[2:3], v[99:100]
	v_add_f64_e32 v[77:78], v[93:94], v[77:78]
	v_fma_f64 v[93:94], v[8:9], v[103:104], v[101:102]
	v_fma_f64 v[95:96], v[6:7], v[103:104], -v[105:106]
	v_fma_f64 v[75:76], v[75:76], v[79:80], v[91:92]
	v_fma_f64 v[73:74], v[73:74], v[79:80], -v[81:82]
	v_add_f64_e32 v[71:72], v[2:3], v[71:72]
	v_add_f64_e32 v[10:11], v[77:78], v[10:11]
	ds_load_b128 v[6:9], v1 offset:896
	ds_load_b128 v[1:4], v1 offset:912
	s_wait_loadcnt_dscnt 0x101
	v_mul_f64_e32 v[77:78], v[6:7], v[85:86]
	v_mul_f64_e32 v[85:86], v[8:9], v[85:86]
	s_wait_loadcnt_dscnt 0x0
	v_mul_f64_e32 v[79:80], v[1:2], v[89:90]
	v_mul_f64_e32 v[81:82], v[3:4], v[89:90]
	v_add_f64_e32 v[71:72], v[71:72], v[95:96]
	v_add_f64_e32 v[10:11], v[10:11], v[93:94]
	v_fma_f64 v[8:9], v[8:9], v[83:84], v[77:78]
	v_fma_f64 v[6:7], v[6:7], v[83:84], -v[85:86]
	v_fma_f64 v[3:4], v[3:4], v[87:88], v[79:80]
	v_fma_f64 v[1:2], v[1:2], v[87:88], -v[81:82]
	v_add_f64_e32 v[71:72], v[71:72], v[73:74]
	v_add_f64_e32 v[10:11], v[10:11], v[75:76]
	s_delay_alu instid0(VALU_DEP_2) | instskip(NEXT) | instid1(VALU_DEP_2)
	v_add_f64_e32 v[6:7], v[71:72], v[6:7]
	v_add_f64_e32 v[8:9], v[10:11], v[8:9]
	s_delay_alu instid0(VALU_DEP_2) | instskip(NEXT) | instid1(VALU_DEP_2)
	v_add_f64_e32 v[1:2], v[6:7], v[1:2]
	v_add_f64_e32 v[3:4], v[8:9], v[3:4]
	s_delay_alu instid0(VALU_DEP_2) | instskip(NEXT) | instid1(VALU_DEP_2)
	v_add_f64_e64 v[1:2], v[111:112], -v[1:2]
	v_add_f64_e64 v[3:4], v[113:114], -v[3:4]
	scratch_store_b128 off, v[1:4], off offset:208
	v_cmpx_lt_u32_e32 11, v0
	s_cbranch_execz .LBB92_165
; %bb.164:
	scratch_load_b128 v[1:4], off, s26
	v_mov_b32_e32 v6, 0
	s_delay_alu instid0(VALU_DEP_1)
	v_dual_mov_b32 v7, v6 :: v_dual_mov_b32 v8, v6
	v_mov_b32_e32 v9, v6
	scratch_store_b128 off, v[6:9], off offset:192
	s_wait_loadcnt 0x0
	ds_store_b128 v5, v[1:4]
.LBB92_165:
	s_wait_alu 0xfffe
	s_or_b32 exec_lo, exec_lo, s0
	s_wait_storecnt_dscnt 0x0
	s_barrier_signal -1
	s_barrier_wait -1
	global_inv scope:SCOPE_SE
	s_clause 0x7
	scratch_load_b128 v[6:9], off, off offset:208
	scratch_load_b128 v[71:74], off, off offset:224
	;; [unrolled: 1-line block ×8, first 2 shown]
	v_mov_b32_e32 v1, 0
	s_mov_b32 s0, exec_lo
	ds_load_b128 v[99:102], v1 offset:656
	s_clause 0x1
	scratch_load_b128 v[103:106], off, off offset:336
	scratch_load_b128 v[107:110], off, off offset:192
	ds_load_b128 v[111:114], v1 offset:672
	ds_load_b128 v[119:122], v1 offset:704
	s_wait_loadcnt_dscnt 0x902
	v_mul_f64_e32 v[2:3], v[101:102], v[8:9]
	v_mul_f64_e32 v[115:116], v[99:100], v[8:9]
	scratch_load_b128 v[8:11], off, off offset:352
	v_fma_f64 v[2:3], v[99:100], v[6:7], -v[2:3]
	v_fma_f64 v[6:7], v[101:102], v[6:7], v[115:116]
	ds_load_b128 v[99:102], v1 offset:688
	s_wait_loadcnt_dscnt 0x902
	v_mul_f64_e32 v[123:124], v[111:112], v[73:74]
	v_mul_f64_e32 v[73:74], v[113:114], v[73:74]
	scratch_load_b128 v[115:118], off, off offset:368
	s_wait_loadcnt_dscnt 0x900
	v_mul_f64_e32 v[125:126], v[99:100], v[77:78]
	v_mul_f64_e32 v[77:78], v[101:102], v[77:78]
	v_add_f64_e32 v[2:3], 0, v[2:3]
	v_add_f64_e32 v[6:7], 0, v[6:7]
	v_fma_f64 v[113:114], v[113:114], v[71:72], v[123:124]
	v_fma_f64 v[111:112], v[111:112], v[71:72], -v[73:74]
	scratch_load_b128 v[71:74], off, off offset:384
	v_fma_f64 v[125:126], v[101:102], v[75:76], v[125:126]
	v_fma_f64 v[127:128], v[99:100], v[75:76], -v[77:78]
	ds_load_b128 v[75:78], v1 offset:720
	s_wait_loadcnt 0x9
	v_mul_f64_e32 v[123:124], v[119:120], v[81:82]
	v_mul_f64_e32 v[81:82], v[121:122], v[81:82]
	scratch_load_b128 v[99:102], off, off offset:400
	v_add_f64_e32 v[6:7], v[6:7], v[113:114]
	v_add_f64_e32 v[2:3], v[2:3], v[111:112]
	ds_load_b128 v[111:114], v1 offset:736
	s_wait_loadcnt_dscnt 0x901
	v_mul_f64_e32 v[129:130], v[75:76], v[85:86]
	v_mul_f64_e32 v[85:86], v[77:78], v[85:86]
	v_fma_f64 v[121:122], v[121:122], v[79:80], v[123:124]
	v_fma_f64 v[119:120], v[119:120], v[79:80], -v[81:82]
	scratch_load_b128 v[79:82], off, off offset:416
	v_add_f64_e32 v[6:7], v[6:7], v[125:126]
	v_add_f64_e32 v[2:3], v[2:3], v[127:128]
	v_fma_f64 v[125:126], v[77:78], v[83:84], v[129:130]
	v_fma_f64 v[127:128], v[75:76], v[83:84], -v[85:86]
	ds_load_b128 v[75:78], v1 offset:752
	s_wait_loadcnt_dscnt 0x901
	v_mul_f64_e32 v[123:124], v[111:112], v[89:90]
	v_mul_f64_e32 v[89:90], v[113:114], v[89:90]
	scratch_load_b128 v[83:86], off, off offset:432
	s_wait_loadcnt_dscnt 0x900
	v_mul_f64_e32 v[129:130], v[75:76], v[93:94]
	v_mul_f64_e32 v[93:94], v[77:78], v[93:94]
	v_add_f64_e32 v[6:7], v[6:7], v[121:122]
	v_add_f64_e32 v[2:3], v[2:3], v[119:120]
	ds_load_b128 v[119:122], v1 offset:768
	v_fma_f64 v[113:114], v[113:114], v[87:88], v[123:124]
	v_fma_f64 v[111:112], v[111:112], v[87:88], -v[89:90]
	scratch_load_b128 v[87:90], off, off offset:448
	v_add_f64_e32 v[6:7], v[6:7], v[125:126]
	v_add_f64_e32 v[2:3], v[2:3], v[127:128]
	v_fma_f64 v[125:126], v[77:78], v[91:92], v[129:130]
	v_fma_f64 v[127:128], v[75:76], v[91:92], -v[93:94]
	ds_load_b128 v[75:78], v1 offset:784
	s_wait_loadcnt_dscnt 0x901
	v_mul_f64_e32 v[123:124], v[119:120], v[97:98]
	v_mul_f64_e32 v[97:98], v[121:122], v[97:98]
	scratch_load_b128 v[91:94], off, off offset:464
	s_wait_loadcnt_dscnt 0x900
	v_mul_f64_e32 v[129:130], v[75:76], v[105:106]
	v_mul_f64_e32 v[105:106], v[77:78], v[105:106]
	v_add_f64_e32 v[6:7], v[6:7], v[113:114]
	v_add_f64_e32 v[2:3], v[2:3], v[111:112]
	ds_load_b128 v[111:114], v1 offset:800
	v_fma_f64 v[121:122], v[121:122], v[95:96], v[123:124]
	v_fma_f64 v[95:96], v[119:120], v[95:96], -v[97:98]
	v_fma_f64 v[123:124], v[77:78], v[103:104], v[129:130]
	v_fma_f64 v[103:104], v[75:76], v[103:104], -v[105:106]
	v_add_f64_e32 v[6:7], v[6:7], v[125:126]
	v_add_f64_e32 v[2:3], v[2:3], v[127:128]
	s_wait_loadcnt_dscnt 0x700
	v_mul_f64_e32 v[119:120], v[111:112], v[10:11]
	v_mul_f64_e32 v[10:11], v[113:114], v[10:11]
	s_delay_alu instid0(VALU_DEP_4) | instskip(NEXT) | instid1(VALU_DEP_4)
	v_add_f64_e32 v[6:7], v[6:7], v[121:122]
	v_add_f64_e32 v[2:3], v[2:3], v[95:96]
	ds_load_b128 v[75:78], v1 offset:816
	ds_load_b128 v[95:98], v1 offset:832
	v_fma_f64 v[113:114], v[113:114], v[8:9], v[119:120]
	v_fma_f64 v[8:9], v[111:112], v[8:9], -v[10:11]
	s_wait_loadcnt_dscnt 0x601
	v_mul_f64_e32 v[105:106], v[75:76], v[117:118]
	v_mul_f64_e32 v[117:118], v[77:78], v[117:118]
	v_add_f64_e32 v[6:7], v[6:7], v[123:124]
	v_add_f64_e32 v[2:3], v[2:3], v[103:104]
	s_wait_loadcnt_dscnt 0x500
	v_mul_f64_e32 v[10:11], v[95:96], v[73:74]
	v_mul_f64_e32 v[103:104], v[97:98], v[73:74]
	v_fma_f64 v[77:78], v[77:78], v[115:116], v[105:106]
	v_fma_f64 v[105:106], v[75:76], v[115:116], -v[117:118]
	v_add_f64_e32 v[111:112], v[6:7], v[113:114]
	v_add_f64_e32 v[2:3], v[2:3], v[8:9]
	ds_load_b128 v[6:9], v1 offset:848
	ds_load_b128 v[73:76], v1 offset:864
	v_fma_f64 v[10:11], v[97:98], v[71:72], v[10:11]
	v_fma_f64 v[71:72], v[95:96], v[71:72], -v[103:104]
	s_wait_loadcnt_dscnt 0x401
	v_mul_f64_e32 v[113:114], v[6:7], v[101:102]
	v_mul_f64_e32 v[101:102], v[8:9], v[101:102]
	v_add_f64_e32 v[77:78], v[111:112], v[77:78]
	v_add_f64_e32 v[2:3], v[2:3], v[105:106]
	s_wait_loadcnt_dscnt 0x300
	v_mul_f64_e32 v[103:104], v[73:74], v[81:82]
	v_mul_f64_e32 v[81:82], v[75:76], v[81:82]
	v_fma_f64 v[105:106], v[8:9], v[99:100], v[113:114]
	v_fma_f64 v[99:100], v[6:7], v[99:100], -v[101:102]
	ds_load_b128 v[6:9], v1 offset:880
	ds_load_b128 v[95:98], v1 offset:896
	v_add_f64_e32 v[10:11], v[77:78], v[10:11]
	v_add_f64_e32 v[2:3], v[2:3], v[71:72]
	v_fma_f64 v[75:76], v[75:76], v[79:80], v[103:104]
	v_fma_f64 v[73:74], v[73:74], v[79:80], -v[81:82]
	s_wait_loadcnt_dscnt 0x201
	v_mul_f64_e32 v[71:72], v[6:7], v[85:86]
	v_mul_f64_e32 v[77:78], v[8:9], v[85:86]
	s_wait_loadcnt_dscnt 0x100
	v_mul_f64_e32 v[79:80], v[95:96], v[89:90]
	v_mul_f64_e32 v[81:82], v[97:98], v[89:90]
	v_add_f64_e32 v[10:11], v[10:11], v[105:106]
	v_add_f64_e32 v[2:3], v[2:3], v[99:100]
	v_fma_f64 v[71:72], v[8:9], v[83:84], v[71:72]
	v_fma_f64 v[77:78], v[6:7], v[83:84], -v[77:78]
	ds_load_b128 v[6:9], v1 offset:912
	v_fma_f64 v[79:80], v[97:98], v[87:88], v[79:80]
	v_fma_f64 v[81:82], v[95:96], v[87:88], -v[81:82]
	v_add_f64_e32 v[10:11], v[10:11], v[75:76]
	v_add_f64_e32 v[2:3], v[2:3], v[73:74]
	s_wait_loadcnt_dscnt 0x0
	v_mul_f64_e32 v[73:74], v[6:7], v[93:94]
	v_mul_f64_e32 v[75:76], v[8:9], v[93:94]
	s_delay_alu instid0(VALU_DEP_4) | instskip(NEXT) | instid1(VALU_DEP_4)
	v_add_f64_e32 v[10:11], v[10:11], v[71:72]
	v_add_f64_e32 v[2:3], v[2:3], v[77:78]
	s_delay_alu instid0(VALU_DEP_4) | instskip(NEXT) | instid1(VALU_DEP_4)
	v_fma_f64 v[8:9], v[8:9], v[91:92], v[73:74]
	v_fma_f64 v[6:7], v[6:7], v[91:92], -v[75:76]
	s_delay_alu instid0(VALU_DEP_4) | instskip(NEXT) | instid1(VALU_DEP_4)
	v_add_f64_e32 v[10:11], v[10:11], v[79:80]
	v_add_f64_e32 v[2:3], v[2:3], v[81:82]
	s_delay_alu instid0(VALU_DEP_2) | instskip(NEXT) | instid1(VALU_DEP_2)
	v_add_f64_e32 v[8:9], v[10:11], v[8:9]
	v_add_f64_e32 v[2:3], v[2:3], v[6:7]
	s_delay_alu instid0(VALU_DEP_2) | instskip(NEXT) | instid1(VALU_DEP_2)
	v_add_f64_e64 v[8:9], v[109:110], -v[8:9]
	v_add_f64_e64 v[6:7], v[107:108], -v[2:3]
	scratch_store_b128 off, v[6:9], off offset:192
	v_cmpx_lt_u32_e32 10, v0
	s_cbranch_execz .LBB92_167
; %bb.166:
	scratch_load_b128 v[6:9], off, s11
	v_dual_mov_b32 v2, v1 :: v_dual_mov_b32 v3, v1
	v_mov_b32_e32 v4, v1
	scratch_store_b128 off, v[1:4], off offset:176
	s_wait_loadcnt 0x0
	ds_store_b128 v5, v[6:9]
.LBB92_167:
	s_wait_alu 0xfffe
	s_or_b32 exec_lo, exec_lo, s0
	s_wait_storecnt_dscnt 0x0
	s_barrier_signal -1
	s_barrier_wait -1
	global_inv scope:SCOPE_SE
	s_clause 0x8
	scratch_load_b128 v[6:9], off, off offset:192
	scratch_load_b128 v[71:74], off, off offset:208
	;; [unrolled: 1-line block ×9, first 2 shown]
	ds_load_b128 v[103:106], v1 offset:640
	ds_load_b128 v[107:110], v1 offset:656
	scratch_load_b128 v[111:114], off, off offset:176
	s_mov_b32 s0, exec_lo
	ds_load_b128 v[119:122], v1 offset:688
	s_wait_loadcnt_dscnt 0x902
	v_mul_f64_e32 v[2:3], v[105:106], v[8:9]
	v_mul_f64_e32 v[115:116], v[103:104], v[8:9]
	scratch_load_b128 v[8:11], off, off offset:336
	s_wait_loadcnt_dscnt 0x901
	v_mul_f64_e32 v[123:124], v[107:108], v[73:74]
	v_mul_f64_e32 v[73:74], v[109:110], v[73:74]
	v_fma_f64 v[2:3], v[103:104], v[6:7], -v[2:3]
	v_fma_f64 v[6:7], v[105:106], v[6:7], v[115:116]
	ds_load_b128 v[103:106], v1 offset:672
	scratch_load_b128 v[115:118], off, off offset:352
	v_fma_f64 v[109:110], v[109:110], v[71:72], v[123:124]
	v_fma_f64 v[107:108], v[107:108], v[71:72], -v[73:74]
	scratch_load_b128 v[71:74], off, off offset:368
	s_wait_loadcnt_dscnt 0x901
	v_mul_f64_e32 v[123:124], v[119:120], v[81:82]
	v_mul_f64_e32 v[81:82], v[121:122], v[81:82]
	s_wait_dscnt 0x0
	v_mul_f64_e32 v[125:126], v[103:104], v[77:78]
	v_mul_f64_e32 v[77:78], v[105:106], v[77:78]
	v_add_f64_e32 v[2:3], 0, v[2:3]
	v_add_f64_e32 v[6:7], 0, v[6:7]
	v_fma_f64 v[121:122], v[121:122], v[79:80], v[123:124]
	v_fma_f64 v[119:120], v[119:120], v[79:80], -v[81:82]
	scratch_load_b128 v[79:82], off, off offset:400
	v_fma_f64 v[125:126], v[105:106], v[75:76], v[125:126]
	v_fma_f64 v[127:128], v[103:104], v[75:76], -v[77:78]
	ds_load_b128 v[75:78], v1 offset:704
	scratch_load_b128 v[103:106], off, off offset:384
	v_add_f64_e32 v[2:3], v[2:3], v[107:108]
	v_add_f64_e32 v[6:7], v[6:7], v[109:110]
	ds_load_b128 v[107:110], v1 offset:720
	s_wait_loadcnt_dscnt 0xa01
	v_mul_f64_e32 v[129:130], v[75:76], v[85:86]
	v_mul_f64_e32 v[85:86], v[77:78], v[85:86]
	s_wait_loadcnt_dscnt 0x900
	v_mul_f64_e32 v[123:124], v[107:108], v[89:90]
	v_mul_f64_e32 v[89:90], v[109:110], v[89:90]
	v_add_f64_e32 v[2:3], v[2:3], v[127:128]
	v_add_f64_e32 v[6:7], v[6:7], v[125:126]
	v_fma_f64 v[125:126], v[77:78], v[83:84], v[129:130]
	v_fma_f64 v[127:128], v[75:76], v[83:84], -v[85:86]
	ds_load_b128 v[75:78], v1 offset:736
	scratch_load_b128 v[83:86], off, off offset:416
	v_fma_f64 v[109:110], v[109:110], v[87:88], v[123:124]
	v_fma_f64 v[107:108], v[107:108], v[87:88], -v[89:90]
	scratch_load_b128 v[87:90], off, off offset:432
	v_add_f64_e32 v[2:3], v[2:3], v[119:120]
	v_add_f64_e32 v[6:7], v[6:7], v[121:122]
	ds_load_b128 v[119:122], v1 offset:752
	s_wait_loadcnt_dscnt 0xa01
	v_mul_f64_e32 v[129:130], v[75:76], v[93:94]
	v_mul_f64_e32 v[93:94], v[77:78], v[93:94]
	s_wait_loadcnt_dscnt 0x900
	v_mul_f64_e32 v[123:124], v[119:120], v[97:98]
	v_mul_f64_e32 v[97:98], v[121:122], v[97:98]
	v_add_f64_e32 v[2:3], v[2:3], v[127:128]
	v_add_f64_e32 v[6:7], v[6:7], v[125:126]
	v_fma_f64 v[125:126], v[77:78], v[91:92], v[129:130]
	v_fma_f64 v[127:128], v[75:76], v[91:92], -v[93:94]
	ds_load_b128 v[75:78], v1 offset:768
	scratch_load_b128 v[91:94], off, off offset:448
	v_fma_f64 v[121:122], v[121:122], v[95:96], v[123:124]
	v_fma_f64 v[119:120], v[119:120], v[95:96], -v[97:98]
	scratch_load_b128 v[95:98], off, off offset:464
	v_add_f64_e32 v[2:3], v[2:3], v[107:108]
	v_add_f64_e32 v[6:7], v[6:7], v[109:110]
	ds_load_b128 v[107:110], v1 offset:784
	s_wait_loadcnt_dscnt 0xa01
	v_mul_f64_e32 v[129:130], v[75:76], v[101:102]
	v_mul_f64_e32 v[101:102], v[77:78], v[101:102]
	v_add_f64_e32 v[2:3], v[2:3], v[127:128]
	v_add_f64_e32 v[6:7], v[6:7], v[125:126]
	s_delay_alu instid0(VALU_DEP_4) | instskip(NEXT) | instid1(VALU_DEP_4)
	v_fma_f64 v[125:126], v[77:78], v[99:100], v[129:130]
	v_fma_f64 v[127:128], v[75:76], v[99:100], -v[101:102]
	ds_load_b128 v[75:78], v1 offset:800
	ds_load_b128 v[99:102], v1 offset:816
	s_wait_loadcnt_dscnt 0x802
	v_mul_f64_e32 v[123:124], v[107:108], v[10:11]
	v_mul_f64_e32 v[10:11], v[109:110], v[10:11]
	v_add_f64_e32 v[2:3], v[2:3], v[119:120]
	v_add_f64_e32 v[6:7], v[6:7], v[121:122]
	s_delay_alu instid0(VALU_DEP_4)
	v_fma_f64 v[109:110], v[109:110], v[8:9], v[123:124]
	s_wait_loadcnt_dscnt 0x701
	v_mul_f64_e32 v[119:120], v[75:76], v[117:118]
	v_mul_f64_e32 v[117:118], v[77:78], v[117:118]
	v_fma_f64 v[8:9], v[107:108], v[8:9], -v[10:11]
	s_wait_loadcnt_dscnt 0x600
	v_mul_f64_e32 v[10:11], v[99:100], v[73:74]
	v_mul_f64_e32 v[107:108], v[101:102], v[73:74]
	v_add_f64_e32 v[2:3], v[2:3], v[127:128]
	v_add_f64_e32 v[6:7], v[6:7], v[125:126]
	v_fma_f64 v[77:78], v[77:78], v[115:116], v[119:120]
	v_fma_f64 v[115:116], v[75:76], v[115:116], -v[117:118]
	v_fma_f64 v[10:11], v[101:102], v[71:72], v[10:11]
	v_fma_f64 v[71:72], v[99:100], v[71:72], -v[107:108]
	v_add_f64_e32 v[2:3], v[2:3], v[8:9]
	v_add_f64_e32 v[109:110], v[6:7], v[109:110]
	ds_load_b128 v[6:9], v1 offset:832
	ds_load_b128 v[73:76], v1 offset:848
	s_wait_loadcnt_dscnt 0x401
	v_mul_f64_e32 v[117:118], v[6:7], v[105:106]
	v_mul_f64_e32 v[105:106], v[8:9], v[105:106]
	s_wait_dscnt 0x0
	v_mul_f64_e32 v[107:108], v[73:74], v[81:82]
	v_mul_f64_e32 v[81:82], v[75:76], v[81:82]
	v_add_f64_e32 v[2:3], v[2:3], v[115:116]
	v_add_f64_e32 v[77:78], v[109:110], v[77:78]
	v_fma_f64 v[109:110], v[8:9], v[103:104], v[117:118]
	v_fma_f64 v[103:104], v[6:7], v[103:104], -v[105:106]
	ds_load_b128 v[6:9], v1 offset:864
	ds_load_b128 v[99:102], v1 offset:880
	v_fma_f64 v[75:76], v[75:76], v[79:80], v[107:108]
	v_fma_f64 v[73:74], v[73:74], v[79:80], -v[81:82]
	v_add_f64_e32 v[2:3], v[2:3], v[71:72]
	v_add_f64_e32 v[10:11], v[77:78], v[10:11]
	s_wait_loadcnt_dscnt 0x301
	v_mul_f64_e32 v[71:72], v[6:7], v[85:86]
	v_mul_f64_e32 v[77:78], v[8:9], v[85:86]
	s_wait_loadcnt_dscnt 0x200
	v_mul_f64_e32 v[79:80], v[99:100], v[89:90]
	v_mul_f64_e32 v[81:82], v[101:102], v[89:90]
	v_add_f64_e32 v[2:3], v[2:3], v[103:104]
	v_add_f64_e32 v[10:11], v[10:11], v[109:110]
	v_fma_f64 v[71:72], v[8:9], v[83:84], v[71:72]
	v_fma_f64 v[77:78], v[6:7], v[83:84], -v[77:78]
	v_fma_f64 v[79:80], v[101:102], v[87:88], v[79:80]
	v_fma_f64 v[81:82], v[99:100], v[87:88], -v[81:82]
	v_add_f64_e32 v[73:74], v[2:3], v[73:74]
	v_add_f64_e32 v[10:11], v[10:11], v[75:76]
	ds_load_b128 v[6:9], v1 offset:896
	ds_load_b128 v[1:4], v1 offset:912
	s_wait_loadcnt_dscnt 0x101
	v_mul_f64_e32 v[75:76], v[6:7], v[93:94]
	v_mul_f64_e32 v[83:84], v[8:9], v[93:94]
	v_add_f64_e32 v[73:74], v[73:74], v[77:78]
	v_add_f64_e32 v[10:11], v[10:11], v[71:72]
	s_wait_loadcnt_dscnt 0x0
	v_mul_f64_e32 v[71:72], v[1:2], v[97:98]
	v_mul_f64_e32 v[77:78], v[3:4], v[97:98]
	v_fma_f64 v[8:9], v[8:9], v[91:92], v[75:76]
	v_fma_f64 v[6:7], v[6:7], v[91:92], -v[83:84]
	v_add_f64_e32 v[73:74], v[73:74], v[81:82]
	v_add_f64_e32 v[10:11], v[10:11], v[79:80]
	v_fma_f64 v[3:4], v[3:4], v[95:96], v[71:72]
	v_fma_f64 v[1:2], v[1:2], v[95:96], -v[77:78]
	s_delay_alu instid0(VALU_DEP_4) | instskip(NEXT) | instid1(VALU_DEP_4)
	v_add_f64_e32 v[6:7], v[73:74], v[6:7]
	v_add_f64_e32 v[8:9], v[10:11], v[8:9]
	s_delay_alu instid0(VALU_DEP_2) | instskip(NEXT) | instid1(VALU_DEP_2)
	v_add_f64_e32 v[1:2], v[6:7], v[1:2]
	v_add_f64_e32 v[3:4], v[8:9], v[3:4]
	s_delay_alu instid0(VALU_DEP_2) | instskip(NEXT) | instid1(VALU_DEP_2)
	v_add_f64_e64 v[1:2], v[111:112], -v[1:2]
	v_add_f64_e64 v[3:4], v[113:114], -v[3:4]
	scratch_store_b128 off, v[1:4], off offset:176
	v_cmpx_lt_u32_e32 9, v0
	s_cbranch_execz .LBB92_169
; %bb.168:
	scratch_load_b128 v[1:4], off, s25
	v_mov_b32_e32 v6, 0
	s_delay_alu instid0(VALU_DEP_1)
	v_dual_mov_b32 v7, v6 :: v_dual_mov_b32 v8, v6
	v_mov_b32_e32 v9, v6
	scratch_store_b128 off, v[6:9], off offset:160
	s_wait_loadcnt 0x0
	ds_store_b128 v5, v[1:4]
.LBB92_169:
	s_wait_alu 0xfffe
	s_or_b32 exec_lo, exec_lo, s0
	s_wait_storecnt_dscnt 0x0
	s_barrier_signal -1
	s_barrier_wait -1
	global_inv scope:SCOPE_SE
	s_clause 0x7
	scratch_load_b128 v[6:9], off, off offset:176
	scratch_load_b128 v[71:74], off, off offset:192
	scratch_load_b128 v[75:78], off, off offset:208
	scratch_load_b128 v[79:82], off, off offset:224
	scratch_load_b128 v[83:86], off, off offset:240
	scratch_load_b128 v[87:90], off, off offset:256
	scratch_load_b128 v[91:94], off, off offset:272
	scratch_load_b128 v[95:98], off, off offset:288
	v_mov_b32_e32 v1, 0
	s_mov_b32 s0, exec_lo
	ds_load_b128 v[99:102], v1 offset:624
	s_clause 0x1
	scratch_load_b128 v[103:106], off, off offset:304
	scratch_load_b128 v[107:110], off, off offset:160
	ds_load_b128 v[111:114], v1 offset:640
	ds_load_b128 v[119:122], v1 offset:672
	s_wait_loadcnt_dscnt 0x902
	v_mul_f64_e32 v[2:3], v[101:102], v[8:9]
	v_mul_f64_e32 v[115:116], v[99:100], v[8:9]
	scratch_load_b128 v[8:11], off, off offset:320
	v_fma_f64 v[2:3], v[99:100], v[6:7], -v[2:3]
	v_fma_f64 v[6:7], v[101:102], v[6:7], v[115:116]
	ds_load_b128 v[99:102], v1 offset:656
	s_wait_loadcnt_dscnt 0x902
	v_mul_f64_e32 v[123:124], v[111:112], v[73:74]
	v_mul_f64_e32 v[73:74], v[113:114], v[73:74]
	scratch_load_b128 v[115:118], off, off offset:336
	s_wait_loadcnt_dscnt 0x900
	v_mul_f64_e32 v[125:126], v[99:100], v[77:78]
	v_mul_f64_e32 v[77:78], v[101:102], v[77:78]
	v_add_f64_e32 v[2:3], 0, v[2:3]
	v_add_f64_e32 v[6:7], 0, v[6:7]
	v_fma_f64 v[113:114], v[113:114], v[71:72], v[123:124]
	v_fma_f64 v[111:112], v[111:112], v[71:72], -v[73:74]
	scratch_load_b128 v[71:74], off, off offset:352
	v_fma_f64 v[125:126], v[101:102], v[75:76], v[125:126]
	v_fma_f64 v[127:128], v[99:100], v[75:76], -v[77:78]
	ds_load_b128 v[75:78], v1 offset:688
	s_wait_loadcnt 0x9
	v_mul_f64_e32 v[123:124], v[119:120], v[81:82]
	v_mul_f64_e32 v[81:82], v[121:122], v[81:82]
	scratch_load_b128 v[99:102], off, off offset:368
	v_add_f64_e32 v[6:7], v[6:7], v[113:114]
	v_add_f64_e32 v[2:3], v[2:3], v[111:112]
	ds_load_b128 v[111:114], v1 offset:704
	s_wait_loadcnt_dscnt 0x901
	v_mul_f64_e32 v[129:130], v[75:76], v[85:86]
	v_mul_f64_e32 v[85:86], v[77:78], v[85:86]
	v_fma_f64 v[121:122], v[121:122], v[79:80], v[123:124]
	v_fma_f64 v[119:120], v[119:120], v[79:80], -v[81:82]
	scratch_load_b128 v[79:82], off, off offset:384
	v_add_f64_e32 v[6:7], v[6:7], v[125:126]
	v_add_f64_e32 v[2:3], v[2:3], v[127:128]
	v_fma_f64 v[125:126], v[77:78], v[83:84], v[129:130]
	v_fma_f64 v[127:128], v[75:76], v[83:84], -v[85:86]
	ds_load_b128 v[75:78], v1 offset:720
	s_wait_loadcnt_dscnt 0x901
	v_mul_f64_e32 v[123:124], v[111:112], v[89:90]
	v_mul_f64_e32 v[89:90], v[113:114], v[89:90]
	scratch_load_b128 v[83:86], off, off offset:400
	s_wait_loadcnt_dscnt 0x900
	v_mul_f64_e32 v[129:130], v[75:76], v[93:94]
	v_mul_f64_e32 v[93:94], v[77:78], v[93:94]
	v_add_f64_e32 v[6:7], v[6:7], v[121:122]
	v_add_f64_e32 v[2:3], v[2:3], v[119:120]
	ds_load_b128 v[119:122], v1 offset:736
	v_fma_f64 v[113:114], v[113:114], v[87:88], v[123:124]
	v_fma_f64 v[111:112], v[111:112], v[87:88], -v[89:90]
	scratch_load_b128 v[87:90], off, off offset:416
	v_add_f64_e32 v[6:7], v[6:7], v[125:126]
	v_add_f64_e32 v[2:3], v[2:3], v[127:128]
	v_fma_f64 v[125:126], v[77:78], v[91:92], v[129:130]
	v_fma_f64 v[127:128], v[75:76], v[91:92], -v[93:94]
	ds_load_b128 v[75:78], v1 offset:752
	s_wait_loadcnt_dscnt 0x901
	v_mul_f64_e32 v[123:124], v[119:120], v[97:98]
	v_mul_f64_e32 v[97:98], v[121:122], v[97:98]
	scratch_load_b128 v[91:94], off, off offset:432
	s_wait_loadcnt_dscnt 0x900
	v_mul_f64_e32 v[129:130], v[75:76], v[105:106]
	v_mul_f64_e32 v[105:106], v[77:78], v[105:106]
	v_add_f64_e32 v[6:7], v[6:7], v[113:114]
	v_add_f64_e32 v[2:3], v[2:3], v[111:112]
	ds_load_b128 v[111:114], v1 offset:768
	v_fma_f64 v[121:122], v[121:122], v[95:96], v[123:124]
	v_fma_f64 v[119:120], v[119:120], v[95:96], -v[97:98]
	scratch_load_b128 v[95:98], off, off offset:448
	v_add_f64_e32 v[6:7], v[6:7], v[125:126]
	v_add_f64_e32 v[2:3], v[2:3], v[127:128]
	v_fma_f64 v[125:126], v[77:78], v[103:104], v[129:130]
	v_fma_f64 v[127:128], v[75:76], v[103:104], -v[105:106]
	ds_load_b128 v[75:78], v1 offset:784
	scratch_load_b128 v[103:106], off, off offset:464
	s_wait_loadcnt_dscnt 0x901
	v_mul_f64_e32 v[123:124], v[111:112], v[10:11]
	v_mul_f64_e32 v[10:11], v[113:114], v[10:11]
	v_add_f64_e32 v[6:7], v[6:7], v[121:122]
	v_add_f64_e32 v[2:3], v[2:3], v[119:120]
	ds_load_b128 v[119:122], v1 offset:800
	v_fma_f64 v[113:114], v[113:114], v[8:9], v[123:124]
	v_fma_f64 v[8:9], v[111:112], v[8:9], -v[10:11]
	s_wait_loadcnt_dscnt 0x801
	v_mul_f64_e32 v[129:130], v[75:76], v[117:118]
	v_mul_f64_e32 v[117:118], v[77:78], v[117:118]
	v_add_f64_e32 v[6:7], v[6:7], v[125:126]
	v_add_f64_e32 v[2:3], v[2:3], v[127:128]
	s_wait_loadcnt_dscnt 0x700
	v_mul_f64_e32 v[10:11], v[119:120], v[73:74]
	v_mul_f64_e32 v[111:112], v[121:122], v[73:74]
	v_fma_f64 v[77:78], v[77:78], v[115:116], v[129:130]
	v_fma_f64 v[115:116], v[75:76], v[115:116], -v[117:118]
	v_add_f64_e32 v[113:114], v[6:7], v[113:114]
	v_add_f64_e32 v[2:3], v[2:3], v[8:9]
	ds_load_b128 v[6:9], v1 offset:816
	ds_load_b128 v[73:76], v1 offset:832
	v_fma_f64 v[10:11], v[121:122], v[71:72], v[10:11]
	v_fma_f64 v[71:72], v[119:120], v[71:72], -v[111:112]
	s_wait_loadcnt_dscnt 0x601
	v_mul_f64_e32 v[117:118], v[6:7], v[101:102]
	v_mul_f64_e32 v[101:102], v[8:9], v[101:102]
	v_add_f64_e32 v[77:78], v[113:114], v[77:78]
	v_add_f64_e32 v[2:3], v[2:3], v[115:116]
	s_wait_loadcnt_dscnt 0x500
	v_mul_f64_e32 v[111:112], v[73:74], v[81:82]
	v_mul_f64_e32 v[81:82], v[75:76], v[81:82]
	v_fma_f64 v[113:114], v[8:9], v[99:100], v[117:118]
	v_fma_f64 v[115:116], v[6:7], v[99:100], -v[101:102]
	ds_load_b128 v[6:9], v1 offset:848
	ds_load_b128 v[99:102], v1 offset:864
	v_add_f64_e32 v[10:11], v[77:78], v[10:11]
	v_add_f64_e32 v[2:3], v[2:3], v[71:72]
	v_fma_f64 v[75:76], v[75:76], v[79:80], v[111:112]
	v_fma_f64 v[73:74], v[73:74], v[79:80], -v[81:82]
	s_wait_loadcnt_dscnt 0x401
	v_mul_f64_e32 v[71:72], v[6:7], v[85:86]
	v_mul_f64_e32 v[77:78], v[8:9], v[85:86]
	s_wait_loadcnt_dscnt 0x300
	v_mul_f64_e32 v[79:80], v[99:100], v[89:90]
	v_mul_f64_e32 v[81:82], v[101:102], v[89:90]
	v_add_f64_e32 v[10:11], v[10:11], v[113:114]
	v_add_f64_e32 v[2:3], v[2:3], v[115:116]
	v_fma_f64 v[85:86], v[8:9], v[83:84], v[71:72]
	v_fma_f64 v[77:78], v[6:7], v[83:84], -v[77:78]
	v_fma_f64 v[79:80], v[101:102], v[87:88], v[79:80]
	v_fma_f64 v[81:82], v[99:100], v[87:88], -v[81:82]
	v_add_f64_e32 v[10:11], v[10:11], v[75:76]
	v_add_f64_e32 v[2:3], v[2:3], v[73:74]
	ds_load_b128 v[6:9], v1 offset:880
	ds_load_b128 v[71:74], v1 offset:896
	s_wait_loadcnt_dscnt 0x201
	v_mul_f64_e32 v[75:76], v[6:7], v[93:94]
	v_mul_f64_e32 v[83:84], v[8:9], v[93:94]
	v_add_f64_e32 v[10:11], v[10:11], v[85:86]
	v_add_f64_e32 v[2:3], v[2:3], v[77:78]
	s_wait_loadcnt_dscnt 0x100
	v_mul_f64_e32 v[77:78], v[71:72], v[97:98]
	v_mul_f64_e32 v[85:86], v[73:74], v[97:98]
	v_fma_f64 v[75:76], v[8:9], v[91:92], v[75:76]
	v_fma_f64 v[83:84], v[6:7], v[91:92], -v[83:84]
	ds_load_b128 v[6:9], v1 offset:912
	v_add_f64_e32 v[10:11], v[10:11], v[79:80]
	v_add_f64_e32 v[2:3], v[2:3], v[81:82]
	v_fma_f64 v[73:74], v[73:74], v[95:96], v[77:78]
	v_fma_f64 v[71:72], v[71:72], v[95:96], -v[85:86]
	s_wait_loadcnt_dscnt 0x0
	v_mul_f64_e32 v[79:80], v[6:7], v[105:106]
	v_mul_f64_e32 v[81:82], v[8:9], v[105:106]
	v_add_f64_e32 v[10:11], v[10:11], v[75:76]
	v_add_f64_e32 v[2:3], v[2:3], v[83:84]
	s_delay_alu instid0(VALU_DEP_4) | instskip(NEXT) | instid1(VALU_DEP_4)
	v_fma_f64 v[8:9], v[8:9], v[103:104], v[79:80]
	v_fma_f64 v[6:7], v[6:7], v[103:104], -v[81:82]
	s_delay_alu instid0(VALU_DEP_4) | instskip(NEXT) | instid1(VALU_DEP_4)
	v_add_f64_e32 v[10:11], v[10:11], v[73:74]
	v_add_f64_e32 v[2:3], v[2:3], v[71:72]
	s_delay_alu instid0(VALU_DEP_2) | instskip(NEXT) | instid1(VALU_DEP_2)
	v_add_f64_e32 v[8:9], v[10:11], v[8:9]
	v_add_f64_e32 v[2:3], v[2:3], v[6:7]
	s_delay_alu instid0(VALU_DEP_2) | instskip(NEXT) | instid1(VALU_DEP_2)
	v_add_f64_e64 v[8:9], v[109:110], -v[8:9]
	v_add_f64_e64 v[6:7], v[107:108], -v[2:3]
	scratch_store_b128 off, v[6:9], off offset:160
	v_cmpx_lt_u32_e32 8, v0
	s_cbranch_execz .LBB92_171
; %bb.170:
	scratch_load_b128 v[6:9], off, s10
	v_dual_mov_b32 v2, v1 :: v_dual_mov_b32 v3, v1
	v_mov_b32_e32 v4, v1
	scratch_store_b128 off, v[1:4], off offset:144
	s_wait_loadcnt 0x0
	ds_store_b128 v5, v[6:9]
.LBB92_171:
	s_wait_alu 0xfffe
	s_or_b32 exec_lo, exec_lo, s0
	s_wait_storecnt_dscnt 0x0
	s_barrier_signal -1
	s_barrier_wait -1
	global_inv scope:SCOPE_SE
	s_clause 0x8
	scratch_load_b128 v[6:9], off, off offset:160
	scratch_load_b128 v[71:74], off, off offset:176
	;; [unrolled: 1-line block ×9, first 2 shown]
	ds_load_b128 v[103:106], v1 offset:608
	ds_load_b128 v[107:110], v1 offset:624
	scratch_load_b128 v[111:114], off, off offset:144
	s_mov_b32 s0, exec_lo
	ds_load_b128 v[119:122], v1 offset:656
	s_wait_loadcnt_dscnt 0x902
	v_mul_f64_e32 v[2:3], v[105:106], v[8:9]
	v_mul_f64_e32 v[115:116], v[103:104], v[8:9]
	scratch_load_b128 v[8:11], off, off offset:304
	s_wait_loadcnt_dscnt 0x901
	v_mul_f64_e32 v[123:124], v[107:108], v[73:74]
	v_mul_f64_e32 v[73:74], v[109:110], v[73:74]
	v_fma_f64 v[2:3], v[103:104], v[6:7], -v[2:3]
	v_fma_f64 v[6:7], v[105:106], v[6:7], v[115:116]
	ds_load_b128 v[103:106], v1 offset:640
	scratch_load_b128 v[115:118], off, off offset:320
	v_fma_f64 v[109:110], v[109:110], v[71:72], v[123:124]
	v_fma_f64 v[107:108], v[107:108], v[71:72], -v[73:74]
	scratch_load_b128 v[71:74], off, off offset:336
	s_wait_loadcnt_dscnt 0x901
	v_mul_f64_e32 v[123:124], v[119:120], v[81:82]
	v_mul_f64_e32 v[81:82], v[121:122], v[81:82]
	s_wait_dscnt 0x0
	v_mul_f64_e32 v[125:126], v[103:104], v[77:78]
	v_mul_f64_e32 v[77:78], v[105:106], v[77:78]
	v_add_f64_e32 v[2:3], 0, v[2:3]
	v_add_f64_e32 v[6:7], 0, v[6:7]
	v_fma_f64 v[121:122], v[121:122], v[79:80], v[123:124]
	v_fma_f64 v[119:120], v[119:120], v[79:80], -v[81:82]
	scratch_load_b128 v[79:82], off, off offset:368
	v_fma_f64 v[125:126], v[105:106], v[75:76], v[125:126]
	v_fma_f64 v[127:128], v[103:104], v[75:76], -v[77:78]
	ds_load_b128 v[75:78], v1 offset:672
	scratch_load_b128 v[103:106], off, off offset:352
	v_add_f64_e32 v[2:3], v[2:3], v[107:108]
	v_add_f64_e32 v[6:7], v[6:7], v[109:110]
	ds_load_b128 v[107:110], v1 offset:688
	s_wait_loadcnt_dscnt 0xa01
	v_mul_f64_e32 v[129:130], v[75:76], v[85:86]
	v_mul_f64_e32 v[85:86], v[77:78], v[85:86]
	s_wait_loadcnt_dscnt 0x900
	v_mul_f64_e32 v[123:124], v[107:108], v[89:90]
	v_mul_f64_e32 v[89:90], v[109:110], v[89:90]
	v_add_f64_e32 v[2:3], v[2:3], v[127:128]
	v_add_f64_e32 v[6:7], v[6:7], v[125:126]
	v_fma_f64 v[125:126], v[77:78], v[83:84], v[129:130]
	v_fma_f64 v[127:128], v[75:76], v[83:84], -v[85:86]
	ds_load_b128 v[75:78], v1 offset:704
	scratch_load_b128 v[83:86], off, off offset:384
	v_fma_f64 v[109:110], v[109:110], v[87:88], v[123:124]
	v_fma_f64 v[107:108], v[107:108], v[87:88], -v[89:90]
	scratch_load_b128 v[87:90], off, off offset:400
	v_add_f64_e32 v[2:3], v[2:3], v[119:120]
	v_add_f64_e32 v[6:7], v[6:7], v[121:122]
	ds_load_b128 v[119:122], v1 offset:720
	s_wait_loadcnt_dscnt 0xa01
	v_mul_f64_e32 v[129:130], v[75:76], v[93:94]
	v_mul_f64_e32 v[93:94], v[77:78], v[93:94]
	s_wait_loadcnt_dscnt 0x900
	v_mul_f64_e32 v[123:124], v[119:120], v[97:98]
	v_mul_f64_e32 v[97:98], v[121:122], v[97:98]
	v_add_f64_e32 v[2:3], v[2:3], v[127:128]
	v_add_f64_e32 v[6:7], v[6:7], v[125:126]
	v_fma_f64 v[125:126], v[77:78], v[91:92], v[129:130]
	v_fma_f64 v[127:128], v[75:76], v[91:92], -v[93:94]
	ds_load_b128 v[75:78], v1 offset:736
	scratch_load_b128 v[91:94], off, off offset:416
	v_fma_f64 v[121:122], v[121:122], v[95:96], v[123:124]
	v_fma_f64 v[119:120], v[119:120], v[95:96], -v[97:98]
	scratch_load_b128 v[95:98], off, off offset:432
	v_add_f64_e32 v[2:3], v[2:3], v[107:108]
	v_add_f64_e32 v[6:7], v[6:7], v[109:110]
	ds_load_b128 v[107:110], v1 offset:752
	s_wait_loadcnt_dscnt 0xa01
	v_mul_f64_e32 v[129:130], v[75:76], v[101:102]
	v_mul_f64_e32 v[101:102], v[77:78], v[101:102]
	v_add_f64_e32 v[2:3], v[2:3], v[127:128]
	v_add_f64_e32 v[6:7], v[6:7], v[125:126]
	s_delay_alu instid0(VALU_DEP_4) | instskip(NEXT) | instid1(VALU_DEP_4)
	v_fma_f64 v[125:126], v[77:78], v[99:100], v[129:130]
	v_fma_f64 v[127:128], v[75:76], v[99:100], -v[101:102]
	ds_load_b128 v[75:78], v1 offset:768
	scratch_load_b128 v[99:102], off, off offset:448
	s_wait_loadcnt_dscnt 0x901
	v_mul_f64_e32 v[123:124], v[107:108], v[10:11]
	v_mul_f64_e32 v[10:11], v[109:110], v[10:11]
	v_add_f64_e32 v[2:3], v[2:3], v[119:120]
	v_add_f64_e32 v[6:7], v[6:7], v[121:122]
	ds_load_b128 v[119:122], v1 offset:784
	v_fma_f64 v[109:110], v[109:110], v[8:9], v[123:124]
	s_wait_loadcnt_dscnt 0x801
	v_mul_f64_e32 v[129:130], v[75:76], v[117:118]
	v_mul_f64_e32 v[117:118], v[77:78], v[117:118]
	v_fma_f64 v[10:11], v[107:108], v[8:9], -v[10:11]
	s_wait_loadcnt_dscnt 0x700
	v_mul_f64_e32 v[123:124], v[119:120], v[73:74]
	v_add_f64_e32 v[2:3], v[2:3], v[127:128]
	v_add_f64_e32 v[107:108], v[6:7], v[125:126]
	scratch_load_b128 v[6:9], off, off offset:464
	v_mul_f64_e32 v[125:126], v[121:122], v[73:74]
	v_fma_f64 v[77:78], v[77:78], v[115:116], v[129:130]
	v_fma_f64 v[115:116], v[75:76], v[115:116], -v[117:118]
	v_fma_f64 v[121:122], v[121:122], v[71:72], v[123:124]
	v_add_f64_e32 v[2:3], v[2:3], v[10:11]
	v_add_f64_e32 v[10:11], v[107:108], v[109:110]
	ds_load_b128 v[73:76], v1 offset:800
	ds_load_b128 v[107:110], v1 offset:816
	v_fma_f64 v[71:72], v[119:120], v[71:72], -v[125:126]
	s_wait_loadcnt_dscnt 0x601
	v_mul_f64_e32 v[117:118], v[73:74], v[105:106]
	v_mul_f64_e32 v[105:106], v[75:76], v[105:106]
	v_add_f64_e32 v[2:3], v[2:3], v[115:116]
	v_add_f64_e32 v[10:11], v[10:11], v[77:78]
	s_wait_dscnt 0x0
	v_mul_f64_e32 v[115:116], v[107:108], v[81:82]
	v_mul_f64_e32 v[81:82], v[109:110], v[81:82]
	v_fma_f64 v[117:118], v[75:76], v[103:104], v[117:118]
	v_fma_f64 v[103:104], v[73:74], v[103:104], -v[105:106]
	v_add_f64_e32 v[2:3], v[2:3], v[71:72]
	v_add_f64_e32 v[10:11], v[10:11], v[121:122]
	ds_load_b128 v[71:74], v1 offset:832
	ds_load_b128 v[75:78], v1 offset:848
	v_fma_f64 v[109:110], v[109:110], v[79:80], v[115:116]
	v_fma_f64 v[79:80], v[107:108], v[79:80], -v[81:82]
	s_wait_loadcnt_dscnt 0x501
	v_mul_f64_e32 v[105:106], v[71:72], v[85:86]
	v_mul_f64_e32 v[85:86], v[73:74], v[85:86]
	v_add_f64_e32 v[2:3], v[2:3], v[103:104]
	v_add_f64_e32 v[10:11], v[10:11], v[117:118]
	s_wait_loadcnt_dscnt 0x400
	v_mul_f64_e32 v[103:104], v[75:76], v[89:90]
	v_mul_f64_e32 v[89:90], v[77:78], v[89:90]
	v_fma_f64 v[105:106], v[73:74], v[83:84], v[105:106]
	v_fma_f64 v[83:84], v[71:72], v[83:84], -v[85:86]
	v_add_f64_e32 v[2:3], v[2:3], v[79:80]
	v_add_f64_e32 v[10:11], v[10:11], v[109:110]
	ds_load_b128 v[71:74], v1 offset:864
	ds_load_b128 v[79:82], v1 offset:880
	v_fma_f64 v[77:78], v[77:78], v[87:88], v[103:104]
	v_fma_f64 v[75:76], v[75:76], v[87:88], -v[89:90]
	s_wait_loadcnt_dscnt 0x301
	v_mul_f64_e32 v[85:86], v[71:72], v[93:94]
	v_mul_f64_e32 v[93:94], v[73:74], v[93:94]
	s_wait_loadcnt_dscnt 0x200
	v_mul_f64_e32 v[87:88], v[81:82], v[97:98]
	v_add_f64_e32 v[2:3], v[2:3], v[83:84]
	v_add_f64_e32 v[10:11], v[10:11], v[105:106]
	v_mul_f64_e32 v[83:84], v[79:80], v[97:98]
	v_fma_f64 v[85:86], v[73:74], v[91:92], v[85:86]
	v_fma_f64 v[89:90], v[71:72], v[91:92], -v[93:94]
	v_fma_f64 v[79:80], v[79:80], v[95:96], -v[87:88]
	v_add_f64_e32 v[75:76], v[2:3], v[75:76]
	v_add_f64_e32 v[10:11], v[10:11], v[77:78]
	ds_load_b128 v[71:74], v1 offset:896
	ds_load_b128 v[1:4], v1 offset:912
	v_fma_f64 v[81:82], v[81:82], v[95:96], v[83:84]
	s_wait_loadcnt_dscnt 0x101
	v_mul_f64_e32 v[77:78], v[71:72], v[101:102]
	v_mul_f64_e32 v[91:92], v[73:74], v[101:102]
	v_add_f64_e32 v[75:76], v[75:76], v[89:90]
	v_add_f64_e32 v[10:11], v[10:11], v[85:86]
	s_wait_loadcnt_dscnt 0x0
	v_mul_f64_e32 v[83:84], v[1:2], v[8:9]
	v_mul_f64_e32 v[8:9], v[3:4], v[8:9]
	v_fma_f64 v[73:74], v[73:74], v[99:100], v[77:78]
	v_fma_f64 v[71:72], v[71:72], v[99:100], -v[91:92]
	v_add_f64_e32 v[75:76], v[75:76], v[79:80]
	v_add_f64_e32 v[10:11], v[10:11], v[81:82]
	v_fma_f64 v[3:4], v[3:4], v[6:7], v[83:84]
	v_fma_f64 v[1:2], v[1:2], v[6:7], -v[8:9]
	s_delay_alu instid0(VALU_DEP_4) | instskip(NEXT) | instid1(VALU_DEP_4)
	v_add_f64_e32 v[6:7], v[75:76], v[71:72]
	v_add_f64_e32 v[8:9], v[10:11], v[73:74]
	s_delay_alu instid0(VALU_DEP_2) | instskip(NEXT) | instid1(VALU_DEP_2)
	v_add_f64_e32 v[1:2], v[6:7], v[1:2]
	v_add_f64_e32 v[3:4], v[8:9], v[3:4]
	s_delay_alu instid0(VALU_DEP_2) | instskip(NEXT) | instid1(VALU_DEP_2)
	v_add_f64_e64 v[1:2], v[111:112], -v[1:2]
	v_add_f64_e64 v[3:4], v[113:114], -v[3:4]
	scratch_store_b128 off, v[1:4], off offset:144
	v_cmpx_lt_u32_e32 7, v0
	s_cbranch_execz .LBB92_173
; %bb.172:
	scratch_load_b128 v[1:4], off, s24
	v_mov_b32_e32 v6, 0
	s_delay_alu instid0(VALU_DEP_1)
	v_dual_mov_b32 v7, v6 :: v_dual_mov_b32 v8, v6
	v_mov_b32_e32 v9, v6
	scratch_store_b128 off, v[6:9], off offset:128
	s_wait_loadcnt 0x0
	ds_store_b128 v5, v[1:4]
.LBB92_173:
	s_wait_alu 0xfffe
	s_or_b32 exec_lo, exec_lo, s0
	s_wait_storecnt_dscnt 0x0
	s_barrier_signal -1
	s_barrier_wait -1
	global_inv scope:SCOPE_SE
	s_clause 0x7
	scratch_load_b128 v[6:9], off, off offset:144
	scratch_load_b128 v[71:74], off, off offset:160
	;; [unrolled: 1-line block ×8, first 2 shown]
	v_mov_b32_e32 v1, 0
	s_mov_b32 s0, exec_lo
	ds_load_b128 v[99:102], v1 offset:592
	s_clause 0x1
	scratch_load_b128 v[103:106], off, off offset:272
	scratch_load_b128 v[107:110], off, off offset:128
	ds_load_b128 v[111:114], v1 offset:608
	ds_load_b128 v[119:122], v1 offset:640
	s_wait_loadcnt_dscnt 0x902
	v_mul_f64_e32 v[2:3], v[101:102], v[8:9]
	v_mul_f64_e32 v[115:116], v[99:100], v[8:9]
	scratch_load_b128 v[8:11], off, off offset:288
	v_fma_f64 v[2:3], v[99:100], v[6:7], -v[2:3]
	v_fma_f64 v[6:7], v[101:102], v[6:7], v[115:116]
	ds_load_b128 v[99:102], v1 offset:624
	s_wait_loadcnt_dscnt 0x902
	v_mul_f64_e32 v[123:124], v[111:112], v[73:74]
	v_mul_f64_e32 v[73:74], v[113:114], v[73:74]
	scratch_load_b128 v[115:118], off, off offset:304
	s_wait_loadcnt_dscnt 0x900
	v_mul_f64_e32 v[125:126], v[99:100], v[77:78]
	v_mul_f64_e32 v[77:78], v[101:102], v[77:78]
	v_add_f64_e32 v[2:3], 0, v[2:3]
	v_add_f64_e32 v[6:7], 0, v[6:7]
	v_fma_f64 v[113:114], v[113:114], v[71:72], v[123:124]
	v_fma_f64 v[111:112], v[111:112], v[71:72], -v[73:74]
	scratch_load_b128 v[71:74], off, off offset:320
	v_fma_f64 v[125:126], v[101:102], v[75:76], v[125:126]
	v_fma_f64 v[127:128], v[99:100], v[75:76], -v[77:78]
	ds_load_b128 v[75:78], v1 offset:656
	s_wait_loadcnt 0x9
	v_mul_f64_e32 v[123:124], v[119:120], v[81:82]
	v_mul_f64_e32 v[81:82], v[121:122], v[81:82]
	scratch_load_b128 v[99:102], off, off offset:336
	v_add_f64_e32 v[6:7], v[6:7], v[113:114]
	v_add_f64_e32 v[2:3], v[2:3], v[111:112]
	ds_load_b128 v[111:114], v1 offset:672
	s_wait_loadcnt_dscnt 0x901
	v_mul_f64_e32 v[129:130], v[75:76], v[85:86]
	v_mul_f64_e32 v[85:86], v[77:78], v[85:86]
	v_fma_f64 v[121:122], v[121:122], v[79:80], v[123:124]
	v_fma_f64 v[119:120], v[119:120], v[79:80], -v[81:82]
	scratch_load_b128 v[79:82], off, off offset:352
	v_add_f64_e32 v[6:7], v[6:7], v[125:126]
	v_add_f64_e32 v[2:3], v[2:3], v[127:128]
	v_fma_f64 v[125:126], v[77:78], v[83:84], v[129:130]
	v_fma_f64 v[127:128], v[75:76], v[83:84], -v[85:86]
	ds_load_b128 v[75:78], v1 offset:688
	s_wait_loadcnt_dscnt 0x901
	v_mul_f64_e32 v[123:124], v[111:112], v[89:90]
	v_mul_f64_e32 v[89:90], v[113:114], v[89:90]
	scratch_load_b128 v[83:86], off, off offset:368
	s_wait_loadcnt_dscnt 0x900
	v_mul_f64_e32 v[129:130], v[75:76], v[93:94]
	v_mul_f64_e32 v[93:94], v[77:78], v[93:94]
	v_add_f64_e32 v[6:7], v[6:7], v[121:122]
	v_add_f64_e32 v[2:3], v[2:3], v[119:120]
	ds_load_b128 v[119:122], v1 offset:704
	v_fma_f64 v[113:114], v[113:114], v[87:88], v[123:124]
	v_fma_f64 v[111:112], v[111:112], v[87:88], -v[89:90]
	scratch_load_b128 v[87:90], off, off offset:384
	v_add_f64_e32 v[6:7], v[6:7], v[125:126]
	v_add_f64_e32 v[2:3], v[2:3], v[127:128]
	v_fma_f64 v[125:126], v[77:78], v[91:92], v[129:130]
	v_fma_f64 v[127:128], v[75:76], v[91:92], -v[93:94]
	ds_load_b128 v[75:78], v1 offset:720
	s_wait_loadcnt_dscnt 0x901
	v_mul_f64_e32 v[123:124], v[119:120], v[97:98]
	v_mul_f64_e32 v[97:98], v[121:122], v[97:98]
	scratch_load_b128 v[91:94], off, off offset:400
	s_wait_loadcnt_dscnt 0x900
	v_mul_f64_e32 v[129:130], v[75:76], v[105:106]
	v_mul_f64_e32 v[105:106], v[77:78], v[105:106]
	v_add_f64_e32 v[6:7], v[6:7], v[113:114]
	v_add_f64_e32 v[2:3], v[2:3], v[111:112]
	ds_load_b128 v[111:114], v1 offset:736
	v_fma_f64 v[121:122], v[121:122], v[95:96], v[123:124]
	v_fma_f64 v[119:120], v[119:120], v[95:96], -v[97:98]
	scratch_load_b128 v[95:98], off, off offset:416
	v_add_f64_e32 v[6:7], v[6:7], v[125:126]
	v_add_f64_e32 v[2:3], v[2:3], v[127:128]
	v_fma_f64 v[125:126], v[77:78], v[103:104], v[129:130]
	v_fma_f64 v[127:128], v[75:76], v[103:104], -v[105:106]
	ds_load_b128 v[75:78], v1 offset:752
	scratch_load_b128 v[103:106], off, off offset:432
	s_wait_loadcnt_dscnt 0x901
	v_mul_f64_e32 v[123:124], v[111:112], v[10:11]
	v_mul_f64_e32 v[10:11], v[113:114], v[10:11]
	v_add_f64_e32 v[6:7], v[6:7], v[121:122]
	v_add_f64_e32 v[2:3], v[2:3], v[119:120]
	ds_load_b128 v[119:122], v1 offset:768
	v_fma_f64 v[113:114], v[113:114], v[8:9], v[123:124]
	v_fma_f64 v[10:11], v[111:112], v[8:9], -v[10:11]
	s_wait_loadcnt_dscnt 0x801
	v_mul_f64_e32 v[129:130], v[75:76], v[117:118]
	v_mul_f64_e32 v[117:118], v[77:78], v[117:118]
	v_add_f64_e32 v[111:112], v[6:7], v[125:126]
	v_add_f64_e32 v[2:3], v[2:3], v[127:128]
	scratch_load_b128 v[6:9], off, off offset:448
	v_fma_f64 v[77:78], v[77:78], v[115:116], v[129:130]
	v_fma_f64 v[127:128], v[75:76], v[115:116], -v[117:118]
	ds_load_b128 v[115:118], v1 offset:800
	s_wait_loadcnt_dscnt 0x801
	v_mul_f64_e32 v[123:124], v[119:120], v[73:74]
	v_mul_f64_e32 v[125:126], v[121:122], v[73:74]
	ds_load_b128 v[73:76], v1 offset:784
	v_add_f64_e32 v[2:3], v[2:3], v[10:11]
	v_add_f64_e32 v[10:11], v[111:112], v[113:114]
	scratch_load_b128 v[111:114], off, off offset:464
	s_wait_loadcnt_dscnt 0x800
	v_mul_f64_e32 v[129:130], v[73:74], v[101:102]
	v_mul_f64_e32 v[101:102], v[75:76], v[101:102]
	v_fma_f64 v[121:122], v[121:122], v[71:72], v[123:124]
	v_fma_f64 v[71:72], v[119:120], v[71:72], -v[125:126]
	v_add_f64_e32 v[2:3], v[2:3], v[127:128]
	v_add_f64_e32 v[10:11], v[10:11], v[77:78]
	s_wait_loadcnt 0x7
	v_mul_f64_e32 v[119:120], v[115:116], v[81:82]
	v_mul_f64_e32 v[81:82], v[117:118], v[81:82]
	v_fma_f64 v[123:124], v[75:76], v[99:100], v[129:130]
	v_fma_f64 v[99:100], v[73:74], v[99:100], -v[101:102]
	v_add_f64_e32 v[2:3], v[2:3], v[71:72]
	v_add_f64_e32 v[10:11], v[10:11], v[121:122]
	ds_load_b128 v[71:74], v1 offset:816
	ds_load_b128 v[75:78], v1 offset:832
	v_fma_f64 v[117:118], v[117:118], v[79:80], v[119:120]
	v_fma_f64 v[79:80], v[115:116], v[79:80], -v[81:82]
	s_wait_loadcnt_dscnt 0x601
	v_mul_f64_e32 v[101:102], v[71:72], v[85:86]
	v_mul_f64_e32 v[85:86], v[73:74], v[85:86]
	v_add_f64_e32 v[2:3], v[2:3], v[99:100]
	v_add_f64_e32 v[10:11], v[10:11], v[123:124]
	s_wait_loadcnt_dscnt 0x500
	v_mul_f64_e32 v[99:100], v[75:76], v[89:90]
	v_mul_f64_e32 v[89:90], v[77:78], v[89:90]
	v_fma_f64 v[101:102], v[73:74], v[83:84], v[101:102]
	v_fma_f64 v[83:84], v[71:72], v[83:84], -v[85:86]
	v_add_f64_e32 v[2:3], v[2:3], v[79:80]
	v_add_f64_e32 v[10:11], v[10:11], v[117:118]
	ds_load_b128 v[71:74], v1 offset:848
	ds_load_b128 v[79:82], v1 offset:864
	v_fma_f64 v[77:78], v[77:78], v[87:88], v[99:100]
	v_fma_f64 v[75:76], v[75:76], v[87:88], -v[89:90]
	s_wait_loadcnt_dscnt 0x401
	v_mul_f64_e32 v[85:86], v[71:72], v[93:94]
	v_mul_f64_e32 v[93:94], v[73:74], v[93:94]
	s_wait_loadcnt_dscnt 0x300
	v_mul_f64_e32 v[87:88], v[81:82], v[97:98]
	v_add_f64_e32 v[2:3], v[2:3], v[83:84]
	v_add_f64_e32 v[10:11], v[10:11], v[101:102]
	v_mul_f64_e32 v[83:84], v[79:80], v[97:98]
	v_fma_f64 v[85:86], v[73:74], v[91:92], v[85:86]
	v_fma_f64 v[89:90], v[71:72], v[91:92], -v[93:94]
	v_fma_f64 v[79:80], v[79:80], v[95:96], -v[87:88]
	v_add_f64_e32 v[2:3], v[2:3], v[75:76]
	v_add_f64_e32 v[10:11], v[10:11], v[77:78]
	ds_load_b128 v[71:74], v1 offset:880
	ds_load_b128 v[75:78], v1 offset:896
	v_fma_f64 v[81:82], v[81:82], v[95:96], v[83:84]
	s_wait_loadcnt_dscnt 0x201
	v_mul_f64_e32 v[91:92], v[71:72], v[105:106]
	v_mul_f64_e32 v[93:94], v[73:74], v[105:106]
	v_add_f64_e32 v[2:3], v[2:3], v[89:90]
	v_add_f64_e32 v[10:11], v[10:11], v[85:86]
	s_wait_loadcnt_dscnt 0x100
	v_mul_f64_e32 v[83:84], v[75:76], v[8:9]
	v_mul_f64_e32 v[85:86], v[77:78], v[8:9]
	v_fma_f64 v[73:74], v[73:74], v[103:104], v[91:92]
	v_fma_f64 v[71:72], v[71:72], v[103:104], -v[93:94]
	v_add_f64_e32 v[2:3], v[2:3], v[79:80]
	v_add_f64_e32 v[79:80], v[10:11], v[81:82]
	ds_load_b128 v[8:11], v1 offset:912
	v_fma_f64 v[77:78], v[77:78], v[6:7], v[83:84]
	v_fma_f64 v[6:7], v[75:76], v[6:7], -v[85:86]
	s_wait_loadcnt_dscnt 0x0
	v_mul_f64_e32 v[81:82], v[8:9], v[113:114]
	v_mul_f64_e32 v[87:88], v[10:11], v[113:114]
	v_add_f64_e32 v[2:3], v[2:3], v[71:72]
	v_add_f64_e32 v[71:72], v[79:80], v[73:74]
	s_delay_alu instid0(VALU_DEP_4) | instskip(NEXT) | instid1(VALU_DEP_4)
	v_fma_f64 v[10:11], v[10:11], v[111:112], v[81:82]
	v_fma_f64 v[8:9], v[8:9], v[111:112], -v[87:88]
	s_delay_alu instid0(VALU_DEP_4) | instskip(NEXT) | instid1(VALU_DEP_4)
	v_add_f64_e32 v[2:3], v[2:3], v[6:7]
	v_add_f64_e32 v[6:7], v[71:72], v[77:78]
	s_delay_alu instid0(VALU_DEP_2) | instskip(NEXT) | instid1(VALU_DEP_2)
	v_add_f64_e32 v[2:3], v[2:3], v[8:9]
	v_add_f64_e32 v[8:9], v[6:7], v[10:11]
	s_delay_alu instid0(VALU_DEP_2) | instskip(NEXT) | instid1(VALU_DEP_2)
	v_add_f64_e64 v[6:7], v[107:108], -v[2:3]
	v_add_f64_e64 v[8:9], v[109:110], -v[8:9]
	scratch_store_b128 off, v[6:9], off offset:128
	v_cmpx_lt_u32_e32 6, v0
	s_cbranch_execz .LBB92_175
; %bb.174:
	scratch_load_b128 v[6:9], off, s5
	v_dual_mov_b32 v2, v1 :: v_dual_mov_b32 v3, v1
	v_mov_b32_e32 v4, v1
	scratch_store_b128 off, v[1:4], off offset:112
	s_wait_loadcnt 0x0
	ds_store_b128 v5, v[6:9]
.LBB92_175:
	s_wait_alu 0xfffe
	s_or_b32 exec_lo, exec_lo, s0
	s_wait_storecnt_dscnt 0x0
	s_barrier_signal -1
	s_barrier_wait -1
	global_inv scope:SCOPE_SE
	s_clause 0x8
	scratch_load_b128 v[6:9], off, off offset:128
	scratch_load_b128 v[71:74], off, off offset:144
	;; [unrolled: 1-line block ×9, first 2 shown]
	ds_load_b128 v[103:106], v1 offset:576
	ds_load_b128 v[107:110], v1 offset:592
	scratch_load_b128 v[111:114], off, off offset:112
	s_mov_b32 s0, exec_lo
	ds_load_b128 v[119:122], v1 offset:624
	s_wait_loadcnt_dscnt 0x902
	v_mul_f64_e32 v[2:3], v[105:106], v[8:9]
	v_mul_f64_e32 v[115:116], v[103:104], v[8:9]
	scratch_load_b128 v[8:11], off, off offset:272
	s_wait_loadcnt_dscnt 0x901
	v_mul_f64_e32 v[123:124], v[107:108], v[73:74]
	v_mul_f64_e32 v[73:74], v[109:110], v[73:74]
	v_fma_f64 v[2:3], v[103:104], v[6:7], -v[2:3]
	v_fma_f64 v[6:7], v[105:106], v[6:7], v[115:116]
	ds_load_b128 v[103:106], v1 offset:608
	scratch_load_b128 v[115:118], off, off offset:288
	v_fma_f64 v[109:110], v[109:110], v[71:72], v[123:124]
	v_fma_f64 v[107:108], v[107:108], v[71:72], -v[73:74]
	scratch_load_b128 v[71:74], off, off offset:304
	s_wait_loadcnt_dscnt 0x901
	v_mul_f64_e32 v[123:124], v[119:120], v[81:82]
	v_mul_f64_e32 v[81:82], v[121:122], v[81:82]
	s_wait_dscnt 0x0
	v_mul_f64_e32 v[125:126], v[103:104], v[77:78]
	v_mul_f64_e32 v[77:78], v[105:106], v[77:78]
	v_add_f64_e32 v[2:3], 0, v[2:3]
	v_add_f64_e32 v[6:7], 0, v[6:7]
	v_fma_f64 v[121:122], v[121:122], v[79:80], v[123:124]
	v_fma_f64 v[119:120], v[119:120], v[79:80], -v[81:82]
	scratch_load_b128 v[79:82], off, off offset:336
	v_fma_f64 v[125:126], v[105:106], v[75:76], v[125:126]
	v_fma_f64 v[127:128], v[103:104], v[75:76], -v[77:78]
	ds_load_b128 v[75:78], v1 offset:640
	scratch_load_b128 v[103:106], off, off offset:320
	v_add_f64_e32 v[2:3], v[2:3], v[107:108]
	v_add_f64_e32 v[6:7], v[6:7], v[109:110]
	ds_load_b128 v[107:110], v1 offset:656
	s_wait_loadcnt_dscnt 0xa01
	v_mul_f64_e32 v[129:130], v[75:76], v[85:86]
	v_mul_f64_e32 v[85:86], v[77:78], v[85:86]
	s_wait_loadcnt_dscnt 0x900
	v_mul_f64_e32 v[123:124], v[107:108], v[89:90]
	v_mul_f64_e32 v[89:90], v[109:110], v[89:90]
	v_add_f64_e32 v[2:3], v[2:3], v[127:128]
	v_add_f64_e32 v[6:7], v[6:7], v[125:126]
	v_fma_f64 v[125:126], v[77:78], v[83:84], v[129:130]
	v_fma_f64 v[127:128], v[75:76], v[83:84], -v[85:86]
	ds_load_b128 v[75:78], v1 offset:672
	scratch_load_b128 v[83:86], off, off offset:352
	v_fma_f64 v[109:110], v[109:110], v[87:88], v[123:124]
	v_fma_f64 v[107:108], v[107:108], v[87:88], -v[89:90]
	scratch_load_b128 v[87:90], off, off offset:368
	v_add_f64_e32 v[2:3], v[2:3], v[119:120]
	v_add_f64_e32 v[6:7], v[6:7], v[121:122]
	ds_load_b128 v[119:122], v1 offset:688
	s_wait_loadcnt_dscnt 0xa01
	v_mul_f64_e32 v[129:130], v[75:76], v[93:94]
	v_mul_f64_e32 v[93:94], v[77:78], v[93:94]
	s_wait_loadcnt_dscnt 0x900
	v_mul_f64_e32 v[123:124], v[119:120], v[97:98]
	v_mul_f64_e32 v[97:98], v[121:122], v[97:98]
	v_add_f64_e32 v[2:3], v[2:3], v[127:128]
	v_add_f64_e32 v[6:7], v[6:7], v[125:126]
	v_fma_f64 v[125:126], v[77:78], v[91:92], v[129:130]
	v_fma_f64 v[127:128], v[75:76], v[91:92], -v[93:94]
	ds_load_b128 v[75:78], v1 offset:704
	scratch_load_b128 v[91:94], off, off offset:384
	v_fma_f64 v[121:122], v[121:122], v[95:96], v[123:124]
	v_fma_f64 v[119:120], v[119:120], v[95:96], -v[97:98]
	scratch_load_b128 v[95:98], off, off offset:400
	v_add_f64_e32 v[2:3], v[2:3], v[107:108]
	v_add_f64_e32 v[6:7], v[6:7], v[109:110]
	ds_load_b128 v[107:110], v1 offset:720
	s_wait_loadcnt_dscnt 0xa01
	v_mul_f64_e32 v[129:130], v[75:76], v[101:102]
	v_mul_f64_e32 v[101:102], v[77:78], v[101:102]
	v_add_f64_e32 v[2:3], v[2:3], v[127:128]
	v_add_f64_e32 v[6:7], v[6:7], v[125:126]
	s_delay_alu instid0(VALU_DEP_4) | instskip(NEXT) | instid1(VALU_DEP_4)
	v_fma_f64 v[125:126], v[77:78], v[99:100], v[129:130]
	v_fma_f64 v[127:128], v[75:76], v[99:100], -v[101:102]
	ds_load_b128 v[75:78], v1 offset:736
	scratch_load_b128 v[99:102], off, off offset:416
	s_wait_loadcnt_dscnt 0x901
	v_mul_f64_e32 v[123:124], v[107:108], v[10:11]
	v_mul_f64_e32 v[10:11], v[109:110], v[10:11]
	v_add_f64_e32 v[2:3], v[2:3], v[119:120]
	v_add_f64_e32 v[6:7], v[6:7], v[121:122]
	ds_load_b128 v[119:122], v1 offset:752
	v_fma_f64 v[109:110], v[109:110], v[8:9], v[123:124]
	s_wait_loadcnt_dscnt 0x801
	v_mul_f64_e32 v[129:130], v[75:76], v[117:118]
	v_mul_f64_e32 v[117:118], v[77:78], v[117:118]
	v_fma_f64 v[10:11], v[107:108], v[8:9], -v[10:11]
	s_wait_loadcnt_dscnt 0x700
	v_mul_f64_e32 v[123:124], v[119:120], v[73:74]
	v_add_f64_e32 v[2:3], v[2:3], v[127:128]
	v_add_f64_e32 v[107:108], v[6:7], v[125:126]
	scratch_load_b128 v[6:9], off, off offset:432
	v_mul_f64_e32 v[125:126], v[121:122], v[73:74]
	v_fma_f64 v[77:78], v[77:78], v[115:116], v[129:130]
	v_fma_f64 v[127:128], v[75:76], v[115:116], -v[117:118]
	ds_load_b128 v[73:76], v1 offset:768
	ds_load_b128 v[115:118], v1 offset:784
	v_fma_f64 v[123:124], v[121:122], v[71:72], v[123:124]
	v_add_f64_e32 v[2:3], v[2:3], v[10:11]
	v_add_f64_e32 v[10:11], v[107:108], v[109:110]
	scratch_load_b128 v[107:110], off, off offset:448
	s_wait_loadcnt_dscnt 0x701
	v_mul_f64_e32 v[129:130], v[73:74], v[105:106]
	v_mul_f64_e32 v[105:106], v[75:76], v[105:106]
	v_fma_f64 v[71:72], v[119:120], v[71:72], -v[125:126]
	scratch_load_b128 v[119:122], off, off offset:464
	s_wait_dscnt 0x0
	v_mul_f64_e32 v[125:126], v[115:116], v[81:82]
	v_mul_f64_e32 v[81:82], v[117:118], v[81:82]
	v_add_f64_e32 v[2:3], v[2:3], v[127:128]
	v_add_f64_e32 v[10:11], v[10:11], v[77:78]
	v_fma_f64 v[127:128], v[75:76], v[103:104], v[129:130]
	v_fma_f64 v[103:104], v[73:74], v[103:104], -v[105:106]
	v_fma_f64 v[117:118], v[117:118], v[79:80], v[125:126]
	v_fma_f64 v[79:80], v[115:116], v[79:80], -v[81:82]
	v_add_f64_e32 v[2:3], v[2:3], v[71:72]
	v_add_f64_e32 v[10:11], v[10:11], v[123:124]
	ds_load_b128 v[71:74], v1 offset:800
	ds_load_b128 v[75:78], v1 offset:816
	s_wait_loadcnt_dscnt 0x701
	v_mul_f64_e32 v[105:106], v[71:72], v[85:86]
	v_mul_f64_e32 v[85:86], v[73:74], v[85:86]
	v_add_f64_e32 v[2:3], v[2:3], v[103:104]
	v_add_f64_e32 v[10:11], v[10:11], v[127:128]
	s_wait_loadcnt_dscnt 0x600
	v_mul_f64_e32 v[103:104], v[75:76], v[89:90]
	v_mul_f64_e32 v[89:90], v[77:78], v[89:90]
	v_fma_f64 v[105:106], v[73:74], v[83:84], v[105:106]
	v_fma_f64 v[83:84], v[71:72], v[83:84], -v[85:86]
	v_add_f64_e32 v[2:3], v[2:3], v[79:80]
	v_add_f64_e32 v[10:11], v[10:11], v[117:118]
	ds_load_b128 v[71:74], v1 offset:832
	ds_load_b128 v[79:82], v1 offset:848
	v_fma_f64 v[77:78], v[77:78], v[87:88], v[103:104]
	v_fma_f64 v[75:76], v[75:76], v[87:88], -v[89:90]
	s_wait_loadcnt_dscnt 0x501
	v_mul_f64_e32 v[85:86], v[71:72], v[93:94]
	v_mul_f64_e32 v[93:94], v[73:74], v[93:94]
	s_wait_loadcnt_dscnt 0x400
	v_mul_f64_e32 v[87:88], v[81:82], v[97:98]
	v_add_f64_e32 v[2:3], v[2:3], v[83:84]
	v_add_f64_e32 v[10:11], v[10:11], v[105:106]
	v_mul_f64_e32 v[83:84], v[79:80], v[97:98]
	v_fma_f64 v[85:86], v[73:74], v[91:92], v[85:86]
	v_fma_f64 v[89:90], v[71:72], v[91:92], -v[93:94]
	v_fma_f64 v[79:80], v[79:80], v[95:96], -v[87:88]
	v_add_f64_e32 v[2:3], v[2:3], v[75:76]
	v_add_f64_e32 v[10:11], v[10:11], v[77:78]
	ds_load_b128 v[71:74], v1 offset:864
	ds_load_b128 v[75:78], v1 offset:880
	v_fma_f64 v[81:82], v[81:82], v[95:96], v[83:84]
	s_wait_loadcnt_dscnt 0x301
	v_mul_f64_e32 v[91:92], v[71:72], v[101:102]
	v_mul_f64_e32 v[93:94], v[73:74], v[101:102]
	v_add_f64_e32 v[2:3], v[2:3], v[89:90]
	v_add_f64_e32 v[10:11], v[10:11], v[85:86]
	s_wait_loadcnt_dscnt 0x200
	v_mul_f64_e32 v[83:84], v[75:76], v[8:9]
	v_mul_f64_e32 v[85:86], v[77:78], v[8:9]
	v_fma_f64 v[73:74], v[73:74], v[99:100], v[91:92]
	v_fma_f64 v[71:72], v[71:72], v[99:100], -v[93:94]
	v_add_f64_e32 v[79:80], v[2:3], v[79:80]
	v_add_f64_e32 v[81:82], v[10:11], v[81:82]
	ds_load_b128 v[8:11], v1 offset:896
	ds_load_b128 v[1:4], v1 offset:912
	v_fma_f64 v[77:78], v[77:78], v[6:7], v[83:84]
	v_fma_f64 v[6:7], v[75:76], v[6:7], -v[85:86]
	s_wait_loadcnt_dscnt 0x101
	v_mul_f64_e32 v[87:88], v[8:9], v[109:110]
	v_mul_f64_e32 v[89:90], v[10:11], v[109:110]
	s_wait_loadcnt_dscnt 0x0
	v_mul_f64_e32 v[75:76], v[1:2], v[121:122]
	v_add_f64_e32 v[71:72], v[79:80], v[71:72]
	v_add_f64_e32 v[73:74], v[81:82], v[73:74]
	v_mul_f64_e32 v[79:80], v[3:4], v[121:122]
	v_fma_f64 v[10:11], v[10:11], v[107:108], v[87:88]
	v_fma_f64 v[8:9], v[8:9], v[107:108], -v[89:90]
	v_fma_f64 v[3:4], v[3:4], v[119:120], v[75:76]
	v_add_f64_e32 v[6:7], v[71:72], v[6:7]
	v_add_f64_e32 v[71:72], v[73:74], v[77:78]
	v_fma_f64 v[1:2], v[1:2], v[119:120], -v[79:80]
	s_delay_alu instid0(VALU_DEP_3) | instskip(NEXT) | instid1(VALU_DEP_3)
	v_add_f64_e32 v[6:7], v[6:7], v[8:9]
	v_add_f64_e32 v[8:9], v[71:72], v[10:11]
	s_delay_alu instid0(VALU_DEP_2) | instskip(NEXT) | instid1(VALU_DEP_2)
	v_add_f64_e32 v[1:2], v[6:7], v[1:2]
	v_add_f64_e32 v[3:4], v[8:9], v[3:4]
	s_delay_alu instid0(VALU_DEP_2) | instskip(NEXT) | instid1(VALU_DEP_2)
	v_add_f64_e64 v[1:2], v[111:112], -v[1:2]
	v_add_f64_e64 v[3:4], v[113:114], -v[3:4]
	scratch_store_b128 off, v[1:4], off offset:112
	v_cmpx_lt_u32_e32 5, v0
	s_cbranch_execz .LBB92_177
; %bb.176:
	scratch_load_b128 v[1:4], off, s23
	v_mov_b32_e32 v6, 0
	s_delay_alu instid0(VALU_DEP_1)
	v_dual_mov_b32 v7, v6 :: v_dual_mov_b32 v8, v6
	v_mov_b32_e32 v9, v6
	scratch_store_b128 off, v[6:9], off offset:96
	s_wait_loadcnt 0x0
	ds_store_b128 v5, v[1:4]
.LBB92_177:
	s_wait_alu 0xfffe
	s_or_b32 exec_lo, exec_lo, s0
	s_wait_storecnt_dscnt 0x0
	s_barrier_signal -1
	s_barrier_wait -1
	global_inv scope:SCOPE_SE
	s_clause 0x7
	scratch_load_b128 v[6:9], off, off offset:112
	scratch_load_b128 v[71:74], off, off offset:128
	;; [unrolled: 1-line block ×8, first 2 shown]
	v_mov_b32_e32 v1, 0
	s_mov_b32 s0, exec_lo
	ds_load_b128 v[99:102], v1 offset:560
	s_clause 0x1
	scratch_load_b128 v[103:106], off, off offset:240
	scratch_load_b128 v[107:110], off, off offset:96
	ds_load_b128 v[111:114], v1 offset:576
	ds_load_b128 v[119:122], v1 offset:608
	s_wait_loadcnt_dscnt 0x902
	v_mul_f64_e32 v[2:3], v[101:102], v[8:9]
	v_mul_f64_e32 v[115:116], v[99:100], v[8:9]
	scratch_load_b128 v[8:11], off, off offset:256
	v_fma_f64 v[2:3], v[99:100], v[6:7], -v[2:3]
	v_fma_f64 v[6:7], v[101:102], v[6:7], v[115:116]
	ds_load_b128 v[99:102], v1 offset:592
	s_wait_loadcnt_dscnt 0x902
	v_mul_f64_e32 v[123:124], v[111:112], v[73:74]
	v_mul_f64_e32 v[73:74], v[113:114], v[73:74]
	scratch_load_b128 v[115:118], off, off offset:272
	s_wait_loadcnt_dscnt 0x900
	v_mul_f64_e32 v[125:126], v[99:100], v[77:78]
	v_mul_f64_e32 v[77:78], v[101:102], v[77:78]
	v_add_f64_e32 v[2:3], 0, v[2:3]
	v_add_f64_e32 v[6:7], 0, v[6:7]
	v_fma_f64 v[113:114], v[113:114], v[71:72], v[123:124]
	v_fma_f64 v[111:112], v[111:112], v[71:72], -v[73:74]
	scratch_load_b128 v[71:74], off, off offset:288
	v_fma_f64 v[125:126], v[101:102], v[75:76], v[125:126]
	v_fma_f64 v[127:128], v[99:100], v[75:76], -v[77:78]
	ds_load_b128 v[75:78], v1 offset:624
	s_wait_loadcnt 0x9
	v_mul_f64_e32 v[123:124], v[119:120], v[81:82]
	v_mul_f64_e32 v[81:82], v[121:122], v[81:82]
	scratch_load_b128 v[99:102], off, off offset:304
	v_add_f64_e32 v[6:7], v[6:7], v[113:114]
	v_add_f64_e32 v[2:3], v[2:3], v[111:112]
	ds_load_b128 v[111:114], v1 offset:640
	s_wait_loadcnt_dscnt 0x901
	v_mul_f64_e32 v[129:130], v[75:76], v[85:86]
	v_mul_f64_e32 v[85:86], v[77:78], v[85:86]
	v_fma_f64 v[121:122], v[121:122], v[79:80], v[123:124]
	v_fma_f64 v[119:120], v[119:120], v[79:80], -v[81:82]
	scratch_load_b128 v[79:82], off, off offset:320
	v_add_f64_e32 v[6:7], v[6:7], v[125:126]
	v_add_f64_e32 v[2:3], v[2:3], v[127:128]
	v_fma_f64 v[125:126], v[77:78], v[83:84], v[129:130]
	v_fma_f64 v[127:128], v[75:76], v[83:84], -v[85:86]
	ds_load_b128 v[75:78], v1 offset:656
	s_wait_loadcnt_dscnt 0x901
	v_mul_f64_e32 v[123:124], v[111:112], v[89:90]
	v_mul_f64_e32 v[89:90], v[113:114], v[89:90]
	scratch_load_b128 v[83:86], off, off offset:336
	s_wait_loadcnt_dscnt 0x900
	v_mul_f64_e32 v[129:130], v[75:76], v[93:94]
	v_mul_f64_e32 v[93:94], v[77:78], v[93:94]
	v_add_f64_e32 v[6:7], v[6:7], v[121:122]
	v_add_f64_e32 v[2:3], v[2:3], v[119:120]
	ds_load_b128 v[119:122], v1 offset:672
	v_fma_f64 v[113:114], v[113:114], v[87:88], v[123:124]
	v_fma_f64 v[111:112], v[111:112], v[87:88], -v[89:90]
	scratch_load_b128 v[87:90], off, off offset:352
	v_add_f64_e32 v[6:7], v[6:7], v[125:126]
	v_add_f64_e32 v[2:3], v[2:3], v[127:128]
	v_fma_f64 v[125:126], v[77:78], v[91:92], v[129:130]
	v_fma_f64 v[127:128], v[75:76], v[91:92], -v[93:94]
	ds_load_b128 v[75:78], v1 offset:688
	s_wait_loadcnt_dscnt 0x901
	v_mul_f64_e32 v[123:124], v[119:120], v[97:98]
	v_mul_f64_e32 v[97:98], v[121:122], v[97:98]
	scratch_load_b128 v[91:94], off, off offset:368
	s_wait_loadcnt_dscnt 0x900
	v_mul_f64_e32 v[129:130], v[75:76], v[105:106]
	v_mul_f64_e32 v[105:106], v[77:78], v[105:106]
	v_add_f64_e32 v[6:7], v[6:7], v[113:114]
	v_add_f64_e32 v[2:3], v[2:3], v[111:112]
	ds_load_b128 v[111:114], v1 offset:704
	v_fma_f64 v[121:122], v[121:122], v[95:96], v[123:124]
	v_fma_f64 v[119:120], v[119:120], v[95:96], -v[97:98]
	scratch_load_b128 v[95:98], off, off offset:384
	v_add_f64_e32 v[6:7], v[6:7], v[125:126]
	v_add_f64_e32 v[2:3], v[2:3], v[127:128]
	v_fma_f64 v[125:126], v[77:78], v[103:104], v[129:130]
	v_fma_f64 v[127:128], v[75:76], v[103:104], -v[105:106]
	ds_load_b128 v[75:78], v1 offset:720
	scratch_load_b128 v[103:106], off, off offset:400
	s_wait_loadcnt_dscnt 0x901
	v_mul_f64_e32 v[123:124], v[111:112], v[10:11]
	v_mul_f64_e32 v[10:11], v[113:114], v[10:11]
	v_add_f64_e32 v[6:7], v[6:7], v[121:122]
	v_add_f64_e32 v[2:3], v[2:3], v[119:120]
	ds_load_b128 v[119:122], v1 offset:736
	v_fma_f64 v[113:114], v[113:114], v[8:9], v[123:124]
	v_fma_f64 v[10:11], v[111:112], v[8:9], -v[10:11]
	s_wait_loadcnt_dscnt 0x801
	v_mul_f64_e32 v[129:130], v[75:76], v[117:118]
	v_mul_f64_e32 v[117:118], v[77:78], v[117:118]
	v_add_f64_e32 v[111:112], v[6:7], v[125:126]
	v_add_f64_e32 v[2:3], v[2:3], v[127:128]
	scratch_load_b128 v[6:9], off, off offset:416
	v_fma_f64 v[77:78], v[77:78], v[115:116], v[129:130]
	v_fma_f64 v[127:128], v[75:76], v[115:116], -v[117:118]
	ds_load_b128 v[115:118], v1 offset:768
	s_wait_loadcnt_dscnt 0x801
	v_mul_f64_e32 v[123:124], v[119:120], v[73:74]
	v_mul_f64_e32 v[125:126], v[121:122], v[73:74]
	ds_load_b128 v[73:76], v1 offset:752
	v_add_f64_e32 v[2:3], v[2:3], v[10:11]
	v_add_f64_e32 v[10:11], v[111:112], v[113:114]
	scratch_load_b128 v[111:114], off, off offset:432
	s_wait_loadcnt_dscnt 0x800
	v_mul_f64_e32 v[129:130], v[73:74], v[101:102]
	v_mul_f64_e32 v[101:102], v[75:76], v[101:102]
	v_fma_f64 v[123:124], v[121:122], v[71:72], v[123:124]
	v_fma_f64 v[71:72], v[119:120], v[71:72], -v[125:126]
	scratch_load_b128 v[119:122], off, off offset:448
	v_add_f64_e32 v[2:3], v[2:3], v[127:128]
	v_add_f64_e32 v[10:11], v[10:11], v[77:78]
	s_wait_loadcnt 0x8
	v_mul_f64_e32 v[125:126], v[115:116], v[81:82]
	v_mul_f64_e32 v[81:82], v[117:118], v[81:82]
	v_fma_f64 v[127:128], v[75:76], v[99:100], v[129:130]
	v_fma_f64 v[129:130], v[73:74], v[99:100], -v[101:102]
	scratch_load_b128 v[75:78], off, off offset:464
	ds_load_b128 v[99:102], v1 offset:800
	v_add_f64_e32 v[2:3], v[2:3], v[71:72]
	v_add_f64_e32 v[10:11], v[10:11], v[123:124]
	ds_load_b128 v[71:74], v1 offset:784
	v_fma_f64 v[117:118], v[117:118], v[79:80], v[125:126]
	v_fma_f64 v[79:80], v[115:116], v[79:80], -v[81:82]
	s_wait_loadcnt_dscnt 0x800
	v_mul_f64_e32 v[123:124], v[71:72], v[85:86]
	v_mul_f64_e32 v[85:86], v[73:74], v[85:86]
	s_wait_loadcnt 0x7
	v_mul_f64_e32 v[115:116], v[99:100], v[89:90]
	v_mul_f64_e32 v[89:90], v[101:102], v[89:90]
	v_add_f64_e32 v[2:3], v[2:3], v[129:130]
	v_add_f64_e32 v[10:11], v[10:11], v[127:128]
	v_fma_f64 v[123:124], v[73:74], v[83:84], v[123:124]
	v_fma_f64 v[83:84], v[71:72], v[83:84], -v[85:86]
	v_fma_f64 v[101:102], v[101:102], v[87:88], v[115:116]
	v_fma_f64 v[87:88], v[99:100], v[87:88], -v[89:90]
	v_add_f64_e32 v[2:3], v[2:3], v[79:80]
	v_add_f64_e32 v[10:11], v[10:11], v[117:118]
	ds_load_b128 v[71:74], v1 offset:816
	ds_load_b128 v[79:82], v1 offset:832
	s_wait_loadcnt_dscnt 0x601
	v_mul_f64_e32 v[85:86], v[71:72], v[93:94]
	v_mul_f64_e32 v[93:94], v[73:74], v[93:94]
	s_wait_loadcnt_dscnt 0x500
	v_mul_f64_e32 v[89:90], v[79:80], v[97:98]
	v_mul_f64_e32 v[97:98], v[81:82], v[97:98]
	v_add_f64_e32 v[2:3], v[2:3], v[83:84]
	v_add_f64_e32 v[10:11], v[10:11], v[123:124]
	v_fma_f64 v[99:100], v[73:74], v[91:92], v[85:86]
	v_fma_f64 v[91:92], v[71:72], v[91:92], -v[93:94]
	ds_load_b128 v[71:74], v1 offset:848
	ds_load_b128 v[83:86], v1 offset:864
	v_fma_f64 v[81:82], v[81:82], v[95:96], v[89:90]
	v_fma_f64 v[79:80], v[79:80], v[95:96], -v[97:98]
	v_add_f64_e32 v[2:3], v[2:3], v[87:88]
	v_add_f64_e32 v[10:11], v[10:11], v[101:102]
	s_wait_loadcnt_dscnt 0x401
	v_mul_f64_e32 v[87:88], v[71:72], v[105:106]
	v_mul_f64_e32 v[93:94], v[73:74], v[105:106]
	s_delay_alu instid0(VALU_DEP_4) | instskip(NEXT) | instid1(VALU_DEP_4)
	v_add_f64_e32 v[2:3], v[2:3], v[91:92]
	v_add_f64_e32 v[10:11], v[10:11], v[99:100]
	s_delay_alu instid0(VALU_DEP_4) | instskip(NEXT) | instid1(VALU_DEP_4)
	v_fma_f64 v[87:88], v[73:74], v[103:104], v[87:88]
	v_fma_f64 v[93:94], v[71:72], v[103:104], -v[93:94]
	s_wait_loadcnt_dscnt 0x300
	v_mul_f64_e32 v[89:90], v[83:84], v[8:9]
	v_mul_f64_e32 v[91:92], v[85:86], v[8:9]
	v_add_f64_e32 v[2:3], v[2:3], v[79:80]
	v_add_f64_e32 v[79:80], v[10:11], v[81:82]
	ds_load_b128 v[8:11], v1 offset:880
	ds_load_b128 v[71:74], v1 offset:896
	v_fma_f64 v[85:86], v[85:86], v[6:7], v[89:90]
	v_fma_f64 v[6:7], v[83:84], v[6:7], -v[91:92]
	s_wait_loadcnt_dscnt 0x201
	v_mul_f64_e32 v[81:82], v[8:9], v[113:114]
	v_mul_f64_e32 v[95:96], v[10:11], v[113:114]
	s_wait_loadcnt_dscnt 0x100
	v_mul_f64_e32 v[83:84], v[71:72], v[121:122]
	v_add_f64_e32 v[2:3], v[2:3], v[93:94]
	v_add_f64_e32 v[79:80], v[79:80], v[87:88]
	v_mul_f64_e32 v[87:88], v[73:74], v[121:122]
	v_fma_f64 v[10:11], v[10:11], v[111:112], v[81:82]
	v_fma_f64 v[81:82], v[8:9], v[111:112], -v[95:96]
	v_fma_f64 v[73:74], v[73:74], v[119:120], v[83:84]
	v_add_f64_e32 v[2:3], v[2:3], v[6:7]
	v_add_f64_e32 v[79:80], v[79:80], v[85:86]
	ds_load_b128 v[6:9], v1 offset:912
	v_fma_f64 v[71:72], v[71:72], v[119:120], -v[87:88]
	s_wait_loadcnt_dscnt 0x0
	v_mul_f64_e32 v[85:86], v[6:7], v[77:78]
	v_mul_f64_e32 v[77:78], v[8:9], v[77:78]
	v_add_f64_e32 v[2:3], v[2:3], v[81:82]
	v_add_f64_e32 v[10:11], v[79:80], v[10:11]
	s_delay_alu instid0(VALU_DEP_4) | instskip(NEXT) | instid1(VALU_DEP_4)
	v_fma_f64 v[8:9], v[8:9], v[75:76], v[85:86]
	v_fma_f64 v[6:7], v[6:7], v[75:76], -v[77:78]
	s_delay_alu instid0(VALU_DEP_4) | instskip(NEXT) | instid1(VALU_DEP_4)
	v_add_f64_e32 v[2:3], v[2:3], v[71:72]
	v_add_f64_e32 v[10:11], v[10:11], v[73:74]
	s_delay_alu instid0(VALU_DEP_2) | instskip(NEXT) | instid1(VALU_DEP_2)
	v_add_f64_e32 v[2:3], v[2:3], v[6:7]
	v_add_f64_e32 v[8:9], v[10:11], v[8:9]
	s_delay_alu instid0(VALU_DEP_2) | instskip(NEXT) | instid1(VALU_DEP_2)
	v_add_f64_e64 v[6:7], v[107:108], -v[2:3]
	v_add_f64_e64 v[8:9], v[109:110], -v[8:9]
	scratch_store_b128 off, v[6:9], off offset:96
	v_cmpx_lt_u32_e32 4, v0
	s_cbranch_execz .LBB92_179
; %bb.178:
	scratch_load_b128 v[6:9], off, s4
	v_dual_mov_b32 v2, v1 :: v_dual_mov_b32 v3, v1
	v_mov_b32_e32 v4, v1
	scratch_store_b128 off, v[1:4], off offset:80
	s_wait_loadcnt 0x0
	ds_store_b128 v5, v[6:9]
.LBB92_179:
	s_wait_alu 0xfffe
	s_or_b32 exec_lo, exec_lo, s0
	s_wait_storecnt_dscnt 0x0
	s_barrier_signal -1
	s_barrier_wait -1
	global_inv scope:SCOPE_SE
	s_clause 0x8
	scratch_load_b128 v[6:9], off, off offset:96
	scratch_load_b128 v[71:74], off, off offset:112
	;; [unrolled: 1-line block ×9, first 2 shown]
	ds_load_b128 v[103:106], v1 offset:544
	ds_load_b128 v[107:110], v1 offset:560
	scratch_load_b128 v[111:114], off, off offset:80
	s_mov_b32 s0, exec_lo
	ds_load_b128 v[119:122], v1 offset:592
	s_wait_loadcnt_dscnt 0x902
	v_mul_f64_e32 v[2:3], v[105:106], v[8:9]
	v_mul_f64_e32 v[115:116], v[103:104], v[8:9]
	scratch_load_b128 v[8:11], off, off offset:240
	s_wait_loadcnt_dscnt 0x901
	v_mul_f64_e32 v[123:124], v[107:108], v[73:74]
	v_mul_f64_e32 v[73:74], v[109:110], v[73:74]
	v_fma_f64 v[2:3], v[103:104], v[6:7], -v[2:3]
	v_fma_f64 v[6:7], v[105:106], v[6:7], v[115:116]
	ds_load_b128 v[103:106], v1 offset:576
	scratch_load_b128 v[115:118], off, off offset:256
	v_fma_f64 v[109:110], v[109:110], v[71:72], v[123:124]
	v_fma_f64 v[107:108], v[107:108], v[71:72], -v[73:74]
	scratch_load_b128 v[71:74], off, off offset:272
	s_wait_loadcnt_dscnt 0x901
	v_mul_f64_e32 v[123:124], v[119:120], v[81:82]
	v_mul_f64_e32 v[81:82], v[121:122], v[81:82]
	s_wait_dscnt 0x0
	v_mul_f64_e32 v[125:126], v[103:104], v[77:78]
	v_mul_f64_e32 v[77:78], v[105:106], v[77:78]
	v_add_f64_e32 v[2:3], 0, v[2:3]
	v_add_f64_e32 v[6:7], 0, v[6:7]
	v_fma_f64 v[121:122], v[121:122], v[79:80], v[123:124]
	v_fma_f64 v[119:120], v[119:120], v[79:80], -v[81:82]
	scratch_load_b128 v[79:82], off, off offset:304
	v_fma_f64 v[125:126], v[105:106], v[75:76], v[125:126]
	v_fma_f64 v[127:128], v[103:104], v[75:76], -v[77:78]
	ds_load_b128 v[75:78], v1 offset:608
	scratch_load_b128 v[103:106], off, off offset:288
	v_add_f64_e32 v[2:3], v[2:3], v[107:108]
	v_add_f64_e32 v[6:7], v[6:7], v[109:110]
	ds_load_b128 v[107:110], v1 offset:624
	s_wait_loadcnt_dscnt 0xa01
	v_mul_f64_e32 v[129:130], v[75:76], v[85:86]
	v_mul_f64_e32 v[85:86], v[77:78], v[85:86]
	s_wait_loadcnt_dscnt 0x900
	v_mul_f64_e32 v[123:124], v[107:108], v[89:90]
	v_mul_f64_e32 v[89:90], v[109:110], v[89:90]
	v_add_f64_e32 v[2:3], v[2:3], v[127:128]
	v_add_f64_e32 v[6:7], v[6:7], v[125:126]
	v_fma_f64 v[125:126], v[77:78], v[83:84], v[129:130]
	v_fma_f64 v[127:128], v[75:76], v[83:84], -v[85:86]
	ds_load_b128 v[75:78], v1 offset:640
	scratch_load_b128 v[83:86], off, off offset:320
	v_fma_f64 v[109:110], v[109:110], v[87:88], v[123:124]
	v_fma_f64 v[107:108], v[107:108], v[87:88], -v[89:90]
	scratch_load_b128 v[87:90], off, off offset:336
	v_add_f64_e32 v[2:3], v[2:3], v[119:120]
	v_add_f64_e32 v[6:7], v[6:7], v[121:122]
	ds_load_b128 v[119:122], v1 offset:656
	s_wait_loadcnt_dscnt 0xa01
	v_mul_f64_e32 v[129:130], v[75:76], v[93:94]
	v_mul_f64_e32 v[93:94], v[77:78], v[93:94]
	s_wait_loadcnt_dscnt 0x900
	v_mul_f64_e32 v[123:124], v[119:120], v[97:98]
	v_mul_f64_e32 v[97:98], v[121:122], v[97:98]
	v_add_f64_e32 v[2:3], v[2:3], v[127:128]
	v_add_f64_e32 v[6:7], v[6:7], v[125:126]
	v_fma_f64 v[125:126], v[77:78], v[91:92], v[129:130]
	v_fma_f64 v[127:128], v[75:76], v[91:92], -v[93:94]
	ds_load_b128 v[75:78], v1 offset:672
	scratch_load_b128 v[91:94], off, off offset:352
	v_fma_f64 v[121:122], v[121:122], v[95:96], v[123:124]
	v_fma_f64 v[119:120], v[119:120], v[95:96], -v[97:98]
	scratch_load_b128 v[95:98], off, off offset:368
	v_add_f64_e32 v[2:3], v[2:3], v[107:108]
	v_add_f64_e32 v[6:7], v[6:7], v[109:110]
	ds_load_b128 v[107:110], v1 offset:688
	s_wait_loadcnt_dscnt 0xa01
	v_mul_f64_e32 v[129:130], v[75:76], v[101:102]
	v_mul_f64_e32 v[101:102], v[77:78], v[101:102]
	v_add_f64_e32 v[2:3], v[2:3], v[127:128]
	v_add_f64_e32 v[6:7], v[6:7], v[125:126]
	s_delay_alu instid0(VALU_DEP_4) | instskip(NEXT) | instid1(VALU_DEP_4)
	v_fma_f64 v[125:126], v[77:78], v[99:100], v[129:130]
	v_fma_f64 v[127:128], v[75:76], v[99:100], -v[101:102]
	ds_load_b128 v[75:78], v1 offset:704
	scratch_load_b128 v[99:102], off, off offset:384
	s_wait_loadcnt_dscnt 0x901
	v_mul_f64_e32 v[123:124], v[107:108], v[10:11]
	v_mul_f64_e32 v[10:11], v[109:110], v[10:11]
	v_add_f64_e32 v[2:3], v[2:3], v[119:120]
	v_add_f64_e32 v[6:7], v[6:7], v[121:122]
	ds_load_b128 v[119:122], v1 offset:720
	v_fma_f64 v[109:110], v[109:110], v[8:9], v[123:124]
	s_wait_loadcnt_dscnt 0x801
	v_mul_f64_e32 v[129:130], v[75:76], v[117:118]
	v_mul_f64_e32 v[117:118], v[77:78], v[117:118]
	v_fma_f64 v[10:11], v[107:108], v[8:9], -v[10:11]
	s_wait_loadcnt_dscnt 0x700
	v_mul_f64_e32 v[123:124], v[119:120], v[73:74]
	v_add_f64_e32 v[2:3], v[2:3], v[127:128]
	v_add_f64_e32 v[107:108], v[6:7], v[125:126]
	scratch_load_b128 v[6:9], off, off offset:400
	v_mul_f64_e32 v[125:126], v[121:122], v[73:74]
	v_fma_f64 v[77:78], v[77:78], v[115:116], v[129:130]
	v_fma_f64 v[127:128], v[75:76], v[115:116], -v[117:118]
	ds_load_b128 v[73:76], v1 offset:736
	ds_load_b128 v[115:118], v1 offset:752
	v_fma_f64 v[123:124], v[121:122], v[71:72], v[123:124]
	v_add_f64_e32 v[2:3], v[2:3], v[10:11]
	v_add_f64_e32 v[10:11], v[107:108], v[109:110]
	scratch_load_b128 v[107:110], off, off offset:416
	s_wait_loadcnt_dscnt 0x701
	v_mul_f64_e32 v[129:130], v[73:74], v[105:106]
	v_mul_f64_e32 v[105:106], v[75:76], v[105:106]
	v_fma_f64 v[71:72], v[119:120], v[71:72], -v[125:126]
	scratch_load_b128 v[119:122], off, off offset:432
	s_wait_dscnt 0x0
	v_mul_f64_e32 v[125:126], v[115:116], v[81:82]
	v_mul_f64_e32 v[81:82], v[117:118], v[81:82]
	v_add_f64_e32 v[2:3], v[2:3], v[127:128]
	v_add_f64_e32 v[10:11], v[10:11], v[77:78]
	v_fma_f64 v[127:128], v[75:76], v[103:104], v[129:130]
	v_fma_f64 v[129:130], v[73:74], v[103:104], -v[105:106]
	scratch_load_b128 v[75:78], off, off offset:448
	ds_load_b128 v[103:106], v1 offset:784
	v_fma_f64 v[117:118], v[117:118], v[79:80], v[125:126]
	v_fma_f64 v[115:116], v[115:116], v[79:80], -v[81:82]
	scratch_load_b128 v[79:82], off, off offset:464
	v_add_f64_e32 v[2:3], v[2:3], v[71:72]
	v_add_f64_e32 v[10:11], v[10:11], v[123:124]
	ds_load_b128 v[71:74], v1 offset:768
	s_wait_loadcnt_dscnt 0x801
	v_mul_f64_e32 v[125:126], v[103:104], v[89:90]
	v_mul_f64_e32 v[89:90], v[105:106], v[89:90]
	s_wait_dscnt 0x0
	v_mul_f64_e32 v[123:124], v[71:72], v[85:86]
	v_mul_f64_e32 v[85:86], v[73:74], v[85:86]
	v_add_f64_e32 v[2:3], v[2:3], v[129:130]
	v_add_f64_e32 v[10:11], v[10:11], v[127:128]
	v_fma_f64 v[105:106], v[105:106], v[87:88], v[125:126]
	v_fma_f64 v[87:88], v[103:104], v[87:88], -v[89:90]
	v_fma_f64 v[123:124], v[73:74], v[83:84], v[123:124]
	v_fma_f64 v[127:128], v[71:72], v[83:84], -v[85:86]
	ds_load_b128 v[71:74], v1 offset:800
	ds_load_b128 v[83:86], v1 offset:816
	v_add_f64_e32 v[2:3], v[2:3], v[115:116]
	v_add_f64_e32 v[10:11], v[10:11], v[117:118]
	s_wait_loadcnt_dscnt 0x701
	v_mul_f64_e32 v[115:116], v[71:72], v[93:94]
	v_mul_f64_e32 v[93:94], v[73:74], v[93:94]
	s_wait_loadcnt_dscnt 0x600
	v_mul_f64_e32 v[103:104], v[83:84], v[97:98]
	v_mul_f64_e32 v[97:98], v[85:86], v[97:98]
	v_add_f64_e32 v[2:3], v[2:3], v[127:128]
	v_add_f64_e32 v[10:11], v[10:11], v[123:124]
	v_fma_f64 v[115:116], v[73:74], v[91:92], v[115:116]
	v_fma_f64 v[91:92], v[71:72], v[91:92], -v[93:94]
	v_fma_f64 v[85:86], v[85:86], v[95:96], v[103:104]
	v_fma_f64 v[83:84], v[83:84], v[95:96], -v[97:98]
	v_add_f64_e32 v[2:3], v[2:3], v[87:88]
	v_add_f64_e32 v[10:11], v[10:11], v[105:106]
	ds_load_b128 v[71:74], v1 offset:832
	ds_load_b128 v[87:90], v1 offset:848
	s_wait_loadcnt_dscnt 0x501
	v_mul_f64_e32 v[93:94], v[71:72], v[101:102]
	v_mul_f64_e32 v[101:102], v[73:74], v[101:102]
	v_add_f64_e32 v[2:3], v[2:3], v[91:92]
	v_add_f64_e32 v[10:11], v[10:11], v[115:116]
	s_wait_loadcnt_dscnt 0x400
	v_mul_f64_e32 v[91:92], v[87:88], v[8:9]
	v_mul_f64_e32 v[95:96], v[89:90], v[8:9]
	v_fma_f64 v[93:94], v[73:74], v[99:100], v[93:94]
	v_fma_f64 v[97:98], v[71:72], v[99:100], -v[101:102]
	v_add_f64_e32 v[2:3], v[2:3], v[83:84]
	v_add_f64_e32 v[83:84], v[10:11], v[85:86]
	ds_load_b128 v[8:11], v1 offset:864
	ds_load_b128 v[71:74], v1 offset:880
	v_fma_f64 v[89:90], v[89:90], v[6:7], v[91:92]
	v_fma_f64 v[6:7], v[87:88], v[6:7], -v[95:96]
	s_wait_loadcnt_dscnt 0x301
	v_mul_f64_e32 v[85:86], v[8:9], v[109:110]
	v_mul_f64_e32 v[99:100], v[10:11], v[109:110]
	s_wait_loadcnt_dscnt 0x200
	v_mul_f64_e32 v[87:88], v[71:72], v[121:122]
	v_mul_f64_e32 v[91:92], v[73:74], v[121:122]
	v_add_f64_e32 v[2:3], v[2:3], v[97:98]
	v_add_f64_e32 v[83:84], v[83:84], v[93:94]
	v_fma_f64 v[10:11], v[10:11], v[107:108], v[85:86]
	v_fma_f64 v[85:86], v[8:9], v[107:108], -v[99:100]
	v_fma_f64 v[73:74], v[73:74], v[119:120], v[87:88]
	v_fma_f64 v[71:72], v[71:72], v[119:120], -v[91:92]
	v_add_f64_e32 v[93:94], v[2:3], v[6:7]
	v_add_f64_e32 v[83:84], v[83:84], v[89:90]
	ds_load_b128 v[6:9], v1 offset:896
	ds_load_b128 v[1:4], v1 offset:912
	s_wait_loadcnt_dscnt 0x101
	v_mul_f64_e32 v[89:90], v[6:7], v[77:78]
	v_mul_f64_e32 v[77:78], v[8:9], v[77:78]
	v_add_f64_e32 v[85:86], v[93:94], v[85:86]
	v_add_f64_e32 v[10:11], v[83:84], v[10:11]
	s_wait_loadcnt_dscnt 0x0
	v_mul_f64_e32 v[83:84], v[1:2], v[81:82]
	v_mul_f64_e32 v[81:82], v[3:4], v[81:82]
	v_fma_f64 v[8:9], v[8:9], v[75:76], v[89:90]
	v_fma_f64 v[6:7], v[6:7], v[75:76], -v[77:78]
	v_add_f64_e32 v[71:72], v[85:86], v[71:72]
	v_add_f64_e32 v[10:11], v[10:11], v[73:74]
	v_fma_f64 v[3:4], v[3:4], v[79:80], v[83:84]
	v_fma_f64 v[1:2], v[1:2], v[79:80], -v[81:82]
	s_delay_alu instid0(VALU_DEP_4) | instskip(NEXT) | instid1(VALU_DEP_4)
	v_add_f64_e32 v[6:7], v[71:72], v[6:7]
	v_add_f64_e32 v[8:9], v[10:11], v[8:9]
	s_delay_alu instid0(VALU_DEP_2) | instskip(NEXT) | instid1(VALU_DEP_2)
	v_add_f64_e32 v[1:2], v[6:7], v[1:2]
	v_add_f64_e32 v[3:4], v[8:9], v[3:4]
	s_delay_alu instid0(VALU_DEP_2) | instskip(NEXT) | instid1(VALU_DEP_2)
	v_add_f64_e64 v[1:2], v[111:112], -v[1:2]
	v_add_f64_e64 v[3:4], v[113:114], -v[3:4]
	scratch_store_b128 off, v[1:4], off offset:80
	v_cmpx_lt_u32_e32 3, v0
	s_cbranch_execz .LBB92_181
; %bb.180:
	scratch_load_b128 v[1:4], off, s22
	v_mov_b32_e32 v6, 0
	s_delay_alu instid0(VALU_DEP_1)
	v_dual_mov_b32 v7, v6 :: v_dual_mov_b32 v8, v6
	v_mov_b32_e32 v9, v6
	scratch_store_b128 off, v[6:9], off offset:64
	s_wait_loadcnt 0x0
	ds_store_b128 v5, v[1:4]
.LBB92_181:
	s_wait_alu 0xfffe
	s_or_b32 exec_lo, exec_lo, s0
	s_wait_storecnt_dscnt 0x0
	s_barrier_signal -1
	s_barrier_wait -1
	global_inv scope:SCOPE_SE
	s_clause 0x7
	scratch_load_b128 v[6:9], off, off offset:80
	scratch_load_b128 v[71:74], off, off offset:96
	;; [unrolled: 1-line block ×8, first 2 shown]
	v_mov_b32_e32 v1, 0
	s_mov_b32 s0, exec_lo
	ds_load_b128 v[99:102], v1 offset:528
	s_clause 0x1
	scratch_load_b128 v[103:106], off, off offset:208
	scratch_load_b128 v[107:110], off, off offset:64
	ds_load_b128 v[111:114], v1 offset:544
	ds_load_b128 v[119:122], v1 offset:576
	s_wait_loadcnt_dscnt 0x902
	v_mul_f64_e32 v[2:3], v[101:102], v[8:9]
	v_mul_f64_e32 v[115:116], v[99:100], v[8:9]
	scratch_load_b128 v[8:11], off, off offset:224
	v_fma_f64 v[2:3], v[99:100], v[6:7], -v[2:3]
	v_fma_f64 v[6:7], v[101:102], v[6:7], v[115:116]
	ds_load_b128 v[99:102], v1 offset:560
	s_wait_loadcnt_dscnt 0x902
	v_mul_f64_e32 v[123:124], v[111:112], v[73:74]
	v_mul_f64_e32 v[73:74], v[113:114], v[73:74]
	scratch_load_b128 v[115:118], off, off offset:240
	s_wait_loadcnt_dscnt 0x900
	v_mul_f64_e32 v[125:126], v[99:100], v[77:78]
	v_mul_f64_e32 v[77:78], v[101:102], v[77:78]
	v_add_f64_e32 v[2:3], 0, v[2:3]
	v_add_f64_e32 v[6:7], 0, v[6:7]
	v_fma_f64 v[113:114], v[113:114], v[71:72], v[123:124]
	v_fma_f64 v[111:112], v[111:112], v[71:72], -v[73:74]
	scratch_load_b128 v[71:74], off, off offset:256
	v_fma_f64 v[125:126], v[101:102], v[75:76], v[125:126]
	v_fma_f64 v[127:128], v[99:100], v[75:76], -v[77:78]
	ds_load_b128 v[75:78], v1 offset:592
	s_wait_loadcnt 0x9
	v_mul_f64_e32 v[123:124], v[119:120], v[81:82]
	v_mul_f64_e32 v[81:82], v[121:122], v[81:82]
	scratch_load_b128 v[99:102], off, off offset:272
	v_add_f64_e32 v[6:7], v[6:7], v[113:114]
	v_add_f64_e32 v[2:3], v[2:3], v[111:112]
	ds_load_b128 v[111:114], v1 offset:608
	s_wait_loadcnt_dscnt 0x901
	v_mul_f64_e32 v[129:130], v[75:76], v[85:86]
	v_mul_f64_e32 v[85:86], v[77:78], v[85:86]
	v_fma_f64 v[121:122], v[121:122], v[79:80], v[123:124]
	v_fma_f64 v[119:120], v[119:120], v[79:80], -v[81:82]
	scratch_load_b128 v[79:82], off, off offset:288
	v_add_f64_e32 v[6:7], v[6:7], v[125:126]
	v_add_f64_e32 v[2:3], v[2:3], v[127:128]
	v_fma_f64 v[125:126], v[77:78], v[83:84], v[129:130]
	v_fma_f64 v[127:128], v[75:76], v[83:84], -v[85:86]
	ds_load_b128 v[75:78], v1 offset:624
	s_wait_loadcnt_dscnt 0x901
	v_mul_f64_e32 v[123:124], v[111:112], v[89:90]
	v_mul_f64_e32 v[89:90], v[113:114], v[89:90]
	scratch_load_b128 v[83:86], off, off offset:304
	s_wait_loadcnt_dscnt 0x900
	v_mul_f64_e32 v[129:130], v[75:76], v[93:94]
	v_mul_f64_e32 v[93:94], v[77:78], v[93:94]
	v_add_f64_e32 v[6:7], v[6:7], v[121:122]
	v_add_f64_e32 v[2:3], v[2:3], v[119:120]
	ds_load_b128 v[119:122], v1 offset:640
	v_fma_f64 v[113:114], v[113:114], v[87:88], v[123:124]
	v_fma_f64 v[111:112], v[111:112], v[87:88], -v[89:90]
	scratch_load_b128 v[87:90], off, off offset:320
	v_add_f64_e32 v[6:7], v[6:7], v[125:126]
	v_add_f64_e32 v[2:3], v[2:3], v[127:128]
	v_fma_f64 v[125:126], v[77:78], v[91:92], v[129:130]
	v_fma_f64 v[127:128], v[75:76], v[91:92], -v[93:94]
	ds_load_b128 v[75:78], v1 offset:656
	s_wait_loadcnt_dscnt 0x901
	v_mul_f64_e32 v[123:124], v[119:120], v[97:98]
	v_mul_f64_e32 v[97:98], v[121:122], v[97:98]
	scratch_load_b128 v[91:94], off, off offset:336
	s_wait_loadcnt_dscnt 0x900
	v_mul_f64_e32 v[129:130], v[75:76], v[105:106]
	v_mul_f64_e32 v[105:106], v[77:78], v[105:106]
	v_add_f64_e32 v[6:7], v[6:7], v[113:114]
	v_add_f64_e32 v[2:3], v[2:3], v[111:112]
	ds_load_b128 v[111:114], v1 offset:672
	v_fma_f64 v[121:122], v[121:122], v[95:96], v[123:124]
	v_fma_f64 v[119:120], v[119:120], v[95:96], -v[97:98]
	scratch_load_b128 v[95:98], off, off offset:352
	v_add_f64_e32 v[6:7], v[6:7], v[125:126]
	v_add_f64_e32 v[2:3], v[2:3], v[127:128]
	v_fma_f64 v[125:126], v[77:78], v[103:104], v[129:130]
	v_fma_f64 v[127:128], v[75:76], v[103:104], -v[105:106]
	ds_load_b128 v[75:78], v1 offset:688
	scratch_load_b128 v[103:106], off, off offset:368
	s_wait_loadcnt_dscnt 0x901
	v_mul_f64_e32 v[123:124], v[111:112], v[10:11]
	v_mul_f64_e32 v[10:11], v[113:114], v[10:11]
	v_add_f64_e32 v[6:7], v[6:7], v[121:122]
	v_add_f64_e32 v[2:3], v[2:3], v[119:120]
	ds_load_b128 v[119:122], v1 offset:704
	v_fma_f64 v[113:114], v[113:114], v[8:9], v[123:124]
	v_fma_f64 v[10:11], v[111:112], v[8:9], -v[10:11]
	s_wait_loadcnt_dscnt 0x801
	v_mul_f64_e32 v[129:130], v[75:76], v[117:118]
	v_mul_f64_e32 v[117:118], v[77:78], v[117:118]
	v_add_f64_e32 v[111:112], v[6:7], v[125:126]
	v_add_f64_e32 v[2:3], v[2:3], v[127:128]
	scratch_load_b128 v[6:9], off, off offset:384
	v_fma_f64 v[77:78], v[77:78], v[115:116], v[129:130]
	v_fma_f64 v[127:128], v[75:76], v[115:116], -v[117:118]
	ds_load_b128 v[115:118], v1 offset:736
	s_wait_loadcnt_dscnt 0x801
	v_mul_f64_e32 v[123:124], v[119:120], v[73:74]
	v_mul_f64_e32 v[125:126], v[121:122], v[73:74]
	ds_load_b128 v[73:76], v1 offset:720
	v_add_f64_e32 v[2:3], v[2:3], v[10:11]
	v_add_f64_e32 v[10:11], v[111:112], v[113:114]
	scratch_load_b128 v[111:114], off, off offset:400
	s_wait_loadcnt_dscnt 0x800
	v_mul_f64_e32 v[129:130], v[73:74], v[101:102]
	v_mul_f64_e32 v[101:102], v[75:76], v[101:102]
	v_fma_f64 v[123:124], v[121:122], v[71:72], v[123:124]
	v_fma_f64 v[71:72], v[119:120], v[71:72], -v[125:126]
	scratch_load_b128 v[119:122], off, off offset:416
	v_add_f64_e32 v[2:3], v[2:3], v[127:128]
	v_add_f64_e32 v[10:11], v[10:11], v[77:78]
	s_wait_loadcnt 0x8
	v_mul_f64_e32 v[125:126], v[115:116], v[81:82]
	v_mul_f64_e32 v[81:82], v[117:118], v[81:82]
	v_fma_f64 v[127:128], v[75:76], v[99:100], v[129:130]
	v_fma_f64 v[129:130], v[73:74], v[99:100], -v[101:102]
	scratch_load_b128 v[75:78], off, off offset:432
	ds_load_b128 v[99:102], v1 offset:768
	v_add_f64_e32 v[2:3], v[2:3], v[71:72]
	v_add_f64_e32 v[10:11], v[10:11], v[123:124]
	ds_load_b128 v[71:74], v1 offset:752
	v_fma_f64 v[117:118], v[117:118], v[79:80], v[125:126]
	v_fma_f64 v[115:116], v[115:116], v[79:80], -v[81:82]
	scratch_load_b128 v[79:82], off, off offset:448
	s_wait_loadcnt_dscnt 0x900
	v_mul_f64_e32 v[123:124], v[71:72], v[85:86]
	v_mul_f64_e32 v[85:86], v[73:74], v[85:86]
	s_wait_loadcnt 0x8
	v_mul_f64_e32 v[125:126], v[99:100], v[89:90]
	v_mul_f64_e32 v[89:90], v[101:102], v[89:90]
	v_add_f64_e32 v[2:3], v[2:3], v[129:130]
	v_add_f64_e32 v[10:11], v[10:11], v[127:128]
	v_fma_f64 v[123:124], v[73:74], v[83:84], v[123:124]
	v_fma_f64 v[127:128], v[71:72], v[83:84], -v[85:86]
	ds_load_b128 v[71:74], v1 offset:784
	scratch_load_b128 v[83:86], off, off offset:464
	v_fma_f64 v[101:102], v[101:102], v[87:88], v[125:126]
	v_fma_f64 v[87:88], v[99:100], v[87:88], -v[89:90]
	v_add_f64_e32 v[2:3], v[2:3], v[115:116]
	v_add_f64_e32 v[10:11], v[10:11], v[117:118]
	ds_load_b128 v[115:118], v1 offset:800
	s_wait_loadcnt_dscnt 0x801
	v_mul_f64_e32 v[129:130], v[71:72], v[93:94]
	v_mul_f64_e32 v[93:94], v[73:74], v[93:94]
	s_wait_loadcnt_dscnt 0x700
	v_mul_f64_e32 v[99:100], v[115:116], v[97:98]
	v_mul_f64_e32 v[97:98], v[117:118], v[97:98]
	v_add_f64_e32 v[2:3], v[2:3], v[127:128]
	v_add_f64_e32 v[10:11], v[10:11], v[123:124]
	v_fma_f64 v[123:124], v[73:74], v[91:92], v[129:130]
	v_fma_f64 v[91:92], v[71:72], v[91:92], -v[93:94]
	v_fma_f64 v[99:100], v[117:118], v[95:96], v[99:100]
	v_fma_f64 v[95:96], v[115:116], v[95:96], -v[97:98]
	v_add_f64_e32 v[2:3], v[2:3], v[87:88]
	v_add_f64_e32 v[10:11], v[10:11], v[101:102]
	ds_load_b128 v[71:74], v1 offset:816
	ds_load_b128 v[87:90], v1 offset:832
	s_wait_loadcnt_dscnt 0x601
	v_mul_f64_e32 v[93:94], v[71:72], v[105:106]
	v_mul_f64_e32 v[101:102], v[73:74], v[105:106]
	v_add_f64_e32 v[2:3], v[2:3], v[91:92]
	v_add_f64_e32 v[10:11], v[10:11], v[123:124]
	s_wait_loadcnt_dscnt 0x500
	v_mul_f64_e32 v[91:92], v[87:88], v[8:9]
	v_mul_f64_e32 v[97:98], v[89:90], v[8:9]
	v_fma_f64 v[93:94], v[73:74], v[103:104], v[93:94]
	v_fma_f64 v[101:102], v[71:72], v[103:104], -v[101:102]
	v_add_f64_e32 v[2:3], v[2:3], v[95:96]
	v_add_f64_e32 v[95:96], v[10:11], v[99:100]
	ds_load_b128 v[8:11], v1 offset:848
	ds_load_b128 v[71:74], v1 offset:864
	v_fma_f64 v[89:90], v[89:90], v[6:7], v[91:92]
	v_fma_f64 v[6:7], v[87:88], v[6:7], -v[97:98]
	s_wait_loadcnt_dscnt 0x401
	v_mul_f64_e32 v[99:100], v[8:9], v[113:114]
	v_mul_f64_e32 v[103:104], v[10:11], v[113:114]
	s_wait_loadcnt_dscnt 0x300
	v_mul_f64_e32 v[91:92], v[71:72], v[121:122]
	v_add_f64_e32 v[2:3], v[2:3], v[101:102]
	v_add_f64_e32 v[87:88], v[95:96], v[93:94]
	v_mul_f64_e32 v[93:94], v[73:74], v[121:122]
	v_fma_f64 v[10:11], v[10:11], v[111:112], v[99:100]
	v_fma_f64 v[95:96], v[8:9], v[111:112], -v[103:104]
	v_fma_f64 v[73:74], v[73:74], v[119:120], v[91:92]
	v_add_f64_e32 v[2:3], v[2:3], v[6:7]
	v_add_f64_e32 v[97:98], v[87:88], v[89:90]
	ds_load_b128 v[6:9], v1 offset:880
	ds_load_b128 v[87:90], v1 offset:896
	v_fma_f64 v[71:72], v[71:72], v[119:120], -v[93:94]
	s_wait_loadcnt_dscnt 0x201
	v_mul_f64_e32 v[99:100], v[6:7], v[77:78]
	v_mul_f64_e32 v[77:78], v[8:9], v[77:78]
	s_wait_loadcnt_dscnt 0x100
	v_mul_f64_e32 v[91:92], v[87:88], v[81:82]
	v_mul_f64_e32 v[81:82], v[89:90], v[81:82]
	v_add_f64_e32 v[2:3], v[2:3], v[95:96]
	v_add_f64_e32 v[10:11], v[97:98], v[10:11]
	v_fma_f64 v[93:94], v[8:9], v[75:76], v[99:100]
	v_fma_f64 v[75:76], v[6:7], v[75:76], -v[77:78]
	ds_load_b128 v[6:9], v1 offset:912
	v_fma_f64 v[77:78], v[89:90], v[79:80], v[91:92]
	v_fma_f64 v[79:80], v[87:88], v[79:80], -v[81:82]
	v_add_f64_e32 v[2:3], v[2:3], v[71:72]
	v_add_f64_e32 v[10:11], v[10:11], v[73:74]
	s_wait_loadcnt_dscnt 0x0
	v_mul_f64_e32 v[71:72], v[6:7], v[85:86]
	v_mul_f64_e32 v[73:74], v[8:9], v[85:86]
	s_delay_alu instid0(VALU_DEP_4) | instskip(NEXT) | instid1(VALU_DEP_4)
	v_add_f64_e32 v[2:3], v[2:3], v[75:76]
	v_add_f64_e32 v[10:11], v[10:11], v[93:94]
	s_delay_alu instid0(VALU_DEP_4) | instskip(NEXT) | instid1(VALU_DEP_4)
	v_fma_f64 v[8:9], v[8:9], v[83:84], v[71:72]
	v_fma_f64 v[6:7], v[6:7], v[83:84], -v[73:74]
	s_delay_alu instid0(VALU_DEP_4) | instskip(NEXT) | instid1(VALU_DEP_4)
	v_add_f64_e32 v[2:3], v[2:3], v[79:80]
	v_add_f64_e32 v[10:11], v[10:11], v[77:78]
	s_delay_alu instid0(VALU_DEP_2) | instskip(NEXT) | instid1(VALU_DEP_2)
	v_add_f64_e32 v[2:3], v[2:3], v[6:7]
	v_add_f64_e32 v[8:9], v[10:11], v[8:9]
	s_delay_alu instid0(VALU_DEP_2) | instskip(NEXT) | instid1(VALU_DEP_2)
	v_add_f64_e64 v[6:7], v[107:108], -v[2:3]
	v_add_f64_e64 v[8:9], v[109:110], -v[8:9]
	scratch_store_b128 off, v[6:9], off offset:64
	v_cmpx_lt_u32_e32 2, v0
	s_cbranch_execz .LBB92_183
; %bb.182:
	scratch_load_b128 v[6:9], off, s36
	v_dual_mov_b32 v2, v1 :: v_dual_mov_b32 v3, v1
	v_mov_b32_e32 v4, v1
	scratch_store_b128 off, v[1:4], off offset:48
	s_wait_loadcnt 0x0
	ds_store_b128 v5, v[6:9]
.LBB92_183:
	s_wait_alu 0xfffe
	s_or_b32 exec_lo, exec_lo, s0
	s_wait_storecnt_dscnt 0x0
	s_barrier_signal -1
	s_barrier_wait -1
	global_inv scope:SCOPE_SE
	s_clause 0x8
	scratch_load_b128 v[6:9], off, off offset:64
	scratch_load_b128 v[71:74], off, off offset:80
	;; [unrolled: 1-line block ×9, first 2 shown]
	ds_load_b128 v[103:106], v1 offset:512
	ds_load_b128 v[107:110], v1 offset:528
	scratch_load_b128 v[111:114], off, off offset:48
	s_mov_b32 s0, exec_lo
	ds_load_b128 v[119:122], v1 offset:560
	s_wait_loadcnt_dscnt 0x902
	v_mul_f64_e32 v[2:3], v[105:106], v[8:9]
	v_mul_f64_e32 v[115:116], v[103:104], v[8:9]
	scratch_load_b128 v[8:11], off, off offset:208
	s_wait_loadcnt_dscnt 0x901
	v_mul_f64_e32 v[123:124], v[107:108], v[73:74]
	v_mul_f64_e32 v[73:74], v[109:110], v[73:74]
	v_fma_f64 v[2:3], v[103:104], v[6:7], -v[2:3]
	v_fma_f64 v[6:7], v[105:106], v[6:7], v[115:116]
	ds_load_b128 v[103:106], v1 offset:544
	scratch_load_b128 v[115:118], off, off offset:224
	v_fma_f64 v[109:110], v[109:110], v[71:72], v[123:124]
	v_fma_f64 v[107:108], v[107:108], v[71:72], -v[73:74]
	scratch_load_b128 v[71:74], off, off offset:240
	s_wait_loadcnt_dscnt 0x901
	v_mul_f64_e32 v[123:124], v[119:120], v[81:82]
	v_mul_f64_e32 v[81:82], v[121:122], v[81:82]
	s_wait_dscnt 0x0
	v_mul_f64_e32 v[125:126], v[103:104], v[77:78]
	v_mul_f64_e32 v[77:78], v[105:106], v[77:78]
	v_add_f64_e32 v[2:3], 0, v[2:3]
	v_add_f64_e32 v[6:7], 0, v[6:7]
	v_fma_f64 v[121:122], v[121:122], v[79:80], v[123:124]
	v_fma_f64 v[119:120], v[119:120], v[79:80], -v[81:82]
	scratch_load_b128 v[79:82], off, off offset:272
	v_fma_f64 v[125:126], v[105:106], v[75:76], v[125:126]
	v_fma_f64 v[127:128], v[103:104], v[75:76], -v[77:78]
	ds_load_b128 v[75:78], v1 offset:576
	scratch_load_b128 v[103:106], off, off offset:256
	v_add_f64_e32 v[2:3], v[2:3], v[107:108]
	v_add_f64_e32 v[6:7], v[6:7], v[109:110]
	ds_load_b128 v[107:110], v1 offset:592
	s_wait_loadcnt_dscnt 0xa01
	v_mul_f64_e32 v[129:130], v[75:76], v[85:86]
	v_mul_f64_e32 v[85:86], v[77:78], v[85:86]
	s_wait_loadcnt_dscnt 0x900
	v_mul_f64_e32 v[123:124], v[107:108], v[89:90]
	v_mul_f64_e32 v[89:90], v[109:110], v[89:90]
	v_add_f64_e32 v[2:3], v[2:3], v[127:128]
	v_add_f64_e32 v[6:7], v[6:7], v[125:126]
	v_fma_f64 v[125:126], v[77:78], v[83:84], v[129:130]
	v_fma_f64 v[127:128], v[75:76], v[83:84], -v[85:86]
	ds_load_b128 v[75:78], v1 offset:608
	scratch_load_b128 v[83:86], off, off offset:288
	v_fma_f64 v[109:110], v[109:110], v[87:88], v[123:124]
	v_fma_f64 v[107:108], v[107:108], v[87:88], -v[89:90]
	scratch_load_b128 v[87:90], off, off offset:304
	v_add_f64_e32 v[2:3], v[2:3], v[119:120]
	v_add_f64_e32 v[6:7], v[6:7], v[121:122]
	ds_load_b128 v[119:122], v1 offset:624
	s_wait_loadcnt_dscnt 0xa01
	v_mul_f64_e32 v[129:130], v[75:76], v[93:94]
	v_mul_f64_e32 v[93:94], v[77:78], v[93:94]
	s_wait_loadcnt_dscnt 0x900
	v_mul_f64_e32 v[123:124], v[119:120], v[97:98]
	v_mul_f64_e32 v[97:98], v[121:122], v[97:98]
	v_add_f64_e32 v[2:3], v[2:3], v[127:128]
	v_add_f64_e32 v[6:7], v[6:7], v[125:126]
	v_fma_f64 v[125:126], v[77:78], v[91:92], v[129:130]
	v_fma_f64 v[127:128], v[75:76], v[91:92], -v[93:94]
	ds_load_b128 v[75:78], v1 offset:640
	scratch_load_b128 v[91:94], off, off offset:320
	v_fma_f64 v[121:122], v[121:122], v[95:96], v[123:124]
	v_fma_f64 v[119:120], v[119:120], v[95:96], -v[97:98]
	scratch_load_b128 v[95:98], off, off offset:336
	v_add_f64_e32 v[2:3], v[2:3], v[107:108]
	v_add_f64_e32 v[6:7], v[6:7], v[109:110]
	ds_load_b128 v[107:110], v1 offset:656
	s_wait_loadcnt_dscnt 0xa01
	v_mul_f64_e32 v[129:130], v[75:76], v[101:102]
	v_mul_f64_e32 v[101:102], v[77:78], v[101:102]
	v_add_f64_e32 v[2:3], v[2:3], v[127:128]
	v_add_f64_e32 v[6:7], v[6:7], v[125:126]
	s_delay_alu instid0(VALU_DEP_4) | instskip(NEXT) | instid1(VALU_DEP_4)
	v_fma_f64 v[125:126], v[77:78], v[99:100], v[129:130]
	v_fma_f64 v[127:128], v[75:76], v[99:100], -v[101:102]
	ds_load_b128 v[75:78], v1 offset:672
	scratch_load_b128 v[99:102], off, off offset:352
	s_wait_loadcnt_dscnt 0x901
	v_mul_f64_e32 v[123:124], v[107:108], v[10:11]
	v_mul_f64_e32 v[10:11], v[109:110], v[10:11]
	v_add_f64_e32 v[2:3], v[2:3], v[119:120]
	v_add_f64_e32 v[6:7], v[6:7], v[121:122]
	ds_load_b128 v[119:122], v1 offset:688
	v_fma_f64 v[109:110], v[109:110], v[8:9], v[123:124]
	s_wait_loadcnt_dscnt 0x801
	v_mul_f64_e32 v[129:130], v[75:76], v[117:118]
	v_mul_f64_e32 v[117:118], v[77:78], v[117:118]
	v_fma_f64 v[10:11], v[107:108], v[8:9], -v[10:11]
	s_wait_loadcnt_dscnt 0x700
	v_mul_f64_e32 v[123:124], v[119:120], v[73:74]
	v_add_f64_e32 v[2:3], v[2:3], v[127:128]
	v_add_f64_e32 v[107:108], v[6:7], v[125:126]
	scratch_load_b128 v[6:9], off, off offset:368
	v_mul_f64_e32 v[125:126], v[121:122], v[73:74]
	v_fma_f64 v[77:78], v[77:78], v[115:116], v[129:130]
	v_fma_f64 v[127:128], v[75:76], v[115:116], -v[117:118]
	ds_load_b128 v[73:76], v1 offset:704
	ds_load_b128 v[115:118], v1 offset:720
	v_fma_f64 v[123:124], v[121:122], v[71:72], v[123:124]
	v_add_f64_e32 v[2:3], v[2:3], v[10:11]
	v_add_f64_e32 v[10:11], v[107:108], v[109:110]
	scratch_load_b128 v[107:110], off, off offset:384
	s_wait_loadcnt_dscnt 0x701
	v_mul_f64_e32 v[129:130], v[73:74], v[105:106]
	v_mul_f64_e32 v[105:106], v[75:76], v[105:106]
	v_fma_f64 v[71:72], v[119:120], v[71:72], -v[125:126]
	scratch_load_b128 v[119:122], off, off offset:400
	s_wait_dscnt 0x0
	v_mul_f64_e32 v[125:126], v[115:116], v[81:82]
	v_mul_f64_e32 v[81:82], v[117:118], v[81:82]
	v_add_f64_e32 v[2:3], v[2:3], v[127:128]
	v_add_f64_e32 v[10:11], v[10:11], v[77:78]
	v_fma_f64 v[127:128], v[75:76], v[103:104], v[129:130]
	v_fma_f64 v[129:130], v[73:74], v[103:104], -v[105:106]
	scratch_load_b128 v[75:78], off, off offset:416
	ds_load_b128 v[103:106], v1 offset:752
	v_fma_f64 v[117:118], v[117:118], v[79:80], v[125:126]
	v_fma_f64 v[115:116], v[115:116], v[79:80], -v[81:82]
	scratch_load_b128 v[79:82], off, off offset:432
	v_add_f64_e32 v[2:3], v[2:3], v[71:72]
	v_add_f64_e32 v[10:11], v[10:11], v[123:124]
	ds_load_b128 v[71:74], v1 offset:736
	s_wait_loadcnt_dscnt 0x801
	v_mul_f64_e32 v[125:126], v[103:104], v[89:90]
	v_mul_f64_e32 v[89:90], v[105:106], v[89:90]
	s_wait_dscnt 0x0
	v_mul_f64_e32 v[123:124], v[71:72], v[85:86]
	v_mul_f64_e32 v[85:86], v[73:74], v[85:86]
	v_add_f64_e32 v[2:3], v[2:3], v[129:130]
	v_add_f64_e32 v[10:11], v[10:11], v[127:128]
	v_fma_f64 v[105:106], v[105:106], v[87:88], v[125:126]
	v_fma_f64 v[103:104], v[103:104], v[87:88], -v[89:90]
	scratch_load_b128 v[87:90], off, off offset:464
	v_fma_f64 v[123:124], v[73:74], v[83:84], v[123:124]
	v_fma_f64 v[127:128], v[71:72], v[83:84], -v[85:86]
	ds_load_b128 v[71:74], v1 offset:768
	scratch_load_b128 v[83:86], off, off offset:448
	v_add_f64_e32 v[2:3], v[2:3], v[115:116]
	v_add_f64_e32 v[10:11], v[10:11], v[117:118]
	ds_load_b128 v[115:118], v1 offset:784
	s_wait_loadcnt_dscnt 0x901
	v_mul_f64_e32 v[129:130], v[71:72], v[93:94]
	v_mul_f64_e32 v[93:94], v[73:74], v[93:94]
	v_add_f64_e32 v[2:3], v[2:3], v[127:128]
	v_add_f64_e32 v[10:11], v[10:11], v[123:124]
	s_wait_loadcnt_dscnt 0x800
	v_mul_f64_e32 v[123:124], v[115:116], v[97:98]
	v_mul_f64_e32 v[97:98], v[117:118], v[97:98]
	v_fma_f64 v[125:126], v[73:74], v[91:92], v[129:130]
	v_fma_f64 v[127:128], v[71:72], v[91:92], -v[93:94]
	ds_load_b128 v[71:74], v1 offset:800
	ds_load_b128 v[91:94], v1 offset:816
	v_add_f64_e32 v[2:3], v[2:3], v[103:104]
	v_add_f64_e32 v[10:11], v[10:11], v[105:106]
	s_wait_loadcnt_dscnt 0x701
	v_mul_f64_e32 v[103:104], v[71:72], v[101:102]
	v_mul_f64_e32 v[101:102], v[73:74], v[101:102]
	v_fma_f64 v[105:106], v[117:118], v[95:96], v[123:124]
	v_fma_f64 v[95:96], v[115:116], v[95:96], -v[97:98]
	v_add_f64_e32 v[2:3], v[2:3], v[127:128]
	v_add_f64_e32 v[10:11], v[10:11], v[125:126]
	v_fma_f64 v[103:104], v[73:74], v[99:100], v[103:104]
	v_fma_f64 v[99:100], v[71:72], v[99:100], -v[101:102]
	s_wait_loadcnt_dscnt 0x600
	v_mul_f64_e32 v[97:98], v[91:92], v[8:9]
	v_mul_f64_e32 v[115:116], v[93:94], v[8:9]
	v_add_f64_e32 v[2:3], v[2:3], v[95:96]
	v_add_f64_e32 v[95:96], v[10:11], v[105:106]
	ds_load_b128 v[8:11], v1 offset:832
	ds_load_b128 v[71:74], v1 offset:848
	v_fma_f64 v[93:94], v[93:94], v[6:7], v[97:98]
	v_fma_f64 v[6:7], v[91:92], v[6:7], -v[115:116]
	s_wait_loadcnt_dscnt 0x501
	v_mul_f64_e32 v[101:102], v[8:9], v[109:110]
	v_mul_f64_e32 v[105:106], v[10:11], v[109:110]
	s_wait_loadcnt_dscnt 0x400
	v_mul_f64_e32 v[97:98], v[73:74], v[121:122]
	v_add_f64_e32 v[2:3], v[2:3], v[99:100]
	v_add_f64_e32 v[91:92], v[95:96], v[103:104]
	v_mul_f64_e32 v[95:96], v[71:72], v[121:122]
	v_fma_f64 v[10:11], v[10:11], v[107:108], v[101:102]
	v_fma_f64 v[99:100], v[8:9], v[107:108], -v[105:106]
	v_fma_f64 v[71:72], v[71:72], v[119:120], -v[97:98]
	v_add_f64_e32 v[2:3], v[2:3], v[6:7]
	v_add_f64_e32 v[101:102], v[91:92], v[93:94]
	ds_load_b128 v[6:9], v1 offset:864
	ds_load_b128 v[91:94], v1 offset:880
	v_fma_f64 v[73:74], v[73:74], v[119:120], v[95:96]
	s_wait_loadcnt_dscnt 0x301
	v_mul_f64_e32 v[103:104], v[6:7], v[77:78]
	v_mul_f64_e32 v[77:78], v[8:9], v[77:78]
	s_wait_loadcnt_dscnt 0x200
	v_mul_f64_e32 v[95:96], v[91:92], v[81:82]
	v_mul_f64_e32 v[81:82], v[93:94], v[81:82]
	v_add_f64_e32 v[2:3], v[2:3], v[99:100]
	v_add_f64_e32 v[10:11], v[101:102], v[10:11]
	v_fma_f64 v[97:98], v[8:9], v[75:76], v[103:104]
	v_fma_f64 v[75:76], v[6:7], v[75:76], -v[77:78]
	s_delay_alu instid0(VALU_DEP_4) | instskip(NEXT) | instid1(VALU_DEP_4)
	v_add_f64_e32 v[71:72], v[2:3], v[71:72]
	v_add_f64_e32 v[10:11], v[10:11], v[73:74]
	ds_load_b128 v[6:9], v1 offset:896
	ds_load_b128 v[1:4], v1 offset:912
	s_wait_loadcnt_dscnt 0x1
	v_mul_f64_e32 v[73:74], v[6:7], v[85:86]
	v_mul_f64_e32 v[77:78], v[8:9], v[85:86]
	v_fma_f64 v[85:86], v[93:94], v[79:80], v[95:96]
	v_fma_f64 v[79:80], v[91:92], v[79:80], -v[81:82]
	s_wait_dscnt 0x0
	v_mul_f64_e32 v[81:82], v[3:4], v[89:90]
	v_add_f64_e32 v[71:72], v[71:72], v[75:76]
	v_add_f64_e32 v[10:11], v[10:11], v[97:98]
	v_mul_f64_e32 v[75:76], v[1:2], v[89:90]
	v_fma_f64 v[8:9], v[8:9], v[83:84], v[73:74]
	v_fma_f64 v[6:7], v[6:7], v[83:84], -v[77:78]
	v_fma_f64 v[1:2], v[1:2], v[87:88], -v[81:82]
	v_add_f64_e32 v[71:72], v[71:72], v[79:80]
	v_add_f64_e32 v[10:11], v[10:11], v[85:86]
	v_fma_f64 v[3:4], v[3:4], v[87:88], v[75:76]
	s_delay_alu instid0(VALU_DEP_3) | instskip(NEXT) | instid1(VALU_DEP_3)
	v_add_f64_e32 v[6:7], v[71:72], v[6:7]
	v_add_f64_e32 v[8:9], v[10:11], v[8:9]
	s_delay_alu instid0(VALU_DEP_2) | instskip(NEXT) | instid1(VALU_DEP_2)
	v_add_f64_e32 v[1:2], v[6:7], v[1:2]
	v_add_f64_e32 v[3:4], v[8:9], v[3:4]
	s_delay_alu instid0(VALU_DEP_2) | instskip(NEXT) | instid1(VALU_DEP_2)
	v_add_f64_e64 v[1:2], v[111:112], -v[1:2]
	v_add_f64_e64 v[3:4], v[113:114], -v[3:4]
	scratch_store_b128 off, v[1:4], off offset:48
	v_cmpx_lt_u32_e32 1, v0
	s_cbranch_execz .LBB92_185
; %bb.184:
	scratch_load_b128 v[1:4], off, s37
	v_mov_b32_e32 v6, 0
	s_delay_alu instid0(VALU_DEP_1)
	v_dual_mov_b32 v7, v6 :: v_dual_mov_b32 v8, v6
	v_mov_b32_e32 v9, v6
	scratch_store_b128 off, v[6:9], off offset:32
	s_wait_loadcnt 0x0
	ds_store_b128 v5, v[1:4]
.LBB92_185:
	s_wait_alu 0xfffe
	s_or_b32 exec_lo, exec_lo, s0
	s_wait_storecnt_dscnt 0x0
	s_barrier_signal -1
	s_barrier_wait -1
	global_inv scope:SCOPE_SE
	s_clause 0x7
	scratch_load_b128 v[6:9], off, off offset:48
	scratch_load_b128 v[71:74], off, off offset:64
	;; [unrolled: 1-line block ×8, first 2 shown]
	v_mov_b32_e32 v1, 0
	s_mov_b32 s0, exec_lo
	ds_load_b128 v[99:102], v1 offset:496
	s_clause 0x1
	scratch_load_b128 v[103:106], off, off offset:176
	scratch_load_b128 v[107:110], off, off offset:32
	ds_load_b128 v[111:114], v1 offset:512
	ds_load_b128 v[119:122], v1 offset:544
	s_wait_loadcnt_dscnt 0x902
	v_mul_f64_e32 v[2:3], v[101:102], v[8:9]
	v_mul_f64_e32 v[115:116], v[99:100], v[8:9]
	scratch_load_b128 v[8:11], off, off offset:192
	v_fma_f64 v[2:3], v[99:100], v[6:7], -v[2:3]
	v_fma_f64 v[6:7], v[101:102], v[6:7], v[115:116]
	ds_load_b128 v[99:102], v1 offset:528
	s_wait_loadcnt_dscnt 0x902
	v_mul_f64_e32 v[123:124], v[111:112], v[73:74]
	v_mul_f64_e32 v[73:74], v[113:114], v[73:74]
	scratch_load_b128 v[115:118], off, off offset:208
	s_wait_loadcnt_dscnt 0x900
	v_mul_f64_e32 v[125:126], v[99:100], v[77:78]
	v_mul_f64_e32 v[77:78], v[101:102], v[77:78]
	v_add_f64_e32 v[2:3], 0, v[2:3]
	v_add_f64_e32 v[6:7], 0, v[6:7]
	v_fma_f64 v[113:114], v[113:114], v[71:72], v[123:124]
	v_fma_f64 v[111:112], v[111:112], v[71:72], -v[73:74]
	scratch_load_b128 v[71:74], off, off offset:224
	v_fma_f64 v[125:126], v[101:102], v[75:76], v[125:126]
	v_fma_f64 v[127:128], v[99:100], v[75:76], -v[77:78]
	ds_load_b128 v[75:78], v1 offset:560
	s_wait_loadcnt 0x9
	v_mul_f64_e32 v[123:124], v[119:120], v[81:82]
	v_mul_f64_e32 v[81:82], v[121:122], v[81:82]
	scratch_load_b128 v[99:102], off, off offset:240
	v_add_f64_e32 v[6:7], v[6:7], v[113:114]
	v_add_f64_e32 v[2:3], v[2:3], v[111:112]
	ds_load_b128 v[111:114], v1 offset:576
	s_wait_loadcnt_dscnt 0x901
	v_mul_f64_e32 v[129:130], v[75:76], v[85:86]
	v_mul_f64_e32 v[85:86], v[77:78], v[85:86]
	v_fma_f64 v[121:122], v[121:122], v[79:80], v[123:124]
	v_fma_f64 v[119:120], v[119:120], v[79:80], -v[81:82]
	scratch_load_b128 v[79:82], off, off offset:256
	v_add_f64_e32 v[6:7], v[6:7], v[125:126]
	v_add_f64_e32 v[2:3], v[2:3], v[127:128]
	v_fma_f64 v[125:126], v[77:78], v[83:84], v[129:130]
	v_fma_f64 v[127:128], v[75:76], v[83:84], -v[85:86]
	ds_load_b128 v[75:78], v1 offset:592
	s_wait_loadcnt_dscnt 0x901
	v_mul_f64_e32 v[123:124], v[111:112], v[89:90]
	v_mul_f64_e32 v[89:90], v[113:114], v[89:90]
	scratch_load_b128 v[83:86], off, off offset:272
	s_wait_loadcnt_dscnt 0x900
	v_mul_f64_e32 v[129:130], v[75:76], v[93:94]
	v_mul_f64_e32 v[93:94], v[77:78], v[93:94]
	v_add_f64_e32 v[6:7], v[6:7], v[121:122]
	v_add_f64_e32 v[2:3], v[2:3], v[119:120]
	ds_load_b128 v[119:122], v1 offset:608
	v_fma_f64 v[113:114], v[113:114], v[87:88], v[123:124]
	v_fma_f64 v[111:112], v[111:112], v[87:88], -v[89:90]
	scratch_load_b128 v[87:90], off, off offset:288
	v_add_f64_e32 v[6:7], v[6:7], v[125:126]
	v_add_f64_e32 v[2:3], v[2:3], v[127:128]
	v_fma_f64 v[125:126], v[77:78], v[91:92], v[129:130]
	v_fma_f64 v[127:128], v[75:76], v[91:92], -v[93:94]
	ds_load_b128 v[75:78], v1 offset:624
	s_wait_loadcnt_dscnt 0x901
	v_mul_f64_e32 v[123:124], v[119:120], v[97:98]
	v_mul_f64_e32 v[97:98], v[121:122], v[97:98]
	scratch_load_b128 v[91:94], off, off offset:304
	s_wait_loadcnt_dscnt 0x900
	v_mul_f64_e32 v[129:130], v[75:76], v[105:106]
	v_mul_f64_e32 v[105:106], v[77:78], v[105:106]
	v_add_f64_e32 v[6:7], v[6:7], v[113:114]
	v_add_f64_e32 v[2:3], v[2:3], v[111:112]
	ds_load_b128 v[111:114], v1 offset:640
	v_fma_f64 v[121:122], v[121:122], v[95:96], v[123:124]
	v_fma_f64 v[119:120], v[119:120], v[95:96], -v[97:98]
	scratch_load_b128 v[95:98], off, off offset:320
	v_add_f64_e32 v[6:7], v[6:7], v[125:126]
	v_add_f64_e32 v[2:3], v[2:3], v[127:128]
	v_fma_f64 v[125:126], v[77:78], v[103:104], v[129:130]
	v_fma_f64 v[127:128], v[75:76], v[103:104], -v[105:106]
	ds_load_b128 v[75:78], v1 offset:656
	scratch_load_b128 v[103:106], off, off offset:336
	s_wait_loadcnt_dscnt 0x901
	v_mul_f64_e32 v[123:124], v[111:112], v[10:11]
	v_mul_f64_e32 v[10:11], v[113:114], v[10:11]
	v_add_f64_e32 v[6:7], v[6:7], v[121:122]
	v_add_f64_e32 v[2:3], v[2:3], v[119:120]
	ds_load_b128 v[119:122], v1 offset:672
	v_fma_f64 v[113:114], v[113:114], v[8:9], v[123:124]
	v_fma_f64 v[10:11], v[111:112], v[8:9], -v[10:11]
	s_wait_loadcnt_dscnt 0x801
	v_mul_f64_e32 v[129:130], v[75:76], v[117:118]
	v_mul_f64_e32 v[117:118], v[77:78], v[117:118]
	v_add_f64_e32 v[111:112], v[6:7], v[125:126]
	v_add_f64_e32 v[2:3], v[2:3], v[127:128]
	scratch_load_b128 v[6:9], off, off offset:352
	v_fma_f64 v[77:78], v[77:78], v[115:116], v[129:130]
	v_fma_f64 v[127:128], v[75:76], v[115:116], -v[117:118]
	ds_load_b128 v[115:118], v1 offset:704
	s_wait_loadcnt_dscnt 0x801
	v_mul_f64_e32 v[123:124], v[119:120], v[73:74]
	v_mul_f64_e32 v[125:126], v[121:122], v[73:74]
	ds_load_b128 v[73:76], v1 offset:688
	v_add_f64_e32 v[2:3], v[2:3], v[10:11]
	v_add_f64_e32 v[10:11], v[111:112], v[113:114]
	scratch_load_b128 v[111:114], off, off offset:368
	s_wait_loadcnt_dscnt 0x800
	v_mul_f64_e32 v[129:130], v[73:74], v[101:102]
	v_mul_f64_e32 v[101:102], v[75:76], v[101:102]
	v_fma_f64 v[123:124], v[121:122], v[71:72], v[123:124]
	v_fma_f64 v[71:72], v[119:120], v[71:72], -v[125:126]
	scratch_load_b128 v[119:122], off, off offset:384
	v_add_f64_e32 v[2:3], v[2:3], v[127:128]
	v_add_f64_e32 v[10:11], v[10:11], v[77:78]
	s_wait_loadcnt 0x8
	v_mul_f64_e32 v[125:126], v[115:116], v[81:82]
	v_mul_f64_e32 v[81:82], v[117:118], v[81:82]
	v_fma_f64 v[127:128], v[75:76], v[99:100], v[129:130]
	v_fma_f64 v[129:130], v[73:74], v[99:100], -v[101:102]
	scratch_load_b128 v[75:78], off, off offset:400
	ds_load_b128 v[99:102], v1 offset:736
	v_add_f64_e32 v[2:3], v[2:3], v[71:72]
	v_add_f64_e32 v[10:11], v[10:11], v[123:124]
	ds_load_b128 v[71:74], v1 offset:720
	v_fma_f64 v[117:118], v[117:118], v[79:80], v[125:126]
	v_fma_f64 v[115:116], v[115:116], v[79:80], -v[81:82]
	scratch_load_b128 v[79:82], off, off offset:416
	s_wait_loadcnt_dscnt 0x900
	v_mul_f64_e32 v[123:124], v[71:72], v[85:86]
	v_mul_f64_e32 v[85:86], v[73:74], v[85:86]
	s_wait_loadcnt 0x8
	v_mul_f64_e32 v[125:126], v[99:100], v[89:90]
	v_mul_f64_e32 v[89:90], v[101:102], v[89:90]
	v_add_f64_e32 v[2:3], v[2:3], v[129:130]
	v_add_f64_e32 v[10:11], v[10:11], v[127:128]
	v_fma_f64 v[123:124], v[73:74], v[83:84], v[123:124]
	v_fma_f64 v[127:128], v[71:72], v[83:84], -v[85:86]
	ds_load_b128 v[71:74], v1 offset:752
	scratch_load_b128 v[83:86], off, off offset:432
	v_fma_f64 v[101:102], v[101:102], v[87:88], v[125:126]
	v_fma_f64 v[99:100], v[99:100], v[87:88], -v[89:90]
	scratch_load_b128 v[87:90], off, off offset:448
	v_add_f64_e32 v[2:3], v[2:3], v[115:116]
	v_add_f64_e32 v[10:11], v[10:11], v[117:118]
	ds_load_b128 v[115:118], v1 offset:768
	s_wait_loadcnt_dscnt 0x901
	v_mul_f64_e32 v[129:130], v[71:72], v[93:94]
	v_mul_f64_e32 v[93:94], v[73:74], v[93:94]
	s_wait_loadcnt_dscnt 0x800
	v_mul_f64_e32 v[125:126], v[117:118], v[97:98]
	v_add_f64_e32 v[2:3], v[2:3], v[127:128]
	v_add_f64_e32 v[10:11], v[10:11], v[123:124]
	v_mul_f64_e32 v[123:124], v[115:116], v[97:98]
	v_fma_f64 v[127:128], v[73:74], v[91:92], v[129:130]
	v_fma_f64 v[129:130], v[71:72], v[91:92], -v[93:94]
	ds_load_b128 v[71:74], v1 offset:784
	scratch_load_b128 v[91:94], off, off offset:464
	v_add_f64_e32 v[2:3], v[2:3], v[99:100]
	v_add_f64_e32 v[10:11], v[10:11], v[101:102]
	ds_load_b128 v[97:100], v1 offset:800
	s_wait_loadcnt_dscnt 0x801
	v_mul_f64_e32 v[101:102], v[71:72], v[105:106]
	v_mul_f64_e32 v[105:106], v[73:74], v[105:106]
	v_fma_f64 v[117:118], v[117:118], v[95:96], v[123:124]
	v_fma_f64 v[95:96], v[115:116], v[95:96], -v[125:126]
	v_add_f64_e32 v[2:3], v[2:3], v[129:130]
	v_add_f64_e32 v[10:11], v[10:11], v[127:128]
	v_fma_f64 v[101:102], v[73:74], v[103:104], v[101:102]
	v_fma_f64 v[103:104], v[71:72], v[103:104], -v[105:106]
	s_wait_loadcnt_dscnt 0x700
	v_mul_f64_e32 v[115:116], v[97:98], v[8:9]
	v_mul_f64_e32 v[123:124], v[99:100], v[8:9]
	v_add_f64_e32 v[2:3], v[2:3], v[95:96]
	v_add_f64_e32 v[95:96], v[10:11], v[117:118]
	ds_load_b128 v[8:11], v1 offset:816
	ds_load_b128 v[71:74], v1 offset:832
	v_fma_f64 v[99:100], v[99:100], v[6:7], v[115:116]
	v_fma_f64 v[6:7], v[97:98], v[6:7], -v[123:124]
	s_wait_loadcnt_dscnt 0x601
	v_mul_f64_e32 v[105:106], v[8:9], v[113:114]
	v_mul_f64_e32 v[113:114], v[10:11], v[113:114]
	v_add_f64_e32 v[2:3], v[2:3], v[103:104]
	v_add_f64_e32 v[95:96], v[95:96], v[101:102]
	s_wait_loadcnt_dscnt 0x500
	v_mul_f64_e32 v[101:102], v[71:72], v[121:122]
	v_mul_f64_e32 v[103:104], v[73:74], v[121:122]
	v_fma_f64 v[10:11], v[10:11], v[111:112], v[105:106]
	v_fma_f64 v[105:106], v[8:9], v[111:112], -v[113:114]
	v_add_f64_e32 v[2:3], v[2:3], v[6:7]
	v_add_f64_e32 v[99:100], v[95:96], v[99:100]
	ds_load_b128 v[6:9], v1 offset:848
	ds_load_b128 v[95:98], v1 offset:864
	v_fma_f64 v[73:74], v[73:74], v[119:120], v[101:102]
	v_fma_f64 v[71:72], v[71:72], v[119:120], -v[103:104]
	s_wait_loadcnt_dscnt 0x401
	v_mul_f64_e32 v[111:112], v[6:7], v[77:78]
	v_mul_f64_e32 v[77:78], v[8:9], v[77:78]
	v_add_f64_e32 v[2:3], v[2:3], v[105:106]
	v_add_f64_e32 v[10:11], v[99:100], v[10:11]
	s_wait_loadcnt_dscnt 0x300
	v_mul_f64_e32 v[99:100], v[95:96], v[81:82]
	v_mul_f64_e32 v[81:82], v[97:98], v[81:82]
	v_fma_f64 v[101:102], v[8:9], v[75:76], v[111:112]
	v_fma_f64 v[75:76], v[6:7], v[75:76], -v[77:78]
	v_add_f64_e32 v[2:3], v[2:3], v[71:72]
	v_add_f64_e32 v[10:11], v[10:11], v[73:74]
	ds_load_b128 v[6:9], v1 offset:880
	ds_load_b128 v[71:74], v1 offset:896
	v_fma_f64 v[97:98], v[97:98], v[79:80], v[99:100]
	v_fma_f64 v[79:80], v[95:96], v[79:80], -v[81:82]
	s_wait_loadcnt_dscnt 0x201
	v_mul_f64_e32 v[77:78], v[6:7], v[85:86]
	v_mul_f64_e32 v[85:86], v[8:9], v[85:86]
	s_wait_loadcnt_dscnt 0x100
	v_mul_f64_e32 v[81:82], v[73:74], v[89:90]
	v_add_f64_e32 v[2:3], v[2:3], v[75:76]
	v_add_f64_e32 v[10:11], v[10:11], v[101:102]
	v_mul_f64_e32 v[75:76], v[71:72], v[89:90]
	v_fma_f64 v[77:78], v[8:9], v[83:84], v[77:78]
	v_fma_f64 v[83:84], v[6:7], v[83:84], -v[85:86]
	ds_load_b128 v[6:9], v1 offset:912
	v_fma_f64 v[71:72], v[71:72], v[87:88], -v[81:82]
	v_add_f64_e32 v[2:3], v[2:3], v[79:80]
	v_add_f64_e32 v[10:11], v[10:11], v[97:98]
	v_fma_f64 v[73:74], v[73:74], v[87:88], v[75:76]
	s_wait_loadcnt_dscnt 0x0
	v_mul_f64_e32 v[79:80], v[6:7], v[93:94]
	v_mul_f64_e32 v[85:86], v[8:9], v[93:94]
	v_add_f64_e32 v[2:3], v[2:3], v[83:84]
	v_add_f64_e32 v[10:11], v[10:11], v[77:78]
	s_delay_alu instid0(VALU_DEP_4) | instskip(NEXT) | instid1(VALU_DEP_4)
	v_fma_f64 v[8:9], v[8:9], v[91:92], v[79:80]
	v_fma_f64 v[6:7], v[6:7], v[91:92], -v[85:86]
	s_delay_alu instid0(VALU_DEP_4) | instskip(NEXT) | instid1(VALU_DEP_4)
	v_add_f64_e32 v[2:3], v[2:3], v[71:72]
	v_add_f64_e32 v[10:11], v[10:11], v[73:74]
	s_delay_alu instid0(VALU_DEP_2) | instskip(NEXT) | instid1(VALU_DEP_2)
	v_add_f64_e32 v[2:3], v[2:3], v[6:7]
	v_add_f64_e32 v[8:9], v[10:11], v[8:9]
	s_delay_alu instid0(VALU_DEP_2) | instskip(NEXT) | instid1(VALU_DEP_2)
	v_add_f64_e64 v[6:7], v[107:108], -v[2:3]
	v_add_f64_e64 v[8:9], v[109:110], -v[8:9]
	scratch_store_b128 off, v[6:9], off offset:32
	v_cmpx_ne_u32_e32 0, v0
	s_cbranch_execz .LBB92_187
; %bb.186:
	scratch_load_b128 v[6:9], off, off offset:16
	v_dual_mov_b32 v2, v1 :: v_dual_mov_b32 v3, v1
	v_mov_b32_e32 v4, v1
	scratch_store_b128 off, v[1:4], off offset:16
	s_wait_loadcnt 0x0
	ds_store_b128 v5, v[6:9]
.LBB92_187:
	s_wait_alu 0xfffe
	s_or_b32 exec_lo, exec_lo, s0
	s_wait_storecnt_dscnt 0x0
	s_barrier_signal -1
	s_barrier_wait -1
	global_inv scope:SCOPE_SE
	s_clause 0x8
	scratch_load_b128 v[2:5], off, off offset:32
	scratch_load_b128 v[6:9], off, off offset:48
	scratch_load_b128 v[71:74], off, off offset:64
	scratch_load_b128 v[75:78], off, off offset:80
	scratch_load_b128 v[79:82], off, off offset:96
	scratch_load_b128 v[83:86], off, off offset:112
	scratch_load_b128 v[87:90], off, off offset:128
	scratch_load_b128 v[91:94], off, off offset:144
	scratch_load_b128 v[95:98], off, off offset:160
	ds_load_b128 v[99:102], v1 offset:480
	ds_load_b128 v[103:106], v1 offset:496
	s_clause 0x1
	scratch_load_b128 v[107:110], off, off offset:16
	scratch_load_b128 v[111:114], off, off offset:176
	s_and_b32 vcc_lo, exec_lo, s12
	s_wait_loadcnt_dscnt 0xa01
	v_mul_f64_e32 v[10:11], v[101:102], v[4:5]
	v_mul_f64_e32 v[4:5], v[99:100], v[4:5]
	s_wait_loadcnt_dscnt 0x900
	v_mul_f64_e32 v[115:116], v[103:104], v[8:9]
	v_mul_f64_e32 v[117:118], v[105:106], v[8:9]
	s_delay_alu instid0(VALU_DEP_4) | instskip(NEXT) | instid1(VALU_DEP_4)
	v_fma_f64 v[119:120], v[99:100], v[2:3], -v[10:11]
	v_fma_f64 v[121:122], v[101:102], v[2:3], v[4:5]
	ds_load_b128 v[2:5], v1 offset:512
	ds_load_b128 v[99:102], v1 offset:528
	scratch_load_b128 v[8:11], off, off offset:192
	v_fma_f64 v[115:116], v[105:106], v[6:7], v[115:116]
	v_fma_f64 v[6:7], v[103:104], v[6:7], -v[117:118]
	scratch_load_b128 v[103:106], off, off offset:208
	s_wait_loadcnt_dscnt 0xa01
	v_mul_f64_e32 v[123:124], v[2:3], v[73:74]
	v_mul_f64_e32 v[73:74], v[4:5], v[73:74]
	v_add_f64_e32 v[117:118], 0, v[119:120]
	v_add_f64_e32 v[119:120], 0, v[121:122]
	s_wait_loadcnt_dscnt 0x900
	v_mul_f64_e32 v[121:122], v[99:100], v[77:78]
	v_mul_f64_e32 v[77:78], v[101:102], v[77:78]
	v_fma_f64 v[123:124], v[4:5], v[71:72], v[123:124]
	v_fma_f64 v[125:126], v[2:3], v[71:72], -v[73:74]
	ds_load_b128 v[2:5], v1 offset:544
	scratch_load_b128 v[71:74], off, off offset:224
	v_add_f64_e32 v[6:7], v[117:118], v[6:7]
	v_add_f64_e32 v[119:120], v[119:120], v[115:116]
	ds_load_b128 v[115:118], v1 offset:560
	v_fma_f64 v[101:102], v[101:102], v[75:76], v[121:122]
	v_fma_f64 v[99:100], v[99:100], v[75:76], -v[77:78]
	scratch_load_b128 v[75:78], off, off offset:240
	s_wait_loadcnt_dscnt 0xa01
	v_mul_f64_e32 v[127:128], v[2:3], v[81:82]
	v_mul_f64_e32 v[81:82], v[4:5], v[81:82]
	s_wait_loadcnt_dscnt 0x900
	v_mul_f64_e32 v[121:122], v[115:116], v[85:86]
	v_mul_f64_e32 v[85:86], v[117:118], v[85:86]
	v_add_f64_e32 v[6:7], v[6:7], v[125:126]
	v_add_f64_e32 v[119:120], v[119:120], v[123:124]
	v_fma_f64 v[123:124], v[4:5], v[79:80], v[127:128]
	v_fma_f64 v[125:126], v[2:3], v[79:80], -v[81:82]
	ds_load_b128 v[2:5], v1 offset:576
	scratch_load_b128 v[79:82], off, off offset:256
	v_fma_f64 v[117:118], v[117:118], v[83:84], v[121:122]
	v_fma_f64 v[115:116], v[115:116], v[83:84], -v[85:86]
	scratch_load_b128 v[83:86], off, off offset:272
	v_add_f64_e32 v[6:7], v[6:7], v[99:100]
	v_add_f64_e32 v[119:120], v[119:120], v[101:102]
	ds_load_b128 v[99:102], v1 offset:592
	s_wait_loadcnt_dscnt 0xa01
	v_mul_f64_e32 v[127:128], v[2:3], v[89:90]
	v_mul_f64_e32 v[89:90], v[4:5], v[89:90]
	s_wait_loadcnt_dscnt 0x900
	v_mul_f64_e32 v[121:122], v[99:100], v[93:94]
	v_mul_f64_e32 v[93:94], v[101:102], v[93:94]
	v_add_f64_e32 v[6:7], v[6:7], v[125:126]
	v_add_f64_e32 v[119:120], v[119:120], v[123:124]
	v_fma_f64 v[123:124], v[4:5], v[87:88], v[127:128]
	v_fma_f64 v[125:126], v[2:3], v[87:88], -v[89:90]
	ds_load_b128 v[2:5], v1 offset:608
	scratch_load_b128 v[87:90], off, off offset:288
	v_fma_f64 v[101:102], v[101:102], v[91:92], v[121:122]
	v_fma_f64 v[99:100], v[99:100], v[91:92], -v[93:94]
	scratch_load_b128 v[91:94], off, off offset:304
	v_add_f64_e32 v[6:7], v[6:7], v[115:116]
	v_add_f64_e32 v[119:120], v[119:120], v[117:118]
	ds_load_b128 v[115:118], v1 offset:624
	;; [unrolled: 18-line block ×3, first 2 shown]
	s_wait_loadcnt_dscnt 0x901
	v_mul_f64_e32 v[127:128], v[2:3], v[10:11]
	v_mul_f64_e32 v[10:11], v[4:5], v[10:11]
	s_wait_loadcnt_dscnt 0x800
	v_mul_f64_e32 v[121:122], v[99:100], v[105:106]
	v_mul_f64_e32 v[105:106], v[101:102], v[105:106]
	v_add_f64_e32 v[6:7], v[6:7], v[125:126]
	v_add_f64_e32 v[119:120], v[119:120], v[123:124]
	v_fma_f64 v[123:124], v[4:5], v[8:9], v[127:128]
	v_fma_f64 v[10:11], v[2:3], v[8:9], -v[10:11]
	ds_load_b128 v[2:5], v1 offset:672
	v_fma_f64 v[121:122], v[101:102], v[103:104], v[121:122]
	v_fma_f64 v[103:104], v[99:100], v[103:104], -v[105:106]
	scratch_load_b128 v[99:102], off, off offset:368
	v_add_f64_e32 v[125:126], v[6:7], v[115:116]
	v_add_f64_e32 v[119:120], v[119:120], v[117:118]
	scratch_load_b128 v[6:9], off, off offset:352
	ds_load_b128 v[115:118], v1 offset:688
	s_wait_loadcnt_dscnt 0x901
	v_mul_f64_e32 v[127:128], v[2:3], v[73:74]
	v_mul_f64_e32 v[73:74], v[4:5], v[73:74]
	v_add_f64_e32 v[10:11], v[125:126], v[10:11]
	v_add_f64_e32 v[105:106], v[119:120], v[123:124]
	s_wait_loadcnt_dscnt 0x800
	v_mul_f64_e32 v[119:120], v[115:116], v[77:78]
	v_mul_f64_e32 v[77:78], v[117:118], v[77:78]
	v_fma_f64 v[123:124], v[4:5], v[71:72], v[127:128]
	v_fma_f64 v[125:126], v[2:3], v[71:72], -v[73:74]
	ds_load_b128 v[2:5], v1 offset:704
	scratch_load_b128 v[71:74], off, off offset:384
	v_add_f64_e32 v[10:11], v[10:11], v[103:104]
	v_add_f64_e32 v[121:122], v[105:106], v[121:122]
	ds_load_b128 v[103:106], v1 offset:720
	s_wait_loadcnt_dscnt 0x801
	v_mul_f64_e32 v[127:128], v[2:3], v[81:82]
	v_mul_f64_e32 v[81:82], v[4:5], v[81:82]
	v_fma_f64 v[117:118], v[117:118], v[75:76], v[119:120]
	v_fma_f64 v[115:116], v[115:116], v[75:76], -v[77:78]
	scratch_load_b128 v[75:78], off, off offset:400
	v_add_f64_e32 v[10:11], v[10:11], v[125:126]
	v_add_f64_e32 v[119:120], v[121:122], v[123:124]
	s_wait_loadcnt_dscnt 0x800
	v_mul_f64_e32 v[121:122], v[103:104], v[85:86]
	v_mul_f64_e32 v[85:86], v[105:106], v[85:86]
	v_fma_f64 v[123:124], v[4:5], v[79:80], v[127:128]
	v_fma_f64 v[125:126], v[2:3], v[79:80], -v[81:82]
	ds_load_b128 v[2:5], v1 offset:736
	scratch_load_b128 v[79:82], off, off offset:416
	v_add_f64_e32 v[10:11], v[10:11], v[115:116]
	v_add_f64_e32 v[119:120], v[119:120], v[117:118]
	ds_load_b128 v[115:118], v1 offset:752
	s_wait_loadcnt_dscnt 0x801
	v_mul_f64_e32 v[127:128], v[2:3], v[89:90]
	v_mul_f64_e32 v[89:90], v[4:5], v[89:90]
	v_fma_f64 v[105:106], v[105:106], v[83:84], v[121:122]
	v_fma_f64 v[103:104], v[103:104], v[83:84], -v[85:86]
	scratch_load_b128 v[83:86], off, off offset:432
	s_wait_loadcnt_dscnt 0x800
	v_mul_f64_e32 v[121:122], v[115:116], v[93:94]
	v_mul_f64_e32 v[93:94], v[117:118], v[93:94]
	v_add_f64_e32 v[10:11], v[10:11], v[125:126]
	v_add_f64_e32 v[119:120], v[119:120], v[123:124]
	v_fma_f64 v[123:124], v[4:5], v[87:88], v[127:128]
	v_fma_f64 v[125:126], v[2:3], v[87:88], -v[89:90]
	ds_load_b128 v[2:5], v1 offset:768
	scratch_load_b128 v[87:90], off, off offset:448
	v_fma_f64 v[117:118], v[117:118], v[91:92], v[121:122]
	v_fma_f64 v[115:116], v[115:116], v[91:92], -v[93:94]
	scratch_load_b128 v[91:94], off, off offset:464
	v_add_f64_e32 v[10:11], v[10:11], v[103:104]
	v_add_f64_e32 v[119:120], v[119:120], v[105:106]
	ds_load_b128 v[103:106], v1 offset:784
	s_wait_loadcnt_dscnt 0x901
	v_mul_f64_e32 v[127:128], v[2:3], v[97:98]
	v_mul_f64_e32 v[97:98], v[4:5], v[97:98]
	s_wait_loadcnt_dscnt 0x800
	v_mul_f64_e32 v[121:122], v[103:104], v[113:114]
	v_mul_f64_e32 v[113:114], v[105:106], v[113:114]
	v_add_f64_e32 v[10:11], v[10:11], v[125:126]
	v_add_f64_e32 v[119:120], v[119:120], v[123:124]
	v_fma_f64 v[123:124], v[4:5], v[95:96], v[127:128]
	v_fma_f64 v[125:126], v[2:3], v[95:96], -v[97:98]
	ds_load_b128 v[2:5], v1 offset:800
	ds_load_b128 v[95:98], v1 offset:816
	v_fma_f64 v[105:106], v[105:106], v[111:112], v[121:122]
	v_fma_f64 v[103:104], v[103:104], v[111:112], -v[113:114]
	v_add_f64_e32 v[10:11], v[10:11], v[115:116]
	v_add_f64_e32 v[115:116], v[119:120], v[117:118]
	s_wait_loadcnt_dscnt 0x700
	v_mul_f64_e32 v[113:114], v[95:96], v[101:102]
	v_mul_f64_e32 v[101:102], v[97:98], v[101:102]
	s_wait_loadcnt 0x6
	v_mul_f64_e32 v[117:118], v[2:3], v[8:9]
	v_mul_f64_e32 v[8:9], v[4:5], v[8:9]
	v_add_f64_e32 v[10:11], v[10:11], v[125:126]
	v_add_f64_e32 v[111:112], v[115:116], v[123:124]
	v_fma_f64 v[97:98], v[97:98], v[99:100], v[113:114]
	v_fma_f64 v[95:96], v[95:96], v[99:100], -v[101:102]
	v_fma_f64 v[115:116], v[4:5], v[6:7], v[117:118]
	v_fma_f64 v[117:118], v[2:3], v[6:7], -v[8:9]
	ds_load_b128 v[2:5], v1 offset:832
	ds_load_b128 v[6:9], v1 offset:848
	v_add_f64_e32 v[10:11], v[10:11], v[103:104]
	v_add_f64_e32 v[103:104], v[111:112], v[105:106]
	s_wait_loadcnt_dscnt 0x501
	v_mul_f64_e32 v[105:106], v[2:3], v[73:74]
	v_mul_f64_e32 v[73:74], v[4:5], v[73:74]
	s_wait_loadcnt_dscnt 0x400
	v_mul_f64_e32 v[101:102], v[6:7], v[77:78]
	v_mul_f64_e32 v[77:78], v[8:9], v[77:78]
	v_add_f64_e32 v[10:11], v[10:11], v[117:118]
	v_add_f64_e32 v[99:100], v[103:104], v[115:116]
	v_fma_f64 v[103:104], v[4:5], v[71:72], v[105:106]
	v_fma_f64 v[105:106], v[2:3], v[71:72], -v[73:74]
	ds_load_b128 v[2:5], v1 offset:864
	ds_load_b128 v[71:74], v1 offset:880
	v_fma_f64 v[8:9], v[8:9], v[75:76], v[101:102]
	v_fma_f64 v[6:7], v[6:7], v[75:76], -v[77:78]
	v_add_f64_e32 v[10:11], v[10:11], v[95:96]
	v_add_f64_e32 v[95:96], v[99:100], v[97:98]
	s_wait_loadcnt_dscnt 0x301
	v_mul_f64_e32 v[97:98], v[2:3], v[81:82]
	v_mul_f64_e32 v[81:82], v[4:5], v[81:82]
	s_wait_loadcnt_dscnt 0x200
	v_mul_f64_e32 v[77:78], v[71:72], v[85:86]
	v_mul_f64_e32 v[85:86], v[73:74], v[85:86]
	v_add_f64_e32 v[10:11], v[10:11], v[105:106]
	v_add_f64_e32 v[75:76], v[95:96], v[103:104]
	v_fma_f64 v[95:96], v[4:5], v[79:80], v[97:98]
	v_fma_f64 v[79:80], v[2:3], v[79:80], -v[81:82]
	v_fma_f64 v[73:74], v[73:74], v[83:84], v[77:78]
	v_fma_f64 v[71:72], v[71:72], v[83:84], -v[85:86]
	v_add_f64_e32 v[10:11], v[10:11], v[6:7]
	v_add_f64_e32 v[75:76], v[75:76], v[8:9]
	ds_load_b128 v[2:5], v1 offset:896
	ds_load_b128 v[6:9], v1 offset:912
	s_wait_loadcnt_dscnt 0x101
	v_mul_f64_e32 v[0:1], v[2:3], v[89:90]
	v_mul_f64_e32 v[81:82], v[4:5], v[89:90]
	s_wait_loadcnt_dscnt 0x0
	v_mul_f64_e32 v[77:78], v[6:7], v[93:94]
	v_add_f64_e32 v[10:11], v[10:11], v[79:80]
	v_add_f64_e32 v[75:76], v[75:76], v[95:96]
	v_mul_f64_e32 v[79:80], v[8:9], v[93:94]
	v_fma_f64 v[0:1], v[4:5], v[87:88], v[0:1]
	v_fma_f64 v[2:3], v[2:3], v[87:88], -v[81:82]
	v_fma_f64 v[8:9], v[8:9], v[91:92], v[77:78]
	v_add_f64_e32 v[4:5], v[10:11], v[71:72]
	v_add_f64_e32 v[10:11], v[75:76], v[73:74]
	v_fma_f64 v[6:7], v[6:7], v[91:92], -v[79:80]
	s_delay_alu instid0(VALU_DEP_3) | instskip(NEXT) | instid1(VALU_DEP_3)
	v_add_f64_e32 v[2:3], v[4:5], v[2:3]
	v_add_f64_e32 v[0:1], v[10:11], v[0:1]
	s_delay_alu instid0(VALU_DEP_2) | instskip(NEXT) | instid1(VALU_DEP_2)
	v_add_f64_e32 v[2:3], v[2:3], v[6:7]
	v_add_f64_e32 v[4:5], v[0:1], v[8:9]
	s_delay_alu instid0(VALU_DEP_2) | instskip(NEXT) | instid1(VALU_DEP_2)
	v_add_f64_e64 v[0:1], v[107:108], -v[2:3]
	v_add_f64_e64 v[2:3], v[109:110], -v[4:5]
	scratch_store_b128 off, v[0:3], off offset:16
	s_wait_alu 0xfffe
	s_cbranch_vccz .LBB92_244
; %bb.188:
	v_mov_b32_e32 v0, 0
	global_load_b32 v1, v0, s[2:3] offset:108
	s_wait_loadcnt 0x0
	v_cmp_ne_u32_e32 vcc_lo, 28, v1
	s_cbranch_vccz .LBB92_190
; %bb.189:
	v_lshlrev_b32_e32 v1, 4, v1
	s_delay_alu instid0(VALU_DEP_1)
	v_add_nc_u32_e32 v9, 16, v1
	s_clause 0x1
	scratch_load_b128 v[1:4], v9, off offset:-16
	scratch_load_b128 v[5:8], off, s35
	s_wait_loadcnt 0x1
	scratch_store_b128 off, v[1:4], s35
	s_wait_loadcnt 0x0
	scratch_store_b128 v9, v[5:8], off offset:-16
.LBB92_190:
	global_load_b32 v0, v0, s[2:3] offset:104
	s_wait_loadcnt 0x0
	v_cmp_eq_u32_e32 vcc_lo, 27, v0
	s_cbranch_vccnz .LBB92_192
; %bb.191:
	v_lshlrev_b32_e32 v0, 4, v0
	s_delay_alu instid0(VALU_DEP_1)
	v_add_nc_u32_e32 v8, 16, v0
	s_clause 0x1
	scratch_load_b128 v[0:3], v8, off offset:-16
	scratch_load_b128 v[4:7], off, s20
	s_wait_loadcnt 0x1
	scratch_store_b128 off, v[0:3], s20
	s_wait_loadcnt 0x0
	scratch_store_b128 v8, v[4:7], off offset:-16
.LBB92_192:
	v_mov_b32_e32 v0, 0
	global_load_b32 v1, v0, s[2:3] offset:100
	s_wait_loadcnt 0x0
	v_cmp_eq_u32_e32 vcc_lo, 26, v1
	s_cbranch_vccnz .LBB92_194
; %bb.193:
	v_lshlrev_b32_e32 v1, 4, v1
	s_delay_alu instid0(VALU_DEP_1)
	v_add_nc_u32_e32 v9, 16, v1
	s_clause 0x1
	scratch_load_b128 v[1:4], v9, off offset:-16
	scratch_load_b128 v[5:8], off, s34
	s_wait_loadcnt 0x1
	scratch_store_b128 off, v[1:4], s34
	s_wait_loadcnt 0x0
	scratch_store_b128 v9, v[5:8], off offset:-16
.LBB92_194:
	global_load_b32 v0, v0, s[2:3] offset:96
	s_wait_loadcnt 0x0
	v_cmp_eq_u32_e32 vcc_lo, 25, v0
	s_cbranch_vccnz .LBB92_196
; %bb.195:
	v_lshlrev_b32_e32 v0, 4, v0
	s_delay_alu instid0(VALU_DEP_1)
	v_add_nc_u32_e32 v8, 16, v0
	s_clause 0x1
	scratch_load_b128 v[0:3], v8, off offset:-16
	scratch_load_b128 v[4:7], off, s19
	s_wait_loadcnt 0x1
	scratch_store_b128 off, v[0:3], s19
	s_wait_loadcnt 0x0
	scratch_store_b128 v8, v[4:7], off offset:-16
.LBB92_196:
	v_mov_b32_e32 v0, 0
	global_load_b32 v1, v0, s[2:3] offset:92
	s_wait_loadcnt 0x0
	v_cmp_eq_u32_e32 vcc_lo, 24, v1
	s_cbranch_vccnz .LBB92_198
; %bb.197:
	v_lshlrev_b32_e32 v1, 4, v1
	s_delay_alu instid0(VALU_DEP_1)
	v_add_nc_u32_e32 v9, 16, v1
	s_clause 0x1
	scratch_load_b128 v[1:4], v9, off offset:-16
	scratch_load_b128 v[5:8], off, s33
	s_wait_loadcnt 0x1
	scratch_store_b128 off, v[1:4], s33
	s_wait_loadcnt 0x0
	scratch_store_b128 v9, v[5:8], off offset:-16
.LBB92_198:
	;; [unrolled: 33-line block ×13, first 2 shown]
	global_load_b32 v0, v0, s[2:3]
	s_wait_loadcnt 0x0
	v_cmp_eq_u32_e32 vcc_lo, 1, v0
	s_cbranch_vccnz .LBB92_244
; %bb.243:
	v_lshlrev_b32_e32 v0, 4, v0
	s_delay_alu instid0(VALU_DEP_1)
	v_add_nc_u32_e32 v8, 16, v0
	scratch_load_b128 v[0:3], v8, off offset:-16
	scratch_load_b128 v[4:7], off, off offset:16
	s_wait_loadcnt 0x1
	scratch_store_b128 off, v[0:3], off offset:16
	s_wait_loadcnt 0x0
	scratch_store_b128 v8, v[4:7], off offset:-16
.LBB92_244:
	scratch_load_b128 v[0:3], off, off offset:16
	s_wait_loadcnt 0x0
	flat_store_b128 v[13:14], v[0:3]
	scratch_load_b128 v[0:3], off, s37
	s_wait_loadcnt 0x0
	flat_store_b128 v[15:16], v[0:3]
	scratch_load_b128 v[0:3], off, s36
	;; [unrolled: 3-line block ×28, first 2 shown]
	s_wait_loadcnt 0x0
	flat_store_b128 v[69:70], v[0:3]
	s_nop 0
	s_sendmsg sendmsg(MSG_DEALLOC_VGPRS)
	s_endpgm
	.section	.rodata,"a",@progbits
	.p2align	6, 0x0
	.amdhsa_kernel _ZN9rocsolver6v33100L18getri_kernel_smallILi29E19rocblas_complex_numIdEPKPS3_EEvT1_iilPiilS8_bb
		.amdhsa_group_segment_fixed_size 936
		.amdhsa_private_segment_fixed_size 496
		.amdhsa_kernarg_size 60
		.amdhsa_user_sgpr_count 2
		.amdhsa_user_sgpr_dispatch_ptr 0
		.amdhsa_user_sgpr_queue_ptr 0
		.amdhsa_user_sgpr_kernarg_segment_ptr 1
		.amdhsa_user_sgpr_dispatch_id 0
		.amdhsa_user_sgpr_private_segment_size 0
		.amdhsa_wavefront_size32 1
		.amdhsa_uses_dynamic_stack 0
		.amdhsa_enable_private_segment 1
		.amdhsa_system_sgpr_workgroup_id_x 1
		.amdhsa_system_sgpr_workgroup_id_y 0
		.amdhsa_system_sgpr_workgroup_id_z 0
		.amdhsa_system_sgpr_workgroup_info 0
		.amdhsa_system_vgpr_workitem_id 0
		.amdhsa_next_free_vgpr 131
		.amdhsa_next_free_sgpr 41
		.amdhsa_reserve_vcc 1
		.amdhsa_float_round_mode_32 0
		.amdhsa_float_round_mode_16_64 0
		.amdhsa_float_denorm_mode_32 3
		.amdhsa_float_denorm_mode_16_64 3
		.amdhsa_fp16_overflow 0
		.amdhsa_workgroup_processor_mode 1
		.amdhsa_memory_ordered 1
		.amdhsa_forward_progress 1
		.amdhsa_inst_pref_size 255
		.amdhsa_round_robin_scheduling 0
		.amdhsa_exception_fp_ieee_invalid_op 0
		.amdhsa_exception_fp_denorm_src 0
		.amdhsa_exception_fp_ieee_div_zero 0
		.amdhsa_exception_fp_ieee_overflow 0
		.amdhsa_exception_fp_ieee_underflow 0
		.amdhsa_exception_fp_ieee_inexact 0
		.amdhsa_exception_int_div_zero 0
	.end_amdhsa_kernel
	.section	.text._ZN9rocsolver6v33100L18getri_kernel_smallILi29E19rocblas_complex_numIdEPKPS3_EEvT1_iilPiilS8_bb,"axG",@progbits,_ZN9rocsolver6v33100L18getri_kernel_smallILi29E19rocblas_complex_numIdEPKPS3_EEvT1_iilPiilS8_bb,comdat
.Lfunc_end92:
	.size	_ZN9rocsolver6v33100L18getri_kernel_smallILi29E19rocblas_complex_numIdEPKPS3_EEvT1_iilPiilS8_bb, .Lfunc_end92-_ZN9rocsolver6v33100L18getri_kernel_smallILi29E19rocblas_complex_numIdEPKPS3_EEvT1_iilPiilS8_bb
                                        ; -- End function
	.set _ZN9rocsolver6v33100L18getri_kernel_smallILi29E19rocblas_complex_numIdEPKPS3_EEvT1_iilPiilS8_bb.num_vgpr, 131
	.set _ZN9rocsolver6v33100L18getri_kernel_smallILi29E19rocblas_complex_numIdEPKPS3_EEvT1_iilPiilS8_bb.num_agpr, 0
	.set _ZN9rocsolver6v33100L18getri_kernel_smallILi29E19rocblas_complex_numIdEPKPS3_EEvT1_iilPiilS8_bb.numbered_sgpr, 41
	.set _ZN9rocsolver6v33100L18getri_kernel_smallILi29E19rocblas_complex_numIdEPKPS3_EEvT1_iilPiilS8_bb.num_named_barrier, 0
	.set _ZN9rocsolver6v33100L18getri_kernel_smallILi29E19rocblas_complex_numIdEPKPS3_EEvT1_iilPiilS8_bb.private_seg_size, 496
	.set _ZN9rocsolver6v33100L18getri_kernel_smallILi29E19rocblas_complex_numIdEPKPS3_EEvT1_iilPiilS8_bb.uses_vcc, 1
	.set _ZN9rocsolver6v33100L18getri_kernel_smallILi29E19rocblas_complex_numIdEPKPS3_EEvT1_iilPiilS8_bb.uses_flat_scratch, 1
	.set _ZN9rocsolver6v33100L18getri_kernel_smallILi29E19rocblas_complex_numIdEPKPS3_EEvT1_iilPiilS8_bb.has_dyn_sized_stack, 0
	.set _ZN9rocsolver6v33100L18getri_kernel_smallILi29E19rocblas_complex_numIdEPKPS3_EEvT1_iilPiilS8_bb.has_recursion, 0
	.set _ZN9rocsolver6v33100L18getri_kernel_smallILi29E19rocblas_complex_numIdEPKPS3_EEvT1_iilPiilS8_bb.has_indirect_call, 0
	.section	.AMDGPU.csdata,"",@progbits
; Kernel info:
; codeLenInByte = 42468
; TotalNumSgprs: 43
; NumVgprs: 131
; ScratchSize: 496
; MemoryBound: 0
; FloatMode: 240
; IeeeMode: 1
; LDSByteSize: 936 bytes/workgroup (compile time only)
; SGPRBlocks: 0
; VGPRBlocks: 16
; NumSGPRsForWavesPerEU: 43
; NumVGPRsForWavesPerEU: 131
; Occupancy: 10
; WaveLimiterHint : 1
; COMPUTE_PGM_RSRC2:SCRATCH_EN: 1
; COMPUTE_PGM_RSRC2:USER_SGPR: 2
; COMPUTE_PGM_RSRC2:TRAP_HANDLER: 0
; COMPUTE_PGM_RSRC2:TGID_X_EN: 1
; COMPUTE_PGM_RSRC2:TGID_Y_EN: 0
; COMPUTE_PGM_RSRC2:TGID_Z_EN: 0
; COMPUTE_PGM_RSRC2:TIDIG_COMP_CNT: 0
	.section	.text._ZN9rocsolver6v33100L18getri_kernel_smallILi30E19rocblas_complex_numIdEPKPS3_EEvT1_iilPiilS8_bb,"axG",@progbits,_ZN9rocsolver6v33100L18getri_kernel_smallILi30E19rocblas_complex_numIdEPKPS3_EEvT1_iilPiilS8_bb,comdat
	.globl	_ZN9rocsolver6v33100L18getri_kernel_smallILi30E19rocblas_complex_numIdEPKPS3_EEvT1_iilPiilS8_bb ; -- Begin function _ZN9rocsolver6v33100L18getri_kernel_smallILi30E19rocblas_complex_numIdEPKPS3_EEvT1_iilPiilS8_bb
	.p2align	8
	.type	_ZN9rocsolver6v33100L18getri_kernel_smallILi30E19rocblas_complex_numIdEPKPS3_EEvT1_iilPiilS8_bb,@function
_ZN9rocsolver6v33100L18getri_kernel_smallILi30E19rocblas_complex_numIdEPKPS3_EEvT1_iilPiilS8_bb: ; @_ZN9rocsolver6v33100L18getri_kernel_smallILi30E19rocblas_complex_numIdEPKPS3_EEvT1_iilPiilS8_bb
; %bb.0:
	s_mov_b32 s2, exec_lo
	v_cmpx_gt_u32_e32 30, v0
	s_cbranch_execz .LBB93_134
; %bb.1:
	s_clause 0x1
	s_load_b32 s13, s[0:1], 0x38
	s_load_b64 s[2:3], s[0:1], 0x0
	s_mov_b32 s8, ttmp9
	s_load_b128 s[4:7], s[0:1], 0x28
	s_wait_kmcnt 0x0
	s_bitcmp1_b32 s13, 8
	s_cselect_b32 s12, -1, 0
	s_ashr_i32 s9, ttmp9, 31
	s_delay_alu instid0(SALU_CYCLE_1) | instskip(NEXT) | instid1(SALU_CYCLE_1)
	s_lshl_b64 s[10:11], s[8:9], 3
	s_add_nc_u64 s[2:3], s[2:3], s[10:11]
	s_load_b64 s[10:11], s[2:3], 0x0
	s_bfe_u32 s2, s13, 0x10008
	s_delay_alu instid0(SALU_CYCLE_1)
	s_cmp_eq_u32 s2, 0
                                        ; implicit-def: $sgpr2_sgpr3
	s_cbranch_scc1 .LBB93_3
; %bb.2:
	s_load_b96 s[16:18], s[0:1], 0x18
	s_mul_u64 s[2:3], s[4:5], s[8:9]
	s_delay_alu instid0(SALU_CYCLE_1)
	s_lshl_b64 s[2:3], s[2:3], 2
	s_wait_kmcnt 0x0
	s_ashr_i32 s5, s18, 31
	s_mov_b32 s4, s18
	s_add_nc_u64 s[2:3], s[16:17], s[2:3]
	s_lshl_b64 s[4:5], s[4:5], 2
	s_delay_alu instid0(SALU_CYCLE_1)
	s_add_nc_u64 s[2:3], s[2:3], s[4:5]
.LBB93_3:
	s_clause 0x1
	s_load_b64 s[4:5], s[0:1], 0x8
	s_load_b32 s39, s[0:1], 0x38
	v_lshlrev_b32_e32 v73, 4, v0
	s_mov_b32 s38, 32
	s_mov_b32 s37, 48
	;; [unrolled: 1-line block ×3, first 2 shown]
	s_movk_i32 s23, 0x50
	s_wait_kmcnt 0x0
	s_ashr_i32 s1, s4, 31
	s_mov_b32 s0, s4
	v_add3_u32 v5, s5, s5, v0
	s_lshl_b64 s[0:1], s[0:1], 4
	s_delay_alu instid0(SALU_CYCLE_1)
	s_add_nc_u64 s[0:1], s[10:11], s[0:1]
	s_ashr_i32 s11, s5, 31
	v_add_co_u32 v13, s4, s0, v73
	s_wait_alu 0xf1ff
	v_add_co_ci_u32_e64 v14, null, s1, 0, s4
	s_mov_b32 s10, s5
	v_ashrrev_i32_e32 v6, 31, v5
	s_lshl_b64 s[10:11], s[10:11], 4
	flat_load_b128 v[1:4], v[13:14]
	v_add_co_u32 v15, vcc_lo, v13, s10
	s_delay_alu instid0(VALU_DEP_1) | instskip(SKIP_2) | instid1(VALU_DEP_2)
	v_add_co_ci_u32_e64 v16, null, s11, v14, vcc_lo
	v_lshlrev_b64_e32 v[6:7], 4, v[5:6]
	v_add_nc_u32_e32 v5, s5, v5
	v_add_co_u32 v17, vcc_lo, s0, v6
	s_wait_alu 0xfffd
	s_delay_alu instid0(VALU_DEP_3) | instskip(NEXT) | instid1(VALU_DEP_3)
	v_add_co_ci_u32_e64 v18, null, s1, v7, vcc_lo
	v_ashrrev_i32_e32 v6, 31, v5
	s_delay_alu instid0(VALU_DEP_1) | instskip(SKIP_1) | instid1(VALU_DEP_2)
	v_lshlrev_b64_e32 v[6:7], 4, v[5:6]
	v_add_nc_u32_e32 v5, s5, v5
	v_add_co_u32 v19, vcc_lo, s0, v6
	s_wait_alu 0xfffd
	s_delay_alu instid0(VALU_DEP_3) | instskip(NEXT) | instid1(VALU_DEP_3)
	v_add_co_ci_u32_e64 v20, null, s1, v7, vcc_lo
	v_ashrrev_i32_e32 v6, 31, v5
	s_delay_alu instid0(VALU_DEP_1) | instskip(SKIP_1) | instid1(VALU_DEP_2)
	;; [unrolled: 8-line block ×20, first 2 shown]
	v_lshlrev_b64_e32 v[6:7], 4, v[5:6]
	v_add_nc_u32_e32 v5, s5, v5
	v_add_co_u32 v57, vcc_lo, s0, v6
	s_wait_alu 0xfffd
	s_delay_alu instid0(VALU_DEP_3) | instskip(NEXT) | instid1(VALU_DEP_3)
	v_add_co_ci_u32_e64 v58, null, s1, v7, vcc_lo
	v_ashrrev_i32_e32 v6, 31, v5
	s_delay_alu instid0(VALU_DEP_1)
	v_lshlrev_b64_e32 v[6:7], 4, v[5:6]
	s_wait_loadcnt_dscnt 0x0
	scratch_store_b128 off, v[1:4], off offset:16
	flat_load_b128 v[1:4], v[15:16]
	v_add_nc_u32_e32 v5, s5, v5
	v_add_co_u32 v59, vcc_lo, s0, v6
	s_wait_alu 0xfffd
	v_add_co_ci_u32_e64 v60, null, s1, v7, vcc_lo
	s_delay_alu instid0(VALU_DEP_3) | instskip(NEXT) | instid1(VALU_DEP_1)
	v_ashrrev_i32_e32 v6, 31, v5
	v_lshlrev_b64_e32 v[6:7], 4, v[5:6]
	v_add_nc_u32_e32 v5, s5, v5
	s_delay_alu instid0(VALU_DEP_2) | instskip(SKIP_1) | instid1(VALU_DEP_3)
	v_add_co_u32 v61, vcc_lo, s0, v6
	s_wait_alu 0xfffd
	v_add_co_ci_u32_e64 v62, null, s1, v7, vcc_lo
	s_delay_alu instid0(VALU_DEP_3) | instskip(NEXT) | instid1(VALU_DEP_1)
	v_ashrrev_i32_e32 v6, 31, v5
	v_lshlrev_b64_e32 v[6:7], 4, v[5:6]
	v_add_nc_u32_e32 v5, s5, v5
	s_delay_alu instid0(VALU_DEP_2) | instskip(SKIP_1) | instid1(VALU_DEP_3)
	;; [unrolled: 8-line block ×5, first 2 shown]
	v_add_co_u32 v69, vcc_lo, s0, v6
	s_wait_alu 0xfffd
	v_add_co_ci_u32_e64 v70, null, s1, v7, vcc_lo
	s_delay_alu instid0(VALU_DEP_3) | instskip(NEXT) | instid1(VALU_DEP_1)
	v_ashrrev_i32_e32 v6, 31, v5
	v_lshlrev_b64_e32 v[5:6], 4, v[5:6]
	s_delay_alu instid0(VALU_DEP_1) | instskip(SKIP_1) | instid1(VALU_DEP_2)
	v_add_co_u32 v71, vcc_lo, s0, v5
	s_wait_alu 0xfffd
	v_add_co_ci_u32_e64 v72, null, s1, v6, vcc_lo
	s_movk_i32 s0, 0x50
	s_movk_i32 s1, 0x70
	s_wait_alu 0xfffe
	s_add_co_i32 s4, s0, 16
	s_movk_i32 s0, 0x60
	s_add_co_i32 s5, s1, 16
	s_wait_alu 0xfffe
	s_add_co_i32 s24, s0, 16
	s_movk_i32 s0, 0x80
	s_movk_i32 s1, 0x90
	s_wait_alu 0xfffe
	s_add_co_i32 s25, s0, 16
	s_add_co_i32 s10, s1, 16
	s_movk_i32 s0, 0xa0
	s_movk_i32 s1, 0xb0
	s_wait_alu 0xfffe
	s_add_co_i32 s26, s0, 16
	;; [unrolled: 5-line block ×11, first 2 shown]
	s_add_co_i32 s21, s1, 16
	s_bitcmp0_b32 s39, 0
	s_mov_b32 s1, -1
	s_wait_loadcnt_dscnt 0x0
	scratch_store_b128 off, v[1:4], off offset:32
	flat_load_b128 v[1:4], v[17:18]
	s_wait_loadcnt_dscnt 0x0
	scratch_store_b128 off, v[1:4], off offset:48
	flat_load_b128 v[1:4], v[19:20]
	;; [unrolled: 3-line block ×28, first 2 shown]
	s_wait_loadcnt_dscnt 0x0
	scratch_store_b128 off, v[1:4], off offset:480
	s_cbranch_scc1 .LBB93_132
; %bb.4:
	v_cmp_eq_u32_e64 s0, 0, v0
	s_and_saveexec_b32 s1, s0
; %bb.5:
	v_mov_b32_e32 v1, 0
	ds_store_b32 v1, v1 offset:960
; %bb.6:
	s_wait_alu 0xfffe
	s_or_b32 exec_lo, exec_lo, s1
	s_wait_storecnt_dscnt 0x0
	s_barrier_signal -1
	s_barrier_wait -1
	global_inv scope:SCOPE_SE
	scratch_load_b128 v[1:4], v73, off offset:16
	s_wait_loadcnt 0x0
	v_cmp_eq_f64_e32 vcc_lo, 0, v[1:2]
	v_cmp_eq_f64_e64 s1, 0, v[3:4]
	s_and_b32 s1, vcc_lo, s1
	s_wait_alu 0xfffe
	s_and_saveexec_b32 s39, s1
	s_cbranch_execz .LBB93_10
; %bb.7:
	v_mov_b32_e32 v1, 0
	s_mov_b32 s40, 0
	ds_load_b32 v2, v1 offset:960
	s_wait_dscnt 0x0
	v_readfirstlane_b32 s1, v2
	v_add_nc_u32_e32 v2, 1, v0
	s_cmp_eq_u32 s1, 0
	s_delay_alu instid0(VALU_DEP_1) | instskip(SKIP_1) | instid1(SALU_CYCLE_1)
	v_cmp_gt_i32_e32 vcc_lo, s1, v2
	s_cselect_b32 s41, -1, 0
	s_or_b32 s41, s41, vcc_lo
	s_delay_alu instid0(SALU_CYCLE_1)
	s_and_b32 exec_lo, exec_lo, s41
	s_cbranch_execz .LBB93_10
; %bb.8:
	v_mov_b32_e32 v3, s1
.LBB93_9:                               ; =>This Inner Loop Header: Depth=1
	ds_cmpstore_rtn_b32 v3, v1, v2, v3 offset:960
	s_wait_dscnt 0x0
	v_cmp_ne_u32_e32 vcc_lo, 0, v3
	v_cmp_le_i32_e64 s1, v3, v2
	s_and_b32 s1, vcc_lo, s1
	s_wait_alu 0xfffe
	s_and_b32 s1, exec_lo, s1
	s_wait_alu 0xfffe
	s_or_b32 s40, s1, s40
	s_delay_alu instid0(SALU_CYCLE_1)
	s_and_not1_b32 exec_lo, exec_lo, s40
	s_cbranch_execnz .LBB93_9
.LBB93_10:
	s_or_b32 exec_lo, exec_lo, s39
	v_mov_b32_e32 v1, 0
	s_barrier_signal -1
	s_barrier_wait -1
	global_inv scope:SCOPE_SE
	ds_load_b32 v2, v1 offset:960
	s_and_saveexec_b32 s1, s0
	s_cbranch_execz .LBB93_12
; %bb.11:
	s_lshl_b64 s[40:41], s[8:9], 2
	s_delay_alu instid0(SALU_CYCLE_1)
	s_add_nc_u64 s[40:41], s[6:7], s[40:41]
	s_wait_dscnt 0x0
	global_store_b32 v1, v2, s[40:41]
.LBB93_12:
	s_wait_alu 0xfffe
	s_or_b32 exec_lo, exec_lo, s1
	s_wait_dscnt 0x0
	v_cmp_ne_u32_e32 vcc_lo, 0, v2
	s_mov_b32 s1, 0
	s_cbranch_vccnz .LBB93_132
; %bb.13:
	v_add_nc_u32_e32 v74, 16, v73
                                        ; implicit-def: $vgpr1_vgpr2
                                        ; implicit-def: $vgpr9_vgpr10
	scratch_load_b128 v[5:8], v74, off
	s_wait_loadcnt 0x0
	v_cmp_ngt_f64_e64 s1, |v[5:6]|, |v[7:8]|
	s_wait_alu 0xfffe
	s_and_saveexec_b32 s39, s1
	s_delay_alu instid0(SALU_CYCLE_1)
	s_xor_b32 s1, exec_lo, s39
	s_cbranch_execz .LBB93_15
; %bb.14:
	v_div_scale_f64 v[1:2], null, v[7:8], v[7:8], v[5:6]
	v_div_scale_f64 v[11:12], vcc_lo, v[5:6], v[7:8], v[5:6]
	s_delay_alu instid0(VALU_DEP_2) | instskip(NEXT) | instid1(TRANS32_DEP_1)
	v_rcp_f64_e32 v[3:4], v[1:2]
	v_fma_f64 v[9:10], -v[1:2], v[3:4], 1.0
	s_delay_alu instid0(VALU_DEP_1) | instskip(NEXT) | instid1(VALU_DEP_1)
	v_fma_f64 v[3:4], v[3:4], v[9:10], v[3:4]
	v_fma_f64 v[9:10], -v[1:2], v[3:4], 1.0
	s_delay_alu instid0(VALU_DEP_1) | instskip(NEXT) | instid1(VALU_DEP_1)
	v_fma_f64 v[3:4], v[3:4], v[9:10], v[3:4]
	v_mul_f64_e32 v[9:10], v[11:12], v[3:4]
	s_delay_alu instid0(VALU_DEP_1) | instskip(SKIP_1) | instid1(VALU_DEP_1)
	v_fma_f64 v[1:2], -v[1:2], v[9:10], v[11:12]
	s_wait_alu 0xfffd
	v_div_fmas_f64 v[1:2], v[1:2], v[3:4], v[9:10]
	s_delay_alu instid0(VALU_DEP_1) | instskip(NEXT) | instid1(VALU_DEP_1)
	v_div_fixup_f64 v[1:2], v[1:2], v[7:8], v[5:6]
	v_fma_f64 v[3:4], v[5:6], v[1:2], v[7:8]
	s_delay_alu instid0(VALU_DEP_1) | instskip(SKIP_1) | instid1(VALU_DEP_2)
	v_div_scale_f64 v[5:6], null, v[3:4], v[3:4], 1.0
	v_div_scale_f64 v[11:12], vcc_lo, 1.0, v[3:4], 1.0
	v_rcp_f64_e32 v[7:8], v[5:6]
	s_delay_alu instid0(TRANS32_DEP_1) | instskip(NEXT) | instid1(VALU_DEP_1)
	v_fma_f64 v[9:10], -v[5:6], v[7:8], 1.0
	v_fma_f64 v[7:8], v[7:8], v[9:10], v[7:8]
	s_delay_alu instid0(VALU_DEP_1) | instskip(NEXT) | instid1(VALU_DEP_1)
	v_fma_f64 v[9:10], -v[5:6], v[7:8], 1.0
	v_fma_f64 v[7:8], v[7:8], v[9:10], v[7:8]
	s_delay_alu instid0(VALU_DEP_1) | instskip(NEXT) | instid1(VALU_DEP_1)
	v_mul_f64_e32 v[9:10], v[11:12], v[7:8]
	v_fma_f64 v[5:6], -v[5:6], v[9:10], v[11:12]
	s_wait_alu 0xfffd
	s_delay_alu instid0(VALU_DEP_1) | instskip(NEXT) | instid1(VALU_DEP_1)
	v_div_fmas_f64 v[5:6], v[5:6], v[7:8], v[9:10]
	v_div_fixup_f64 v[3:4], v[5:6], v[3:4], 1.0
                                        ; implicit-def: $vgpr5_vgpr6
	s_delay_alu instid0(VALU_DEP_1) | instskip(SKIP_1) | instid1(VALU_DEP_2)
	v_mul_f64_e32 v[1:2], v[1:2], v[3:4]
	v_xor_b32_e32 v4, 0x80000000, v4
	v_xor_b32_e32 v10, 0x80000000, v2
	s_delay_alu instid0(VALU_DEP_3)
	v_mov_b32_e32 v9, v1
.LBB93_15:
	s_wait_alu 0xfffe
	s_and_not1_saveexec_b32 s1, s1
	s_cbranch_execz .LBB93_17
; %bb.16:
	v_div_scale_f64 v[1:2], null, v[5:6], v[5:6], v[7:8]
	v_div_scale_f64 v[11:12], vcc_lo, v[7:8], v[5:6], v[7:8]
	s_delay_alu instid0(VALU_DEP_2) | instskip(NEXT) | instid1(TRANS32_DEP_1)
	v_rcp_f64_e32 v[3:4], v[1:2]
	v_fma_f64 v[9:10], -v[1:2], v[3:4], 1.0
	s_delay_alu instid0(VALU_DEP_1) | instskip(NEXT) | instid1(VALU_DEP_1)
	v_fma_f64 v[3:4], v[3:4], v[9:10], v[3:4]
	v_fma_f64 v[9:10], -v[1:2], v[3:4], 1.0
	s_delay_alu instid0(VALU_DEP_1) | instskip(NEXT) | instid1(VALU_DEP_1)
	v_fma_f64 v[3:4], v[3:4], v[9:10], v[3:4]
	v_mul_f64_e32 v[9:10], v[11:12], v[3:4]
	s_delay_alu instid0(VALU_DEP_1) | instskip(SKIP_1) | instid1(VALU_DEP_1)
	v_fma_f64 v[1:2], -v[1:2], v[9:10], v[11:12]
	s_wait_alu 0xfffd
	v_div_fmas_f64 v[1:2], v[1:2], v[3:4], v[9:10]
	s_delay_alu instid0(VALU_DEP_1) | instskip(NEXT) | instid1(VALU_DEP_1)
	v_div_fixup_f64 v[3:4], v[1:2], v[5:6], v[7:8]
	v_fma_f64 v[1:2], v[7:8], v[3:4], v[5:6]
	s_delay_alu instid0(VALU_DEP_1) | instskip(NEXT) | instid1(VALU_DEP_1)
	v_div_scale_f64 v[5:6], null, v[1:2], v[1:2], 1.0
	v_rcp_f64_e32 v[7:8], v[5:6]
	s_delay_alu instid0(TRANS32_DEP_1) | instskip(NEXT) | instid1(VALU_DEP_1)
	v_fma_f64 v[9:10], -v[5:6], v[7:8], 1.0
	v_fma_f64 v[7:8], v[7:8], v[9:10], v[7:8]
	s_delay_alu instid0(VALU_DEP_1) | instskip(NEXT) | instid1(VALU_DEP_1)
	v_fma_f64 v[9:10], -v[5:6], v[7:8], 1.0
	v_fma_f64 v[7:8], v[7:8], v[9:10], v[7:8]
	v_div_scale_f64 v[9:10], vcc_lo, 1.0, v[1:2], 1.0
	s_delay_alu instid0(VALU_DEP_1) | instskip(NEXT) | instid1(VALU_DEP_1)
	v_mul_f64_e32 v[11:12], v[9:10], v[7:8]
	v_fma_f64 v[5:6], -v[5:6], v[11:12], v[9:10]
	s_wait_alu 0xfffd
	s_delay_alu instid0(VALU_DEP_1) | instskip(NEXT) | instid1(VALU_DEP_1)
	v_div_fmas_f64 v[5:6], v[5:6], v[7:8], v[11:12]
	v_div_fixup_f64 v[1:2], v[5:6], v[1:2], 1.0
	s_delay_alu instid0(VALU_DEP_1)
	v_mul_f64_e64 v[3:4], v[3:4], -v[1:2]
	v_xor_b32_e32 v10, 0x80000000, v2
	v_mov_b32_e32 v9, v1
.LBB93_17:
	s_wait_alu 0xfffe
	s_or_b32 exec_lo, exec_lo, s1
	scratch_store_b128 v74, v[1:4], off
	scratch_load_b128 v[75:78], off, s38
	v_xor_b32_e32 v12, 0x80000000, v4
	v_mov_b32_e32 v11, v3
	v_add_nc_u32_e32 v5, 0x1e0, v73
	ds_store_b128 v73, v[9:12]
	s_wait_loadcnt 0x0
	ds_store_b128 v73, v[75:78] offset:480
	s_wait_storecnt_dscnt 0x0
	s_barrier_signal -1
	s_barrier_wait -1
	global_inv scope:SCOPE_SE
	s_and_saveexec_b32 s1, s0
	s_cbranch_execz .LBB93_19
; %bb.18:
	scratch_load_b128 v[1:4], v74, off
	ds_load_b128 v[6:9], v5
	v_mov_b32_e32 v10, 0
	ds_load_b128 v[75:78], v10 offset:16
	s_wait_loadcnt_dscnt 0x1
	v_mul_f64_e32 v[10:11], v[6:7], v[3:4]
	v_mul_f64_e32 v[3:4], v[8:9], v[3:4]
	s_delay_alu instid0(VALU_DEP_2) | instskip(NEXT) | instid1(VALU_DEP_2)
	v_fma_f64 v[8:9], v[8:9], v[1:2], v[10:11]
	v_fma_f64 v[1:2], v[6:7], v[1:2], -v[3:4]
	s_delay_alu instid0(VALU_DEP_2) | instskip(NEXT) | instid1(VALU_DEP_2)
	v_add_f64_e32 v[3:4], 0, v[8:9]
	v_add_f64_e32 v[1:2], 0, v[1:2]
	s_wait_dscnt 0x0
	s_delay_alu instid0(VALU_DEP_2) | instskip(NEXT) | instid1(VALU_DEP_2)
	v_mul_f64_e32 v[6:7], v[3:4], v[77:78]
	v_mul_f64_e32 v[8:9], v[1:2], v[77:78]
	s_delay_alu instid0(VALU_DEP_2) | instskip(NEXT) | instid1(VALU_DEP_2)
	v_fma_f64 v[1:2], v[1:2], v[75:76], -v[6:7]
	v_fma_f64 v[3:4], v[3:4], v[75:76], v[8:9]
	scratch_store_b128 off, v[1:4], off offset:32
.LBB93_19:
	s_wait_alu 0xfffe
	s_or_b32 exec_lo, exec_lo, s1
	s_wait_loadcnt 0x0
	s_wait_storecnt 0x0
	s_barrier_signal -1
	s_barrier_wait -1
	global_inv scope:SCOPE_SE
	scratch_load_b128 v[1:4], off, s37
	s_mov_b32 s1, exec_lo
	s_wait_loadcnt 0x0
	ds_store_b128 v5, v[1:4]
	s_wait_dscnt 0x0
	s_barrier_signal -1
	s_barrier_wait -1
	global_inv scope:SCOPE_SE
	v_cmpx_gt_u32_e32 2, v0
	s_cbranch_execz .LBB93_23
; %bb.20:
	scratch_load_b128 v[1:4], v74, off
	ds_load_b128 v[6:9], v5
	s_wait_loadcnt_dscnt 0x0
	v_mul_f64_e32 v[10:11], v[8:9], v[3:4]
	v_mul_f64_e32 v[3:4], v[6:7], v[3:4]
	s_delay_alu instid0(VALU_DEP_2) | instskip(NEXT) | instid1(VALU_DEP_2)
	v_fma_f64 v[6:7], v[6:7], v[1:2], -v[10:11]
	v_fma_f64 v[3:4], v[8:9], v[1:2], v[3:4]
	s_delay_alu instid0(VALU_DEP_2) | instskip(NEXT) | instid1(VALU_DEP_2)
	v_add_f64_e32 v[1:2], 0, v[6:7]
	v_add_f64_e32 v[3:4], 0, v[3:4]
	s_and_saveexec_b32 s39, s0
	s_cbranch_execz .LBB93_22
; %bb.21:
	scratch_load_b128 v[6:9], off, off offset:32
	v_mov_b32_e32 v10, 0
	ds_load_b128 v[75:78], v10 offset:496
	s_wait_loadcnt_dscnt 0x0
	v_mul_f64_e32 v[10:11], v[75:76], v[8:9]
	v_mul_f64_e32 v[8:9], v[77:78], v[8:9]
	s_delay_alu instid0(VALU_DEP_2) | instskip(NEXT) | instid1(VALU_DEP_2)
	v_fma_f64 v[10:11], v[77:78], v[6:7], v[10:11]
	v_fma_f64 v[6:7], v[75:76], v[6:7], -v[8:9]
	s_delay_alu instid0(VALU_DEP_2) | instskip(NEXT) | instid1(VALU_DEP_2)
	v_add_f64_e32 v[3:4], v[3:4], v[10:11]
	v_add_f64_e32 v[1:2], v[1:2], v[6:7]
.LBB93_22:
	s_or_b32 exec_lo, exec_lo, s39
	v_mov_b32_e32 v6, 0
	ds_load_b128 v[6:9], v6 offset:32
	s_wait_dscnt 0x0
	v_mul_f64_e32 v[10:11], v[3:4], v[8:9]
	v_mul_f64_e32 v[8:9], v[1:2], v[8:9]
	s_delay_alu instid0(VALU_DEP_2) | instskip(NEXT) | instid1(VALU_DEP_2)
	v_fma_f64 v[1:2], v[1:2], v[6:7], -v[10:11]
	v_fma_f64 v[3:4], v[3:4], v[6:7], v[8:9]
	scratch_store_b128 off, v[1:4], off offset:48
.LBB93_23:
	s_wait_alu 0xfffe
	s_or_b32 exec_lo, exec_lo, s1
	s_wait_loadcnt 0x0
	s_wait_storecnt 0x0
	s_barrier_signal -1
	s_barrier_wait -1
	global_inv scope:SCOPE_SE
	scratch_load_b128 v[1:4], off, s22
	v_add_nc_u32_e32 v6, -1, v0
	s_mov_b32 s0, exec_lo
	s_wait_loadcnt 0x0
	ds_store_b128 v5, v[1:4]
	s_wait_dscnt 0x0
	s_barrier_signal -1
	s_barrier_wait -1
	global_inv scope:SCOPE_SE
	v_cmpx_gt_u32_e32 3, v0
	s_cbranch_execz .LBB93_27
; %bb.24:
	v_dual_mov_b32 v1, 0 :: v_dual_add_nc_u32 v8, 0x1e0, v73
	v_mov_b32_e32 v3, 0
	v_dual_mov_b32 v2, 0 :: v_dual_add_nc_u32 v7, -1, v0
	v_mov_b32_e32 v4, 0
	v_or_b32_e32 v9, 8, v74
	s_mov_b32 s1, 0
.LBB93_25:                              ; =>This Inner Loop Header: Depth=1
	scratch_load_b128 v[75:78], v9, off offset:-8
	ds_load_b128 v[79:82], v8
	v_add_nc_u32_e32 v7, 1, v7
	v_add_nc_u32_e32 v8, 16, v8
	v_add_nc_u32_e32 v9, 16, v9
	s_delay_alu instid0(VALU_DEP_3)
	v_cmp_lt_u32_e32 vcc_lo, 1, v7
	s_wait_alu 0xfffe
	s_or_b32 s1, vcc_lo, s1
	s_wait_loadcnt_dscnt 0x0
	v_mul_f64_e32 v[10:11], v[81:82], v[77:78]
	v_mul_f64_e32 v[77:78], v[79:80], v[77:78]
	s_delay_alu instid0(VALU_DEP_2) | instskip(NEXT) | instid1(VALU_DEP_2)
	v_fma_f64 v[10:11], v[79:80], v[75:76], -v[10:11]
	v_fma_f64 v[75:76], v[81:82], v[75:76], v[77:78]
	s_delay_alu instid0(VALU_DEP_2) | instskip(NEXT) | instid1(VALU_DEP_2)
	v_add_f64_e32 v[3:4], v[3:4], v[10:11]
	v_add_f64_e32 v[1:2], v[1:2], v[75:76]
	s_wait_alu 0xfffe
	s_and_not1_b32 exec_lo, exec_lo, s1
	s_cbranch_execnz .LBB93_25
; %bb.26:
	s_or_b32 exec_lo, exec_lo, s1
	v_mov_b32_e32 v7, 0
	ds_load_b128 v[7:10], v7 offset:48
	s_wait_dscnt 0x0
	v_mul_f64_e32 v[11:12], v[1:2], v[9:10]
	v_mul_f64_e32 v[75:76], v[3:4], v[9:10]
	s_delay_alu instid0(VALU_DEP_2) | instskip(NEXT) | instid1(VALU_DEP_2)
	v_fma_f64 v[9:10], v[3:4], v[7:8], -v[11:12]
	v_fma_f64 v[11:12], v[1:2], v[7:8], v[75:76]
	scratch_store_b128 off, v[9:12], off offset:64
.LBB93_27:
	s_wait_alu 0xfffe
	s_or_b32 exec_lo, exec_lo, s0
	s_wait_loadcnt 0x0
	s_wait_storecnt 0x0
	s_barrier_signal -1
	s_barrier_wait -1
	global_inv scope:SCOPE_SE
	scratch_load_b128 v[1:4], off, s23
	s_mov_b32 s0, exec_lo
	s_wait_loadcnt 0x0
	ds_store_b128 v5, v[1:4]
	s_wait_dscnt 0x0
	s_barrier_signal -1
	s_barrier_wait -1
	global_inv scope:SCOPE_SE
	v_cmpx_gt_u32_e32 4, v0
	s_cbranch_execz .LBB93_31
; %bb.28:
	v_dual_mov_b32 v1, 0 :: v_dual_add_nc_u32 v8, 0x1e0, v73
	v_mov_b32_e32 v3, 0
	v_dual_mov_b32 v2, 0 :: v_dual_add_nc_u32 v7, -1, v0
	v_mov_b32_e32 v4, 0
	v_or_b32_e32 v9, 8, v74
	s_mov_b32 s1, 0
.LBB93_29:                              ; =>This Inner Loop Header: Depth=1
	scratch_load_b128 v[75:78], v9, off offset:-8
	ds_load_b128 v[79:82], v8
	v_add_nc_u32_e32 v7, 1, v7
	v_add_nc_u32_e32 v8, 16, v8
	v_add_nc_u32_e32 v9, 16, v9
	s_delay_alu instid0(VALU_DEP_3)
	v_cmp_lt_u32_e32 vcc_lo, 2, v7
	s_wait_alu 0xfffe
	s_or_b32 s1, vcc_lo, s1
	s_wait_loadcnt_dscnt 0x0
	v_mul_f64_e32 v[10:11], v[81:82], v[77:78]
	v_mul_f64_e32 v[77:78], v[79:80], v[77:78]
	s_delay_alu instid0(VALU_DEP_2) | instskip(NEXT) | instid1(VALU_DEP_2)
	v_fma_f64 v[10:11], v[79:80], v[75:76], -v[10:11]
	v_fma_f64 v[75:76], v[81:82], v[75:76], v[77:78]
	s_delay_alu instid0(VALU_DEP_2) | instskip(NEXT) | instid1(VALU_DEP_2)
	v_add_f64_e32 v[3:4], v[3:4], v[10:11]
	v_add_f64_e32 v[1:2], v[1:2], v[75:76]
	s_wait_alu 0xfffe
	s_and_not1_b32 exec_lo, exec_lo, s1
	s_cbranch_execnz .LBB93_29
; %bb.30:
	s_or_b32 exec_lo, exec_lo, s1
	v_mov_b32_e32 v7, 0
	ds_load_b128 v[7:10], v7 offset:64
	s_wait_dscnt 0x0
	v_mul_f64_e32 v[11:12], v[1:2], v[9:10]
	v_mul_f64_e32 v[75:76], v[3:4], v[9:10]
	s_delay_alu instid0(VALU_DEP_2) | instskip(NEXT) | instid1(VALU_DEP_2)
	v_fma_f64 v[9:10], v[3:4], v[7:8], -v[11:12]
	v_fma_f64 v[11:12], v[1:2], v[7:8], v[75:76]
	scratch_store_b128 off, v[9:12], off offset:80
.LBB93_31:
	s_wait_alu 0xfffe
	s_or_b32 exec_lo, exec_lo, s0
	s_wait_loadcnt 0x0
	s_wait_storecnt 0x0
	s_barrier_signal -1
	s_barrier_wait -1
	global_inv scope:SCOPE_SE
	scratch_load_b128 v[1:4], off, s4
	;; [unrolled: 58-line block ×19, first 2 shown]
	s_mov_b32 s0, exec_lo
	s_wait_loadcnt 0x0
	ds_store_b128 v5, v[1:4]
	s_wait_dscnt 0x0
	s_barrier_signal -1
	s_barrier_wait -1
	global_inv scope:SCOPE_SE
	v_cmpx_gt_u32_e32 22, v0
	s_cbranch_execz .LBB93_103
; %bb.100:
	v_dual_mov_b32 v1, 0 :: v_dual_add_nc_u32 v8, 0x1e0, v73
	v_mov_b32_e32 v3, 0
	v_dual_mov_b32 v2, 0 :: v_dual_add_nc_u32 v7, -1, v0
	v_mov_b32_e32 v4, 0
	v_or_b32_e32 v9, 8, v74
	s_mov_b32 s1, 0
.LBB93_101:                             ; =>This Inner Loop Header: Depth=1
	scratch_load_b128 v[75:78], v9, off offset:-8
	ds_load_b128 v[79:82], v8
	v_add_nc_u32_e32 v7, 1, v7
	v_add_nc_u32_e32 v8, 16, v8
	v_add_nc_u32_e32 v9, 16, v9
	s_delay_alu instid0(VALU_DEP_3)
	v_cmp_lt_u32_e32 vcc_lo, 20, v7
	s_wait_alu 0xfffe
	s_or_b32 s1, vcc_lo, s1
	s_wait_loadcnt_dscnt 0x0
	v_mul_f64_e32 v[10:11], v[81:82], v[77:78]
	v_mul_f64_e32 v[77:78], v[79:80], v[77:78]
	s_delay_alu instid0(VALU_DEP_2) | instskip(NEXT) | instid1(VALU_DEP_2)
	v_fma_f64 v[10:11], v[79:80], v[75:76], -v[10:11]
	v_fma_f64 v[75:76], v[81:82], v[75:76], v[77:78]
	s_delay_alu instid0(VALU_DEP_2) | instskip(NEXT) | instid1(VALU_DEP_2)
	v_add_f64_e32 v[3:4], v[3:4], v[10:11]
	v_add_f64_e32 v[1:2], v[1:2], v[75:76]
	s_wait_alu 0xfffe
	s_and_not1_b32 exec_lo, exec_lo, s1
	s_cbranch_execnz .LBB93_101
; %bb.102:
	s_or_b32 exec_lo, exec_lo, s1
	v_mov_b32_e32 v7, 0
	ds_load_b128 v[7:10], v7 offset:352
	s_wait_dscnt 0x0
	v_mul_f64_e32 v[11:12], v[1:2], v[9:10]
	v_mul_f64_e32 v[75:76], v[3:4], v[9:10]
	s_delay_alu instid0(VALU_DEP_2) | instskip(NEXT) | instid1(VALU_DEP_2)
	v_fma_f64 v[9:10], v[3:4], v[7:8], -v[11:12]
	v_fma_f64 v[11:12], v[1:2], v[7:8], v[75:76]
	scratch_store_b128 off, v[9:12], off offset:368
.LBB93_103:
	s_wait_alu 0xfffe
	s_or_b32 exec_lo, exec_lo, s0
	s_wait_loadcnt 0x0
	s_wait_storecnt 0x0
	s_barrier_signal -1
	s_barrier_wait -1
	global_inv scope:SCOPE_SE
	scratch_load_b128 v[1:4], off, s18
	s_mov_b32 s0, exec_lo
	s_wait_loadcnt 0x0
	ds_store_b128 v5, v[1:4]
	s_wait_dscnt 0x0
	s_barrier_signal -1
	s_barrier_wait -1
	global_inv scope:SCOPE_SE
	v_cmpx_gt_u32_e32 23, v0
	s_cbranch_execz .LBB93_107
; %bb.104:
	v_dual_mov_b32 v1, 0 :: v_dual_add_nc_u32 v8, 0x1e0, v73
	v_mov_b32_e32 v3, 0
	v_dual_mov_b32 v2, 0 :: v_dual_add_nc_u32 v7, -1, v0
	v_mov_b32_e32 v4, 0
	v_or_b32_e32 v9, 8, v74
	s_mov_b32 s1, 0
.LBB93_105:                             ; =>This Inner Loop Header: Depth=1
	scratch_load_b128 v[75:78], v9, off offset:-8
	ds_load_b128 v[79:82], v8
	v_add_nc_u32_e32 v7, 1, v7
	v_add_nc_u32_e32 v8, 16, v8
	v_add_nc_u32_e32 v9, 16, v9
	s_delay_alu instid0(VALU_DEP_3)
	v_cmp_lt_u32_e32 vcc_lo, 21, v7
	s_wait_alu 0xfffe
	s_or_b32 s1, vcc_lo, s1
	s_wait_loadcnt_dscnt 0x0
	v_mul_f64_e32 v[10:11], v[81:82], v[77:78]
	v_mul_f64_e32 v[77:78], v[79:80], v[77:78]
	s_delay_alu instid0(VALU_DEP_2) | instskip(NEXT) | instid1(VALU_DEP_2)
	v_fma_f64 v[10:11], v[79:80], v[75:76], -v[10:11]
	v_fma_f64 v[75:76], v[81:82], v[75:76], v[77:78]
	s_delay_alu instid0(VALU_DEP_2) | instskip(NEXT) | instid1(VALU_DEP_2)
	v_add_f64_e32 v[3:4], v[3:4], v[10:11]
	v_add_f64_e32 v[1:2], v[1:2], v[75:76]
	s_wait_alu 0xfffe
	s_and_not1_b32 exec_lo, exec_lo, s1
	s_cbranch_execnz .LBB93_105
; %bb.106:
	s_or_b32 exec_lo, exec_lo, s1
	v_mov_b32_e32 v7, 0
	ds_load_b128 v[7:10], v7 offset:368
	s_wait_dscnt 0x0
	v_mul_f64_e32 v[11:12], v[1:2], v[9:10]
	v_mul_f64_e32 v[75:76], v[3:4], v[9:10]
	s_delay_alu instid0(VALU_DEP_2) | instskip(NEXT) | instid1(VALU_DEP_2)
	v_fma_f64 v[9:10], v[3:4], v[7:8], -v[11:12]
	v_fma_f64 v[11:12], v[1:2], v[7:8], v[75:76]
	scratch_store_b128 off, v[9:12], off offset:384
.LBB93_107:
	s_wait_alu 0xfffe
	s_or_b32 exec_lo, exec_lo, s0
	s_wait_loadcnt 0x0
	s_wait_storecnt 0x0
	s_barrier_signal -1
	s_barrier_wait -1
	global_inv scope:SCOPE_SE
	scratch_load_b128 v[1:4], off, s34
	;; [unrolled: 58-line block ×7, first 2 shown]
	s_mov_b32 s0, exec_lo
	s_wait_loadcnt 0x0
	ds_store_b128 v5, v[1:4]
	s_wait_dscnt 0x0
	s_barrier_signal -1
	s_barrier_wait -1
	global_inv scope:SCOPE_SE
	v_cmpx_ne_u32_e32 29, v0
	s_cbranch_execz .LBB93_131
; %bb.128:
	v_mov_b32_e32 v1, 0
	v_dual_mov_b32 v2, 0 :: v_dual_mov_b32 v3, 0
	v_mov_b32_e32 v4, 0
	v_or_b32_e32 v7, 8, v74
	s_mov_b32 s1, 0
.LBB93_129:                             ; =>This Inner Loop Header: Depth=1
	scratch_load_b128 v[8:11], v7, off offset:-8
	ds_load_b128 v[73:76], v5
	v_add_nc_u32_e32 v6, 1, v6
	v_add_nc_u32_e32 v5, 16, v5
	;; [unrolled: 1-line block ×3, first 2 shown]
	s_delay_alu instid0(VALU_DEP_3)
	v_cmp_lt_u32_e32 vcc_lo, 27, v6
	s_wait_alu 0xfffe
	s_or_b32 s1, vcc_lo, s1
	s_wait_loadcnt_dscnt 0x0
	v_mul_f64_e32 v[77:78], v[75:76], v[10:11]
	v_mul_f64_e32 v[10:11], v[73:74], v[10:11]
	s_delay_alu instid0(VALU_DEP_2) | instskip(NEXT) | instid1(VALU_DEP_2)
	v_fma_f64 v[73:74], v[73:74], v[8:9], -v[77:78]
	v_fma_f64 v[8:9], v[75:76], v[8:9], v[10:11]
	s_delay_alu instid0(VALU_DEP_2) | instskip(NEXT) | instid1(VALU_DEP_2)
	v_add_f64_e32 v[3:4], v[3:4], v[73:74]
	v_add_f64_e32 v[1:2], v[1:2], v[8:9]
	s_wait_alu 0xfffe
	s_and_not1_b32 exec_lo, exec_lo, s1
	s_cbranch_execnz .LBB93_129
; %bb.130:
	s_or_b32 exec_lo, exec_lo, s1
	v_mov_b32_e32 v5, 0
	ds_load_b128 v[5:8], v5 offset:464
	s_wait_dscnt 0x0
	v_mul_f64_e32 v[9:10], v[1:2], v[7:8]
	v_mul_f64_e32 v[7:8], v[3:4], v[7:8]
	s_delay_alu instid0(VALU_DEP_2) | instskip(NEXT) | instid1(VALU_DEP_2)
	v_fma_f64 v[3:4], v[3:4], v[5:6], -v[9:10]
	v_fma_f64 v[5:6], v[1:2], v[5:6], v[7:8]
	scratch_store_b128 off, v[3:6], off offset:480
.LBB93_131:
	s_wait_alu 0xfffe
	s_or_b32 exec_lo, exec_lo, s0
	s_mov_b32 s1, -1
	s_wait_loadcnt 0x0
	s_wait_storecnt 0x0
	s_barrier_signal -1
	s_barrier_wait -1
	global_inv scope:SCOPE_SE
.LBB93_132:
	s_wait_alu 0xfffe
	s_and_b32 vcc_lo, exec_lo, s1
	s_wait_alu 0xfffe
	s_cbranch_vccz .LBB93_134
; %bb.133:
	v_mov_b32_e32 v1, 0
	s_lshl_b64 s[0:1], s[8:9], 2
	s_wait_alu 0xfffe
	s_add_nc_u64 s[0:1], s[6:7], s[0:1]
	global_load_b32 v1, v1, s[0:1]
	s_wait_loadcnt 0x0
	v_cmp_ne_u32_e32 vcc_lo, 0, v1
	s_cbranch_vccz .LBB93_135
.LBB93_134:
	s_nop 0
	s_sendmsg sendmsg(MSG_DEALLOC_VGPRS)
	s_endpgm
.LBB93_135:
	v_lshl_add_u32 v5, v0, 4, 0x1e0
	s_mov_b32 s0, exec_lo
	v_cmpx_eq_u32_e32 29, v0
	s_cbranch_execz .LBB93_137
; %bb.136:
	scratch_load_b128 v[1:4], off, s36
	v_mov_b32_e32 v6, 0
	s_delay_alu instid0(VALU_DEP_1)
	v_dual_mov_b32 v7, v6 :: v_dual_mov_b32 v8, v6
	v_mov_b32_e32 v9, v6
	scratch_store_b128 off, v[6:9], off offset:464
	s_wait_loadcnt 0x0
	ds_store_b128 v5, v[1:4]
.LBB93_137:
	s_wait_alu 0xfffe
	s_or_b32 exec_lo, exec_lo, s0
	s_wait_storecnt_dscnt 0x0
	s_barrier_signal -1
	s_barrier_wait -1
	global_inv scope:SCOPE_SE
	s_clause 0x1
	scratch_load_b128 v[6:9], off, off offset:480
	scratch_load_b128 v[73:76], off, off offset:464
	v_mov_b32_e32 v1, 0
	s_mov_b32 s0, exec_lo
	ds_load_b128 v[77:80], v1 offset:944
	s_wait_loadcnt_dscnt 0x100
	v_mul_f64_e32 v[2:3], v[79:80], v[8:9]
	v_mul_f64_e32 v[8:9], v[77:78], v[8:9]
	s_delay_alu instid0(VALU_DEP_2) | instskip(NEXT) | instid1(VALU_DEP_2)
	v_fma_f64 v[2:3], v[77:78], v[6:7], -v[2:3]
	v_fma_f64 v[6:7], v[79:80], v[6:7], v[8:9]
	s_delay_alu instid0(VALU_DEP_2) | instskip(NEXT) | instid1(VALU_DEP_2)
	v_add_f64_e32 v[2:3], 0, v[2:3]
	v_add_f64_e32 v[8:9], 0, v[6:7]
	s_wait_loadcnt 0x0
	s_delay_alu instid0(VALU_DEP_2) | instskip(NEXT) | instid1(VALU_DEP_2)
	v_add_f64_e64 v[6:7], v[73:74], -v[2:3]
	v_add_f64_e64 v[8:9], v[75:76], -v[8:9]
	scratch_store_b128 off, v[6:9], off offset:464
	v_cmpx_lt_u32_e32 27, v0
	s_cbranch_execz .LBB93_139
; %bb.138:
	scratch_load_b128 v[6:9], off, s20
	v_dual_mov_b32 v2, v1 :: v_dual_mov_b32 v3, v1
	v_mov_b32_e32 v4, v1
	scratch_store_b128 off, v[1:4], off offset:448
	s_wait_loadcnt 0x0
	ds_store_b128 v5, v[6:9]
.LBB93_139:
	s_wait_alu 0xfffe
	s_or_b32 exec_lo, exec_lo, s0
	s_wait_storecnt_dscnt 0x0
	s_barrier_signal -1
	s_barrier_wait -1
	global_inv scope:SCOPE_SE
	s_clause 0x2
	scratch_load_b128 v[6:9], off, off offset:464
	scratch_load_b128 v[73:76], off, off offset:480
	;; [unrolled: 1-line block ×3, first 2 shown]
	ds_load_b128 v[81:84], v1 offset:928
	ds_load_b128 v[1:4], v1 offset:944
	s_mov_b32 s0, exec_lo
	s_wait_loadcnt_dscnt 0x201
	v_mul_f64_e32 v[10:11], v[83:84], v[8:9]
	v_mul_f64_e32 v[8:9], v[81:82], v[8:9]
	s_wait_loadcnt_dscnt 0x100
	v_mul_f64_e32 v[85:86], v[1:2], v[75:76]
	v_mul_f64_e32 v[75:76], v[3:4], v[75:76]
	s_delay_alu instid0(VALU_DEP_4) | instskip(NEXT) | instid1(VALU_DEP_4)
	v_fma_f64 v[10:11], v[81:82], v[6:7], -v[10:11]
	v_fma_f64 v[6:7], v[83:84], v[6:7], v[8:9]
	s_delay_alu instid0(VALU_DEP_4) | instskip(NEXT) | instid1(VALU_DEP_4)
	v_fma_f64 v[3:4], v[3:4], v[73:74], v[85:86]
	v_fma_f64 v[1:2], v[1:2], v[73:74], -v[75:76]
	s_delay_alu instid0(VALU_DEP_4) | instskip(NEXT) | instid1(VALU_DEP_4)
	v_add_f64_e32 v[8:9], 0, v[10:11]
	v_add_f64_e32 v[6:7], 0, v[6:7]
	s_delay_alu instid0(VALU_DEP_2) | instskip(NEXT) | instid1(VALU_DEP_2)
	v_add_f64_e32 v[1:2], v[8:9], v[1:2]
	v_add_f64_e32 v[3:4], v[6:7], v[3:4]
	s_wait_loadcnt 0x0
	s_delay_alu instid0(VALU_DEP_2) | instskip(NEXT) | instid1(VALU_DEP_2)
	v_add_f64_e64 v[1:2], v[77:78], -v[1:2]
	v_add_f64_e64 v[3:4], v[79:80], -v[3:4]
	scratch_store_b128 off, v[1:4], off offset:448
	v_cmpx_lt_u32_e32 26, v0
	s_cbranch_execz .LBB93_141
; %bb.140:
	scratch_load_b128 v[1:4], off, s35
	v_mov_b32_e32 v6, 0
	s_delay_alu instid0(VALU_DEP_1)
	v_dual_mov_b32 v7, v6 :: v_dual_mov_b32 v8, v6
	v_mov_b32_e32 v9, v6
	scratch_store_b128 off, v[6:9], off offset:432
	s_wait_loadcnt 0x0
	ds_store_b128 v5, v[1:4]
.LBB93_141:
	s_wait_alu 0xfffe
	s_or_b32 exec_lo, exec_lo, s0
	s_wait_storecnt_dscnt 0x0
	s_barrier_signal -1
	s_barrier_wait -1
	global_inv scope:SCOPE_SE
	s_clause 0x3
	scratch_load_b128 v[6:9], off, off offset:448
	scratch_load_b128 v[73:76], off, off offset:464
	;; [unrolled: 1-line block ×4, first 2 shown]
	v_mov_b32_e32 v1, 0
	ds_load_b128 v[85:88], v1 offset:912
	ds_load_b128 v[89:92], v1 offset:928
	s_mov_b32 s0, exec_lo
	s_wait_loadcnt_dscnt 0x301
	v_mul_f64_e32 v[2:3], v[87:88], v[8:9]
	v_mul_f64_e32 v[8:9], v[85:86], v[8:9]
	s_wait_loadcnt_dscnt 0x200
	v_mul_f64_e32 v[10:11], v[89:90], v[75:76]
	v_mul_f64_e32 v[75:76], v[91:92], v[75:76]
	s_delay_alu instid0(VALU_DEP_4) | instskip(NEXT) | instid1(VALU_DEP_4)
	v_fma_f64 v[2:3], v[85:86], v[6:7], -v[2:3]
	v_fma_f64 v[85:86], v[87:88], v[6:7], v[8:9]
	ds_load_b128 v[6:9], v1 offset:944
	v_fma_f64 v[10:11], v[91:92], v[73:74], v[10:11]
	v_fma_f64 v[73:74], v[89:90], v[73:74], -v[75:76]
	s_wait_loadcnt_dscnt 0x100
	v_mul_f64_e32 v[87:88], v[6:7], v[79:80]
	v_mul_f64_e32 v[79:80], v[8:9], v[79:80]
	v_add_f64_e32 v[2:3], 0, v[2:3]
	v_add_f64_e32 v[75:76], 0, v[85:86]
	s_delay_alu instid0(VALU_DEP_4) | instskip(NEXT) | instid1(VALU_DEP_4)
	v_fma_f64 v[8:9], v[8:9], v[77:78], v[87:88]
	v_fma_f64 v[6:7], v[6:7], v[77:78], -v[79:80]
	s_delay_alu instid0(VALU_DEP_4) | instskip(NEXT) | instid1(VALU_DEP_4)
	v_add_f64_e32 v[2:3], v[2:3], v[73:74]
	v_add_f64_e32 v[10:11], v[75:76], v[10:11]
	s_delay_alu instid0(VALU_DEP_2) | instskip(NEXT) | instid1(VALU_DEP_2)
	v_add_f64_e32 v[2:3], v[2:3], v[6:7]
	v_add_f64_e32 v[8:9], v[10:11], v[8:9]
	s_wait_loadcnt 0x0
	s_delay_alu instid0(VALU_DEP_2) | instskip(NEXT) | instid1(VALU_DEP_2)
	v_add_f64_e64 v[6:7], v[81:82], -v[2:3]
	v_add_f64_e64 v[8:9], v[83:84], -v[8:9]
	scratch_store_b128 off, v[6:9], off offset:432
	v_cmpx_lt_u32_e32 25, v0
	s_cbranch_execz .LBB93_143
; %bb.142:
	scratch_load_b128 v[6:9], off, s19
	v_dual_mov_b32 v2, v1 :: v_dual_mov_b32 v3, v1
	v_mov_b32_e32 v4, v1
	scratch_store_b128 off, v[1:4], off offset:416
	s_wait_loadcnt 0x0
	ds_store_b128 v5, v[6:9]
.LBB93_143:
	s_wait_alu 0xfffe
	s_or_b32 exec_lo, exec_lo, s0
	s_wait_storecnt_dscnt 0x0
	s_barrier_signal -1
	s_barrier_wait -1
	global_inv scope:SCOPE_SE
	s_clause 0x4
	scratch_load_b128 v[6:9], off, off offset:432
	scratch_load_b128 v[73:76], off, off offset:448
	;; [unrolled: 1-line block ×5, first 2 shown]
	ds_load_b128 v[89:92], v1 offset:896
	ds_load_b128 v[93:96], v1 offset:912
	s_mov_b32 s0, exec_lo
	s_wait_loadcnt_dscnt 0x401
	v_mul_f64_e32 v[2:3], v[91:92], v[8:9]
	v_mul_f64_e32 v[8:9], v[89:90], v[8:9]
	s_wait_loadcnt_dscnt 0x300
	v_mul_f64_e32 v[10:11], v[93:94], v[75:76]
	v_mul_f64_e32 v[75:76], v[95:96], v[75:76]
	s_delay_alu instid0(VALU_DEP_4) | instskip(NEXT) | instid1(VALU_DEP_4)
	v_fma_f64 v[89:90], v[89:90], v[6:7], -v[2:3]
	v_fma_f64 v[91:92], v[91:92], v[6:7], v[8:9]
	ds_load_b128 v[6:9], v1 offset:928
	ds_load_b128 v[1:4], v1 offset:944
	v_fma_f64 v[10:11], v[95:96], v[73:74], v[10:11]
	v_fma_f64 v[73:74], v[93:94], v[73:74], -v[75:76]
	s_wait_loadcnt_dscnt 0x201
	v_mul_f64_e32 v[97:98], v[6:7], v[79:80]
	v_mul_f64_e32 v[79:80], v[8:9], v[79:80]
	v_add_f64_e32 v[75:76], 0, v[89:90]
	v_add_f64_e32 v[89:90], 0, v[91:92]
	s_wait_loadcnt_dscnt 0x100
	v_mul_f64_e32 v[91:92], v[1:2], v[83:84]
	v_mul_f64_e32 v[83:84], v[3:4], v[83:84]
	v_fma_f64 v[8:9], v[8:9], v[77:78], v[97:98]
	v_fma_f64 v[6:7], v[6:7], v[77:78], -v[79:80]
	v_add_f64_e32 v[73:74], v[75:76], v[73:74]
	v_add_f64_e32 v[10:11], v[89:90], v[10:11]
	v_fma_f64 v[3:4], v[3:4], v[81:82], v[91:92]
	v_fma_f64 v[1:2], v[1:2], v[81:82], -v[83:84]
	s_delay_alu instid0(VALU_DEP_4) | instskip(NEXT) | instid1(VALU_DEP_4)
	v_add_f64_e32 v[6:7], v[73:74], v[6:7]
	v_add_f64_e32 v[8:9], v[10:11], v[8:9]
	s_delay_alu instid0(VALU_DEP_2) | instskip(NEXT) | instid1(VALU_DEP_2)
	v_add_f64_e32 v[1:2], v[6:7], v[1:2]
	v_add_f64_e32 v[3:4], v[8:9], v[3:4]
	s_wait_loadcnt 0x0
	s_delay_alu instid0(VALU_DEP_2) | instskip(NEXT) | instid1(VALU_DEP_2)
	v_add_f64_e64 v[1:2], v[85:86], -v[1:2]
	v_add_f64_e64 v[3:4], v[87:88], -v[3:4]
	scratch_store_b128 off, v[1:4], off offset:416
	v_cmpx_lt_u32_e32 24, v0
	s_cbranch_execz .LBB93_145
; %bb.144:
	scratch_load_b128 v[1:4], off, s34
	v_mov_b32_e32 v6, 0
	s_delay_alu instid0(VALU_DEP_1)
	v_dual_mov_b32 v7, v6 :: v_dual_mov_b32 v8, v6
	v_mov_b32_e32 v9, v6
	scratch_store_b128 off, v[6:9], off offset:400
	s_wait_loadcnt 0x0
	ds_store_b128 v5, v[1:4]
.LBB93_145:
	s_wait_alu 0xfffe
	s_or_b32 exec_lo, exec_lo, s0
	s_wait_storecnt_dscnt 0x0
	s_barrier_signal -1
	s_barrier_wait -1
	global_inv scope:SCOPE_SE
	s_clause 0x5
	scratch_load_b128 v[6:9], off, off offset:416
	scratch_load_b128 v[73:76], off, off offset:432
	;; [unrolled: 1-line block ×6, first 2 shown]
	v_mov_b32_e32 v1, 0
	ds_load_b128 v[93:96], v1 offset:880
	ds_load_b128 v[97:100], v1 offset:896
	s_mov_b32 s0, exec_lo
	s_wait_loadcnt_dscnt 0x501
	v_mul_f64_e32 v[2:3], v[95:96], v[8:9]
	v_mul_f64_e32 v[8:9], v[93:94], v[8:9]
	s_wait_loadcnt_dscnt 0x400
	v_mul_f64_e32 v[10:11], v[97:98], v[75:76]
	v_mul_f64_e32 v[75:76], v[99:100], v[75:76]
	s_delay_alu instid0(VALU_DEP_4) | instskip(NEXT) | instid1(VALU_DEP_4)
	v_fma_f64 v[2:3], v[93:94], v[6:7], -v[2:3]
	v_fma_f64 v[101:102], v[95:96], v[6:7], v[8:9]
	ds_load_b128 v[6:9], v1 offset:912
	ds_load_b128 v[93:96], v1 offset:928
	v_fma_f64 v[10:11], v[99:100], v[73:74], v[10:11]
	v_fma_f64 v[73:74], v[97:98], v[73:74], -v[75:76]
	s_wait_loadcnt_dscnt 0x301
	v_mul_f64_e32 v[103:104], v[6:7], v[79:80]
	v_mul_f64_e32 v[79:80], v[8:9], v[79:80]
	s_wait_loadcnt_dscnt 0x200
	v_mul_f64_e32 v[97:98], v[93:94], v[83:84]
	v_mul_f64_e32 v[83:84], v[95:96], v[83:84]
	v_add_f64_e32 v[2:3], 0, v[2:3]
	v_add_f64_e32 v[75:76], 0, v[101:102]
	v_fma_f64 v[99:100], v[8:9], v[77:78], v[103:104]
	v_fma_f64 v[77:78], v[6:7], v[77:78], -v[79:80]
	ds_load_b128 v[6:9], v1 offset:944
	v_fma_f64 v[79:80], v[95:96], v[81:82], v[97:98]
	v_fma_f64 v[81:82], v[93:94], v[81:82], -v[83:84]
	v_add_f64_e32 v[2:3], v[2:3], v[73:74]
	v_add_f64_e32 v[10:11], v[75:76], v[10:11]
	s_wait_loadcnt_dscnt 0x100
	v_mul_f64_e32 v[73:74], v[6:7], v[87:88]
	v_mul_f64_e32 v[75:76], v[8:9], v[87:88]
	s_delay_alu instid0(VALU_DEP_4) | instskip(NEXT) | instid1(VALU_DEP_4)
	v_add_f64_e32 v[2:3], v[2:3], v[77:78]
	v_add_f64_e32 v[10:11], v[10:11], v[99:100]
	s_delay_alu instid0(VALU_DEP_4) | instskip(NEXT) | instid1(VALU_DEP_4)
	v_fma_f64 v[8:9], v[8:9], v[85:86], v[73:74]
	v_fma_f64 v[6:7], v[6:7], v[85:86], -v[75:76]
	s_delay_alu instid0(VALU_DEP_4) | instskip(NEXT) | instid1(VALU_DEP_4)
	v_add_f64_e32 v[2:3], v[2:3], v[81:82]
	v_add_f64_e32 v[10:11], v[10:11], v[79:80]
	s_delay_alu instid0(VALU_DEP_2) | instskip(NEXT) | instid1(VALU_DEP_2)
	v_add_f64_e32 v[2:3], v[2:3], v[6:7]
	v_add_f64_e32 v[8:9], v[10:11], v[8:9]
	s_wait_loadcnt 0x0
	s_delay_alu instid0(VALU_DEP_2) | instskip(NEXT) | instid1(VALU_DEP_2)
	v_add_f64_e64 v[6:7], v[89:90], -v[2:3]
	v_add_f64_e64 v[8:9], v[91:92], -v[8:9]
	scratch_store_b128 off, v[6:9], off offset:400
	v_cmpx_lt_u32_e32 23, v0
	s_cbranch_execz .LBB93_147
; %bb.146:
	scratch_load_b128 v[6:9], off, s18
	v_dual_mov_b32 v2, v1 :: v_dual_mov_b32 v3, v1
	v_mov_b32_e32 v4, v1
	scratch_store_b128 off, v[1:4], off offset:384
	s_wait_loadcnt 0x0
	ds_store_b128 v5, v[6:9]
.LBB93_147:
	s_wait_alu 0xfffe
	s_or_b32 exec_lo, exec_lo, s0
	s_wait_storecnt_dscnt 0x0
	s_barrier_signal -1
	s_barrier_wait -1
	global_inv scope:SCOPE_SE
	s_clause 0x5
	scratch_load_b128 v[6:9], off, off offset:400
	scratch_load_b128 v[73:76], off, off offset:416
	;; [unrolled: 1-line block ×6, first 2 shown]
	ds_load_b128 v[93:96], v1 offset:864
	ds_load_b128 v[101:104], v1 offset:880
	scratch_load_b128 v[97:100], off, off offset:384
	s_mov_b32 s0, exec_lo
	s_wait_loadcnt_dscnt 0x601
	v_mul_f64_e32 v[2:3], v[95:96], v[8:9]
	v_mul_f64_e32 v[8:9], v[93:94], v[8:9]
	s_wait_loadcnt_dscnt 0x500
	v_mul_f64_e32 v[10:11], v[101:102], v[75:76]
	v_mul_f64_e32 v[75:76], v[103:104], v[75:76]
	s_delay_alu instid0(VALU_DEP_4) | instskip(NEXT) | instid1(VALU_DEP_4)
	v_fma_f64 v[2:3], v[93:94], v[6:7], -v[2:3]
	v_fma_f64 v[105:106], v[95:96], v[6:7], v[8:9]
	ds_load_b128 v[6:9], v1 offset:896
	ds_load_b128 v[93:96], v1 offset:912
	v_fma_f64 v[10:11], v[103:104], v[73:74], v[10:11]
	v_fma_f64 v[73:74], v[101:102], v[73:74], -v[75:76]
	s_wait_loadcnt_dscnt 0x401
	v_mul_f64_e32 v[107:108], v[6:7], v[79:80]
	v_mul_f64_e32 v[79:80], v[8:9], v[79:80]
	s_wait_loadcnt_dscnt 0x300
	v_mul_f64_e32 v[101:102], v[93:94], v[83:84]
	v_mul_f64_e32 v[83:84], v[95:96], v[83:84]
	v_add_f64_e32 v[2:3], 0, v[2:3]
	v_add_f64_e32 v[75:76], 0, v[105:106]
	v_fma_f64 v[103:104], v[8:9], v[77:78], v[107:108]
	v_fma_f64 v[77:78], v[6:7], v[77:78], -v[79:80]
	s_delay_alu instid0(VALU_DEP_4) | instskip(NEXT) | instid1(VALU_DEP_4)
	v_add_f64_e32 v[73:74], v[2:3], v[73:74]
	v_add_f64_e32 v[10:11], v[75:76], v[10:11]
	ds_load_b128 v[6:9], v1 offset:928
	ds_load_b128 v[1:4], v1 offset:944
	s_wait_loadcnt_dscnt 0x201
	v_mul_f64_e32 v[75:76], v[6:7], v[87:88]
	v_mul_f64_e32 v[79:80], v[8:9], v[87:88]
	v_fma_f64 v[87:88], v[95:96], v[81:82], v[101:102]
	v_fma_f64 v[81:82], v[93:94], v[81:82], -v[83:84]
	s_wait_loadcnt_dscnt 0x100
	v_mul_f64_e32 v[83:84], v[3:4], v[91:92]
	v_add_f64_e32 v[73:74], v[73:74], v[77:78]
	v_add_f64_e32 v[10:11], v[10:11], v[103:104]
	v_mul_f64_e32 v[77:78], v[1:2], v[91:92]
	v_fma_f64 v[8:9], v[8:9], v[85:86], v[75:76]
	v_fma_f64 v[6:7], v[6:7], v[85:86], -v[79:80]
	v_fma_f64 v[1:2], v[1:2], v[89:90], -v[83:84]
	v_add_f64_e32 v[73:74], v[73:74], v[81:82]
	v_add_f64_e32 v[10:11], v[10:11], v[87:88]
	v_fma_f64 v[3:4], v[3:4], v[89:90], v[77:78]
	s_delay_alu instid0(VALU_DEP_3) | instskip(NEXT) | instid1(VALU_DEP_3)
	v_add_f64_e32 v[6:7], v[73:74], v[6:7]
	v_add_f64_e32 v[8:9], v[10:11], v[8:9]
	s_delay_alu instid0(VALU_DEP_2) | instskip(NEXT) | instid1(VALU_DEP_2)
	v_add_f64_e32 v[1:2], v[6:7], v[1:2]
	v_add_f64_e32 v[3:4], v[8:9], v[3:4]
	s_wait_loadcnt 0x0
	s_delay_alu instid0(VALU_DEP_2) | instskip(NEXT) | instid1(VALU_DEP_2)
	v_add_f64_e64 v[1:2], v[97:98], -v[1:2]
	v_add_f64_e64 v[3:4], v[99:100], -v[3:4]
	scratch_store_b128 off, v[1:4], off offset:384
	v_cmpx_lt_u32_e32 22, v0
	s_cbranch_execz .LBB93_149
; %bb.148:
	scratch_load_b128 v[1:4], off, s33
	v_mov_b32_e32 v6, 0
	s_delay_alu instid0(VALU_DEP_1)
	v_dual_mov_b32 v7, v6 :: v_dual_mov_b32 v8, v6
	v_mov_b32_e32 v9, v6
	scratch_store_b128 off, v[6:9], off offset:368
	s_wait_loadcnt 0x0
	ds_store_b128 v5, v[1:4]
.LBB93_149:
	s_wait_alu 0xfffe
	s_or_b32 exec_lo, exec_lo, s0
	s_wait_storecnt_dscnt 0x0
	s_barrier_signal -1
	s_barrier_wait -1
	global_inv scope:SCOPE_SE
	s_clause 0x6
	scratch_load_b128 v[6:9], off, off offset:384
	scratch_load_b128 v[73:76], off, off offset:400
	;; [unrolled: 1-line block ×7, first 2 shown]
	v_mov_b32_e32 v1, 0
	scratch_load_b128 v[101:104], off, off offset:368
	s_mov_b32 s0, exec_lo
	ds_load_b128 v[97:100], v1 offset:848
	ds_load_b128 v[105:108], v1 offset:864
	s_wait_loadcnt_dscnt 0x701
	v_mul_f64_e32 v[2:3], v[99:100], v[8:9]
	v_mul_f64_e32 v[8:9], v[97:98], v[8:9]
	s_wait_loadcnt_dscnt 0x600
	v_mul_f64_e32 v[10:11], v[105:106], v[75:76]
	v_mul_f64_e32 v[75:76], v[107:108], v[75:76]
	s_delay_alu instid0(VALU_DEP_4) | instskip(NEXT) | instid1(VALU_DEP_4)
	v_fma_f64 v[2:3], v[97:98], v[6:7], -v[2:3]
	v_fma_f64 v[109:110], v[99:100], v[6:7], v[8:9]
	ds_load_b128 v[6:9], v1 offset:880
	ds_load_b128 v[97:100], v1 offset:896
	v_fma_f64 v[10:11], v[107:108], v[73:74], v[10:11]
	v_fma_f64 v[73:74], v[105:106], v[73:74], -v[75:76]
	s_wait_loadcnt_dscnt 0x501
	v_mul_f64_e32 v[111:112], v[6:7], v[79:80]
	v_mul_f64_e32 v[79:80], v[8:9], v[79:80]
	s_wait_loadcnt_dscnt 0x400
	v_mul_f64_e32 v[105:106], v[97:98], v[83:84]
	v_mul_f64_e32 v[83:84], v[99:100], v[83:84]
	v_add_f64_e32 v[2:3], 0, v[2:3]
	v_add_f64_e32 v[75:76], 0, v[109:110]
	v_fma_f64 v[107:108], v[8:9], v[77:78], v[111:112]
	v_fma_f64 v[77:78], v[6:7], v[77:78], -v[79:80]
	v_fma_f64 v[99:100], v[99:100], v[81:82], v[105:106]
	v_fma_f64 v[81:82], v[97:98], v[81:82], -v[83:84]
	v_add_f64_e32 v[2:3], v[2:3], v[73:74]
	v_add_f64_e32 v[10:11], v[75:76], v[10:11]
	ds_load_b128 v[6:9], v1 offset:912
	ds_load_b128 v[73:76], v1 offset:928
	s_wait_loadcnt_dscnt 0x301
	v_mul_f64_e32 v[79:80], v[6:7], v[87:88]
	v_mul_f64_e32 v[87:88], v[8:9], v[87:88]
	s_wait_loadcnt_dscnt 0x200
	v_mul_f64_e32 v[83:84], v[75:76], v[91:92]
	v_add_f64_e32 v[2:3], v[2:3], v[77:78]
	v_add_f64_e32 v[10:11], v[10:11], v[107:108]
	v_mul_f64_e32 v[77:78], v[73:74], v[91:92]
	v_fma_f64 v[79:80], v[8:9], v[85:86], v[79:80]
	v_fma_f64 v[85:86], v[6:7], v[85:86], -v[87:88]
	ds_load_b128 v[6:9], v1 offset:944
	v_fma_f64 v[73:74], v[73:74], v[89:90], -v[83:84]
	v_add_f64_e32 v[2:3], v[2:3], v[81:82]
	v_add_f64_e32 v[10:11], v[10:11], v[99:100]
	v_fma_f64 v[75:76], v[75:76], v[89:90], v[77:78]
	s_wait_loadcnt_dscnt 0x100
	v_mul_f64_e32 v[81:82], v[6:7], v[95:96]
	v_mul_f64_e32 v[87:88], v[8:9], v[95:96]
	v_add_f64_e32 v[2:3], v[2:3], v[85:86]
	v_add_f64_e32 v[10:11], v[10:11], v[79:80]
	s_delay_alu instid0(VALU_DEP_4) | instskip(NEXT) | instid1(VALU_DEP_4)
	v_fma_f64 v[8:9], v[8:9], v[93:94], v[81:82]
	v_fma_f64 v[6:7], v[6:7], v[93:94], -v[87:88]
	s_delay_alu instid0(VALU_DEP_4) | instskip(NEXT) | instid1(VALU_DEP_4)
	v_add_f64_e32 v[2:3], v[2:3], v[73:74]
	v_add_f64_e32 v[10:11], v[10:11], v[75:76]
	s_delay_alu instid0(VALU_DEP_2) | instskip(NEXT) | instid1(VALU_DEP_2)
	v_add_f64_e32 v[2:3], v[2:3], v[6:7]
	v_add_f64_e32 v[8:9], v[10:11], v[8:9]
	s_wait_loadcnt 0x0
	s_delay_alu instid0(VALU_DEP_2) | instskip(NEXT) | instid1(VALU_DEP_2)
	v_add_f64_e64 v[6:7], v[101:102], -v[2:3]
	v_add_f64_e64 v[8:9], v[103:104], -v[8:9]
	scratch_store_b128 off, v[6:9], off offset:368
	v_cmpx_lt_u32_e32 21, v0
	s_cbranch_execz .LBB93_151
; %bb.150:
	scratch_load_b128 v[6:9], off, s17
	v_dual_mov_b32 v2, v1 :: v_dual_mov_b32 v3, v1
	v_mov_b32_e32 v4, v1
	scratch_store_b128 off, v[1:4], off offset:352
	s_wait_loadcnt 0x0
	ds_store_b128 v5, v[6:9]
.LBB93_151:
	s_wait_alu 0xfffe
	s_or_b32 exec_lo, exec_lo, s0
	s_wait_storecnt_dscnt 0x0
	s_barrier_signal -1
	s_barrier_wait -1
	global_inv scope:SCOPE_SE
	s_clause 0x7
	scratch_load_b128 v[6:9], off, off offset:368
	scratch_load_b128 v[73:76], off, off offset:384
	;; [unrolled: 1-line block ×8, first 2 shown]
	ds_load_b128 v[101:104], v1 offset:832
	ds_load_b128 v[105:108], v1 offset:848
	scratch_load_b128 v[109:112], off, off offset:352
	s_mov_b32 s0, exec_lo
	s_wait_loadcnt_dscnt 0x801
	v_mul_f64_e32 v[2:3], v[103:104], v[8:9]
	v_mul_f64_e32 v[8:9], v[101:102], v[8:9]
	s_wait_loadcnt_dscnt 0x700
	v_mul_f64_e32 v[10:11], v[105:106], v[75:76]
	v_mul_f64_e32 v[75:76], v[107:108], v[75:76]
	s_delay_alu instid0(VALU_DEP_4) | instskip(NEXT) | instid1(VALU_DEP_4)
	v_fma_f64 v[2:3], v[101:102], v[6:7], -v[2:3]
	v_fma_f64 v[113:114], v[103:104], v[6:7], v[8:9]
	ds_load_b128 v[6:9], v1 offset:864
	ds_load_b128 v[101:104], v1 offset:880
	v_fma_f64 v[10:11], v[107:108], v[73:74], v[10:11]
	v_fma_f64 v[73:74], v[105:106], v[73:74], -v[75:76]
	s_wait_loadcnt_dscnt 0x601
	v_mul_f64_e32 v[115:116], v[6:7], v[79:80]
	v_mul_f64_e32 v[79:80], v[8:9], v[79:80]
	s_wait_loadcnt_dscnt 0x500
	v_mul_f64_e32 v[105:106], v[101:102], v[83:84]
	v_mul_f64_e32 v[83:84], v[103:104], v[83:84]
	v_add_f64_e32 v[2:3], 0, v[2:3]
	v_add_f64_e32 v[75:76], 0, v[113:114]
	v_fma_f64 v[107:108], v[8:9], v[77:78], v[115:116]
	v_fma_f64 v[77:78], v[6:7], v[77:78], -v[79:80]
	v_fma_f64 v[103:104], v[103:104], v[81:82], v[105:106]
	v_fma_f64 v[81:82], v[101:102], v[81:82], -v[83:84]
	v_add_f64_e32 v[2:3], v[2:3], v[73:74]
	v_add_f64_e32 v[10:11], v[75:76], v[10:11]
	ds_load_b128 v[6:9], v1 offset:896
	ds_load_b128 v[73:76], v1 offset:912
	s_wait_loadcnt_dscnt 0x401
	v_mul_f64_e32 v[79:80], v[6:7], v[87:88]
	v_mul_f64_e32 v[87:88], v[8:9], v[87:88]
	s_wait_loadcnt_dscnt 0x300
	v_mul_f64_e32 v[83:84], v[75:76], v[91:92]
	v_add_f64_e32 v[2:3], v[2:3], v[77:78]
	v_add_f64_e32 v[10:11], v[10:11], v[107:108]
	v_mul_f64_e32 v[77:78], v[73:74], v[91:92]
	v_fma_f64 v[79:80], v[8:9], v[85:86], v[79:80]
	v_fma_f64 v[85:86], v[6:7], v[85:86], -v[87:88]
	v_fma_f64 v[73:74], v[73:74], v[89:90], -v[83:84]
	v_add_f64_e32 v[81:82], v[2:3], v[81:82]
	v_add_f64_e32 v[10:11], v[10:11], v[103:104]
	ds_load_b128 v[6:9], v1 offset:928
	ds_load_b128 v[1:4], v1 offset:944
	v_fma_f64 v[75:76], v[75:76], v[89:90], v[77:78]
	s_wait_loadcnt_dscnt 0x201
	v_mul_f64_e32 v[87:88], v[6:7], v[95:96]
	v_mul_f64_e32 v[91:92], v[8:9], v[95:96]
	v_add_f64_e32 v[77:78], v[81:82], v[85:86]
	v_add_f64_e32 v[10:11], v[10:11], v[79:80]
	s_wait_loadcnt_dscnt 0x100
	v_mul_f64_e32 v[79:80], v[1:2], v[99:100]
	v_mul_f64_e32 v[81:82], v[3:4], v[99:100]
	v_fma_f64 v[8:9], v[8:9], v[93:94], v[87:88]
	v_fma_f64 v[6:7], v[6:7], v[93:94], -v[91:92]
	v_add_f64_e32 v[73:74], v[77:78], v[73:74]
	v_add_f64_e32 v[10:11], v[10:11], v[75:76]
	v_fma_f64 v[3:4], v[3:4], v[97:98], v[79:80]
	v_fma_f64 v[1:2], v[1:2], v[97:98], -v[81:82]
	s_delay_alu instid0(VALU_DEP_4) | instskip(NEXT) | instid1(VALU_DEP_4)
	v_add_f64_e32 v[6:7], v[73:74], v[6:7]
	v_add_f64_e32 v[8:9], v[10:11], v[8:9]
	s_delay_alu instid0(VALU_DEP_2) | instskip(NEXT) | instid1(VALU_DEP_2)
	v_add_f64_e32 v[1:2], v[6:7], v[1:2]
	v_add_f64_e32 v[3:4], v[8:9], v[3:4]
	s_wait_loadcnt 0x0
	s_delay_alu instid0(VALU_DEP_2) | instskip(NEXT) | instid1(VALU_DEP_2)
	v_add_f64_e64 v[1:2], v[109:110], -v[1:2]
	v_add_f64_e64 v[3:4], v[111:112], -v[3:4]
	scratch_store_b128 off, v[1:4], off offset:352
	v_cmpx_lt_u32_e32 20, v0
	s_cbranch_execz .LBB93_153
; %bb.152:
	scratch_load_b128 v[1:4], off, s31
	v_mov_b32_e32 v6, 0
	s_delay_alu instid0(VALU_DEP_1)
	v_dual_mov_b32 v7, v6 :: v_dual_mov_b32 v8, v6
	v_mov_b32_e32 v9, v6
	scratch_store_b128 off, v[6:9], off offset:336
	s_wait_loadcnt 0x0
	ds_store_b128 v5, v[1:4]
.LBB93_153:
	s_wait_alu 0xfffe
	s_or_b32 exec_lo, exec_lo, s0
	s_wait_storecnt_dscnt 0x0
	s_barrier_signal -1
	s_barrier_wait -1
	global_inv scope:SCOPE_SE
	s_clause 0x7
	scratch_load_b128 v[6:9], off, off offset:352
	scratch_load_b128 v[73:76], off, off offset:368
	;; [unrolled: 1-line block ×8, first 2 shown]
	v_mov_b32_e32 v1, 0
	s_mov_b32 s0, exec_lo
	ds_load_b128 v[101:104], v1 offset:816
	s_clause 0x1
	scratch_load_b128 v[105:108], off, off offset:480
	scratch_load_b128 v[109:112], off, off offset:336
	ds_load_b128 v[113:116], v1 offset:832
	s_wait_loadcnt_dscnt 0x901
	v_mul_f64_e32 v[2:3], v[103:104], v[8:9]
	v_mul_f64_e32 v[8:9], v[101:102], v[8:9]
	s_wait_loadcnt_dscnt 0x800
	v_mul_f64_e32 v[10:11], v[113:114], v[75:76]
	v_mul_f64_e32 v[75:76], v[115:116], v[75:76]
	s_delay_alu instid0(VALU_DEP_4) | instskip(NEXT) | instid1(VALU_DEP_4)
	v_fma_f64 v[2:3], v[101:102], v[6:7], -v[2:3]
	v_fma_f64 v[117:118], v[103:104], v[6:7], v[8:9]
	ds_load_b128 v[6:9], v1 offset:848
	ds_load_b128 v[101:104], v1 offset:864
	v_fma_f64 v[10:11], v[115:116], v[73:74], v[10:11]
	v_fma_f64 v[73:74], v[113:114], v[73:74], -v[75:76]
	s_wait_loadcnt_dscnt 0x701
	v_mul_f64_e32 v[119:120], v[6:7], v[79:80]
	v_mul_f64_e32 v[79:80], v[8:9], v[79:80]
	s_wait_loadcnt_dscnt 0x600
	v_mul_f64_e32 v[113:114], v[101:102], v[83:84]
	v_mul_f64_e32 v[83:84], v[103:104], v[83:84]
	v_add_f64_e32 v[2:3], 0, v[2:3]
	v_add_f64_e32 v[75:76], 0, v[117:118]
	v_fma_f64 v[115:116], v[8:9], v[77:78], v[119:120]
	v_fma_f64 v[77:78], v[6:7], v[77:78], -v[79:80]
	v_fma_f64 v[103:104], v[103:104], v[81:82], v[113:114]
	v_fma_f64 v[81:82], v[101:102], v[81:82], -v[83:84]
	v_add_f64_e32 v[2:3], v[2:3], v[73:74]
	v_add_f64_e32 v[10:11], v[75:76], v[10:11]
	ds_load_b128 v[6:9], v1 offset:880
	ds_load_b128 v[73:76], v1 offset:896
	s_wait_loadcnt_dscnt 0x501
	v_mul_f64_e32 v[79:80], v[6:7], v[87:88]
	v_mul_f64_e32 v[87:88], v[8:9], v[87:88]
	s_wait_loadcnt_dscnt 0x400
	v_mul_f64_e32 v[83:84], v[73:74], v[91:92]
	v_mul_f64_e32 v[91:92], v[75:76], v[91:92]
	v_add_f64_e32 v[2:3], v[2:3], v[77:78]
	v_add_f64_e32 v[10:11], v[10:11], v[115:116]
	v_fma_f64 v[101:102], v[8:9], v[85:86], v[79:80]
	v_fma_f64 v[85:86], v[6:7], v[85:86], -v[87:88]
	ds_load_b128 v[6:9], v1 offset:912
	ds_load_b128 v[77:80], v1 offset:928
	v_fma_f64 v[75:76], v[75:76], v[89:90], v[83:84]
	v_fma_f64 v[73:74], v[73:74], v[89:90], -v[91:92]
	v_add_f64_e32 v[2:3], v[2:3], v[81:82]
	v_add_f64_e32 v[10:11], v[10:11], v[103:104]
	s_wait_loadcnt_dscnt 0x301
	v_mul_f64_e32 v[81:82], v[6:7], v[95:96]
	v_mul_f64_e32 v[87:88], v[8:9], v[95:96]
	s_wait_loadcnt_dscnt 0x200
	v_mul_f64_e32 v[83:84], v[77:78], v[99:100]
	v_add_f64_e32 v[2:3], v[2:3], v[85:86]
	v_add_f64_e32 v[10:11], v[10:11], v[101:102]
	v_mul_f64_e32 v[85:86], v[79:80], v[99:100]
	v_fma_f64 v[81:82], v[8:9], v[93:94], v[81:82]
	v_fma_f64 v[87:88], v[6:7], v[93:94], -v[87:88]
	ds_load_b128 v[6:9], v1 offset:944
	v_fma_f64 v[79:80], v[79:80], v[97:98], v[83:84]
	v_add_f64_e32 v[2:3], v[2:3], v[73:74]
	v_add_f64_e32 v[10:11], v[10:11], v[75:76]
	s_wait_loadcnt_dscnt 0x100
	v_mul_f64_e32 v[73:74], v[6:7], v[107:108]
	v_mul_f64_e32 v[75:76], v[8:9], v[107:108]
	v_fma_f64 v[77:78], v[77:78], v[97:98], -v[85:86]
	v_add_f64_e32 v[2:3], v[2:3], v[87:88]
	v_add_f64_e32 v[10:11], v[10:11], v[81:82]
	v_fma_f64 v[8:9], v[8:9], v[105:106], v[73:74]
	v_fma_f64 v[6:7], v[6:7], v[105:106], -v[75:76]
	s_delay_alu instid0(VALU_DEP_4) | instskip(NEXT) | instid1(VALU_DEP_4)
	v_add_f64_e32 v[2:3], v[2:3], v[77:78]
	v_add_f64_e32 v[10:11], v[10:11], v[79:80]
	s_delay_alu instid0(VALU_DEP_2) | instskip(NEXT) | instid1(VALU_DEP_2)
	v_add_f64_e32 v[2:3], v[2:3], v[6:7]
	v_add_f64_e32 v[8:9], v[10:11], v[8:9]
	s_wait_loadcnt 0x0
	s_delay_alu instid0(VALU_DEP_2) | instskip(NEXT) | instid1(VALU_DEP_2)
	v_add_f64_e64 v[6:7], v[109:110], -v[2:3]
	v_add_f64_e64 v[8:9], v[111:112], -v[8:9]
	scratch_store_b128 off, v[6:9], off offset:336
	v_cmpx_lt_u32_e32 19, v0
	s_cbranch_execz .LBB93_155
; %bb.154:
	scratch_load_b128 v[6:9], off, s16
	v_dual_mov_b32 v2, v1 :: v_dual_mov_b32 v3, v1
	v_mov_b32_e32 v4, v1
	scratch_store_b128 off, v[1:4], off offset:320
	s_wait_loadcnt 0x0
	ds_store_b128 v5, v[6:9]
.LBB93_155:
	s_wait_alu 0xfffe
	s_or_b32 exec_lo, exec_lo, s0
	s_wait_storecnt_dscnt 0x0
	s_barrier_signal -1
	s_barrier_wait -1
	global_inv scope:SCOPE_SE
	s_clause 0x8
	scratch_load_b128 v[6:9], off, off offset:336
	scratch_load_b128 v[73:76], off, off offset:352
	;; [unrolled: 1-line block ×9, first 2 shown]
	ds_load_b128 v[105:108], v1 offset:800
	ds_load_b128 v[109:112], v1 offset:816
	scratch_load_b128 v[113:116], off, off offset:320
	s_mov_b32 s0, exec_lo
	s_wait_loadcnt_dscnt 0x901
	v_mul_f64_e32 v[2:3], v[107:108], v[8:9]
	v_mul_f64_e32 v[117:118], v[105:106], v[8:9]
	scratch_load_b128 v[8:11], off, off offset:480
	s_wait_loadcnt_dscnt 0x900
	v_mul_f64_e32 v[121:122], v[109:110], v[75:76]
	v_mul_f64_e32 v[75:76], v[111:112], v[75:76]
	v_fma_f64 v[2:3], v[105:106], v[6:7], -v[2:3]
	v_fma_f64 v[6:7], v[107:108], v[6:7], v[117:118]
	ds_load_b128 v[105:108], v1 offset:832
	ds_load_b128 v[117:120], v1 offset:848
	v_fma_f64 v[111:112], v[111:112], v[73:74], v[121:122]
	v_fma_f64 v[73:74], v[109:110], v[73:74], -v[75:76]
	s_wait_loadcnt_dscnt 0x801
	v_mul_f64_e32 v[123:124], v[105:106], v[79:80]
	v_mul_f64_e32 v[79:80], v[107:108], v[79:80]
	s_wait_loadcnt_dscnt 0x700
	v_mul_f64_e32 v[109:110], v[117:118], v[83:84]
	v_mul_f64_e32 v[83:84], v[119:120], v[83:84]
	v_add_f64_e32 v[2:3], 0, v[2:3]
	v_add_f64_e32 v[6:7], 0, v[6:7]
	v_fma_f64 v[107:108], v[107:108], v[77:78], v[123:124]
	v_fma_f64 v[105:106], v[105:106], v[77:78], -v[79:80]
	v_fma_f64 v[109:110], v[119:120], v[81:82], v[109:110]
	v_fma_f64 v[81:82], v[117:118], v[81:82], -v[83:84]
	v_add_f64_e32 v[2:3], v[2:3], v[73:74]
	v_add_f64_e32 v[6:7], v[6:7], v[111:112]
	ds_load_b128 v[73:76], v1 offset:864
	ds_load_b128 v[77:80], v1 offset:880
	s_wait_loadcnt_dscnt 0x601
	v_mul_f64_e32 v[111:112], v[73:74], v[87:88]
	v_mul_f64_e32 v[87:88], v[75:76], v[87:88]
	v_add_f64_e32 v[2:3], v[2:3], v[105:106]
	v_add_f64_e32 v[6:7], v[6:7], v[107:108]
	s_wait_loadcnt_dscnt 0x500
	v_mul_f64_e32 v[105:106], v[77:78], v[91:92]
	v_mul_f64_e32 v[91:92], v[79:80], v[91:92]
	v_fma_f64 v[107:108], v[75:76], v[85:86], v[111:112]
	v_fma_f64 v[85:86], v[73:74], v[85:86], -v[87:88]
	v_add_f64_e32 v[2:3], v[2:3], v[81:82]
	v_add_f64_e32 v[6:7], v[6:7], v[109:110]
	ds_load_b128 v[73:76], v1 offset:896
	ds_load_b128 v[81:84], v1 offset:912
	v_fma_f64 v[79:80], v[79:80], v[89:90], v[105:106]
	v_fma_f64 v[77:78], v[77:78], v[89:90], -v[91:92]
	s_wait_loadcnt_dscnt 0x401
	v_mul_f64_e32 v[87:88], v[73:74], v[95:96]
	v_mul_f64_e32 v[95:96], v[75:76], v[95:96]
	s_wait_loadcnt_dscnt 0x300
	v_mul_f64_e32 v[89:90], v[83:84], v[99:100]
	v_add_f64_e32 v[2:3], v[2:3], v[85:86]
	v_add_f64_e32 v[6:7], v[6:7], v[107:108]
	v_mul_f64_e32 v[85:86], v[81:82], v[99:100]
	v_fma_f64 v[87:88], v[75:76], v[93:94], v[87:88]
	v_fma_f64 v[91:92], v[73:74], v[93:94], -v[95:96]
	v_fma_f64 v[81:82], v[81:82], v[97:98], -v[89:90]
	v_add_f64_e32 v[77:78], v[2:3], v[77:78]
	v_add_f64_e32 v[6:7], v[6:7], v[79:80]
	ds_load_b128 v[73:76], v1 offset:928
	ds_load_b128 v[1:4], v1 offset:944
	v_fma_f64 v[83:84], v[83:84], v[97:98], v[85:86]
	s_wait_loadcnt_dscnt 0x201
	v_mul_f64_e32 v[79:80], v[73:74], v[103:104]
	v_mul_f64_e32 v[93:94], v[75:76], v[103:104]
	v_add_f64_e32 v[77:78], v[77:78], v[91:92]
	v_add_f64_e32 v[6:7], v[6:7], v[87:88]
	s_wait_loadcnt_dscnt 0x0
	v_mul_f64_e32 v[85:86], v[1:2], v[10:11]
	v_mul_f64_e32 v[10:11], v[3:4], v[10:11]
	v_fma_f64 v[75:76], v[75:76], v[101:102], v[79:80]
	v_fma_f64 v[73:74], v[73:74], v[101:102], -v[93:94]
	v_add_f64_e32 v[77:78], v[77:78], v[81:82]
	v_add_f64_e32 v[6:7], v[6:7], v[83:84]
	v_fma_f64 v[3:4], v[3:4], v[8:9], v[85:86]
	v_fma_f64 v[1:2], v[1:2], v[8:9], -v[10:11]
	s_delay_alu instid0(VALU_DEP_4) | instskip(NEXT) | instid1(VALU_DEP_4)
	v_add_f64_e32 v[8:9], v[77:78], v[73:74]
	v_add_f64_e32 v[6:7], v[6:7], v[75:76]
	s_delay_alu instid0(VALU_DEP_2) | instskip(NEXT) | instid1(VALU_DEP_2)
	v_add_f64_e32 v[1:2], v[8:9], v[1:2]
	v_add_f64_e32 v[3:4], v[6:7], v[3:4]
	s_delay_alu instid0(VALU_DEP_2) | instskip(NEXT) | instid1(VALU_DEP_2)
	v_add_f64_e64 v[1:2], v[113:114], -v[1:2]
	v_add_f64_e64 v[3:4], v[115:116], -v[3:4]
	scratch_store_b128 off, v[1:4], off offset:320
	v_cmpx_lt_u32_e32 18, v0
	s_cbranch_execz .LBB93_157
; %bb.156:
	scratch_load_b128 v[1:4], off, s30
	v_mov_b32_e32 v6, 0
	s_delay_alu instid0(VALU_DEP_1)
	v_dual_mov_b32 v7, v6 :: v_dual_mov_b32 v8, v6
	v_mov_b32_e32 v9, v6
	scratch_store_b128 off, v[6:9], off offset:304
	s_wait_loadcnt 0x0
	ds_store_b128 v5, v[1:4]
.LBB93_157:
	s_wait_alu 0xfffe
	s_or_b32 exec_lo, exec_lo, s0
	s_wait_storecnt_dscnt 0x0
	s_barrier_signal -1
	s_barrier_wait -1
	global_inv scope:SCOPE_SE
	s_clause 0x7
	scratch_load_b128 v[6:9], off, off offset:320
	scratch_load_b128 v[73:76], off, off offset:336
	;; [unrolled: 1-line block ×8, first 2 shown]
	v_mov_b32_e32 v1, 0
	s_mov_b32 s0, exec_lo
	ds_load_b128 v[101:104], v1 offset:784
	s_clause 0x1
	scratch_load_b128 v[105:108], off, off offset:448
	scratch_load_b128 v[109:112], off, off offset:304
	ds_load_b128 v[113:116], v1 offset:800
	ds_load_b128 v[121:124], v1 offset:832
	s_wait_loadcnt_dscnt 0x902
	v_mul_f64_e32 v[2:3], v[103:104], v[8:9]
	v_mul_f64_e32 v[117:118], v[101:102], v[8:9]
	scratch_load_b128 v[8:11], off, off offset:464
	v_fma_f64 v[2:3], v[101:102], v[6:7], -v[2:3]
	v_fma_f64 v[6:7], v[103:104], v[6:7], v[117:118]
	ds_load_b128 v[101:104], v1 offset:816
	s_wait_loadcnt_dscnt 0x902
	v_mul_f64_e32 v[125:126], v[113:114], v[75:76]
	v_mul_f64_e32 v[75:76], v[115:116], v[75:76]
	scratch_load_b128 v[117:120], off, off offset:480
	s_wait_loadcnt_dscnt 0x900
	v_mul_f64_e32 v[127:128], v[101:102], v[79:80]
	v_mul_f64_e32 v[79:80], v[103:104], v[79:80]
	v_add_f64_e32 v[2:3], 0, v[2:3]
	v_add_f64_e32 v[6:7], 0, v[6:7]
	v_fma_f64 v[115:116], v[115:116], v[73:74], v[125:126]
	v_fma_f64 v[73:74], v[113:114], v[73:74], -v[75:76]
	s_wait_loadcnt 0x8
	v_mul_f64_e32 v[113:114], v[121:122], v[83:84]
	v_mul_f64_e32 v[83:84], v[123:124], v[83:84]
	v_fma_f64 v[103:104], v[103:104], v[77:78], v[127:128]
	v_fma_f64 v[101:102], v[101:102], v[77:78], -v[79:80]
	v_add_f64_e32 v[6:7], v[6:7], v[115:116]
	v_add_f64_e32 v[2:3], v[2:3], v[73:74]
	ds_load_b128 v[73:76], v1 offset:848
	ds_load_b128 v[77:80], v1 offset:864
	v_fma_f64 v[113:114], v[123:124], v[81:82], v[113:114]
	v_fma_f64 v[81:82], v[121:122], v[81:82], -v[83:84]
	s_wait_loadcnt_dscnt 0x701
	v_mul_f64_e32 v[115:116], v[73:74], v[87:88]
	v_mul_f64_e32 v[87:88], v[75:76], v[87:88]
	v_add_f64_e32 v[6:7], v[6:7], v[103:104]
	v_add_f64_e32 v[2:3], v[2:3], v[101:102]
	s_wait_loadcnt_dscnt 0x600
	v_mul_f64_e32 v[101:102], v[77:78], v[91:92]
	v_mul_f64_e32 v[91:92], v[79:80], v[91:92]
	v_fma_f64 v[103:104], v[75:76], v[85:86], v[115:116]
	v_fma_f64 v[85:86], v[73:74], v[85:86], -v[87:88]
	v_add_f64_e32 v[6:7], v[6:7], v[113:114]
	v_add_f64_e32 v[2:3], v[2:3], v[81:82]
	ds_load_b128 v[73:76], v1 offset:880
	ds_load_b128 v[81:84], v1 offset:896
	v_fma_f64 v[79:80], v[79:80], v[89:90], v[101:102]
	v_fma_f64 v[77:78], v[77:78], v[89:90], -v[91:92]
	s_wait_loadcnt_dscnt 0x501
	v_mul_f64_e32 v[87:88], v[73:74], v[95:96]
	v_mul_f64_e32 v[95:96], v[75:76], v[95:96]
	s_wait_loadcnt_dscnt 0x400
	v_mul_f64_e32 v[89:90], v[83:84], v[99:100]
	v_add_f64_e32 v[6:7], v[6:7], v[103:104]
	v_add_f64_e32 v[2:3], v[2:3], v[85:86]
	v_mul_f64_e32 v[85:86], v[81:82], v[99:100]
	v_fma_f64 v[87:88], v[75:76], v[93:94], v[87:88]
	v_fma_f64 v[91:92], v[73:74], v[93:94], -v[95:96]
	v_fma_f64 v[81:82], v[81:82], v[97:98], -v[89:90]
	v_add_f64_e32 v[6:7], v[6:7], v[79:80]
	v_add_f64_e32 v[2:3], v[2:3], v[77:78]
	ds_load_b128 v[73:76], v1 offset:912
	ds_load_b128 v[77:80], v1 offset:928
	v_fma_f64 v[83:84], v[83:84], v[97:98], v[85:86]
	s_wait_loadcnt_dscnt 0x301
	v_mul_f64_e32 v[93:94], v[73:74], v[107:108]
	v_mul_f64_e32 v[95:96], v[75:76], v[107:108]
	v_add_f64_e32 v[6:7], v[6:7], v[87:88]
	v_add_f64_e32 v[2:3], v[2:3], v[91:92]
	s_wait_loadcnt_dscnt 0x100
	v_mul_f64_e32 v[85:86], v[77:78], v[10:11]
	v_mul_f64_e32 v[10:11], v[79:80], v[10:11]
	v_fma_f64 v[87:88], v[75:76], v[105:106], v[93:94]
	v_fma_f64 v[89:90], v[73:74], v[105:106], -v[95:96]
	ds_load_b128 v[73:76], v1 offset:944
	v_add_f64_e32 v[6:7], v[6:7], v[83:84]
	v_add_f64_e32 v[2:3], v[2:3], v[81:82]
	v_fma_f64 v[79:80], v[79:80], v[8:9], v[85:86]
	v_fma_f64 v[8:9], v[77:78], v[8:9], -v[10:11]
	s_wait_loadcnt_dscnt 0x0
	v_mul_f64_e32 v[81:82], v[73:74], v[119:120]
	v_mul_f64_e32 v[83:84], v[75:76], v[119:120]
	v_add_f64_e32 v[6:7], v[6:7], v[87:88]
	v_add_f64_e32 v[2:3], v[2:3], v[89:90]
	s_delay_alu instid0(VALU_DEP_4) | instskip(NEXT) | instid1(VALU_DEP_4)
	v_fma_f64 v[10:11], v[75:76], v[117:118], v[81:82]
	v_fma_f64 v[73:74], v[73:74], v[117:118], -v[83:84]
	s_delay_alu instid0(VALU_DEP_4) | instskip(NEXT) | instid1(VALU_DEP_4)
	v_add_f64_e32 v[6:7], v[6:7], v[79:80]
	v_add_f64_e32 v[2:3], v[2:3], v[8:9]
	s_delay_alu instid0(VALU_DEP_2) | instskip(NEXT) | instid1(VALU_DEP_2)
	v_add_f64_e32 v[8:9], v[6:7], v[10:11]
	v_add_f64_e32 v[2:3], v[2:3], v[73:74]
	s_delay_alu instid0(VALU_DEP_2) | instskip(NEXT) | instid1(VALU_DEP_2)
	v_add_f64_e64 v[8:9], v[111:112], -v[8:9]
	v_add_f64_e64 v[6:7], v[109:110], -v[2:3]
	scratch_store_b128 off, v[6:9], off offset:304
	v_cmpx_lt_u32_e32 17, v0
	s_cbranch_execz .LBB93_159
; %bb.158:
	scratch_load_b128 v[6:9], off, s15
	v_dual_mov_b32 v2, v1 :: v_dual_mov_b32 v3, v1
	v_mov_b32_e32 v4, v1
	scratch_store_b128 off, v[1:4], off offset:288
	s_wait_loadcnt 0x0
	ds_store_b128 v5, v[6:9]
.LBB93_159:
	s_wait_alu 0xfffe
	s_or_b32 exec_lo, exec_lo, s0
	s_wait_storecnt_dscnt 0x0
	s_barrier_signal -1
	s_barrier_wait -1
	global_inv scope:SCOPE_SE
	s_clause 0x8
	scratch_load_b128 v[6:9], off, off offset:304
	scratch_load_b128 v[73:76], off, off offset:320
	;; [unrolled: 1-line block ×9, first 2 shown]
	ds_load_b128 v[105:108], v1 offset:768
	ds_load_b128 v[109:112], v1 offset:784
	scratch_load_b128 v[113:116], off, off offset:288
	s_mov_b32 s0, exec_lo
	ds_load_b128 v[121:124], v1 offset:816
	s_wait_loadcnt_dscnt 0x902
	v_mul_f64_e32 v[2:3], v[107:108], v[8:9]
	v_mul_f64_e32 v[117:118], v[105:106], v[8:9]
	scratch_load_b128 v[8:11], off, off offset:448
	s_wait_loadcnt_dscnt 0x901
	v_mul_f64_e32 v[125:126], v[109:110], v[75:76]
	v_mul_f64_e32 v[75:76], v[111:112], v[75:76]
	v_fma_f64 v[2:3], v[105:106], v[6:7], -v[2:3]
	v_fma_f64 v[6:7], v[107:108], v[6:7], v[117:118]
	ds_load_b128 v[105:108], v1 offset:800
	scratch_load_b128 v[117:120], off, off offset:464
	v_fma_f64 v[111:112], v[111:112], v[73:74], v[125:126]
	v_fma_f64 v[109:110], v[109:110], v[73:74], -v[75:76]
	scratch_load_b128 v[73:76], off, off offset:480
	s_wait_loadcnt_dscnt 0x901
	v_mul_f64_e32 v[125:126], v[121:122], v[83:84]
	v_mul_f64_e32 v[83:84], v[123:124], v[83:84]
	s_wait_dscnt 0x0
	v_mul_f64_e32 v[127:128], v[105:106], v[79:80]
	v_mul_f64_e32 v[79:80], v[107:108], v[79:80]
	v_add_f64_e32 v[2:3], 0, v[2:3]
	v_add_f64_e32 v[6:7], 0, v[6:7]
	s_delay_alu instid0(VALU_DEP_4) | instskip(NEXT) | instid1(VALU_DEP_4)
	v_fma_f64 v[127:128], v[107:108], v[77:78], v[127:128]
	v_fma_f64 v[129:130], v[105:106], v[77:78], -v[79:80]
	ds_load_b128 v[77:80], v1 offset:832
	ds_load_b128 v[105:108], v1 offset:848
	v_add_f64_e32 v[2:3], v[2:3], v[109:110]
	v_add_f64_e32 v[6:7], v[6:7], v[111:112]
	v_fma_f64 v[111:112], v[123:124], v[81:82], v[125:126]
	v_fma_f64 v[81:82], v[121:122], v[81:82], -v[83:84]
	s_wait_loadcnt_dscnt 0x801
	v_mul_f64_e32 v[109:110], v[77:78], v[87:88]
	v_mul_f64_e32 v[87:88], v[79:80], v[87:88]
	s_wait_loadcnt_dscnt 0x700
	v_mul_f64_e32 v[121:122], v[105:106], v[91:92]
	v_mul_f64_e32 v[91:92], v[107:108], v[91:92]
	v_add_f64_e32 v[2:3], v[2:3], v[129:130]
	v_add_f64_e32 v[6:7], v[6:7], v[127:128]
	v_fma_f64 v[109:110], v[79:80], v[85:86], v[109:110]
	v_fma_f64 v[85:86], v[77:78], v[85:86], -v[87:88]
	v_fma_f64 v[107:108], v[107:108], v[89:90], v[121:122]
	v_fma_f64 v[89:90], v[105:106], v[89:90], -v[91:92]
	v_add_f64_e32 v[2:3], v[2:3], v[81:82]
	v_add_f64_e32 v[6:7], v[6:7], v[111:112]
	ds_load_b128 v[77:80], v1 offset:864
	ds_load_b128 v[81:84], v1 offset:880
	s_wait_loadcnt_dscnt 0x601
	v_mul_f64_e32 v[87:88], v[77:78], v[95:96]
	v_mul_f64_e32 v[95:96], v[79:80], v[95:96]
	s_wait_loadcnt_dscnt 0x500
	v_mul_f64_e32 v[91:92], v[81:82], v[99:100]
	v_mul_f64_e32 v[99:100], v[83:84], v[99:100]
	v_add_f64_e32 v[2:3], v[2:3], v[85:86]
	v_add_f64_e32 v[6:7], v[6:7], v[109:110]
	v_fma_f64 v[105:106], v[79:80], v[93:94], v[87:88]
	v_fma_f64 v[93:94], v[77:78], v[93:94], -v[95:96]
	ds_load_b128 v[77:80], v1 offset:896
	ds_load_b128 v[85:88], v1 offset:912
	v_fma_f64 v[83:84], v[83:84], v[97:98], v[91:92]
	v_fma_f64 v[81:82], v[81:82], v[97:98], -v[99:100]
	v_add_f64_e32 v[2:3], v[2:3], v[89:90]
	v_add_f64_e32 v[6:7], v[6:7], v[107:108]
	s_wait_loadcnt_dscnt 0x401
	v_mul_f64_e32 v[89:90], v[77:78], v[103:104]
	v_mul_f64_e32 v[95:96], v[79:80], v[103:104]
	s_delay_alu instid0(VALU_DEP_4) | instskip(NEXT) | instid1(VALU_DEP_4)
	v_add_f64_e32 v[2:3], v[2:3], v[93:94]
	v_add_f64_e32 v[6:7], v[6:7], v[105:106]
	s_delay_alu instid0(VALU_DEP_4) | instskip(NEXT) | instid1(VALU_DEP_4)
	v_fma_f64 v[89:90], v[79:80], v[101:102], v[89:90]
	v_fma_f64 v[93:94], v[77:78], v[101:102], -v[95:96]
	s_wait_loadcnt_dscnt 0x200
	v_mul_f64_e32 v[91:92], v[85:86], v[10:11]
	v_mul_f64_e32 v[10:11], v[87:88], v[10:11]
	v_add_f64_e32 v[81:82], v[2:3], v[81:82]
	v_add_f64_e32 v[6:7], v[6:7], v[83:84]
	ds_load_b128 v[77:80], v1 offset:928
	ds_load_b128 v[1:4], v1 offset:944
	v_fma_f64 v[87:88], v[87:88], v[8:9], v[91:92]
	v_fma_f64 v[8:9], v[85:86], v[8:9], -v[10:11]
	s_wait_loadcnt_dscnt 0x101
	v_mul_f64_e32 v[83:84], v[77:78], v[119:120]
	v_mul_f64_e32 v[95:96], v[79:80], v[119:120]
	v_add_f64_e32 v[10:11], v[81:82], v[93:94]
	v_add_f64_e32 v[6:7], v[6:7], v[89:90]
	s_wait_loadcnt_dscnt 0x0
	v_mul_f64_e32 v[81:82], v[1:2], v[75:76]
	v_mul_f64_e32 v[75:76], v[3:4], v[75:76]
	v_fma_f64 v[79:80], v[79:80], v[117:118], v[83:84]
	v_fma_f64 v[77:78], v[77:78], v[117:118], -v[95:96]
	v_add_f64_e32 v[8:9], v[10:11], v[8:9]
	v_add_f64_e32 v[6:7], v[6:7], v[87:88]
	v_fma_f64 v[3:4], v[3:4], v[73:74], v[81:82]
	v_fma_f64 v[1:2], v[1:2], v[73:74], -v[75:76]
	s_delay_alu instid0(VALU_DEP_4) | instskip(NEXT) | instid1(VALU_DEP_4)
	v_add_f64_e32 v[8:9], v[8:9], v[77:78]
	v_add_f64_e32 v[6:7], v[6:7], v[79:80]
	s_delay_alu instid0(VALU_DEP_2) | instskip(NEXT) | instid1(VALU_DEP_2)
	v_add_f64_e32 v[1:2], v[8:9], v[1:2]
	v_add_f64_e32 v[3:4], v[6:7], v[3:4]
	s_delay_alu instid0(VALU_DEP_2) | instskip(NEXT) | instid1(VALU_DEP_2)
	v_add_f64_e64 v[1:2], v[113:114], -v[1:2]
	v_add_f64_e64 v[3:4], v[115:116], -v[3:4]
	scratch_store_b128 off, v[1:4], off offset:288
	v_cmpx_lt_u32_e32 16, v0
	s_cbranch_execz .LBB93_161
; %bb.160:
	scratch_load_b128 v[1:4], off, s29
	v_mov_b32_e32 v6, 0
	s_delay_alu instid0(VALU_DEP_1)
	v_dual_mov_b32 v7, v6 :: v_dual_mov_b32 v8, v6
	v_mov_b32_e32 v9, v6
	scratch_store_b128 off, v[6:9], off offset:272
	s_wait_loadcnt 0x0
	ds_store_b128 v5, v[1:4]
.LBB93_161:
	s_wait_alu 0xfffe
	s_or_b32 exec_lo, exec_lo, s0
	s_wait_storecnt_dscnt 0x0
	s_barrier_signal -1
	s_barrier_wait -1
	global_inv scope:SCOPE_SE
	s_clause 0x7
	scratch_load_b128 v[6:9], off, off offset:288
	scratch_load_b128 v[73:76], off, off offset:304
	;; [unrolled: 1-line block ×8, first 2 shown]
	v_mov_b32_e32 v1, 0
	s_mov_b32 s0, exec_lo
	ds_load_b128 v[101:104], v1 offset:752
	s_clause 0x1
	scratch_load_b128 v[105:108], off, off offset:416
	scratch_load_b128 v[109:112], off, off offset:272
	ds_load_b128 v[113:116], v1 offset:768
	ds_load_b128 v[121:124], v1 offset:800
	s_wait_loadcnt_dscnt 0x902
	v_mul_f64_e32 v[2:3], v[103:104], v[8:9]
	v_mul_f64_e32 v[117:118], v[101:102], v[8:9]
	scratch_load_b128 v[8:11], off, off offset:432
	v_fma_f64 v[2:3], v[101:102], v[6:7], -v[2:3]
	v_fma_f64 v[6:7], v[103:104], v[6:7], v[117:118]
	ds_load_b128 v[101:104], v1 offset:784
	s_wait_loadcnt_dscnt 0x902
	v_mul_f64_e32 v[125:126], v[113:114], v[75:76]
	v_mul_f64_e32 v[75:76], v[115:116], v[75:76]
	scratch_load_b128 v[117:120], off, off offset:448
	s_wait_loadcnt_dscnt 0x900
	v_mul_f64_e32 v[127:128], v[101:102], v[79:80]
	v_mul_f64_e32 v[79:80], v[103:104], v[79:80]
	v_add_f64_e32 v[2:3], 0, v[2:3]
	v_add_f64_e32 v[6:7], 0, v[6:7]
	v_fma_f64 v[115:116], v[115:116], v[73:74], v[125:126]
	v_fma_f64 v[113:114], v[113:114], v[73:74], -v[75:76]
	scratch_load_b128 v[73:76], off, off offset:464
	v_fma_f64 v[127:128], v[103:104], v[77:78], v[127:128]
	v_fma_f64 v[129:130], v[101:102], v[77:78], -v[79:80]
	ds_load_b128 v[77:80], v1 offset:816
	s_wait_loadcnt 0x9
	v_mul_f64_e32 v[125:126], v[121:122], v[83:84]
	v_mul_f64_e32 v[83:84], v[123:124], v[83:84]
	scratch_load_b128 v[101:104], off, off offset:480
	v_add_f64_e32 v[6:7], v[6:7], v[115:116]
	v_add_f64_e32 v[2:3], v[2:3], v[113:114]
	ds_load_b128 v[113:116], v1 offset:832
	s_wait_loadcnt_dscnt 0x901
	v_mul_f64_e32 v[131:132], v[77:78], v[87:88]
	v_mul_f64_e32 v[87:88], v[79:80], v[87:88]
	v_fma_f64 v[123:124], v[123:124], v[81:82], v[125:126]
	v_fma_f64 v[81:82], v[121:122], v[81:82], -v[83:84]
	s_wait_loadcnt_dscnt 0x800
	v_mul_f64_e32 v[121:122], v[113:114], v[91:92]
	v_mul_f64_e32 v[91:92], v[115:116], v[91:92]
	v_add_f64_e32 v[6:7], v[6:7], v[127:128]
	v_add_f64_e32 v[2:3], v[2:3], v[129:130]
	v_fma_f64 v[125:126], v[79:80], v[85:86], v[131:132]
	v_fma_f64 v[85:86], v[77:78], v[85:86], -v[87:88]
	v_fma_f64 v[115:116], v[115:116], v[89:90], v[121:122]
	v_fma_f64 v[89:90], v[113:114], v[89:90], -v[91:92]
	v_add_f64_e32 v[6:7], v[6:7], v[123:124]
	v_add_f64_e32 v[2:3], v[2:3], v[81:82]
	ds_load_b128 v[77:80], v1 offset:848
	ds_load_b128 v[81:84], v1 offset:864
	s_wait_loadcnt_dscnt 0x701
	v_mul_f64_e32 v[87:88], v[77:78], v[95:96]
	v_mul_f64_e32 v[95:96], v[79:80], v[95:96]
	s_wait_loadcnt_dscnt 0x600
	v_mul_f64_e32 v[91:92], v[81:82], v[99:100]
	v_mul_f64_e32 v[99:100], v[83:84], v[99:100]
	v_add_f64_e32 v[6:7], v[6:7], v[125:126]
	v_add_f64_e32 v[2:3], v[2:3], v[85:86]
	v_fma_f64 v[113:114], v[79:80], v[93:94], v[87:88]
	v_fma_f64 v[93:94], v[77:78], v[93:94], -v[95:96]
	ds_load_b128 v[77:80], v1 offset:880
	ds_load_b128 v[85:88], v1 offset:896
	v_fma_f64 v[83:84], v[83:84], v[97:98], v[91:92]
	v_fma_f64 v[81:82], v[81:82], v[97:98], -v[99:100]
	v_add_f64_e32 v[6:7], v[6:7], v[115:116]
	v_add_f64_e32 v[2:3], v[2:3], v[89:90]
	s_wait_loadcnt_dscnt 0x501
	v_mul_f64_e32 v[89:90], v[77:78], v[107:108]
	v_mul_f64_e32 v[95:96], v[79:80], v[107:108]
	s_delay_alu instid0(VALU_DEP_4) | instskip(NEXT) | instid1(VALU_DEP_4)
	v_add_f64_e32 v[6:7], v[6:7], v[113:114]
	v_add_f64_e32 v[2:3], v[2:3], v[93:94]
	s_delay_alu instid0(VALU_DEP_4) | instskip(NEXT) | instid1(VALU_DEP_4)
	v_fma_f64 v[89:90], v[79:80], v[105:106], v[89:90]
	v_fma_f64 v[93:94], v[77:78], v[105:106], -v[95:96]
	s_wait_loadcnt_dscnt 0x300
	v_mul_f64_e32 v[91:92], v[85:86], v[10:11]
	v_mul_f64_e32 v[10:11], v[87:88], v[10:11]
	v_add_f64_e32 v[6:7], v[6:7], v[83:84]
	v_add_f64_e32 v[2:3], v[2:3], v[81:82]
	ds_load_b128 v[77:80], v1 offset:912
	ds_load_b128 v[81:84], v1 offset:928
	v_fma_f64 v[87:88], v[87:88], v[8:9], v[91:92]
	v_fma_f64 v[8:9], v[85:86], v[8:9], -v[10:11]
	s_wait_loadcnt_dscnt 0x201
	v_mul_f64_e32 v[95:96], v[77:78], v[119:120]
	v_mul_f64_e32 v[97:98], v[79:80], v[119:120]
	v_add_f64_e32 v[6:7], v[6:7], v[89:90]
	v_add_f64_e32 v[2:3], v[2:3], v[93:94]
	s_wait_loadcnt_dscnt 0x100
	v_mul_f64_e32 v[10:11], v[81:82], v[75:76]
	v_mul_f64_e32 v[75:76], v[83:84], v[75:76]
	v_fma_f64 v[79:80], v[79:80], v[117:118], v[95:96]
	v_fma_f64 v[77:78], v[77:78], v[117:118], -v[97:98]
	v_add_f64_e32 v[85:86], v[6:7], v[87:88]
	v_add_f64_e32 v[2:3], v[2:3], v[8:9]
	ds_load_b128 v[6:9], v1 offset:944
	v_fma_f64 v[10:11], v[83:84], v[73:74], v[10:11]
	v_fma_f64 v[73:74], v[81:82], v[73:74], -v[75:76]
	s_wait_loadcnt_dscnt 0x0
	v_mul_f64_e32 v[87:88], v[6:7], v[103:104]
	v_mul_f64_e32 v[89:90], v[8:9], v[103:104]
	v_add_f64_e32 v[75:76], v[85:86], v[79:80]
	v_add_f64_e32 v[2:3], v[2:3], v[77:78]
	s_delay_alu instid0(VALU_DEP_4) | instskip(NEXT) | instid1(VALU_DEP_4)
	v_fma_f64 v[8:9], v[8:9], v[101:102], v[87:88]
	v_fma_f64 v[6:7], v[6:7], v[101:102], -v[89:90]
	s_delay_alu instid0(VALU_DEP_4) | instskip(NEXT) | instid1(VALU_DEP_4)
	v_add_f64_e32 v[10:11], v[75:76], v[10:11]
	v_add_f64_e32 v[2:3], v[2:3], v[73:74]
	s_delay_alu instid0(VALU_DEP_2) | instskip(NEXT) | instid1(VALU_DEP_2)
	v_add_f64_e32 v[8:9], v[10:11], v[8:9]
	v_add_f64_e32 v[2:3], v[2:3], v[6:7]
	s_delay_alu instid0(VALU_DEP_2) | instskip(NEXT) | instid1(VALU_DEP_2)
	v_add_f64_e64 v[8:9], v[111:112], -v[8:9]
	v_add_f64_e64 v[6:7], v[109:110], -v[2:3]
	scratch_store_b128 off, v[6:9], off offset:272
	v_cmpx_lt_u32_e32 15, v0
	s_cbranch_execz .LBB93_163
; %bb.162:
	scratch_load_b128 v[6:9], off, s14
	v_dual_mov_b32 v2, v1 :: v_dual_mov_b32 v3, v1
	v_mov_b32_e32 v4, v1
	scratch_store_b128 off, v[1:4], off offset:256
	s_wait_loadcnt 0x0
	ds_store_b128 v5, v[6:9]
.LBB93_163:
	s_wait_alu 0xfffe
	s_or_b32 exec_lo, exec_lo, s0
	s_wait_storecnt_dscnt 0x0
	s_barrier_signal -1
	s_barrier_wait -1
	global_inv scope:SCOPE_SE
	s_clause 0x8
	scratch_load_b128 v[6:9], off, off offset:272
	scratch_load_b128 v[73:76], off, off offset:288
	;; [unrolled: 1-line block ×9, first 2 shown]
	ds_load_b128 v[105:108], v1 offset:736
	ds_load_b128 v[109:112], v1 offset:752
	scratch_load_b128 v[113:116], off, off offset:256
	s_mov_b32 s0, exec_lo
	ds_load_b128 v[121:124], v1 offset:784
	s_wait_loadcnt_dscnt 0x902
	v_mul_f64_e32 v[2:3], v[107:108], v[8:9]
	v_mul_f64_e32 v[117:118], v[105:106], v[8:9]
	scratch_load_b128 v[8:11], off, off offset:416
	s_wait_loadcnt_dscnt 0x901
	v_mul_f64_e32 v[125:126], v[109:110], v[75:76]
	v_mul_f64_e32 v[75:76], v[111:112], v[75:76]
	v_fma_f64 v[2:3], v[105:106], v[6:7], -v[2:3]
	v_fma_f64 v[6:7], v[107:108], v[6:7], v[117:118]
	ds_load_b128 v[105:108], v1 offset:768
	scratch_load_b128 v[117:120], off, off offset:432
	v_fma_f64 v[111:112], v[111:112], v[73:74], v[125:126]
	v_fma_f64 v[109:110], v[109:110], v[73:74], -v[75:76]
	scratch_load_b128 v[73:76], off, off offset:448
	s_wait_loadcnt_dscnt 0x901
	v_mul_f64_e32 v[125:126], v[121:122], v[83:84]
	v_mul_f64_e32 v[83:84], v[123:124], v[83:84]
	s_wait_dscnt 0x0
	v_mul_f64_e32 v[127:128], v[105:106], v[79:80]
	v_mul_f64_e32 v[79:80], v[107:108], v[79:80]
	v_add_f64_e32 v[2:3], 0, v[2:3]
	v_add_f64_e32 v[6:7], 0, v[6:7]
	v_fma_f64 v[123:124], v[123:124], v[81:82], v[125:126]
	v_fma_f64 v[121:122], v[121:122], v[81:82], -v[83:84]
	scratch_load_b128 v[81:84], off, off offset:480
	v_fma_f64 v[127:128], v[107:108], v[77:78], v[127:128]
	v_fma_f64 v[129:130], v[105:106], v[77:78], -v[79:80]
	ds_load_b128 v[77:80], v1 offset:800
	scratch_load_b128 v[105:108], off, off offset:464
	v_add_f64_e32 v[2:3], v[2:3], v[109:110]
	v_add_f64_e32 v[6:7], v[6:7], v[111:112]
	ds_load_b128 v[109:112], v1 offset:816
	s_wait_loadcnt_dscnt 0xa01
	v_mul_f64_e32 v[131:132], v[77:78], v[87:88]
	v_mul_f64_e32 v[87:88], v[79:80], v[87:88]
	s_wait_loadcnt_dscnt 0x900
	v_mul_f64_e32 v[125:126], v[109:110], v[91:92]
	v_mul_f64_e32 v[91:92], v[111:112], v[91:92]
	v_add_f64_e32 v[2:3], v[2:3], v[129:130]
	v_add_f64_e32 v[6:7], v[6:7], v[127:128]
	v_fma_f64 v[127:128], v[79:80], v[85:86], v[131:132]
	v_fma_f64 v[129:130], v[77:78], v[85:86], -v[87:88]
	ds_load_b128 v[77:80], v1 offset:832
	ds_load_b128 v[85:88], v1 offset:848
	v_fma_f64 v[111:112], v[111:112], v[89:90], v[125:126]
	v_fma_f64 v[89:90], v[109:110], v[89:90], -v[91:92]
	s_wait_loadcnt_dscnt 0x700
	v_mul_f64_e32 v[109:110], v[85:86], v[99:100]
	v_mul_f64_e32 v[99:100], v[87:88], v[99:100]
	v_add_f64_e32 v[2:3], v[2:3], v[121:122]
	v_add_f64_e32 v[6:7], v[6:7], v[123:124]
	v_mul_f64_e32 v[121:122], v[77:78], v[95:96]
	v_mul_f64_e32 v[95:96], v[79:80], v[95:96]
	v_fma_f64 v[87:88], v[87:88], v[97:98], v[109:110]
	v_fma_f64 v[85:86], v[85:86], v[97:98], -v[99:100]
	v_add_f64_e32 v[2:3], v[2:3], v[129:130]
	v_add_f64_e32 v[6:7], v[6:7], v[127:128]
	v_fma_f64 v[121:122], v[79:80], v[93:94], v[121:122]
	v_fma_f64 v[93:94], v[77:78], v[93:94], -v[95:96]
	s_delay_alu instid0(VALU_DEP_4) | instskip(NEXT) | instid1(VALU_DEP_4)
	v_add_f64_e32 v[2:3], v[2:3], v[89:90]
	v_add_f64_e32 v[6:7], v[6:7], v[111:112]
	ds_load_b128 v[77:80], v1 offset:864
	ds_load_b128 v[89:92], v1 offset:880
	s_wait_loadcnt_dscnt 0x601
	v_mul_f64_e32 v[95:96], v[77:78], v[103:104]
	v_mul_f64_e32 v[103:104], v[79:80], v[103:104]
	v_add_f64_e32 v[2:3], v[2:3], v[93:94]
	v_add_f64_e32 v[6:7], v[6:7], v[121:122]
	s_wait_loadcnt_dscnt 0x400
	v_mul_f64_e32 v[93:94], v[89:90], v[10:11]
	v_mul_f64_e32 v[10:11], v[91:92], v[10:11]
	v_fma_f64 v[95:96], v[79:80], v[101:102], v[95:96]
	v_fma_f64 v[97:98], v[77:78], v[101:102], -v[103:104]
	v_add_f64_e32 v[2:3], v[2:3], v[85:86]
	v_add_f64_e32 v[6:7], v[6:7], v[87:88]
	ds_load_b128 v[77:80], v1 offset:896
	ds_load_b128 v[85:88], v1 offset:912
	v_fma_f64 v[91:92], v[91:92], v[8:9], v[93:94]
	v_fma_f64 v[8:9], v[89:90], v[8:9], -v[10:11]
	s_wait_loadcnt_dscnt 0x301
	v_mul_f64_e32 v[99:100], v[77:78], v[119:120]
	v_mul_f64_e32 v[101:102], v[79:80], v[119:120]
	s_wait_loadcnt_dscnt 0x200
	v_mul_f64_e32 v[10:11], v[85:86], v[75:76]
	v_mul_f64_e32 v[75:76], v[87:88], v[75:76]
	v_add_f64_e32 v[2:3], v[2:3], v[97:98]
	v_add_f64_e32 v[6:7], v[6:7], v[95:96]
	v_fma_f64 v[79:80], v[79:80], v[117:118], v[99:100]
	v_fma_f64 v[77:78], v[77:78], v[117:118], -v[101:102]
	v_fma_f64 v[10:11], v[87:88], v[73:74], v[10:11]
	v_fma_f64 v[73:74], v[85:86], v[73:74], -v[75:76]
	v_add_f64_e32 v[89:90], v[2:3], v[8:9]
	v_add_f64_e32 v[91:92], v[6:7], v[91:92]
	ds_load_b128 v[6:9], v1 offset:928
	ds_load_b128 v[1:4], v1 offset:944
	s_wait_loadcnt_dscnt 0x1
	v_mul_f64_e32 v[93:94], v[6:7], v[107:108]
	v_mul_f64_e32 v[95:96], v[8:9], v[107:108]
	v_add_f64_e32 v[75:76], v[89:90], v[77:78]
	v_add_f64_e32 v[77:78], v[91:92], v[79:80]
	s_wait_dscnt 0x0
	v_mul_f64_e32 v[79:80], v[1:2], v[83:84]
	v_mul_f64_e32 v[83:84], v[3:4], v[83:84]
	v_fma_f64 v[8:9], v[8:9], v[105:106], v[93:94]
	v_fma_f64 v[6:7], v[6:7], v[105:106], -v[95:96]
	v_add_f64_e32 v[73:74], v[75:76], v[73:74]
	v_add_f64_e32 v[10:11], v[77:78], v[10:11]
	v_fma_f64 v[3:4], v[3:4], v[81:82], v[79:80]
	v_fma_f64 v[1:2], v[1:2], v[81:82], -v[83:84]
	s_delay_alu instid0(VALU_DEP_4) | instskip(NEXT) | instid1(VALU_DEP_4)
	v_add_f64_e32 v[6:7], v[73:74], v[6:7]
	v_add_f64_e32 v[8:9], v[10:11], v[8:9]
	s_delay_alu instid0(VALU_DEP_2) | instskip(NEXT) | instid1(VALU_DEP_2)
	v_add_f64_e32 v[1:2], v[6:7], v[1:2]
	v_add_f64_e32 v[3:4], v[8:9], v[3:4]
	s_delay_alu instid0(VALU_DEP_2) | instskip(NEXT) | instid1(VALU_DEP_2)
	v_add_f64_e64 v[1:2], v[113:114], -v[1:2]
	v_add_f64_e64 v[3:4], v[115:116], -v[3:4]
	scratch_store_b128 off, v[1:4], off offset:256
	v_cmpx_lt_u32_e32 14, v0
	s_cbranch_execz .LBB93_165
; %bb.164:
	scratch_load_b128 v[1:4], off, s28
	v_mov_b32_e32 v6, 0
	s_delay_alu instid0(VALU_DEP_1)
	v_dual_mov_b32 v7, v6 :: v_dual_mov_b32 v8, v6
	v_mov_b32_e32 v9, v6
	scratch_store_b128 off, v[6:9], off offset:240
	s_wait_loadcnt 0x0
	ds_store_b128 v5, v[1:4]
.LBB93_165:
	s_wait_alu 0xfffe
	s_or_b32 exec_lo, exec_lo, s0
	s_wait_storecnt_dscnt 0x0
	s_barrier_signal -1
	s_barrier_wait -1
	global_inv scope:SCOPE_SE
	s_clause 0x7
	scratch_load_b128 v[6:9], off, off offset:256
	scratch_load_b128 v[73:76], off, off offset:272
	;; [unrolled: 1-line block ×8, first 2 shown]
	v_mov_b32_e32 v1, 0
	s_mov_b32 s0, exec_lo
	ds_load_b128 v[101:104], v1 offset:720
	s_clause 0x1
	scratch_load_b128 v[105:108], off, off offset:384
	scratch_load_b128 v[109:112], off, off offset:240
	ds_load_b128 v[113:116], v1 offset:736
	ds_load_b128 v[121:124], v1 offset:768
	s_wait_loadcnt_dscnt 0x902
	v_mul_f64_e32 v[2:3], v[103:104], v[8:9]
	v_mul_f64_e32 v[117:118], v[101:102], v[8:9]
	scratch_load_b128 v[8:11], off, off offset:400
	v_fma_f64 v[2:3], v[101:102], v[6:7], -v[2:3]
	v_fma_f64 v[6:7], v[103:104], v[6:7], v[117:118]
	ds_load_b128 v[101:104], v1 offset:752
	s_wait_loadcnt_dscnt 0x902
	v_mul_f64_e32 v[125:126], v[113:114], v[75:76]
	v_mul_f64_e32 v[75:76], v[115:116], v[75:76]
	scratch_load_b128 v[117:120], off, off offset:416
	s_wait_loadcnt_dscnt 0x900
	v_mul_f64_e32 v[127:128], v[101:102], v[79:80]
	v_mul_f64_e32 v[79:80], v[103:104], v[79:80]
	v_add_f64_e32 v[2:3], 0, v[2:3]
	v_add_f64_e32 v[6:7], 0, v[6:7]
	v_fma_f64 v[115:116], v[115:116], v[73:74], v[125:126]
	v_fma_f64 v[113:114], v[113:114], v[73:74], -v[75:76]
	scratch_load_b128 v[73:76], off, off offset:432
	v_fma_f64 v[127:128], v[103:104], v[77:78], v[127:128]
	v_fma_f64 v[129:130], v[101:102], v[77:78], -v[79:80]
	ds_load_b128 v[77:80], v1 offset:784
	s_wait_loadcnt 0x9
	v_mul_f64_e32 v[125:126], v[121:122], v[83:84]
	v_mul_f64_e32 v[83:84], v[123:124], v[83:84]
	scratch_load_b128 v[101:104], off, off offset:448
	v_add_f64_e32 v[6:7], v[6:7], v[115:116]
	v_add_f64_e32 v[2:3], v[2:3], v[113:114]
	ds_load_b128 v[113:116], v1 offset:800
	s_wait_loadcnt_dscnt 0x901
	v_mul_f64_e32 v[131:132], v[77:78], v[87:88]
	v_mul_f64_e32 v[87:88], v[79:80], v[87:88]
	v_fma_f64 v[123:124], v[123:124], v[81:82], v[125:126]
	v_fma_f64 v[121:122], v[121:122], v[81:82], -v[83:84]
	scratch_load_b128 v[81:84], off, off offset:464
	v_add_f64_e32 v[6:7], v[6:7], v[127:128]
	v_add_f64_e32 v[2:3], v[2:3], v[129:130]
	v_fma_f64 v[127:128], v[79:80], v[85:86], v[131:132]
	v_fma_f64 v[129:130], v[77:78], v[85:86], -v[87:88]
	ds_load_b128 v[77:80], v1 offset:816
	s_wait_loadcnt_dscnt 0x901
	v_mul_f64_e32 v[125:126], v[113:114], v[91:92]
	v_mul_f64_e32 v[91:92], v[115:116], v[91:92]
	scratch_load_b128 v[85:88], off, off offset:480
	s_wait_loadcnt_dscnt 0x900
	v_mul_f64_e32 v[131:132], v[77:78], v[95:96]
	v_mul_f64_e32 v[95:96], v[79:80], v[95:96]
	v_add_f64_e32 v[6:7], v[6:7], v[123:124]
	v_add_f64_e32 v[2:3], v[2:3], v[121:122]
	ds_load_b128 v[121:124], v1 offset:832
	v_fma_f64 v[115:116], v[115:116], v[89:90], v[125:126]
	v_fma_f64 v[89:90], v[113:114], v[89:90], -v[91:92]
	s_wait_loadcnt_dscnt 0x800
	v_mul_f64_e32 v[113:114], v[121:122], v[99:100]
	v_mul_f64_e32 v[99:100], v[123:124], v[99:100]
	v_fma_f64 v[125:126], v[79:80], v[93:94], v[131:132]
	v_fma_f64 v[93:94], v[77:78], v[93:94], -v[95:96]
	v_add_f64_e32 v[6:7], v[6:7], v[127:128]
	v_add_f64_e32 v[2:3], v[2:3], v[129:130]
	v_fma_f64 v[113:114], v[123:124], v[97:98], v[113:114]
	v_fma_f64 v[97:98], v[121:122], v[97:98], -v[99:100]
	s_delay_alu instid0(VALU_DEP_4) | instskip(NEXT) | instid1(VALU_DEP_4)
	v_add_f64_e32 v[6:7], v[6:7], v[115:116]
	v_add_f64_e32 v[2:3], v[2:3], v[89:90]
	ds_load_b128 v[77:80], v1 offset:848
	ds_load_b128 v[89:92], v1 offset:864
	s_wait_loadcnt_dscnt 0x701
	v_mul_f64_e32 v[95:96], v[77:78], v[107:108]
	v_mul_f64_e32 v[107:108], v[79:80], v[107:108]
	v_add_f64_e32 v[6:7], v[6:7], v[125:126]
	v_add_f64_e32 v[2:3], v[2:3], v[93:94]
	s_wait_loadcnt_dscnt 0x500
	v_mul_f64_e32 v[99:100], v[89:90], v[10:11]
	v_mul_f64_e32 v[10:11], v[91:92], v[10:11]
	v_fma_f64 v[115:116], v[79:80], v[105:106], v[95:96]
	v_fma_f64 v[105:106], v[77:78], v[105:106], -v[107:108]
	ds_load_b128 v[77:80], v1 offset:880
	ds_load_b128 v[93:96], v1 offset:896
	v_add_f64_e32 v[6:7], v[6:7], v[113:114]
	v_add_f64_e32 v[2:3], v[2:3], v[97:98]
	v_fma_f64 v[91:92], v[91:92], v[8:9], v[99:100]
	v_fma_f64 v[8:9], v[89:90], v[8:9], -v[10:11]
	s_wait_loadcnt_dscnt 0x401
	v_mul_f64_e32 v[97:98], v[77:78], v[119:120]
	v_mul_f64_e32 v[107:108], v[79:80], v[119:120]
	v_add_f64_e32 v[6:7], v[6:7], v[115:116]
	v_add_f64_e32 v[2:3], v[2:3], v[105:106]
	s_wait_loadcnt_dscnt 0x300
	v_mul_f64_e32 v[10:11], v[93:94], v[75:76]
	v_mul_f64_e32 v[89:90], v[95:96], v[75:76]
	v_fma_f64 v[79:80], v[79:80], v[117:118], v[97:98]
	v_fma_f64 v[97:98], v[77:78], v[117:118], -v[107:108]
	v_add_f64_e32 v[91:92], v[6:7], v[91:92]
	v_add_f64_e32 v[2:3], v[2:3], v[8:9]
	ds_load_b128 v[6:9], v1 offset:912
	ds_load_b128 v[75:78], v1 offset:928
	v_fma_f64 v[10:11], v[95:96], v[73:74], v[10:11]
	v_fma_f64 v[73:74], v[93:94], v[73:74], -v[89:90]
	s_wait_loadcnt_dscnt 0x201
	v_mul_f64_e32 v[99:100], v[6:7], v[103:104]
	v_mul_f64_e32 v[103:104], v[8:9], v[103:104]
	v_add_f64_e32 v[79:80], v[91:92], v[79:80]
	v_add_f64_e32 v[2:3], v[2:3], v[97:98]
	s_wait_loadcnt_dscnt 0x100
	v_mul_f64_e32 v[89:90], v[75:76], v[83:84]
	v_mul_f64_e32 v[83:84], v[77:78], v[83:84]
	v_fma_f64 v[91:92], v[8:9], v[101:102], v[99:100]
	v_fma_f64 v[93:94], v[6:7], v[101:102], -v[103:104]
	ds_load_b128 v[6:9], v1 offset:944
	v_add_f64_e32 v[10:11], v[79:80], v[10:11]
	v_add_f64_e32 v[2:3], v[2:3], v[73:74]
	v_fma_f64 v[77:78], v[77:78], v[81:82], v[89:90]
	v_fma_f64 v[75:76], v[75:76], v[81:82], -v[83:84]
	s_wait_loadcnt_dscnt 0x0
	v_mul_f64_e32 v[73:74], v[6:7], v[87:88]
	v_mul_f64_e32 v[79:80], v[8:9], v[87:88]
	v_add_f64_e32 v[10:11], v[10:11], v[91:92]
	v_add_f64_e32 v[2:3], v[2:3], v[93:94]
	s_delay_alu instid0(VALU_DEP_4) | instskip(NEXT) | instid1(VALU_DEP_4)
	v_fma_f64 v[8:9], v[8:9], v[85:86], v[73:74]
	v_fma_f64 v[6:7], v[6:7], v[85:86], -v[79:80]
	s_delay_alu instid0(VALU_DEP_4) | instskip(NEXT) | instid1(VALU_DEP_4)
	v_add_f64_e32 v[10:11], v[10:11], v[77:78]
	v_add_f64_e32 v[2:3], v[2:3], v[75:76]
	s_delay_alu instid0(VALU_DEP_2) | instskip(NEXT) | instid1(VALU_DEP_2)
	v_add_f64_e32 v[8:9], v[10:11], v[8:9]
	v_add_f64_e32 v[2:3], v[2:3], v[6:7]
	s_delay_alu instid0(VALU_DEP_2) | instskip(NEXT) | instid1(VALU_DEP_2)
	v_add_f64_e64 v[8:9], v[111:112], -v[8:9]
	v_add_f64_e64 v[6:7], v[109:110], -v[2:3]
	scratch_store_b128 off, v[6:9], off offset:240
	v_cmpx_lt_u32_e32 13, v0
	s_cbranch_execz .LBB93_167
; %bb.166:
	scratch_load_b128 v[6:9], off, s13
	v_dual_mov_b32 v2, v1 :: v_dual_mov_b32 v3, v1
	v_mov_b32_e32 v4, v1
	scratch_store_b128 off, v[1:4], off offset:224
	s_wait_loadcnt 0x0
	ds_store_b128 v5, v[6:9]
.LBB93_167:
	s_wait_alu 0xfffe
	s_or_b32 exec_lo, exec_lo, s0
	s_wait_storecnt_dscnt 0x0
	s_barrier_signal -1
	s_barrier_wait -1
	global_inv scope:SCOPE_SE
	s_clause 0x8
	scratch_load_b128 v[6:9], off, off offset:240
	scratch_load_b128 v[73:76], off, off offset:256
	;; [unrolled: 1-line block ×9, first 2 shown]
	ds_load_b128 v[105:108], v1 offset:704
	ds_load_b128 v[109:112], v1 offset:720
	scratch_load_b128 v[113:116], off, off offset:224
	s_mov_b32 s0, exec_lo
	ds_load_b128 v[121:124], v1 offset:752
	s_wait_loadcnt_dscnt 0x902
	v_mul_f64_e32 v[2:3], v[107:108], v[8:9]
	v_mul_f64_e32 v[117:118], v[105:106], v[8:9]
	scratch_load_b128 v[8:11], off, off offset:384
	s_wait_loadcnt_dscnt 0x901
	v_mul_f64_e32 v[125:126], v[109:110], v[75:76]
	v_mul_f64_e32 v[75:76], v[111:112], v[75:76]
	v_fma_f64 v[2:3], v[105:106], v[6:7], -v[2:3]
	v_fma_f64 v[6:7], v[107:108], v[6:7], v[117:118]
	ds_load_b128 v[105:108], v1 offset:736
	scratch_load_b128 v[117:120], off, off offset:400
	v_fma_f64 v[111:112], v[111:112], v[73:74], v[125:126]
	v_fma_f64 v[109:110], v[109:110], v[73:74], -v[75:76]
	scratch_load_b128 v[73:76], off, off offset:416
	s_wait_loadcnt_dscnt 0x901
	v_mul_f64_e32 v[125:126], v[121:122], v[83:84]
	v_mul_f64_e32 v[83:84], v[123:124], v[83:84]
	s_wait_dscnt 0x0
	v_mul_f64_e32 v[127:128], v[105:106], v[79:80]
	v_mul_f64_e32 v[79:80], v[107:108], v[79:80]
	v_add_f64_e32 v[2:3], 0, v[2:3]
	v_add_f64_e32 v[6:7], 0, v[6:7]
	v_fma_f64 v[123:124], v[123:124], v[81:82], v[125:126]
	v_fma_f64 v[121:122], v[121:122], v[81:82], -v[83:84]
	scratch_load_b128 v[81:84], off, off offset:448
	v_fma_f64 v[127:128], v[107:108], v[77:78], v[127:128]
	v_fma_f64 v[129:130], v[105:106], v[77:78], -v[79:80]
	ds_load_b128 v[77:80], v1 offset:768
	scratch_load_b128 v[105:108], off, off offset:432
	v_add_f64_e32 v[2:3], v[2:3], v[109:110]
	v_add_f64_e32 v[6:7], v[6:7], v[111:112]
	ds_load_b128 v[109:112], v1 offset:784
	s_wait_loadcnt_dscnt 0xa01
	v_mul_f64_e32 v[131:132], v[77:78], v[87:88]
	v_mul_f64_e32 v[87:88], v[79:80], v[87:88]
	s_wait_loadcnt_dscnt 0x900
	v_mul_f64_e32 v[125:126], v[109:110], v[91:92]
	v_mul_f64_e32 v[91:92], v[111:112], v[91:92]
	v_add_f64_e32 v[2:3], v[2:3], v[129:130]
	v_add_f64_e32 v[6:7], v[6:7], v[127:128]
	v_fma_f64 v[127:128], v[79:80], v[85:86], v[131:132]
	v_fma_f64 v[129:130], v[77:78], v[85:86], -v[87:88]
	ds_load_b128 v[77:80], v1 offset:800
	scratch_load_b128 v[85:88], off, off offset:464
	v_fma_f64 v[111:112], v[111:112], v[89:90], v[125:126]
	v_fma_f64 v[109:110], v[109:110], v[89:90], -v[91:92]
	scratch_load_b128 v[89:92], off, off offset:480
	v_add_f64_e32 v[2:3], v[2:3], v[121:122]
	v_add_f64_e32 v[6:7], v[6:7], v[123:124]
	ds_load_b128 v[121:124], v1 offset:816
	s_wait_loadcnt_dscnt 0xa01
	v_mul_f64_e32 v[131:132], v[77:78], v[95:96]
	v_mul_f64_e32 v[95:96], v[79:80], v[95:96]
	s_wait_loadcnt_dscnt 0x900
	v_mul_f64_e32 v[125:126], v[121:122], v[99:100]
	v_mul_f64_e32 v[99:100], v[123:124], v[99:100]
	v_add_f64_e32 v[2:3], v[2:3], v[129:130]
	v_add_f64_e32 v[6:7], v[6:7], v[127:128]
	v_fma_f64 v[127:128], v[79:80], v[93:94], v[131:132]
	v_fma_f64 v[129:130], v[77:78], v[93:94], -v[95:96]
	ds_load_b128 v[77:80], v1 offset:832
	ds_load_b128 v[93:96], v1 offset:848
	v_add_f64_e32 v[2:3], v[2:3], v[109:110]
	v_add_f64_e32 v[6:7], v[6:7], v[111:112]
	s_wait_loadcnt_dscnt 0x801
	v_mul_f64_e32 v[109:110], v[77:78], v[103:104]
	v_mul_f64_e32 v[103:104], v[79:80], v[103:104]
	v_fma_f64 v[111:112], v[123:124], v[97:98], v[125:126]
	v_fma_f64 v[97:98], v[121:122], v[97:98], -v[99:100]
	v_add_f64_e32 v[2:3], v[2:3], v[129:130]
	v_add_f64_e32 v[6:7], v[6:7], v[127:128]
	v_fma_f64 v[109:110], v[79:80], v[101:102], v[109:110]
	v_fma_f64 v[101:102], v[77:78], v[101:102], -v[103:104]
	s_wait_loadcnt_dscnt 0x600
	v_mul_f64_e32 v[121:122], v[93:94], v[10:11]
	v_mul_f64_e32 v[10:11], v[95:96], v[10:11]
	v_add_f64_e32 v[2:3], v[2:3], v[97:98]
	v_add_f64_e32 v[6:7], v[6:7], v[111:112]
	ds_load_b128 v[77:80], v1 offset:864
	ds_load_b128 v[97:100], v1 offset:880
	v_fma_f64 v[95:96], v[95:96], v[8:9], v[121:122]
	v_fma_f64 v[8:9], v[93:94], v[8:9], -v[10:11]
	s_wait_loadcnt_dscnt 0x501
	v_mul_f64_e32 v[103:104], v[77:78], v[119:120]
	v_mul_f64_e32 v[111:112], v[79:80], v[119:120]
	s_wait_loadcnt_dscnt 0x400
	v_mul_f64_e32 v[10:11], v[97:98], v[75:76]
	v_mul_f64_e32 v[93:94], v[99:100], v[75:76]
	v_add_f64_e32 v[2:3], v[2:3], v[101:102]
	v_add_f64_e32 v[6:7], v[6:7], v[109:110]
	v_fma_f64 v[79:80], v[79:80], v[117:118], v[103:104]
	v_fma_f64 v[101:102], v[77:78], v[117:118], -v[111:112]
	v_fma_f64 v[10:11], v[99:100], v[73:74], v[10:11]
	v_fma_f64 v[73:74], v[97:98], v[73:74], -v[93:94]
	v_add_f64_e32 v[2:3], v[2:3], v[8:9]
	v_add_f64_e32 v[95:96], v[6:7], v[95:96]
	ds_load_b128 v[6:9], v1 offset:896
	ds_load_b128 v[75:78], v1 offset:912
	s_wait_loadcnt_dscnt 0x201
	v_mul_f64_e32 v[103:104], v[6:7], v[107:108]
	v_mul_f64_e32 v[107:108], v[8:9], v[107:108]
	s_wait_dscnt 0x0
	v_mul_f64_e32 v[93:94], v[75:76], v[83:84]
	v_mul_f64_e32 v[83:84], v[77:78], v[83:84]
	v_add_f64_e32 v[2:3], v[2:3], v[101:102]
	v_add_f64_e32 v[79:80], v[95:96], v[79:80]
	v_fma_f64 v[95:96], v[8:9], v[105:106], v[103:104]
	v_fma_f64 v[97:98], v[6:7], v[105:106], -v[107:108]
	v_fma_f64 v[77:78], v[77:78], v[81:82], v[93:94]
	v_fma_f64 v[75:76], v[75:76], v[81:82], -v[83:84]
	v_add_f64_e32 v[73:74], v[2:3], v[73:74]
	v_add_f64_e32 v[10:11], v[79:80], v[10:11]
	ds_load_b128 v[6:9], v1 offset:928
	ds_load_b128 v[1:4], v1 offset:944
	s_wait_loadcnt_dscnt 0x101
	v_mul_f64_e32 v[79:80], v[6:7], v[87:88]
	v_mul_f64_e32 v[87:88], v[8:9], v[87:88]
	s_wait_loadcnt_dscnt 0x0
	v_mul_f64_e32 v[81:82], v[1:2], v[91:92]
	v_mul_f64_e32 v[83:84], v[3:4], v[91:92]
	v_add_f64_e32 v[73:74], v[73:74], v[97:98]
	v_add_f64_e32 v[10:11], v[10:11], v[95:96]
	v_fma_f64 v[8:9], v[8:9], v[85:86], v[79:80]
	v_fma_f64 v[6:7], v[6:7], v[85:86], -v[87:88]
	v_fma_f64 v[3:4], v[3:4], v[89:90], v[81:82]
	v_fma_f64 v[1:2], v[1:2], v[89:90], -v[83:84]
	v_add_f64_e32 v[73:74], v[73:74], v[75:76]
	v_add_f64_e32 v[10:11], v[10:11], v[77:78]
	s_delay_alu instid0(VALU_DEP_2) | instskip(NEXT) | instid1(VALU_DEP_2)
	v_add_f64_e32 v[6:7], v[73:74], v[6:7]
	v_add_f64_e32 v[8:9], v[10:11], v[8:9]
	s_delay_alu instid0(VALU_DEP_2) | instskip(NEXT) | instid1(VALU_DEP_2)
	v_add_f64_e32 v[1:2], v[6:7], v[1:2]
	v_add_f64_e32 v[3:4], v[8:9], v[3:4]
	s_delay_alu instid0(VALU_DEP_2) | instskip(NEXT) | instid1(VALU_DEP_2)
	v_add_f64_e64 v[1:2], v[113:114], -v[1:2]
	v_add_f64_e64 v[3:4], v[115:116], -v[3:4]
	scratch_store_b128 off, v[1:4], off offset:224
	v_cmpx_lt_u32_e32 12, v0
	s_cbranch_execz .LBB93_169
; %bb.168:
	scratch_load_b128 v[1:4], off, s27
	v_mov_b32_e32 v6, 0
	s_delay_alu instid0(VALU_DEP_1)
	v_dual_mov_b32 v7, v6 :: v_dual_mov_b32 v8, v6
	v_mov_b32_e32 v9, v6
	scratch_store_b128 off, v[6:9], off offset:208
	s_wait_loadcnt 0x0
	ds_store_b128 v5, v[1:4]
.LBB93_169:
	s_wait_alu 0xfffe
	s_or_b32 exec_lo, exec_lo, s0
	s_wait_storecnt_dscnt 0x0
	s_barrier_signal -1
	s_barrier_wait -1
	global_inv scope:SCOPE_SE
	s_clause 0x7
	scratch_load_b128 v[6:9], off, off offset:224
	scratch_load_b128 v[73:76], off, off offset:240
	;; [unrolled: 1-line block ×8, first 2 shown]
	v_mov_b32_e32 v1, 0
	s_mov_b32 s0, exec_lo
	ds_load_b128 v[101:104], v1 offset:688
	s_clause 0x1
	scratch_load_b128 v[105:108], off, off offset:352
	scratch_load_b128 v[109:112], off, off offset:208
	ds_load_b128 v[113:116], v1 offset:704
	ds_load_b128 v[121:124], v1 offset:736
	s_wait_loadcnt_dscnt 0x902
	v_mul_f64_e32 v[2:3], v[103:104], v[8:9]
	v_mul_f64_e32 v[117:118], v[101:102], v[8:9]
	scratch_load_b128 v[8:11], off, off offset:368
	v_fma_f64 v[2:3], v[101:102], v[6:7], -v[2:3]
	v_fma_f64 v[6:7], v[103:104], v[6:7], v[117:118]
	ds_load_b128 v[101:104], v1 offset:720
	s_wait_loadcnt_dscnt 0x902
	v_mul_f64_e32 v[125:126], v[113:114], v[75:76]
	v_mul_f64_e32 v[75:76], v[115:116], v[75:76]
	scratch_load_b128 v[117:120], off, off offset:384
	s_wait_loadcnt_dscnt 0x900
	v_mul_f64_e32 v[127:128], v[101:102], v[79:80]
	v_mul_f64_e32 v[79:80], v[103:104], v[79:80]
	v_add_f64_e32 v[2:3], 0, v[2:3]
	v_add_f64_e32 v[6:7], 0, v[6:7]
	v_fma_f64 v[115:116], v[115:116], v[73:74], v[125:126]
	v_fma_f64 v[113:114], v[113:114], v[73:74], -v[75:76]
	scratch_load_b128 v[73:76], off, off offset:400
	v_fma_f64 v[127:128], v[103:104], v[77:78], v[127:128]
	v_fma_f64 v[129:130], v[101:102], v[77:78], -v[79:80]
	ds_load_b128 v[77:80], v1 offset:752
	s_wait_loadcnt 0x9
	v_mul_f64_e32 v[125:126], v[121:122], v[83:84]
	v_mul_f64_e32 v[83:84], v[123:124], v[83:84]
	scratch_load_b128 v[101:104], off, off offset:416
	v_add_f64_e32 v[6:7], v[6:7], v[115:116]
	v_add_f64_e32 v[2:3], v[2:3], v[113:114]
	ds_load_b128 v[113:116], v1 offset:768
	s_wait_loadcnt_dscnt 0x901
	v_mul_f64_e32 v[131:132], v[77:78], v[87:88]
	v_mul_f64_e32 v[87:88], v[79:80], v[87:88]
	v_fma_f64 v[123:124], v[123:124], v[81:82], v[125:126]
	v_fma_f64 v[121:122], v[121:122], v[81:82], -v[83:84]
	scratch_load_b128 v[81:84], off, off offset:432
	v_add_f64_e32 v[6:7], v[6:7], v[127:128]
	v_add_f64_e32 v[2:3], v[2:3], v[129:130]
	v_fma_f64 v[127:128], v[79:80], v[85:86], v[131:132]
	v_fma_f64 v[129:130], v[77:78], v[85:86], -v[87:88]
	ds_load_b128 v[77:80], v1 offset:784
	s_wait_loadcnt_dscnt 0x901
	v_mul_f64_e32 v[125:126], v[113:114], v[91:92]
	v_mul_f64_e32 v[91:92], v[115:116], v[91:92]
	scratch_load_b128 v[85:88], off, off offset:448
	s_wait_loadcnt_dscnt 0x900
	v_mul_f64_e32 v[131:132], v[77:78], v[95:96]
	v_mul_f64_e32 v[95:96], v[79:80], v[95:96]
	v_add_f64_e32 v[6:7], v[6:7], v[123:124]
	v_add_f64_e32 v[2:3], v[2:3], v[121:122]
	ds_load_b128 v[121:124], v1 offset:800
	v_fma_f64 v[115:116], v[115:116], v[89:90], v[125:126]
	v_fma_f64 v[113:114], v[113:114], v[89:90], -v[91:92]
	scratch_load_b128 v[89:92], off, off offset:464
	v_add_f64_e32 v[6:7], v[6:7], v[127:128]
	v_add_f64_e32 v[2:3], v[2:3], v[129:130]
	v_fma_f64 v[127:128], v[79:80], v[93:94], v[131:132]
	v_fma_f64 v[129:130], v[77:78], v[93:94], -v[95:96]
	ds_load_b128 v[77:80], v1 offset:816
	s_wait_loadcnt_dscnt 0x901
	v_mul_f64_e32 v[125:126], v[121:122], v[99:100]
	v_mul_f64_e32 v[99:100], v[123:124], v[99:100]
	scratch_load_b128 v[93:96], off, off offset:480
	s_wait_loadcnt_dscnt 0x900
	v_mul_f64_e32 v[131:132], v[77:78], v[107:108]
	v_mul_f64_e32 v[107:108], v[79:80], v[107:108]
	v_add_f64_e32 v[6:7], v[6:7], v[115:116]
	v_add_f64_e32 v[2:3], v[2:3], v[113:114]
	ds_load_b128 v[113:116], v1 offset:832
	v_fma_f64 v[123:124], v[123:124], v[97:98], v[125:126]
	v_fma_f64 v[97:98], v[121:122], v[97:98], -v[99:100]
	v_fma_f64 v[125:126], v[79:80], v[105:106], v[131:132]
	v_fma_f64 v[105:106], v[77:78], v[105:106], -v[107:108]
	v_add_f64_e32 v[6:7], v[6:7], v[127:128]
	v_add_f64_e32 v[2:3], v[2:3], v[129:130]
	s_wait_loadcnt_dscnt 0x700
	v_mul_f64_e32 v[121:122], v[113:114], v[10:11]
	v_mul_f64_e32 v[10:11], v[115:116], v[10:11]
	s_delay_alu instid0(VALU_DEP_4) | instskip(NEXT) | instid1(VALU_DEP_4)
	v_add_f64_e32 v[6:7], v[6:7], v[123:124]
	v_add_f64_e32 v[2:3], v[2:3], v[97:98]
	ds_load_b128 v[77:80], v1 offset:848
	ds_load_b128 v[97:100], v1 offset:864
	v_fma_f64 v[115:116], v[115:116], v[8:9], v[121:122]
	v_fma_f64 v[8:9], v[113:114], v[8:9], -v[10:11]
	s_wait_loadcnt_dscnt 0x601
	v_mul_f64_e32 v[107:108], v[77:78], v[119:120]
	v_mul_f64_e32 v[119:120], v[79:80], v[119:120]
	v_add_f64_e32 v[6:7], v[6:7], v[125:126]
	v_add_f64_e32 v[2:3], v[2:3], v[105:106]
	s_wait_loadcnt_dscnt 0x500
	v_mul_f64_e32 v[10:11], v[97:98], v[75:76]
	v_mul_f64_e32 v[105:106], v[99:100], v[75:76]
	v_fma_f64 v[79:80], v[79:80], v[117:118], v[107:108]
	v_fma_f64 v[107:108], v[77:78], v[117:118], -v[119:120]
	v_add_f64_e32 v[113:114], v[6:7], v[115:116]
	v_add_f64_e32 v[2:3], v[2:3], v[8:9]
	ds_load_b128 v[6:9], v1 offset:880
	ds_load_b128 v[75:78], v1 offset:896
	v_fma_f64 v[10:11], v[99:100], v[73:74], v[10:11]
	v_fma_f64 v[73:74], v[97:98], v[73:74], -v[105:106]
	s_wait_loadcnt_dscnt 0x401
	v_mul_f64_e32 v[115:116], v[6:7], v[103:104]
	v_mul_f64_e32 v[103:104], v[8:9], v[103:104]
	v_add_f64_e32 v[79:80], v[113:114], v[79:80]
	v_add_f64_e32 v[2:3], v[2:3], v[107:108]
	s_wait_loadcnt_dscnt 0x300
	v_mul_f64_e32 v[105:106], v[75:76], v[83:84]
	v_mul_f64_e32 v[83:84], v[77:78], v[83:84]
	v_fma_f64 v[107:108], v[8:9], v[101:102], v[115:116]
	v_fma_f64 v[101:102], v[6:7], v[101:102], -v[103:104]
	ds_load_b128 v[6:9], v1 offset:912
	ds_load_b128 v[97:100], v1 offset:928
	v_add_f64_e32 v[10:11], v[79:80], v[10:11]
	v_add_f64_e32 v[2:3], v[2:3], v[73:74]
	v_fma_f64 v[77:78], v[77:78], v[81:82], v[105:106]
	v_fma_f64 v[75:76], v[75:76], v[81:82], -v[83:84]
	s_wait_loadcnt_dscnt 0x201
	v_mul_f64_e32 v[73:74], v[6:7], v[87:88]
	v_mul_f64_e32 v[79:80], v[8:9], v[87:88]
	s_wait_loadcnt_dscnt 0x100
	v_mul_f64_e32 v[81:82], v[97:98], v[91:92]
	v_mul_f64_e32 v[83:84], v[99:100], v[91:92]
	v_add_f64_e32 v[10:11], v[10:11], v[107:108]
	v_add_f64_e32 v[2:3], v[2:3], v[101:102]
	v_fma_f64 v[73:74], v[8:9], v[85:86], v[73:74]
	v_fma_f64 v[79:80], v[6:7], v[85:86], -v[79:80]
	ds_load_b128 v[6:9], v1 offset:944
	v_fma_f64 v[81:82], v[99:100], v[89:90], v[81:82]
	v_fma_f64 v[83:84], v[97:98], v[89:90], -v[83:84]
	v_add_f64_e32 v[10:11], v[10:11], v[77:78]
	v_add_f64_e32 v[2:3], v[2:3], v[75:76]
	s_wait_loadcnt_dscnt 0x0
	v_mul_f64_e32 v[75:76], v[6:7], v[95:96]
	v_mul_f64_e32 v[77:78], v[8:9], v[95:96]
	s_delay_alu instid0(VALU_DEP_4) | instskip(NEXT) | instid1(VALU_DEP_4)
	v_add_f64_e32 v[10:11], v[10:11], v[73:74]
	v_add_f64_e32 v[2:3], v[2:3], v[79:80]
	s_delay_alu instid0(VALU_DEP_4) | instskip(NEXT) | instid1(VALU_DEP_4)
	v_fma_f64 v[8:9], v[8:9], v[93:94], v[75:76]
	v_fma_f64 v[6:7], v[6:7], v[93:94], -v[77:78]
	s_delay_alu instid0(VALU_DEP_4) | instskip(NEXT) | instid1(VALU_DEP_4)
	v_add_f64_e32 v[10:11], v[10:11], v[81:82]
	v_add_f64_e32 v[2:3], v[2:3], v[83:84]
	s_delay_alu instid0(VALU_DEP_2) | instskip(NEXT) | instid1(VALU_DEP_2)
	v_add_f64_e32 v[8:9], v[10:11], v[8:9]
	v_add_f64_e32 v[2:3], v[2:3], v[6:7]
	s_delay_alu instid0(VALU_DEP_2) | instskip(NEXT) | instid1(VALU_DEP_2)
	v_add_f64_e64 v[8:9], v[111:112], -v[8:9]
	v_add_f64_e64 v[6:7], v[109:110], -v[2:3]
	scratch_store_b128 off, v[6:9], off offset:208
	v_cmpx_lt_u32_e32 11, v0
	s_cbranch_execz .LBB93_171
; %bb.170:
	scratch_load_b128 v[6:9], off, s11
	v_dual_mov_b32 v2, v1 :: v_dual_mov_b32 v3, v1
	v_mov_b32_e32 v4, v1
	scratch_store_b128 off, v[1:4], off offset:192
	s_wait_loadcnt 0x0
	ds_store_b128 v5, v[6:9]
.LBB93_171:
	s_wait_alu 0xfffe
	s_or_b32 exec_lo, exec_lo, s0
	s_wait_storecnt_dscnt 0x0
	s_barrier_signal -1
	s_barrier_wait -1
	global_inv scope:SCOPE_SE
	s_clause 0x8
	scratch_load_b128 v[6:9], off, off offset:208
	scratch_load_b128 v[73:76], off, off offset:224
	;; [unrolled: 1-line block ×9, first 2 shown]
	ds_load_b128 v[105:108], v1 offset:672
	ds_load_b128 v[109:112], v1 offset:688
	scratch_load_b128 v[113:116], off, off offset:192
	s_mov_b32 s0, exec_lo
	ds_load_b128 v[121:124], v1 offset:720
	s_wait_loadcnt_dscnt 0x902
	v_mul_f64_e32 v[2:3], v[107:108], v[8:9]
	v_mul_f64_e32 v[117:118], v[105:106], v[8:9]
	scratch_load_b128 v[8:11], off, off offset:352
	s_wait_loadcnt_dscnt 0x901
	v_mul_f64_e32 v[125:126], v[109:110], v[75:76]
	v_mul_f64_e32 v[75:76], v[111:112], v[75:76]
	v_fma_f64 v[2:3], v[105:106], v[6:7], -v[2:3]
	v_fma_f64 v[6:7], v[107:108], v[6:7], v[117:118]
	ds_load_b128 v[105:108], v1 offset:704
	scratch_load_b128 v[117:120], off, off offset:368
	v_fma_f64 v[111:112], v[111:112], v[73:74], v[125:126]
	v_fma_f64 v[109:110], v[109:110], v[73:74], -v[75:76]
	scratch_load_b128 v[73:76], off, off offset:384
	s_wait_loadcnt_dscnt 0x901
	v_mul_f64_e32 v[125:126], v[121:122], v[83:84]
	v_mul_f64_e32 v[83:84], v[123:124], v[83:84]
	s_wait_dscnt 0x0
	v_mul_f64_e32 v[127:128], v[105:106], v[79:80]
	v_mul_f64_e32 v[79:80], v[107:108], v[79:80]
	v_add_f64_e32 v[2:3], 0, v[2:3]
	v_add_f64_e32 v[6:7], 0, v[6:7]
	v_fma_f64 v[123:124], v[123:124], v[81:82], v[125:126]
	v_fma_f64 v[121:122], v[121:122], v[81:82], -v[83:84]
	scratch_load_b128 v[81:84], off, off offset:416
	v_fma_f64 v[127:128], v[107:108], v[77:78], v[127:128]
	v_fma_f64 v[129:130], v[105:106], v[77:78], -v[79:80]
	ds_load_b128 v[77:80], v1 offset:736
	scratch_load_b128 v[105:108], off, off offset:400
	v_add_f64_e32 v[2:3], v[2:3], v[109:110]
	v_add_f64_e32 v[6:7], v[6:7], v[111:112]
	ds_load_b128 v[109:112], v1 offset:752
	s_wait_loadcnt_dscnt 0xa01
	v_mul_f64_e32 v[131:132], v[77:78], v[87:88]
	v_mul_f64_e32 v[87:88], v[79:80], v[87:88]
	s_wait_loadcnt_dscnt 0x900
	v_mul_f64_e32 v[125:126], v[109:110], v[91:92]
	v_mul_f64_e32 v[91:92], v[111:112], v[91:92]
	v_add_f64_e32 v[2:3], v[2:3], v[129:130]
	v_add_f64_e32 v[6:7], v[6:7], v[127:128]
	v_fma_f64 v[127:128], v[79:80], v[85:86], v[131:132]
	v_fma_f64 v[129:130], v[77:78], v[85:86], -v[87:88]
	ds_load_b128 v[77:80], v1 offset:768
	scratch_load_b128 v[85:88], off, off offset:432
	v_fma_f64 v[111:112], v[111:112], v[89:90], v[125:126]
	v_fma_f64 v[109:110], v[109:110], v[89:90], -v[91:92]
	scratch_load_b128 v[89:92], off, off offset:448
	v_add_f64_e32 v[2:3], v[2:3], v[121:122]
	v_add_f64_e32 v[6:7], v[6:7], v[123:124]
	ds_load_b128 v[121:124], v1 offset:784
	s_wait_loadcnt_dscnt 0xa01
	v_mul_f64_e32 v[131:132], v[77:78], v[95:96]
	v_mul_f64_e32 v[95:96], v[79:80], v[95:96]
	s_wait_loadcnt_dscnt 0x900
	v_mul_f64_e32 v[125:126], v[121:122], v[99:100]
	v_mul_f64_e32 v[99:100], v[123:124], v[99:100]
	v_add_f64_e32 v[2:3], v[2:3], v[129:130]
	v_add_f64_e32 v[6:7], v[6:7], v[127:128]
	v_fma_f64 v[127:128], v[79:80], v[93:94], v[131:132]
	v_fma_f64 v[129:130], v[77:78], v[93:94], -v[95:96]
	ds_load_b128 v[77:80], v1 offset:800
	scratch_load_b128 v[93:96], off, off offset:464
	v_fma_f64 v[123:124], v[123:124], v[97:98], v[125:126]
	v_fma_f64 v[121:122], v[121:122], v[97:98], -v[99:100]
	scratch_load_b128 v[97:100], off, off offset:480
	v_add_f64_e32 v[2:3], v[2:3], v[109:110]
	v_add_f64_e32 v[6:7], v[6:7], v[111:112]
	ds_load_b128 v[109:112], v1 offset:816
	s_wait_loadcnt_dscnt 0xa01
	v_mul_f64_e32 v[131:132], v[77:78], v[103:104]
	v_mul_f64_e32 v[103:104], v[79:80], v[103:104]
	v_add_f64_e32 v[2:3], v[2:3], v[129:130]
	v_add_f64_e32 v[6:7], v[6:7], v[127:128]
	s_delay_alu instid0(VALU_DEP_4) | instskip(NEXT) | instid1(VALU_DEP_4)
	v_fma_f64 v[127:128], v[79:80], v[101:102], v[131:132]
	v_fma_f64 v[129:130], v[77:78], v[101:102], -v[103:104]
	ds_load_b128 v[77:80], v1 offset:832
	ds_load_b128 v[101:104], v1 offset:848
	s_wait_loadcnt_dscnt 0x802
	v_mul_f64_e32 v[125:126], v[109:110], v[10:11]
	v_mul_f64_e32 v[10:11], v[111:112], v[10:11]
	v_add_f64_e32 v[2:3], v[2:3], v[121:122]
	v_add_f64_e32 v[6:7], v[6:7], v[123:124]
	s_delay_alu instid0(VALU_DEP_4)
	v_fma_f64 v[111:112], v[111:112], v[8:9], v[125:126]
	s_wait_loadcnt_dscnt 0x701
	v_mul_f64_e32 v[121:122], v[77:78], v[119:120]
	v_mul_f64_e32 v[119:120], v[79:80], v[119:120]
	v_fma_f64 v[8:9], v[109:110], v[8:9], -v[10:11]
	s_wait_loadcnt_dscnt 0x600
	v_mul_f64_e32 v[10:11], v[101:102], v[75:76]
	v_mul_f64_e32 v[109:110], v[103:104], v[75:76]
	v_add_f64_e32 v[2:3], v[2:3], v[129:130]
	v_add_f64_e32 v[6:7], v[6:7], v[127:128]
	v_fma_f64 v[79:80], v[79:80], v[117:118], v[121:122]
	v_fma_f64 v[117:118], v[77:78], v[117:118], -v[119:120]
	v_fma_f64 v[10:11], v[103:104], v[73:74], v[10:11]
	v_fma_f64 v[73:74], v[101:102], v[73:74], -v[109:110]
	v_add_f64_e32 v[2:3], v[2:3], v[8:9]
	v_add_f64_e32 v[111:112], v[6:7], v[111:112]
	ds_load_b128 v[6:9], v1 offset:864
	ds_load_b128 v[75:78], v1 offset:880
	s_wait_loadcnt_dscnt 0x401
	v_mul_f64_e32 v[119:120], v[6:7], v[107:108]
	v_mul_f64_e32 v[107:108], v[8:9], v[107:108]
	s_wait_dscnt 0x0
	v_mul_f64_e32 v[109:110], v[75:76], v[83:84]
	v_mul_f64_e32 v[83:84], v[77:78], v[83:84]
	v_add_f64_e32 v[2:3], v[2:3], v[117:118]
	v_add_f64_e32 v[79:80], v[111:112], v[79:80]
	v_fma_f64 v[111:112], v[8:9], v[105:106], v[119:120]
	v_fma_f64 v[105:106], v[6:7], v[105:106], -v[107:108]
	ds_load_b128 v[6:9], v1 offset:896
	ds_load_b128 v[101:104], v1 offset:912
	v_fma_f64 v[77:78], v[77:78], v[81:82], v[109:110]
	v_fma_f64 v[75:76], v[75:76], v[81:82], -v[83:84]
	v_add_f64_e32 v[2:3], v[2:3], v[73:74]
	v_add_f64_e32 v[10:11], v[79:80], v[10:11]
	s_wait_loadcnt_dscnt 0x301
	v_mul_f64_e32 v[73:74], v[6:7], v[87:88]
	v_mul_f64_e32 v[79:80], v[8:9], v[87:88]
	s_wait_loadcnt_dscnt 0x200
	v_mul_f64_e32 v[81:82], v[101:102], v[91:92]
	v_mul_f64_e32 v[83:84], v[103:104], v[91:92]
	v_add_f64_e32 v[2:3], v[2:3], v[105:106]
	v_add_f64_e32 v[10:11], v[10:11], v[111:112]
	v_fma_f64 v[73:74], v[8:9], v[85:86], v[73:74]
	v_fma_f64 v[79:80], v[6:7], v[85:86], -v[79:80]
	v_fma_f64 v[81:82], v[103:104], v[89:90], v[81:82]
	v_fma_f64 v[83:84], v[101:102], v[89:90], -v[83:84]
	v_add_f64_e32 v[75:76], v[2:3], v[75:76]
	v_add_f64_e32 v[10:11], v[10:11], v[77:78]
	ds_load_b128 v[6:9], v1 offset:928
	ds_load_b128 v[1:4], v1 offset:944
	s_wait_loadcnt_dscnt 0x101
	v_mul_f64_e32 v[77:78], v[6:7], v[95:96]
	v_mul_f64_e32 v[85:86], v[8:9], v[95:96]
	v_add_f64_e32 v[75:76], v[75:76], v[79:80]
	v_add_f64_e32 v[10:11], v[10:11], v[73:74]
	s_wait_loadcnt_dscnt 0x0
	v_mul_f64_e32 v[73:74], v[1:2], v[99:100]
	v_mul_f64_e32 v[79:80], v[3:4], v[99:100]
	v_fma_f64 v[8:9], v[8:9], v[93:94], v[77:78]
	v_fma_f64 v[6:7], v[6:7], v[93:94], -v[85:86]
	v_add_f64_e32 v[75:76], v[75:76], v[83:84]
	v_add_f64_e32 v[10:11], v[10:11], v[81:82]
	v_fma_f64 v[3:4], v[3:4], v[97:98], v[73:74]
	v_fma_f64 v[1:2], v[1:2], v[97:98], -v[79:80]
	s_delay_alu instid0(VALU_DEP_4) | instskip(NEXT) | instid1(VALU_DEP_4)
	v_add_f64_e32 v[6:7], v[75:76], v[6:7]
	v_add_f64_e32 v[8:9], v[10:11], v[8:9]
	s_delay_alu instid0(VALU_DEP_2) | instskip(NEXT) | instid1(VALU_DEP_2)
	v_add_f64_e32 v[1:2], v[6:7], v[1:2]
	v_add_f64_e32 v[3:4], v[8:9], v[3:4]
	s_delay_alu instid0(VALU_DEP_2) | instskip(NEXT) | instid1(VALU_DEP_2)
	v_add_f64_e64 v[1:2], v[113:114], -v[1:2]
	v_add_f64_e64 v[3:4], v[115:116], -v[3:4]
	scratch_store_b128 off, v[1:4], off offset:192
	v_cmpx_lt_u32_e32 10, v0
	s_cbranch_execz .LBB93_173
; %bb.172:
	scratch_load_b128 v[1:4], off, s26
	v_mov_b32_e32 v6, 0
	s_delay_alu instid0(VALU_DEP_1)
	v_dual_mov_b32 v7, v6 :: v_dual_mov_b32 v8, v6
	v_mov_b32_e32 v9, v6
	scratch_store_b128 off, v[6:9], off offset:176
	s_wait_loadcnt 0x0
	ds_store_b128 v5, v[1:4]
.LBB93_173:
	s_wait_alu 0xfffe
	s_or_b32 exec_lo, exec_lo, s0
	s_wait_storecnt_dscnt 0x0
	s_barrier_signal -1
	s_barrier_wait -1
	global_inv scope:SCOPE_SE
	s_clause 0x7
	scratch_load_b128 v[6:9], off, off offset:192
	scratch_load_b128 v[73:76], off, off offset:208
	;; [unrolled: 1-line block ×8, first 2 shown]
	v_mov_b32_e32 v1, 0
	s_mov_b32 s0, exec_lo
	ds_load_b128 v[101:104], v1 offset:656
	s_clause 0x1
	scratch_load_b128 v[105:108], off, off offset:320
	scratch_load_b128 v[109:112], off, off offset:176
	ds_load_b128 v[113:116], v1 offset:672
	ds_load_b128 v[121:124], v1 offset:704
	s_wait_loadcnt_dscnt 0x902
	v_mul_f64_e32 v[2:3], v[103:104], v[8:9]
	v_mul_f64_e32 v[117:118], v[101:102], v[8:9]
	scratch_load_b128 v[8:11], off, off offset:336
	v_fma_f64 v[2:3], v[101:102], v[6:7], -v[2:3]
	v_fma_f64 v[6:7], v[103:104], v[6:7], v[117:118]
	ds_load_b128 v[101:104], v1 offset:688
	s_wait_loadcnt_dscnt 0x902
	v_mul_f64_e32 v[125:126], v[113:114], v[75:76]
	v_mul_f64_e32 v[75:76], v[115:116], v[75:76]
	scratch_load_b128 v[117:120], off, off offset:352
	s_wait_loadcnt_dscnt 0x900
	v_mul_f64_e32 v[127:128], v[101:102], v[79:80]
	v_mul_f64_e32 v[79:80], v[103:104], v[79:80]
	v_add_f64_e32 v[2:3], 0, v[2:3]
	v_add_f64_e32 v[6:7], 0, v[6:7]
	v_fma_f64 v[115:116], v[115:116], v[73:74], v[125:126]
	v_fma_f64 v[113:114], v[113:114], v[73:74], -v[75:76]
	scratch_load_b128 v[73:76], off, off offset:368
	v_fma_f64 v[127:128], v[103:104], v[77:78], v[127:128]
	v_fma_f64 v[129:130], v[101:102], v[77:78], -v[79:80]
	ds_load_b128 v[77:80], v1 offset:720
	s_wait_loadcnt 0x9
	v_mul_f64_e32 v[125:126], v[121:122], v[83:84]
	v_mul_f64_e32 v[83:84], v[123:124], v[83:84]
	scratch_load_b128 v[101:104], off, off offset:384
	v_add_f64_e32 v[6:7], v[6:7], v[115:116]
	v_add_f64_e32 v[2:3], v[2:3], v[113:114]
	ds_load_b128 v[113:116], v1 offset:736
	s_wait_loadcnt_dscnt 0x901
	v_mul_f64_e32 v[131:132], v[77:78], v[87:88]
	v_mul_f64_e32 v[87:88], v[79:80], v[87:88]
	v_fma_f64 v[123:124], v[123:124], v[81:82], v[125:126]
	v_fma_f64 v[121:122], v[121:122], v[81:82], -v[83:84]
	scratch_load_b128 v[81:84], off, off offset:400
	v_add_f64_e32 v[6:7], v[6:7], v[127:128]
	v_add_f64_e32 v[2:3], v[2:3], v[129:130]
	v_fma_f64 v[127:128], v[79:80], v[85:86], v[131:132]
	v_fma_f64 v[129:130], v[77:78], v[85:86], -v[87:88]
	ds_load_b128 v[77:80], v1 offset:752
	s_wait_loadcnt_dscnt 0x901
	v_mul_f64_e32 v[125:126], v[113:114], v[91:92]
	v_mul_f64_e32 v[91:92], v[115:116], v[91:92]
	scratch_load_b128 v[85:88], off, off offset:416
	s_wait_loadcnt_dscnt 0x900
	v_mul_f64_e32 v[131:132], v[77:78], v[95:96]
	v_mul_f64_e32 v[95:96], v[79:80], v[95:96]
	v_add_f64_e32 v[6:7], v[6:7], v[123:124]
	v_add_f64_e32 v[2:3], v[2:3], v[121:122]
	ds_load_b128 v[121:124], v1 offset:768
	v_fma_f64 v[115:116], v[115:116], v[89:90], v[125:126]
	v_fma_f64 v[113:114], v[113:114], v[89:90], -v[91:92]
	scratch_load_b128 v[89:92], off, off offset:432
	v_add_f64_e32 v[6:7], v[6:7], v[127:128]
	v_add_f64_e32 v[2:3], v[2:3], v[129:130]
	v_fma_f64 v[127:128], v[79:80], v[93:94], v[131:132]
	v_fma_f64 v[129:130], v[77:78], v[93:94], -v[95:96]
	ds_load_b128 v[77:80], v1 offset:784
	s_wait_loadcnt_dscnt 0x901
	v_mul_f64_e32 v[125:126], v[121:122], v[99:100]
	v_mul_f64_e32 v[99:100], v[123:124], v[99:100]
	scratch_load_b128 v[93:96], off, off offset:448
	s_wait_loadcnt_dscnt 0x900
	v_mul_f64_e32 v[131:132], v[77:78], v[107:108]
	v_mul_f64_e32 v[107:108], v[79:80], v[107:108]
	v_add_f64_e32 v[6:7], v[6:7], v[115:116]
	v_add_f64_e32 v[2:3], v[2:3], v[113:114]
	ds_load_b128 v[113:116], v1 offset:800
	v_fma_f64 v[123:124], v[123:124], v[97:98], v[125:126]
	v_fma_f64 v[121:122], v[121:122], v[97:98], -v[99:100]
	scratch_load_b128 v[97:100], off, off offset:464
	v_add_f64_e32 v[6:7], v[6:7], v[127:128]
	v_add_f64_e32 v[2:3], v[2:3], v[129:130]
	v_fma_f64 v[127:128], v[79:80], v[105:106], v[131:132]
	v_fma_f64 v[129:130], v[77:78], v[105:106], -v[107:108]
	ds_load_b128 v[77:80], v1 offset:816
	scratch_load_b128 v[105:108], off, off offset:480
	s_wait_loadcnt_dscnt 0x901
	v_mul_f64_e32 v[125:126], v[113:114], v[10:11]
	v_mul_f64_e32 v[10:11], v[115:116], v[10:11]
	v_add_f64_e32 v[6:7], v[6:7], v[123:124]
	v_add_f64_e32 v[2:3], v[2:3], v[121:122]
	ds_load_b128 v[121:124], v1 offset:832
	v_fma_f64 v[115:116], v[115:116], v[8:9], v[125:126]
	v_fma_f64 v[8:9], v[113:114], v[8:9], -v[10:11]
	s_wait_loadcnt_dscnt 0x801
	v_mul_f64_e32 v[131:132], v[77:78], v[119:120]
	v_mul_f64_e32 v[119:120], v[79:80], v[119:120]
	v_add_f64_e32 v[6:7], v[6:7], v[127:128]
	v_add_f64_e32 v[2:3], v[2:3], v[129:130]
	s_wait_loadcnt_dscnt 0x700
	v_mul_f64_e32 v[10:11], v[121:122], v[75:76]
	v_mul_f64_e32 v[113:114], v[123:124], v[75:76]
	v_fma_f64 v[79:80], v[79:80], v[117:118], v[131:132]
	v_fma_f64 v[117:118], v[77:78], v[117:118], -v[119:120]
	v_add_f64_e32 v[115:116], v[6:7], v[115:116]
	v_add_f64_e32 v[2:3], v[2:3], v[8:9]
	ds_load_b128 v[6:9], v1 offset:848
	ds_load_b128 v[75:78], v1 offset:864
	v_fma_f64 v[10:11], v[123:124], v[73:74], v[10:11]
	v_fma_f64 v[73:74], v[121:122], v[73:74], -v[113:114]
	s_wait_loadcnt_dscnt 0x601
	v_mul_f64_e32 v[119:120], v[6:7], v[103:104]
	v_mul_f64_e32 v[103:104], v[8:9], v[103:104]
	v_add_f64_e32 v[79:80], v[115:116], v[79:80]
	v_add_f64_e32 v[2:3], v[2:3], v[117:118]
	s_wait_loadcnt_dscnt 0x500
	v_mul_f64_e32 v[113:114], v[75:76], v[83:84]
	v_mul_f64_e32 v[83:84], v[77:78], v[83:84]
	v_fma_f64 v[115:116], v[8:9], v[101:102], v[119:120]
	v_fma_f64 v[117:118], v[6:7], v[101:102], -v[103:104]
	ds_load_b128 v[6:9], v1 offset:880
	ds_load_b128 v[101:104], v1 offset:896
	v_add_f64_e32 v[10:11], v[79:80], v[10:11]
	v_add_f64_e32 v[2:3], v[2:3], v[73:74]
	v_fma_f64 v[77:78], v[77:78], v[81:82], v[113:114]
	v_fma_f64 v[75:76], v[75:76], v[81:82], -v[83:84]
	s_wait_loadcnt_dscnt 0x401
	v_mul_f64_e32 v[73:74], v[6:7], v[87:88]
	v_mul_f64_e32 v[79:80], v[8:9], v[87:88]
	s_wait_loadcnt_dscnt 0x300
	v_mul_f64_e32 v[81:82], v[101:102], v[91:92]
	v_mul_f64_e32 v[83:84], v[103:104], v[91:92]
	v_add_f64_e32 v[10:11], v[10:11], v[115:116]
	v_add_f64_e32 v[2:3], v[2:3], v[117:118]
	v_fma_f64 v[87:88], v[8:9], v[85:86], v[73:74]
	v_fma_f64 v[79:80], v[6:7], v[85:86], -v[79:80]
	v_fma_f64 v[81:82], v[103:104], v[89:90], v[81:82]
	v_fma_f64 v[83:84], v[101:102], v[89:90], -v[83:84]
	v_add_f64_e32 v[10:11], v[10:11], v[77:78]
	v_add_f64_e32 v[2:3], v[2:3], v[75:76]
	ds_load_b128 v[6:9], v1 offset:912
	ds_load_b128 v[73:76], v1 offset:928
	s_wait_loadcnt_dscnt 0x201
	v_mul_f64_e32 v[77:78], v[6:7], v[95:96]
	v_mul_f64_e32 v[85:86], v[8:9], v[95:96]
	v_add_f64_e32 v[10:11], v[10:11], v[87:88]
	v_add_f64_e32 v[2:3], v[2:3], v[79:80]
	s_wait_loadcnt_dscnt 0x100
	v_mul_f64_e32 v[79:80], v[73:74], v[99:100]
	v_mul_f64_e32 v[87:88], v[75:76], v[99:100]
	v_fma_f64 v[77:78], v[8:9], v[93:94], v[77:78]
	v_fma_f64 v[85:86], v[6:7], v[93:94], -v[85:86]
	ds_load_b128 v[6:9], v1 offset:944
	v_add_f64_e32 v[10:11], v[10:11], v[81:82]
	v_add_f64_e32 v[2:3], v[2:3], v[83:84]
	v_fma_f64 v[75:76], v[75:76], v[97:98], v[79:80]
	v_fma_f64 v[73:74], v[73:74], v[97:98], -v[87:88]
	s_wait_loadcnt_dscnt 0x0
	v_mul_f64_e32 v[81:82], v[6:7], v[107:108]
	v_mul_f64_e32 v[83:84], v[8:9], v[107:108]
	v_add_f64_e32 v[10:11], v[10:11], v[77:78]
	v_add_f64_e32 v[2:3], v[2:3], v[85:86]
	s_delay_alu instid0(VALU_DEP_4) | instskip(NEXT) | instid1(VALU_DEP_4)
	v_fma_f64 v[8:9], v[8:9], v[105:106], v[81:82]
	v_fma_f64 v[6:7], v[6:7], v[105:106], -v[83:84]
	s_delay_alu instid0(VALU_DEP_4) | instskip(NEXT) | instid1(VALU_DEP_4)
	v_add_f64_e32 v[10:11], v[10:11], v[75:76]
	v_add_f64_e32 v[2:3], v[2:3], v[73:74]
	s_delay_alu instid0(VALU_DEP_2) | instskip(NEXT) | instid1(VALU_DEP_2)
	v_add_f64_e32 v[8:9], v[10:11], v[8:9]
	v_add_f64_e32 v[2:3], v[2:3], v[6:7]
	s_delay_alu instid0(VALU_DEP_2) | instskip(NEXT) | instid1(VALU_DEP_2)
	v_add_f64_e64 v[8:9], v[111:112], -v[8:9]
	v_add_f64_e64 v[6:7], v[109:110], -v[2:3]
	scratch_store_b128 off, v[6:9], off offset:176
	v_cmpx_lt_u32_e32 9, v0
	s_cbranch_execz .LBB93_175
; %bb.174:
	scratch_load_b128 v[6:9], off, s10
	v_dual_mov_b32 v2, v1 :: v_dual_mov_b32 v3, v1
	v_mov_b32_e32 v4, v1
	scratch_store_b128 off, v[1:4], off offset:160
	s_wait_loadcnt 0x0
	ds_store_b128 v5, v[6:9]
.LBB93_175:
	s_wait_alu 0xfffe
	s_or_b32 exec_lo, exec_lo, s0
	s_wait_storecnt_dscnt 0x0
	s_barrier_signal -1
	s_barrier_wait -1
	global_inv scope:SCOPE_SE
	s_clause 0x8
	scratch_load_b128 v[6:9], off, off offset:176
	scratch_load_b128 v[73:76], off, off offset:192
	;; [unrolled: 1-line block ×9, first 2 shown]
	ds_load_b128 v[105:108], v1 offset:640
	ds_load_b128 v[109:112], v1 offset:656
	scratch_load_b128 v[113:116], off, off offset:160
	s_mov_b32 s0, exec_lo
	ds_load_b128 v[121:124], v1 offset:688
	s_wait_loadcnt_dscnt 0x902
	v_mul_f64_e32 v[2:3], v[107:108], v[8:9]
	v_mul_f64_e32 v[117:118], v[105:106], v[8:9]
	scratch_load_b128 v[8:11], off, off offset:320
	s_wait_loadcnt_dscnt 0x901
	v_mul_f64_e32 v[125:126], v[109:110], v[75:76]
	v_mul_f64_e32 v[75:76], v[111:112], v[75:76]
	v_fma_f64 v[2:3], v[105:106], v[6:7], -v[2:3]
	v_fma_f64 v[6:7], v[107:108], v[6:7], v[117:118]
	ds_load_b128 v[105:108], v1 offset:672
	scratch_load_b128 v[117:120], off, off offset:336
	v_fma_f64 v[111:112], v[111:112], v[73:74], v[125:126]
	v_fma_f64 v[109:110], v[109:110], v[73:74], -v[75:76]
	scratch_load_b128 v[73:76], off, off offset:352
	s_wait_loadcnt_dscnt 0x901
	v_mul_f64_e32 v[125:126], v[121:122], v[83:84]
	v_mul_f64_e32 v[83:84], v[123:124], v[83:84]
	s_wait_dscnt 0x0
	v_mul_f64_e32 v[127:128], v[105:106], v[79:80]
	v_mul_f64_e32 v[79:80], v[107:108], v[79:80]
	v_add_f64_e32 v[2:3], 0, v[2:3]
	v_add_f64_e32 v[6:7], 0, v[6:7]
	v_fma_f64 v[123:124], v[123:124], v[81:82], v[125:126]
	v_fma_f64 v[121:122], v[121:122], v[81:82], -v[83:84]
	scratch_load_b128 v[81:84], off, off offset:384
	v_fma_f64 v[127:128], v[107:108], v[77:78], v[127:128]
	v_fma_f64 v[129:130], v[105:106], v[77:78], -v[79:80]
	ds_load_b128 v[77:80], v1 offset:704
	scratch_load_b128 v[105:108], off, off offset:368
	v_add_f64_e32 v[2:3], v[2:3], v[109:110]
	v_add_f64_e32 v[6:7], v[6:7], v[111:112]
	ds_load_b128 v[109:112], v1 offset:720
	s_wait_loadcnt_dscnt 0xa01
	v_mul_f64_e32 v[131:132], v[77:78], v[87:88]
	v_mul_f64_e32 v[87:88], v[79:80], v[87:88]
	s_wait_loadcnt_dscnt 0x900
	v_mul_f64_e32 v[125:126], v[109:110], v[91:92]
	v_mul_f64_e32 v[91:92], v[111:112], v[91:92]
	v_add_f64_e32 v[2:3], v[2:3], v[129:130]
	v_add_f64_e32 v[6:7], v[6:7], v[127:128]
	v_fma_f64 v[127:128], v[79:80], v[85:86], v[131:132]
	v_fma_f64 v[129:130], v[77:78], v[85:86], -v[87:88]
	ds_load_b128 v[77:80], v1 offset:736
	scratch_load_b128 v[85:88], off, off offset:400
	v_fma_f64 v[111:112], v[111:112], v[89:90], v[125:126]
	v_fma_f64 v[109:110], v[109:110], v[89:90], -v[91:92]
	scratch_load_b128 v[89:92], off, off offset:416
	v_add_f64_e32 v[2:3], v[2:3], v[121:122]
	v_add_f64_e32 v[6:7], v[6:7], v[123:124]
	ds_load_b128 v[121:124], v1 offset:752
	s_wait_loadcnt_dscnt 0xa01
	v_mul_f64_e32 v[131:132], v[77:78], v[95:96]
	v_mul_f64_e32 v[95:96], v[79:80], v[95:96]
	s_wait_loadcnt_dscnt 0x900
	v_mul_f64_e32 v[125:126], v[121:122], v[99:100]
	v_mul_f64_e32 v[99:100], v[123:124], v[99:100]
	v_add_f64_e32 v[2:3], v[2:3], v[129:130]
	v_add_f64_e32 v[6:7], v[6:7], v[127:128]
	v_fma_f64 v[127:128], v[79:80], v[93:94], v[131:132]
	v_fma_f64 v[129:130], v[77:78], v[93:94], -v[95:96]
	ds_load_b128 v[77:80], v1 offset:768
	scratch_load_b128 v[93:96], off, off offset:432
	v_fma_f64 v[123:124], v[123:124], v[97:98], v[125:126]
	v_fma_f64 v[121:122], v[121:122], v[97:98], -v[99:100]
	scratch_load_b128 v[97:100], off, off offset:448
	v_add_f64_e32 v[2:3], v[2:3], v[109:110]
	v_add_f64_e32 v[6:7], v[6:7], v[111:112]
	ds_load_b128 v[109:112], v1 offset:784
	s_wait_loadcnt_dscnt 0xa01
	v_mul_f64_e32 v[131:132], v[77:78], v[103:104]
	v_mul_f64_e32 v[103:104], v[79:80], v[103:104]
	v_add_f64_e32 v[2:3], v[2:3], v[129:130]
	v_add_f64_e32 v[6:7], v[6:7], v[127:128]
	s_delay_alu instid0(VALU_DEP_4) | instskip(NEXT) | instid1(VALU_DEP_4)
	v_fma_f64 v[127:128], v[79:80], v[101:102], v[131:132]
	v_fma_f64 v[129:130], v[77:78], v[101:102], -v[103:104]
	ds_load_b128 v[77:80], v1 offset:800
	scratch_load_b128 v[101:104], off, off offset:464
	s_wait_loadcnt_dscnt 0x901
	v_mul_f64_e32 v[125:126], v[109:110], v[10:11]
	v_mul_f64_e32 v[10:11], v[111:112], v[10:11]
	v_add_f64_e32 v[2:3], v[2:3], v[121:122]
	v_add_f64_e32 v[6:7], v[6:7], v[123:124]
	ds_load_b128 v[121:124], v1 offset:816
	v_fma_f64 v[111:112], v[111:112], v[8:9], v[125:126]
	s_wait_loadcnt_dscnt 0x801
	v_mul_f64_e32 v[131:132], v[77:78], v[119:120]
	v_mul_f64_e32 v[119:120], v[79:80], v[119:120]
	v_fma_f64 v[10:11], v[109:110], v[8:9], -v[10:11]
	s_wait_loadcnt_dscnt 0x700
	v_mul_f64_e32 v[125:126], v[121:122], v[75:76]
	v_add_f64_e32 v[2:3], v[2:3], v[129:130]
	v_add_f64_e32 v[109:110], v[6:7], v[127:128]
	scratch_load_b128 v[6:9], off, off offset:480
	v_mul_f64_e32 v[127:128], v[123:124], v[75:76]
	v_fma_f64 v[79:80], v[79:80], v[117:118], v[131:132]
	v_fma_f64 v[117:118], v[77:78], v[117:118], -v[119:120]
	v_fma_f64 v[123:124], v[123:124], v[73:74], v[125:126]
	v_add_f64_e32 v[2:3], v[2:3], v[10:11]
	v_add_f64_e32 v[10:11], v[109:110], v[111:112]
	ds_load_b128 v[75:78], v1 offset:832
	ds_load_b128 v[109:112], v1 offset:848
	v_fma_f64 v[73:74], v[121:122], v[73:74], -v[127:128]
	s_wait_loadcnt_dscnt 0x601
	v_mul_f64_e32 v[119:120], v[75:76], v[107:108]
	v_mul_f64_e32 v[107:108], v[77:78], v[107:108]
	v_add_f64_e32 v[2:3], v[2:3], v[117:118]
	v_add_f64_e32 v[10:11], v[10:11], v[79:80]
	s_wait_dscnt 0x0
	v_mul_f64_e32 v[117:118], v[109:110], v[83:84]
	v_mul_f64_e32 v[83:84], v[111:112], v[83:84]
	v_fma_f64 v[119:120], v[77:78], v[105:106], v[119:120]
	v_fma_f64 v[105:106], v[75:76], v[105:106], -v[107:108]
	v_add_f64_e32 v[2:3], v[2:3], v[73:74]
	v_add_f64_e32 v[10:11], v[10:11], v[123:124]
	ds_load_b128 v[73:76], v1 offset:864
	ds_load_b128 v[77:80], v1 offset:880
	v_fma_f64 v[111:112], v[111:112], v[81:82], v[117:118]
	v_fma_f64 v[81:82], v[109:110], v[81:82], -v[83:84]
	s_wait_loadcnt_dscnt 0x501
	v_mul_f64_e32 v[107:108], v[73:74], v[87:88]
	v_mul_f64_e32 v[87:88], v[75:76], v[87:88]
	v_add_f64_e32 v[2:3], v[2:3], v[105:106]
	v_add_f64_e32 v[10:11], v[10:11], v[119:120]
	s_wait_loadcnt_dscnt 0x400
	v_mul_f64_e32 v[105:106], v[77:78], v[91:92]
	v_mul_f64_e32 v[91:92], v[79:80], v[91:92]
	v_fma_f64 v[107:108], v[75:76], v[85:86], v[107:108]
	v_fma_f64 v[85:86], v[73:74], v[85:86], -v[87:88]
	v_add_f64_e32 v[2:3], v[2:3], v[81:82]
	v_add_f64_e32 v[10:11], v[10:11], v[111:112]
	ds_load_b128 v[73:76], v1 offset:896
	ds_load_b128 v[81:84], v1 offset:912
	v_fma_f64 v[79:80], v[79:80], v[89:90], v[105:106]
	v_fma_f64 v[77:78], v[77:78], v[89:90], -v[91:92]
	s_wait_loadcnt_dscnt 0x301
	v_mul_f64_e32 v[87:88], v[73:74], v[95:96]
	v_mul_f64_e32 v[95:96], v[75:76], v[95:96]
	s_wait_loadcnt_dscnt 0x200
	v_mul_f64_e32 v[89:90], v[83:84], v[99:100]
	v_add_f64_e32 v[2:3], v[2:3], v[85:86]
	v_add_f64_e32 v[10:11], v[10:11], v[107:108]
	v_mul_f64_e32 v[85:86], v[81:82], v[99:100]
	v_fma_f64 v[87:88], v[75:76], v[93:94], v[87:88]
	v_fma_f64 v[91:92], v[73:74], v[93:94], -v[95:96]
	v_fma_f64 v[81:82], v[81:82], v[97:98], -v[89:90]
	v_add_f64_e32 v[77:78], v[2:3], v[77:78]
	v_add_f64_e32 v[10:11], v[10:11], v[79:80]
	ds_load_b128 v[73:76], v1 offset:928
	ds_load_b128 v[1:4], v1 offset:944
	v_fma_f64 v[83:84], v[83:84], v[97:98], v[85:86]
	s_wait_loadcnt_dscnt 0x101
	v_mul_f64_e32 v[79:80], v[73:74], v[103:104]
	v_mul_f64_e32 v[93:94], v[75:76], v[103:104]
	v_add_f64_e32 v[77:78], v[77:78], v[91:92]
	v_add_f64_e32 v[10:11], v[10:11], v[87:88]
	s_wait_loadcnt_dscnt 0x0
	v_mul_f64_e32 v[85:86], v[1:2], v[8:9]
	v_mul_f64_e32 v[8:9], v[3:4], v[8:9]
	v_fma_f64 v[75:76], v[75:76], v[101:102], v[79:80]
	v_fma_f64 v[73:74], v[73:74], v[101:102], -v[93:94]
	v_add_f64_e32 v[77:78], v[77:78], v[81:82]
	v_add_f64_e32 v[10:11], v[10:11], v[83:84]
	v_fma_f64 v[3:4], v[3:4], v[6:7], v[85:86]
	v_fma_f64 v[1:2], v[1:2], v[6:7], -v[8:9]
	s_delay_alu instid0(VALU_DEP_4) | instskip(NEXT) | instid1(VALU_DEP_4)
	v_add_f64_e32 v[6:7], v[77:78], v[73:74]
	v_add_f64_e32 v[8:9], v[10:11], v[75:76]
	s_delay_alu instid0(VALU_DEP_2) | instskip(NEXT) | instid1(VALU_DEP_2)
	v_add_f64_e32 v[1:2], v[6:7], v[1:2]
	v_add_f64_e32 v[3:4], v[8:9], v[3:4]
	s_delay_alu instid0(VALU_DEP_2) | instskip(NEXT) | instid1(VALU_DEP_2)
	v_add_f64_e64 v[1:2], v[113:114], -v[1:2]
	v_add_f64_e64 v[3:4], v[115:116], -v[3:4]
	scratch_store_b128 off, v[1:4], off offset:160
	v_cmpx_lt_u32_e32 8, v0
	s_cbranch_execz .LBB93_177
; %bb.176:
	scratch_load_b128 v[1:4], off, s25
	v_mov_b32_e32 v6, 0
	s_delay_alu instid0(VALU_DEP_1)
	v_dual_mov_b32 v7, v6 :: v_dual_mov_b32 v8, v6
	v_mov_b32_e32 v9, v6
	scratch_store_b128 off, v[6:9], off offset:144
	s_wait_loadcnt 0x0
	ds_store_b128 v5, v[1:4]
.LBB93_177:
	s_wait_alu 0xfffe
	s_or_b32 exec_lo, exec_lo, s0
	s_wait_storecnt_dscnt 0x0
	s_barrier_signal -1
	s_barrier_wait -1
	global_inv scope:SCOPE_SE
	s_clause 0x7
	scratch_load_b128 v[6:9], off, off offset:160
	scratch_load_b128 v[73:76], off, off offset:176
	;; [unrolled: 1-line block ×8, first 2 shown]
	v_mov_b32_e32 v1, 0
	s_mov_b32 s0, exec_lo
	ds_load_b128 v[101:104], v1 offset:624
	s_clause 0x1
	scratch_load_b128 v[105:108], off, off offset:288
	scratch_load_b128 v[109:112], off, off offset:144
	ds_load_b128 v[113:116], v1 offset:640
	ds_load_b128 v[121:124], v1 offset:672
	s_wait_loadcnt_dscnt 0x902
	v_mul_f64_e32 v[2:3], v[103:104], v[8:9]
	v_mul_f64_e32 v[117:118], v[101:102], v[8:9]
	scratch_load_b128 v[8:11], off, off offset:304
	v_fma_f64 v[2:3], v[101:102], v[6:7], -v[2:3]
	v_fma_f64 v[6:7], v[103:104], v[6:7], v[117:118]
	ds_load_b128 v[101:104], v1 offset:656
	s_wait_loadcnt_dscnt 0x902
	v_mul_f64_e32 v[125:126], v[113:114], v[75:76]
	v_mul_f64_e32 v[75:76], v[115:116], v[75:76]
	scratch_load_b128 v[117:120], off, off offset:320
	s_wait_loadcnt_dscnt 0x900
	v_mul_f64_e32 v[127:128], v[101:102], v[79:80]
	v_mul_f64_e32 v[79:80], v[103:104], v[79:80]
	v_add_f64_e32 v[2:3], 0, v[2:3]
	v_add_f64_e32 v[6:7], 0, v[6:7]
	v_fma_f64 v[115:116], v[115:116], v[73:74], v[125:126]
	v_fma_f64 v[113:114], v[113:114], v[73:74], -v[75:76]
	scratch_load_b128 v[73:76], off, off offset:336
	v_fma_f64 v[127:128], v[103:104], v[77:78], v[127:128]
	v_fma_f64 v[129:130], v[101:102], v[77:78], -v[79:80]
	ds_load_b128 v[77:80], v1 offset:688
	s_wait_loadcnt 0x9
	v_mul_f64_e32 v[125:126], v[121:122], v[83:84]
	v_mul_f64_e32 v[83:84], v[123:124], v[83:84]
	scratch_load_b128 v[101:104], off, off offset:352
	v_add_f64_e32 v[6:7], v[6:7], v[115:116]
	v_add_f64_e32 v[2:3], v[2:3], v[113:114]
	ds_load_b128 v[113:116], v1 offset:704
	s_wait_loadcnt_dscnt 0x901
	v_mul_f64_e32 v[131:132], v[77:78], v[87:88]
	v_mul_f64_e32 v[87:88], v[79:80], v[87:88]
	v_fma_f64 v[123:124], v[123:124], v[81:82], v[125:126]
	v_fma_f64 v[121:122], v[121:122], v[81:82], -v[83:84]
	scratch_load_b128 v[81:84], off, off offset:368
	v_add_f64_e32 v[6:7], v[6:7], v[127:128]
	v_add_f64_e32 v[2:3], v[2:3], v[129:130]
	v_fma_f64 v[127:128], v[79:80], v[85:86], v[131:132]
	v_fma_f64 v[129:130], v[77:78], v[85:86], -v[87:88]
	ds_load_b128 v[77:80], v1 offset:720
	s_wait_loadcnt_dscnt 0x901
	v_mul_f64_e32 v[125:126], v[113:114], v[91:92]
	v_mul_f64_e32 v[91:92], v[115:116], v[91:92]
	scratch_load_b128 v[85:88], off, off offset:384
	s_wait_loadcnt_dscnt 0x900
	v_mul_f64_e32 v[131:132], v[77:78], v[95:96]
	v_mul_f64_e32 v[95:96], v[79:80], v[95:96]
	v_add_f64_e32 v[6:7], v[6:7], v[123:124]
	v_add_f64_e32 v[2:3], v[2:3], v[121:122]
	ds_load_b128 v[121:124], v1 offset:736
	v_fma_f64 v[115:116], v[115:116], v[89:90], v[125:126]
	v_fma_f64 v[113:114], v[113:114], v[89:90], -v[91:92]
	scratch_load_b128 v[89:92], off, off offset:400
	v_add_f64_e32 v[6:7], v[6:7], v[127:128]
	v_add_f64_e32 v[2:3], v[2:3], v[129:130]
	v_fma_f64 v[127:128], v[79:80], v[93:94], v[131:132]
	v_fma_f64 v[129:130], v[77:78], v[93:94], -v[95:96]
	ds_load_b128 v[77:80], v1 offset:752
	s_wait_loadcnt_dscnt 0x901
	v_mul_f64_e32 v[125:126], v[121:122], v[99:100]
	v_mul_f64_e32 v[99:100], v[123:124], v[99:100]
	scratch_load_b128 v[93:96], off, off offset:416
	s_wait_loadcnt_dscnt 0x900
	v_mul_f64_e32 v[131:132], v[77:78], v[107:108]
	v_mul_f64_e32 v[107:108], v[79:80], v[107:108]
	v_add_f64_e32 v[6:7], v[6:7], v[115:116]
	v_add_f64_e32 v[2:3], v[2:3], v[113:114]
	ds_load_b128 v[113:116], v1 offset:768
	v_fma_f64 v[123:124], v[123:124], v[97:98], v[125:126]
	v_fma_f64 v[121:122], v[121:122], v[97:98], -v[99:100]
	scratch_load_b128 v[97:100], off, off offset:432
	v_add_f64_e32 v[6:7], v[6:7], v[127:128]
	v_add_f64_e32 v[2:3], v[2:3], v[129:130]
	v_fma_f64 v[127:128], v[79:80], v[105:106], v[131:132]
	v_fma_f64 v[129:130], v[77:78], v[105:106], -v[107:108]
	ds_load_b128 v[77:80], v1 offset:784
	scratch_load_b128 v[105:108], off, off offset:448
	s_wait_loadcnt_dscnt 0x901
	v_mul_f64_e32 v[125:126], v[113:114], v[10:11]
	v_mul_f64_e32 v[10:11], v[115:116], v[10:11]
	v_add_f64_e32 v[6:7], v[6:7], v[123:124]
	v_add_f64_e32 v[2:3], v[2:3], v[121:122]
	ds_load_b128 v[121:124], v1 offset:800
	v_fma_f64 v[115:116], v[115:116], v[8:9], v[125:126]
	v_fma_f64 v[10:11], v[113:114], v[8:9], -v[10:11]
	s_wait_loadcnt_dscnt 0x801
	v_mul_f64_e32 v[131:132], v[77:78], v[119:120]
	v_mul_f64_e32 v[119:120], v[79:80], v[119:120]
	v_add_f64_e32 v[113:114], v[6:7], v[127:128]
	v_add_f64_e32 v[2:3], v[2:3], v[129:130]
	scratch_load_b128 v[6:9], off, off offset:464
	v_fma_f64 v[79:80], v[79:80], v[117:118], v[131:132]
	v_fma_f64 v[129:130], v[77:78], v[117:118], -v[119:120]
	ds_load_b128 v[117:120], v1 offset:832
	s_wait_loadcnt_dscnt 0x801
	v_mul_f64_e32 v[125:126], v[121:122], v[75:76]
	v_mul_f64_e32 v[127:128], v[123:124], v[75:76]
	ds_load_b128 v[75:78], v1 offset:816
	v_add_f64_e32 v[2:3], v[2:3], v[10:11]
	v_add_f64_e32 v[10:11], v[113:114], v[115:116]
	scratch_load_b128 v[113:116], off, off offset:480
	s_wait_loadcnt_dscnt 0x800
	v_mul_f64_e32 v[131:132], v[75:76], v[103:104]
	v_mul_f64_e32 v[103:104], v[77:78], v[103:104]
	v_fma_f64 v[123:124], v[123:124], v[73:74], v[125:126]
	v_fma_f64 v[73:74], v[121:122], v[73:74], -v[127:128]
	v_add_f64_e32 v[2:3], v[2:3], v[129:130]
	v_add_f64_e32 v[10:11], v[10:11], v[79:80]
	s_wait_loadcnt 0x7
	v_mul_f64_e32 v[121:122], v[117:118], v[83:84]
	v_mul_f64_e32 v[83:84], v[119:120], v[83:84]
	v_fma_f64 v[125:126], v[77:78], v[101:102], v[131:132]
	v_fma_f64 v[101:102], v[75:76], v[101:102], -v[103:104]
	v_add_f64_e32 v[2:3], v[2:3], v[73:74]
	v_add_f64_e32 v[10:11], v[10:11], v[123:124]
	ds_load_b128 v[73:76], v1 offset:848
	ds_load_b128 v[77:80], v1 offset:864
	v_fma_f64 v[119:120], v[119:120], v[81:82], v[121:122]
	v_fma_f64 v[81:82], v[117:118], v[81:82], -v[83:84]
	s_wait_loadcnt_dscnt 0x601
	v_mul_f64_e32 v[103:104], v[73:74], v[87:88]
	v_mul_f64_e32 v[87:88], v[75:76], v[87:88]
	v_add_f64_e32 v[2:3], v[2:3], v[101:102]
	v_add_f64_e32 v[10:11], v[10:11], v[125:126]
	s_wait_loadcnt_dscnt 0x500
	v_mul_f64_e32 v[101:102], v[77:78], v[91:92]
	v_mul_f64_e32 v[91:92], v[79:80], v[91:92]
	v_fma_f64 v[103:104], v[75:76], v[85:86], v[103:104]
	v_fma_f64 v[85:86], v[73:74], v[85:86], -v[87:88]
	v_add_f64_e32 v[2:3], v[2:3], v[81:82]
	v_add_f64_e32 v[10:11], v[10:11], v[119:120]
	ds_load_b128 v[73:76], v1 offset:880
	ds_load_b128 v[81:84], v1 offset:896
	v_fma_f64 v[79:80], v[79:80], v[89:90], v[101:102]
	v_fma_f64 v[77:78], v[77:78], v[89:90], -v[91:92]
	s_wait_loadcnt_dscnt 0x401
	v_mul_f64_e32 v[87:88], v[73:74], v[95:96]
	v_mul_f64_e32 v[95:96], v[75:76], v[95:96]
	s_wait_loadcnt_dscnt 0x300
	v_mul_f64_e32 v[89:90], v[83:84], v[99:100]
	v_add_f64_e32 v[2:3], v[2:3], v[85:86]
	v_add_f64_e32 v[10:11], v[10:11], v[103:104]
	v_mul_f64_e32 v[85:86], v[81:82], v[99:100]
	v_fma_f64 v[87:88], v[75:76], v[93:94], v[87:88]
	v_fma_f64 v[91:92], v[73:74], v[93:94], -v[95:96]
	v_fma_f64 v[81:82], v[81:82], v[97:98], -v[89:90]
	v_add_f64_e32 v[2:3], v[2:3], v[77:78]
	v_add_f64_e32 v[10:11], v[10:11], v[79:80]
	ds_load_b128 v[73:76], v1 offset:912
	ds_load_b128 v[77:80], v1 offset:928
	v_fma_f64 v[83:84], v[83:84], v[97:98], v[85:86]
	s_wait_loadcnt_dscnt 0x201
	v_mul_f64_e32 v[93:94], v[73:74], v[107:108]
	v_mul_f64_e32 v[95:96], v[75:76], v[107:108]
	v_add_f64_e32 v[2:3], v[2:3], v[91:92]
	v_add_f64_e32 v[10:11], v[10:11], v[87:88]
	s_wait_loadcnt_dscnt 0x100
	v_mul_f64_e32 v[85:86], v[77:78], v[8:9]
	v_mul_f64_e32 v[87:88], v[79:80], v[8:9]
	v_fma_f64 v[75:76], v[75:76], v[105:106], v[93:94]
	v_fma_f64 v[73:74], v[73:74], v[105:106], -v[95:96]
	v_add_f64_e32 v[2:3], v[2:3], v[81:82]
	v_add_f64_e32 v[81:82], v[10:11], v[83:84]
	ds_load_b128 v[8:11], v1 offset:944
	v_fma_f64 v[79:80], v[79:80], v[6:7], v[85:86]
	v_fma_f64 v[6:7], v[77:78], v[6:7], -v[87:88]
	s_wait_loadcnt_dscnt 0x0
	v_mul_f64_e32 v[83:84], v[8:9], v[115:116]
	v_mul_f64_e32 v[89:90], v[10:11], v[115:116]
	v_add_f64_e32 v[2:3], v[2:3], v[73:74]
	v_add_f64_e32 v[73:74], v[81:82], v[75:76]
	s_delay_alu instid0(VALU_DEP_4) | instskip(NEXT) | instid1(VALU_DEP_4)
	v_fma_f64 v[10:11], v[10:11], v[113:114], v[83:84]
	v_fma_f64 v[8:9], v[8:9], v[113:114], -v[89:90]
	s_delay_alu instid0(VALU_DEP_4) | instskip(NEXT) | instid1(VALU_DEP_4)
	v_add_f64_e32 v[2:3], v[2:3], v[6:7]
	v_add_f64_e32 v[6:7], v[73:74], v[79:80]
	s_delay_alu instid0(VALU_DEP_2) | instskip(NEXT) | instid1(VALU_DEP_2)
	v_add_f64_e32 v[2:3], v[2:3], v[8:9]
	v_add_f64_e32 v[8:9], v[6:7], v[10:11]
	s_delay_alu instid0(VALU_DEP_2) | instskip(NEXT) | instid1(VALU_DEP_2)
	v_add_f64_e64 v[6:7], v[109:110], -v[2:3]
	v_add_f64_e64 v[8:9], v[111:112], -v[8:9]
	scratch_store_b128 off, v[6:9], off offset:144
	v_cmpx_lt_u32_e32 7, v0
	s_cbranch_execz .LBB93_179
; %bb.178:
	scratch_load_b128 v[6:9], off, s5
	v_dual_mov_b32 v2, v1 :: v_dual_mov_b32 v3, v1
	v_mov_b32_e32 v4, v1
	scratch_store_b128 off, v[1:4], off offset:128
	s_wait_loadcnt 0x0
	ds_store_b128 v5, v[6:9]
.LBB93_179:
	s_wait_alu 0xfffe
	s_or_b32 exec_lo, exec_lo, s0
	s_wait_storecnt_dscnt 0x0
	s_barrier_signal -1
	s_barrier_wait -1
	global_inv scope:SCOPE_SE
	s_clause 0x8
	scratch_load_b128 v[6:9], off, off offset:144
	scratch_load_b128 v[73:76], off, off offset:160
	;; [unrolled: 1-line block ×9, first 2 shown]
	ds_load_b128 v[105:108], v1 offset:608
	ds_load_b128 v[109:112], v1 offset:624
	scratch_load_b128 v[113:116], off, off offset:128
	s_mov_b32 s0, exec_lo
	ds_load_b128 v[121:124], v1 offset:656
	s_wait_loadcnt_dscnt 0x902
	v_mul_f64_e32 v[2:3], v[107:108], v[8:9]
	v_mul_f64_e32 v[117:118], v[105:106], v[8:9]
	scratch_load_b128 v[8:11], off, off offset:288
	s_wait_loadcnt_dscnt 0x901
	v_mul_f64_e32 v[125:126], v[109:110], v[75:76]
	v_mul_f64_e32 v[75:76], v[111:112], v[75:76]
	v_fma_f64 v[2:3], v[105:106], v[6:7], -v[2:3]
	v_fma_f64 v[6:7], v[107:108], v[6:7], v[117:118]
	ds_load_b128 v[105:108], v1 offset:640
	scratch_load_b128 v[117:120], off, off offset:304
	v_fma_f64 v[111:112], v[111:112], v[73:74], v[125:126]
	v_fma_f64 v[109:110], v[109:110], v[73:74], -v[75:76]
	scratch_load_b128 v[73:76], off, off offset:320
	s_wait_loadcnt_dscnt 0x901
	v_mul_f64_e32 v[125:126], v[121:122], v[83:84]
	v_mul_f64_e32 v[83:84], v[123:124], v[83:84]
	s_wait_dscnt 0x0
	v_mul_f64_e32 v[127:128], v[105:106], v[79:80]
	v_mul_f64_e32 v[79:80], v[107:108], v[79:80]
	v_add_f64_e32 v[2:3], 0, v[2:3]
	v_add_f64_e32 v[6:7], 0, v[6:7]
	v_fma_f64 v[123:124], v[123:124], v[81:82], v[125:126]
	v_fma_f64 v[121:122], v[121:122], v[81:82], -v[83:84]
	scratch_load_b128 v[81:84], off, off offset:352
	v_fma_f64 v[127:128], v[107:108], v[77:78], v[127:128]
	v_fma_f64 v[129:130], v[105:106], v[77:78], -v[79:80]
	ds_load_b128 v[77:80], v1 offset:672
	scratch_load_b128 v[105:108], off, off offset:336
	v_add_f64_e32 v[2:3], v[2:3], v[109:110]
	v_add_f64_e32 v[6:7], v[6:7], v[111:112]
	ds_load_b128 v[109:112], v1 offset:688
	s_wait_loadcnt_dscnt 0xa01
	v_mul_f64_e32 v[131:132], v[77:78], v[87:88]
	v_mul_f64_e32 v[87:88], v[79:80], v[87:88]
	s_wait_loadcnt_dscnt 0x900
	v_mul_f64_e32 v[125:126], v[109:110], v[91:92]
	v_mul_f64_e32 v[91:92], v[111:112], v[91:92]
	v_add_f64_e32 v[2:3], v[2:3], v[129:130]
	v_add_f64_e32 v[6:7], v[6:7], v[127:128]
	v_fma_f64 v[127:128], v[79:80], v[85:86], v[131:132]
	v_fma_f64 v[129:130], v[77:78], v[85:86], -v[87:88]
	ds_load_b128 v[77:80], v1 offset:704
	scratch_load_b128 v[85:88], off, off offset:368
	v_fma_f64 v[111:112], v[111:112], v[89:90], v[125:126]
	v_fma_f64 v[109:110], v[109:110], v[89:90], -v[91:92]
	scratch_load_b128 v[89:92], off, off offset:384
	v_add_f64_e32 v[2:3], v[2:3], v[121:122]
	v_add_f64_e32 v[6:7], v[6:7], v[123:124]
	ds_load_b128 v[121:124], v1 offset:720
	s_wait_loadcnt_dscnt 0xa01
	v_mul_f64_e32 v[131:132], v[77:78], v[95:96]
	v_mul_f64_e32 v[95:96], v[79:80], v[95:96]
	s_wait_loadcnt_dscnt 0x900
	v_mul_f64_e32 v[125:126], v[121:122], v[99:100]
	v_mul_f64_e32 v[99:100], v[123:124], v[99:100]
	v_add_f64_e32 v[2:3], v[2:3], v[129:130]
	v_add_f64_e32 v[6:7], v[6:7], v[127:128]
	v_fma_f64 v[127:128], v[79:80], v[93:94], v[131:132]
	v_fma_f64 v[129:130], v[77:78], v[93:94], -v[95:96]
	ds_load_b128 v[77:80], v1 offset:736
	scratch_load_b128 v[93:96], off, off offset:400
	v_fma_f64 v[123:124], v[123:124], v[97:98], v[125:126]
	v_fma_f64 v[121:122], v[121:122], v[97:98], -v[99:100]
	scratch_load_b128 v[97:100], off, off offset:416
	v_add_f64_e32 v[2:3], v[2:3], v[109:110]
	v_add_f64_e32 v[6:7], v[6:7], v[111:112]
	ds_load_b128 v[109:112], v1 offset:752
	s_wait_loadcnt_dscnt 0xa01
	v_mul_f64_e32 v[131:132], v[77:78], v[103:104]
	v_mul_f64_e32 v[103:104], v[79:80], v[103:104]
	v_add_f64_e32 v[2:3], v[2:3], v[129:130]
	v_add_f64_e32 v[6:7], v[6:7], v[127:128]
	s_delay_alu instid0(VALU_DEP_4) | instskip(NEXT) | instid1(VALU_DEP_4)
	v_fma_f64 v[127:128], v[79:80], v[101:102], v[131:132]
	v_fma_f64 v[129:130], v[77:78], v[101:102], -v[103:104]
	ds_load_b128 v[77:80], v1 offset:768
	scratch_load_b128 v[101:104], off, off offset:432
	s_wait_loadcnt_dscnt 0x901
	v_mul_f64_e32 v[125:126], v[109:110], v[10:11]
	v_mul_f64_e32 v[10:11], v[111:112], v[10:11]
	v_add_f64_e32 v[2:3], v[2:3], v[121:122]
	v_add_f64_e32 v[6:7], v[6:7], v[123:124]
	ds_load_b128 v[121:124], v1 offset:784
	v_fma_f64 v[111:112], v[111:112], v[8:9], v[125:126]
	s_wait_loadcnt_dscnt 0x801
	v_mul_f64_e32 v[131:132], v[77:78], v[119:120]
	v_mul_f64_e32 v[119:120], v[79:80], v[119:120]
	v_fma_f64 v[10:11], v[109:110], v[8:9], -v[10:11]
	s_wait_loadcnt_dscnt 0x700
	v_mul_f64_e32 v[125:126], v[121:122], v[75:76]
	v_add_f64_e32 v[2:3], v[2:3], v[129:130]
	v_add_f64_e32 v[109:110], v[6:7], v[127:128]
	scratch_load_b128 v[6:9], off, off offset:448
	v_mul_f64_e32 v[127:128], v[123:124], v[75:76]
	v_fma_f64 v[79:80], v[79:80], v[117:118], v[131:132]
	v_fma_f64 v[129:130], v[77:78], v[117:118], -v[119:120]
	ds_load_b128 v[75:78], v1 offset:800
	ds_load_b128 v[117:120], v1 offset:816
	v_fma_f64 v[125:126], v[123:124], v[73:74], v[125:126]
	v_add_f64_e32 v[2:3], v[2:3], v[10:11]
	v_add_f64_e32 v[10:11], v[109:110], v[111:112]
	scratch_load_b128 v[109:112], off, off offset:464
	s_wait_loadcnt_dscnt 0x701
	v_mul_f64_e32 v[131:132], v[75:76], v[107:108]
	v_mul_f64_e32 v[107:108], v[77:78], v[107:108]
	v_fma_f64 v[73:74], v[121:122], v[73:74], -v[127:128]
	scratch_load_b128 v[121:124], off, off offset:480
	s_wait_dscnt 0x0
	v_mul_f64_e32 v[127:128], v[117:118], v[83:84]
	v_mul_f64_e32 v[83:84], v[119:120], v[83:84]
	v_add_f64_e32 v[2:3], v[2:3], v[129:130]
	v_add_f64_e32 v[10:11], v[10:11], v[79:80]
	v_fma_f64 v[129:130], v[77:78], v[105:106], v[131:132]
	v_fma_f64 v[105:106], v[75:76], v[105:106], -v[107:108]
	v_fma_f64 v[119:120], v[119:120], v[81:82], v[127:128]
	v_fma_f64 v[81:82], v[117:118], v[81:82], -v[83:84]
	v_add_f64_e32 v[2:3], v[2:3], v[73:74]
	v_add_f64_e32 v[10:11], v[10:11], v[125:126]
	ds_load_b128 v[73:76], v1 offset:832
	ds_load_b128 v[77:80], v1 offset:848
	s_wait_loadcnt_dscnt 0x701
	v_mul_f64_e32 v[107:108], v[73:74], v[87:88]
	v_mul_f64_e32 v[87:88], v[75:76], v[87:88]
	v_add_f64_e32 v[2:3], v[2:3], v[105:106]
	v_add_f64_e32 v[10:11], v[10:11], v[129:130]
	s_wait_loadcnt_dscnt 0x600
	v_mul_f64_e32 v[105:106], v[77:78], v[91:92]
	v_mul_f64_e32 v[91:92], v[79:80], v[91:92]
	v_fma_f64 v[107:108], v[75:76], v[85:86], v[107:108]
	v_fma_f64 v[85:86], v[73:74], v[85:86], -v[87:88]
	v_add_f64_e32 v[2:3], v[2:3], v[81:82]
	v_add_f64_e32 v[10:11], v[10:11], v[119:120]
	ds_load_b128 v[73:76], v1 offset:864
	ds_load_b128 v[81:84], v1 offset:880
	v_fma_f64 v[79:80], v[79:80], v[89:90], v[105:106]
	v_fma_f64 v[77:78], v[77:78], v[89:90], -v[91:92]
	s_wait_loadcnt_dscnt 0x501
	v_mul_f64_e32 v[87:88], v[73:74], v[95:96]
	v_mul_f64_e32 v[95:96], v[75:76], v[95:96]
	s_wait_loadcnt_dscnt 0x400
	v_mul_f64_e32 v[89:90], v[83:84], v[99:100]
	v_add_f64_e32 v[2:3], v[2:3], v[85:86]
	v_add_f64_e32 v[10:11], v[10:11], v[107:108]
	v_mul_f64_e32 v[85:86], v[81:82], v[99:100]
	v_fma_f64 v[87:88], v[75:76], v[93:94], v[87:88]
	v_fma_f64 v[91:92], v[73:74], v[93:94], -v[95:96]
	v_fma_f64 v[81:82], v[81:82], v[97:98], -v[89:90]
	v_add_f64_e32 v[2:3], v[2:3], v[77:78]
	v_add_f64_e32 v[10:11], v[10:11], v[79:80]
	ds_load_b128 v[73:76], v1 offset:896
	ds_load_b128 v[77:80], v1 offset:912
	v_fma_f64 v[83:84], v[83:84], v[97:98], v[85:86]
	s_wait_loadcnt_dscnt 0x301
	v_mul_f64_e32 v[93:94], v[73:74], v[103:104]
	v_mul_f64_e32 v[95:96], v[75:76], v[103:104]
	v_add_f64_e32 v[2:3], v[2:3], v[91:92]
	v_add_f64_e32 v[10:11], v[10:11], v[87:88]
	s_wait_loadcnt_dscnt 0x200
	v_mul_f64_e32 v[85:86], v[77:78], v[8:9]
	v_mul_f64_e32 v[87:88], v[79:80], v[8:9]
	v_fma_f64 v[75:76], v[75:76], v[101:102], v[93:94]
	v_fma_f64 v[73:74], v[73:74], v[101:102], -v[95:96]
	v_add_f64_e32 v[81:82], v[2:3], v[81:82]
	v_add_f64_e32 v[83:84], v[10:11], v[83:84]
	ds_load_b128 v[8:11], v1 offset:928
	ds_load_b128 v[1:4], v1 offset:944
	v_fma_f64 v[79:80], v[79:80], v[6:7], v[85:86]
	v_fma_f64 v[6:7], v[77:78], v[6:7], -v[87:88]
	s_wait_loadcnt_dscnt 0x101
	v_mul_f64_e32 v[89:90], v[8:9], v[111:112]
	v_mul_f64_e32 v[91:92], v[10:11], v[111:112]
	s_wait_loadcnt_dscnt 0x0
	v_mul_f64_e32 v[77:78], v[1:2], v[123:124]
	v_add_f64_e32 v[73:74], v[81:82], v[73:74]
	v_add_f64_e32 v[75:76], v[83:84], v[75:76]
	v_mul_f64_e32 v[81:82], v[3:4], v[123:124]
	v_fma_f64 v[10:11], v[10:11], v[109:110], v[89:90]
	v_fma_f64 v[8:9], v[8:9], v[109:110], -v[91:92]
	v_fma_f64 v[3:4], v[3:4], v[121:122], v[77:78]
	v_add_f64_e32 v[6:7], v[73:74], v[6:7]
	v_add_f64_e32 v[73:74], v[75:76], v[79:80]
	v_fma_f64 v[1:2], v[1:2], v[121:122], -v[81:82]
	s_delay_alu instid0(VALU_DEP_3) | instskip(NEXT) | instid1(VALU_DEP_3)
	v_add_f64_e32 v[6:7], v[6:7], v[8:9]
	v_add_f64_e32 v[8:9], v[73:74], v[10:11]
	s_delay_alu instid0(VALU_DEP_2) | instskip(NEXT) | instid1(VALU_DEP_2)
	v_add_f64_e32 v[1:2], v[6:7], v[1:2]
	v_add_f64_e32 v[3:4], v[8:9], v[3:4]
	s_delay_alu instid0(VALU_DEP_2) | instskip(NEXT) | instid1(VALU_DEP_2)
	v_add_f64_e64 v[1:2], v[113:114], -v[1:2]
	v_add_f64_e64 v[3:4], v[115:116], -v[3:4]
	scratch_store_b128 off, v[1:4], off offset:128
	v_cmpx_lt_u32_e32 6, v0
	s_cbranch_execz .LBB93_181
; %bb.180:
	scratch_load_b128 v[1:4], off, s24
	v_mov_b32_e32 v6, 0
	s_delay_alu instid0(VALU_DEP_1)
	v_dual_mov_b32 v7, v6 :: v_dual_mov_b32 v8, v6
	v_mov_b32_e32 v9, v6
	scratch_store_b128 off, v[6:9], off offset:112
	s_wait_loadcnt 0x0
	ds_store_b128 v5, v[1:4]
.LBB93_181:
	s_wait_alu 0xfffe
	s_or_b32 exec_lo, exec_lo, s0
	s_wait_storecnt_dscnt 0x0
	s_barrier_signal -1
	s_barrier_wait -1
	global_inv scope:SCOPE_SE
	s_clause 0x7
	scratch_load_b128 v[6:9], off, off offset:128
	scratch_load_b128 v[73:76], off, off offset:144
	;; [unrolled: 1-line block ×8, first 2 shown]
	v_mov_b32_e32 v1, 0
	s_mov_b32 s0, exec_lo
	ds_load_b128 v[101:104], v1 offset:592
	s_clause 0x1
	scratch_load_b128 v[105:108], off, off offset:256
	scratch_load_b128 v[109:112], off, off offset:112
	ds_load_b128 v[113:116], v1 offset:608
	ds_load_b128 v[121:124], v1 offset:640
	s_wait_loadcnt_dscnt 0x902
	v_mul_f64_e32 v[2:3], v[103:104], v[8:9]
	v_mul_f64_e32 v[117:118], v[101:102], v[8:9]
	scratch_load_b128 v[8:11], off, off offset:272
	v_fma_f64 v[2:3], v[101:102], v[6:7], -v[2:3]
	v_fma_f64 v[6:7], v[103:104], v[6:7], v[117:118]
	ds_load_b128 v[101:104], v1 offset:624
	s_wait_loadcnt_dscnt 0x902
	v_mul_f64_e32 v[125:126], v[113:114], v[75:76]
	v_mul_f64_e32 v[75:76], v[115:116], v[75:76]
	scratch_load_b128 v[117:120], off, off offset:288
	s_wait_loadcnt_dscnt 0x900
	v_mul_f64_e32 v[127:128], v[101:102], v[79:80]
	v_mul_f64_e32 v[79:80], v[103:104], v[79:80]
	v_add_f64_e32 v[2:3], 0, v[2:3]
	v_add_f64_e32 v[6:7], 0, v[6:7]
	v_fma_f64 v[115:116], v[115:116], v[73:74], v[125:126]
	v_fma_f64 v[113:114], v[113:114], v[73:74], -v[75:76]
	scratch_load_b128 v[73:76], off, off offset:304
	v_fma_f64 v[127:128], v[103:104], v[77:78], v[127:128]
	v_fma_f64 v[129:130], v[101:102], v[77:78], -v[79:80]
	ds_load_b128 v[77:80], v1 offset:656
	s_wait_loadcnt 0x9
	v_mul_f64_e32 v[125:126], v[121:122], v[83:84]
	v_mul_f64_e32 v[83:84], v[123:124], v[83:84]
	scratch_load_b128 v[101:104], off, off offset:320
	v_add_f64_e32 v[6:7], v[6:7], v[115:116]
	v_add_f64_e32 v[2:3], v[2:3], v[113:114]
	ds_load_b128 v[113:116], v1 offset:672
	s_wait_loadcnt_dscnt 0x901
	v_mul_f64_e32 v[131:132], v[77:78], v[87:88]
	v_mul_f64_e32 v[87:88], v[79:80], v[87:88]
	v_fma_f64 v[123:124], v[123:124], v[81:82], v[125:126]
	v_fma_f64 v[121:122], v[121:122], v[81:82], -v[83:84]
	scratch_load_b128 v[81:84], off, off offset:336
	v_add_f64_e32 v[6:7], v[6:7], v[127:128]
	v_add_f64_e32 v[2:3], v[2:3], v[129:130]
	v_fma_f64 v[127:128], v[79:80], v[85:86], v[131:132]
	v_fma_f64 v[129:130], v[77:78], v[85:86], -v[87:88]
	ds_load_b128 v[77:80], v1 offset:688
	s_wait_loadcnt_dscnt 0x901
	v_mul_f64_e32 v[125:126], v[113:114], v[91:92]
	v_mul_f64_e32 v[91:92], v[115:116], v[91:92]
	scratch_load_b128 v[85:88], off, off offset:352
	s_wait_loadcnt_dscnt 0x900
	v_mul_f64_e32 v[131:132], v[77:78], v[95:96]
	v_mul_f64_e32 v[95:96], v[79:80], v[95:96]
	v_add_f64_e32 v[6:7], v[6:7], v[123:124]
	v_add_f64_e32 v[2:3], v[2:3], v[121:122]
	ds_load_b128 v[121:124], v1 offset:704
	v_fma_f64 v[115:116], v[115:116], v[89:90], v[125:126]
	v_fma_f64 v[113:114], v[113:114], v[89:90], -v[91:92]
	scratch_load_b128 v[89:92], off, off offset:368
	v_add_f64_e32 v[6:7], v[6:7], v[127:128]
	v_add_f64_e32 v[2:3], v[2:3], v[129:130]
	v_fma_f64 v[127:128], v[79:80], v[93:94], v[131:132]
	v_fma_f64 v[129:130], v[77:78], v[93:94], -v[95:96]
	ds_load_b128 v[77:80], v1 offset:720
	s_wait_loadcnt_dscnt 0x901
	v_mul_f64_e32 v[125:126], v[121:122], v[99:100]
	v_mul_f64_e32 v[99:100], v[123:124], v[99:100]
	scratch_load_b128 v[93:96], off, off offset:384
	s_wait_loadcnt_dscnt 0x900
	v_mul_f64_e32 v[131:132], v[77:78], v[107:108]
	v_mul_f64_e32 v[107:108], v[79:80], v[107:108]
	v_add_f64_e32 v[6:7], v[6:7], v[115:116]
	v_add_f64_e32 v[2:3], v[2:3], v[113:114]
	ds_load_b128 v[113:116], v1 offset:736
	v_fma_f64 v[123:124], v[123:124], v[97:98], v[125:126]
	v_fma_f64 v[121:122], v[121:122], v[97:98], -v[99:100]
	scratch_load_b128 v[97:100], off, off offset:400
	v_add_f64_e32 v[6:7], v[6:7], v[127:128]
	v_add_f64_e32 v[2:3], v[2:3], v[129:130]
	v_fma_f64 v[127:128], v[79:80], v[105:106], v[131:132]
	v_fma_f64 v[129:130], v[77:78], v[105:106], -v[107:108]
	ds_load_b128 v[77:80], v1 offset:752
	scratch_load_b128 v[105:108], off, off offset:416
	s_wait_loadcnt_dscnt 0x901
	v_mul_f64_e32 v[125:126], v[113:114], v[10:11]
	v_mul_f64_e32 v[10:11], v[115:116], v[10:11]
	v_add_f64_e32 v[6:7], v[6:7], v[123:124]
	v_add_f64_e32 v[2:3], v[2:3], v[121:122]
	ds_load_b128 v[121:124], v1 offset:768
	v_fma_f64 v[115:116], v[115:116], v[8:9], v[125:126]
	v_fma_f64 v[10:11], v[113:114], v[8:9], -v[10:11]
	s_wait_loadcnt_dscnt 0x801
	v_mul_f64_e32 v[131:132], v[77:78], v[119:120]
	v_mul_f64_e32 v[119:120], v[79:80], v[119:120]
	v_add_f64_e32 v[113:114], v[6:7], v[127:128]
	v_add_f64_e32 v[2:3], v[2:3], v[129:130]
	scratch_load_b128 v[6:9], off, off offset:432
	v_fma_f64 v[79:80], v[79:80], v[117:118], v[131:132]
	v_fma_f64 v[129:130], v[77:78], v[117:118], -v[119:120]
	ds_load_b128 v[117:120], v1 offset:800
	s_wait_loadcnt_dscnt 0x801
	v_mul_f64_e32 v[125:126], v[121:122], v[75:76]
	v_mul_f64_e32 v[127:128], v[123:124], v[75:76]
	ds_load_b128 v[75:78], v1 offset:784
	v_add_f64_e32 v[2:3], v[2:3], v[10:11]
	v_add_f64_e32 v[10:11], v[113:114], v[115:116]
	scratch_load_b128 v[113:116], off, off offset:448
	s_wait_loadcnt_dscnt 0x800
	v_mul_f64_e32 v[131:132], v[75:76], v[103:104]
	v_mul_f64_e32 v[103:104], v[77:78], v[103:104]
	v_fma_f64 v[125:126], v[123:124], v[73:74], v[125:126]
	v_fma_f64 v[73:74], v[121:122], v[73:74], -v[127:128]
	scratch_load_b128 v[121:124], off, off offset:464
	v_add_f64_e32 v[2:3], v[2:3], v[129:130]
	v_add_f64_e32 v[10:11], v[10:11], v[79:80]
	s_wait_loadcnt 0x8
	v_mul_f64_e32 v[127:128], v[117:118], v[83:84]
	v_mul_f64_e32 v[83:84], v[119:120], v[83:84]
	v_fma_f64 v[129:130], v[77:78], v[101:102], v[131:132]
	v_fma_f64 v[131:132], v[75:76], v[101:102], -v[103:104]
	scratch_load_b128 v[77:80], off, off offset:480
	ds_load_b128 v[101:104], v1 offset:832
	v_add_f64_e32 v[2:3], v[2:3], v[73:74]
	v_add_f64_e32 v[10:11], v[10:11], v[125:126]
	ds_load_b128 v[73:76], v1 offset:816
	v_fma_f64 v[119:120], v[119:120], v[81:82], v[127:128]
	v_fma_f64 v[81:82], v[117:118], v[81:82], -v[83:84]
	s_wait_loadcnt_dscnt 0x800
	v_mul_f64_e32 v[125:126], v[73:74], v[87:88]
	v_mul_f64_e32 v[87:88], v[75:76], v[87:88]
	s_wait_loadcnt 0x7
	v_mul_f64_e32 v[117:118], v[101:102], v[91:92]
	v_mul_f64_e32 v[91:92], v[103:104], v[91:92]
	v_add_f64_e32 v[2:3], v[2:3], v[131:132]
	v_add_f64_e32 v[10:11], v[10:11], v[129:130]
	v_fma_f64 v[125:126], v[75:76], v[85:86], v[125:126]
	v_fma_f64 v[85:86], v[73:74], v[85:86], -v[87:88]
	v_fma_f64 v[103:104], v[103:104], v[89:90], v[117:118]
	v_fma_f64 v[89:90], v[101:102], v[89:90], -v[91:92]
	v_add_f64_e32 v[2:3], v[2:3], v[81:82]
	v_add_f64_e32 v[10:11], v[10:11], v[119:120]
	ds_load_b128 v[73:76], v1 offset:848
	ds_load_b128 v[81:84], v1 offset:864
	s_wait_loadcnt_dscnt 0x601
	v_mul_f64_e32 v[87:88], v[73:74], v[95:96]
	v_mul_f64_e32 v[95:96], v[75:76], v[95:96]
	s_wait_loadcnt_dscnt 0x500
	v_mul_f64_e32 v[91:92], v[81:82], v[99:100]
	v_mul_f64_e32 v[99:100], v[83:84], v[99:100]
	v_add_f64_e32 v[2:3], v[2:3], v[85:86]
	v_add_f64_e32 v[10:11], v[10:11], v[125:126]
	v_fma_f64 v[101:102], v[75:76], v[93:94], v[87:88]
	v_fma_f64 v[93:94], v[73:74], v[93:94], -v[95:96]
	ds_load_b128 v[73:76], v1 offset:880
	ds_load_b128 v[85:88], v1 offset:896
	v_fma_f64 v[83:84], v[83:84], v[97:98], v[91:92]
	v_fma_f64 v[81:82], v[81:82], v[97:98], -v[99:100]
	v_add_f64_e32 v[2:3], v[2:3], v[89:90]
	v_add_f64_e32 v[10:11], v[10:11], v[103:104]
	s_wait_loadcnt_dscnt 0x401
	v_mul_f64_e32 v[89:90], v[73:74], v[107:108]
	v_mul_f64_e32 v[95:96], v[75:76], v[107:108]
	s_delay_alu instid0(VALU_DEP_4) | instskip(NEXT) | instid1(VALU_DEP_4)
	v_add_f64_e32 v[2:3], v[2:3], v[93:94]
	v_add_f64_e32 v[10:11], v[10:11], v[101:102]
	s_delay_alu instid0(VALU_DEP_4) | instskip(NEXT) | instid1(VALU_DEP_4)
	v_fma_f64 v[89:90], v[75:76], v[105:106], v[89:90]
	v_fma_f64 v[95:96], v[73:74], v[105:106], -v[95:96]
	s_wait_loadcnt_dscnt 0x300
	v_mul_f64_e32 v[91:92], v[85:86], v[8:9]
	v_mul_f64_e32 v[93:94], v[87:88], v[8:9]
	v_add_f64_e32 v[2:3], v[2:3], v[81:82]
	v_add_f64_e32 v[81:82], v[10:11], v[83:84]
	ds_load_b128 v[8:11], v1 offset:912
	ds_load_b128 v[73:76], v1 offset:928
	v_fma_f64 v[87:88], v[87:88], v[6:7], v[91:92]
	v_fma_f64 v[6:7], v[85:86], v[6:7], -v[93:94]
	s_wait_loadcnt_dscnt 0x201
	v_mul_f64_e32 v[83:84], v[8:9], v[115:116]
	v_mul_f64_e32 v[97:98], v[10:11], v[115:116]
	s_wait_loadcnt_dscnt 0x100
	v_mul_f64_e32 v[85:86], v[73:74], v[123:124]
	v_add_f64_e32 v[2:3], v[2:3], v[95:96]
	v_add_f64_e32 v[81:82], v[81:82], v[89:90]
	v_mul_f64_e32 v[89:90], v[75:76], v[123:124]
	v_fma_f64 v[10:11], v[10:11], v[113:114], v[83:84]
	v_fma_f64 v[83:84], v[8:9], v[113:114], -v[97:98]
	v_fma_f64 v[75:76], v[75:76], v[121:122], v[85:86]
	v_add_f64_e32 v[2:3], v[2:3], v[6:7]
	v_add_f64_e32 v[81:82], v[81:82], v[87:88]
	ds_load_b128 v[6:9], v1 offset:944
	v_fma_f64 v[73:74], v[73:74], v[121:122], -v[89:90]
	s_wait_loadcnt_dscnt 0x0
	v_mul_f64_e32 v[87:88], v[6:7], v[79:80]
	v_mul_f64_e32 v[79:80], v[8:9], v[79:80]
	v_add_f64_e32 v[2:3], v[2:3], v[83:84]
	v_add_f64_e32 v[10:11], v[81:82], v[10:11]
	s_delay_alu instid0(VALU_DEP_4) | instskip(NEXT) | instid1(VALU_DEP_4)
	v_fma_f64 v[8:9], v[8:9], v[77:78], v[87:88]
	v_fma_f64 v[6:7], v[6:7], v[77:78], -v[79:80]
	s_delay_alu instid0(VALU_DEP_4) | instskip(NEXT) | instid1(VALU_DEP_4)
	v_add_f64_e32 v[2:3], v[2:3], v[73:74]
	v_add_f64_e32 v[10:11], v[10:11], v[75:76]
	s_delay_alu instid0(VALU_DEP_2) | instskip(NEXT) | instid1(VALU_DEP_2)
	v_add_f64_e32 v[2:3], v[2:3], v[6:7]
	v_add_f64_e32 v[8:9], v[10:11], v[8:9]
	s_delay_alu instid0(VALU_DEP_2) | instskip(NEXT) | instid1(VALU_DEP_2)
	v_add_f64_e64 v[6:7], v[109:110], -v[2:3]
	v_add_f64_e64 v[8:9], v[111:112], -v[8:9]
	scratch_store_b128 off, v[6:9], off offset:112
	v_cmpx_lt_u32_e32 5, v0
	s_cbranch_execz .LBB93_183
; %bb.182:
	scratch_load_b128 v[6:9], off, s4
	v_dual_mov_b32 v2, v1 :: v_dual_mov_b32 v3, v1
	v_mov_b32_e32 v4, v1
	scratch_store_b128 off, v[1:4], off offset:96
	s_wait_loadcnt 0x0
	ds_store_b128 v5, v[6:9]
.LBB93_183:
	s_wait_alu 0xfffe
	s_or_b32 exec_lo, exec_lo, s0
	s_wait_storecnt_dscnt 0x0
	s_barrier_signal -1
	s_barrier_wait -1
	global_inv scope:SCOPE_SE
	s_clause 0x8
	scratch_load_b128 v[6:9], off, off offset:112
	scratch_load_b128 v[73:76], off, off offset:128
	;; [unrolled: 1-line block ×9, first 2 shown]
	ds_load_b128 v[105:108], v1 offset:576
	ds_load_b128 v[109:112], v1 offset:592
	scratch_load_b128 v[113:116], off, off offset:96
	s_mov_b32 s0, exec_lo
	ds_load_b128 v[121:124], v1 offset:624
	s_wait_loadcnt_dscnt 0x902
	v_mul_f64_e32 v[2:3], v[107:108], v[8:9]
	v_mul_f64_e32 v[117:118], v[105:106], v[8:9]
	scratch_load_b128 v[8:11], off, off offset:256
	s_wait_loadcnt_dscnt 0x901
	v_mul_f64_e32 v[125:126], v[109:110], v[75:76]
	v_mul_f64_e32 v[75:76], v[111:112], v[75:76]
	v_fma_f64 v[2:3], v[105:106], v[6:7], -v[2:3]
	v_fma_f64 v[6:7], v[107:108], v[6:7], v[117:118]
	ds_load_b128 v[105:108], v1 offset:608
	scratch_load_b128 v[117:120], off, off offset:272
	v_fma_f64 v[111:112], v[111:112], v[73:74], v[125:126]
	v_fma_f64 v[109:110], v[109:110], v[73:74], -v[75:76]
	scratch_load_b128 v[73:76], off, off offset:288
	s_wait_loadcnt_dscnt 0x901
	v_mul_f64_e32 v[125:126], v[121:122], v[83:84]
	v_mul_f64_e32 v[83:84], v[123:124], v[83:84]
	s_wait_dscnt 0x0
	v_mul_f64_e32 v[127:128], v[105:106], v[79:80]
	v_mul_f64_e32 v[79:80], v[107:108], v[79:80]
	v_add_f64_e32 v[2:3], 0, v[2:3]
	v_add_f64_e32 v[6:7], 0, v[6:7]
	v_fma_f64 v[123:124], v[123:124], v[81:82], v[125:126]
	v_fma_f64 v[121:122], v[121:122], v[81:82], -v[83:84]
	scratch_load_b128 v[81:84], off, off offset:320
	v_fma_f64 v[127:128], v[107:108], v[77:78], v[127:128]
	v_fma_f64 v[129:130], v[105:106], v[77:78], -v[79:80]
	ds_load_b128 v[77:80], v1 offset:640
	scratch_load_b128 v[105:108], off, off offset:304
	v_add_f64_e32 v[2:3], v[2:3], v[109:110]
	v_add_f64_e32 v[6:7], v[6:7], v[111:112]
	ds_load_b128 v[109:112], v1 offset:656
	s_wait_loadcnt_dscnt 0xa01
	v_mul_f64_e32 v[131:132], v[77:78], v[87:88]
	v_mul_f64_e32 v[87:88], v[79:80], v[87:88]
	s_wait_loadcnt_dscnt 0x900
	v_mul_f64_e32 v[125:126], v[109:110], v[91:92]
	v_mul_f64_e32 v[91:92], v[111:112], v[91:92]
	v_add_f64_e32 v[2:3], v[2:3], v[129:130]
	v_add_f64_e32 v[6:7], v[6:7], v[127:128]
	v_fma_f64 v[127:128], v[79:80], v[85:86], v[131:132]
	v_fma_f64 v[129:130], v[77:78], v[85:86], -v[87:88]
	ds_load_b128 v[77:80], v1 offset:672
	scratch_load_b128 v[85:88], off, off offset:336
	v_fma_f64 v[111:112], v[111:112], v[89:90], v[125:126]
	v_fma_f64 v[109:110], v[109:110], v[89:90], -v[91:92]
	scratch_load_b128 v[89:92], off, off offset:352
	v_add_f64_e32 v[2:3], v[2:3], v[121:122]
	v_add_f64_e32 v[6:7], v[6:7], v[123:124]
	ds_load_b128 v[121:124], v1 offset:688
	s_wait_loadcnt_dscnt 0xa01
	v_mul_f64_e32 v[131:132], v[77:78], v[95:96]
	v_mul_f64_e32 v[95:96], v[79:80], v[95:96]
	s_wait_loadcnt_dscnt 0x900
	v_mul_f64_e32 v[125:126], v[121:122], v[99:100]
	v_mul_f64_e32 v[99:100], v[123:124], v[99:100]
	v_add_f64_e32 v[2:3], v[2:3], v[129:130]
	v_add_f64_e32 v[6:7], v[6:7], v[127:128]
	v_fma_f64 v[127:128], v[79:80], v[93:94], v[131:132]
	v_fma_f64 v[129:130], v[77:78], v[93:94], -v[95:96]
	ds_load_b128 v[77:80], v1 offset:704
	scratch_load_b128 v[93:96], off, off offset:368
	v_fma_f64 v[123:124], v[123:124], v[97:98], v[125:126]
	v_fma_f64 v[121:122], v[121:122], v[97:98], -v[99:100]
	scratch_load_b128 v[97:100], off, off offset:384
	v_add_f64_e32 v[2:3], v[2:3], v[109:110]
	v_add_f64_e32 v[6:7], v[6:7], v[111:112]
	ds_load_b128 v[109:112], v1 offset:720
	s_wait_loadcnt_dscnt 0xa01
	v_mul_f64_e32 v[131:132], v[77:78], v[103:104]
	v_mul_f64_e32 v[103:104], v[79:80], v[103:104]
	v_add_f64_e32 v[2:3], v[2:3], v[129:130]
	v_add_f64_e32 v[6:7], v[6:7], v[127:128]
	s_delay_alu instid0(VALU_DEP_4) | instskip(NEXT) | instid1(VALU_DEP_4)
	v_fma_f64 v[127:128], v[79:80], v[101:102], v[131:132]
	v_fma_f64 v[129:130], v[77:78], v[101:102], -v[103:104]
	ds_load_b128 v[77:80], v1 offset:736
	scratch_load_b128 v[101:104], off, off offset:400
	s_wait_loadcnt_dscnt 0x901
	v_mul_f64_e32 v[125:126], v[109:110], v[10:11]
	v_mul_f64_e32 v[10:11], v[111:112], v[10:11]
	v_add_f64_e32 v[2:3], v[2:3], v[121:122]
	v_add_f64_e32 v[6:7], v[6:7], v[123:124]
	ds_load_b128 v[121:124], v1 offset:752
	v_fma_f64 v[111:112], v[111:112], v[8:9], v[125:126]
	s_wait_loadcnt_dscnt 0x801
	v_mul_f64_e32 v[131:132], v[77:78], v[119:120]
	v_mul_f64_e32 v[119:120], v[79:80], v[119:120]
	v_fma_f64 v[10:11], v[109:110], v[8:9], -v[10:11]
	s_wait_loadcnt_dscnt 0x700
	v_mul_f64_e32 v[125:126], v[121:122], v[75:76]
	v_add_f64_e32 v[2:3], v[2:3], v[129:130]
	v_add_f64_e32 v[109:110], v[6:7], v[127:128]
	scratch_load_b128 v[6:9], off, off offset:416
	v_mul_f64_e32 v[127:128], v[123:124], v[75:76]
	v_fma_f64 v[79:80], v[79:80], v[117:118], v[131:132]
	v_fma_f64 v[129:130], v[77:78], v[117:118], -v[119:120]
	ds_load_b128 v[75:78], v1 offset:768
	ds_load_b128 v[117:120], v1 offset:784
	v_fma_f64 v[125:126], v[123:124], v[73:74], v[125:126]
	v_add_f64_e32 v[2:3], v[2:3], v[10:11]
	v_add_f64_e32 v[10:11], v[109:110], v[111:112]
	scratch_load_b128 v[109:112], off, off offset:432
	s_wait_loadcnt_dscnt 0x701
	v_mul_f64_e32 v[131:132], v[75:76], v[107:108]
	v_mul_f64_e32 v[107:108], v[77:78], v[107:108]
	v_fma_f64 v[73:74], v[121:122], v[73:74], -v[127:128]
	scratch_load_b128 v[121:124], off, off offset:448
	s_wait_dscnt 0x0
	v_mul_f64_e32 v[127:128], v[117:118], v[83:84]
	v_mul_f64_e32 v[83:84], v[119:120], v[83:84]
	v_add_f64_e32 v[2:3], v[2:3], v[129:130]
	v_add_f64_e32 v[10:11], v[10:11], v[79:80]
	v_fma_f64 v[129:130], v[77:78], v[105:106], v[131:132]
	v_fma_f64 v[131:132], v[75:76], v[105:106], -v[107:108]
	scratch_load_b128 v[77:80], off, off offset:464
	ds_load_b128 v[105:108], v1 offset:816
	v_fma_f64 v[119:120], v[119:120], v[81:82], v[127:128]
	v_fma_f64 v[117:118], v[117:118], v[81:82], -v[83:84]
	scratch_load_b128 v[81:84], off, off offset:480
	v_add_f64_e32 v[2:3], v[2:3], v[73:74]
	v_add_f64_e32 v[10:11], v[10:11], v[125:126]
	ds_load_b128 v[73:76], v1 offset:800
	s_wait_loadcnt_dscnt 0x801
	v_mul_f64_e32 v[127:128], v[105:106], v[91:92]
	v_mul_f64_e32 v[91:92], v[107:108], v[91:92]
	s_wait_dscnt 0x0
	v_mul_f64_e32 v[125:126], v[73:74], v[87:88]
	v_mul_f64_e32 v[87:88], v[75:76], v[87:88]
	v_add_f64_e32 v[2:3], v[2:3], v[131:132]
	v_add_f64_e32 v[10:11], v[10:11], v[129:130]
	v_fma_f64 v[107:108], v[107:108], v[89:90], v[127:128]
	v_fma_f64 v[89:90], v[105:106], v[89:90], -v[91:92]
	v_fma_f64 v[125:126], v[75:76], v[85:86], v[125:126]
	v_fma_f64 v[129:130], v[73:74], v[85:86], -v[87:88]
	ds_load_b128 v[73:76], v1 offset:832
	ds_load_b128 v[85:88], v1 offset:848
	v_add_f64_e32 v[2:3], v[2:3], v[117:118]
	v_add_f64_e32 v[10:11], v[10:11], v[119:120]
	s_wait_loadcnt_dscnt 0x701
	v_mul_f64_e32 v[117:118], v[73:74], v[95:96]
	v_mul_f64_e32 v[95:96], v[75:76], v[95:96]
	s_wait_loadcnt_dscnt 0x600
	v_mul_f64_e32 v[105:106], v[85:86], v[99:100]
	v_mul_f64_e32 v[99:100], v[87:88], v[99:100]
	v_add_f64_e32 v[2:3], v[2:3], v[129:130]
	v_add_f64_e32 v[10:11], v[10:11], v[125:126]
	v_fma_f64 v[117:118], v[75:76], v[93:94], v[117:118]
	v_fma_f64 v[93:94], v[73:74], v[93:94], -v[95:96]
	v_fma_f64 v[87:88], v[87:88], v[97:98], v[105:106]
	v_fma_f64 v[85:86], v[85:86], v[97:98], -v[99:100]
	v_add_f64_e32 v[2:3], v[2:3], v[89:90]
	v_add_f64_e32 v[10:11], v[10:11], v[107:108]
	ds_load_b128 v[73:76], v1 offset:864
	ds_load_b128 v[89:92], v1 offset:880
	s_wait_loadcnt_dscnt 0x501
	v_mul_f64_e32 v[95:96], v[73:74], v[103:104]
	v_mul_f64_e32 v[103:104], v[75:76], v[103:104]
	v_add_f64_e32 v[2:3], v[2:3], v[93:94]
	v_add_f64_e32 v[10:11], v[10:11], v[117:118]
	s_wait_loadcnt_dscnt 0x400
	v_mul_f64_e32 v[93:94], v[89:90], v[8:9]
	v_mul_f64_e32 v[97:98], v[91:92], v[8:9]
	v_fma_f64 v[95:96], v[75:76], v[101:102], v[95:96]
	v_fma_f64 v[99:100], v[73:74], v[101:102], -v[103:104]
	v_add_f64_e32 v[2:3], v[2:3], v[85:86]
	v_add_f64_e32 v[85:86], v[10:11], v[87:88]
	ds_load_b128 v[8:11], v1 offset:896
	ds_load_b128 v[73:76], v1 offset:912
	v_fma_f64 v[91:92], v[91:92], v[6:7], v[93:94]
	v_fma_f64 v[6:7], v[89:90], v[6:7], -v[97:98]
	s_wait_loadcnt_dscnt 0x301
	v_mul_f64_e32 v[87:88], v[8:9], v[111:112]
	v_mul_f64_e32 v[101:102], v[10:11], v[111:112]
	s_wait_loadcnt_dscnt 0x200
	v_mul_f64_e32 v[89:90], v[73:74], v[123:124]
	v_mul_f64_e32 v[93:94], v[75:76], v[123:124]
	v_add_f64_e32 v[2:3], v[2:3], v[99:100]
	v_add_f64_e32 v[85:86], v[85:86], v[95:96]
	v_fma_f64 v[10:11], v[10:11], v[109:110], v[87:88]
	v_fma_f64 v[87:88], v[8:9], v[109:110], -v[101:102]
	v_fma_f64 v[75:76], v[75:76], v[121:122], v[89:90]
	v_fma_f64 v[73:74], v[73:74], v[121:122], -v[93:94]
	v_add_f64_e32 v[95:96], v[2:3], v[6:7]
	v_add_f64_e32 v[85:86], v[85:86], v[91:92]
	ds_load_b128 v[6:9], v1 offset:928
	ds_load_b128 v[1:4], v1 offset:944
	s_wait_loadcnt_dscnt 0x101
	v_mul_f64_e32 v[91:92], v[6:7], v[79:80]
	v_mul_f64_e32 v[79:80], v[8:9], v[79:80]
	v_add_f64_e32 v[87:88], v[95:96], v[87:88]
	v_add_f64_e32 v[10:11], v[85:86], v[10:11]
	s_wait_loadcnt_dscnt 0x0
	v_mul_f64_e32 v[85:86], v[1:2], v[83:84]
	v_mul_f64_e32 v[83:84], v[3:4], v[83:84]
	v_fma_f64 v[8:9], v[8:9], v[77:78], v[91:92]
	v_fma_f64 v[6:7], v[6:7], v[77:78], -v[79:80]
	v_add_f64_e32 v[73:74], v[87:88], v[73:74]
	v_add_f64_e32 v[10:11], v[10:11], v[75:76]
	v_fma_f64 v[3:4], v[3:4], v[81:82], v[85:86]
	v_fma_f64 v[1:2], v[1:2], v[81:82], -v[83:84]
	s_delay_alu instid0(VALU_DEP_4) | instskip(NEXT) | instid1(VALU_DEP_4)
	v_add_f64_e32 v[6:7], v[73:74], v[6:7]
	v_add_f64_e32 v[8:9], v[10:11], v[8:9]
	s_delay_alu instid0(VALU_DEP_2) | instskip(NEXT) | instid1(VALU_DEP_2)
	v_add_f64_e32 v[1:2], v[6:7], v[1:2]
	v_add_f64_e32 v[3:4], v[8:9], v[3:4]
	s_delay_alu instid0(VALU_DEP_2) | instskip(NEXT) | instid1(VALU_DEP_2)
	v_add_f64_e64 v[1:2], v[113:114], -v[1:2]
	v_add_f64_e64 v[3:4], v[115:116], -v[3:4]
	scratch_store_b128 off, v[1:4], off offset:96
	v_cmpx_lt_u32_e32 4, v0
	s_cbranch_execz .LBB93_185
; %bb.184:
	scratch_load_b128 v[1:4], off, s23
	v_mov_b32_e32 v6, 0
	s_delay_alu instid0(VALU_DEP_1)
	v_dual_mov_b32 v7, v6 :: v_dual_mov_b32 v8, v6
	v_mov_b32_e32 v9, v6
	scratch_store_b128 off, v[6:9], off offset:80
	s_wait_loadcnt 0x0
	ds_store_b128 v5, v[1:4]
.LBB93_185:
	s_wait_alu 0xfffe
	s_or_b32 exec_lo, exec_lo, s0
	s_wait_storecnt_dscnt 0x0
	s_barrier_signal -1
	s_barrier_wait -1
	global_inv scope:SCOPE_SE
	s_clause 0x7
	scratch_load_b128 v[6:9], off, off offset:96
	scratch_load_b128 v[73:76], off, off offset:112
	;; [unrolled: 1-line block ×8, first 2 shown]
	v_mov_b32_e32 v1, 0
	s_mov_b32 s0, exec_lo
	ds_load_b128 v[101:104], v1 offset:560
	s_clause 0x1
	scratch_load_b128 v[105:108], off, off offset:224
	scratch_load_b128 v[109:112], off, off offset:80
	ds_load_b128 v[113:116], v1 offset:576
	ds_load_b128 v[121:124], v1 offset:608
	s_wait_loadcnt_dscnt 0x902
	v_mul_f64_e32 v[2:3], v[103:104], v[8:9]
	v_mul_f64_e32 v[117:118], v[101:102], v[8:9]
	scratch_load_b128 v[8:11], off, off offset:240
	v_fma_f64 v[2:3], v[101:102], v[6:7], -v[2:3]
	v_fma_f64 v[6:7], v[103:104], v[6:7], v[117:118]
	ds_load_b128 v[101:104], v1 offset:592
	s_wait_loadcnt_dscnt 0x902
	v_mul_f64_e32 v[125:126], v[113:114], v[75:76]
	v_mul_f64_e32 v[75:76], v[115:116], v[75:76]
	scratch_load_b128 v[117:120], off, off offset:256
	s_wait_loadcnt_dscnt 0x900
	v_mul_f64_e32 v[127:128], v[101:102], v[79:80]
	v_mul_f64_e32 v[79:80], v[103:104], v[79:80]
	v_add_f64_e32 v[2:3], 0, v[2:3]
	v_add_f64_e32 v[6:7], 0, v[6:7]
	v_fma_f64 v[115:116], v[115:116], v[73:74], v[125:126]
	v_fma_f64 v[113:114], v[113:114], v[73:74], -v[75:76]
	scratch_load_b128 v[73:76], off, off offset:272
	v_fma_f64 v[127:128], v[103:104], v[77:78], v[127:128]
	v_fma_f64 v[129:130], v[101:102], v[77:78], -v[79:80]
	ds_load_b128 v[77:80], v1 offset:624
	s_wait_loadcnt 0x9
	v_mul_f64_e32 v[125:126], v[121:122], v[83:84]
	v_mul_f64_e32 v[83:84], v[123:124], v[83:84]
	scratch_load_b128 v[101:104], off, off offset:288
	v_add_f64_e32 v[6:7], v[6:7], v[115:116]
	v_add_f64_e32 v[2:3], v[2:3], v[113:114]
	ds_load_b128 v[113:116], v1 offset:640
	s_wait_loadcnt_dscnt 0x901
	v_mul_f64_e32 v[131:132], v[77:78], v[87:88]
	v_mul_f64_e32 v[87:88], v[79:80], v[87:88]
	v_fma_f64 v[123:124], v[123:124], v[81:82], v[125:126]
	v_fma_f64 v[121:122], v[121:122], v[81:82], -v[83:84]
	scratch_load_b128 v[81:84], off, off offset:304
	v_add_f64_e32 v[6:7], v[6:7], v[127:128]
	v_add_f64_e32 v[2:3], v[2:3], v[129:130]
	v_fma_f64 v[127:128], v[79:80], v[85:86], v[131:132]
	v_fma_f64 v[129:130], v[77:78], v[85:86], -v[87:88]
	ds_load_b128 v[77:80], v1 offset:656
	s_wait_loadcnt_dscnt 0x901
	v_mul_f64_e32 v[125:126], v[113:114], v[91:92]
	v_mul_f64_e32 v[91:92], v[115:116], v[91:92]
	scratch_load_b128 v[85:88], off, off offset:320
	s_wait_loadcnt_dscnt 0x900
	v_mul_f64_e32 v[131:132], v[77:78], v[95:96]
	v_mul_f64_e32 v[95:96], v[79:80], v[95:96]
	v_add_f64_e32 v[6:7], v[6:7], v[123:124]
	v_add_f64_e32 v[2:3], v[2:3], v[121:122]
	ds_load_b128 v[121:124], v1 offset:672
	v_fma_f64 v[115:116], v[115:116], v[89:90], v[125:126]
	v_fma_f64 v[113:114], v[113:114], v[89:90], -v[91:92]
	scratch_load_b128 v[89:92], off, off offset:336
	v_add_f64_e32 v[6:7], v[6:7], v[127:128]
	v_add_f64_e32 v[2:3], v[2:3], v[129:130]
	v_fma_f64 v[127:128], v[79:80], v[93:94], v[131:132]
	v_fma_f64 v[129:130], v[77:78], v[93:94], -v[95:96]
	ds_load_b128 v[77:80], v1 offset:688
	s_wait_loadcnt_dscnt 0x901
	v_mul_f64_e32 v[125:126], v[121:122], v[99:100]
	v_mul_f64_e32 v[99:100], v[123:124], v[99:100]
	scratch_load_b128 v[93:96], off, off offset:352
	s_wait_loadcnt_dscnt 0x900
	v_mul_f64_e32 v[131:132], v[77:78], v[107:108]
	v_mul_f64_e32 v[107:108], v[79:80], v[107:108]
	v_add_f64_e32 v[6:7], v[6:7], v[115:116]
	v_add_f64_e32 v[2:3], v[2:3], v[113:114]
	ds_load_b128 v[113:116], v1 offset:704
	v_fma_f64 v[123:124], v[123:124], v[97:98], v[125:126]
	v_fma_f64 v[121:122], v[121:122], v[97:98], -v[99:100]
	scratch_load_b128 v[97:100], off, off offset:368
	v_add_f64_e32 v[6:7], v[6:7], v[127:128]
	v_add_f64_e32 v[2:3], v[2:3], v[129:130]
	v_fma_f64 v[127:128], v[79:80], v[105:106], v[131:132]
	v_fma_f64 v[129:130], v[77:78], v[105:106], -v[107:108]
	ds_load_b128 v[77:80], v1 offset:720
	scratch_load_b128 v[105:108], off, off offset:384
	s_wait_loadcnt_dscnt 0x901
	v_mul_f64_e32 v[125:126], v[113:114], v[10:11]
	v_mul_f64_e32 v[10:11], v[115:116], v[10:11]
	v_add_f64_e32 v[6:7], v[6:7], v[123:124]
	v_add_f64_e32 v[2:3], v[2:3], v[121:122]
	ds_load_b128 v[121:124], v1 offset:736
	v_fma_f64 v[115:116], v[115:116], v[8:9], v[125:126]
	v_fma_f64 v[10:11], v[113:114], v[8:9], -v[10:11]
	s_wait_loadcnt_dscnt 0x801
	v_mul_f64_e32 v[131:132], v[77:78], v[119:120]
	v_mul_f64_e32 v[119:120], v[79:80], v[119:120]
	v_add_f64_e32 v[113:114], v[6:7], v[127:128]
	v_add_f64_e32 v[2:3], v[2:3], v[129:130]
	scratch_load_b128 v[6:9], off, off offset:400
	v_fma_f64 v[79:80], v[79:80], v[117:118], v[131:132]
	v_fma_f64 v[129:130], v[77:78], v[117:118], -v[119:120]
	ds_load_b128 v[117:120], v1 offset:768
	s_wait_loadcnt_dscnt 0x801
	v_mul_f64_e32 v[125:126], v[121:122], v[75:76]
	v_mul_f64_e32 v[127:128], v[123:124], v[75:76]
	ds_load_b128 v[75:78], v1 offset:752
	v_add_f64_e32 v[2:3], v[2:3], v[10:11]
	v_add_f64_e32 v[10:11], v[113:114], v[115:116]
	scratch_load_b128 v[113:116], off, off offset:416
	s_wait_loadcnt_dscnt 0x800
	v_mul_f64_e32 v[131:132], v[75:76], v[103:104]
	v_mul_f64_e32 v[103:104], v[77:78], v[103:104]
	v_fma_f64 v[125:126], v[123:124], v[73:74], v[125:126]
	v_fma_f64 v[73:74], v[121:122], v[73:74], -v[127:128]
	scratch_load_b128 v[121:124], off, off offset:432
	v_add_f64_e32 v[2:3], v[2:3], v[129:130]
	v_add_f64_e32 v[10:11], v[10:11], v[79:80]
	s_wait_loadcnt 0x8
	v_mul_f64_e32 v[127:128], v[117:118], v[83:84]
	v_mul_f64_e32 v[83:84], v[119:120], v[83:84]
	v_fma_f64 v[129:130], v[77:78], v[101:102], v[131:132]
	v_fma_f64 v[131:132], v[75:76], v[101:102], -v[103:104]
	scratch_load_b128 v[77:80], off, off offset:448
	ds_load_b128 v[101:104], v1 offset:800
	v_add_f64_e32 v[2:3], v[2:3], v[73:74]
	v_add_f64_e32 v[10:11], v[10:11], v[125:126]
	ds_load_b128 v[73:76], v1 offset:784
	v_fma_f64 v[119:120], v[119:120], v[81:82], v[127:128]
	v_fma_f64 v[117:118], v[117:118], v[81:82], -v[83:84]
	scratch_load_b128 v[81:84], off, off offset:464
	s_wait_loadcnt_dscnt 0x900
	v_mul_f64_e32 v[125:126], v[73:74], v[87:88]
	v_mul_f64_e32 v[87:88], v[75:76], v[87:88]
	s_wait_loadcnt 0x8
	v_mul_f64_e32 v[127:128], v[101:102], v[91:92]
	v_mul_f64_e32 v[91:92], v[103:104], v[91:92]
	v_add_f64_e32 v[2:3], v[2:3], v[131:132]
	v_add_f64_e32 v[10:11], v[10:11], v[129:130]
	v_fma_f64 v[125:126], v[75:76], v[85:86], v[125:126]
	v_fma_f64 v[129:130], v[73:74], v[85:86], -v[87:88]
	ds_load_b128 v[73:76], v1 offset:816
	scratch_load_b128 v[85:88], off, off offset:480
	v_fma_f64 v[103:104], v[103:104], v[89:90], v[127:128]
	v_fma_f64 v[89:90], v[101:102], v[89:90], -v[91:92]
	v_add_f64_e32 v[2:3], v[2:3], v[117:118]
	v_add_f64_e32 v[10:11], v[10:11], v[119:120]
	ds_load_b128 v[117:120], v1 offset:832
	s_wait_loadcnt_dscnt 0x801
	v_mul_f64_e32 v[131:132], v[73:74], v[95:96]
	v_mul_f64_e32 v[95:96], v[75:76], v[95:96]
	s_wait_loadcnt_dscnt 0x700
	v_mul_f64_e32 v[101:102], v[117:118], v[99:100]
	v_mul_f64_e32 v[99:100], v[119:120], v[99:100]
	v_add_f64_e32 v[2:3], v[2:3], v[129:130]
	v_add_f64_e32 v[10:11], v[10:11], v[125:126]
	v_fma_f64 v[125:126], v[75:76], v[93:94], v[131:132]
	v_fma_f64 v[93:94], v[73:74], v[93:94], -v[95:96]
	v_fma_f64 v[101:102], v[119:120], v[97:98], v[101:102]
	v_fma_f64 v[97:98], v[117:118], v[97:98], -v[99:100]
	v_add_f64_e32 v[2:3], v[2:3], v[89:90]
	v_add_f64_e32 v[10:11], v[10:11], v[103:104]
	ds_load_b128 v[73:76], v1 offset:848
	ds_load_b128 v[89:92], v1 offset:864
	s_wait_loadcnt_dscnt 0x601
	v_mul_f64_e32 v[95:96], v[73:74], v[107:108]
	v_mul_f64_e32 v[103:104], v[75:76], v[107:108]
	v_add_f64_e32 v[2:3], v[2:3], v[93:94]
	v_add_f64_e32 v[10:11], v[10:11], v[125:126]
	s_wait_loadcnt_dscnt 0x500
	v_mul_f64_e32 v[93:94], v[89:90], v[8:9]
	v_mul_f64_e32 v[99:100], v[91:92], v[8:9]
	v_fma_f64 v[95:96], v[75:76], v[105:106], v[95:96]
	v_fma_f64 v[103:104], v[73:74], v[105:106], -v[103:104]
	v_add_f64_e32 v[2:3], v[2:3], v[97:98]
	v_add_f64_e32 v[97:98], v[10:11], v[101:102]
	ds_load_b128 v[8:11], v1 offset:880
	ds_load_b128 v[73:76], v1 offset:896
	v_fma_f64 v[91:92], v[91:92], v[6:7], v[93:94]
	v_fma_f64 v[6:7], v[89:90], v[6:7], -v[99:100]
	s_wait_loadcnt_dscnt 0x401
	v_mul_f64_e32 v[101:102], v[8:9], v[115:116]
	v_mul_f64_e32 v[105:106], v[10:11], v[115:116]
	s_wait_loadcnt_dscnt 0x300
	v_mul_f64_e32 v[93:94], v[73:74], v[123:124]
	v_add_f64_e32 v[2:3], v[2:3], v[103:104]
	v_add_f64_e32 v[89:90], v[97:98], v[95:96]
	v_mul_f64_e32 v[95:96], v[75:76], v[123:124]
	v_fma_f64 v[10:11], v[10:11], v[113:114], v[101:102]
	v_fma_f64 v[97:98], v[8:9], v[113:114], -v[105:106]
	v_fma_f64 v[75:76], v[75:76], v[121:122], v[93:94]
	v_add_f64_e32 v[2:3], v[2:3], v[6:7]
	v_add_f64_e32 v[99:100], v[89:90], v[91:92]
	ds_load_b128 v[6:9], v1 offset:912
	ds_load_b128 v[89:92], v1 offset:928
	v_fma_f64 v[73:74], v[73:74], v[121:122], -v[95:96]
	s_wait_loadcnt_dscnt 0x201
	v_mul_f64_e32 v[101:102], v[6:7], v[79:80]
	v_mul_f64_e32 v[79:80], v[8:9], v[79:80]
	s_wait_loadcnt_dscnt 0x100
	v_mul_f64_e32 v[93:94], v[89:90], v[83:84]
	v_mul_f64_e32 v[83:84], v[91:92], v[83:84]
	v_add_f64_e32 v[2:3], v[2:3], v[97:98]
	v_add_f64_e32 v[10:11], v[99:100], v[10:11]
	v_fma_f64 v[95:96], v[8:9], v[77:78], v[101:102]
	v_fma_f64 v[77:78], v[6:7], v[77:78], -v[79:80]
	ds_load_b128 v[6:9], v1 offset:944
	v_fma_f64 v[79:80], v[91:92], v[81:82], v[93:94]
	v_fma_f64 v[81:82], v[89:90], v[81:82], -v[83:84]
	v_add_f64_e32 v[2:3], v[2:3], v[73:74]
	v_add_f64_e32 v[10:11], v[10:11], v[75:76]
	s_wait_loadcnt_dscnt 0x0
	v_mul_f64_e32 v[73:74], v[6:7], v[87:88]
	v_mul_f64_e32 v[75:76], v[8:9], v[87:88]
	s_delay_alu instid0(VALU_DEP_4) | instskip(NEXT) | instid1(VALU_DEP_4)
	v_add_f64_e32 v[2:3], v[2:3], v[77:78]
	v_add_f64_e32 v[10:11], v[10:11], v[95:96]
	s_delay_alu instid0(VALU_DEP_4) | instskip(NEXT) | instid1(VALU_DEP_4)
	v_fma_f64 v[8:9], v[8:9], v[85:86], v[73:74]
	v_fma_f64 v[6:7], v[6:7], v[85:86], -v[75:76]
	s_delay_alu instid0(VALU_DEP_4) | instskip(NEXT) | instid1(VALU_DEP_4)
	v_add_f64_e32 v[2:3], v[2:3], v[81:82]
	v_add_f64_e32 v[10:11], v[10:11], v[79:80]
	s_delay_alu instid0(VALU_DEP_2) | instskip(NEXT) | instid1(VALU_DEP_2)
	v_add_f64_e32 v[2:3], v[2:3], v[6:7]
	v_add_f64_e32 v[8:9], v[10:11], v[8:9]
	s_delay_alu instid0(VALU_DEP_2) | instskip(NEXT) | instid1(VALU_DEP_2)
	v_add_f64_e64 v[6:7], v[109:110], -v[2:3]
	v_add_f64_e64 v[8:9], v[111:112], -v[8:9]
	scratch_store_b128 off, v[6:9], off offset:80
	v_cmpx_lt_u32_e32 3, v0
	s_cbranch_execz .LBB93_187
; %bb.186:
	scratch_load_b128 v[6:9], off, s22
	v_dual_mov_b32 v2, v1 :: v_dual_mov_b32 v3, v1
	v_mov_b32_e32 v4, v1
	scratch_store_b128 off, v[1:4], off offset:64
	s_wait_loadcnt 0x0
	ds_store_b128 v5, v[6:9]
.LBB93_187:
	s_wait_alu 0xfffe
	s_or_b32 exec_lo, exec_lo, s0
	s_wait_storecnt_dscnt 0x0
	s_barrier_signal -1
	s_barrier_wait -1
	global_inv scope:SCOPE_SE
	s_clause 0x8
	scratch_load_b128 v[6:9], off, off offset:80
	scratch_load_b128 v[73:76], off, off offset:96
	;; [unrolled: 1-line block ×9, first 2 shown]
	ds_load_b128 v[105:108], v1 offset:544
	ds_load_b128 v[109:112], v1 offset:560
	scratch_load_b128 v[113:116], off, off offset:64
	s_mov_b32 s0, exec_lo
	ds_load_b128 v[121:124], v1 offset:592
	s_wait_loadcnt_dscnt 0x902
	v_mul_f64_e32 v[2:3], v[107:108], v[8:9]
	v_mul_f64_e32 v[117:118], v[105:106], v[8:9]
	scratch_load_b128 v[8:11], off, off offset:224
	s_wait_loadcnt_dscnt 0x901
	v_mul_f64_e32 v[125:126], v[109:110], v[75:76]
	v_mul_f64_e32 v[75:76], v[111:112], v[75:76]
	v_fma_f64 v[2:3], v[105:106], v[6:7], -v[2:3]
	v_fma_f64 v[6:7], v[107:108], v[6:7], v[117:118]
	ds_load_b128 v[105:108], v1 offset:576
	scratch_load_b128 v[117:120], off, off offset:240
	v_fma_f64 v[111:112], v[111:112], v[73:74], v[125:126]
	v_fma_f64 v[109:110], v[109:110], v[73:74], -v[75:76]
	scratch_load_b128 v[73:76], off, off offset:256
	s_wait_loadcnt_dscnt 0x901
	v_mul_f64_e32 v[125:126], v[121:122], v[83:84]
	v_mul_f64_e32 v[83:84], v[123:124], v[83:84]
	s_wait_dscnt 0x0
	v_mul_f64_e32 v[127:128], v[105:106], v[79:80]
	v_mul_f64_e32 v[79:80], v[107:108], v[79:80]
	v_add_f64_e32 v[2:3], 0, v[2:3]
	v_add_f64_e32 v[6:7], 0, v[6:7]
	v_fma_f64 v[123:124], v[123:124], v[81:82], v[125:126]
	v_fma_f64 v[121:122], v[121:122], v[81:82], -v[83:84]
	scratch_load_b128 v[81:84], off, off offset:288
	v_fma_f64 v[127:128], v[107:108], v[77:78], v[127:128]
	v_fma_f64 v[129:130], v[105:106], v[77:78], -v[79:80]
	ds_load_b128 v[77:80], v1 offset:608
	scratch_load_b128 v[105:108], off, off offset:272
	v_add_f64_e32 v[2:3], v[2:3], v[109:110]
	v_add_f64_e32 v[6:7], v[6:7], v[111:112]
	ds_load_b128 v[109:112], v1 offset:624
	s_wait_loadcnt_dscnt 0xa01
	v_mul_f64_e32 v[131:132], v[77:78], v[87:88]
	v_mul_f64_e32 v[87:88], v[79:80], v[87:88]
	s_wait_loadcnt_dscnt 0x900
	v_mul_f64_e32 v[125:126], v[109:110], v[91:92]
	v_mul_f64_e32 v[91:92], v[111:112], v[91:92]
	v_add_f64_e32 v[2:3], v[2:3], v[129:130]
	v_add_f64_e32 v[6:7], v[6:7], v[127:128]
	v_fma_f64 v[127:128], v[79:80], v[85:86], v[131:132]
	v_fma_f64 v[129:130], v[77:78], v[85:86], -v[87:88]
	ds_load_b128 v[77:80], v1 offset:640
	scratch_load_b128 v[85:88], off, off offset:304
	v_fma_f64 v[111:112], v[111:112], v[89:90], v[125:126]
	v_fma_f64 v[109:110], v[109:110], v[89:90], -v[91:92]
	scratch_load_b128 v[89:92], off, off offset:320
	v_add_f64_e32 v[2:3], v[2:3], v[121:122]
	v_add_f64_e32 v[6:7], v[6:7], v[123:124]
	ds_load_b128 v[121:124], v1 offset:656
	s_wait_loadcnt_dscnt 0xa01
	v_mul_f64_e32 v[131:132], v[77:78], v[95:96]
	v_mul_f64_e32 v[95:96], v[79:80], v[95:96]
	s_wait_loadcnt_dscnt 0x900
	v_mul_f64_e32 v[125:126], v[121:122], v[99:100]
	v_mul_f64_e32 v[99:100], v[123:124], v[99:100]
	v_add_f64_e32 v[2:3], v[2:3], v[129:130]
	v_add_f64_e32 v[6:7], v[6:7], v[127:128]
	v_fma_f64 v[127:128], v[79:80], v[93:94], v[131:132]
	v_fma_f64 v[129:130], v[77:78], v[93:94], -v[95:96]
	ds_load_b128 v[77:80], v1 offset:672
	scratch_load_b128 v[93:96], off, off offset:336
	v_fma_f64 v[123:124], v[123:124], v[97:98], v[125:126]
	v_fma_f64 v[121:122], v[121:122], v[97:98], -v[99:100]
	scratch_load_b128 v[97:100], off, off offset:352
	v_add_f64_e32 v[2:3], v[2:3], v[109:110]
	v_add_f64_e32 v[6:7], v[6:7], v[111:112]
	ds_load_b128 v[109:112], v1 offset:688
	s_wait_loadcnt_dscnt 0xa01
	v_mul_f64_e32 v[131:132], v[77:78], v[103:104]
	v_mul_f64_e32 v[103:104], v[79:80], v[103:104]
	v_add_f64_e32 v[2:3], v[2:3], v[129:130]
	v_add_f64_e32 v[6:7], v[6:7], v[127:128]
	s_delay_alu instid0(VALU_DEP_4) | instskip(NEXT) | instid1(VALU_DEP_4)
	v_fma_f64 v[127:128], v[79:80], v[101:102], v[131:132]
	v_fma_f64 v[129:130], v[77:78], v[101:102], -v[103:104]
	ds_load_b128 v[77:80], v1 offset:704
	scratch_load_b128 v[101:104], off, off offset:368
	s_wait_loadcnt_dscnt 0x901
	v_mul_f64_e32 v[125:126], v[109:110], v[10:11]
	v_mul_f64_e32 v[10:11], v[111:112], v[10:11]
	v_add_f64_e32 v[2:3], v[2:3], v[121:122]
	v_add_f64_e32 v[6:7], v[6:7], v[123:124]
	ds_load_b128 v[121:124], v1 offset:720
	v_fma_f64 v[111:112], v[111:112], v[8:9], v[125:126]
	s_wait_loadcnt_dscnt 0x801
	v_mul_f64_e32 v[131:132], v[77:78], v[119:120]
	v_mul_f64_e32 v[119:120], v[79:80], v[119:120]
	v_fma_f64 v[10:11], v[109:110], v[8:9], -v[10:11]
	s_wait_loadcnt_dscnt 0x700
	v_mul_f64_e32 v[125:126], v[121:122], v[75:76]
	v_add_f64_e32 v[2:3], v[2:3], v[129:130]
	v_add_f64_e32 v[109:110], v[6:7], v[127:128]
	scratch_load_b128 v[6:9], off, off offset:384
	v_mul_f64_e32 v[127:128], v[123:124], v[75:76]
	v_fma_f64 v[79:80], v[79:80], v[117:118], v[131:132]
	v_fma_f64 v[129:130], v[77:78], v[117:118], -v[119:120]
	ds_load_b128 v[75:78], v1 offset:736
	ds_load_b128 v[117:120], v1 offset:752
	v_fma_f64 v[125:126], v[123:124], v[73:74], v[125:126]
	v_add_f64_e32 v[2:3], v[2:3], v[10:11]
	v_add_f64_e32 v[10:11], v[109:110], v[111:112]
	scratch_load_b128 v[109:112], off, off offset:400
	s_wait_loadcnt_dscnt 0x701
	v_mul_f64_e32 v[131:132], v[75:76], v[107:108]
	v_mul_f64_e32 v[107:108], v[77:78], v[107:108]
	v_fma_f64 v[73:74], v[121:122], v[73:74], -v[127:128]
	scratch_load_b128 v[121:124], off, off offset:416
	s_wait_dscnt 0x0
	v_mul_f64_e32 v[127:128], v[117:118], v[83:84]
	v_mul_f64_e32 v[83:84], v[119:120], v[83:84]
	v_add_f64_e32 v[2:3], v[2:3], v[129:130]
	v_add_f64_e32 v[10:11], v[10:11], v[79:80]
	v_fma_f64 v[129:130], v[77:78], v[105:106], v[131:132]
	v_fma_f64 v[131:132], v[75:76], v[105:106], -v[107:108]
	scratch_load_b128 v[77:80], off, off offset:432
	ds_load_b128 v[105:108], v1 offset:784
	v_fma_f64 v[119:120], v[119:120], v[81:82], v[127:128]
	v_fma_f64 v[117:118], v[117:118], v[81:82], -v[83:84]
	scratch_load_b128 v[81:84], off, off offset:448
	v_add_f64_e32 v[2:3], v[2:3], v[73:74]
	v_add_f64_e32 v[10:11], v[10:11], v[125:126]
	ds_load_b128 v[73:76], v1 offset:768
	s_wait_loadcnt_dscnt 0x801
	v_mul_f64_e32 v[127:128], v[105:106], v[91:92]
	v_mul_f64_e32 v[91:92], v[107:108], v[91:92]
	s_wait_dscnt 0x0
	v_mul_f64_e32 v[125:126], v[73:74], v[87:88]
	v_mul_f64_e32 v[87:88], v[75:76], v[87:88]
	v_add_f64_e32 v[2:3], v[2:3], v[131:132]
	v_add_f64_e32 v[10:11], v[10:11], v[129:130]
	v_fma_f64 v[107:108], v[107:108], v[89:90], v[127:128]
	v_fma_f64 v[105:106], v[105:106], v[89:90], -v[91:92]
	scratch_load_b128 v[89:92], off, off offset:480
	v_fma_f64 v[125:126], v[75:76], v[85:86], v[125:126]
	v_fma_f64 v[129:130], v[73:74], v[85:86], -v[87:88]
	ds_load_b128 v[73:76], v1 offset:800
	scratch_load_b128 v[85:88], off, off offset:464
	v_add_f64_e32 v[2:3], v[2:3], v[117:118]
	v_add_f64_e32 v[10:11], v[10:11], v[119:120]
	ds_load_b128 v[117:120], v1 offset:816
	s_wait_loadcnt_dscnt 0x901
	v_mul_f64_e32 v[131:132], v[73:74], v[95:96]
	v_mul_f64_e32 v[95:96], v[75:76], v[95:96]
	v_add_f64_e32 v[2:3], v[2:3], v[129:130]
	v_add_f64_e32 v[10:11], v[10:11], v[125:126]
	s_wait_loadcnt_dscnt 0x800
	v_mul_f64_e32 v[125:126], v[117:118], v[99:100]
	v_mul_f64_e32 v[99:100], v[119:120], v[99:100]
	v_fma_f64 v[127:128], v[75:76], v[93:94], v[131:132]
	v_fma_f64 v[129:130], v[73:74], v[93:94], -v[95:96]
	ds_load_b128 v[73:76], v1 offset:832
	ds_load_b128 v[93:96], v1 offset:848
	v_add_f64_e32 v[2:3], v[2:3], v[105:106]
	v_add_f64_e32 v[10:11], v[10:11], v[107:108]
	s_wait_loadcnt_dscnt 0x701
	v_mul_f64_e32 v[105:106], v[73:74], v[103:104]
	v_mul_f64_e32 v[103:104], v[75:76], v[103:104]
	v_fma_f64 v[107:108], v[119:120], v[97:98], v[125:126]
	v_fma_f64 v[97:98], v[117:118], v[97:98], -v[99:100]
	v_add_f64_e32 v[2:3], v[2:3], v[129:130]
	v_add_f64_e32 v[10:11], v[10:11], v[127:128]
	v_fma_f64 v[105:106], v[75:76], v[101:102], v[105:106]
	v_fma_f64 v[101:102], v[73:74], v[101:102], -v[103:104]
	s_wait_loadcnt_dscnt 0x600
	v_mul_f64_e32 v[99:100], v[93:94], v[8:9]
	v_mul_f64_e32 v[117:118], v[95:96], v[8:9]
	v_add_f64_e32 v[2:3], v[2:3], v[97:98]
	v_add_f64_e32 v[97:98], v[10:11], v[107:108]
	ds_load_b128 v[8:11], v1 offset:864
	ds_load_b128 v[73:76], v1 offset:880
	v_fma_f64 v[95:96], v[95:96], v[6:7], v[99:100]
	v_fma_f64 v[6:7], v[93:94], v[6:7], -v[117:118]
	s_wait_loadcnt_dscnt 0x501
	v_mul_f64_e32 v[103:104], v[8:9], v[111:112]
	v_mul_f64_e32 v[107:108], v[10:11], v[111:112]
	s_wait_loadcnt_dscnt 0x400
	v_mul_f64_e32 v[99:100], v[75:76], v[123:124]
	v_add_f64_e32 v[2:3], v[2:3], v[101:102]
	v_add_f64_e32 v[93:94], v[97:98], v[105:106]
	v_mul_f64_e32 v[97:98], v[73:74], v[123:124]
	v_fma_f64 v[10:11], v[10:11], v[109:110], v[103:104]
	v_fma_f64 v[101:102], v[8:9], v[109:110], -v[107:108]
	v_fma_f64 v[73:74], v[73:74], v[121:122], -v[99:100]
	v_add_f64_e32 v[2:3], v[2:3], v[6:7]
	v_add_f64_e32 v[103:104], v[93:94], v[95:96]
	ds_load_b128 v[6:9], v1 offset:896
	ds_load_b128 v[93:96], v1 offset:912
	v_fma_f64 v[75:76], v[75:76], v[121:122], v[97:98]
	s_wait_loadcnt_dscnt 0x301
	v_mul_f64_e32 v[105:106], v[6:7], v[79:80]
	v_mul_f64_e32 v[79:80], v[8:9], v[79:80]
	s_wait_loadcnt_dscnt 0x200
	v_mul_f64_e32 v[97:98], v[93:94], v[83:84]
	v_mul_f64_e32 v[83:84], v[95:96], v[83:84]
	v_add_f64_e32 v[2:3], v[2:3], v[101:102]
	v_add_f64_e32 v[10:11], v[103:104], v[10:11]
	v_fma_f64 v[99:100], v[8:9], v[77:78], v[105:106]
	v_fma_f64 v[77:78], v[6:7], v[77:78], -v[79:80]
	s_delay_alu instid0(VALU_DEP_4) | instskip(NEXT) | instid1(VALU_DEP_4)
	v_add_f64_e32 v[73:74], v[2:3], v[73:74]
	v_add_f64_e32 v[10:11], v[10:11], v[75:76]
	ds_load_b128 v[6:9], v1 offset:928
	ds_load_b128 v[1:4], v1 offset:944
	s_wait_loadcnt_dscnt 0x1
	v_mul_f64_e32 v[75:76], v[6:7], v[87:88]
	v_mul_f64_e32 v[79:80], v[8:9], v[87:88]
	v_fma_f64 v[87:88], v[95:96], v[81:82], v[97:98]
	v_fma_f64 v[81:82], v[93:94], v[81:82], -v[83:84]
	s_wait_dscnt 0x0
	v_mul_f64_e32 v[83:84], v[3:4], v[91:92]
	v_add_f64_e32 v[73:74], v[73:74], v[77:78]
	v_add_f64_e32 v[10:11], v[10:11], v[99:100]
	v_mul_f64_e32 v[77:78], v[1:2], v[91:92]
	v_fma_f64 v[8:9], v[8:9], v[85:86], v[75:76]
	v_fma_f64 v[6:7], v[6:7], v[85:86], -v[79:80]
	v_fma_f64 v[1:2], v[1:2], v[89:90], -v[83:84]
	v_add_f64_e32 v[73:74], v[73:74], v[81:82]
	v_add_f64_e32 v[10:11], v[10:11], v[87:88]
	v_fma_f64 v[3:4], v[3:4], v[89:90], v[77:78]
	s_delay_alu instid0(VALU_DEP_3) | instskip(NEXT) | instid1(VALU_DEP_3)
	v_add_f64_e32 v[6:7], v[73:74], v[6:7]
	v_add_f64_e32 v[8:9], v[10:11], v[8:9]
	s_delay_alu instid0(VALU_DEP_2) | instskip(NEXT) | instid1(VALU_DEP_2)
	v_add_f64_e32 v[1:2], v[6:7], v[1:2]
	v_add_f64_e32 v[3:4], v[8:9], v[3:4]
	s_delay_alu instid0(VALU_DEP_2) | instskip(NEXT) | instid1(VALU_DEP_2)
	v_add_f64_e64 v[1:2], v[113:114], -v[1:2]
	v_add_f64_e64 v[3:4], v[115:116], -v[3:4]
	scratch_store_b128 off, v[1:4], off offset:64
	v_cmpx_lt_u32_e32 2, v0
	s_cbranch_execz .LBB93_189
; %bb.188:
	scratch_load_b128 v[1:4], off, s37
	v_mov_b32_e32 v6, 0
	s_delay_alu instid0(VALU_DEP_1)
	v_dual_mov_b32 v7, v6 :: v_dual_mov_b32 v8, v6
	v_mov_b32_e32 v9, v6
	scratch_store_b128 off, v[6:9], off offset:48
	s_wait_loadcnt 0x0
	ds_store_b128 v5, v[1:4]
.LBB93_189:
	s_wait_alu 0xfffe
	s_or_b32 exec_lo, exec_lo, s0
	s_wait_storecnt_dscnt 0x0
	s_barrier_signal -1
	s_barrier_wait -1
	global_inv scope:SCOPE_SE
	s_clause 0x7
	scratch_load_b128 v[6:9], off, off offset:64
	scratch_load_b128 v[73:76], off, off offset:80
	;; [unrolled: 1-line block ×8, first 2 shown]
	v_mov_b32_e32 v1, 0
	s_mov_b32 s0, exec_lo
	ds_load_b128 v[101:104], v1 offset:528
	s_clause 0x1
	scratch_load_b128 v[105:108], off, off offset:192
	scratch_load_b128 v[109:112], off, off offset:48
	ds_load_b128 v[113:116], v1 offset:544
	ds_load_b128 v[121:124], v1 offset:576
	s_wait_loadcnt_dscnt 0x902
	v_mul_f64_e32 v[2:3], v[103:104], v[8:9]
	v_mul_f64_e32 v[117:118], v[101:102], v[8:9]
	scratch_load_b128 v[8:11], off, off offset:208
	v_fma_f64 v[2:3], v[101:102], v[6:7], -v[2:3]
	v_fma_f64 v[6:7], v[103:104], v[6:7], v[117:118]
	ds_load_b128 v[101:104], v1 offset:560
	s_wait_loadcnt_dscnt 0x902
	v_mul_f64_e32 v[125:126], v[113:114], v[75:76]
	v_mul_f64_e32 v[75:76], v[115:116], v[75:76]
	scratch_load_b128 v[117:120], off, off offset:224
	s_wait_loadcnt_dscnt 0x900
	v_mul_f64_e32 v[127:128], v[101:102], v[79:80]
	v_mul_f64_e32 v[79:80], v[103:104], v[79:80]
	v_add_f64_e32 v[2:3], 0, v[2:3]
	v_add_f64_e32 v[6:7], 0, v[6:7]
	v_fma_f64 v[115:116], v[115:116], v[73:74], v[125:126]
	v_fma_f64 v[113:114], v[113:114], v[73:74], -v[75:76]
	scratch_load_b128 v[73:76], off, off offset:240
	v_fma_f64 v[127:128], v[103:104], v[77:78], v[127:128]
	v_fma_f64 v[129:130], v[101:102], v[77:78], -v[79:80]
	ds_load_b128 v[77:80], v1 offset:592
	s_wait_loadcnt 0x9
	v_mul_f64_e32 v[125:126], v[121:122], v[83:84]
	v_mul_f64_e32 v[83:84], v[123:124], v[83:84]
	scratch_load_b128 v[101:104], off, off offset:256
	v_add_f64_e32 v[6:7], v[6:7], v[115:116]
	v_add_f64_e32 v[2:3], v[2:3], v[113:114]
	ds_load_b128 v[113:116], v1 offset:608
	s_wait_loadcnt_dscnt 0x901
	v_mul_f64_e32 v[131:132], v[77:78], v[87:88]
	v_mul_f64_e32 v[87:88], v[79:80], v[87:88]
	v_fma_f64 v[123:124], v[123:124], v[81:82], v[125:126]
	v_fma_f64 v[121:122], v[121:122], v[81:82], -v[83:84]
	scratch_load_b128 v[81:84], off, off offset:272
	v_add_f64_e32 v[6:7], v[6:7], v[127:128]
	v_add_f64_e32 v[2:3], v[2:3], v[129:130]
	v_fma_f64 v[127:128], v[79:80], v[85:86], v[131:132]
	v_fma_f64 v[129:130], v[77:78], v[85:86], -v[87:88]
	ds_load_b128 v[77:80], v1 offset:624
	s_wait_loadcnt_dscnt 0x901
	v_mul_f64_e32 v[125:126], v[113:114], v[91:92]
	v_mul_f64_e32 v[91:92], v[115:116], v[91:92]
	scratch_load_b128 v[85:88], off, off offset:288
	s_wait_loadcnt_dscnt 0x900
	v_mul_f64_e32 v[131:132], v[77:78], v[95:96]
	v_mul_f64_e32 v[95:96], v[79:80], v[95:96]
	v_add_f64_e32 v[6:7], v[6:7], v[123:124]
	v_add_f64_e32 v[2:3], v[2:3], v[121:122]
	ds_load_b128 v[121:124], v1 offset:640
	v_fma_f64 v[115:116], v[115:116], v[89:90], v[125:126]
	v_fma_f64 v[113:114], v[113:114], v[89:90], -v[91:92]
	scratch_load_b128 v[89:92], off, off offset:304
	v_add_f64_e32 v[6:7], v[6:7], v[127:128]
	v_add_f64_e32 v[2:3], v[2:3], v[129:130]
	v_fma_f64 v[127:128], v[79:80], v[93:94], v[131:132]
	v_fma_f64 v[129:130], v[77:78], v[93:94], -v[95:96]
	ds_load_b128 v[77:80], v1 offset:656
	s_wait_loadcnt_dscnt 0x901
	v_mul_f64_e32 v[125:126], v[121:122], v[99:100]
	v_mul_f64_e32 v[99:100], v[123:124], v[99:100]
	scratch_load_b128 v[93:96], off, off offset:320
	s_wait_loadcnt_dscnt 0x900
	v_mul_f64_e32 v[131:132], v[77:78], v[107:108]
	v_mul_f64_e32 v[107:108], v[79:80], v[107:108]
	v_add_f64_e32 v[6:7], v[6:7], v[115:116]
	v_add_f64_e32 v[2:3], v[2:3], v[113:114]
	ds_load_b128 v[113:116], v1 offset:672
	v_fma_f64 v[123:124], v[123:124], v[97:98], v[125:126]
	v_fma_f64 v[121:122], v[121:122], v[97:98], -v[99:100]
	scratch_load_b128 v[97:100], off, off offset:336
	v_add_f64_e32 v[6:7], v[6:7], v[127:128]
	v_add_f64_e32 v[2:3], v[2:3], v[129:130]
	v_fma_f64 v[127:128], v[79:80], v[105:106], v[131:132]
	v_fma_f64 v[129:130], v[77:78], v[105:106], -v[107:108]
	ds_load_b128 v[77:80], v1 offset:688
	scratch_load_b128 v[105:108], off, off offset:352
	s_wait_loadcnt_dscnt 0x901
	v_mul_f64_e32 v[125:126], v[113:114], v[10:11]
	v_mul_f64_e32 v[10:11], v[115:116], v[10:11]
	v_add_f64_e32 v[6:7], v[6:7], v[123:124]
	v_add_f64_e32 v[2:3], v[2:3], v[121:122]
	ds_load_b128 v[121:124], v1 offset:704
	v_fma_f64 v[115:116], v[115:116], v[8:9], v[125:126]
	v_fma_f64 v[10:11], v[113:114], v[8:9], -v[10:11]
	s_wait_loadcnt_dscnt 0x801
	v_mul_f64_e32 v[131:132], v[77:78], v[119:120]
	v_mul_f64_e32 v[119:120], v[79:80], v[119:120]
	v_add_f64_e32 v[113:114], v[6:7], v[127:128]
	v_add_f64_e32 v[2:3], v[2:3], v[129:130]
	scratch_load_b128 v[6:9], off, off offset:368
	v_fma_f64 v[79:80], v[79:80], v[117:118], v[131:132]
	v_fma_f64 v[129:130], v[77:78], v[117:118], -v[119:120]
	ds_load_b128 v[117:120], v1 offset:736
	s_wait_loadcnt_dscnt 0x801
	v_mul_f64_e32 v[125:126], v[121:122], v[75:76]
	v_mul_f64_e32 v[127:128], v[123:124], v[75:76]
	ds_load_b128 v[75:78], v1 offset:720
	v_add_f64_e32 v[2:3], v[2:3], v[10:11]
	v_add_f64_e32 v[10:11], v[113:114], v[115:116]
	scratch_load_b128 v[113:116], off, off offset:384
	s_wait_loadcnt_dscnt 0x800
	v_mul_f64_e32 v[131:132], v[75:76], v[103:104]
	v_mul_f64_e32 v[103:104], v[77:78], v[103:104]
	v_fma_f64 v[125:126], v[123:124], v[73:74], v[125:126]
	v_fma_f64 v[73:74], v[121:122], v[73:74], -v[127:128]
	scratch_load_b128 v[121:124], off, off offset:400
	v_add_f64_e32 v[2:3], v[2:3], v[129:130]
	v_add_f64_e32 v[10:11], v[10:11], v[79:80]
	s_wait_loadcnt 0x8
	v_mul_f64_e32 v[127:128], v[117:118], v[83:84]
	v_mul_f64_e32 v[83:84], v[119:120], v[83:84]
	v_fma_f64 v[129:130], v[77:78], v[101:102], v[131:132]
	v_fma_f64 v[131:132], v[75:76], v[101:102], -v[103:104]
	scratch_load_b128 v[77:80], off, off offset:416
	ds_load_b128 v[101:104], v1 offset:768
	v_add_f64_e32 v[2:3], v[2:3], v[73:74]
	v_add_f64_e32 v[10:11], v[10:11], v[125:126]
	ds_load_b128 v[73:76], v1 offset:752
	v_fma_f64 v[119:120], v[119:120], v[81:82], v[127:128]
	v_fma_f64 v[117:118], v[117:118], v[81:82], -v[83:84]
	scratch_load_b128 v[81:84], off, off offset:432
	s_wait_loadcnt_dscnt 0x900
	v_mul_f64_e32 v[125:126], v[73:74], v[87:88]
	v_mul_f64_e32 v[87:88], v[75:76], v[87:88]
	s_wait_loadcnt 0x8
	v_mul_f64_e32 v[127:128], v[101:102], v[91:92]
	v_mul_f64_e32 v[91:92], v[103:104], v[91:92]
	v_add_f64_e32 v[2:3], v[2:3], v[131:132]
	v_add_f64_e32 v[10:11], v[10:11], v[129:130]
	v_fma_f64 v[125:126], v[75:76], v[85:86], v[125:126]
	v_fma_f64 v[129:130], v[73:74], v[85:86], -v[87:88]
	ds_load_b128 v[73:76], v1 offset:784
	scratch_load_b128 v[85:88], off, off offset:448
	v_fma_f64 v[103:104], v[103:104], v[89:90], v[127:128]
	v_fma_f64 v[101:102], v[101:102], v[89:90], -v[91:92]
	scratch_load_b128 v[89:92], off, off offset:464
	v_add_f64_e32 v[2:3], v[2:3], v[117:118]
	v_add_f64_e32 v[10:11], v[10:11], v[119:120]
	ds_load_b128 v[117:120], v1 offset:800
	s_wait_loadcnt_dscnt 0x901
	v_mul_f64_e32 v[131:132], v[73:74], v[95:96]
	v_mul_f64_e32 v[95:96], v[75:76], v[95:96]
	s_wait_loadcnt_dscnt 0x800
	v_mul_f64_e32 v[127:128], v[119:120], v[99:100]
	v_add_f64_e32 v[2:3], v[2:3], v[129:130]
	v_add_f64_e32 v[10:11], v[10:11], v[125:126]
	v_mul_f64_e32 v[125:126], v[117:118], v[99:100]
	v_fma_f64 v[129:130], v[75:76], v[93:94], v[131:132]
	v_fma_f64 v[131:132], v[73:74], v[93:94], -v[95:96]
	ds_load_b128 v[73:76], v1 offset:816
	scratch_load_b128 v[93:96], off, off offset:480
	v_add_f64_e32 v[2:3], v[2:3], v[101:102]
	v_add_f64_e32 v[10:11], v[10:11], v[103:104]
	ds_load_b128 v[99:102], v1 offset:832
	s_wait_loadcnt_dscnt 0x801
	v_mul_f64_e32 v[103:104], v[73:74], v[107:108]
	v_mul_f64_e32 v[107:108], v[75:76], v[107:108]
	v_fma_f64 v[119:120], v[119:120], v[97:98], v[125:126]
	v_fma_f64 v[97:98], v[117:118], v[97:98], -v[127:128]
	v_add_f64_e32 v[2:3], v[2:3], v[131:132]
	v_add_f64_e32 v[10:11], v[10:11], v[129:130]
	v_fma_f64 v[103:104], v[75:76], v[105:106], v[103:104]
	v_fma_f64 v[105:106], v[73:74], v[105:106], -v[107:108]
	s_wait_loadcnt_dscnt 0x700
	v_mul_f64_e32 v[117:118], v[99:100], v[8:9]
	v_mul_f64_e32 v[125:126], v[101:102], v[8:9]
	v_add_f64_e32 v[2:3], v[2:3], v[97:98]
	v_add_f64_e32 v[97:98], v[10:11], v[119:120]
	ds_load_b128 v[8:11], v1 offset:848
	ds_load_b128 v[73:76], v1 offset:864
	v_fma_f64 v[101:102], v[101:102], v[6:7], v[117:118]
	v_fma_f64 v[6:7], v[99:100], v[6:7], -v[125:126]
	s_wait_loadcnt_dscnt 0x601
	v_mul_f64_e32 v[107:108], v[8:9], v[115:116]
	v_mul_f64_e32 v[115:116], v[10:11], v[115:116]
	v_add_f64_e32 v[2:3], v[2:3], v[105:106]
	v_add_f64_e32 v[97:98], v[97:98], v[103:104]
	s_wait_loadcnt_dscnt 0x500
	v_mul_f64_e32 v[103:104], v[73:74], v[123:124]
	v_mul_f64_e32 v[105:106], v[75:76], v[123:124]
	v_fma_f64 v[10:11], v[10:11], v[113:114], v[107:108]
	v_fma_f64 v[107:108], v[8:9], v[113:114], -v[115:116]
	v_add_f64_e32 v[2:3], v[2:3], v[6:7]
	v_add_f64_e32 v[101:102], v[97:98], v[101:102]
	ds_load_b128 v[6:9], v1 offset:880
	ds_load_b128 v[97:100], v1 offset:896
	v_fma_f64 v[75:76], v[75:76], v[121:122], v[103:104]
	v_fma_f64 v[73:74], v[73:74], v[121:122], -v[105:106]
	s_wait_loadcnt_dscnt 0x401
	v_mul_f64_e32 v[113:114], v[6:7], v[79:80]
	v_mul_f64_e32 v[79:80], v[8:9], v[79:80]
	v_add_f64_e32 v[2:3], v[2:3], v[107:108]
	v_add_f64_e32 v[10:11], v[101:102], v[10:11]
	s_wait_loadcnt_dscnt 0x300
	v_mul_f64_e32 v[101:102], v[97:98], v[83:84]
	v_mul_f64_e32 v[83:84], v[99:100], v[83:84]
	v_fma_f64 v[103:104], v[8:9], v[77:78], v[113:114]
	v_fma_f64 v[77:78], v[6:7], v[77:78], -v[79:80]
	v_add_f64_e32 v[2:3], v[2:3], v[73:74]
	v_add_f64_e32 v[10:11], v[10:11], v[75:76]
	ds_load_b128 v[6:9], v1 offset:912
	ds_load_b128 v[73:76], v1 offset:928
	v_fma_f64 v[99:100], v[99:100], v[81:82], v[101:102]
	v_fma_f64 v[81:82], v[97:98], v[81:82], -v[83:84]
	s_wait_loadcnt_dscnt 0x201
	v_mul_f64_e32 v[79:80], v[6:7], v[87:88]
	v_mul_f64_e32 v[87:88], v[8:9], v[87:88]
	s_wait_loadcnt_dscnt 0x100
	v_mul_f64_e32 v[83:84], v[75:76], v[91:92]
	v_add_f64_e32 v[2:3], v[2:3], v[77:78]
	v_add_f64_e32 v[10:11], v[10:11], v[103:104]
	v_mul_f64_e32 v[77:78], v[73:74], v[91:92]
	v_fma_f64 v[79:80], v[8:9], v[85:86], v[79:80]
	v_fma_f64 v[85:86], v[6:7], v[85:86], -v[87:88]
	ds_load_b128 v[6:9], v1 offset:944
	v_fma_f64 v[73:74], v[73:74], v[89:90], -v[83:84]
	v_add_f64_e32 v[2:3], v[2:3], v[81:82]
	v_add_f64_e32 v[10:11], v[10:11], v[99:100]
	v_fma_f64 v[75:76], v[75:76], v[89:90], v[77:78]
	s_wait_loadcnt_dscnt 0x0
	v_mul_f64_e32 v[81:82], v[6:7], v[95:96]
	v_mul_f64_e32 v[87:88], v[8:9], v[95:96]
	v_add_f64_e32 v[2:3], v[2:3], v[85:86]
	v_add_f64_e32 v[10:11], v[10:11], v[79:80]
	s_delay_alu instid0(VALU_DEP_4) | instskip(NEXT) | instid1(VALU_DEP_4)
	v_fma_f64 v[8:9], v[8:9], v[93:94], v[81:82]
	v_fma_f64 v[6:7], v[6:7], v[93:94], -v[87:88]
	s_delay_alu instid0(VALU_DEP_4) | instskip(NEXT) | instid1(VALU_DEP_4)
	v_add_f64_e32 v[2:3], v[2:3], v[73:74]
	v_add_f64_e32 v[10:11], v[10:11], v[75:76]
	s_delay_alu instid0(VALU_DEP_2) | instskip(NEXT) | instid1(VALU_DEP_2)
	v_add_f64_e32 v[2:3], v[2:3], v[6:7]
	v_add_f64_e32 v[8:9], v[10:11], v[8:9]
	s_delay_alu instid0(VALU_DEP_2) | instskip(NEXT) | instid1(VALU_DEP_2)
	v_add_f64_e64 v[6:7], v[109:110], -v[2:3]
	v_add_f64_e64 v[8:9], v[111:112], -v[8:9]
	scratch_store_b128 off, v[6:9], off offset:48
	v_cmpx_lt_u32_e32 1, v0
	s_cbranch_execz .LBB93_191
; %bb.190:
	scratch_load_b128 v[6:9], off, s38
	v_dual_mov_b32 v2, v1 :: v_dual_mov_b32 v3, v1
	v_mov_b32_e32 v4, v1
	scratch_store_b128 off, v[1:4], off offset:32
	s_wait_loadcnt 0x0
	ds_store_b128 v5, v[6:9]
.LBB93_191:
	s_wait_alu 0xfffe
	s_or_b32 exec_lo, exec_lo, s0
	s_wait_storecnt_dscnt 0x0
	s_barrier_signal -1
	s_barrier_wait -1
	global_inv scope:SCOPE_SE
	s_clause 0x8
	scratch_load_b128 v[6:9], off, off offset:48
	scratch_load_b128 v[73:76], off, off offset:64
	;; [unrolled: 1-line block ×9, first 2 shown]
	ds_load_b128 v[105:108], v1 offset:512
	ds_load_b128 v[109:112], v1 offset:528
	scratch_load_b128 v[113:116], off, off offset:32
	s_mov_b32 s0, exec_lo
	ds_load_b128 v[121:124], v1 offset:560
	s_wait_loadcnt_dscnt 0x902
	v_mul_f64_e32 v[2:3], v[107:108], v[8:9]
	v_mul_f64_e32 v[117:118], v[105:106], v[8:9]
	scratch_load_b128 v[8:11], off, off offset:192
	s_wait_loadcnt_dscnt 0x901
	v_mul_f64_e32 v[125:126], v[109:110], v[75:76]
	v_mul_f64_e32 v[75:76], v[111:112], v[75:76]
	v_fma_f64 v[2:3], v[105:106], v[6:7], -v[2:3]
	v_fma_f64 v[6:7], v[107:108], v[6:7], v[117:118]
	ds_load_b128 v[105:108], v1 offset:544
	scratch_load_b128 v[117:120], off, off offset:208
	v_fma_f64 v[111:112], v[111:112], v[73:74], v[125:126]
	v_fma_f64 v[109:110], v[109:110], v[73:74], -v[75:76]
	scratch_load_b128 v[73:76], off, off offset:224
	s_wait_loadcnt_dscnt 0x901
	v_mul_f64_e32 v[125:126], v[121:122], v[83:84]
	v_mul_f64_e32 v[83:84], v[123:124], v[83:84]
	s_wait_dscnt 0x0
	v_mul_f64_e32 v[127:128], v[105:106], v[79:80]
	v_mul_f64_e32 v[79:80], v[107:108], v[79:80]
	v_add_f64_e32 v[2:3], 0, v[2:3]
	v_add_f64_e32 v[6:7], 0, v[6:7]
	v_fma_f64 v[123:124], v[123:124], v[81:82], v[125:126]
	v_fma_f64 v[121:122], v[121:122], v[81:82], -v[83:84]
	scratch_load_b128 v[81:84], off, off offset:256
	v_fma_f64 v[127:128], v[107:108], v[77:78], v[127:128]
	v_fma_f64 v[129:130], v[105:106], v[77:78], -v[79:80]
	ds_load_b128 v[77:80], v1 offset:576
	scratch_load_b128 v[105:108], off, off offset:240
	v_add_f64_e32 v[2:3], v[2:3], v[109:110]
	v_add_f64_e32 v[6:7], v[6:7], v[111:112]
	ds_load_b128 v[109:112], v1 offset:592
	s_wait_loadcnt_dscnt 0xa01
	v_mul_f64_e32 v[131:132], v[77:78], v[87:88]
	v_mul_f64_e32 v[87:88], v[79:80], v[87:88]
	s_wait_loadcnt_dscnt 0x900
	v_mul_f64_e32 v[125:126], v[109:110], v[91:92]
	v_mul_f64_e32 v[91:92], v[111:112], v[91:92]
	v_add_f64_e32 v[2:3], v[2:3], v[129:130]
	v_add_f64_e32 v[6:7], v[6:7], v[127:128]
	v_fma_f64 v[127:128], v[79:80], v[85:86], v[131:132]
	v_fma_f64 v[129:130], v[77:78], v[85:86], -v[87:88]
	ds_load_b128 v[77:80], v1 offset:608
	scratch_load_b128 v[85:88], off, off offset:272
	v_fma_f64 v[111:112], v[111:112], v[89:90], v[125:126]
	v_fma_f64 v[109:110], v[109:110], v[89:90], -v[91:92]
	scratch_load_b128 v[89:92], off, off offset:288
	v_add_f64_e32 v[2:3], v[2:3], v[121:122]
	v_add_f64_e32 v[6:7], v[6:7], v[123:124]
	ds_load_b128 v[121:124], v1 offset:624
	s_wait_loadcnt_dscnt 0xa01
	v_mul_f64_e32 v[131:132], v[77:78], v[95:96]
	v_mul_f64_e32 v[95:96], v[79:80], v[95:96]
	s_wait_loadcnt_dscnt 0x900
	v_mul_f64_e32 v[125:126], v[121:122], v[99:100]
	v_mul_f64_e32 v[99:100], v[123:124], v[99:100]
	v_add_f64_e32 v[2:3], v[2:3], v[129:130]
	v_add_f64_e32 v[6:7], v[6:7], v[127:128]
	v_fma_f64 v[127:128], v[79:80], v[93:94], v[131:132]
	v_fma_f64 v[129:130], v[77:78], v[93:94], -v[95:96]
	ds_load_b128 v[77:80], v1 offset:640
	scratch_load_b128 v[93:96], off, off offset:304
	v_fma_f64 v[123:124], v[123:124], v[97:98], v[125:126]
	v_fma_f64 v[121:122], v[121:122], v[97:98], -v[99:100]
	scratch_load_b128 v[97:100], off, off offset:320
	v_add_f64_e32 v[2:3], v[2:3], v[109:110]
	v_add_f64_e32 v[6:7], v[6:7], v[111:112]
	ds_load_b128 v[109:112], v1 offset:656
	s_wait_loadcnt_dscnt 0xa01
	v_mul_f64_e32 v[131:132], v[77:78], v[103:104]
	v_mul_f64_e32 v[103:104], v[79:80], v[103:104]
	v_add_f64_e32 v[2:3], v[2:3], v[129:130]
	v_add_f64_e32 v[6:7], v[6:7], v[127:128]
	s_delay_alu instid0(VALU_DEP_4) | instskip(NEXT) | instid1(VALU_DEP_4)
	v_fma_f64 v[127:128], v[79:80], v[101:102], v[131:132]
	v_fma_f64 v[129:130], v[77:78], v[101:102], -v[103:104]
	ds_load_b128 v[77:80], v1 offset:672
	scratch_load_b128 v[101:104], off, off offset:336
	s_wait_loadcnt_dscnt 0x901
	v_mul_f64_e32 v[125:126], v[109:110], v[10:11]
	v_mul_f64_e32 v[10:11], v[111:112], v[10:11]
	v_add_f64_e32 v[2:3], v[2:3], v[121:122]
	v_add_f64_e32 v[6:7], v[6:7], v[123:124]
	ds_load_b128 v[121:124], v1 offset:688
	v_fma_f64 v[111:112], v[111:112], v[8:9], v[125:126]
	s_wait_loadcnt_dscnt 0x801
	v_mul_f64_e32 v[131:132], v[77:78], v[119:120]
	v_mul_f64_e32 v[119:120], v[79:80], v[119:120]
	v_fma_f64 v[10:11], v[109:110], v[8:9], -v[10:11]
	s_wait_loadcnt_dscnt 0x700
	v_mul_f64_e32 v[125:126], v[121:122], v[75:76]
	v_add_f64_e32 v[2:3], v[2:3], v[129:130]
	v_add_f64_e32 v[109:110], v[6:7], v[127:128]
	scratch_load_b128 v[6:9], off, off offset:352
	v_mul_f64_e32 v[127:128], v[123:124], v[75:76]
	v_fma_f64 v[79:80], v[79:80], v[117:118], v[131:132]
	v_fma_f64 v[129:130], v[77:78], v[117:118], -v[119:120]
	ds_load_b128 v[75:78], v1 offset:704
	ds_load_b128 v[117:120], v1 offset:720
	v_fma_f64 v[125:126], v[123:124], v[73:74], v[125:126]
	v_add_f64_e32 v[2:3], v[2:3], v[10:11]
	v_add_f64_e32 v[10:11], v[109:110], v[111:112]
	scratch_load_b128 v[109:112], off, off offset:368
	s_wait_loadcnt_dscnt 0x701
	v_mul_f64_e32 v[131:132], v[75:76], v[107:108]
	v_mul_f64_e32 v[107:108], v[77:78], v[107:108]
	v_fma_f64 v[73:74], v[121:122], v[73:74], -v[127:128]
	scratch_load_b128 v[121:124], off, off offset:384
	s_wait_dscnt 0x0
	v_mul_f64_e32 v[127:128], v[117:118], v[83:84]
	v_mul_f64_e32 v[83:84], v[119:120], v[83:84]
	v_add_f64_e32 v[2:3], v[2:3], v[129:130]
	v_add_f64_e32 v[10:11], v[10:11], v[79:80]
	v_fma_f64 v[129:130], v[77:78], v[105:106], v[131:132]
	v_fma_f64 v[131:132], v[75:76], v[105:106], -v[107:108]
	scratch_load_b128 v[77:80], off, off offset:400
	ds_load_b128 v[105:108], v1 offset:752
	v_fma_f64 v[119:120], v[119:120], v[81:82], v[127:128]
	v_fma_f64 v[117:118], v[117:118], v[81:82], -v[83:84]
	scratch_load_b128 v[81:84], off, off offset:416
	v_add_f64_e32 v[2:3], v[2:3], v[73:74]
	v_add_f64_e32 v[10:11], v[10:11], v[125:126]
	ds_load_b128 v[73:76], v1 offset:736
	s_wait_loadcnt_dscnt 0x801
	v_mul_f64_e32 v[127:128], v[105:106], v[91:92]
	v_mul_f64_e32 v[91:92], v[107:108], v[91:92]
	s_wait_dscnt 0x0
	v_mul_f64_e32 v[125:126], v[73:74], v[87:88]
	v_mul_f64_e32 v[87:88], v[75:76], v[87:88]
	v_add_f64_e32 v[2:3], v[2:3], v[131:132]
	v_add_f64_e32 v[10:11], v[10:11], v[129:130]
	v_fma_f64 v[107:108], v[107:108], v[89:90], v[127:128]
	v_fma_f64 v[105:106], v[105:106], v[89:90], -v[91:92]
	scratch_load_b128 v[89:92], off, off offset:448
	v_fma_f64 v[125:126], v[75:76], v[85:86], v[125:126]
	v_fma_f64 v[129:130], v[73:74], v[85:86], -v[87:88]
	ds_load_b128 v[73:76], v1 offset:768
	scratch_load_b128 v[85:88], off, off offset:432
	v_add_f64_e32 v[2:3], v[2:3], v[117:118]
	v_add_f64_e32 v[10:11], v[10:11], v[119:120]
	ds_load_b128 v[117:120], v1 offset:784
	s_wait_loadcnt_dscnt 0x901
	v_mul_f64_e32 v[131:132], v[73:74], v[95:96]
	v_mul_f64_e32 v[95:96], v[75:76], v[95:96]
	v_add_f64_e32 v[2:3], v[2:3], v[129:130]
	v_add_f64_e32 v[10:11], v[10:11], v[125:126]
	s_wait_loadcnt_dscnt 0x800
	v_mul_f64_e32 v[125:126], v[117:118], v[99:100]
	v_mul_f64_e32 v[99:100], v[119:120], v[99:100]
	v_fma_f64 v[127:128], v[75:76], v[93:94], v[131:132]
	v_fma_f64 v[129:130], v[73:74], v[93:94], -v[95:96]
	ds_load_b128 v[73:76], v1 offset:800
	scratch_load_b128 v[93:96], off, off offset:464
	v_add_f64_e32 v[2:3], v[2:3], v[105:106]
	v_add_f64_e32 v[10:11], v[10:11], v[107:108]
	ds_load_b128 v[105:108], v1 offset:816
	s_wait_loadcnt_dscnt 0x801
	v_mul_f64_e32 v[131:132], v[73:74], v[103:104]
	v_mul_f64_e32 v[103:104], v[75:76], v[103:104]
	v_fma_f64 v[119:120], v[119:120], v[97:98], v[125:126]
	v_fma_f64 v[117:118], v[117:118], v[97:98], -v[99:100]
	scratch_load_b128 v[97:100], off, off offset:480
	v_add_f64_e32 v[2:3], v[2:3], v[129:130]
	v_add_f64_e32 v[10:11], v[10:11], v[127:128]
	v_fma_f64 v[129:130], v[75:76], v[101:102], v[131:132]
	v_fma_f64 v[101:102], v[73:74], v[101:102], -v[103:104]
	s_wait_loadcnt_dscnt 0x800
	v_mul_f64_e32 v[125:126], v[105:106], v[8:9]
	v_mul_f64_e32 v[127:128], v[107:108], v[8:9]
	v_add_f64_e32 v[2:3], v[2:3], v[117:118]
	v_add_f64_e32 v[103:104], v[10:11], v[119:120]
	ds_load_b128 v[8:11], v1 offset:832
	ds_load_b128 v[73:76], v1 offset:848
	v_fma_f64 v[107:108], v[107:108], v[6:7], v[125:126]
	v_fma_f64 v[6:7], v[105:106], v[6:7], -v[127:128]
	s_wait_loadcnt_dscnt 0x701
	v_mul_f64_e32 v[117:118], v[8:9], v[111:112]
	v_mul_f64_e32 v[111:112], v[10:11], v[111:112]
	s_wait_loadcnt_dscnt 0x600
	v_mul_f64_e32 v[105:106], v[73:74], v[123:124]
	v_mul_f64_e32 v[119:120], v[75:76], v[123:124]
	v_add_f64_e32 v[2:3], v[2:3], v[101:102]
	v_add_f64_e32 v[101:102], v[103:104], v[129:130]
	v_fma_f64 v[10:11], v[10:11], v[109:110], v[117:118]
	v_fma_f64 v[109:110], v[8:9], v[109:110], -v[111:112]
	v_fma_f64 v[75:76], v[75:76], v[121:122], v[105:106]
	v_fma_f64 v[73:74], v[73:74], v[121:122], -v[119:120]
	v_add_f64_e32 v[2:3], v[2:3], v[6:7]
	v_add_f64_e32 v[107:108], v[101:102], v[107:108]
	ds_load_b128 v[6:9], v1 offset:864
	ds_load_b128 v[101:104], v1 offset:880
	s_wait_loadcnt_dscnt 0x501
	v_mul_f64_e32 v[111:112], v[6:7], v[79:80]
	v_mul_f64_e32 v[79:80], v[8:9], v[79:80]
	s_wait_loadcnt_dscnt 0x400
	v_mul_f64_e32 v[105:106], v[101:102], v[83:84]
	v_mul_f64_e32 v[83:84], v[103:104], v[83:84]
	v_add_f64_e32 v[2:3], v[2:3], v[109:110]
	v_add_f64_e32 v[10:11], v[107:108], v[10:11]
	v_fma_f64 v[107:108], v[8:9], v[77:78], v[111:112]
	v_fma_f64 v[77:78], v[6:7], v[77:78], -v[79:80]
	v_fma_f64 v[103:104], v[103:104], v[81:82], v[105:106]
	v_fma_f64 v[81:82], v[101:102], v[81:82], -v[83:84]
	v_add_f64_e32 v[2:3], v[2:3], v[73:74]
	v_add_f64_e32 v[10:11], v[10:11], v[75:76]
	ds_load_b128 v[6:9], v1 offset:896
	ds_load_b128 v[73:76], v1 offset:912
	s_wait_loadcnt_dscnt 0x201
	v_mul_f64_e32 v[79:80], v[6:7], v[87:88]
	v_mul_f64_e32 v[87:88], v[8:9], v[87:88]
	s_wait_dscnt 0x0
	v_mul_f64_e32 v[83:84], v[75:76], v[91:92]
	v_add_f64_e32 v[2:3], v[2:3], v[77:78]
	v_add_f64_e32 v[10:11], v[10:11], v[107:108]
	v_mul_f64_e32 v[77:78], v[73:74], v[91:92]
	v_fma_f64 v[79:80], v[8:9], v[85:86], v[79:80]
	v_fma_f64 v[85:86], v[6:7], v[85:86], -v[87:88]
	v_fma_f64 v[73:74], v[73:74], v[89:90], -v[83:84]
	v_add_f64_e32 v[81:82], v[2:3], v[81:82]
	v_add_f64_e32 v[10:11], v[10:11], v[103:104]
	ds_load_b128 v[6:9], v1 offset:928
	ds_load_b128 v[1:4], v1 offset:944
	v_fma_f64 v[75:76], v[75:76], v[89:90], v[77:78]
	s_wait_loadcnt_dscnt 0x101
	v_mul_f64_e32 v[87:88], v[6:7], v[95:96]
	v_mul_f64_e32 v[91:92], v[8:9], v[95:96]
	v_add_f64_e32 v[77:78], v[81:82], v[85:86]
	v_add_f64_e32 v[10:11], v[10:11], v[79:80]
	s_wait_loadcnt_dscnt 0x0
	v_mul_f64_e32 v[79:80], v[1:2], v[99:100]
	v_mul_f64_e32 v[81:82], v[3:4], v[99:100]
	v_fma_f64 v[8:9], v[8:9], v[93:94], v[87:88]
	v_fma_f64 v[6:7], v[6:7], v[93:94], -v[91:92]
	v_add_f64_e32 v[73:74], v[77:78], v[73:74]
	v_add_f64_e32 v[10:11], v[10:11], v[75:76]
	v_fma_f64 v[3:4], v[3:4], v[97:98], v[79:80]
	v_fma_f64 v[1:2], v[1:2], v[97:98], -v[81:82]
	s_delay_alu instid0(VALU_DEP_4) | instskip(NEXT) | instid1(VALU_DEP_4)
	v_add_f64_e32 v[6:7], v[73:74], v[6:7]
	v_add_f64_e32 v[8:9], v[10:11], v[8:9]
	s_delay_alu instid0(VALU_DEP_2) | instskip(NEXT) | instid1(VALU_DEP_2)
	v_add_f64_e32 v[1:2], v[6:7], v[1:2]
	v_add_f64_e32 v[3:4], v[8:9], v[3:4]
	s_delay_alu instid0(VALU_DEP_2) | instskip(NEXT) | instid1(VALU_DEP_2)
	v_add_f64_e64 v[1:2], v[113:114], -v[1:2]
	v_add_f64_e64 v[3:4], v[115:116], -v[3:4]
	scratch_store_b128 off, v[1:4], off offset:32
	v_cmpx_ne_u32_e32 0, v0
	s_cbranch_execz .LBB93_193
; %bb.192:
	scratch_load_b128 v[0:3], off, off offset:16
	v_mov_b32_e32 v6, 0
	s_delay_alu instid0(VALU_DEP_1)
	v_dual_mov_b32 v7, v6 :: v_dual_mov_b32 v8, v6
	v_mov_b32_e32 v9, v6
	scratch_store_b128 off, v[6:9], off offset:16
	s_wait_loadcnt 0x0
	ds_store_b128 v5, v[0:3]
.LBB93_193:
	s_wait_alu 0xfffe
	s_or_b32 exec_lo, exec_lo, s0
	s_wait_storecnt_dscnt 0x0
	s_barrier_signal -1
	s_barrier_wait -1
	global_inv scope:SCOPE_SE
	s_clause 0x7
	scratch_load_b128 v[1:4], off, off offset:32
	scratch_load_b128 v[5:8], off, off offset:48
	scratch_load_b128 v[9:12], off, off offset:64
	scratch_load_b128 v[73:76], off, off offset:80
	scratch_load_b128 v[77:80], off, off offset:96
	scratch_load_b128 v[81:84], off, off offset:112
	scratch_load_b128 v[85:88], off, off offset:128
	scratch_load_b128 v[89:92], off, off offset:144
	v_mov_b32_e32 v0, 0
	s_and_b32 vcc_lo, exec_lo, s12
	ds_load_b128 v[93:96], v0 offset:496
	s_clause 0x1
	scratch_load_b128 v[97:100], off, off offset:160
	scratch_load_b128 v[101:104], off, off offset:16
	ds_load_b128 v[105:108], v0 offset:512
	scratch_load_b128 v[109:112], off, off offset:176
	s_wait_loadcnt_dscnt 0xa01
	v_mul_f64_e32 v[113:114], v[95:96], v[3:4]
	v_mul_f64_e32 v[3:4], v[93:94], v[3:4]
	s_delay_alu instid0(VALU_DEP_2) | instskip(NEXT) | instid1(VALU_DEP_2)
	v_fma_f64 v[119:120], v[93:94], v[1:2], -v[113:114]
	v_fma_f64 v[121:122], v[95:96], v[1:2], v[3:4]
	ds_load_b128 v[1:4], v0 offset:528
	s_wait_loadcnt_dscnt 0x901
	v_mul_f64_e32 v[117:118], v[105:106], v[7:8]
	v_mul_f64_e32 v[7:8], v[107:108], v[7:8]
	scratch_load_b128 v[93:96], off, off offset:192
	ds_load_b128 v[113:116], v0 offset:544
	s_wait_loadcnt_dscnt 0x901
	v_mul_f64_e32 v[123:124], v[1:2], v[11:12]
	v_mul_f64_e32 v[11:12], v[3:4], v[11:12]
	v_fma_f64 v[107:108], v[107:108], v[5:6], v[117:118]
	v_fma_f64 v[105:106], v[105:106], v[5:6], -v[7:8]
	v_add_f64_e32 v[117:118], 0, v[119:120]
	v_add_f64_e32 v[119:120], 0, v[121:122]
	scratch_load_b128 v[5:8], off, off offset:208
	v_fma_f64 v[123:124], v[3:4], v[9:10], v[123:124]
	v_fma_f64 v[125:126], v[1:2], v[9:10], -v[11:12]
	ds_load_b128 v[1:4], v0 offset:560
	s_wait_loadcnt_dscnt 0x901
	v_mul_f64_e32 v[121:122], v[113:114], v[75:76]
	v_mul_f64_e32 v[75:76], v[115:116], v[75:76]
	scratch_load_b128 v[9:12], off, off offset:224
	v_add_f64_e32 v[117:118], v[117:118], v[105:106]
	v_add_f64_e32 v[119:120], v[119:120], v[107:108]
	s_wait_loadcnt_dscnt 0x900
	v_mul_f64_e32 v[127:128], v[1:2], v[79:80]
	v_mul_f64_e32 v[79:80], v[3:4], v[79:80]
	ds_load_b128 v[105:108], v0 offset:576
	v_fma_f64 v[115:116], v[115:116], v[73:74], v[121:122]
	v_fma_f64 v[113:114], v[113:114], v[73:74], -v[75:76]
	scratch_load_b128 v[73:76], off, off offset:240
	v_add_f64_e32 v[117:118], v[117:118], v[125:126]
	v_add_f64_e32 v[119:120], v[119:120], v[123:124]
	v_fma_f64 v[123:124], v[3:4], v[77:78], v[127:128]
	v_fma_f64 v[125:126], v[1:2], v[77:78], -v[79:80]
	ds_load_b128 v[1:4], v0 offset:592
	s_wait_loadcnt_dscnt 0x901
	v_mul_f64_e32 v[121:122], v[105:106], v[83:84]
	v_mul_f64_e32 v[83:84], v[107:108], v[83:84]
	scratch_load_b128 v[77:80], off, off offset:256
	s_wait_loadcnt_dscnt 0x900
	v_mul_f64_e32 v[127:128], v[1:2], v[87:88]
	v_mul_f64_e32 v[87:88], v[3:4], v[87:88]
	v_add_f64_e32 v[117:118], v[117:118], v[113:114]
	v_add_f64_e32 v[119:120], v[119:120], v[115:116]
	ds_load_b128 v[113:116], v0 offset:608
	v_fma_f64 v[107:108], v[107:108], v[81:82], v[121:122]
	v_fma_f64 v[105:106], v[105:106], v[81:82], -v[83:84]
	scratch_load_b128 v[81:84], off, off offset:272
	v_add_f64_e32 v[117:118], v[117:118], v[125:126]
	v_add_f64_e32 v[119:120], v[119:120], v[123:124]
	v_fma_f64 v[123:124], v[3:4], v[85:86], v[127:128]
	v_fma_f64 v[125:126], v[1:2], v[85:86], -v[87:88]
	ds_load_b128 v[1:4], v0 offset:624
	s_wait_loadcnt_dscnt 0x901
	v_mul_f64_e32 v[121:122], v[113:114], v[91:92]
	v_mul_f64_e32 v[91:92], v[115:116], v[91:92]
	scratch_load_b128 v[85:88], off, off offset:288
	s_wait_loadcnt_dscnt 0x900
	v_mul_f64_e32 v[127:128], v[1:2], v[99:100]
	v_mul_f64_e32 v[99:100], v[3:4], v[99:100]
	v_add_f64_e32 v[117:118], v[117:118], v[105:106]
	v_add_f64_e32 v[119:120], v[119:120], v[107:108]
	ds_load_b128 v[105:108], v0 offset:640
	v_fma_f64 v[115:116], v[115:116], v[89:90], v[121:122]
	v_fma_f64 v[113:114], v[113:114], v[89:90], -v[91:92]
	scratch_load_b128 v[89:92], off, off offset:304
	v_add_f64_e32 v[117:118], v[117:118], v[125:126]
	v_add_f64_e32 v[119:120], v[119:120], v[123:124]
	v_fma_f64 v[125:126], v[3:4], v[97:98], v[127:128]
	v_fma_f64 v[127:128], v[1:2], v[97:98], -v[99:100]
	ds_load_b128 v[1:4], v0 offset:656
	s_wait_loadcnt_dscnt 0x801
	v_mul_f64_e32 v[121:122], v[105:106], v[111:112]
	v_mul_f64_e32 v[123:124], v[107:108], v[111:112]
	scratch_load_b128 v[97:100], off, off offset:320
	v_add_f64_e32 v[117:118], v[117:118], v[113:114]
	v_add_f64_e32 v[115:116], v[119:120], v[115:116]
	ds_load_b128 v[111:114], v0 offset:672
	v_fma_f64 v[121:122], v[107:108], v[109:110], v[121:122]
	v_fma_f64 v[109:110], v[105:106], v[109:110], -v[123:124]
	scratch_load_b128 v[105:108], off, off offset:336
	s_wait_loadcnt_dscnt 0x901
	v_mul_f64_e32 v[119:120], v[1:2], v[95:96]
	v_mul_f64_e32 v[95:96], v[3:4], v[95:96]
	v_add_f64_e32 v[117:118], v[117:118], v[127:128]
	v_add_f64_e32 v[115:116], v[115:116], v[125:126]
	s_delay_alu instid0(VALU_DEP_4) | instskip(NEXT) | instid1(VALU_DEP_4)
	v_fma_f64 v[119:120], v[3:4], v[93:94], v[119:120]
	v_fma_f64 v[125:126], v[1:2], v[93:94], -v[95:96]
	ds_load_b128 v[1:4], v0 offset:688
	s_wait_loadcnt_dscnt 0x801
	v_mul_f64_e32 v[123:124], v[111:112], v[7:8]
	v_mul_f64_e32 v[7:8], v[113:114], v[7:8]
	scratch_load_b128 v[93:96], off, off offset:352
	s_wait_loadcnt_dscnt 0x800
	v_mul_f64_e32 v[127:128], v[1:2], v[11:12]
	v_add_f64_e32 v[109:110], v[117:118], v[109:110]
	v_add_f64_e32 v[121:122], v[115:116], v[121:122]
	v_mul_f64_e32 v[11:12], v[3:4], v[11:12]
	ds_load_b128 v[115:118], v0 offset:704
	v_fma_f64 v[113:114], v[113:114], v[5:6], v[123:124]
	v_fma_f64 v[111:112], v[111:112], v[5:6], -v[7:8]
	scratch_load_b128 v[5:8], off, off offset:368
	v_fma_f64 v[123:124], v[3:4], v[9:10], v[127:128]
	v_add_f64_e32 v[109:110], v[109:110], v[125:126]
	v_add_f64_e32 v[119:120], v[121:122], v[119:120]
	v_fma_f64 v[125:126], v[1:2], v[9:10], -v[11:12]
	ds_load_b128 v[1:4], v0 offset:720
	s_wait_loadcnt_dscnt 0x801
	v_mul_f64_e32 v[121:122], v[115:116], v[75:76]
	v_mul_f64_e32 v[75:76], v[117:118], v[75:76]
	scratch_load_b128 v[9:12], off, off offset:384
	v_add_f64_e32 v[127:128], v[109:110], v[111:112]
	v_add_f64_e32 v[113:114], v[119:120], v[113:114]
	s_wait_loadcnt_dscnt 0x800
	v_mul_f64_e32 v[119:120], v[1:2], v[79:80]
	v_mul_f64_e32 v[79:80], v[3:4], v[79:80]
	v_fma_f64 v[117:118], v[117:118], v[73:74], v[121:122]
	v_fma_f64 v[115:116], v[115:116], v[73:74], -v[75:76]
	ds_load_b128 v[109:112], v0 offset:736
	scratch_load_b128 v[73:76], off, off offset:400
	v_add_f64_e32 v[121:122], v[127:128], v[125:126]
	v_add_f64_e32 v[113:114], v[113:114], v[123:124]
	v_fma_f64 v[119:120], v[3:4], v[77:78], v[119:120]
	v_fma_f64 v[125:126], v[1:2], v[77:78], -v[79:80]
	ds_load_b128 v[1:4], v0 offset:752
	s_wait_loadcnt_dscnt 0x801
	v_mul_f64_e32 v[123:124], v[109:110], v[83:84]
	v_mul_f64_e32 v[83:84], v[111:112], v[83:84]
	scratch_load_b128 v[77:80], off, off offset:416
	s_wait_loadcnt_dscnt 0x800
	v_mul_f64_e32 v[127:128], v[1:2], v[87:88]
	v_mul_f64_e32 v[87:88], v[3:4], v[87:88]
	v_add_f64_e32 v[121:122], v[121:122], v[115:116]
	v_add_f64_e32 v[117:118], v[113:114], v[117:118]
	ds_load_b128 v[113:116], v0 offset:768
	v_fma_f64 v[111:112], v[111:112], v[81:82], v[123:124]
	v_fma_f64 v[109:110], v[109:110], v[81:82], -v[83:84]
	scratch_load_b128 v[81:84], off, off offset:432
	v_fma_f64 v[123:124], v[3:4], v[85:86], v[127:128]
	v_add_f64_e32 v[121:122], v[121:122], v[125:126]
	v_add_f64_e32 v[117:118], v[117:118], v[119:120]
	v_fma_f64 v[125:126], v[1:2], v[85:86], -v[87:88]
	ds_load_b128 v[1:4], v0 offset:784
	s_wait_loadcnt_dscnt 0x801
	v_mul_f64_e32 v[119:120], v[113:114], v[91:92]
	v_mul_f64_e32 v[91:92], v[115:116], v[91:92]
	scratch_load_b128 v[85:88], off, off offset:448
	s_wait_loadcnt_dscnt 0x800
	v_mul_f64_e32 v[127:128], v[1:2], v[99:100]
	v_mul_f64_e32 v[99:100], v[3:4], v[99:100]
	v_add_f64_e32 v[121:122], v[121:122], v[109:110]
	v_add_f64_e32 v[117:118], v[117:118], v[111:112]
	ds_load_b128 v[109:112], v0 offset:800
	v_fma_f64 v[115:116], v[115:116], v[89:90], v[119:120]
	v_fma_f64 v[113:114], v[113:114], v[89:90], -v[91:92]
	scratch_load_b128 v[89:92], off, off offset:464
	v_add_f64_e32 v[119:120], v[121:122], v[125:126]
	v_add_f64_e32 v[117:118], v[117:118], v[123:124]
	v_fma_f64 v[123:124], v[3:4], v[97:98], v[127:128]
	v_fma_f64 v[125:126], v[1:2], v[97:98], -v[99:100]
	ds_load_b128 v[1:4], v0 offset:816
	s_wait_loadcnt_dscnt 0x801
	v_mul_f64_e32 v[121:122], v[109:110], v[107:108]
	v_mul_f64_e32 v[107:108], v[111:112], v[107:108]
	scratch_load_b128 v[97:100], off, off offset:480
	s_wait_loadcnt_dscnt 0x800
	v_mul_f64_e32 v[127:128], v[1:2], v[95:96]
	v_mul_f64_e32 v[95:96], v[3:4], v[95:96]
	v_add_f64_e32 v[119:120], v[119:120], v[113:114]
	v_add_f64_e32 v[117:118], v[117:118], v[115:116]
	ds_load_b128 v[113:116], v0 offset:832
	v_fma_f64 v[111:112], v[111:112], v[105:106], v[121:122]
	v_fma_f64 v[105:106], v[109:110], v[105:106], -v[107:108]
	v_fma_f64 v[121:122], v[1:2], v[93:94], -v[95:96]
	v_add_f64_e32 v[107:108], v[119:120], v[125:126]
	v_add_f64_e32 v[109:110], v[117:118], v[123:124]
	s_wait_loadcnt_dscnt 0x700
	v_mul_f64_e32 v[117:118], v[113:114], v[7:8]
	v_mul_f64_e32 v[7:8], v[115:116], v[7:8]
	v_fma_f64 v[119:120], v[3:4], v[93:94], v[127:128]
	ds_load_b128 v[1:4], v0 offset:848
	ds_load_b128 v[93:96], v0 offset:864
	v_add_f64_e32 v[105:106], v[107:108], v[105:106]
	v_add_f64_e32 v[107:108], v[109:110], v[111:112]
	s_wait_loadcnt_dscnt 0x601
	v_mul_f64_e32 v[109:110], v[1:2], v[11:12]
	v_mul_f64_e32 v[11:12], v[3:4], v[11:12]
	v_fma_f64 v[111:112], v[115:116], v[5:6], v[117:118]
	v_fma_f64 v[5:6], v[113:114], v[5:6], -v[7:8]
	v_add_f64_e32 v[7:8], v[105:106], v[121:122]
	v_add_f64_e32 v[105:106], v[107:108], v[119:120]
	s_wait_loadcnt_dscnt 0x500
	v_mul_f64_e32 v[107:108], v[93:94], v[75:76]
	v_mul_f64_e32 v[75:76], v[95:96], v[75:76]
	v_fma_f64 v[109:110], v[3:4], v[9:10], v[109:110]
	v_fma_f64 v[9:10], v[1:2], v[9:10], -v[11:12]
	v_add_f64_e32 v[11:12], v[7:8], v[5:6]
	v_add_f64_e32 v[105:106], v[105:106], v[111:112]
	ds_load_b128 v[1:4], v0 offset:880
	ds_load_b128 v[5:8], v0 offset:896
	v_fma_f64 v[95:96], v[95:96], v[73:74], v[107:108]
	v_fma_f64 v[73:74], v[93:94], v[73:74], -v[75:76]
	s_wait_loadcnt_dscnt 0x401
	v_mul_f64_e32 v[111:112], v[1:2], v[79:80]
	v_mul_f64_e32 v[79:80], v[3:4], v[79:80]
	s_wait_loadcnt_dscnt 0x300
	v_mul_f64_e32 v[75:76], v[5:6], v[83:84]
	v_mul_f64_e32 v[83:84], v[7:8], v[83:84]
	v_add_f64_e32 v[9:10], v[11:12], v[9:10]
	v_add_f64_e32 v[11:12], v[105:106], v[109:110]
	v_fma_f64 v[93:94], v[3:4], v[77:78], v[111:112]
	v_fma_f64 v[77:78], v[1:2], v[77:78], -v[79:80]
	v_fma_f64 v[7:8], v[7:8], v[81:82], v[75:76]
	v_fma_f64 v[5:6], v[5:6], v[81:82], -v[83:84]
	v_add_f64_e32 v[73:74], v[9:10], v[73:74]
	v_add_f64_e32 v[79:80], v[11:12], v[95:96]
	ds_load_b128 v[1:4], v0 offset:912
	ds_load_b128 v[9:12], v0 offset:928
	s_wait_loadcnt_dscnt 0x201
	v_mul_f64_e32 v[95:96], v[1:2], v[87:88]
	v_mul_f64_e32 v[87:88], v[3:4], v[87:88]
	v_add_f64_e32 v[73:74], v[73:74], v[77:78]
	v_add_f64_e32 v[75:76], v[79:80], v[93:94]
	s_wait_loadcnt_dscnt 0x100
	v_mul_f64_e32 v[77:78], v[9:10], v[91:92]
	v_mul_f64_e32 v[79:80], v[11:12], v[91:92]
	v_fma_f64 v[81:82], v[3:4], v[85:86], v[95:96]
	v_fma_f64 v[83:84], v[1:2], v[85:86], -v[87:88]
	ds_load_b128 v[1:4], v0 offset:944
	v_add_f64_e32 v[5:6], v[73:74], v[5:6]
	v_add_f64_e32 v[7:8], v[75:76], v[7:8]
	v_fma_f64 v[11:12], v[11:12], v[89:90], v[77:78]
	v_fma_f64 v[9:10], v[9:10], v[89:90], -v[79:80]
	s_wait_loadcnt_dscnt 0x0
	v_mul_f64_e32 v[73:74], v[1:2], v[99:100]
	v_mul_f64_e32 v[75:76], v[3:4], v[99:100]
	v_add_f64_e32 v[5:6], v[5:6], v[83:84]
	v_add_f64_e32 v[7:8], v[7:8], v[81:82]
	s_delay_alu instid0(VALU_DEP_4) | instskip(NEXT) | instid1(VALU_DEP_4)
	v_fma_f64 v[3:4], v[3:4], v[97:98], v[73:74]
	v_fma_f64 v[1:2], v[1:2], v[97:98], -v[75:76]
	s_delay_alu instid0(VALU_DEP_4) | instskip(NEXT) | instid1(VALU_DEP_4)
	v_add_f64_e32 v[5:6], v[5:6], v[9:10]
	v_add_f64_e32 v[7:8], v[7:8], v[11:12]
	s_delay_alu instid0(VALU_DEP_2) | instskip(NEXT) | instid1(VALU_DEP_2)
	v_add_f64_e32 v[1:2], v[5:6], v[1:2]
	v_add_f64_e32 v[3:4], v[7:8], v[3:4]
	s_delay_alu instid0(VALU_DEP_2) | instskip(NEXT) | instid1(VALU_DEP_2)
	v_add_f64_e64 v[1:2], v[101:102], -v[1:2]
	v_add_f64_e64 v[3:4], v[103:104], -v[3:4]
	scratch_store_b128 off, v[1:4], off offset:16
	s_wait_alu 0xfffe
	s_cbranch_vccz .LBB93_252
; %bb.194:
	global_load_b32 v0, v0, s[2:3] offset:112
	s_wait_loadcnt 0x0
	v_cmp_ne_u32_e32 vcc_lo, 29, v0
	s_cbranch_vccz .LBB93_196
; %bb.195:
	v_lshlrev_b32_e32 v0, 4, v0
	s_delay_alu instid0(VALU_DEP_1)
	v_add_nc_u32_e32 v8, 16, v0
	s_clause 0x1
	scratch_load_b128 v[0:3], v8, off offset:-16
	scratch_load_b128 v[4:7], off, s36
	s_wait_loadcnt 0x1
	scratch_store_b128 off, v[0:3], s36
	s_wait_loadcnt 0x0
	scratch_store_b128 v8, v[4:7], off offset:-16
.LBB93_196:
	v_mov_b32_e32 v0, 0
	global_load_b32 v1, v0, s[2:3] offset:108
	s_wait_loadcnt 0x0
	v_cmp_eq_u32_e32 vcc_lo, 28, v1
	s_cbranch_vccnz .LBB93_198
; %bb.197:
	v_lshlrev_b32_e32 v1, 4, v1
	s_delay_alu instid0(VALU_DEP_1)
	v_add_nc_u32_e32 v9, 16, v1
	s_clause 0x1
	scratch_load_b128 v[1:4], v9, off offset:-16
	scratch_load_b128 v[5:8], off, s20
	s_wait_loadcnt 0x1
	scratch_store_b128 off, v[1:4], s20
	s_wait_loadcnt 0x0
	scratch_store_b128 v9, v[5:8], off offset:-16
.LBB93_198:
	global_load_b32 v0, v0, s[2:3] offset:104
	s_wait_loadcnt 0x0
	v_cmp_eq_u32_e32 vcc_lo, 27, v0
	s_cbranch_vccnz .LBB93_200
; %bb.199:
	v_lshlrev_b32_e32 v0, 4, v0
	s_delay_alu instid0(VALU_DEP_1)
	v_add_nc_u32_e32 v8, 16, v0
	s_clause 0x1
	scratch_load_b128 v[0:3], v8, off offset:-16
	scratch_load_b128 v[4:7], off, s35
	s_wait_loadcnt 0x1
	scratch_store_b128 off, v[0:3], s35
	s_wait_loadcnt 0x0
	scratch_store_b128 v8, v[4:7], off offset:-16
.LBB93_200:
	v_mov_b32_e32 v0, 0
	global_load_b32 v1, v0, s[2:3] offset:100
	s_wait_loadcnt 0x0
	v_cmp_eq_u32_e32 vcc_lo, 26, v1
	s_cbranch_vccnz .LBB93_202
; %bb.201:
	v_lshlrev_b32_e32 v1, 4, v1
	s_delay_alu instid0(VALU_DEP_1)
	v_add_nc_u32_e32 v9, 16, v1
	s_clause 0x1
	scratch_load_b128 v[1:4], v9, off offset:-16
	scratch_load_b128 v[5:8], off, s19
	s_wait_loadcnt 0x1
	scratch_store_b128 off, v[1:4], s19
	s_wait_loadcnt 0x0
	scratch_store_b128 v9, v[5:8], off offset:-16
.LBB93_202:
	global_load_b32 v0, v0, s[2:3] offset:96
	s_wait_loadcnt 0x0
	v_cmp_eq_u32_e32 vcc_lo, 25, v0
	s_cbranch_vccnz .LBB93_204
; %bb.203:
	v_lshlrev_b32_e32 v0, 4, v0
	s_delay_alu instid0(VALU_DEP_1)
	v_add_nc_u32_e32 v8, 16, v0
	s_clause 0x1
	scratch_load_b128 v[0:3], v8, off offset:-16
	scratch_load_b128 v[4:7], off, s34
	s_wait_loadcnt 0x1
	scratch_store_b128 off, v[0:3], s34
	s_wait_loadcnt 0x0
	scratch_store_b128 v8, v[4:7], off offset:-16
.LBB93_204:
	;; [unrolled: 33-line block ×13, first 2 shown]
	v_mov_b32_e32 v0, 0
	global_load_b32 v1, v0, s[2:3] offset:4
	s_wait_loadcnt 0x0
	v_cmp_eq_u32_e32 vcc_lo, 2, v1
	s_cbranch_vccnz .LBB93_250
; %bb.249:
	v_lshlrev_b32_e32 v1, 4, v1
	s_delay_alu instid0(VALU_DEP_1)
	v_add_nc_u32_e32 v9, 16, v1
	s_clause 0x1
	scratch_load_b128 v[1:4], v9, off offset:-16
	scratch_load_b128 v[5:8], off, s38
	s_wait_loadcnt 0x1
	scratch_store_b128 off, v[1:4], s38
	s_wait_loadcnt 0x0
	scratch_store_b128 v9, v[5:8], off offset:-16
.LBB93_250:
	global_load_b32 v0, v0, s[2:3]
	s_wait_loadcnt 0x0
	v_cmp_eq_u32_e32 vcc_lo, 1, v0
	s_cbranch_vccnz .LBB93_252
; %bb.251:
	v_lshlrev_b32_e32 v0, 4, v0
	s_delay_alu instid0(VALU_DEP_1)
	v_add_nc_u32_e32 v8, 16, v0
	scratch_load_b128 v[0:3], v8, off offset:-16
	scratch_load_b128 v[4:7], off, off offset:16
	s_wait_loadcnt 0x1
	scratch_store_b128 off, v[0:3], off offset:16
	s_wait_loadcnt 0x0
	scratch_store_b128 v8, v[4:7], off offset:-16
.LBB93_252:
	scratch_load_b128 v[0:3], off, off offset:16
	s_wait_loadcnt 0x0
	flat_store_b128 v[13:14], v[0:3]
	scratch_load_b128 v[0:3], off, s38
	s_wait_loadcnt 0x0
	flat_store_b128 v[15:16], v[0:3]
	scratch_load_b128 v[0:3], off, s37
	;; [unrolled: 3-line block ×29, first 2 shown]
	s_wait_loadcnt 0x0
	flat_store_b128 v[71:72], v[0:3]
	s_nop 0
	s_sendmsg sendmsg(MSG_DEALLOC_VGPRS)
	s_endpgm
	.section	.rodata,"a",@progbits
	.p2align	6, 0x0
	.amdhsa_kernel _ZN9rocsolver6v33100L18getri_kernel_smallILi30E19rocblas_complex_numIdEPKPS3_EEvT1_iilPiilS8_bb
		.amdhsa_group_segment_fixed_size 968
		.amdhsa_private_segment_fixed_size 512
		.amdhsa_kernarg_size 60
		.amdhsa_user_sgpr_count 2
		.amdhsa_user_sgpr_dispatch_ptr 0
		.amdhsa_user_sgpr_queue_ptr 0
		.amdhsa_user_sgpr_kernarg_segment_ptr 1
		.amdhsa_user_sgpr_dispatch_id 0
		.amdhsa_user_sgpr_private_segment_size 0
		.amdhsa_wavefront_size32 1
		.amdhsa_uses_dynamic_stack 0
		.amdhsa_enable_private_segment 1
		.amdhsa_system_sgpr_workgroup_id_x 1
		.amdhsa_system_sgpr_workgroup_id_y 0
		.amdhsa_system_sgpr_workgroup_id_z 0
		.amdhsa_system_sgpr_workgroup_info 0
		.amdhsa_system_vgpr_workitem_id 0
		.amdhsa_next_free_vgpr 133
		.amdhsa_next_free_sgpr 42
		.amdhsa_reserve_vcc 1
		.amdhsa_float_round_mode_32 0
		.amdhsa_float_round_mode_16_64 0
		.amdhsa_float_denorm_mode_32 3
		.amdhsa_float_denorm_mode_16_64 3
		.amdhsa_fp16_overflow 0
		.amdhsa_workgroup_processor_mode 1
		.amdhsa_memory_ordered 1
		.amdhsa_forward_progress 1
		.amdhsa_inst_pref_size 255
		.amdhsa_round_robin_scheduling 0
		.amdhsa_exception_fp_ieee_invalid_op 0
		.amdhsa_exception_fp_denorm_src 0
		.amdhsa_exception_fp_ieee_div_zero 0
		.amdhsa_exception_fp_ieee_overflow 0
		.amdhsa_exception_fp_ieee_underflow 0
		.amdhsa_exception_fp_ieee_inexact 0
		.amdhsa_exception_int_div_zero 0
	.end_amdhsa_kernel
	.section	.text._ZN9rocsolver6v33100L18getri_kernel_smallILi30E19rocblas_complex_numIdEPKPS3_EEvT1_iilPiilS8_bb,"axG",@progbits,_ZN9rocsolver6v33100L18getri_kernel_smallILi30E19rocblas_complex_numIdEPKPS3_EEvT1_iilPiilS8_bb,comdat
.Lfunc_end93:
	.size	_ZN9rocsolver6v33100L18getri_kernel_smallILi30E19rocblas_complex_numIdEPKPS3_EEvT1_iilPiilS8_bb, .Lfunc_end93-_ZN9rocsolver6v33100L18getri_kernel_smallILi30E19rocblas_complex_numIdEPKPS3_EEvT1_iilPiilS8_bb
                                        ; -- End function
	.set _ZN9rocsolver6v33100L18getri_kernel_smallILi30E19rocblas_complex_numIdEPKPS3_EEvT1_iilPiilS8_bb.num_vgpr, 133
	.set _ZN9rocsolver6v33100L18getri_kernel_smallILi30E19rocblas_complex_numIdEPKPS3_EEvT1_iilPiilS8_bb.num_agpr, 0
	.set _ZN9rocsolver6v33100L18getri_kernel_smallILi30E19rocblas_complex_numIdEPKPS3_EEvT1_iilPiilS8_bb.numbered_sgpr, 42
	.set _ZN9rocsolver6v33100L18getri_kernel_smallILi30E19rocblas_complex_numIdEPKPS3_EEvT1_iilPiilS8_bb.num_named_barrier, 0
	.set _ZN9rocsolver6v33100L18getri_kernel_smallILi30E19rocblas_complex_numIdEPKPS3_EEvT1_iilPiilS8_bb.private_seg_size, 512
	.set _ZN9rocsolver6v33100L18getri_kernel_smallILi30E19rocblas_complex_numIdEPKPS3_EEvT1_iilPiilS8_bb.uses_vcc, 1
	.set _ZN9rocsolver6v33100L18getri_kernel_smallILi30E19rocblas_complex_numIdEPKPS3_EEvT1_iilPiilS8_bb.uses_flat_scratch, 1
	.set _ZN9rocsolver6v33100L18getri_kernel_smallILi30E19rocblas_complex_numIdEPKPS3_EEvT1_iilPiilS8_bb.has_dyn_sized_stack, 0
	.set _ZN9rocsolver6v33100L18getri_kernel_smallILi30E19rocblas_complex_numIdEPKPS3_EEvT1_iilPiilS8_bb.has_recursion, 0
	.set _ZN9rocsolver6v33100L18getri_kernel_smallILi30E19rocblas_complex_numIdEPKPS3_EEvT1_iilPiilS8_bb.has_indirect_call, 0
	.section	.AMDGPU.csdata,"",@progbits
; Kernel info:
; codeLenInByte = 44768
; TotalNumSgprs: 44
; NumVgprs: 133
; ScratchSize: 512
; MemoryBound: 0
; FloatMode: 240
; IeeeMode: 1
; LDSByteSize: 968 bytes/workgroup (compile time only)
; SGPRBlocks: 0
; VGPRBlocks: 16
; NumSGPRsForWavesPerEU: 44
; NumVGPRsForWavesPerEU: 133
; Occupancy: 10
; WaveLimiterHint : 1
; COMPUTE_PGM_RSRC2:SCRATCH_EN: 1
; COMPUTE_PGM_RSRC2:USER_SGPR: 2
; COMPUTE_PGM_RSRC2:TRAP_HANDLER: 0
; COMPUTE_PGM_RSRC2:TGID_X_EN: 1
; COMPUTE_PGM_RSRC2:TGID_Y_EN: 0
; COMPUTE_PGM_RSRC2:TGID_Z_EN: 0
; COMPUTE_PGM_RSRC2:TIDIG_COMP_CNT: 0
	.section	.text._ZN9rocsolver6v33100L18getri_kernel_smallILi31E19rocblas_complex_numIdEPKPS3_EEvT1_iilPiilS8_bb,"axG",@progbits,_ZN9rocsolver6v33100L18getri_kernel_smallILi31E19rocblas_complex_numIdEPKPS3_EEvT1_iilPiilS8_bb,comdat
	.globl	_ZN9rocsolver6v33100L18getri_kernel_smallILi31E19rocblas_complex_numIdEPKPS3_EEvT1_iilPiilS8_bb ; -- Begin function _ZN9rocsolver6v33100L18getri_kernel_smallILi31E19rocblas_complex_numIdEPKPS3_EEvT1_iilPiilS8_bb
	.p2align	8
	.type	_ZN9rocsolver6v33100L18getri_kernel_smallILi31E19rocblas_complex_numIdEPKPS3_EEvT1_iilPiilS8_bb,@function
_ZN9rocsolver6v33100L18getri_kernel_smallILi31E19rocblas_complex_numIdEPKPS3_EEvT1_iilPiilS8_bb: ; @_ZN9rocsolver6v33100L18getri_kernel_smallILi31E19rocblas_complex_numIdEPKPS3_EEvT1_iilPiilS8_bb
; %bb.0:
	s_mov_b32 s2, exec_lo
	v_cmpx_gt_u32_e32 31, v0
	s_cbranch_execz .LBB94_138
; %bb.1:
	s_clause 0x1
	s_load_b32 s13, s[0:1], 0x38
	s_load_b64 s[2:3], s[0:1], 0x0
	s_mov_b32 s8, ttmp9
	s_load_b128 s[4:7], s[0:1], 0x28
	s_wait_kmcnt 0x0
	s_bitcmp1_b32 s13, 8
	s_cselect_b32 s12, -1, 0
	s_ashr_i32 s9, ttmp9, 31
	s_delay_alu instid0(SALU_CYCLE_1) | instskip(NEXT) | instid1(SALU_CYCLE_1)
	s_lshl_b64 s[10:11], s[8:9], 3
	s_add_nc_u64 s[2:3], s[2:3], s[10:11]
	s_load_b64 s[10:11], s[2:3], 0x0
	s_bfe_u32 s2, s13, 0x10008
	s_delay_alu instid0(SALU_CYCLE_1)
	s_cmp_eq_u32 s2, 0
                                        ; implicit-def: $sgpr2_sgpr3
	s_cbranch_scc1 .LBB94_3
; %bb.2:
	s_load_b96 s[16:18], s[0:1], 0x18
	s_mul_u64 s[2:3], s[4:5], s[8:9]
	s_delay_alu instid0(SALU_CYCLE_1)
	s_lshl_b64 s[2:3], s[2:3], 2
	s_wait_kmcnt 0x0
	s_ashr_i32 s5, s18, 31
	s_mov_b32 s4, s18
	s_add_nc_u64 s[2:3], s[16:17], s[2:3]
	s_lshl_b64 s[4:5], s[4:5], 2
	s_delay_alu instid0(SALU_CYCLE_1)
	s_add_nc_u64 s[2:3], s[2:3], s[4:5]
.LBB94_3:
	s_clause 0x1
	s_load_b64 s[4:5], s[0:1], 0x8
	s_load_b32 s40, s[0:1], 0x38
	v_lshlrev_b32_e32 v75, 4, v0
	s_mov_b32 s39, 32
	s_mov_b32 s38, 48
	;; [unrolled: 1-line block ×3, first 2 shown]
	s_wait_kmcnt 0x0
	s_ashr_i32 s1, s4, 31
	s_mov_b32 s0, s4
	v_add3_u32 v5, s5, s5, v0
	s_lshl_b64 s[0:1], s[0:1], 4
	s_delay_alu instid0(SALU_CYCLE_1)
	s_add_nc_u64 s[0:1], s[10:11], s[0:1]
	s_ashr_i32 s11, s5, 31
	v_add_co_u32 v13, s4, s0, v75
	s_wait_alu 0xf1ff
	v_add_co_ci_u32_e64 v14, null, s1, 0, s4
	s_mov_b32 s10, s5
	v_ashrrev_i32_e32 v6, 31, v5
	s_lshl_b64 s[10:11], s[10:11], 4
	flat_load_b128 v[1:4], v[13:14]
	v_add_co_u32 v15, vcc_lo, v13, s10
	s_delay_alu instid0(VALU_DEP_1) | instskip(SKIP_3) | instid1(VALU_DEP_2)
	v_add_co_ci_u32_e64 v16, null, s11, v14, vcc_lo
	v_lshlrev_b64_e32 v[6:7], 4, v[5:6]
	v_add_nc_u32_e32 v5, s5, v5
	s_movk_i32 s4, 0x50
	v_add_co_u32 v17, vcc_lo, s0, v6
	s_wait_alu 0xfffd
	s_delay_alu instid0(VALU_DEP_3) | instskip(SKIP_1) | instid1(VALU_DEP_1)
	v_add_co_ci_u32_e64 v18, null, s1, v7, vcc_lo
	v_ashrrev_i32_e32 v6, 31, v5
	v_lshlrev_b64_e32 v[6:7], 4, v[5:6]
	v_add_nc_u32_e32 v5, s5, v5
	s_delay_alu instid0(VALU_DEP_2) | instskip(SKIP_1) | instid1(VALU_DEP_3)
	v_add_co_u32 v19, vcc_lo, s0, v6
	s_wait_alu 0xfffd
	v_add_co_ci_u32_e64 v20, null, s1, v7, vcc_lo
	s_delay_alu instid0(VALU_DEP_3) | instskip(NEXT) | instid1(VALU_DEP_1)
	v_ashrrev_i32_e32 v6, 31, v5
	v_lshlrev_b64_e32 v[6:7], 4, v[5:6]
	v_add_nc_u32_e32 v5, s5, v5
	s_delay_alu instid0(VALU_DEP_2) | instskip(SKIP_1) | instid1(VALU_DEP_3)
	v_add_co_u32 v21, vcc_lo, s0, v6
	s_wait_alu 0xfffd
	v_add_co_ci_u32_e64 v22, null, s1, v7, vcc_lo
	s_delay_alu instid0(VALU_DEP_3) | instskip(NEXT) | instid1(VALU_DEP_1)
	;; [unrolled: 8-line block ×20, first 2 shown]
	v_ashrrev_i32_e32 v6, 31, v5
	v_lshlrev_b64_e32 v[6:7], 4, v[5:6]
	s_wait_loadcnt_dscnt 0x0
	scratch_store_b128 off, v[1:4], off offset:16
	flat_load_b128 v[1:4], v[15:16]
	v_add_nc_u32_e32 v5, s5, v5
	v_add_co_u32 v59, vcc_lo, s0, v6
	s_wait_alu 0xfffd
	v_add_co_ci_u32_e64 v60, null, s1, v7, vcc_lo
	s_delay_alu instid0(VALU_DEP_3) | instskip(NEXT) | instid1(VALU_DEP_1)
	v_ashrrev_i32_e32 v6, 31, v5
	v_lshlrev_b64_e32 v[6:7], 4, v[5:6]
	v_add_nc_u32_e32 v5, s5, v5
	s_delay_alu instid0(VALU_DEP_2) | instskip(SKIP_1) | instid1(VALU_DEP_3)
	v_add_co_u32 v61, vcc_lo, s0, v6
	s_wait_alu 0xfffd
	v_add_co_ci_u32_e64 v62, null, s1, v7, vcc_lo
	s_delay_alu instid0(VALU_DEP_3) | instskip(NEXT) | instid1(VALU_DEP_1)
	v_ashrrev_i32_e32 v6, 31, v5
	v_lshlrev_b64_e32 v[6:7], 4, v[5:6]
	v_add_nc_u32_e32 v5, s5, v5
	s_delay_alu instid0(VALU_DEP_2) | instskip(SKIP_1) | instid1(VALU_DEP_3)
	;; [unrolled: 8-line block ×6, first 2 shown]
	v_add_co_u32 v71, vcc_lo, s0, v6
	s_wait_alu 0xfffd
	v_add_co_ci_u32_e64 v72, null, s1, v7, vcc_lo
	s_delay_alu instid0(VALU_DEP_3) | instskip(NEXT) | instid1(VALU_DEP_1)
	v_ashrrev_i32_e32 v6, 31, v5
	v_lshlrev_b64_e32 v[5:6], 4, v[5:6]
	s_delay_alu instid0(VALU_DEP_1) | instskip(SKIP_1) | instid1(VALU_DEP_2)
	v_add_co_u32 v73, vcc_lo, s0, v5
	s_wait_alu 0xfffd
	v_add_co_ci_u32_e64 v74, null, s1, v6, vcc_lo
	s_movk_i32 s0, 0x50
	s_movk_i32 s1, 0x60
	s_wait_alu 0xfffe
	s_add_co_i32 s24, s0, 16
	s_add_co_i32 s5, s1, 16
	s_movk_i32 s0, 0x70
	s_movk_i32 s1, 0x80
	s_wait_alu 0xfffe
	s_add_co_i32 s25, s0, 16
	s_add_co_i32 s10, s1, 16
	;; [unrolled: 5-line block ×13, first 2 shown]
	s_bitcmp0_b32 s40, 0
	s_mov_b32 s1, -1
	s_wait_loadcnt_dscnt 0x0
	scratch_store_b128 off, v[1:4], off offset:32
	flat_load_b128 v[1:4], v[17:18]
	s_wait_loadcnt_dscnt 0x0
	scratch_store_b128 off, v[1:4], off offset:48
	flat_load_b128 v[1:4], v[19:20]
	;; [unrolled: 3-line block ×29, first 2 shown]
	s_wait_loadcnt_dscnt 0x0
	scratch_store_b128 off, v[1:4], off offset:496
	s_cbranch_scc1 .LBB94_136
; %bb.4:
	v_cmp_eq_u32_e64 s0, 0, v0
	s_and_saveexec_b32 s1, s0
; %bb.5:
	v_mov_b32_e32 v1, 0
	ds_store_b32 v1, v1 offset:992
; %bb.6:
	s_wait_alu 0xfffe
	s_or_b32 exec_lo, exec_lo, s1
	s_wait_storecnt_dscnt 0x0
	s_barrier_signal -1
	s_barrier_wait -1
	global_inv scope:SCOPE_SE
	scratch_load_b128 v[1:4], v75, off offset:16
	s_wait_loadcnt 0x0
	v_cmp_eq_f64_e32 vcc_lo, 0, v[1:2]
	v_cmp_eq_f64_e64 s1, 0, v[3:4]
	s_and_b32 s1, vcc_lo, s1
	s_wait_alu 0xfffe
	s_and_saveexec_b32 s40, s1
	s_cbranch_execz .LBB94_10
; %bb.7:
	v_mov_b32_e32 v1, 0
	s_mov_b32 s41, 0
	ds_load_b32 v2, v1 offset:992
	s_wait_dscnt 0x0
	v_readfirstlane_b32 s1, v2
	v_add_nc_u32_e32 v2, 1, v0
	s_cmp_eq_u32 s1, 0
	s_delay_alu instid0(VALU_DEP_1) | instskip(SKIP_1) | instid1(SALU_CYCLE_1)
	v_cmp_gt_i32_e32 vcc_lo, s1, v2
	s_cselect_b32 s42, -1, 0
	s_or_b32 s42, s42, vcc_lo
	s_delay_alu instid0(SALU_CYCLE_1)
	s_and_b32 exec_lo, exec_lo, s42
	s_cbranch_execz .LBB94_10
; %bb.8:
	v_mov_b32_e32 v3, s1
.LBB94_9:                               ; =>This Inner Loop Header: Depth=1
	ds_cmpstore_rtn_b32 v3, v1, v2, v3 offset:992
	s_wait_dscnt 0x0
	v_cmp_ne_u32_e32 vcc_lo, 0, v3
	v_cmp_le_i32_e64 s1, v3, v2
	s_and_b32 s1, vcc_lo, s1
	s_wait_alu 0xfffe
	s_and_b32 s1, exec_lo, s1
	s_wait_alu 0xfffe
	s_or_b32 s41, s1, s41
	s_delay_alu instid0(SALU_CYCLE_1)
	s_and_not1_b32 exec_lo, exec_lo, s41
	s_cbranch_execnz .LBB94_9
.LBB94_10:
	s_or_b32 exec_lo, exec_lo, s40
	v_mov_b32_e32 v1, 0
	s_barrier_signal -1
	s_barrier_wait -1
	global_inv scope:SCOPE_SE
	ds_load_b32 v2, v1 offset:992
	s_and_saveexec_b32 s1, s0
	s_cbranch_execz .LBB94_12
; %bb.11:
	s_lshl_b64 s[40:41], s[8:9], 2
	s_delay_alu instid0(SALU_CYCLE_1)
	s_add_nc_u64 s[40:41], s[6:7], s[40:41]
	s_wait_dscnt 0x0
	global_store_b32 v1, v2, s[40:41]
.LBB94_12:
	s_wait_alu 0xfffe
	s_or_b32 exec_lo, exec_lo, s1
	s_wait_dscnt 0x0
	v_cmp_ne_u32_e32 vcc_lo, 0, v2
	s_mov_b32 s1, 0
	s_cbranch_vccnz .LBB94_136
; %bb.13:
	v_add_nc_u32_e32 v76, 16, v75
                                        ; implicit-def: $vgpr1_vgpr2
                                        ; implicit-def: $vgpr9_vgpr10
	scratch_load_b128 v[5:8], v76, off
	s_wait_loadcnt 0x0
	v_cmp_ngt_f64_e64 s1, |v[5:6]|, |v[7:8]|
	s_wait_alu 0xfffe
	s_and_saveexec_b32 s40, s1
	s_delay_alu instid0(SALU_CYCLE_1)
	s_xor_b32 s1, exec_lo, s40
	s_cbranch_execz .LBB94_15
; %bb.14:
	v_div_scale_f64 v[1:2], null, v[7:8], v[7:8], v[5:6]
	v_div_scale_f64 v[11:12], vcc_lo, v[5:6], v[7:8], v[5:6]
	s_delay_alu instid0(VALU_DEP_2) | instskip(NEXT) | instid1(TRANS32_DEP_1)
	v_rcp_f64_e32 v[3:4], v[1:2]
	v_fma_f64 v[9:10], -v[1:2], v[3:4], 1.0
	s_delay_alu instid0(VALU_DEP_1) | instskip(NEXT) | instid1(VALU_DEP_1)
	v_fma_f64 v[3:4], v[3:4], v[9:10], v[3:4]
	v_fma_f64 v[9:10], -v[1:2], v[3:4], 1.0
	s_delay_alu instid0(VALU_DEP_1) | instskip(NEXT) | instid1(VALU_DEP_1)
	v_fma_f64 v[3:4], v[3:4], v[9:10], v[3:4]
	v_mul_f64_e32 v[9:10], v[11:12], v[3:4]
	s_delay_alu instid0(VALU_DEP_1) | instskip(SKIP_1) | instid1(VALU_DEP_1)
	v_fma_f64 v[1:2], -v[1:2], v[9:10], v[11:12]
	s_wait_alu 0xfffd
	v_div_fmas_f64 v[1:2], v[1:2], v[3:4], v[9:10]
	s_delay_alu instid0(VALU_DEP_1) | instskip(NEXT) | instid1(VALU_DEP_1)
	v_div_fixup_f64 v[1:2], v[1:2], v[7:8], v[5:6]
	v_fma_f64 v[3:4], v[5:6], v[1:2], v[7:8]
	s_delay_alu instid0(VALU_DEP_1) | instskip(SKIP_1) | instid1(VALU_DEP_2)
	v_div_scale_f64 v[5:6], null, v[3:4], v[3:4], 1.0
	v_div_scale_f64 v[11:12], vcc_lo, 1.0, v[3:4], 1.0
	v_rcp_f64_e32 v[7:8], v[5:6]
	s_delay_alu instid0(TRANS32_DEP_1) | instskip(NEXT) | instid1(VALU_DEP_1)
	v_fma_f64 v[9:10], -v[5:6], v[7:8], 1.0
	v_fma_f64 v[7:8], v[7:8], v[9:10], v[7:8]
	s_delay_alu instid0(VALU_DEP_1) | instskip(NEXT) | instid1(VALU_DEP_1)
	v_fma_f64 v[9:10], -v[5:6], v[7:8], 1.0
	v_fma_f64 v[7:8], v[7:8], v[9:10], v[7:8]
	s_delay_alu instid0(VALU_DEP_1) | instskip(NEXT) | instid1(VALU_DEP_1)
	v_mul_f64_e32 v[9:10], v[11:12], v[7:8]
	v_fma_f64 v[5:6], -v[5:6], v[9:10], v[11:12]
	s_wait_alu 0xfffd
	s_delay_alu instid0(VALU_DEP_1) | instskip(NEXT) | instid1(VALU_DEP_1)
	v_div_fmas_f64 v[5:6], v[5:6], v[7:8], v[9:10]
	v_div_fixup_f64 v[3:4], v[5:6], v[3:4], 1.0
                                        ; implicit-def: $vgpr5_vgpr6
	s_delay_alu instid0(VALU_DEP_1) | instskip(SKIP_1) | instid1(VALU_DEP_2)
	v_mul_f64_e32 v[1:2], v[1:2], v[3:4]
	v_xor_b32_e32 v4, 0x80000000, v4
	v_xor_b32_e32 v10, 0x80000000, v2
	s_delay_alu instid0(VALU_DEP_3)
	v_mov_b32_e32 v9, v1
.LBB94_15:
	s_wait_alu 0xfffe
	s_and_not1_saveexec_b32 s1, s1
	s_cbranch_execz .LBB94_17
; %bb.16:
	v_div_scale_f64 v[1:2], null, v[5:6], v[5:6], v[7:8]
	v_div_scale_f64 v[11:12], vcc_lo, v[7:8], v[5:6], v[7:8]
	s_delay_alu instid0(VALU_DEP_2) | instskip(NEXT) | instid1(TRANS32_DEP_1)
	v_rcp_f64_e32 v[3:4], v[1:2]
	v_fma_f64 v[9:10], -v[1:2], v[3:4], 1.0
	s_delay_alu instid0(VALU_DEP_1) | instskip(NEXT) | instid1(VALU_DEP_1)
	v_fma_f64 v[3:4], v[3:4], v[9:10], v[3:4]
	v_fma_f64 v[9:10], -v[1:2], v[3:4], 1.0
	s_delay_alu instid0(VALU_DEP_1) | instskip(NEXT) | instid1(VALU_DEP_1)
	v_fma_f64 v[3:4], v[3:4], v[9:10], v[3:4]
	v_mul_f64_e32 v[9:10], v[11:12], v[3:4]
	s_delay_alu instid0(VALU_DEP_1) | instskip(SKIP_1) | instid1(VALU_DEP_1)
	v_fma_f64 v[1:2], -v[1:2], v[9:10], v[11:12]
	s_wait_alu 0xfffd
	v_div_fmas_f64 v[1:2], v[1:2], v[3:4], v[9:10]
	s_delay_alu instid0(VALU_DEP_1) | instskip(NEXT) | instid1(VALU_DEP_1)
	v_div_fixup_f64 v[3:4], v[1:2], v[5:6], v[7:8]
	v_fma_f64 v[1:2], v[7:8], v[3:4], v[5:6]
	s_delay_alu instid0(VALU_DEP_1) | instskip(NEXT) | instid1(VALU_DEP_1)
	v_div_scale_f64 v[5:6], null, v[1:2], v[1:2], 1.0
	v_rcp_f64_e32 v[7:8], v[5:6]
	s_delay_alu instid0(TRANS32_DEP_1) | instskip(NEXT) | instid1(VALU_DEP_1)
	v_fma_f64 v[9:10], -v[5:6], v[7:8], 1.0
	v_fma_f64 v[7:8], v[7:8], v[9:10], v[7:8]
	s_delay_alu instid0(VALU_DEP_1) | instskip(NEXT) | instid1(VALU_DEP_1)
	v_fma_f64 v[9:10], -v[5:6], v[7:8], 1.0
	v_fma_f64 v[7:8], v[7:8], v[9:10], v[7:8]
	v_div_scale_f64 v[9:10], vcc_lo, 1.0, v[1:2], 1.0
	s_delay_alu instid0(VALU_DEP_1) | instskip(NEXT) | instid1(VALU_DEP_1)
	v_mul_f64_e32 v[11:12], v[9:10], v[7:8]
	v_fma_f64 v[5:6], -v[5:6], v[11:12], v[9:10]
	s_wait_alu 0xfffd
	s_delay_alu instid0(VALU_DEP_1) | instskip(NEXT) | instid1(VALU_DEP_1)
	v_div_fmas_f64 v[5:6], v[5:6], v[7:8], v[11:12]
	v_div_fixup_f64 v[1:2], v[5:6], v[1:2], 1.0
	s_delay_alu instid0(VALU_DEP_1)
	v_mul_f64_e64 v[3:4], v[3:4], -v[1:2]
	v_xor_b32_e32 v10, 0x80000000, v2
	v_mov_b32_e32 v9, v1
.LBB94_17:
	s_wait_alu 0xfffe
	s_or_b32 exec_lo, exec_lo, s1
	scratch_store_b128 v76, v[1:4], off
	scratch_load_b128 v[77:80], off, s39
	v_xor_b32_e32 v12, 0x80000000, v4
	v_mov_b32_e32 v11, v3
	v_add_nc_u32_e32 v5, 0x1f0, v75
	ds_store_b128 v75, v[9:12]
	s_wait_loadcnt 0x0
	ds_store_b128 v75, v[77:80] offset:496
	s_wait_storecnt_dscnt 0x0
	s_barrier_signal -1
	s_barrier_wait -1
	global_inv scope:SCOPE_SE
	s_and_saveexec_b32 s1, s0
	s_cbranch_execz .LBB94_19
; %bb.18:
	scratch_load_b128 v[1:4], v76, off
	ds_load_b128 v[6:9], v5
	v_mov_b32_e32 v10, 0
	ds_load_b128 v[77:80], v10 offset:16
	s_wait_loadcnt_dscnt 0x1
	v_mul_f64_e32 v[10:11], v[6:7], v[3:4]
	v_mul_f64_e32 v[3:4], v[8:9], v[3:4]
	s_delay_alu instid0(VALU_DEP_2) | instskip(NEXT) | instid1(VALU_DEP_2)
	v_fma_f64 v[8:9], v[8:9], v[1:2], v[10:11]
	v_fma_f64 v[1:2], v[6:7], v[1:2], -v[3:4]
	s_delay_alu instid0(VALU_DEP_2) | instskip(NEXT) | instid1(VALU_DEP_2)
	v_add_f64_e32 v[3:4], 0, v[8:9]
	v_add_f64_e32 v[1:2], 0, v[1:2]
	s_wait_dscnt 0x0
	s_delay_alu instid0(VALU_DEP_2) | instskip(NEXT) | instid1(VALU_DEP_2)
	v_mul_f64_e32 v[6:7], v[3:4], v[79:80]
	v_mul_f64_e32 v[8:9], v[1:2], v[79:80]
	s_delay_alu instid0(VALU_DEP_2) | instskip(NEXT) | instid1(VALU_DEP_2)
	v_fma_f64 v[1:2], v[1:2], v[77:78], -v[6:7]
	v_fma_f64 v[3:4], v[3:4], v[77:78], v[8:9]
	scratch_store_b128 off, v[1:4], off offset:32
.LBB94_19:
	s_wait_alu 0xfffe
	s_or_b32 exec_lo, exec_lo, s1
	s_wait_loadcnt 0x0
	s_wait_storecnt 0x0
	s_barrier_signal -1
	s_barrier_wait -1
	global_inv scope:SCOPE_SE
	scratch_load_b128 v[1:4], off, s38
	s_mov_b32 s1, exec_lo
	s_wait_loadcnt 0x0
	ds_store_b128 v5, v[1:4]
	s_wait_dscnt 0x0
	s_barrier_signal -1
	s_barrier_wait -1
	global_inv scope:SCOPE_SE
	v_cmpx_gt_u32_e32 2, v0
	s_cbranch_execz .LBB94_23
; %bb.20:
	scratch_load_b128 v[1:4], v76, off
	ds_load_b128 v[6:9], v5
	s_wait_loadcnt_dscnt 0x0
	v_mul_f64_e32 v[10:11], v[8:9], v[3:4]
	v_mul_f64_e32 v[3:4], v[6:7], v[3:4]
	s_delay_alu instid0(VALU_DEP_2) | instskip(NEXT) | instid1(VALU_DEP_2)
	v_fma_f64 v[6:7], v[6:7], v[1:2], -v[10:11]
	v_fma_f64 v[3:4], v[8:9], v[1:2], v[3:4]
	s_delay_alu instid0(VALU_DEP_2) | instskip(NEXT) | instid1(VALU_DEP_2)
	v_add_f64_e32 v[1:2], 0, v[6:7]
	v_add_f64_e32 v[3:4], 0, v[3:4]
	s_and_saveexec_b32 s40, s0
	s_cbranch_execz .LBB94_22
; %bb.21:
	scratch_load_b128 v[6:9], off, off offset:32
	v_mov_b32_e32 v10, 0
	ds_load_b128 v[77:80], v10 offset:512
	s_wait_loadcnt_dscnt 0x0
	v_mul_f64_e32 v[10:11], v[77:78], v[8:9]
	v_mul_f64_e32 v[8:9], v[79:80], v[8:9]
	s_delay_alu instid0(VALU_DEP_2) | instskip(NEXT) | instid1(VALU_DEP_2)
	v_fma_f64 v[10:11], v[79:80], v[6:7], v[10:11]
	v_fma_f64 v[6:7], v[77:78], v[6:7], -v[8:9]
	s_delay_alu instid0(VALU_DEP_2) | instskip(NEXT) | instid1(VALU_DEP_2)
	v_add_f64_e32 v[3:4], v[3:4], v[10:11]
	v_add_f64_e32 v[1:2], v[1:2], v[6:7]
.LBB94_22:
	s_or_b32 exec_lo, exec_lo, s40
	v_mov_b32_e32 v6, 0
	ds_load_b128 v[6:9], v6 offset:32
	s_wait_dscnt 0x0
	v_mul_f64_e32 v[10:11], v[3:4], v[8:9]
	v_mul_f64_e32 v[8:9], v[1:2], v[8:9]
	s_delay_alu instid0(VALU_DEP_2) | instskip(NEXT) | instid1(VALU_DEP_2)
	v_fma_f64 v[1:2], v[1:2], v[6:7], -v[10:11]
	v_fma_f64 v[3:4], v[3:4], v[6:7], v[8:9]
	scratch_store_b128 off, v[1:4], off offset:48
.LBB94_23:
	s_wait_alu 0xfffe
	s_or_b32 exec_lo, exec_lo, s1
	s_wait_loadcnt 0x0
	s_wait_storecnt 0x0
	s_barrier_signal -1
	s_barrier_wait -1
	global_inv scope:SCOPE_SE
	scratch_load_b128 v[1:4], off, s23
	v_add_nc_u32_e32 v6, -1, v0
	s_mov_b32 s0, exec_lo
	s_wait_loadcnt 0x0
	ds_store_b128 v5, v[1:4]
	s_wait_dscnt 0x0
	s_barrier_signal -1
	s_barrier_wait -1
	global_inv scope:SCOPE_SE
	v_cmpx_gt_u32_e32 3, v0
	s_cbranch_execz .LBB94_27
; %bb.24:
	v_dual_mov_b32 v1, 0 :: v_dual_add_nc_u32 v8, 0x1f0, v75
	v_mov_b32_e32 v3, 0
	v_dual_mov_b32 v2, 0 :: v_dual_add_nc_u32 v7, -1, v0
	v_mov_b32_e32 v4, 0
	v_or_b32_e32 v9, 8, v76
	s_mov_b32 s1, 0
.LBB94_25:                              ; =>This Inner Loop Header: Depth=1
	scratch_load_b128 v[77:80], v9, off offset:-8
	ds_load_b128 v[81:84], v8
	v_add_nc_u32_e32 v7, 1, v7
	v_add_nc_u32_e32 v8, 16, v8
	v_add_nc_u32_e32 v9, 16, v9
	s_delay_alu instid0(VALU_DEP_3)
	v_cmp_lt_u32_e32 vcc_lo, 1, v7
	s_wait_alu 0xfffe
	s_or_b32 s1, vcc_lo, s1
	s_wait_loadcnt_dscnt 0x0
	v_mul_f64_e32 v[10:11], v[83:84], v[79:80]
	v_mul_f64_e32 v[79:80], v[81:82], v[79:80]
	s_delay_alu instid0(VALU_DEP_2) | instskip(NEXT) | instid1(VALU_DEP_2)
	v_fma_f64 v[10:11], v[81:82], v[77:78], -v[10:11]
	v_fma_f64 v[77:78], v[83:84], v[77:78], v[79:80]
	s_delay_alu instid0(VALU_DEP_2) | instskip(NEXT) | instid1(VALU_DEP_2)
	v_add_f64_e32 v[3:4], v[3:4], v[10:11]
	v_add_f64_e32 v[1:2], v[1:2], v[77:78]
	s_wait_alu 0xfffe
	s_and_not1_b32 exec_lo, exec_lo, s1
	s_cbranch_execnz .LBB94_25
; %bb.26:
	s_or_b32 exec_lo, exec_lo, s1
	v_mov_b32_e32 v7, 0
	ds_load_b128 v[7:10], v7 offset:48
	s_wait_dscnt 0x0
	v_mul_f64_e32 v[11:12], v[1:2], v[9:10]
	v_mul_f64_e32 v[77:78], v[3:4], v[9:10]
	s_delay_alu instid0(VALU_DEP_2) | instskip(NEXT) | instid1(VALU_DEP_2)
	v_fma_f64 v[9:10], v[3:4], v[7:8], -v[11:12]
	v_fma_f64 v[11:12], v[1:2], v[7:8], v[77:78]
	scratch_store_b128 off, v[9:12], off offset:64
.LBB94_27:
	s_wait_alu 0xfffe
	s_or_b32 exec_lo, exec_lo, s0
	s_wait_loadcnt 0x0
	s_wait_storecnt 0x0
	s_barrier_signal -1
	s_barrier_wait -1
	global_inv scope:SCOPE_SE
	scratch_load_b128 v[1:4], off, s4
	s_mov_b32 s0, exec_lo
	s_wait_loadcnt 0x0
	ds_store_b128 v5, v[1:4]
	s_wait_dscnt 0x0
	s_barrier_signal -1
	s_barrier_wait -1
	global_inv scope:SCOPE_SE
	v_cmpx_gt_u32_e32 4, v0
	s_cbranch_execz .LBB94_31
; %bb.28:
	v_dual_mov_b32 v1, 0 :: v_dual_add_nc_u32 v8, 0x1f0, v75
	v_mov_b32_e32 v3, 0
	v_dual_mov_b32 v2, 0 :: v_dual_add_nc_u32 v7, -1, v0
	v_mov_b32_e32 v4, 0
	v_or_b32_e32 v9, 8, v76
	s_mov_b32 s1, 0
.LBB94_29:                              ; =>This Inner Loop Header: Depth=1
	scratch_load_b128 v[77:80], v9, off offset:-8
	ds_load_b128 v[81:84], v8
	v_add_nc_u32_e32 v7, 1, v7
	v_add_nc_u32_e32 v8, 16, v8
	v_add_nc_u32_e32 v9, 16, v9
	s_delay_alu instid0(VALU_DEP_3)
	v_cmp_lt_u32_e32 vcc_lo, 2, v7
	s_wait_alu 0xfffe
	s_or_b32 s1, vcc_lo, s1
	s_wait_loadcnt_dscnt 0x0
	v_mul_f64_e32 v[10:11], v[83:84], v[79:80]
	v_mul_f64_e32 v[79:80], v[81:82], v[79:80]
	s_delay_alu instid0(VALU_DEP_2) | instskip(NEXT) | instid1(VALU_DEP_2)
	v_fma_f64 v[10:11], v[81:82], v[77:78], -v[10:11]
	v_fma_f64 v[77:78], v[83:84], v[77:78], v[79:80]
	s_delay_alu instid0(VALU_DEP_2) | instskip(NEXT) | instid1(VALU_DEP_2)
	v_add_f64_e32 v[3:4], v[3:4], v[10:11]
	v_add_f64_e32 v[1:2], v[1:2], v[77:78]
	s_wait_alu 0xfffe
	s_and_not1_b32 exec_lo, exec_lo, s1
	s_cbranch_execnz .LBB94_29
; %bb.30:
	s_or_b32 exec_lo, exec_lo, s1
	v_mov_b32_e32 v7, 0
	ds_load_b128 v[7:10], v7 offset:64
	s_wait_dscnt 0x0
	v_mul_f64_e32 v[11:12], v[1:2], v[9:10]
	v_mul_f64_e32 v[77:78], v[3:4], v[9:10]
	s_delay_alu instid0(VALU_DEP_2) | instskip(NEXT) | instid1(VALU_DEP_2)
	v_fma_f64 v[9:10], v[3:4], v[7:8], -v[11:12]
	v_fma_f64 v[11:12], v[1:2], v[7:8], v[77:78]
	scratch_store_b128 off, v[9:12], off offset:80
.LBB94_31:
	s_wait_alu 0xfffe
	s_or_b32 exec_lo, exec_lo, s0
	s_wait_loadcnt 0x0
	s_wait_storecnt 0x0
	s_barrier_signal -1
	s_barrier_wait -1
	global_inv scope:SCOPE_SE
	scratch_load_b128 v[1:4], off, s24
	;; [unrolled: 58-line block ×19, first 2 shown]
	s_mov_b32 s0, exec_lo
	s_wait_loadcnt 0x0
	ds_store_b128 v5, v[1:4]
	s_wait_dscnt 0x0
	s_barrier_signal -1
	s_barrier_wait -1
	global_inv scope:SCOPE_SE
	v_cmpx_gt_u32_e32 22, v0
	s_cbranch_execz .LBB94_103
; %bb.100:
	v_dual_mov_b32 v1, 0 :: v_dual_add_nc_u32 v8, 0x1f0, v75
	v_mov_b32_e32 v3, 0
	v_dual_mov_b32 v2, 0 :: v_dual_add_nc_u32 v7, -1, v0
	v_mov_b32_e32 v4, 0
	v_or_b32_e32 v9, 8, v76
	s_mov_b32 s1, 0
.LBB94_101:                             ; =>This Inner Loop Header: Depth=1
	scratch_load_b128 v[77:80], v9, off offset:-8
	ds_load_b128 v[81:84], v8
	v_add_nc_u32_e32 v7, 1, v7
	v_add_nc_u32_e32 v8, 16, v8
	v_add_nc_u32_e32 v9, 16, v9
	s_delay_alu instid0(VALU_DEP_3)
	v_cmp_lt_u32_e32 vcc_lo, 20, v7
	s_wait_alu 0xfffe
	s_or_b32 s1, vcc_lo, s1
	s_wait_loadcnt_dscnt 0x0
	v_mul_f64_e32 v[10:11], v[83:84], v[79:80]
	v_mul_f64_e32 v[79:80], v[81:82], v[79:80]
	s_delay_alu instid0(VALU_DEP_2) | instskip(NEXT) | instid1(VALU_DEP_2)
	v_fma_f64 v[10:11], v[81:82], v[77:78], -v[10:11]
	v_fma_f64 v[77:78], v[83:84], v[77:78], v[79:80]
	s_delay_alu instid0(VALU_DEP_2) | instskip(NEXT) | instid1(VALU_DEP_2)
	v_add_f64_e32 v[3:4], v[3:4], v[10:11]
	v_add_f64_e32 v[1:2], v[1:2], v[77:78]
	s_wait_alu 0xfffe
	s_and_not1_b32 exec_lo, exec_lo, s1
	s_cbranch_execnz .LBB94_101
; %bb.102:
	s_or_b32 exec_lo, exec_lo, s1
	v_mov_b32_e32 v7, 0
	ds_load_b128 v[7:10], v7 offset:352
	s_wait_dscnt 0x0
	v_mul_f64_e32 v[11:12], v[1:2], v[9:10]
	v_mul_f64_e32 v[77:78], v[3:4], v[9:10]
	s_delay_alu instid0(VALU_DEP_2) | instskip(NEXT) | instid1(VALU_DEP_2)
	v_fma_f64 v[9:10], v[3:4], v[7:8], -v[11:12]
	v_fma_f64 v[11:12], v[1:2], v[7:8], v[77:78]
	scratch_store_b128 off, v[9:12], off offset:368
.LBB94_103:
	s_wait_alu 0xfffe
	s_or_b32 exec_lo, exec_lo, s0
	s_wait_loadcnt 0x0
	s_wait_storecnt 0x0
	s_barrier_signal -1
	s_barrier_wait -1
	global_inv scope:SCOPE_SE
	scratch_load_b128 v[1:4], off, s34
	s_mov_b32 s0, exec_lo
	s_wait_loadcnt 0x0
	ds_store_b128 v5, v[1:4]
	s_wait_dscnt 0x0
	s_barrier_signal -1
	s_barrier_wait -1
	global_inv scope:SCOPE_SE
	v_cmpx_gt_u32_e32 23, v0
	s_cbranch_execz .LBB94_107
; %bb.104:
	v_dual_mov_b32 v1, 0 :: v_dual_add_nc_u32 v8, 0x1f0, v75
	v_mov_b32_e32 v3, 0
	v_dual_mov_b32 v2, 0 :: v_dual_add_nc_u32 v7, -1, v0
	v_mov_b32_e32 v4, 0
	v_or_b32_e32 v9, 8, v76
	s_mov_b32 s1, 0
.LBB94_105:                             ; =>This Inner Loop Header: Depth=1
	scratch_load_b128 v[77:80], v9, off offset:-8
	ds_load_b128 v[81:84], v8
	v_add_nc_u32_e32 v7, 1, v7
	v_add_nc_u32_e32 v8, 16, v8
	v_add_nc_u32_e32 v9, 16, v9
	s_delay_alu instid0(VALU_DEP_3)
	v_cmp_lt_u32_e32 vcc_lo, 21, v7
	s_wait_alu 0xfffe
	s_or_b32 s1, vcc_lo, s1
	s_wait_loadcnt_dscnt 0x0
	v_mul_f64_e32 v[10:11], v[83:84], v[79:80]
	v_mul_f64_e32 v[79:80], v[81:82], v[79:80]
	s_delay_alu instid0(VALU_DEP_2) | instskip(NEXT) | instid1(VALU_DEP_2)
	v_fma_f64 v[10:11], v[81:82], v[77:78], -v[10:11]
	v_fma_f64 v[77:78], v[83:84], v[77:78], v[79:80]
	s_delay_alu instid0(VALU_DEP_2) | instskip(NEXT) | instid1(VALU_DEP_2)
	v_add_f64_e32 v[3:4], v[3:4], v[10:11]
	v_add_f64_e32 v[1:2], v[1:2], v[77:78]
	s_wait_alu 0xfffe
	s_and_not1_b32 exec_lo, exec_lo, s1
	s_cbranch_execnz .LBB94_105
; %bb.106:
	s_or_b32 exec_lo, exec_lo, s1
	v_mov_b32_e32 v7, 0
	ds_load_b128 v[7:10], v7 offset:368
	s_wait_dscnt 0x0
	v_mul_f64_e32 v[11:12], v[1:2], v[9:10]
	v_mul_f64_e32 v[77:78], v[3:4], v[9:10]
	s_delay_alu instid0(VALU_DEP_2) | instskip(NEXT) | instid1(VALU_DEP_2)
	v_fma_f64 v[9:10], v[3:4], v[7:8], -v[11:12]
	v_fma_f64 v[11:12], v[1:2], v[7:8], v[77:78]
	scratch_store_b128 off, v[9:12], off offset:384
.LBB94_107:
	s_wait_alu 0xfffe
	s_or_b32 exec_lo, exec_lo, s0
	s_wait_loadcnt 0x0
	s_wait_storecnt 0x0
	s_barrier_signal -1
	s_barrier_wait -1
	global_inv scope:SCOPE_SE
	scratch_load_b128 v[1:4], off, s19
	;; [unrolled: 58-line block ×8, first 2 shown]
	s_mov_b32 s0, exec_lo
	s_wait_loadcnt 0x0
	ds_store_b128 v5, v[1:4]
	s_wait_dscnt 0x0
	s_barrier_signal -1
	s_barrier_wait -1
	global_inv scope:SCOPE_SE
	v_cmpx_ne_u32_e32 30, v0
	s_cbranch_execz .LBB94_135
; %bb.132:
	v_mov_b32_e32 v1, 0
	v_dual_mov_b32 v2, 0 :: v_dual_mov_b32 v3, 0
	v_mov_b32_e32 v4, 0
	v_or_b32_e32 v7, 8, v76
	s_mov_b32 s1, 0
.LBB94_133:                             ; =>This Inner Loop Header: Depth=1
	scratch_load_b128 v[8:11], v7, off offset:-8
	ds_load_b128 v[75:78], v5
	v_add_nc_u32_e32 v6, 1, v6
	v_add_nc_u32_e32 v5, 16, v5
	;; [unrolled: 1-line block ×3, first 2 shown]
	s_delay_alu instid0(VALU_DEP_3)
	v_cmp_lt_u32_e32 vcc_lo, 28, v6
	s_wait_alu 0xfffe
	s_or_b32 s1, vcc_lo, s1
	s_wait_loadcnt_dscnt 0x0
	v_mul_f64_e32 v[79:80], v[77:78], v[10:11]
	v_mul_f64_e32 v[10:11], v[75:76], v[10:11]
	s_delay_alu instid0(VALU_DEP_2) | instskip(NEXT) | instid1(VALU_DEP_2)
	v_fma_f64 v[75:76], v[75:76], v[8:9], -v[79:80]
	v_fma_f64 v[8:9], v[77:78], v[8:9], v[10:11]
	s_delay_alu instid0(VALU_DEP_2) | instskip(NEXT) | instid1(VALU_DEP_2)
	v_add_f64_e32 v[3:4], v[3:4], v[75:76]
	v_add_f64_e32 v[1:2], v[1:2], v[8:9]
	s_wait_alu 0xfffe
	s_and_not1_b32 exec_lo, exec_lo, s1
	s_cbranch_execnz .LBB94_133
; %bb.134:
	s_or_b32 exec_lo, exec_lo, s1
	v_mov_b32_e32 v5, 0
	ds_load_b128 v[5:8], v5 offset:480
	s_wait_dscnt 0x0
	v_mul_f64_e32 v[9:10], v[1:2], v[7:8]
	v_mul_f64_e32 v[7:8], v[3:4], v[7:8]
	s_delay_alu instid0(VALU_DEP_2) | instskip(NEXT) | instid1(VALU_DEP_2)
	v_fma_f64 v[3:4], v[3:4], v[5:6], -v[9:10]
	v_fma_f64 v[5:6], v[1:2], v[5:6], v[7:8]
	scratch_store_b128 off, v[3:6], off offset:496
.LBB94_135:
	s_wait_alu 0xfffe
	s_or_b32 exec_lo, exec_lo, s0
	s_mov_b32 s1, -1
	s_wait_loadcnt 0x0
	s_wait_storecnt 0x0
	s_barrier_signal -1
	s_barrier_wait -1
	global_inv scope:SCOPE_SE
.LBB94_136:
	s_wait_alu 0xfffe
	s_and_b32 vcc_lo, exec_lo, s1
	s_wait_alu 0xfffe
	s_cbranch_vccz .LBB94_138
; %bb.137:
	v_mov_b32_e32 v1, 0
	s_lshl_b64 s[0:1], s[8:9], 2
	s_wait_alu 0xfffe
	s_add_nc_u64 s[0:1], s[6:7], s[0:1]
	global_load_b32 v1, v1, s[0:1]
	s_wait_loadcnt 0x0
	v_cmp_ne_u32_e32 vcc_lo, 0, v1
	s_cbranch_vccz .LBB94_139
.LBB94_138:
	s_nop 0
	s_sendmsg sendmsg(MSG_DEALLOC_VGPRS)
	s_endpgm
.LBB94_139:
	v_lshl_add_u32 v5, v0, 4, 0x1f0
	s_mov_b32 s0, exec_lo
	v_cmpx_eq_u32_e32 30, v0
	s_cbranch_execz .LBB94_141
; %bb.140:
	scratch_load_b128 v[1:4], off, s37
	v_mov_b32_e32 v6, 0
	s_delay_alu instid0(VALU_DEP_1)
	v_dual_mov_b32 v7, v6 :: v_dual_mov_b32 v8, v6
	v_mov_b32_e32 v9, v6
	scratch_store_b128 off, v[6:9], off offset:480
	s_wait_loadcnt 0x0
	ds_store_b128 v5, v[1:4]
.LBB94_141:
	s_wait_alu 0xfffe
	s_or_b32 exec_lo, exec_lo, s0
	s_wait_storecnt_dscnt 0x0
	s_barrier_signal -1
	s_barrier_wait -1
	global_inv scope:SCOPE_SE
	s_clause 0x1
	scratch_load_b128 v[6:9], off, off offset:496
	scratch_load_b128 v[75:78], off, off offset:480
	v_mov_b32_e32 v1, 0
	s_mov_b32 s0, exec_lo
	ds_load_b128 v[79:82], v1 offset:976
	s_wait_loadcnt_dscnt 0x100
	v_mul_f64_e32 v[2:3], v[81:82], v[8:9]
	v_mul_f64_e32 v[8:9], v[79:80], v[8:9]
	s_delay_alu instid0(VALU_DEP_2) | instskip(NEXT) | instid1(VALU_DEP_2)
	v_fma_f64 v[2:3], v[79:80], v[6:7], -v[2:3]
	v_fma_f64 v[6:7], v[81:82], v[6:7], v[8:9]
	s_delay_alu instid0(VALU_DEP_2) | instskip(NEXT) | instid1(VALU_DEP_2)
	v_add_f64_e32 v[2:3], 0, v[2:3]
	v_add_f64_e32 v[8:9], 0, v[6:7]
	s_wait_loadcnt 0x0
	s_delay_alu instid0(VALU_DEP_2) | instskip(NEXT) | instid1(VALU_DEP_2)
	v_add_f64_e64 v[6:7], v[75:76], -v[2:3]
	v_add_f64_e64 v[8:9], v[77:78], -v[8:9]
	scratch_store_b128 off, v[6:9], off offset:480
	v_cmpx_lt_u32_e32 28, v0
	s_cbranch_execz .LBB94_143
; %bb.142:
	scratch_load_b128 v[6:9], off, s21
	v_dual_mov_b32 v2, v1 :: v_dual_mov_b32 v3, v1
	v_mov_b32_e32 v4, v1
	scratch_store_b128 off, v[1:4], off offset:464
	s_wait_loadcnt 0x0
	ds_store_b128 v5, v[6:9]
.LBB94_143:
	s_wait_alu 0xfffe
	s_or_b32 exec_lo, exec_lo, s0
	s_wait_storecnt_dscnt 0x0
	s_barrier_signal -1
	s_barrier_wait -1
	global_inv scope:SCOPE_SE
	s_clause 0x2
	scratch_load_b128 v[6:9], off, off offset:480
	scratch_load_b128 v[75:78], off, off offset:496
	;; [unrolled: 1-line block ×3, first 2 shown]
	ds_load_b128 v[83:86], v1 offset:960
	ds_load_b128 v[1:4], v1 offset:976
	s_mov_b32 s0, exec_lo
	s_wait_loadcnt_dscnt 0x201
	v_mul_f64_e32 v[10:11], v[85:86], v[8:9]
	v_mul_f64_e32 v[8:9], v[83:84], v[8:9]
	s_wait_loadcnt_dscnt 0x100
	v_mul_f64_e32 v[87:88], v[1:2], v[77:78]
	v_mul_f64_e32 v[77:78], v[3:4], v[77:78]
	s_delay_alu instid0(VALU_DEP_4) | instskip(NEXT) | instid1(VALU_DEP_4)
	v_fma_f64 v[10:11], v[83:84], v[6:7], -v[10:11]
	v_fma_f64 v[6:7], v[85:86], v[6:7], v[8:9]
	s_delay_alu instid0(VALU_DEP_4) | instskip(NEXT) | instid1(VALU_DEP_4)
	v_fma_f64 v[3:4], v[3:4], v[75:76], v[87:88]
	v_fma_f64 v[1:2], v[1:2], v[75:76], -v[77:78]
	s_delay_alu instid0(VALU_DEP_4) | instskip(NEXT) | instid1(VALU_DEP_4)
	v_add_f64_e32 v[8:9], 0, v[10:11]
	v_add_f64_e32 v[6:7], 0, v[6:7]
	s_delay_alu instid0(VALU_DEP_2) | instskip(NEXT) | instid1(VALU_DEP_2)
	v_add_f64_e32 v[1:2], v[8:9], v[1:2]
	v_add_f64_e32 v[3:4], v[6:7], v[3:4]
	s_wait_loadcnt 0x0
	s_delay_alu instid0(VALU_DEP_2) | instskip(NEXT) | instid1(VALU_DEP_2)
	v_add_f64_e64 v[1:2], v[79:80], -v[1:2]
	v_add_f64_e64 v[3:4], v[81:82], -v[3:4]
	scratch_store_b128 off, v[1:4], off offset:464
	v_cmpx_lt_u32_e32 27, v0
	s_cbranch_execz .LBB94_145
; %bb.144:
	scratch_load_b128 v[1:4], off, s36
	v_mov_b32_e32 v6, 0
	s_delay_alu instid0(VALU_DEP_1)
	v_dual_mov_b32 v7, v6 :: v_dual_mov_b32 v8, v6
	v_mov_b32_e32 v9, v6
	scratch_store_b128 off, v[6:9], off offset:448
	s_wait_loadcnt 0x0
	ds_store_b128 v5, v[1:4]
.LBB94_145:
	s_wait_alu 0xfffe
	s_or_b32 exec_lo, exec_lo, s0
	s_wait_storecnt_dscnt 0x0
	s_barrier_signal -1
	s_barrier_wait -1
	global_inv scope:SCOPE_SE
	s_clause 0x3
	scratch_load_b128 v[6:9], off, off offset:464
	scratch_load_b128 v[75:78], off, off offset:480
	;; [unrolled: 1-line block ×4, first 2 shown]
	v_mov_b32_e32 v1, 0
	ds_load_b128 v[87:90], v1 offset:944
	ds_load_b128 v[91:94], v1 offset:960
	s_mov_b32 s0, exec_lo
	s_wait_loadcnt_dscnt 0x301
	v_mul_f64_e32 v[2:3], v[89:90], v[8:9]
	v_mul_f64_e32 v[8:9], v[87:88], v[8:9]
	s_wait_loadcnt_dscnt 0x200
	v_mul_f64_e32 v[10:11], v[91:92], v[77:78]
	v_mul_f64_e32 v[77:78], v[93:94], v[77:78]
	s_delay_alu instid0(VALU_DEP_4) | instskip(NEXT) | instid1(VALU_DEP_4)
	v_fma_f64 v[2:3], v[87:88], v[6:7], -v[2:3]
	v_fma_f64 v[87:88], v[89:90], v[6:7], v[8:9]
	ds_load_b128 v[6:9], v1 offset:976
	v_fma_f64 v[10:11], v[93:94], v[75:76], v[10:11]
	v_fma_f64 v[75:76], v[91:92], v[75:76], -v[77:78]
	s_wait_loadcnt_dscnt 0x100
	v_mul_f64_e32 v[89:90], v[6:7], v[81:82]
	v_mul_f64_e32 v[81:82], v[8:9], v[81:82]
	v_add_f64_e32 v[2:3], 0, v[2:3]
	v_add_f64_e32 v[77:78], 0, v[87:88]
	s_delay_alu instid0(VALU_DEP_4) | instskip(NEXT) | instid1(VALU_DEP_4)
	v_fma_f64 v[8:9], v[8:9], v[79:80], v[89:90]
	v_fma_f64 v[6:7], v[6:7], v[79:80], -v[81:82]
	s_delay_alu instid0(VALU_DEP_4) | instskip(NEXT) | instid1(VALU_DEP_4)
	v_add_f64_e32 v[2:3], v[2:3], v[75:76]
	v_add_f64_e32 v[10:11], v[77:78], v[10:11]
	s_delay_alu instid0(VALU_DEP_2) | instskip(NEXT) | instid1(VALU_DEP_2)
	v_add_f64_e32 v[2:3], v[2:3], v[6:7]
	v_add_f64_e32 v[8:9], v[10:11], v[8:9]
	s_wait_loadcnt 0x0
	s_delay_alu instid0(VALU_DEP_2) | instskip(NEXT) | instid1(VALU_DEP_2)
	v_add_f64_e64 v[6:7], v[83:84], -v[2:3]
	v_add_f64_e64 v[8:9], v[85:86], -v[8:9]
	scratch_store_b128 off, v[6:9], off offset:448
	v_cmpx_lt_u32_e32 26, v0
	s_cbranch_execz .LBB94_147
; %bb.146:
	scratch_load_b128 v[6:9], off, s20
	v_dual_mov_b32 v2, v1 :: v_dual_mov_b32 v3, v1
	v_mov_b32_e32 v4, v1
	scratch_store_b128 off, v[1:4], off offset:432
	s_wait_loadcnt 0x0
	ds_store_b128 v5, v[6:9]
.LBB94_147:
	s_wait_alu 0xfffe
	s_or_b32 exec_lo, exec_lo, s0
	s_wait_storecnt_dscnt 0x0
	s_barrier_signal -1
	s_barrier_wait -1
	global_inv scope:SCOPE_SE
	s_clause 0x4
	scratch_load_b128 v[6:9], off, off offset:448
	scratch_load_b128 v[75:78], off, off offset:464
	;; [unrolled: 1-line block ×5, first 2 shown]
	ds_load_b128 v[91:94], v1 offset:928
	ds_load_b128 v[95:98], v1 offset:944
	s_mov_b32 s0, exec_lo
	s_wait_loadcnt_dscnt 0x401
	v_mul_f64_e32 v[2:3], v[93:94], v[8:9]
	v_mul_f64_e32 v[8:9], v[91:92], v[8:9]
	s_wait_loadcnt_dscnt 0x300
	v_mul_f64_e32 v[10:11], v[95:96], v[77:78]
	v_mul_f64_e32 v[77:78], v[97:98], v[77:78]
	s_delay_alu instid0(VALU_DEP_4) | instskip(NEXT) | instid1(VALU_DEP_4)
	v_fma_f64 v[91:92], v[91:92], v[6:7], -v[2:3]
	v_fma_f64 v[93:94], v[93:94], v[6:7], v[8:9]
	ds_load_b128 v[6:9], v1 offset:960
	ds_load_b128 v[1:4], v1 offset:976
	v_fma_f64 v[10:11], v[97:98], v[75:76], v[10:11]
	v_fma_f64 v[75:76], v[95:96], v[75:76], -v[77:78]
	s_wait_loadcnt_dscnt 0x201
	v_mul_f64_e32 v[99:100], v[6:7], v[81:82]
	v_mul_f64_e32 v[81:82], v[8:9], v[81:82]
	v_add_f64_e32 v[77:78], 0, v[91:92]
	v_add_f64_e32 v[91:92], 0, v[93:94]
	s_wait_loadcnt_dscnt 0x100
	v_mul_f64_e32 v[93:94], v[1:2], v[85:86]
	v_mul_f64_e32 v[85:86], v[3:4], v[85:86]
	v_fma_f64 v[8:9], v[8:9], v[79:80], v[99:100]
	v_fma_f64 v[6:7], v[6:7], v[79:80], -v[81:82]
	v_add_f64_e32 v[75:76], v[77:78], v[75:76]
	v_add_f64_e32 v[10:11], v[91:92], v[10:11]
	v_fma_f64 v[3:4], v[3:4], v[83:84], v[93:94]
	v_fma_f64 v[1:2], v[1:2], v[83:84], -v[85:86]
	s_delay_alu instid0(VALU_DEP_4) | instskip(NEXT) | instid1(VALU_DEP_4)
	v_add_f64_e32 v[6:7], v[75:76], v[6:7]
	v_add_f64_e32 v[8:9], v[10:11], v[8:9]
	s_delay_alu instid0(VALU_DEP_2) | instskip(NEXT) | instid1(VALU_DEP_2)
	v_add_f64_e32 v[1:2], v[6:7], v[1:2]
	v_add_f64_e32 v[3:4], v[8:9], v[3:4]
	s_wait_loadcnt 0x0
	s_delay_alu instid0(VALU_DEP_2) | instskip(NEXT) | instid1(VALU_DEP_2)
	v_add_f64_e64 v[1:2], v[87:88], -v[1:2]
	v_add_f64_e64 v[3:4], v[89:90], -v[3:4]
	scratch_store_b128 off, v[1:4], off offset:432
	v_cmpx_lt_u32_e32 25, v0
	s_cbranch_execz .LBB94_149
; %bb.148:
	scratch_load_b128 v[1:4], off, s35
	v_mov_b32_e32 v6, 0
	s_delay_alu instid0(VALU_DEP_1)
	v_dual_mov_b32 v7, v6 :: v_dual_mov_b32 v8, v6
	v_mov_b32_e32 v9, v6
	scratch_store_b128 off, v[6:9], off offset:416
	s_wait_loadcnt 0x0
	ds_store_b128 v5, v[1:4]
.LBB94_149:
	s_wait_alu 0xfffe
	s_or_b32 exec_lo, exec_lo, s0
	s_wait_storecnt_dscnt 0x0
	s_barrier_signal -1
	s_barrier_wait -1
	global_inv scope:SCOPE_SE
	s_clause 0x5
	scratch_load_b128 v[6:9], off, off offset:432
	scratch_load_b128 v[75:78], off, off offset:448
	;; [unrolled: 1-line block ×6, first 2 shown]
	v_mov_b32_e32 v1, 0
	ds_load_b128 v[95:98], v1 offset:912
	ds_load_b128 v[99:102], v1 offset:928
	s_mov_b32 s0, exec_lo
	s_wait_loadcnt_dscnt 0x501
	v_mul_f64_e32 v[2:3], v[97:98], v[8:9]
	v_mul_f64_e32 v[8:9], v[95:96], v[8:9]
	s_wait_loadcnt_dscnt 0x400
	v_mul_f64_e32 v[10:11], v[99:100], v[77:78]
	v_mul_f64_e32 v[77:78], v[101:102], v[77:78]
	s_delay_alu instid0(VALU_DEP_4) | instskip(NEXT) | instid1(VALU_DEP_4)
	v_fma_f64 v[2:3], v[95:96], v[6:7], -v[2:3]
	v_fma_f64 v[103:104], v[97:98], v[6:7], v[8:9]
	ds_load_b128 v[6:9], v1 offset:944
	ds_load_b128 v[95:98], v1 offset:960
	v_fma_f64 v[10:11], v[101:102], v[75:76], v[10:11]
	v_fma_f64 v[75:76], v[99:100], v[75:76], -v[77:78]
	s_wait_loadcnt_dscnt 0x301
	v_mul_f64_e32 v[105:106], v[6:7], v[81:82]
	v_mul_f64_e32 v[81:82], v[8:9], v[81:82]
	s_wait_loadcnt_dscnt 0x200
	v_mul_f64_e32 v[99:100], v[95:96], v[85:86]
	v_mul_f64_e32 v[85:86], v[97:98], v[85:86]
	v_add_f64_e32 v[2:3], 0, v[2:3]
	v_add_f64_e32 v[77:78], 0, v[103:104]
	v_fma_f64 v[101:102], v[8:9], v[79:80], v[105:106]
	v_fma_f64 v[79:80], v[6:7], v[79:80], -v[81:82]
	ds_load_b128 v[6:9], v1 offset:976
	v_fma_f64 v[81:82], v[97:98], v[83:84], v[99:100]
	v_fma_f64 v[83:84], v[95:96], v[83:84], -v[85:86]
	v_add_f64_e32 v[2:3], v[2:3], v[75:76]
	v_add_f64_e32 v[10:11], v[77:78], v[10:11]
	s_wait_loadcnt_dscnt 0x100
	v_mul_f64_e32 v[75:76], v[6:7], v[89:90]
	v_mul_f64_e32 v[77:78], v[8:9], v[89:90]
	s_delay_alu instid0(VALU_DEP_4) | instskip(NEXT) | instid1(VALU_DEP_4)
	v_add_f64_e32 v[2:3], v[2:3], v[79:80]
	v_add_f64_e32 v[10:11], v[10:11], v[101:102]
	s_delay_alu instid0(VALU_DEP_4) | instskip(NEXT) | instid1(VALU_DEP_4)
	v_fma_f64 v[8:9], v[8:9], v[87:88], v[75:76]
	v_fma_f64 v[6:7], v[6:7], v[87:88], -v[77:78]
	s_delay_alu instid0(VALU_DEP_4) | instskip(NEXT) | instid1(VALU_DEP_4)
	v_add_f64_e32 v[2:3], v[2:3], v[83:84]
	v_add_f64_e32 v[10:11], v[10:11], v[81:82]
	s_delay_alu instid0(VALU_DEP_2) | instskip(NEXT) | instid1(VALU_DEP_2)
	v_add_f64_e32 v[2:3], v[2:3], v[6:7]
	v_add_f64_e32 v[8:9], v[10:11], v[8:9]
	s_wait_loadcnt 0x0
	s_delay_alu instid0(VALU_DEP_2) | instskip(NEXT) | instid1(VALU_DEP_2)
	v_add_f64_e64 v[6:7], v[91:92], -v[2:3]
	v_add_f64_e64 v[8:9], v[93:94], -v[8:9]
	scratch_store_b128 off, v[6:9], off offset:416
	v_cmpx_lt_u32_e32 24, v0
	s_cbranch_execz .LBB94_151
; %bb.150:
	scratch_load_b128 v[6:9], off, s19
	v_dual_mov_b32 v2, v1 :: v_dual_mov_b32 v3, v1
	v_mov_b32_e32 v4, v1
	scratch_store_b128 off, v[1:4], off offset:400
	s_wait_loadcnt 0x0
	ds_store_b128 v5, v[6:9]
.LBB94_151:
	s_wait_alu 0xfffe
	s_or_b32 exec_lo, exec_lo, s0
	s_wait_storecnt_dscnt 0x0
	s_barrier_signal -1
	s_barrier_wait -1
	global_inv scope:SCOPE_SE
	s_clause 0x5
	scratch_load_b128 v[6:9], off, off offset:416
	scratch_load_b128 v[75:78], off, off offset:432
	;; [unrolled: 1-line block ×6, first 2 shown]
	ds_load_b128 v[95:98], v1 offset:896
	ds_load_b128 v[103:106], v1 offset:912
	scratch_load_b128 v[99:102], off, off offset:400
	s_mov_b32 s0, exec_lo
	s_wait_loadcnt_dscnt 0x601
	v_mul_f64_e32 v[2:3], v[97:98], v[8:9]
	v_mul_f64_e32 v[8:9], v[95:96], v[8:9]
	s_wait_loadcnt_dscnt 0x500
	v_mul_f64_e32 v[10:11], v[103:104], v[77:78]
	v_mul_f64_e32 v[77:78], v[105:106], v[77:78]
	s_delay_alu instid0(VALU_DEP_4) | instskip(NEXT) | instid1(VALU_DEP_4)
	v_fma_f64 v[2:3], v[95:96], v[6:7], -v[2:3]
	v_fma_f64 v[107:108], v[97:98], v[6:7], v[8:9]
	ds_load_b128 v[6:9], v1 offset:928
	ds_load_b128 v[95:98], v1 offset:944
	v_fma_f64 v[10:11], v[105:106], v[75:76], v[10:11]
	v_fma_f64 v[75:76], v[103:104], v[75:76], -v[77:78]
	s_wait_loadcnt_dscnt 0x401
	v_mul_f64_e32 v[109:110], v[6:7], v[81:82]
	v_mul_f64_e32 v[81:82], v[8:9], v[81:82]
	s_wait_loadcnt_dscnt 0x300
	v_mul_f64_e32 v[103:104], v[95:96], v[85:86]
	v_mul_f64_e32 v[85:86], v[97:98], v[85:86]
	v_add_f64_e32 v[2:3], 0, v[2:3]
	v_add_f64_e32 v[77:78], 0, v[107:108]
	v_fma_f64 v[105:106], v[8:9], v[79:80], v[109:110]
	v_fma_f64 v[79:80], v[6:7], v[79:80], -v[81:82]
	s_delay_alu instid0(VALU_DEP_4) | instskip(NEXT) | instid1(VALU_DEP_4)
	v_add_f64_e32 v[75:76], v[2:3], v[75:76]
	v_add_f64_e32 v[10:11], v[77:78], v[10:11]
	ds_load_b128 v[6:9], v1 offset:960
	ds_load_b128 v[1:4], v1 offset:976
	s_wait_loadcnt_dscnt 0x201
	v_mul_f64_e32 v[77:78], v[6:7], v[89:90]
	v_mul_f64_e32 v[81:82], v[8:9], v[89:90]
	v_fma_f64 v[89:90], v[97:98], v[83:84], v[103:104]
	v_fma_f64 v[83:84], v[95:96], v[83:84], -v[85:86]
	s_wait_loadcnt_dscnt 0x100
	v_mul_f64_e32 v[85:86], v[3:4], v[93:94]
	v_add_f64_e32 v[75:76], v[75:76], v[79:80]
	v_add_f64_e32 v[10:11], v[10:11], v[105:106]
	v_mul_f64_e32 v[79:80], v[1:2], v[93:94]
	v_fma_f64 v[8:9], v[8:9], v[87:88], v[77:78]
	v_fma_f64 v[6:7], v[6:7], v[87:88], -v[81:82]
	v_fma_f64 v[1:2], v[1:2], v[91:92], -v[85:86]
	v_add_f64_e32 v[75:76], v[75:76], v[83:84]
	v_add_f64_e32 v[10:11], v[10:11], v[89:90]
	v_fma_f64 v[3:4], v[3:4], v[91:92], v[79:80]
	s_delay_alu instid0(VALU_DEP_3) | instskip(NEXT) | instid1(VALU_DEP_3)
	v_add_f64_e32 v[6:7], v[75:76], v[6:7]
	v_add_f64_e32 v[8:9], v[10:11], v[8:9]
	s_delay_alu instid0(VALU_DEP_2) | instskip(NEXT) | instid1(VALU_DEP_2)
	v_add_f64_e32 v[1:2], v[6:7], v[1:2]
	v_add_f64_e32 v[3:4], v[8:9], v[3:4]
	s_wait_loadcnt 0x0
	s_delay_alu instid0(VALU_DEP_2) | instskip(NEXT) | instid1(VALU_DEP_2)
	v_add_f64_e64 v[1:2], v[99:100], -v[1:2]
	v_add_f64_e64 v[3:4], v[101:102], -v[3:4]
	scratch_store_b128 off, v[1:4], off offset:400
	v_cmpx_lt_u32_e32 23, v0
	s_cbranch_execz .LBB94_153
; %bb.152:
	scratch_load_b128 v[1:4], off, s34
	v_mov_b32_e32 v6, 0
	s_delay_alu instid0(VALU_DEP_1)
	v_dual_mov_b32 v7, v6 :: v_dual_mov_b32 v8, v6
	v_mov_b32_e32 v9, v6
	scratch_store_b128 off, v[6:9], off offset:384
	s_wait_loadcnt 0x0
	ds_store_b128 v5, v[1:4]
.LBB94_153:
	s_wait_alu 0xfffe
	s_or_b32 exec_lo, exec_lo, s0
	s_wait_storecnt_dscnt 0x0
	s_barrier_signal -1
	s_barrier_wait -1
	global_inv scope:SCOPE_SE
	s_clause 0x6
	scratch_load_b128 v[6:9], off, off offset:400
	scratch_load_b128 v[75:78], off, off offset:416
	scratch_load_b128 v[79:82], off, off offset:432
	scratch_load_b128 v[83:86], off, off offset:448
	scratch_load_b128 v[87:90], off, off offset:464
	scratch_load_b128 v[91:94], off, off offset:480
	scratch_load_b128 v[95:98], off, off offset:496
	v_mov_b32_e32 v1, 0
	scratch_load_b128 v[103:106], off, off offset:384
	s_mov_b32 s0, exec_lo
	ds_load_b128 v[99:102], v1 offset:880
	ds_load_b128 v[107:110], v1 offset:896
	s_wait_loadcnt_dscnt 0x701
	v_mul_f64_e32 v[2:3], v[101:102], v[8:9]
	v_mul_f64_e32 v[8:9], v[99:100], v[8:9]
	s_wait_loadcnt_dscnt 0x600
	v_mul_f64_e32 v[10:11], v[107:108], v[77:78]
	v_mul_f64_e32 v[77:78], v[109:110], v[77:78]
	s_delay_alu instid0(VALU_DEP_4) | instskip(NEXT) | instid1(VALU_DEP_4)
	v_fma_f64 v[2:3], v[99:100], v[6:7], -v[2:3]
	v_fma_f64 v[111:112], v[101:102], v[6:7], v[8:9]
	ds_load_b128 v[6:9], v1 offset:912
	ds_load_b128 v[99:102], v1 offset:928
	v_fma_f64 v[10:11], v[109:110], v[75:76], v[10:11]
	v_fma_f64 v[75:76], v[107:108], v[75:76], -v[77:78]
	s_wait_loadcnt_dscnt 0x501
	v_mul_f64_e32 v[113:114], v[6:7], v[81:82]
	v_mul_f64_e32 v[81:82], v[8:9], v[81:82]
	s_wait_loadcnt_dscnt 0x400
	v_mul_f64_e32 v[107:108], v[99:100], v[85:86]
	v_mul_f64_e32 v[85:86], v[101:102], v[85:86]
	v_add_f64_e32 v[2:3], 0, v[2:3]
	v_add_f64_e32 v[77:78], 0, v[111:112]
	v_fma_f64 v[109:110], v[8:9], v[79:80], v[113:114]
	v_fma_f64 v[79:80], v[6:7], v[79:80], -v[81:82]
	v_fma_f64 v[101:102], v[101:102], v[83:84], v[107:108]
	v_fma_f64 v[83:84], v[99:100], v[83:84], -v[85:86]
	v_add_f64_e32 v[2:3], v[2:3], v[75:76]
	v_add_f64_e32 v[10:11], v[77:78], v[10:11]
	ds_load_b128 v[6:9], v1 offset:944
	ds_load_b128 v[75:78], v1 offset:960
	s_wait_loadcnt_dscnt 0x301
	v_mul_f64_e32 v[81:82], v[6:7], v[89:90]
	v_mul_f64_e32 v[89:90], v[8:9], v[89:90]
	s_wait_loadcnt_dscnt 0x200
	v_mul_f64_e32 v[85:86], v[77:78], v[93:94]
	v_add_f64_e32 v[2:3], v[2:3], v[79:80]
	v_add_f64_e32 v[10:11], v[10:11], v[109:110]
	v_mul_f64_e32 v[79:80], v[75:76], v[93:94]
	v_fma_f64 v[81:82], v[8:9], v[87:88], v[81:82]
	v_fma_f64 v[87:88], v[6:7], v[87:88], -v[89:90]
	ds_load_b128 v[6:9], v1 offset:976
	v_fma_f64 v[75:76], v[75:76], v[91:92], -v[85:86]
	v_add_f64_e32 v[2:3], v[2:3], v[83:84]
	v_add_f64_e32 v[10:11], v[10:11], v[101:102]
	v_fma_f64 v[77:78], v[77:78], v[91:92], v[79:80]
	s_wait_loadcnt_dscnt 0x100
	v_mul_f64_e32 v[83:84], v[6:7], v[97:98]
	v_mul_f64_e32 v[89:90], v[8:9], v[97:98]
	v_add_f64_e32 v[2:3], v[2:3], v[87:88]
	v_add_f64_e32 v[10:11], v[10:11], v[81:82]
	s_delay_alu instid0(VALU_DEP_4) | instskip(NEXT) | instid1(VALU_DEP_4)
	v_fma_f64 v[8:9], v[8:9], v[95:96], v[83:84]
	v_fma_f64 v[6:7], v[6:7], v[95:96], -v[89:90]
	s_delay_alu instid0(VALU_DEP_4) | instskip(NEXT) | instid1(VALU_DEP_4)
	v_add_f64_e32 v[2:3], v[2:3], v[75:76]
	v_add_f64_e32 v[10:11], v[10:11], v[77:78]
	s_delay_alu instid0(VALU_DEP_2) | instskip(NEXT) | instid1(VALU_DEP_2)
	v_add_f64_e32 v[2:3], v[2:3], v[6:7]
	v_add_f64_e32 v[8:9], v[10:11], v[8:9]
	s_wait_loadcnt 0x0
	s_delay_alu instid0(VALU_DEP_2) | instskip(NEXT) | instid1(VALU_DEP_2)
	v_add_f64_e64 v[6:7], v[103:104], -v[2:3]
	v_add_f64_e64 v[8:9], v[105:106], -v[8:9]
	scratch_store_b128 off, v[6:9], off offset:384
	v_cmpx_lt_u32_e32 22, v0
	s_cbranch_execz .LBB94_155
; %bb.154:
	scratch_load_b128 v[6:9], off, s18
	v_dual_mov_b32 v2, v1 :: v_dual_mov_b32 v3, v1
	v_mov_b32_e32 v4, v1
	scratch_store_b128 off, v[1:4], off offset:368
	s_wait_loadcnt 0x0
	ds_store_b128 v5, v[6:9]
.LBB94_155:
	s_wait_alu 0xfffe
	s_or_b32 exec_lo, exec_lo, s0
	s_wait_storecnt_dscnt 0x0
	s_barrier_signal -1
	s_barrier_wait -1
	global_inv scope:SCOPE_SE
	s_clause 0x7
	scratch_load_b128 v[6:9], off, off offset:384
	scratch_load_b128 v[75:78], off, off offset:400
	;; [unrolled: 1-line block ×8, first 2 shown]
	ds_load_b128 v[103:106], v1 offset:864
	ds_load_b128 v[107:110], v1 offset:880
	scratch_load_b128 v[111:114], off, off offset:368
	s_mov_b32 s0, exec_lo
	s_wait_loadcnt_dscnt 0x801
	v_mul_f64_e32 v[2:3], v[105:106], v[8:9]
	v_mul_f64_e32 v[8:9], v[103:104], v[8:9]
	s_wait_loadcnt_dscnt 0x700
	v_mul_f64_e32 v[10:11], v[107:108], v[77:78]
	v_mul_f64_e32 v[77:78], v[109:110], v[77:78]
	s_delay_alu instid0(VALU_DEP_4) | instskip(NEXT) | instid1(VALU_DEP_4)
	v_fma_f64 v[2:3], v[103:104], v[6:7], -v[2:3]
	v_fma_f64 v[115:116], v[105:106], v[6:7], v[8:9]
	ds_load_b128 v[6:9], v1 offset:896
	ds_load_b128 v[103:106], v1 offset:912
	v_fma_f64 v[10:11], v[109:110], v[75:76], v[10:11]
	v_fma_f64 v[75:76], v[107:108], v[75:76], -v[77:78]
	s_wait_loadcnt_dscnt 0x601
	v_mul_f64_e32 v[117:118], v[6:7], v[81:82]
	v_mul_f64_e32 v[81:82], v[8:9], v[81:82]
	s_wait_loadcnt_dscnt 0x500
	v_mul_f64_e32 v[107:108], v[103:104], v[85:86]
	v_mul_f64_e32 v[85:86], v[105:106], v[85:86]
	v_add_f64_e32 v[2:3], 0, v[2:3]
	v_add_f64_e32 v[77:78], 0, v[115:116]
	v_fma_f64 v[109:110], v[8:9], v[79:80], v[117:118]
	v_fma_f64 v[79:80], v[6:7], v[79:80], -v[81:82]
	v_fma_f64 v[105:106], v[105:106], v[83:84], v[107:108]
	v_fma_f64 v[83:84], v[103:104], v[83:84], -v[85:86]
	v_add_f64_e32 v[2:3], v[2:3], v[75:76]
	v_add_f64_e32 v[10:11], v[77:78], v[10:11]
	ds_load_b128 v[6:9], v1 offset:928
	ds_load_b128 v[75:78], v1 offset:944
	s_wait_loadcnt_dscnt 0x401
	v_mul_f64_e32 v[81:82], v[6:7], v[89:90]
	v_mul_f64_e32 v[89:90], v[8:9], v[89:90]
	s_wait_loadcnt_dscnt 0x300
	v_mul_f64_e32 v[85:86], v[77:78], v[93:94]
	v_add_f64_e32 v[2:3], v[2:3], v[79:80]
	v_add_f64_e32 v[10:11], v[10:11], v[109:110]
	v_mul_f64_e32 v[79:80], v[75:76], v[93:94]
	v_fma_f64 v[81:82], v[8:9], v[87:88], v[81:82]
	v_fma_f64 v[87:88], v[6:7], v[87:88], -v[89:90]
	v_fma_f64 v[75:76], v[75:76], v[91:92], -v[85:86]
	v_add_f64_e32 v[83:84], v[2:3], v[83:84]
	v_add_f64_e32 v[10:11], v[10:11], v[105:106]
	ds_load_b128 v[6:9], v1 offset:960
	ds_load_b128 v[1:4], v1 offset:976
	v_fma_f64 v[77:78], v[77:78], v[91:92], v[79:80]
	s_wait_loadcnt_dscnt 0x201
	v_mul_f64_e32 v[89:90], v[6:7], v[97:98]
	v_mul_f64_e32 v[93:94], v[8:9], v[97:98]
	v_add_f64_e32 v[79:80], v[83:84], v[87:88]
	v_add_f64_e32 v[10:11], v[10:11], v[81:82]
	s_wait_loadcnt_dscnt 0x100
	v_mul_f64_e32 v[81:82], v[1:2], v[101:102]
	v_mul_f64_e32 v[83:84], v[3:4], v[101:102]
	v_fma_f64 v[8:9], v[8:9], v[95:96], v[89:90]
	v_fma_f64 v[6:7], v[6:7], v[95:96], -v[93:94]
	v_add_f64_e32 v[75:76], v[79:80], v[75:76]
	v_add_f64_e32 v[10:11], v[10:11], v[77:78]
	v_fma_f64 v[3:4], v[3:4], v[99:100], v[81:82]
	v_fma_f64 v[1:2], v[1:2], v[99:100], -v[83:84]
	s_delay_alu instid0(VALU_DEP_4) | instskip(NEXT) | instid1(VALU_DEP_4)
	v_add_f64_e32 v[6:7], v[75:76], v[6:7]
	v_add_f64_e32 v[8:9], v[10:11], v[8:9]
	s_delay_alu instid0(VALU_DEP_2) | instskip(NEXT) | instid1(VALU_DEP_2)
	v_add_f64_e32 v[1:2], v[6:7], v[1:2]
	v_add_f64_e32 v[3:4], v[8:9], v[3:4]
	s_wait_loadcnt 0x0
	s_delay_alu instid0(VALU_DEP_2) | instskip(NEXT) | instid1(VALU_DEP_2)
	v_add_f64_e64 v[1:2], v[111:112], -v[1:2]
	v_add_f64_e64 v[3:4], v[113:114], -v[3:4]
	scratch_store_b128 off, v[1:4], off offset:368
	v_cmpx_lt_u32_e32 21, v0
	s_cbranch_execz .LBB94_157
; %bb.156:
	scratch_load_b128 v[1:4], off, s33
	v_mov_b32_e32 v6, 0
	s_delay_alu instid0(VALU_DEP_1)
	v_dual_mov_b32 v7, v6 :: v_dual_mov_b32 v8, v6
	v_mov_b32_e32 v9, v6
	scratch_store_b128 off, v[6:9], off offset:352
	s_wait_loadcnt 0x0
	ds_store_b128 v5, v[1:4]
.LBB94_157:
	s_wait_alu 0xfffe
	s_or_b32 exec_lo, exec_lo, s0
	s_wait_storecnt_dscnt 0x0
	s_barrier_signal -1
	s_barrier_wait -1
	global_inv scope:SCOPE_SE
	s_clause 0x7
	scratch_load_b128 v[6:9], off, off offset:368
	scratch_load_b128 v[75:78], off, off offset:384
	;; [unrolled: 1-line block ×8, first 2 shown]
	v_mov_b32_e32 v1, 0
	s_mov_b32 s0, exec_lo
	ds_load_b128 v[103:106], v1 offset:848
	s_clause 0x1
	scratch_load_b128 v[107:110], off, off offset:496
	scratch_load_b128 v[111:114], off, off offset:352
	ds_load_b128 v[115:118], v1 offset:864
	s_wait_loadcnt_dscnt 0x901
	v_mul_f64_e32 v[2:3], v[105:106], v[8:9]
	v_mul_f64_e32 v[8:9], v[103:104], v[8:9]
	s_wait_loadcnt_dscnt 0x800
	v_mul_f64_e32 v[10:11], v[115:116], v[77:78]
	v_mul_f64_e32 v[77:78], v[117:118], v[77:78]
	s_delay_alu instid0(VALU_DEP_4) | instskip(NEXT) | instid1(VALU_DEP_4)
	v_fma_f64 v[2:3], v[103:104], v[6:7], -v[2:3]
	v_fma_f64 v[119:120], v[105:106], v[6:7], v[8:9]
	ds_load_b128 v[6:9], v1 offset:880
	ds_load_b128 v[103:106], v1 offset:896
	v_fma_f64 v[10:11], v[117:118], v[75:76], v[10:11]
	v_fma_f64 v[75:76], v[115:116], v[75:76], -v[77:78]
	s_wait_loadcnt_dscnt 0x701
	v_mul_f64_e32 v[121:122], v[6:7], v[81:82]
	v_mul_f64_e32 v[81:82], v[8:9], v[81:82]
	s_wait_loadcnt_dscnt 0x600
	v_mul_f64_e32 v[115:116], v[103:104], v[85:86]
	v_mul_f64_e32 v[85:86], v[105:106], v[85:86]
	v_add_f64_e32 v[2:3], 0, v[2:3]
	v_add_f64_e32 v[77:78], 0, v[119:120]
	v_fma_f64 v[117:118], v[8:9], v[79:80], v[121:122]
	v_fma_f64 v[79:80], v[6:7], v[79:80], -v[81:82]
	v_fma_f64 v[105:106], v[105:106], v[83:84], v[115:116]
	v_fma_f64 v[83:84], v[103:104], v[83:84], -v[85:86]
	v_add_f64_e32 v[2:3], v[2:3], v[75:76]
	v_add_f64_e32 v[10:11], v[77:78], v[10:11]
	ds_load_b128 v[6:9], v1 offset:912
	ds_load_b128 v[75:78], v1 offset:928
	s_wait_loadcnt_dscnt 0x501
	v_mul_f64_e32 v[81:82], v[6:7], v[89:90]
	v_mul_f64_e32 v[89:90], v[8:9], v[89:90]
	s_wait_loadcnt_dscnt 0x400
	v_mul_f64_e32 v[85:86], v[75:76], v[93:94]
	v_mul_f64_e32 v[93:94], v[77:78], v[93:94]
	v_add_f64_e32 v[2:3], v[2:3], v[79:80]
	v_add_f64_e32 v[10:11], v[10:11], v[117:118]
	v_fma_f64 v[103:104], v[8:9], v[87:88], v[81:82]
	v_fma_f64 v[87:88], v[6:7], v[87:88], -v[89:90]
	ds_load_b128 v[6:9], v1 offset:944
	ds_load_b128 v[79:82], v1 offset:960
	v_fma_f64 v[77:78], v[77:78], v[91:92], v[85:86]
	v_fma_f64 v[75:76], v[75:76], v[91:92], -v[93:94]
	v_add_f64_e32 v[2:3], v[2:3], v[83:84]
	v_add_f64_e32 v[10:11], v[10:11], v[105:106]
	s_wait_loadcnt_dscnt 0x301
	v_mul_f64_e32 v[83:84], v[6:7], v[97:98]
	v_mul_f64_e32 v[89:90], v[8:9], v[97:98]
	s_wait_loadcnt_dscnt 0x200
	v_mul_f64_e32 v[85:86], v[79:80], v[101:102]
	v_add_f64_e32 v[2:3], v[2:3], v[87:88]
	v_add_f64_e32 v[10:11], v[10:11], v[103:104]
	v_mul_f64_e32 v[87:88], v[81:82], v[101:102]
	v_fma_f64 v[83:84], v[8:9], v[95:96], v[83:84]
	v_fma_f64 v[89:90], v[6:7], v[95:96], -v[89:90]
	ds_load_b128 v[6:9], v1 offset:976
	v_fma_f64 v[81:82], v[81:82], v[99:100], v[85:86]
	v_add_f64_e32 v[2:3], v[2:3], v[75:76]
	v_add_f64_e32 v[10:11], v[10:11], v[77:78]
	s_wait_loadcnt_dscnt 0x100
	v_mul_f64_e32 v[75:76], v[6:7], v[109:110]
	v_mul_f64_e32 v[77:78], v[8:9], v[109:110]
	v_fma_f64 v[79:80], v[79:80], v[99:100], -v[87:88]
	v_add_f64_e32 v[2:3], v[2:3], v[89:90]
	v_add_f64_e32 v[10:11], v[10:11], v[83:84]
	v_fma_f64 v[8:9], v[8:9], v[107:108], v[75:76]
	v_fma_f64 v[6:7], v[6:7], v[107:108], -v[77:78]
	s_delay_alu instid0(VALU_DEP_4) | instskip(NEXT) | instid1(VALU_DEP_4)
	v_add_f64_e32 v[2:3], v[2:3], v[79:80]
	v_add_f64_e32 v[10:11], v[10:11], v[81:82]
	s_delay_alu instid0(VALU_DEP_2) | instskip(NEXT) | instid1(VALU_DEP_2)
	v_add_f64_e32 v[2:3], v[2:3], v[6:7]
	v_add_f64_e32 v[8:9], v[10:11], v[8:9]
	s_wait_loadcnt 0x0
	s_delay_alu instid0(VALU_DEP_2) | instskip(NEXT) | instid1(VALU_DEP_2)
	v_add_f64_e64 v[6:7], v[111:112], -v[2:3]
	v_add_f64_e64 v[8:9], v[113:114], -v[8:9]
	scratch_store_b128 off, v[6:9], off offset:352
	v_cmpx_lt_u32_e32 20, v0
	s_cbranch_execz .LBB94_159
; %bb.158:
	scratch_load_b128 v[6:9], off, s17
	v_dual_mov_b32 v2, v1 :: v_dual_mov_b32 v3, v1
	v_mov_b32_e32 v4, v1
	scratch_store_b128 off, v[1:4], off offset:336
	s_wait_loadcnt 0x0
	ds_store_b128 v5, v[6:9]
.LBB94_159:
	s_wait_alu 0xfffe
	s_or_b32 exec_lo, exec_lo, s0
	s_wait_storecnt_dscnt 0x0
	s_barrier_signal -1
	s_barrier_wait -1
	global_inv scope:SCOPE_SE
	s_clause 0x8
	scratch_load_b128 v[6:9], off, off offset:352
	scratch_load_b128 v[75:78], off, off offset:368
	;; [unrolled: 1-line block ×9, first 2 shown]
	ds_load_b128 v[107:110], v1 offset:832
	ds_load_b128 v[111:114], v1 offset:848
	scratch_load_b128 v[115:118], off, off offset:336
	s_mov_b32 s0, exec_lo
	s_wait_loadcnt_dscnt 0x901
	v_mul_f64_e32 v[2:3], v[109:110], v[8:9]
	v_mul_f64_e32 v[119:120], v[107:108], v[8:9]
	scratch_load_b128 v[8:11], off, off offset:496
	s_wait_loadcnt_dscnt 0x900
	v_mul_f64_e32 v[123:124], v[111:112], v[77:78]
	v_mul_f64_e32 v[77:78], v[113:114], v[77:78]
	v_fma_f64 v[2:3], v[107:108], v[6:7], -v[2:3]
	v_fma_f64 v[6:7], v[109:110], v[6:7], v[119:120]
	ds_load_b128 v[107:110], v1 offset:864
	ds_load_b128 v[119:122], v1 offset:880
	v_fma_f64 v[113:114], v[113:114], v[75:76], v[123:124]
	v_fma_f64 v[75:76], v[111:112], v[75:76], -v[77:78]
	s_wait_loadcnt_dscnt 0x801
	v_mul_f64_e32 v[125:126], v[107:108], v[81:82]
	v_mul_f64_e32 v[81:82], v[109:110], v[81:82]
	s_wait_loadcnt_dscnt 0x700
	v_mul_f64_e32 v[111:112], v[119:120], v[85:86]
	v_mul_f64_e32 v[85:86], v[121:122], v[85:86]
	v_add_f64_e32 v[2:3], 0, v[2:3]
	v_add_f64_e32 v[6:7], 0, v[6:7]
	v_fma_f64 v[109:110], v[109:110], v[79:80], v[125:126]
	v_fma_f64 v[107:108], v[107:108], v[79:80], -v[81:82]
	v_fma_f64 v[111:112], v[121:122], v[83:84], v[111:112]
	v_fma_f64 v[83:84], v[119:120], v[83:84], -v[85:86]
	v_add_f64_e32 v[2:3], v[2:3], v[75:76]
	v_add_f64_e32 v[6:7], v[6:7], v[113:114]
	ds_load_b128 v[75:78], v1 offset:896
	ds_load_b128 v[79:82], v1 offset:912
	s_wait_loadcnt_dscnt 0x601
	v_mul_f64_e32 v[113:114], v[75:76], v[89:90]
	v_mul_f64_e32 v[89:90], v[77:78], v[89:90]
	v_add_f64_e32 v[2:3], v[2:3], v[107:108]
	v_add_f64_e32 v[6:7], v[6:7], v[109:110]
	s_wait_loadcnt_dscnt 0x500
	v_mul_f64_e32 v[107:108], v[79:80], v[93:94]
	v_mul_f64_e32 v[93:94], v[81:82], v[93:94]
	v_fma_f64 v[109:110], v[77:78], v[87:88], v[113:114]
	v_fma_f64 v[87:88], v[75:76], v[87:88], -v[89:90]
	v_add_f64_e32 v[2:3], v[2:3], v[83:84]
	v_add_f64_e32 v[6:7], v[6:7], v[111:112]
	ds_load_b128 v[75:78], v1 offset:928
	ds_load_b128 v[83:86], v1 offset:944
	v_fma_f64 v[81:82], v[81:82], v[91:92], v[107:108]
	v_fma_f64 v[79:80], v[79:80], v[91:92], -v[93:94]
	s_wait_loadcnt_dscnt 0x401
	v_mul_f64_e32 v[89:90], v[75:76], v[97:98]
	v_mul_f64_e32 v[97:98], v[77:78], v[97:98]
	s_wait_loadcnt_dscnt 0x300
	v_mul_f64_e32 v[91:92], v[85:86], v[101:102]
	v_add_f64_e32 v[2:3], v[2:3], v[87:88]
	v_add_f64_e32 v[6:7], v[6:7], v[109:110]
	v_mul_f64_e32 v[87:88], v[83:84], v[101:102]
	v_fma_f64 v[89:90], v[77:78], v[95:96], v[89:90]
	v_fma_f64 v[93:94], v[75:76], v[95:96], -v[97:98]
	v_fma_f64 v[83:84], v[83:84], v[99:100], -v[91:92]
	v_add_f64_e32 v[79:80], v[2:3], v[79:80]
	v_add_f64_e32 v[6:7], v[6:7], v[81:82]
	ds_load_b128 v[75:78], v1 offset:960
	ds_load_b128 v[1:4], v1 offset:976
	v_fma_f64 v[85:86], v[85:86], v[99:100], v[87:88]
	s_wait_loadcnt_dscnt 0x201
	v_mul_f64_e32 v[81:82], v[75:76], v[105:106]
	v_mul_f64_e32 v[95:96], v[77:78], v[105:106]
	v_add_f64_e32 v[79:80], v[79:80], v[93:94]
	v_add_f64_e32 v[6:7], v[6:7], v[89:90]
	s_wait_loadcnt_dscnt 0x0
	v_mul_f64_e32 v[87:88], v[1:2], v[10:11]
	v_mul_f64_e32 v[10:11], v[3:4], v[10:11]
	v_fma_f64 v[77:78], v[77:78], v[103:104], v[81:82]
	v_fma_f64 v[75:76], v[75:76], v[103:104], -v[95:96]
	v_add_f64_e32 v[79:80], v[79:80], v[83:84]
	v_add_f64_e32 v[6:7], v[6:7], v[85:86]
	v_fma_f64 v[3:4], v[3:4], v[8:9], v[87:88]
	v_fma_f64 v[1:2], v[1:2], v[8:9], -v[10:11]
	s_delay_alu instid0(VALU_DEP_4) | instskip(NEXT) | instid1(VALU_DEP_4)
	v_add_f64_e32 v[8:9], v[79:80], v[75:76]
	v_add_f64_e32 v[6:7], v[6:7], v[77:78]
	s_delay_alu instid0(VALU_DEP_2) | instskip(NEXT) | instid1(VALU_DEP_2)
	v_add_f64_e32 v[1:2], v[8:9], v[1:2]
	v_add_f64_e32 v[3:4], v[6:7], v[3:4]
	s_delay_alu instid0(VALU_DEP_2) | instskip(NEXT) | instid1(VALU_DEP_2)
	v_add_f64_e64 v[1:2], v[115:116], -v[1:2]
	v_add_f64_e64 v[3:4], v[117:118], -v[3:4]
	scratch_store_b128 off, v[1:4], off offset:336
	v_cmpx_lt_u32_e32 19, v0
	s_cbranch_execz .LBB94_161
; %bb.160:
	scratch_load_b128 v[1:4], off, s31
	v_mov_b32_e32 v6, 0
	s_delay_alu instid0(VALU_DEP_1)
	v_dual_mov_b32 v7, v6 :: v_dual_mov_b32 v8, v6
	v_mov_b32_e32 v9, v6
	scratch_store_b128 off, v[6:9], off offset:320
	s_wait_loadcnt 0x0
	ds_store_b128 v5, v[1:4]
.LBB94_161:
	s_wait_alu 0xfffe
	s_or_b32 exec_lo, exec_lo, s0
	s_wait_storecnt_dscnt 0x0
	s_barrier_signal -1
	s_barrier_wait -1
	global_inv scope:SCOPE_SE
	s_clause 0x7
	scratch_load_b128 v[6:9], off, off offset:336
	scratch_load_b128 v[75:78], off, off offset:352
	;; [unrolled: 1-line block ×8, first 2 shown]
	v_mov_b32_e32 v1, 0
	s_mov_b32 s0, exec_lo
	ds_load_b128 v[103:106], v1 offset:816
	s_clause 0x1
	scratch_load_b128 v[107:110], off, off offset:464
	scratch_load_b128 v[111:114], off, off offset:320
	ds_load_b128 v[115:118], v1 offset:832
	ds_load_b128 v[123:126], v1 offset:864
	s_wait_loadcnt_dscnt 0x902
	v_mul_f64_e32 v[2:3], v[105:106], v[8:9]
	v_mul_f64_e32 v[119:120], v[103:104], v[8:9]
	scratch_load_b128 v[8:11], off, off offset:480
	v_fma_f64 v[2:3], v[103:104], v[6:7], -v[2:3]
	v_fma_f64 v[6:7], v[105:106], v[6:7], v[119:120]
	ds_load_b128 v[103:106], v1 offset:848
	s_wait_loadcnt_dscnt 0x902
	v_mul_f64_e32 v[127:128], v[115:116], v[77:78]
	v_mul_f64_e32 v[77:78], v[117:118], v[77:78]
	scratch_load_b128 v[119:122], off, off offset:496
	s_wait_loadcnt_dscnt 0x900
	v_mul_f64_e32 v[129:130], v[103:104], v[81:82]
	v_mul_f64_e32 v[81:82], v[105:106], v[81:82]
	v_add_f64_e32 v[2:3], 0, v[2:3]
	v_add_f64_e32 v[6:7], 0, v[6:7]
	v_fma_f64 v[117:118], v[117:118], v[75:76], v[127:128]
	v_fma_f64 v[75:76], v[115:116], v[75:76], -v[77:78]
	s_wait_loadcnt 0x8
	v_mul_f64_e32 v[115:116], v[123:124], v[85:86]
	v_mul_f64_e32 v[85:86], v[125:126], v[85:86]
	v_fma_f64 v[105:106], v[105:106], v[79:80], v[129:130]
	v_fma_f64 v[103:104], v[103:104], v[79:80], -v[81:82]
	v_add_f64_e32 v[6:7], v[6:7], v[117:118]
	v_add_f64_e32 v[2:3], v[2:3], v[75:76]
	ds_load_b128 v[75:78], v1 offset:880
	ds_load_b128 v[79:82], v1 offset:896
	v_fma_f64 v[115:116], v[125:126], v[83:84], v[115:116]
	v_fma_f64 v[83:84], v[123:124], v[83:84], -v[85:86]
	s_wait_loadcnt_dscnt 0x701
	v_mul_f64_e32 v[117:118], v[75:76], v[89:90]
	v_mul_f64_e32 v[89:90], v[77:78], v[89:90]
	v_add_f64_e32 v[6:7], v[6:7], v[105:106]
	v_add_f64_e32 v[2:3], v[2:3], v[103:104]
	s_wait_loadcnt_dscnt 0x600
	v_mul_f64_e32 v[103:104], v[79:80], v[93:94]
	v_mul_f64_e32 v[93:94], v[81:82], v[93:94]
	v_fma_f64 v[105:106], v[77:78], v[87:88], v[117:118]
	v_fma_f64 v[87:88], v[75:76], v[87:88], -v[89:90]
	v_add_f64_e32 v[6:7], v[6:7], v[115:116]
	v_add_f64_e32 v[2:3], v[2:3], v[83:84]
	ds_load_b128 v[75:78], v1 offset:912
	ds_load_b128 v[83:86], v1 offset:928
	v_fma_f64 v[81:82], v[81:82], v[91:92], v[103:104]
	v_fma_f64 v[79:80], v[79:80], v[91:92], -v[93:94]
	s_wait_loadcnt_dscnt 0x501
	v_mul_f64_e32 v[89:90], v[75:76], v[97:98]
	v_mul_f64_e32 v[97:98], v[77:78], v[97:98]
	s_wait_loadcnt_dscnt 0x400
	v_mul_f64_e32 v[91:92], v[85:86], v[101:102]
	v_add_f64_e32 v[6:7], v[6:7], v[105:106]
	v_add_f64_e32 v[2:3], v[2:3], v[87:88]
	v_mul_f64_e32 v[87:88], v[83:84], v[101:102]
	v_fma_f64 v[89:90], v[77:78], v[95:96], v[89:90]
	v_fma_f64 v[93:94], v[75:76], v[95:96], -v[97:98]
	v_fma_f64 v[83:84], v[83:84], v[99:100], -v[91:92]
	v_add_f64_e32 v[6:7], v[6:7], v[81:82]
	v_add_f64_e32 v[2:3], v[2:3], v[79:80]
	ds_load_b128 v[75:78], v1 offset:944
	ds_load_b128 v[79:82], v1 offset:960
	v_fma_f64 v[85:86], v[85:86], v[99:100], v[87:88]
	s_wait_loadcnt_dscnt 0x301
	v_mul_f64_e32 v[95:96], v[75:76], v[109:110]
	v_mul_f64_e32 v[97:98], v[77:78], v[109:110]
	v_add_f64_e32 v[6:7], v[6:7], v[89:90]
	v_add_f64_e32 v[2:3], v[2:3], v[93:94]
	s_wait_loadcnt_dscnt 0x100
	v_mul_f64_e32 v[87:88], v[79:80], v[10:11]
	v_mul_f64_e32 v[10:11], v[81:82], v[10:11]
	v_fma_f64 v[89:90], v[77:78], v[107:108], v[95:96]
	v_fma_f64 v[91:92], v[75:76], v[107:108], -v[97:98]
	ds_load_b128 v[75:78], v1 offset:976
	v_add_f64_e32 v[6:7], v[6:7], v[85:86]
	v_add_f64_e32 v[2:3], v[2:3], v[83:84]
	v_fma_f64 v[81:82], v[81:82], v[8:9], v[87:88]
	v_fma_f64 v[8:9], v[79:80], v[8:9], -v[10:11]
	s_wait_loadcnt_dscnt 0x0
	v_mul_f64_e32 v[83:84], v[75:76], v[121:122]
	v_mul_f64_e32 v[85:86], v[77:78], v[121:122]
	v_add_f64_e32 v[6:7], v[6:7], v[89:90]
	v_add_f64_e32 v[2:3], v[2:3], v[91:92]
	s_delay_alu instid0(VALU_DEP_4) | instskip(NEXT) | instid1(VALU_DEP_4)
	v_fma_f64 v[10:11], v[77:78], v[119:120], v[83:84]
	v_fma_f64 v[75:76], v[75:76], v[119:120], -v[85:86]
	s_delay_alu instid0(VALU_DEP_4) | instskip(NEXT) | instid1(VALU_DEP_4)
	v_add_f64_e32 v[6:7], v[6:7], v[81:82]
	v_add_f64_e32 v[2:3], v[2:3], v[8:9]
	s_delay_alu instid0(VALU_DEP_2) | instskip(NEXT) | instid1(VALU_DEP_2)
	v_add_f64_e32 v[8:9], v[6:7], v[10:11]
	v_add_f64_e32 v[2:3], v[2:3], v[75:76]
	s_delay_alu instid0(VALU_DEP_2) | instskip(NEXT) | instid1(VALU_DEP_2)
	v_add_f64_e64 v[8:9], v[113:114], -v[8:9]
	v_add_f64_e64 v[6:7], v[111:112], -v[2:3]
	scratch_store_b128 off, v[6:9], off offset:320
	v_cmpx_lt_u32_e32 18, v0
	s_cbranch_execz .LBB94_163
; %bb.162:
	scratch_load_b128 v[6:9], off, s16
	v_dual_mov_b32 v2, v1 :: v_dual_mov_b32 v3, v1
	v_mov_b32_e32 v4, v1
	scratch_store_b128 off, v[1:4], off offset:304
	s_wait_loadcnt 0x0
	ds_store_b128 v5, v[6:9]
.LBB94_163:
	s_wait_alu 0xfffe
	s_or_b32 exec_lo, exec_lo, s0
	s_wait_storecnt_dscnt 0x0
	s_barrier_signal -1
	s_barrier_wait -1
	global_inv scope:SCOPE_SE
	s_clause 0x8
	scratch_load_b128 v[6:9], off, off offset:320
	scratch_load_b128 v[75:78], off, off offset:336
	;; [unrolled: 1-line block ×9, first 2 shown]
	ds_load_b128 v[107:110], v1 offset:800
	ds_load_b128 v[111:114], v1 offset:816
	scratch_load_b128 v[115:118], off, off offset:304
	s_mov_b32 s0, exec_lo
	ds_load_b128 v[123:126], v1 offset:848
	s_wait_loadcnt_dscnt 0x902
	v_mul_f64_e32 v[2:3], v[109:110], v[8:9]
	v_mul_f64_e32 v[119:120], v[107:108], v[8:9]
	scratch_load_b128 v[8:11], off, off offset:464
	s_wait_loadcnt_dscnt 0x901
	v_mul_f64_e32 v[127:128], v[111:112], v[77:78]
	v_mul_f64_e32 v[77:78], v[113:114], v[77:78]
	v_fma_f64 v[2:3], v[107:108], v[6:7], -v[2:3]
	v_fma_f64 v[6:7], v[109:110], v[6:7], v[119:120]
	ds_load_b128 v[107:110], v1 offset:832
	scratch_load_b128 v[119:122], off, off offset:480
	v_fma_f64 v[113:114], v[113:114], v[75:76], v[127:128]
	v_fma_f64 v[111:112], v[111:112], v[75:76], -v[77:78]
	scratch_load_b128 v[75:78], off, off offset:496
	s_wait_loadcnt_dscnt 0x901
	v_mul_f64_e32 v[127:128], v[123:124], v[85:86]
	v_mul_f64_e32 v[85:86], v[125:126], v[85:86]
	s_wait_dscnt 0x0
	v_mul_f64_e32 v[129:130], v[107:108], v[81:82]
	v_mul_f64_e32 v[81:82], v[109:110], v[81:82]
	v_add_f64_e32 v[2:3], 0, v[2:3]
	v_add_f64_e32 v[6:7], 0, v[6:7]
	s_delay_alu instid0(VALU_DEP_4) | instskip(NEXT) | instid1(VALU_DEP_4)
	v_fma_f64 v[129:130], v[109:110], v[79:80], v[129:130]
	v_fma_f64 v[131:132], v[107:108], v[79:80], -v[81:82]
	ds_load_b128 v[79:82], v1 offset:864
	ds_load_b128 v[107:110], v1 offset:880
	v_add_f64_e32 v[2:3], v[2:3], v[111:112]
	v_add_f64_e32 v[6:7], v[6:7], v[113:114]
	v_fma_f64 v[113:114], v[125:126], v[83:84], v[127:128]
	v_fma_f64 v[83:84], v[123:124], v[83:84], -v[85:86]
	s_wait_loadcnt_dscnt 0x801
	v_mul_f64_e32 v[111:112], v[79:80], v[89:90]
	v_mul_f64_e32 v[89:90], v[81:82], v[89:90]
	s_wait_loadcnt_dscnt 0x700
	v_mul_f64_e32 v[123:124], v[107:108], v[93:94]
	v_mul_f64_e32 v[93:94], v[109:110], v[93:94]
	v_add_f64_e32 v[2:3], v[2:3], v[131:132]
	v_add_f64_e32 v[6:7], v[6:7], v[129:130]
	v_fma_f64 v[111:112], v[81:82], v[87:88], v[111:112]
	v_fma_f64 v[87:88], v[79:80], v[87:88], -v[89:90]
	v_fma_f64 v[109:110], v[109:110], v[91:92], v[123:124]
	v_fma_f64 v[91:92], v[107:108], v[91:92], -v[93:94]
	v_add_f64_e32 v[2:3], v[2:3], v[83:84]
	v_add_f64_e32 v[6:7], v[6:7], v[113:114]
	ds_load_b128 v[79:82], v1 offset:896
	ds_load_b128 v[83:86], v1 offset:912
	s_wait_loadcnt_dscnt 0x601
	v_mul_f64_e32 v[89:90], v[79:80], v[97:98]
	v_mul_f64_e32 v[97:98], v[81:82], v[97:98]
	s_wait_loadcnt_dscnt 0x500
	v_mul_f64_e32 v[93:94], v[83:84], v[101:102]
	v_mul_f64_e32 v[101:102], v[85:86], v[101:102]
	v_add_f64_e32 v[2:3], v[2:3], v[87:88]
	v_add_f64_e32 v[6:7], v[6:7], v[111:112]
	v_fma_f64 v[107:108], v[81:82], v[95:96], v[89:90]
	v_fma_f64 v[95:96], v[79:80], v[95:96], -v[97:98]
	ds_load_b128 v[79:82], v1 offset:928
	ds_load_b128 v[87:90], v1 offset:944
	v_fma_f64 v[85:86], v[85:86], v[99:100], v[93:94]
	v_fma_f64 v[83:84], v[83:84], v[99:100], -v[101:102]
	v_add_f64_e32 v[2:3], v[2:3], v[91:92]
	v_add_f64_e32 v[6:7], v[6:7], v[109:110]
	s_wait_loadcnt_dscnt 0x401
	v_mul_f64_e32 v[91:92], v[79:80], v[105:106]
	v_mul_f64_e32 v[97:98], v[81:82], v[105:106]
	s_delay_alu instid0(VALU_DEP_4) | instskip(NEXT) | instid1(VALU_DEP_4)
	v_add_f64_e32 v[2:3], v[2:3], v[95:96]
	v_add_f64_e32 v[6:7], v[6:7], v[107:108]
	s_delay_alu instid0(VALU_DEP_4) | instskip(NEXT) | instid1(VALU_DEP_4)
	v_fma_f64 v[91:92], v[81:82], v[103:104], v[91:92]
	v_fma_f64 v[95:96], v[79:80], v[103:104], -v[97:98]
	s_wait_loadcnt_dscnt 0x200
	v_mul_f64_e32 v[93:94], v[87:88], v[10:11]
	v_mul_f64_e32 v[10:11], v[89:90], v[10:11]
	v_add_f64_e32 v[83:84], v[2:3], v[83:84]
	v_add_f64_e32 v[6:7], v[6:7], v[85:86]
	ds_load_b128 v[79:82], v1 offset:960
	ds_load_b128 v[1:4], v1 offset:976
	v_fma_f64 v[89:90], v[89:90], v[8:9], v[93:94]
	v_fma_f64 v[8:9], v[87:88], v[8:9], -v[10:11]
	s_wait_loadcnt_dscnt 0x101
	v_mul_f64_e32 v[85:86], v[79:80], v[121:122]
	v_mul_f64_e32 v[97:98], v[81:82], v[121:122]
	v_add_f64_e32 v[10:11], v[83:84], v[95:96]
	v_add_f64_e32 v[6:7], v[6:7], v[91:92]
	s_wait_loadcnt_dscnt 0x0
	v_mul_f64_e32 v[83:84], v[1:2], v[77:78]
	v_mul_f64_e32 v[77:78], v[3:4], v[77:78]
	v_fma_f64 v[81:82], v[81:82], v[119:120], v[85:86]
	v_fma_f64 v[79:80], v[79:80], v[119:120], -v[97:98]
	v_add_f64_e32 v[8:9], v[10:11], v[8:9]
	v_add_f64_e32 v[6:7], v[6:7], v[89:90]
	v_fma_f64 v[3:4], v[3:4], v[75:76], v[83:84]
	v_fma_f64 v[1:2], v[1:2], v[75:76], -v[77:78]
	s_delay_alu instid0(VALU_DEP_4) | instskip(NEXT) | instid1(VALU_DEP_4)
	v_add_f64_e32 v[8:9], v[8:9], v[79:80]
	v_add_f64_e32 v[6:7], v[6:7], v[81:82]
	s_delay_alu instid0(VALU_DEP_2) | instskip(NEXT) | instid1(VALU_DEP_2)
	v_add_f64_e32 v[1:2], v[8:9], v[1:2]
	v_add_f64_e32 v[3:4], v[6:7], v[3:4]
	s_delay_alu instid0(VALU_DEP_2) | instskip(NEXT) | instid1(VALU_DEP_2)
	v_add_f64_e64 v[1:2], v[115:116], -v[1:2]
	v_add_f64_e64 v[3:4], v[117:118], -v[3:4]
	scratch_store_b128 off, v[1:4], off offset:304
	v_cmpx_lt_u32_e32 17, v0
	s_cbranch_execz .LBB94_165
; %bb.164:
	scratch_load_b128 v[1:4], off, s30
	v_mov_b32_e32 v6, 0
	s_delay_alu instid0(VALU_DEP_1)
	v_dual_mov_b32 v7, v6 :: v_dual_mov_b32 v8, v6
	v_mov_b32_e32 v9, v6
	scratch_store_b128 off, v[6:9], off offset:288
	s_wait_loadcnt 0x0
	ds_store_b128 v5, v[1:4]
.LBB94_165:
	s_wait_alu 0xfffe
	s_or_b32 exec_lo, exec_lo, s0
	s_wait_storecnt_dscnt 0x0
	s_barrier_signal -1
	s_barrier_wait -1
	global_inv scope:SCOPE_SE
	s_clause 0x7
	scratch_load_b128 v[6:9], off, off offset:304
	scratch_load_b128 v[75:78], off, off offset:320
	;; [unrolled: 1-line block ×8, first 2 shown]
	v_mov_b32_e32 v1, 0
	s_mov_b32 s0, exec_lo
	ds_load_b128 v[103:106], v1 offset:784
	s_clause 0x1
	scratch_load_b128 v[107:110], off, off offset:432
	scratch_load_b128 v[111:114], off, off offset:288
	ds_load_b128 v[115:118], v1 offset:800
	ds_load_b128 v[123:126], v1 offset:832
	s_wait_loadcnt_dscnt 0x902
	v_mul_f64_e32 v[2:3], v[105:106], v[8:9]
	v_mul_f64_e32 v[119:120], v[103:104], v[8:9]
	scratch_load_b128 v[8:11], off, off offset:448
	v_fma_f64 v[2:3], v[103:104], v[6:7], -v[2:3]
	v_fma_f64 v[6:7], v[105:106], v[6:7], v[119:120]
	ds_load_b128 v[103:106], v1 offset:816
	s_wait_loadcnt_dscnt 0x902
	v_mul_f64_e32 v[127:128], v[115:116], v[77:78]
	v_mul_f64_e32 v[77:78], v[117:118], v[77:78]
	scratch_load_b128 v[119:122], off, off offset:464
	s_wait_loadcnt_dscnt 0x900
	v_mul_f64_e32 v[129:130], v[103:104], v[81:82]
	v_mul_f64_e32 v[81:82], v[105:106], v[81:82]
	v_add_f64_e32 v[2:3], 0, v[2:3]
	v_add_f64_e32 v[6:7], 0, v[6:7]
	v_fma_f64 v[117:118], v[117:118], v[75:76], v[127:128]
	v_fma_f64 v[115:116], v[115:116], v[75:76], -v[77:78]
	scratch_load_b128 v[75:78], off, off offset:480
	v_fma_f64 v[129:130], v[105:106], v[79:80], v[129:130]
	v_fma_f64 v[131:132], v[103:104], v[79:80], -v[81:82]
	ds_load_b128 v[79:82], v1 offset:848
	s_wait_loadcnt 0x9
	v_mul_f64_e32 v[127:128], v[123:124], v[85:86]
	v_mul_f64_e32 v[85:86], v[125:126], v[85:86]
	scratch_load_b128 v[103:106], off, off offset:496
	v_add_f64_e32 v[6:7], v[6:7], v[117:118]
	v_add_f64_e32 v[2:3], v[2:3], v[115:116]
	ds_load_b128 v[115:118], v1 offset:864
	s_wait_loadcnt_dscnt 0x901
	v_mul_f64_e32 v[133:134], v[79:80], v[89:90]
	v_mul_f64_e32 v[89:90], v[81:82], v[89:90]
	v_fma_f64 v[125:126], v[125:126], v[83:84], v[127:128]
	v_fma_f64 v[83:84], v[123:124], v[83:84], -v[85:86]
	s_wait_loadcnt_dscnt 0x800
	v_mul_f64_e32 v[123:124], v[115:116], v[93:94]
	v_mul_f64_e32 v[93:94], v[117:118], v[93:94]
	v_add_f64_e32 v[6:7], v[6:7], v[129:130]
	v_add_f64_e32 v[2:3], v[2:3], v[131:132]
	v_fma_f64 v[127:128], v[81:82], v[87:88], v[133:134]
	v_fma_f64 v[87:88], v[79:80], v[87:88], -v[89:90]
	v_fma_f64 v[117:118], v[117:118], v[91:92], v[123:124]
	v_fma_f64 v[91:92], v[115:116], v[91:92], -v[93:94]
	v_add_f64_e32 v[6:7], v[6:7], v[125:126]
	v_add_f64_e32 v[2:3], v[2:3], v[83:84]
	ds_load_b128 v[79:82], v1 offset:880
	ds_load_b128 v[83:86], v1 offset:896
	s_wait_loadcnt_dscnt 0x701
	v_mul_f64_e32 v[89:90], v[79:80], v[97:98]
	v_mul_f64_e32 v[97:98], v[81:82], v[97:98]
	s_wait_loadcnt_dscnt 0x600
	v_mul_f64_e32 v[93:94], v[83:84], v[101:102]
	v_mul_f64_e32 v[101:102], v[85:86], v[101:102]
	v_add_f64_e32 v[6:7], v[6:7], v[127:128]
	v_add_f64_e32 v[2:3], v[2:3], v[87:88]
	v_fma_f64 v[115:116], v[81:82], v[95:96], v[89:90]
	v_fma_f64 v[95:96], v[79:80], v[95:96], -v[97:98]
	ds_load_b128 v[79:82], v1 offset:912
	ds_load_b128 v[87:90], v1 offset:928
	v_fma_f64 v[85:86], v[85:86], v[99:100], v[93:94]
	v_fma_f64 v[83:84], v[83:84], v[99:100], -v[101:102]
	v_add_f64_e32 v[6:7], v[6:7], v[117:118]
	v_add_f64_e32 v[2:3], v[2:3], v[91:92]
	s_wait_loadcnt_dscnt 0x501
	v_mul_f64_e32 v[91:92], v[79:80], v[109:110]
	v_mul_f64_e32 v[97:98], v[81:82], v[109:110]
	s_delay_alu instid0(VALU_DEP_4) | instskip(NEXT) | instid1(VALU_DEP_4)
	v_add_f64_e32 v[6:7], v[6:7], v[115:116]
	v_add_f64_e32 v[2:3], v[2:3], v[95:96]
	s_delay_alu instid0(VALU_DEP_4) | instskip(NEXT) | instid1(VALU_DEP_4)
	v_fma_f64 v[91:92], v[81:82], v[107:108], v[91:92]
	v_fma_f64 v[95:96], v[79:80], v[107:108], -v[97:98]
	s_wait_loadcnt_dscnt 0x300
	v_mul_f64_e32 v[93:94], v[87:88], v[10:11]
	v_mul_f64_e32 v[10:11], v[89:90], v[10:11]
	v_add_f64_e32 v[6:7], v[6:7], v[85:86]
	v_add_f64_e32 v[2:3], v[2:3], v[83:84]
	ds_load_b128 v[79:82], v1 offset:944
	ds_load_b128 v[83:86], v1 offset:960
	v_fma_f64 v[89:90], v[89:90], v[8:9], v[93:94]
	v_fma_f64 v[8:9], v[87:88], v[8:9], -v[10:11]
	s_wait_loadcnt_dscnt 0x201
	v_mul_f64_e32 v[97:98], v[79:80], v[121:122]
	v_mul_f64_e32 v[99:100], v[81:82], v[121:122]
	v_add_f64_e32 v[6:7], v[6:7], v[91:92]
	v_add_f64_e32 v[2:3], v[2:3], v[95:96]
	s_wait_loadcnt_dscnt 0x100
	v_mul_f64_e32 v[10:11], v[83:84], v[77:78]
	v_mul_f64_e32 v[77:78], v[85:86], v[77:78]
	v_fma_f64 v[81:82], v[81:82], v[119:120], v[97:98]
	v_fma_f64 v[79:80], v[79:80], v[119:120], -v[99:100]
	v_add_f64_e32 v[87:88], v[6:7], v[89:90]
	v_add_f64_e32 v[2:3], v[2:3], v[8:9]
	ds_load_b128 v[6:9], v1 offset:976
	v_fma_f64 v[10:11], v[85:86], v[75:76], v[10:11]
	v_fma_f64 v[75:76], v[83:84], v[75:76], -v[77:78]
	s_wait_loadcnt_dscnt 0x0
	v_mul_f64_e32 v[89:90], v[6:7], v[105:106]
	v_mul_f64_e32 v[91:92], v[8:9], v[105:106]
	v_add_f64_e32 v[77:78], v[87:88], v[81:82]
	v_add_f64_e32 v[2:3], v[2:3], v[79:80]
	s_delay_alu instid0(VALU_DEP_4) | instskip(NEXT) | instid1(VALU_DEP_4)
	v_fma_f64 v[8:9], v[8:9], v[103:104], v[89:90]
	v_fma_f64 v[6:7], v[6:7], v[103:104], -v[91:92]
	s_delay_alu instid0(VALU_DEP_4) | instskip(NEXT) | instid1(VALU_DEP_4)
	v_add_f64_e32 v[10:11], v[77:78], v[10:11]
	v_add_f64_e32 v[2:3], v[2:3], v[75:76]
	s_delay_alu instid0(VALU_DEP_2) | instskip(NEXT) | instid1(VALU_DEP_2)
	v_add_f64_e32 v[8:9], v[10:11], v[8:9]
	v_add_f64_e32 v[2:3], v[2:3], v[6:7]
	s_delay_alu instid0(VALU_DEP_2) | instskip(NEXT) | instid1(VALU_DEP_2)
	v_add_f64_e64 v[8:9], v[113:114], -v[8:9]
	v_add_f64_e64 v[6:7], v[111:112], -v[2:3]
	scratch_store_b128 off, v[6:9], off offset:288
	v_cmpx_lt_u32_e32 16, v0
	s_cbranch_execz .LBB94_167
; %bb.166:
	scratch_load_b128 v[6:9], off, s15
	v_dual_mov_b32 v2, v1 :: v_dual_mov_b32 v3, v1
	v_mov_b32_e32 v4, v1
	scratch_store_b128 off, v[1:4], off offset:272
	s_wait_loadcnt 0x0
	ds_store_b128 v5, v[6:9]
.LBB94_167:
	s_wait_alu 0xfffe
	s_or_b32 exec_lo, exec_lo, s0
	s_wait_storecnt_dscnt 0x0
	s_barrier_signal -1
	s_barrier_wait -1
	global_inv scope:SCOPE_SE
	s_clause 0x8
	scratch_load_b128 v[6:9], off, off offset:288
	scratch_load_b128 v[75:78], off, off offset:304
	;; [unrolled: 1-line block ×9, first 2 shown]
	ds_load_b128 v[107:110], v1 offset:768
	ds_load_b128 v[111:114], v1 offset:784
	scratch_load_b128 v[115:118], off, off offset:272
	s_mov_b32 s0, exec_lo
	ds_load_b128 v[123:126], v1 offset:816
	s_wait_loadcnt_dscnt 0x902
	v_mul_f64_e32 v[2:3], v[109:110], v[8:9]
	v_mul_f64_e32 v[119:120], v[107:108], v[8:9]
	scratch_load_b128 v[8:11], off, off offset:432
	s_wait_loadcnt_dscnt 0x901
	v_mul_f64_e32 v[127:128], v[111:112], v[77:78]
	v_mul_f64_e32 v[77:78], v[113:114], v[77:78]
	v_fma_f64 v[2:3], v[107:108], v[6:7], -v[2:3]
	v_fma_f64 v[6:7], v[109:110], v[6:7], v[119:120]
	ds_load_b128 v[107:110], v1 offset:800
	scratch_load_b128 v[119:122], off, off offset:448
	v_fma_f64 v[113:114], v[113:114], v[75:76], v[127:128]
	v_fma_f64 v[111:112], v[111:112], v[75:76], -v[77:78]
	scratch_load_b128 v[75:78], off, off offset:464
	s_wait_loadcnt_dscnt 0x901
	v_mul_f64_e32 v[127:128], v[123:124], v[85:86]
	v_mul_f64_e32 v[85:86], v[125:126], v[85:86]
	s_wait_dscnt 0x0
	v_mul_f64_e32 v[129:130], v[107:108], v[81:82]
	v_mul_f64_e32 v[81:82], v[109:110], v[81:82]
	v_add_f64_e32 v[2:3], 0, v[2:3]
	v_add_f64_e32 v[6:7], 0, v[6:7]
	v_fma_f64 v[125:126], v[125:126], v[83:84], v[127:128]
	v_fma_f64 v[123:124], v[123:124], v[83:84], -v[85:86]
	scratch_load_b128 v[83:86], off, off offset:496
	v_fma_f64 v[129:130], v[109:110], v[79:80], v[129:130]
	v_fma_f64 v[131:132], v[107:108], v[79:80], -v[81:82]
	ds_load_b128 v[79:82], v1 offset:832
	scratch_load_b128 v[107:110], off, off offset:480
	v_add_f64_e32 v[2:3], v[2:3], v[111:112]
	v_add_f64_e32 v[6:7], v[6:7], v[113:114]
	ds_load_b128 v[111:114], v1 offset:848
	s_wait_loadcnt_dscnt 0xa01
	v_mul_f64_e32 v[133:134], v[79:80], v[89:90]
	v_mul_f64_e32 v[89:90], v[81:82], v[89:90]
	s_wait_loadcnt_dscnt 0x900
	v_mul_f64_e32 v[127:128], v[111:112], v[93:94]
	v_mul_f64_e32 v[93:94], v[113:114], v[93:94]
	v_add_f64_e32 v[2:3], v[2:3], v[131:132]
	v_add_f64_e32 v[6:7], v[6:7], v[129:130]
	v_fma_f64 v[129:130], v[81:82], v[87:88], v[133:134]
	v_fma_f64 v[131:132], v[79:80], v[87:88], -v[89:90]
	ds_load_b128 v[79:82], v1 offset:864
	ds_load_b128 v[87:90], v1 offset:880
	v_fma_f64 v[113:114], v[113:114], v[91:92], v[127:128]
	v_fma_f64 v[91:92], v[111:112], v[91:92], -v[93:94]
	s_wait_loadcnt_dscnt 0x700
	v_mul_f64_e32 v[111:112], v[87:88], v[101:102]
	v_mul_f64_e32 v[101:102], v[89:90], v[101:102]
	v_add_f64_e32 v[2:3], v[2:3], v[123:124]
	v_add_f64_e32 v[6:7], v[6:7], v[125:126]
	v_mul_f64_e32 v[123:124], v[79:80], v[97:98]
	v_mul_f64_e32 v[97:98], v[81:82], v[97:98]
	v_fma_f64 v[89:90], v[89:90], v[99:100], v[111:112]
	v_fma_f64 v[87:88], v[87:88], v[99:100], -v[101:102]
	v_add_f64_e32 v[2:3], v[2:3], v[131:132]
	v_add_f64_e32 v[6:7], v[6:7], v[129:130]
	v_fma_f64 v[123:124], v[81:82], v[95:96], v[123:124]
	v_fma_f64 v[95:96], v[79:80], v[95:96], -v[97:98]
	s_delay_alu instid0(VALU_DEP_4) | instskip(NEXT) | instid1(VALU_DEP_4)
	v_add_f64_e32 v[2:3], v[2:3], v[91:92]
	v_add_f64_e32 v[6:7], v[6:7], v[113:114]
	ds_load_b128 v[79:82], v1 offset:896
	ds_load_b128 v[91:94], v1 offset:912
	s_wait_loadcnt_dscnt 0x601
	v_mul_f64_e32 v[97:98], v[79:80], v[105:106]
	v_mul_f64_e32 v[105:106], v[81:82], v[105:106]
	v_add_f64_e32 v[2:3], v[2:3], v[95:96]
	v_add_f64_e32 v[6:7], v[6:7], v[123:124]
	s_wait_loadcnt_dscnt 0x400
	v_mul_f64_e32 v[95:96], v[91:92], v[10:11]
	v_mul_f64_e32 v[10:11], v[93:94], v[10:11]
	v_fma_f64 v[97:98], v[81:82], v[103:104], v[97:98]
	v_fma_f64 v[99:100], v[79:80], v[103:104], -v[105:106]
	v_add_f64_e32 v[2:3], v[2:3], v[87:88]
	v_add_f64_e32 v[6:7], v[6:7], v[89:90]
	ds_load_b128 v[79:82], v1 offset:928
	ds_load_b128 v[87:90], v1 offset:944
	v_fma_f64 v[93:94], v[93:94], v[8:9], v[95:96]
	v_fma_f64 v[8:9], v[91:92], v[8:9], -v[10:11]
	s_wait_loadcnt_dscnt 0x301
	v_mul_f64_e32 v[101:102], v[79:80], v[121:122]
	v_mul_f64_e32 v[103:104], v[81:82], v[121:122]
	s_wait_loadcnt_dscnt 0x200
	v_mul_f64_e32 v[10:11], v[87:88], v[77:78]
	v_mul_f64_e32 v[77:78], v[89:90], v[77:78]
	v_add_f64_e32 v[2:3], v[2:3], v[99:100]
	v_add_f64_e32 v[6:7], v[6:7], v[97:98]
	v_fma_f64 v[81:82], v[81:82], v[119:120], v[101:102]
	v_fma_f64 v[79:80], v[79:80], v[119:120], -v[103:104]
	v_fma_f64 v[10:11], v[89:90], v[75:76], v[10:11]
	v_fma_f64 v[75:76], v[87:88], v[75:76], -v[77:78]
	v_add_f64_e32 v[91:92], v[2:3], v[8:9]
	v_add_f64_e32 v[93:94], v[6:7], v[93:94]
	ds_load_b128 v[6:9], v1 offset:960
	ds_load_b128 v[1:4], v1 offset:976
	s_wait_loadcnt_dscnt 0x1
	v_mul_f64_e32 v[95:96], v[6:7], v[109:110]
	v_mul_f64_e32 v[97:98], v[8:9], v[109:110]
	v_add_f64_e32 v[77:78], v[91:92], v[79:80]
	v_add_f64_e32 v[79:80], v[93:94], v[81:82]
	s_wait_dscnt 0x0
	v_mul_f64_e32 v[81:82], v[1:2], v[85:86]
	v_mul_f64_e32 v[85:86], v[3:4], v[85:86]
	v_fma_f64 v[8:9], v[8:9], v[107:108], v[95:96]
	v_fma_f64 v[6:7], v[6:7], v[107:108], -v[97:98]
	v_add_f64_e32 v[75:76], v[77:78], v[75:76]
	v_add_f64_e32 v[10:11], v[79:80], v[10:11]
	v_fma_f64 v[3:4], v[3:4], v[83:84], v[81:82]
	v_fma_f64 v[1:2], v[1:2], v[83:84], -v[85:86]
	s_delay_alu instid0(VALU_DEP_4) | instskip(NEXT) | instid1(VALU_DEP_4)
	v_add_f64_e32 v[6:7], v[75:76], v[6:7]
	v_add_f64_e32 v[8:9], v[10:11], v[8:9]
	s_delay_alu instid0(VALU_DEP_2) | instskip(NEXT) | instid1(VALU_DEP_2)
	v_add_f64_e32 v[1:2], v[6:7], v[1:2]
	v_add_f64_e32 v[3:4], v[8:9], v[3:4]
	s_delay_alu instid0(VALU_DEP_2) | instskip(NEXT) | instid1(VALU_DEP_2)
	v_add_f64_e64 v[1:2], v[115:116], -v[1:2]
	v_add_f64_e64 v[3:4], v[117:118], -v[3:4]
	scratch_store_b128 off, v[1:4], off offset:272
	v_cmpx_lt_u32_e32 15, v0
	s_cbranch_execz .LBB94_169
; %bb.168:
	scratch_load_b128 v[1:4], off, s29
	v_mov_b32_e32 v6, 0
	s_delay_alu instid0(VALU_DEP_1)
	v_dual_mov_b32 v7, v6 :: v_dual_mov_b32 v8, v6
	v_mov_b32_e32 v9, v6
	scratch_store_b128 off, v[6:9], off offset:256
	s_wait_loadcnt 0x0
	ds_store_b128 v5, v[1:4]
.LBB94_169:
	s_wait_alu 0xfffe
	s_or_b32 exec_lo, exec_lo, s0
	s_wait_storecnt_dscnt 0x0
	s_barrier_signal -1
	s_barrier_wait -1
	global_inv scope:SCOPE_SE
	s_clause 0x7
	scratch_load_b128 v[6:9], off, off offset:272
	scratch_load_b128 v[75:78], off, off offset:288
	;; [unrolled: 1-line block ×8, first 2 shown]
	v_mov_b32_e32 v1, 0
	s_mov_b32 s0, exec_lo
	ds_load_b128 v[103:106], v1 offset:752
	s_clause 0x1
	scratch_load_b128 v[107:110], off, off offset:400
	scratch_load_b128 v[111:114], off, off offset:256
	ds_load_b128 v[115:118], v1 offset:768
	ds_load_b128 v[123:126], v1 offset:800
	s_wait_loadcnt_dscnt 0x902
	v_mul_f64_e32 v[2:3], v[105:106], v[8:9]
	v_mul_f64_e32 v[119:120], v[103:104], v[8:9]
	scratch_load_b128 v[8:11], off, off offset:416
	v_fma_f64 v[2:3], v[103:104], v[6:7], -v[2:3]
	v_fma_f64 v[6:7], v[105:106], v[6:7], v[119:120]
	ds_load_b128 v[103:106], v1 offset:784
	s_wait_loadcnt_dscnt 0x902
	v_mul_f64_e32 v[127:128], v[115:116], v[77:78]
	v_mul_f64_e32 v[77:78], v[117:118], v[77:78]
	scratch_load_b128 v[119:122], off, off offset:432
	s_wait_loadcnt_dscnt 0x900
	v_mul_f64_e32 v[129:130], v[103:104], v[81:82]
	v_mul_f64_e32 v[81:82], v[105:106], v[81:82]
	v_add_f64_e32 v[2:3], 0, v[2:3]
	v_add_f64_e32 v[6:7], 0, v[6:7]
	v_fma_f64 v[117:118], v[117:118], v[75:76], v[127:128]
	v_fma_f64 v[115:116], v[115:116], v[75:76], -v[77:78]
	scratch_load_b128 v[75:78], off, off offset:448
	v_fma_f64 v[129:130], v[105:106], v[79:80], v[129:130]
	v_fma_f64 v[131:132], v[103:104], v[79:80], -v[81:82]
	ds_load_b128 v[79:82], v1 offset:816
	s_wait_loadcnt 0x9
	v_mul_f64_e32 v[127:128], v[123:124], v[85:86]
	v_mul_f64_e32 v[85:86], v[125:126], v[85:86]
	scratch_load_b128 v[103:106], off, off offset:464
	v_add_f64_e32 v[6:7], v[6:7], v[117:118]
	v_add_f64_e32 v[2:3], v[2:3], v[115:116]
	ds_load_b128 v[115:118], v1 offset:832
	s_wait_loadcnt_dscnt 0x901
	v_mul_f64_e32 v[133:134], v[79:80], v[89:90]
	v_mul_f64_e32 v[89:90], v[81:82], v[89:90]
	v_fma_f64 v[125:126], v[125:126], v[83:84], v[127:128]
	v_fma_f64 v[123:124], v[123:124], v[83:84], -v[85:86]
	scratch_load_b128 v[83:86], off, off offset:480
	v_add_f64_e32 v[6:7], v[6:7], v[129:130]
	v_add_f64_e32 v[2:3], v[2:3], v[131:132]
	v_fma_f64 v[129:130], v[81:82], v[87:88], v[133:134]
	v_fma_f64 v[131:132], v[79:80], v[87:88], -v[89:90]
	ds_load_b128 v[79:82], v1 offset:848
	s_wait_loadcnt_dscnt 0x901
	v_mul_f64_e32 v[127:128], v[115:116], v[93:94]
	v_mul_f64_e32 v[93:94], v[117:118], v[93:94]
	scratch_load_b128 v[87:90], off, off offset:496
	s_wait_loadcnt_dscnt 0x900
	v_mul_f64_e32 v[133:134], v[79:80], v[97:98]
	v_mul_f64_e32 v[97:98], v[81:82], v[97:98]
	v_add_f64_e32 v[6:7], v[6:7], v[125:126]
	v_add_f64_e32 v[2:3], v[2:3], v[123:124]
	ds_load_b128 v[123:126], v1 offset:864
	v_fma_f64 v[117:118], v[117:118], v[91:92], v[127:128]
	v_fma_f64 v[91:92], v[115:116], v[91:92], -v[93:94]
	s_wait_loadcnt_dscnt 0x800
	v_mul_f64_e32 v[115:116], v[123:124], v[101:102]
	v_mul_f64_e32 v[101:102], v[125:126], v[101:102]
	v_fma_f64 v[127:128], v[81:82], v[95:96], v[133:134]
	v_fma_f64 v[95:96], v[79:80], v[95:96], -v[97:98]
	v_add_f64_e32 v[6:7], v[6:7], v[129:130]
	v_add_f64_e32 v[2:3], v[2:3], v[131:132]
	v_fma_f64 v[115:116], v[125:126], v[99:100], v[115:116]
	v_fma_f64 v[99:100], v[123:124], v[99:100], -v[101:102]
	s_delay_alu instid0(VALU_DEP_4) | instskip(NEXT) | instid1(VALU_DEP_4)
	v_add_f64_e32 v[6:7], v[6:7], v[117:118]
	v_add_f64_e32 v[2:3], v[2:3], v[91:92]
	ds_load_b128 v[79:82], v1 offset:880
	ds_load_b128 v[91:94], v1 offset:896
	s_wait_loadcnt_dscnt 0x701
	v_mul_f64_e32 v[97:98], v[79:80], v[109:110]
	v_mul_f64_e32 v[109:110], v[81:82], v[109:110]
	v_add_f64_e32 v[6:7], v[6:7], v[127:128]
	v_add_f64_e32 v[2:3], v[2:3], v[95:96]
	s_wait_loadcnt_dscnt 0x500
	v_mul_f64_e32 v[101:102], v[91:92], v[10:11]
	v_mul_f64_e32 v[10:11], v[93:94], v[10:11]
	v_fma_f64 v[117:118], v[81:82], v[107:108], v[97:98]
	v_fma_f64 v[107:108], v[79:80], v[107:108], -v[109:110]
	ds_load_b128 v[79:82], v1 offset:912
	ds_load_b128 v[95:98], v1 offset:928
	v_add_f64_e32 v[6:7], v[6:7], v[115:116]
	v_add_f64_e32 v[2:3], v[2:3], v[99:100]
	v_fma_f64 v[93:94], v[93:94], v[8:9], v[101:102]
	v_fma_f64 v[8:9], v[91:92], v[8:9], -v[10:11]
	s_wait_loadcnt_dscnt 0x401
	v_mul_f64_e32 v[99:100], v[79:80], v[121:122]
	v_mul_f64_e32 v[109:110], v[81:82], v[121:122]
	v_add_f64_e32 v[6:7], v[6:7], v[117:118]
	v_add_f64_e32 v[2:3], v[2:3], v[107:108]
	s_wait_loadcnt_dscnt 0x300
	v_mul_f64_e32 v[10:11], v[95:96], v[77:78]
	v_mul_f64_e32 v[91:92], v[97:98], v[77:78]
	v_fma_f64 v[81:82], v[81:82], v[119:120], v[99:100]
	v_fma_f64 v[99:100], v[79:80], v[119:120], -v[109:110]
	v_add_f64_e32 v[93:94], v[6:7], v[93:94]
	v_add_f64_e32 v[2:3], v[2:3], v[8:9]
	ds_load_b128 v[6:9], v1 offset:944
	ds_load_b128 v[77:80], v1 offset:960
	v_fma_f64 v[10:11], v[97:98], v[75:76], v[10:11]
	v_fma_f64 v[75:76], v[95:96], v[75:76], -v[91:92]
	s_wait_loadcnt_dscnt 0x201
	v_mul_f64_e32 v[101:102], v[6:7], v[105:106]
	v_mul_f64_e32 v[105:106], v[8:9], v[105:106]
	v_add_f64_e32 v[81:82], v[93:94], v[81:82]
	v_add_f64_e32 v[2:3], v[2:3], v[99:100]
	s_wait_loadcnt_dscnt 0x100
	v_mul_f64_e32 v[91:92], v[77:78], v[85:86]
	v_mul_f64_e32 v[85:86], v[79:80], v[85:86]
	v_fma_f64 v[93:94], v[8:9], v[103:104], v[101:102]
	v_fma_f64 v[95:96], v[6:7], v[103:104], -v[105:106]
	ds_load_b128 v[6:9], v1 offset:976
	v_add_f64_e32 v[10:11], v[81:82], v[10:11]
	v_add_f64_e32 v[2:3], v[2:3], v[75:76]
	v_fma_f64 v[79:80], v[79:80], v[83:84], v[91:92]
	v_fma_f64 v[77:78], v[77:78], v[83:84], -v[85:86]
	s_wait_loadcnt_dscnt 0x0
	v_mul_f64_e32 v[75:76], v[6:7], v[89:90]
	v_mul_f64_e32 v[81:82], v[8:9], v[89:90]
	v_add_f64_e32 v[10:11], v[10:11], v[93:94]
	v_add_f64_e32 v[2:3], v[2:3], v[95:96]
	s_delay_alu instid0(VALU_DEP_4) | instskip(NEXT) | instid1(VALU_DEP_4)
	v_fma_f64 v[8:9], v[8:9], v[87:88], v[75:76]
	v_fma_f64 v[6:7], v[6:7], v[87:88], -v[81:82]
	s_delay_alu instid0(VALU_DEP_4) | instskip(NEXT) | instid1(VALU_DEP_4)
	v_add_f64_e32 v[10:11], v[10:11], v[79:80]
	v_add_f64_e32 v[2:3], v[2:3], v[77:78]
	s_delay_alu instid0(VALU_DEP_2) | instskip(NEXT) | instid1(VALU_DEP_2)
	v_add_f64_e32 v[8:9], v[10:11], v[8:9]
	v_add_f64_e32 v[2:3], v[2:3], v[6:7]
	s_delay_alu instid0(VALU_DEP_2) | instskip(NEXT) | instid1(VALU_DEP_2)
	v_add_f64_e64 v[8:9], v[113:114], -v[8:9]
	v_add_f64_e64 v[6:7], v[111:112], -v[2:3]
	scratch_store_b128 off, v[6:9], off offset:256
	v_cmpx_lt_u32_e32 14, v0
	s_cbranch_execz .LBB94_171
; %bb.170:
	scratch_load_b128 v[6:9], off, s14
	v_dual_mov_b32 v2, v1 :: v_dual_mov_b32 v3, v1
	v_mov_b32_e32 v4, v1
	scratch_store_b128 off, v[1:4], off offset:240
	s_wait_loadcnt 0x0
	ds_store_b128 v5, v[6:9]
.LBB94_171:
	s_wait_alu 0xfffe
	s_or_b32 exec_lo, exec_lo, s0
	s_wait_storecnt_dscnt 0x0
	s_barrier_signal -1
	s_barrier_wait -1
	global_inv scope:SCOPE_SE
	s_clause 0x8
	scratch_load_b128 v[6:9], off, off offset:256
	scratch_load_b128 v[75:78], off, off offset:272
	;; [unrolled: 1-line block ×9, first 2 shown]
	ds_load_b128 v[107:110], v1 offset:736
	ds_load_b128 v[111:114], v1 offset:752
	scratch_load_b128 v[115:118], off, off offset:240
	s_mov_b32 s0, exec_lo
	ds_load_b128 v[123:126], v1 offset:784
	s_wait_loadcnt_dscnt 0x902
	v_mul_f64_e32 v[2:3], v[109:110], v[8:9]
	v_mul_f64_e32 v[119:120], v[107:108], v[8:9]
	scratch_load_b128 v[8:11], off, off offset:400
	s_wait_loadcnt_dscnt 0x901
	v_mul_f64_e32 v[127:128], v[111:112], v[77:78]
	v_mul_f64_e32 v[77:78], v[113:114], v[77:78]
	v_fma_f64 v[2:3], v[107:108], v[6:7], -v[2:3]
	v_fma_f64 v[6:7], v[109:110], v[6:7], v[119:120]
	ds_load_b128 v[107:110], v1 offset:768
	scratch_load_b128 v[119:122], off, off offset:416
	v_fma_f64 v[113:114], v[113:114], v[75:76], v[127:128]
	v_fma_f64 v[111:112], v[111:112], v[75:76], -v[77:78]
	scratch_load_b128 v[75:78], off, off offset:432
	s_wait_loadcnt_dscnt 0x901
	v_mul_f64_e32 v[127:128], v[123:124], v[85:86]
	v_mul_f64_e32 v[85:86], v[125:126], v[85:86]
	s_wait_dscnt 0x0
	v_mul_f64_e32 v[129:130], v[107:108], v[81:82]
	v_mul_f64_e32 v[81:82], v[109:110], v[81:82]
	v_add_f64_e32 v[2:3], 0, v[2:3]
	v_add_f64_e32 v[6:7], 0, v[6:7]
	v_fma_f64 v[125:126], v[125:126], v[83:84], v[127:128]
	v_fma_f64 v[123:124], v[123:124], v[83:84], -v[85:86]
	scratch_load_b128 v[83:86], off, off offset:464
	v_fma_f64 v[129:130], v[109:110], v[79:80], v[129:130]
	v_fma_f64 v[131:132], v[107:108], v[79:80], -v[81:82]
	ds_load_b128 v[79:82], v1 offset:800
	scratch_load_b128 v[107:110], off, off offset:448
	v_add_f64_e32 v[2:3], v[2:3], v[111:112]
	v_add_f64_e32 v[6:7], v[6:7], v[113:114]
	ds_load_b128 v[111:114], v1 offset:816
	s_wait_loadcnt_dscnt 0xa01
	v_mul_f64_e32 v[133:134], v[79:80], v[89:90]
	v_mul_f64_e32 v[89:90], v[81:82], v[89:90]
	s_wait_loadcnt_dscnt 0x900
	v_mul_f64_e32 v[127:128], v[111:112], v[93:94]
	v_mul_f64_e32 v[93:94], v[113:114], v[93:94]
	v_add_f64_e32 v[2:3], v[2:3], v[131:132]
	v_add_f64_e32 v[6:7], v[6:7], v[129:130]
	v_fma_f64 v[129:130], v[81:82], v[87:88], v[133:134]
	v_fma_f64 v[131:132], v[79:80], v[87:88], -v[89:90]
	ds_load_b128 v[79:82], v1 offset:832
	scratch_load_b128 v[87:90], off, off offset:480
	v_fma_f64 v[113:114], v[113:114], v[91:92], v[127:128]
	v_fma_f64 v[111:112], v[111:112], v[91:92], -v[93:94]
	scratch_load_b128 v[91:94], off, off offset:496
	v_add_f64_e32 v[2:3], v[2:3], v[123:124]
	v_add_f64_e32 v[6:7], v[6:7], v[125:126]
	ds_load_b128 v[123:126], v1 offset:848
	s_wait_loadcnt_dscnt 0xa01
	v_mul_f64_e32 v[133:134], v[79:80], v[97:98]
	v_mul_f64_e32 v[97:98], v[81:82], v[97:98]
	s_wait_loadcnt_dscnt 0x900
	v_mul_f64_e32 v[127:128], v[123:124], v[101:102]
	v_mul_f64_e32 v[101:102], v[125:126], v[101:102]
	v_add_f64_e32 v[2:3], v[2:3], v[131:132]
	v_add_f64_e32 v[6:7], v[6:7], v[129:130]
	v_fma_f64 v[129:130], v[81:82], v[95:96], v[133:134]
	v_fma_f64 v[131:132], v[79:80], v[95:96], -v[97:98]
	ds_load_b128 v[79:82], v1 offset:864
	ds_load_b128 v[95:98], v1 offset:880
	v_add_f64_e32 v[2:3], v[2:3], v[111:112]
	v_add_f64_e32 v[6:7], v[6:7], v[113:114]
	s_wait_loadcnt_dscnt 0x801
	v_mul_f64_e32 v[111:112], v[79:80], v[105:106]
	v_mul_f64_e32 v[105:106], v[81:82], v[105:106]
	v_fma_f64 v[113:114], v[125:126], v[99:100], v[127:128]
	v_fma_f64 v[99:100], v[123:124], v[99:100], -v[101:102]
	v_add_f64_e32 v[2:3], v[2:3], v[131:132]
	v_add_f64_e32 v[6:7], v[6:7], v[129:130]
	v_fma_f64 v[111:112], v[81:82], v[103:104], v[111:112]
	v_fma_f64 v[103:104], v[79:80], v[103:104], -v[105:106]
	s_wait_loadcnt_dscnt 0x600
	v_mul_f64_e32 v[123:124], v[95:96], v[10:11]
	v_mul_f64_e32 v[10:11], v[97:98], v[10:11]
	v_add_f64_e32 v[2:3], v[2:3], v[99:100]
	v_add_f64_e32 v[6:7], v[6:7], v[113:114]
	ds_load_b128 v[79:82], v1 offset:896
	ds_load_b128 v[99:102], v1 offset:912
	v_fma_f64 v[97:98], v[97:98], v[8:9], v[123:124]
	v_fma_f64 v[8:9], v[95:96], v[8:9], -v[10:11]
	s_wait_loadcnt_dscnt 0x501
	v_mul_f64_e32 v[105:106], v[79:80], v[121:122]
	v_mul_f64_e32 v[113:114], v[81:82], v[121:122]
	s_wait_loadcnt_dscnt 0x400
	v_mul_f64_e32 v[10:11], v[99:100], v[77:78]
	v_mul_f64_e32 v[95:96], v[101:102], v[77:78]
	v_add_f64_e32 v[2:3], v[2:3], v[103:104]
	v_add_f64_e32 v[6:7], v[6:7], v[111:112]
	v_fma_f64 v[81:82], v[81:82], v[119:120], v[105:106]
	v_fma_f64 v[103:104], v[79:80], v[119:120], -v[113:114]
	v_fma_f64 v[10:11], v[101:102], v[75:76], v[10:11]
	v_fma_f64 v[75:76], v[99:100], v[75:76], -v[95:96]
	v_add_f64_e32 v[2:3], v[2:3], v[8:9]
	v_add_f64_e32 v[97:98], v[6:7], v[97:98]
	ds_load_b128 v[6:9], v1 offset:928
	ds_load_b128 v[77:80], v1 offset:944
	s_wait_loadcnt_dscnt 0x201
	v_mul_f64_e32 v[105:106], v[6:7], v[109:110]
	v_mul_f64_e32 v[109:110], v[8:9], v[109:110]
	s_wait_dscnt 0x0
	v_mul_f64_e32 v[95:96], v[77:78], v[85:86]
	v_mul_f64_e32 v[85:86], v[79:80], v[85:86]
	v_add_f64_e32 v[2:3], v[2:3], v[103:104]
	v_add_f64_e32 v[81:82], v[97:98], v[81:82]
	v_fma_f64 v[97:98], v[8:9], v[107:108], v[105:106]
	v_fma_f64 v[99:100], v[6:7], v[107:108], -v[109:110]
	v_fma_f64 v[79:80], v[79:80], v[83:84], v[95:96]
	v_fma_f64 v[77:78], v[77:78], v[83:84], -v[85:86]
	v_add_f64_e32 v[75:76], v[2:3], v[75:76]
	v_add_f64_e32 v[10:11], v[81:82], v[10:11]
	ds_load_b128 v[6:9], v1 offset:960
	ds_load_b128 v[1:4], v1 offset:976
	s_wait_loadcnt_dscnt 0x101
	v_mul_f64_e32 v[81:82], v[6:7], v[89:90]
	v_mul_f64_e32 v[89:90], v[8:9], v[89:90]
	s_wait_loadcnt_dscnt 0x0
	v_mul_f64_e32 v[83:84], v[1:2], v[93:94]
	v_mul_f64_e32 v[85:86], v[3:4], v[93:94]
	v_add_f64_e32 v[75:76], v[75:76], v[99:100]
	v_add_f64_e32 v[10:11], v[10:11], v[97:98]
	v_fma_f64 v[8:9], v[8:9], v[87:88], v[81:82]
	v_fma_f64 v[6:7], v[6:7], v[87:88], -v[89:90]
	v_fma_f64 v[3:4], v[3:4], v[91:92], v[83:84]
	v_fma_f64 v[1:2], v[1:2], v[91:92], -v[85:86]
	v_add_f64_e32 v[75:76], v[75:76], v[77:78]
	v_add_f64_e32 v[10:11], v[10:11], v[79:80]
	s_delay_alu instid0(VALU_DEP_2) | instskip(NEXT) | instid1(VALU_DEP_2)
	v_add_f64_e32 v[6:7], v[75:76], v[6:7]
	v_add_f64_e32 v[8:9], v[10:11], v[8:9]
	s_delay_alu instid0(VALU_DEP_2) | instskip(NEXT) | instid1(VALU_DEP_2)
	;; [unrolled: 3-line block ×3, first 2 shown]
	v_add_f64_e64 v[1:2], v[115:116], -v[1:2]
	v_add_f64_e64 v[3:4], v[117:118], -v[3:4]
	scratch_store_b128 off, v[1:4], off offset:240
	v_cmpx_lt_u32_e32 13, v0
	s_cbranch_execz .LBB94_173
; %bb.172:
	scratch_load_b128 v[1:4], off, s28
	v_mov_b32_e32 v6, 0
	s_delay_alu instid0(VALU_DEP_1)
	v_dual_mov_b32 v7, v6 :: v_dual_mov_b32 v8, v6
	v_mov_b32_e32 v9, v6
	scratch_store_b128 off, v[6:9], off offset:224
	s_wait_loadcnt 0x0
	ds_store_b128 v5, v[1:4]
.LBB94_173:
	s_wait_alu 0xfffe
	s_or_b32 exec_lo, exec_lo, s0
	s_wait_storecnt_dscnt 0x0
	s_barrier_signal -1
	s_barrier_wait -1
	global_inv scope:SCOPE_SE
	s_clause 0x7
	scratch_load_b128 v[6:9], off, off offset:240
	scratch_load_b128 v[75:78], off, off offset:256
	;; [unrolled: 1-line block ×8, first 2 shown]
	v_mov_b32_e32 v1, 0
	s_mov_b32 s0, exec_lo
	ds_load_b128 v[103:106], v1 offset:720
	s_clause 0x1
	scratch_load_b128 v[107:110], off, off offset:368
	scratch_load_b128 v[111:114], off, off offset:224
	ds_load_b128 v[115:118], v1 offset:736
	ds_load_b128 v[123:126], v1 offset:768
	s_wait_loadcnt_dscnt 0x902
	v_mul_f64_e32 v[2:3], v[105:106], v[8:9]
	v_mul_f64_e32 v[119:120], v[103:104], v[8:9]
	scratch_load_b128 v[8:11], off, off offset:384
	v_fma_f64 v[2:3], v[103:104], v[6:7], -v[2:3]
	v_fma_f64 v[6:7], v[105:106], v[6:7], v[119:120]
	ds_load_b128 v[103:106], v1 offset:752
	s_wait_loadcnt_dscnt 0x902
	v_mul_f64_e32 v[127:128], v[115:116], v[77:78]
	v_mul_f64_e32 v[77:78], v[117:118], v[77:78]
	scratch_load_b128 v[119:122], off, off offset:400
	s_wait_loadcnt_dscnt 0x900
	v_mul_f64_e32 v[129:130], v[103:104], v[81:82]
	v_mul_f64_e32 v[81:82], v[105:106], v[81:82]
	v_add_f64_e32 v[2:3], 0, v[2:3]
	v_add_f64_e32 v[6:7], 0, v[6:7]
	v_fma_f64 v[117:118], v[117:118], v[75:76], v[127:128]
	v_fma_f64 v[115:116], v[115:116], v[75:76], -v[77:78]
	scratch_load_b128 v[75:78], off, off offset:416
	v_fma_f64 v[129:130], v[105:106], v[79:80], v[129:130]
	v_fma_f64 v[131:132], v[103:104], v[79:80], -v[81:82]
	ds_load_b128 v[79:82], v1 offset:784
	s_wait_loadcnt 0x9
	v_mul_f64_e32 v[127:128], v[123:124], v[85:86]
	v_mul_f64_e32 v[85:86], v[125:126], v[85:86]
	scratch_load_b128 v[103:106], off, off offset:432
	v_add_f64_e32 v[6:7], v[6:7], v[117:118]
	v_add_f64_e32 v[2:3], v[2:3], v[115:116]
	ds_load_b128 v[115:118], v1 offset:800
	s_wait_loadcnt_dscnt 0x901
	v_mul_f64_e32 v[133:134], v[79:80], v[89:90]
	v_mul_f64_e32 v[89:90], v[81:82], v[89:90]
	v_fma_f64 v[125:126], v[125:126], v[83:84], v[127:128]
	v_fma_f64 v[123:124], v[123:124], v[83:84], -v[85:86]
	scratch_load_b128 v[83:86], off, off offset:448
	v_add_f64_e32 v[6:7], v[6:7], v[129:130]
	v_add_f64_e32 v[2:3], v[2:3], v[131:132]
	v_fma_f64 v[129:130], v[81:82], v[87:88], v[133:134]
	v_fma_f64 v[131:132], v[79:80], v[87:88], -v[89:90]
	ds_load_b128 v[79:82], v1 offset:816
	s_wait_loadcnt_dscnt 0x901
	v_mul_f64_e32 v[127:128], v[115:116], v[93:94]
	v_mul_f64_e32 v[93:94], v[117:118], v[93:94]
	scratch_load_b128 v[87:90], off, off offset:464
	s_wait_loadcnt_dscnt 0x900
	v_mul_f64_e32 v[133:134], v[79:80], v[97:98]
	v_mul_f64_e32 v[97:98], v[81:82], v[97:98]
	v_add_f64_e32 v[6:7], v[6:7], v[125:126]
	v_add_f64_e32 v[2:3], v[2:3], v[123:124]
	ds_load_b128 v[123:126], v1 offset:832
	v_fma_f64 v[117:118], v[117:118], v[91:92], v[127:128]
	v_fma_f64 v[115:116], v[115:116], v[91:92], -v[93:94]
	scratch_load_b128 v[91:94], off, off offset:480
	v_add_f64_e32 v[6:7], v[6:7], v[129:130]
	v_add_f64_e32 v[2:3], v[2:3], v[131:132]
	v_fma_f64 v[129:130], v[81:82], v[95:96], v[133:134]
	v_fma_f64 v[131:132], v[79:80], v[95:96], -v[97:98]
	ds_load_b128 v[79:82], v1 offset:848
	s_wait_loadcnt_dscnt 0x901
	v_mul_f64_e32 v[127:128], v[123:124], v[101:102]
	v_mul_f64_e32 v[101:102], v[125:126], v[101:102]
	scratch_load_b128 v[95:98], off, off offset:496
	s_wait_loadcnt_dscnt 0x900
	v_mul_f64_e32 v[133:134], v[79:80], v[109:110]
	v_mul_f64_e32 v[109:110], v[81:82], v[109:110]
	v_add_f64_e32 v[6:7], v[6:7], v[117:118]
	v_add_f64_e32 v[2:3], v[2:3], v[115:116]
	ds_load_b128 v[115:118], v1 offset:864
	v_fma_f64 v[125:126], v[125:126], v[99:100], v[127:128]
	v_fma_f64 v[99:100], v[123:124], v[99:100], -v[101:102]
	v_fma_f64 v[127:128], v[81:82], v[107:108], v[133:134]
	v_fma_f64 v[107:108], v[79:80], v[107:108], -v[109:110]
	v_add_f64_e32 v[6:7], v[6:7], v[129:130]
	v_add_f64_e32 v[2:3], v[2:3], v[131:132]
	s_wait_loadcnt_dscnt 0x700
	v_mul_f64_e32 v[123:124], v[115:116], v[10:11]
	v_mul_f64_e32 v[10:11], v[117:118], v[10:11]
	s_delay_alu instid0(VALU_DEP_4) | instskip(NEXT) | instid1(VALU_DEP_4)
	v_add_f64_e32 v[6:7], v[6:7], v[125:126]
	v_add_f64_e32 v[2:3], v[2:3], v[99:100]
	ds_load_b128 v[79:82], v1 offset:880
	ds_load_b128 v[99:102], v1 offset:896
	v_fma_f64 v[117:118], v[117:118], v[8:9], v[123:124]
	v_fma_f64 v[8:9], v[115:116], v[8:9], -v[10:11]
	s_wait_loadcnt_dscnt 0x601
	v_mul_f64_e32 v[109:110], v[79:80], v[121:122]
	v_mul_f64_e32 v[121:122], v[81:82], v[121:122]
	v_add_f64_e32 v[6:7], v[6:7], v[127:128]
	v_add_f64_e32 v[2:3], v[2:3], v[107:108]
	s_wait_loadcnt_dscnt 0x500
	v_mul_f64_e32 v[10:11], v[99:100], v[77:78]
	v_mul_f64_e32 v[107:108], v[101:102], v[77:78]
	v_fma_f64 v[81:82], v[81:82], v[119:120], v[109:110]
	v_fma_f64 v[109:110], v[79:80], v[119:120], -v[121:122]
	v_add_f64_e32 v[115:116], v[6:7], v[117:118]
	v_add_f64_e32 v[2:3], v[2:3], v[8:9]
	ds_load_b128 v[6:9], v1 offset:912
	ds_load_b128 v[77:80], v1 offset:928
	v_fma_f64 v[10:11], v[101:102], v[75:76], v[10:11]
	v_fma_f64 v[75:76], v[99:100], v[75:76], -v[107:108]
	s_wait_loadcnt_dscnt 0x401
	v_mul_f64_e32 v[117:118], v[6:7], v[105:106]
	v_mul_f64_e32 v[105:106], v[8:9], v[105:106]
	v_add_f64_e32 v[81:82], v[115:116], v[81:82]
	v_add_f64_e32 v[2:3], v[2:3], v[109:110]
	s_wait_loadcnt_dscnt 0x300
	v_mul_f64_e32 v[107:108], v[77:78], v[85:86]
	v_mul_f64_e32 v[85:86], v[79:80], v[85:86]
	v_fma_f64 v[109:110], v[8:9], v[103:104], v[117:118]
	v_fma_f64 v[103:104], v[6:7], v[103:104], -v[105:106]
	ds_load_b128 v[6:9], v1 offset:944
	ds_load_b128 v[99:102], v1 offset:960
	v_add_f64_e32 v[10:11], v[81:82], v[10:11]
	v_add_f64_e32 v[2:3], v[2:3], v[75:76]
	v_fma_f64 v[79:80], v[79:80], v[83:84], v[107:108]
	v_fma_f64 v[77:78], v[77:78], v[83:84], -v[85:86]
	s_wait_loadcnt_dscnt 0x201
	v_mul_f64_e32 v[75:76], v[6:7], v[89:90]
	v_mul_f64_e32 v[81:82], v[8:9], v[89:90]
	s_wait_loadcnt_dscnt 0x100
	v_mul_f64_e32 v[83:84], v[99:100], v[93:94]
	v_mul_f64_e32 v[85:86], v[101:102], v[93:94]
	v_add_f64_e32 v[10:11], v[10:11], v[109:110]
	v_add_f64_e32 v[2:3], v[2:3], v[103:104]
	v_fma_f64 v[75:76], v[8:9], v[87:88], v[75:76]
	v_fma_f64 v[81:82], v[6:7], v[87:88], -v[81:82]
	ds_load_b128 v[6:9], v1 offset:976
	v_fma_f64 v[83:84], v[101:102], v[91:92], v[83:84]
	v_fma_f64 v[85:86], v[99:100], v[91:92], -v[85:86]
	v_add_f64_e32 v[10:11], v[10:11], v[79:80]
	v_add_f64_e32 v[2:3], v[2:3], v[77:78]
	s_wait_loadcnt_dscnt 0x0
	v_mul_f64_e32 v[77:78], v[6:7], v[97:98]
	v_mul_f64_e32 v[79:80], v[8:9], v[97:98]
	s_delay_alu instid0(VALU_DEP_4) | instskip(NEXT) | instid1(VALU_DEP_4)
	v_add_f64_e32 v[10:11], v[10:11], v[75:76]
	v_add_f64_e32 v[2:3], v[2:3], v[81:82]
	s_delay_alu instid0(VALU_DEP_4) | instskip(NEXT) | instid1(VALU_DEP_4)
	v_fma_f64 v[8:9], v[8:9], v[95:96], v[77:78]
	v_fma_f64 v[6:7], v[6:7], v[95:96], -v[79:80]
	s_delay_alu instid0(VALU_DEP_4) | instskip(NEXT) | instid1(VALU_DEP_4)
	v_add_f64_e32 v[10:11], v[10:11], v[83:84]
	v_add_f64_e32 v[2:3], v[2:3], v[85:86]
	s_delay_alu instid0(VALU_DEP_2) | instskip(NEXT) | instid1(VALU_DEP_2)
	v_add_f64_e32 v[8:9], v[10:11], v[8:9]
	v_add_f64_e32 v[2:3], v[2:3], v[6:7]
	s_delay_alu instid0(VALU_DEP_2) | instskip(NEXT) | instid1(VALU_DEP_2)
	v_add_f64_e64 v[8:9], v[113:114], -v[8:9]
	v_add_f64_e64 v[6:7], v[111:112], -v[2:3]
	scratch_store_b128 off, v[6:9], off offset:224
	v_cmpx_lt_u32_e32 12, v0
	s_cbranch_execz .LBB94_175
; %bb.174:
	scratch_load_b128 v[6:9], off, s13
	v_dual_mov_b32 v2, v1 :: v_dual_mov_b32 v3, v1
	v_mov_b32_e32 v4, v1
	scratch_store_b128 off, v[1:4], off offset:208
	s_wait_loadcnt 0x0
	ds_store_b128 v5, v[6:9]
.LBB94_175:
	s_wait_alu 0xfffe
	s_or_b32 exec_lo, exec_lo, s0
	s_wait_storecnt_dscnt 0x0
	s_barrier_signal -1
	s_barrier_wait -1
	global_inv scope:SCOPE_SE
	s_clause 0x8
	scratch_load_b128 v[6:9], off, off offset:224
	scratch_load_b128 v[75:78], off, off offset:240
	;; [unrolled: 1-line block ×9, first 2 shown]
	ds_load_b128 v[107:110], v1 offset:704
	ds_load_b128 v[111:114], v1 offset:720
	scratch_load_b128 v[115:118], off, off offset:208
	s_mov_b32 s0, exec_lo
	ds_load_b128 v[123:126], v1 offset:752
	s_wait_loadcnt_dscnt 0x902
	v_mul_f64_e32 v[2:3], v[109:110], v[8:9]
	v_mul_f64_e32 v[119:120], v[107:108], v[8:9]
	scratch_load_b128 v[8:11], off, off offset:368
	s_wait_loadcnt_dscnt 0x901
	v_mul_f64_e32 v[127:128], v[111:112], v[77:78]
	v_mul_f64_e32 v[77:78], v[113:114], v[77:78]
	v_fma_f64 v[2:3], v[107:108], v[6:7], -v[2:3]
	v_fma_f64 v[6:7], v[109:110], v[6:7], v[119:120]
	ds_load_b128 v[107:110], v1 offset:736
	scratch_load_b128 v[119:122], off, off offset:384
	v_fma_f64 v[113:114], v[113:114], v[75:76], v[127:128]
	v_fma_f64 v[111:112], v[111:112], v[75:76], -v[77:78]
	scratch_load_b128 v[75:78], off, off offset:400
	s_wait_loadcnt_dscnt 0x901
	v_mul_f64_e32 v[127:128], v[123:124], v[85:86]
	v_mul_f64_e32 v[85:86], v[125:126], v[85:86]
	s_wait_dscnt 0x0
	v_mul_f64_e32 v[129:130], v[107:108], v[81:82]
	v_mul_f64_e32 v[81:82], v[109:110], v[81:82]
	v_add_f64_e32 v[2:3], 0, v[2:3]
	v_add_f64_e32 v[6:7], 0, v[6:7]
	v_fma_f64 v[125:126], v[125:126], v[83:84], v[127:128]
	v_fma_f64 v[123:124], v[123:124], v[83:84], -v[85:86]
	scratch_load_b128 v[83:86], off, off offset:432
	v_fma_f64 v[129:130], v[109:110], v[79:80], v[129:130]
	v_fma_f64 v[131:132], v[107:108], v[79:80], -v[81:82]
	ds_load_b128 v[79:82], v1 offset:768
	scratch_load_b128 v[107:110], off, off offset:416
	v_add_f64_e32 v[2:3], v[2:3], v[111:112]
	v_add_f64_e32 v[6:7], v[6:7], v[113:114]
	ds_load_b128 v[111:114], v1 offset:784
	s_wait_loadcnt_dscnt 0xa01
	v_mul_f64_e32 v[133:134], v[79:80], v[89:90]
	v_mul_f64_e32 v[89:90], v[81:82], v[89:90]
	s_wait_loadcnt_dscnt 0x900
	v_mul_f64_e32 v[127:128], v[111:112], v[93:94]
	v_mul_f64_e32 v[93:94], v[113:114], v[93:94]
	v_add_f64_e32 v[2:3], v[2:3], v[131:132]
	v_add_f64_e32 v[6:7], v[6:7], v[129:130]
	v_fma_f64 v[129:130], v[81:82], v[87:88], v[133:134]
	v_fma_f64 v[131:132], v[79:80], v[87:88], -v[89:90]
	ds_load_b128 v[79:82], v1 offset:800
	scratch_load_b128 v[87:90], off, off offset:448
	v_fma_f64 v[113:114], v[113:114], v[91:92], v[127:128]
	v_fma_f64 v[111:112], v[111:112], v[91:92], -v[93:94]
	scratch_load_b128 v[91:94], off, off offset:464
	v_add_f64_e32 v[2:3], v[2:3], v[123:124]
	v_add_f64_e32 v[6:7], v[6:7], v[125:126]
	ds_load_b128 v[123:126], v1 offset:816
	s_wait_loadcnt_dscnt 0xa01
	v_mul_f64_e32 v[133:134], v[79:80], v[97:98]
	v_mul_f64_e32 v[97:98], v[81:82], v[97:98]
	s_wait_loadcnt_dscnt 0x900
	v_mul_f64_e32 v[127:128], v[123:124], v[101:102]
	v_mul_f64_e32 v[101:102], v[125:126], v[101:102]
	v_add_f64_e32 v[2:3], v[2:3], v[131:132]
	v_add_f64_e32 v[6:7], v[6:7], v[129:130]
	v_fma_f64 v[129:130], v[81:82], v[95:96], v[133:134]
	v_fma_f64 v[131:132], v[79:80], v[95:96], -v[97:98]
	ds_load_b128 v[79:82], v1 offset:832
	scratch_load_b128 v[95:98], off, off offset:480
	v_fma_f64 v[125:126], v[125:126], v[99:100], v[127:128]
	v_fma_f64 v[123:124], v[123:124], v[99:100], -v[101:102]
	scratch_load_b128 v[99:102], off, off offset:496
	v_add_f64_e32 v[2:3], v[2:3], v[111:112]
	v_add_f64_e32 v[6:7], v[6:7], v[113:114]
	ds_load_b128 v[111:114], v1 offset:848
	s_wait_loadcnt_dscnt 0xa01
	v_mul_f64_e32 v[133:134], v[79:80], v[105:106]
	v_mul_f64_e32 v[105:106], v[81:82], v[105:106]
	v_add_f64_e32 v[2:3], v[2:3], v[131:132]
	v_add_f64_e32 v[6:7], v[6:7], v[129:130]
	s_delay_alu instid0(VALU_DEP_4) | instskip(NEXT) | instid1(VALU_DEP_4)
	v_fma_f64 v[129:130], v[81:82], v[103:104], v[133:134]
	v_fma_f64 v[131:132], v[79:80], v[103:104], -v[105:106]
	ds_load_b128 v[79:82], v1 offset:864
	ds_load_b128 v[103:106], v1 offset:880
	s_wait_loadcnt_dscnt 0x802
	v_mul_f64_e32 v[127:128], v[111:112], v[10:11]
	v_mul_f64_e32 v[10:11], v[113:114], v[10:11]
	v_add_f64_e32 v[2:3], v[2:3], v[123:124]
	v_add_f64_e32 v[6:7], v[6:7], v[125:126]
	s_delay_alu instid0(VALU_DEP_4)
	v_fma_f64 v[113:114], v[113:114], v[8:9], v[127:128]
	s_wait_loadcnt_dscnt 0x701
	v_mul_f64_e32 v[123:124], v[79:80], v[121:122]
	v_mul_f64_e32 v[121:122], v[81:82], v[121:122]
	v_fma_f64 v[8:9], v[111:112], v[8:9], -v[10:11]
	s_wait_loadcnt_dscnt 0x600
	v_mul_f64_e32 v[10:11], v[103:104], v[77:78]
	v_mul_f64_e32 v[111:112], v[105:106], v[77:78]
	v_add_f64_e32 v[2:3], v[2:3], v[131:132]
	v_add_f64_e32 v[6:7], v[6:7], v[129:130]
	v_fma_f64 v[81:82], v[81:82], v[119:120], v[123:124]
	v_fma_f64 v[119:120], v[79:80], v[119:120], -v[121:122]
	v_fma_f64 v[10:11], v[105:106], v[75:76], v[10:11]
	v_fma_f64 v[75:76], v[103:104], v[75:76], -v[111:112]
	v_add_f64_e32 v[2:3], v[2:3], v[8:9]
	v_add_f64_e32 v[113:114], v[6:7], v[113:114]
	ds_load_b128 v[6:9], v1 offset:896
	ds_load_b128 v[77:80], v1 offset:912
	s_wait_loadcnt_dscnt 0x401
	v_mul_f64_e32 v[121:122], v[6:7], v[109:110]
	v_mul_f64_e32 v[109:110], v[8:9], v[109:110]
	s_wait_dscnt 0x0
	v_mul_f64_e32 v[111:112], v[77:78], v[85:86]
	v_mul_f64_e32 v[85:86], v[79:80], v[85:86]
	v_add_f64_e32 v[2:3], v[2:3], v[119:120]
	v_add_f64_e32 v[81:82], v[113:114], v[81:82]
	v_fma_f64 v[113:114], v[8:9], v[107:108], v[121:122]
	v_fma_f64 v[107:108], v[6:7], v[107:108], -v[109:110]
	ds_load_b128 v[6:9], v1 offset:928
	ds_load_b128 v[103:106], v1 offset:944
	v_fma_f64 v[79:80], v[79:80], v[83:84], v[111:112]
	v_fma_f64 v[77:78], v[77:78], v[83:84], -v[85:86]
	v_add_f64_e32 v[2:3], v[2:3], v[75:76]
	v_add_f64_e32 v[10:11], v[81:82], v[10:11]
	s_wait_loadcnt_dscnt 0x301
	v_mul_f64_e32 v[75:76], v[6:7], v[89:90]
	v_mul_f64_e32 v[81:82], v[8:9], v[89:90]
	s_wait_loadcnt_dscnt 0x200
	v_mul_f64_e32 v[83:84], v[103:104], v[93:94]
	v_mul_f64_e32 v[85:86], v[105:106], v[93:94]
	v_add_f64_e32 v[2:3], v[2:3], v[107:108]
	v_add_f64_e32 v[10:11], v[10:11], v[113:114]
	v_fma_f64 v[75:76], v[8:9], v[87:88], v[75:76]
	v_fma_f64 v[81:82], v[6:7], v[87:88], -v[81:82]
	v_fma_f64 v[83:84], v[105:106], v[91:92], v[83:84]
	v_fma_f64 v[85:86], v[103:104], v[91:92], -v[85:86]
	v_add_f64_e32 v[77:78], v[2:3], v[77:78]
	v_add_f64_e32 v[10:11], v[10:11], v[79:80]
	ds_load_b128 v[6:9], v1 offset:960
	ds_load_b128 v[1:4], v1 offset:976
	s_wait_loadcnt_dscnt 0x101
	v_mul_f64_e32 v[79:80], v[6:7], v[97:98]
	v_mul_f64_e32 v[87:88], v[8:9], v[97:98]
	v_add_f64_e32 v[77:78], v[77:78], v[81:82]
	v_add_f64_e32 v[10:11], v[10:11], v[75:76]
	s_wait_loadcnt_dscnt 0x0
	v_mul_f64_e32 v[75:76], v[1:2], v[101:102]
	v_mul_f64_e32 v[81:82], v[3:4], v[101:102]
	v_fma_f64 v[8:9], v[8:9], v[95:96], v[79:80]
	v_fma_f64 v[6:7], v[6:7], v[95:96], -v[87:88]
	v_add_f64_e32 v[77:78], v[77:78], v[85:86]
	v_add_f64_e32 v[10:11], v[10:11], v[83:84]
	v_fma_f64 v[3:4], v[3:4], v[99:100], v[75:76]
	v_fma_f64 v[1:2], v[1:2], v[99:100], -v[81:82]
	s_delay_alu instid0(VALU_DEP_4) | instskip(NEXT) | instid1(VALU_DEP_4)
	v_add_f64_e32 v[6:7], v[77:78], v[6:7]
	v_add_f64_e32 v[8:9], v[10:11], v[8:9]
	s_delay_alu instid0(VALU_DEP_2) | instskip(NEXT) | instid1(VALU_DEP_2)
	v_add_f64_e32 v[1:2], v[6:7], v[1:2]
	v_add_f64_e32 v[3:4], v[8:9], v[3:4]
	s_delay_alu instid0(VALU_DEP_2) | instskip(NEXT) | instid1(VALU_DEP_2)
	v_add_f64_e64 v[1:2], v[115:116], -v[1:2]
	v_add_f64_e64 v[3:4], v[117:118], -v[3:4]
	scratch_store_b128 off, v[1:4], off offset:208
	v_cmpx_lt_u32_e32 11, v0
	s_cbranch_execz .LBB94_177
; %bb.176:
	scratch_load_b128 v[1:4], off, s27
	v_mov_b32_e32 v6, 0
	s_delay_alu instid0(VALU_DEP_1)
	v_dual_mov_b32 v7, v6 :: v_dual_mov_b32 v8, v6
	v_mov_b32_e32 v9, v6
	scratch_store_b128 off, v[6:9], off offset:192
	s_wait_loadcnt 0x0
	ds_store_b128 v5, v[1:4]
.LBB94_177:
	s_wait_alu 0xfffe
	s_or_b32 exec_lo, exec_lo, s0
	s_wait_storecnt_dscnt 0x0
	s_barrier_signal -1
	s_barrier_wait -1
	global_inv scope:SCOPE_SE
	s_clause 0x7
	scratch_load_b128 v[6:9], off, off offset:208
	scratch_load_b128 v[75:78], off, off offset:224
	;; [unrolled: 1-line block ×8, first 2 shown]
	v_mov_b32_e32 v1, 0
	s_mov_b32 s0, exec_lo
	ds_load_b128 v[103:106], v1 offset:688
	s_clause 0x1
	scratch_load_b128 v[107:110], off, off offset:336
	scratch_load_b128 v[111:114], off, off offset:192
	ds_load_b128 v[115:118], v1 offset:704
	ds_load_b128 v[123:126], v1 offset:736
	s_wait_loadcnt_dscnt 0x902
	v_mul_f64_e32 v[2:3], v[105:106], v[8:9]
	v_mul_f64_e32 v[119:120], v[103:104], v[8:9]
	scratch_load_b128 v[8:11], off, off offset:352
	v_fma_f64 v[2:3], v[103:104], v[6:7], -v[2:3]
	v_fma_f64 v[6:7], v[105:106], v[6:7], v[119:120]
	ds_load_b128 v[103:106], v1 offset:720
	s_wait_loadcnt_dscnt 0x902
	v_mul_f64_e32 v[127:128], v[115:116], v[77:78]
	v_mul_f64_e32 v[77:78], v[117:118], v[77:78]
	scratch_load_b128 v[119:122], off, off offset:368
	s_wait_loadcnt_dscnt 0x900
	v_mul_f64_e32 v[129:130], v[103:104], v[81:82]
	v_mul_f64_e32 v[81:82], v[105:106], v[81:82]
	v_add_f64_e32 v[2:3], 0, v[2:3]
	v_add_f64_e32 v[6:7], 0, v[6:7]
	v_fma_f64 v[117:118], v[117:118], v[75:76], v[127:128]
	v_fma_f64 v[115:116], v[115:116], v[75:76], -v[77:78]
	scratch_load_b128 v[75:78], off, off offset:384
	v_fma_f64 v[129:130], v[105:106], v[79:80], v[129:130]
	v_fma_f64 v[131:132], v[103:104], v[79:80], -v[81:82]
	ds_load_b128 v[79:82], v1 offset:752
	s_wait_loadcnt 0x9
	v_mul_f64_e32 v[127:128], v[123:124], v[85:86]
	v_mul_f64_e32 v[85:86], v[125:126], v[85:86]
	scratch_load_b128 v[103:106], off, off offset:400
	v_add_f64_e32 v[6:7], v[6:7], v[117:118]
	v_add_f64_e32 v[2:3], v[2:3], v[115:116]
	ds_load_b128 v[115:118], v1 offset:768
	s_wait_loadcnt_dscnt 0x901
	v_mul_f64_e32 v[133:134], v[79:80], v[89:90]
	v_mul_f64_e32 v[89:90], v[81:82], v[89:90]
	v_fma_f64 v[125:126], v[125:126], v[83:84], v[127:128]
	v_fma_f64 v[123:124], v[123:124], v[83:84], -v[85:86]
	scratch_load_b128 v[83:86], off, off offset:416
	v_add_f64_e32 v[6:7], v[6:7], v[129:130]
	v_add_f64_e32 v[2:3], v[2:3], v[131:132]
	v_fma_f64 v[129:130], v[81:82], v[87:88], v[133:134]
	v_fma_f64 v[131:132], v[79:80], v[87:88], -v[89:90]
	ds_load_b128 v[79:82], v1 offset:784
	s_wait_loadcnt_dscnt 0x901
	v_mul_f64_e32 v[127:128], v[115:116], v[93:94]
	v_mul_f64_e32 v[93:94], v[117:118], v[93:94]
	scratch_load_b128 v[87:90], off, off offset:432
	s_wait_loadcnt_dscnt 0x900
	v_mul_f64_e32 v[133:134], v[79:80], v[97:98]
	v_mul_f64_e32 v[97:98], v[81:82], v[97:98]
	v_add_f64_e32 v[6:7], v[6:7], v[125:126]
	v_add_f64_e32 v[2:3], v[2:3], v[123:124]
	ds_load_b128 v[123:126], v1 offset:800
	v_fma_f64 v[117:118], v[117:118], v[91:92], v[127:128]
	v_fma_f64 v[115:116], v[115:116], v[91:92], -v[93:94]
	scratch_load_b128 v[91:94], off, off offset:448
	v_add_f64_e32 v[6:7], v[6:7], v[129:130]
	v_add_f64_e32 v[2:3], v[2:3], v[131:132]
	v_fma_f64 v[129:130], v[81:82], v[95:96], v[133:134]
	v_fma_f64 v[131:132], v[79:80], v[95:96], -v[97:98]
	ds_load_b128 v[79:82], v1 offset:816
	s_wait_loadcnt_dscnt 0x901
	v_mul_f64_e32 v[127:128], v[123:124], v[101:102]
	v_mul_f64_e32 v[101:102], v[125:126], v[101:102]
	scratch_load_b128 v[95:98], off, off offset:464
	s_wait_loadcnt_dscnt 0x900
	v_mul_f64_e32 v[133:134], v[79:80], v[109:110]
	v_mul_f64_e32 v[109:110], v[81:82], v[109:110]
	v_add_f64_e32 v[6:7], v[6:7], v[117:118]
	v_add_f64_e32 v[2:3], v[2:3], v[115:116]
	ds_load_b128 v[115:118], v1 offset:832
	v_fma_f64 v[125:126], v[125:126], v[99:100], v[127:128]
	v_fma_f64 v[123:124], v[123:124], v[99:100], -v[101:102]
	scratch_load_b128 v[99:102], off, off offset:480
	v_add_f64_e32 v[6:7], v[6:7], v[129:130]
	v_add_f64_e32 v[2:3], v[2:3], v[131:132]
	v_fma_f64 v[129:130], v[81:82], v[107:108], v[133:134]
	v_fma_f64 v[131:132], v[79:80], v[107:108], -v[109:110]
	ds_load_b128 v[79:82], v1 offset:848
	scratch_load_b128 v[107:110], off, off offset:496
	s_wait_loadcnt_dscnt 0x901
	v_mul_f64_e32 v[127:128], v[115:116], v[10:11]
	v_mul_f64_e32 v[10:11], v[117:118], v[10:11]
	v_add_f64_e32 v[6:7], v[6:7], v[125:126]
	v_add_f64_e32 v[2:3], v[2:3], v[123:124]
	ds_load_b128 v[123:126], v1 offset:864
	v_fma_f64 v[117:118], v[117:118], v[8:9], v[127:128]
	v_fma_f64 v[8:9], v[115:116], v[8:9], -v[10:11]
	s_wait_loadcnt_dscnt 0x801
	v_mul_f64_e32 v[133:134], v[79:80], v[121:122]
	v_mul_f64_e32 v[121:122], v[81:82], v[121:122]
	v_add_f64_e32 v[6:7], v[6:7], v[129:130]
	v_add_f64_e32 v[2:3], v[2:3], v[131:132]
	s_wait_loadcnt_dscnt 0x700
	v_mul_f64_e32 v[10:11], v[123:124], v[77:78]
	v_mul_f64_e32 v[115:116], v[125:126], v[77:78]
	v_fma_f64 v[81:82], v[81:82], v[119:120], v[133:134]
	v_fma_f64 v[119:120], v[79:80], v[119:120], -v[121:122]
	v_add_f64_e32 v[117:118], v[6:7], v[117:118]
	v_add_f64_e32 v[2:3], v[2:3], v[8:9]
	ds_load_b128 v[6:9], v1 offset:880
	ds_load_b128 v[77:80], v1 offset:896
	v_fma_f64 v[10:11], v[125:126], v[75:76], v[10:11]
	v_fma_f64 v[75:76], v[123:124], v[75:76], -v[115:116]
	s_wait_loadcnt_dscnt 0x601
	v_mul_f64_e32 v[121:122], v[6:7], v[105:106]
	v_mul_f64_e32 v[105:106], v[8:9], v[105:106]
	v_add_f64_e32 v[81:82], v[117:118], v[81:82]
	v_add_f64_e32 v[2:3], v[2:3], v[119:120]
	s_wait_loadcnt_dscnt 0x500
	v_mul_f64_e32 v[115:116], v[77:78], v[85:86]
	v_mul_f64_e32 v[85:86], v[79:80], v[85:86]
	v_fma_f64 v[117:118], v[8:9], v[103:104], v[121:122]
	v_fma_f64 v[119:120], v[6:7], v[103:104], -v[105:106]
	ds_load_b128 v[6:9], v1 offset:912
	ds_load_b128 v[103:106], v1 offset:928
	v_add_f64_e32 v[10:11], v[81:82], v[10:11]
	v_add_f64_e32 v[2:3], v[2:3], v[75:76]
	v_fma_f64 v[79:80], v[79:80], v[83:84], v[115:116]
	v_fma_f64 v[77:78], v[77:78], v[83:84], -v[85:86]
	s_wait_loadcnt_dscnt 0x401
	v_mul_f64_e32 v[75:76], v[6:7], v[89:90]
	v_mul_f64_e32 v[81:82], v[8:9], v[89:90]
	s_wait_loadcnt_dscnt 0x300
	v_mul_f64_e32 v[83:84], v[103:104], v[93:94]
	v_mul_f64_e32 v[85:86], v[105:106], v[93:94]
	v_add_f64_e32 v[10:11], v[10:11], v[117:118]
	v_add_f64_e32 v[2:3], v[2:3], v[119:120]
	v_fma_f64 v[89:90], v[8:9], v[87:88], v[75:76]
	v_fma_f64 v[81:82], v[6:7], v[87:88], -v[81:82]
	v_fma_f64 v[83:84], v[105:106], v[91:92], v[83:84]
	v_fma_f64 v[85:86], v[103:104], v[91:92], -v[85:86]
	v_add_f64_e32 v[10:11], v[10:11], v[79:80]
	v_add_f64_e32 v[2:3], v[2:3], v[77:78]
	ds_load_b128 v[6:9], v1 offset:944
	ds_load_b128 v[75:78], v1 offset:960
	s_wait_loadcnt_dscnt 0x201
	v_mul_f64_e32 v[79:80], v[6:7], v[97:98]
	v_mul_f64_e32 v[87:88], v[8:9], v[97:98]
	v_add_f64_e32 v[10:11], v[10:11], v[89:90]
	v_add_f64_e32 v[2:3], v[2:3], v[81:82]
	s_wait_loadcnt_dscnt 0x100
	v_mul_f64_e32 v[81:82], v[75:76], v[101:102]
	v_mul_f64_e32 v[89:90], v[77:78], v[101:102]
	v_fma_f64 v[79:80], v[8:9], v[95:96], v[79:80]
	v_fma_f64 v[87:88], v[6:7], v[95:96], -v[87:88]
	ds_load_b128 v[6:9], v1 offset:976
	v_add_f64_e32 v[10:11], v[10:11], v[83:84]
	v_add_f64_e32 v[2:3], v[2:3], v[85:86]
	v_fma_f64 v[77:78], v[77:78], v[99:100], v[81:82]
	v_fma_f64 v[75:76], v[75:76], v[99:100], -v[89:90]
	s_wait_loadcnt_dscnt 0x0
	v_mul_f64_e32 v[83:84], v[6:7], v[109:110]
	v_mul_f64_e32 v[85:86], v[8:9], v[109:110]
	v_add_f64_e32 v[10:11], v[10:11], v[79:80]
	v_add_f64_e32 v[2:3], v[2:3], v[87:88]
	s_delay_alu instid0(VALU_DEP_4) | instskip(NEXT) | instid1(VALU_DEP_4)
	v_fma_f64 v[8:9], v[8:9], v[107:108], v[83:84]
	v_fma_f64 v[6:7], v[6:7], v[107:108], -v[85:86]
	s_delay_alu instid0(VALU_DEP_4) | instskip(NEXT) | instid1(VALU_DEP_4)
	v_add_f64_e32 v[10:11], v[10:11], v[77:78]
	v_add_f64_e32 v[2:3], v[2:3], v[75:76]
	s_delay_alu instid0(VALU_DEP_2) | instskip(NEXT) | instid1(VALU_DEP_2)
	v_add_f64_e32 v[8:9], v[10:11], v[8:9]
	v_add_f64_e32 v[2:3], v[2:3], v[6:7]
	s_delay_alu instid0(VALU_DEP_2) | instskip(NEXT) | instid1(VALU_DEP_2)
	v_add_f64_e64 v[8:9], v[113:114], -v[8:9]
	v_add_f64_e64 v[6:7], v[111:112], -v[2:3]
	scratch_store_b128 off, v[6:9], off offset:192
	v_cmpx_lt_u32_e32 10, v0
	s_cbranch_execz .LBB94_179
; %bb.178:
	scratch_load_b128 v[6:9], off, s11
	v_dual_mov_b32 v2, v1 :: v_dual_mov_b32 v3, v1
	v_mov_b32_e32 v4, v1
	scratch_store_b128 off, v[1:4], off offset:176
	s_wait_loadcnt 0x0
	ds_store_b128 v5, v[6:9]
.LBB94_179:
	s_wait_alu 0xfffe
	s_or_b32 exec_lo, exec_lo, s0
	s_wait_storecnt_dscnt 0x0
	s_barrier_signal -1
	s_barrier_wait -1
	global_inv scope:SCOPE_SE
	s_clause 0x8
	scratch_load_b128 v[6:9], off, off offset:192
	scratch_load_b128 v[75:78], off, off offset:208
	;; [unrolled: 1-line block ×9, first 2 shown]
	ds_load_b128 v[107:110], v1 offset:672
	ds_load_b128 v[111:114], v1 offset:688
	scratch_load_b128 v[115:118], off, off offset:176
	s_mov_b32 s0, exec_lo
	ds_load_b128 v[123:126], v1 offset:720
	s_wait_loadcnt_dscnt 0x902
	v_mul_f64_e32 v[2:3], v[109:110], v[8:9]
	v_mul_f64_e32 v[119:120], v[107:108], v[8:9]
	scratch_load_b128 v[8:11], off, off offset:336
	s_wait_loadcnt_dscnt 0x901
	v_mul_f64_e32 v[127:128], v[111:112], v[77:78]
	v_mul_f64_e32 v[77:78], v[113:114], v[77:78]
	v_fma_f64 v[2:3], v[107:108], v[6:7], -v[2:3]
	v_fma_f64 v[6:7], v[109:110], v[6:7], v[119:120]
	ds_load_b128 v[107:110], v1 offset:704
	scratch_load_b128 v[119:122], off, off offset:352
	v_fma_f64 v[113:114], v[113:114], v[75:76], v[127:128]
	v_fma_f64 v[111:112], v[111:112], v[75:76], -v[77:78]
	scratch_load_b128 v[75:78], off, off offset:368
	s_wait_loadcnt_dscnt 0x901
	v_mul_f64_e32 v[127:128], v[123:124], v[85:86]
	v_mul_f64_e32 v[85:86], v[125:126], v[85:86]
	s_wait_dscnt 0x0
	v_mul_f64_e32 v[129:130], v[107:108], v[81:82]
	v_mul_f64_e32 v[81:82], v[109:110], v[81:82]
	v_add_f64_e32 v[2:3], 0, v[2:3]
	v_add_f64_e32 v[6:7], 0, v[6:7]
	v_fma_f64 v[125:126], v[125:126], v[83:84], v[127:128]
	v_fma_f64 v[123:124], v[123:124], v[83:84], -v[85:86]
	scratch_load_b128 v[83:86], off, off offset:400
	v_fma_f64 v[129:130], v[109:110], v[79:80], v[129:130]
	v_fma_f64 v[131:132], v[107:108], v[79:80], -v[81:82]
	ds_load_b128 v[79:82], v1 offset:736
	scratch_load_b128 v[107:110], off, off offset:384
	v_add_f64_e32 v[2:3], v[2:3], v[111:112]
	v_add_f64_e32 v[6:7], v[6:7], v[113:114]
	ds_load_b128 v[111:114], v1 offset:752
	s_wait_loadcnt_dscnt 0xa01
	v_mul_f64_e32 v[133:134], v[79:80], v[89:90]
	v_mul_f64_e32 v[89:90], v[81:82], v[89:90]
	s_wait_loadcnt_dscnt 0x900
	v_mul_f64_e32 v[127:128], v[111:112], v[93:94]
	v_mul_f64_e32 v[93:94], v[113:114], v[93:94]
	v_add_f64_e32 v[2:3], v[2:3], v[131:132]
	v_add_f64_e32 v[6:7], v[6:7], v[129:130]
	v_fma_f64 v[129:130], v[81:82], v[87:88], v[133:134]
	v_fma_f64 v[131:132], v[79:80], v[87:88], -v[89:90]
	ds_load_b128 v[79:82], v1 offset:768
	scratch_load_b128 v[87:90], off, off offset:416
	v_fma_f64 v[113:114], v[113:114], v[91:92], v[127:128]
	v_fma_f64 v[111:112], v[111:112], v[91:92], -v[93:94]
	scratch_load_b128 v[91:94], off, off offset:432
	v_add_f64_e32 v[2:3], v[2:3], v[123:124]
	v_add_f64_e32 v[6:7], v[6:7], v[125:126]
	ds_load_b128 v[123:126], v1 offset:784
	s_wait_loadcnt_dscnt 0xa01
	v_mul_f64_e32 v[133:134], v[79:80], v[97:98]
	v_mul_f64_e32 v[97:98], v[81:82], v[97:98]
	s_wait_loadcnt_dscnt 0x900
	v_mul_f64_e32 v[127:128], v[123:124], v[101:102]
	v_mul_f64_e32 v[101:102], v[125:126], v[101:102]
	v_add_f64_e32 v[2:3], v[2:3], v[131:132]
	v_add_f64_e32 v[6:7], v[6:7], v[129:130]
	v_fma_f64 v[129:130], v[81:82], v[95:96], v[133:134]
	v_fma_f64 v[131:132], v[79:80], v[95:96], -v[97:98]
	ds_load_b128 v[79:82], v1 offset:800
	scratch_load_b128 v[95:98], off, off offset:448
	v_fma_f64 v[125:126], v[125:126], v[99:100], v[127:128]
	v_fma_f64 v[123:124], v[123:124], v[99:100], -v[101:102]
	scratch_load_b128 v[99:102], off, off offset:464
	v_add_f64_e32 v[2:3], v[2:3], v[111:112]
	v_add_f64_e32 v[6:7], v[6:7], v[113:114]
	ds_load_b128 v[111:114], v1 offset:816
	s_wait_loadcnt_dscnt 0xa01
	v_mul_f64_e32 v[133:134], v[79:80], v[105:106]
	v_mul_f64_e32 v[105:106], v[81:82], v[105:106]
	v_add_f64_e32 v[2:3], v[2:3], v[131:132]
	v_add_f64_e32 v[6:7], v[6:7], v[129:130]
	s_delay_alu instid0(VALU_DEP_4) | instskip(NEXT) | instid1(VALU_DEP_4)
	v_fma_f64 v[129:130], v[81:82], v[103:104], v[133:134]
	v_fma_f64 v[131:132], v[79:80], v[103:104], -v[105:106]
	ds_load_b128 v[79:82], v1 offset:832
	scratch_load_b128 v[103:106], off, off offset:480
	s_wait_loadcnt_dscnt 0x901
	v_mul_f64_e32 v[127:128], v[111:112], v[10:11]
	v_mul_f64_e32 v[10:11], v[113:114], v[10:11]
	v_add_f64_e32 v[2:3], v[2:3], v[123:124]
	v_add_f64_e32 v[6:7], v[6:7], v[125:126]
	ds_load_b128 v[123:126], v1 offset:848
	v_fma_f64 v[113:114], v[113:114], v[8:9], v[127:128]
	s_wait_loadcnt_dscnt 0x801
	v_mul_f64_e32 v[133:134], v[79:80], v[121:122]
	v_mul_f64_e32 v[121:122], v[81:82], v[121:122]
	v_fma_f64 v[10:11], v[111:112], v[8:9], -v[10:11]
	s_wait_loadcnt_dscnt 0x700
	v_mul_f64_e32 v[127:128], v[123:124], v[77:78]
	v_add_f64_e32 v[2:3], v[2:3], v[131:132]
	v_add_f64_e32 v[111:112], v[6:7], v[129:130]
	scratch_load_b128 v[6:9], off, off offset:496
	v_mul_f64_e32 v[129:130], v[125:126], v[77:78]
	v_fma_f64 v[81:82], v[81:82], v[119:120], v[133:134]
	v_fma_f64 v[119:120], v[79:80], v[119:120], -v[121:122]
	v_fma_f64 v[125:126], v[125:126], v[75:76], v[127:128]
	v_add_f64_e32 v[2:3], v[2:3], v[10:11]
	v_add_f64_e32 v[10:11], v[111:112], v[113:114]
	ds_load_b128 v[77:80], v1 offset:864
	ds_load_b128 v[111:114], v1 offset:880
	v_fma_f64 v[75:76], v[123:124], v[75:76], -v[129:130]
	s_wait_loadcnt_dscnt 0x601
	v_mul_f64_e32 v[121:122], v[77:78], v[109:110]
	v_mul_f64_e32 v[109:110], v[79:80], v[109:110]
	v_add_f64_e32 v[2:3], v[2:3], v[119:120]
	v_add_f64_e32 v[10:11], v[10:11], v[81:82]
	s_wait_dscnt 0x0
	v_mul_f64_e32 v[119:120], v[111:112], v[85:86]
	v_mul_f64_e32 v[85:86], v[113:114], v[85:86]
	v_fma_f64 v[121:122], v[79:80], v[107:108], v[121:122]
	v_fma_f64 v[107:108], v[77:78], v[107:108], -v[109:110]
	v_add_f64_e32 v[2:3], v[2:3], v[75:76]
	v_add_f64_e32 v[10:11], v[10:11], v[125:126]
	ds_load_b128 v[75:78], v1 offset:896
	ds_load_b128 v[79:82], v1 offset:912
	v_fma_f64 v[113:114], v[113:114], v[83:84], v[119:120]
	v_fma_f64 v[83:84], v[111:112], v[83:84], -v[85:86]
	s_wait_loadcnt_dscnt 0x501
	v_mul_f64_e32 v[109:110], v[75:76], v[89:90]
	v_mul_f64_e32 v[89:90], v[77:78], v[89:90]
	v_add_f64_e32 v[2:3], v[2:3], v[107:108]
	v_add_f64_e32 v[10:11], v[10:11], v[121:122]
	s_wait_loadcnt_dscnt 0x400
	v_mul_f64_e32 v[107:108], v[79:80], v[93:94]
	v_mul_f64_e32 v[93:94], v[81:82], v[93:94]
	v_fma_f64 v[109:110], v[77:78], v[87:88], v[109:110]
	v_fma_f64 v[87:88], v[75:76], v[87:88], -v[89:90]
	v_add_f64_e32 v[2:3], v[2:3], v[83:84]
	v_add_f64_e32 v[10:11], v[10:11], v[113:114]
	ds_load_b128 v[75:78], v1 offset:928
	ds_load_b128 v[83:86], v1 offset:944
	v_fma_f64 v[81:82], v[81:82], v[91:92], v[107:108]
	v_fma_f64 v[79:80], v[79:80], v[91:92], -v[93:94]
	s_wait_loadcnt_dscnt 0x301
	v_mul_f64_e32 v[89:90], v[75:76], v[97:98]
	v_mul_f64_e32 v[97:98], v[77:78], v[97:98]
	s_wait_loadcnt_dscnt 0x200
	v_mul_f64_e32 v[91:92], v[85:86], v[101:102]
	v_add_f64_e32 v[2:3], v[2:3], v[87:88]
	v_add_f64_e32 v[10:11], v[10:11], v[109:110]
	v_mul_f64_e32 v[87:88], v[83:84], v[101:102]
	v_fma_f64 v[89:90], v[77:78], v[95:96], v[89:90]
	v_fma_f64 v[93:94], v[75:76], v[95:96], -v[97:98]
	v_fma_f64 v[83:84], v[83:84], v[99:100], -v[91:92]
	v_add_f64_e32 v[79:80], v[2:3], v[79:80]
	v_add_f64_e32 v[10:11], v[10:11], v[81:82]
	ds_load_b128 v[75:78], v1 offset:960
	ds_load_b128 v[1:4], v1 offset:976
	v_fma_f64 v[85:86], v[85:86], v[99:100], v[87:88]
	s_wait_loadcnt_dscnt 0x101
	v_mul_f64_e32 v[81:82], v[75:76], v[105:106]
	v_mul_f64_e32 v[95:96], v[77:78], v[105:106]
	v_add_f64_e32 v[79:80], v[79:80], v[93:94]
	v_add_f64_e32 v[10:11], v[10:11], v[89:90]
	s_wait_loadcnt_dscnt 0x0
	v_mul_f64_e32 v[87:88], v[1:2], v[8:9]
	v_mul_f64_e32 v[8:9], v[3:4], v[8:9]
	v_fma_f64 v[77:78], v[77:78], v[103:104], v[81:82]
	v_fma_f64 v[75:76], v[75:76], v[103:104], -v[95:96]
	v_add_f64_e32 v[79:80], v[79:80], v[83:84]
	v_add_f64_e32 v[10:11], v[10:11], v[85:86]
	v_fma_f64 v[3:4], v[3:4], v[6:7], v[87:88]
	v_fma_f64 v[1:2], v[1:2], v[6:7], -v[8:9]
	s_delay_alu instid0(VALU_DEP_4) | instskip(NEXT) | instid1(VALU_DEP_4)
	v_add_f64_e32 v[6:7], v[79:80], v[75:76]
	v_add_f64_e32 v[8:9], v[10:11], v[77:78]
	s_delay_alu instid0(VALU_DEP_2) | instskip(NEXT) | instid1(VALU_DEP_2)
	v_add_f64_e32 v[1:2], v[6:7], v[1:2]
	v_add_f64_e32 v[3:4], v[8:9], v[3:4]
	s_delay_alu instid0(VALU_DEP_2) | instskip(NEXT) | instid1(VALU_DEP_2)
	v_add_f64_e64 v[1:2], v[115:116], -v[1:2]
	v_add_f64_e64 v[3:4], v[117:118], -v[3:4]
	scratch_store_b128 off, v[1:4], off offset:176
	v_cmpx_lt_u32_e32 9, v0
	s_cbranch_execz .LBB94_181
; %bb.180:
	scratch_load_b128 v[1:4], off, s26
	v_mov_b32_e32 v6, 0
	s_delay_alu instid0(VALU_DEP_1)
	v_dual_mov_b32 v7, v6 :: v_dual_mov_b32 v8, v6
	v_mov_b32_e32 v9, v6
	scratch_store_b128 off, v[6:9], off offset:160
	s_wait_loadcnt 0x0
	ds_store_b128 v5, v[1:4]
.LBB94_181:
	s_wait_alu 0xfffe
	s_or_b32 exec_lo, exec_lo, s0
	s_wait_storecnt_dscnt 0x0
	s_barrier_signal -1
	s_barrier_wait -1
	global_inv scope:SCOPE_SE
	s_clause 0x7
	scratch_load_b128 v[6:9], off, off offset:176
	scratch_load_b128 v[75:78], off, off offset:192
	;; [unrolled: 1-line block ×8, first 2 shown]
	v_mov_b32_e32 v1, 0
	s_mov_b32 s0, exec_lo
	ds_load_b128 v[103:106], v1 offset:656
	s_clause 0x1
	scratch_load_b128 v[107:110], off, off offset:304
	scratch_load_b128 v[111:114], off, off offset:160
	ds_load_b128 v[115:118], v1 offset:672
	ds_load_b128 v[123:126], v1 offset:704
	s_wait_loadcnt_dscnt 0x902
	v_mul_f64_e32 v[2:3], v[105:106], v[8:9]
	v_mul_f64_e32 v[119:120], v[103:104], v[8:9]
	scratch_load_b128 v[8:11], off, off offset:320
	v_fma_f64 v[2:3], v[103:104], v[6:7], -v[2:3]
	v_fma_f64 v[6:7], v[105:106], v[6:7], v[119:120]
	ds_load_b128 v[103:106], v1 offset:688
	s_wait_loadcnt_dscnt 0x902
	v_mul_f64_e32 v[127:128], v[115:116], v[77:78]
	v_mul_f64_e32 v[77:78], v[117:118], v[77:78]
	scratch_load_b128 v[119:122], off, off offset:336
	s_wait_loadcnt_dscnt 0x900
	v_mul_f64_e32 v[129:130], v[103:104], v[81:82]
	v_mul_f64_e32 v[81:82], v[105:106], v[81:82]
	v_add_f64_e32 v[2:3], 0, v[2:3]
	v_add_f64_e32 v[6:7], 0, v[6:7]
	v_fma_f64 v[117:118], v[117:118], v[75:76], v[127:128]
	v_fma_f64 v[115:116], v[115:116], v[75:76], -v[77:78]
	scratch_load_b128 v[75:78], off, off offset:352
	v_fma_f64 v[129:130], v[105:106], v[79:80], v[129:130]
	v_fma_f64 v[131:132], v[103:104], v[79:80], -v[81:82]
	ds_load_b128 v[79:82], v1 offset:720
	s_wait_loadcnt 0x9
	v_mul_f64_e32 v[127:128], v[123:124], v[85:86]
	v_mul_f64_e32 v[85:86], v[125:126], v[85:86]
	scratch_load_b128 v[103:106], off, off offset:368
	v_add_f64_e32 v[6:7], v[6:7], v[117:118]
	v_add_f64_e32 v[2:3], v[2:3], v[115:116]
	ds_load_b128 v[115:118], v1 offset:736
	s_wait_loadcnt_dscnt 0x901
	v_mul_f64_e32 v[133:134], v[79:80], v[89:90]
	v_mul_f64_e32 v[89:90], v[81:82], v[89:90]
	v_fma_f64 v[125:126], v[125:126], v[83:84], v[127:128]
	v_fma_f64 v[123:124], v[123:124], v[83:84], -v[85:86]
	scratch_load_b128 v[83:86], off, off offset:384
	v_add_f64_e32 v[6:7], v[6:7], v[129:130]
	v_add_f64_e32 v[2:3], v[2:3], v[131:132]
	v_fma_f64 v[129:130], v[81:82], v[87:88], v[133:134]
	v_fma_f64 v[131:132], v[79:80], v[87:88], -v[89:90]
	ds_load_b128 v[79:82], v1 offset:752
	s_wait_loadcnt_dscnt 0x901
	v_mul_f64_e32 v[127:128], v[115:116], v[93:94]
	v_mul_f64_e32 v[93:94], v[117:118], v[93:94]
	scratch_load_b128 v[87:90], off, off offset:400
	s_wait_loadcnt_dscnt 0x900
	v_mul_f64_e32 v[133:134], v[79:80], v[97:98]
	v_mul_f64_e32 v[97:98], v[81:82], v[97:98]
	v_add_f64_e32 v[6:7], v[6:7], v[125:126]
	v_add_f64_e32 v[2:3], v[2:3], v[123:124]
	ds_load_b128 v[123:126], v1 offset:768
	v_fma_f64 v[117:118], v[117:118], v[91:92], v[127:128]
	v_fma_f64 v[115:116], v[115:116], v[91:92], -v[93:94]
	scratch_load_b128 v[91:94], off, off offset:416
	v_add_f64_e32 v[6:7], v[6:7], v[129:130]
	v_add_f64_e32 v[2:3], v[2:3], v[131:132]
	v_fma_f64 v[129:130], v[81:82], v[95:96], v[133:134]
	v_fma_f64 v[131:132], v[79:80], v[95:96], -v[97:98]
	ds_load_b128 v[79:82], v1 offset:784
	s_wait_loadcnt_dscnt 0x901
	v_mul_f64_e32 v[127:128], v[123:124], v[101:102]
	v_mul_f64_e32 v[101:102], v[125:126], v[101:102]
	scratch_load_b128 v[95:98], off, off offset:432
	s_wait_loadcnt_dscnt 0x900
	v_mul_f64_e32 v[133:134], v[79:80], v[109:110]
	v_mul_f64_e32 v[109:110], v[81:82], v[109:110]
	v_add_f64_e32 v[6:7], v[6:7], v[117:118]
	v_add_f64_e32 v[2:3], v[2:3], v[115:116]
	ds_load_b128 v[115:118], v1 offset:800
	v_fma_f64 v[125:126], v[125:126], v[99:100], v[127:128]
	v_fma_f64 v[123:124], v[123:124], v[99:100], -v[101:102]
	scratch_load_b128 v[99:102], off, off offset:448
	v_add_f64_e32 v[6:7], v[6:7], v[129:130]
	v_add_f64_e32 v[2:3], v[2:3], v[131:132]
	v_fma_f64 v[129:130], v[81:82], v[107:108], v[133:134]
	v_fma_f64 v[131:132], v[79:80], v[107:108], -v[109:110]
	ds_load_b128 v[79:82], v1 offset:816
	scratch_load_b128 v[107:110], off, off offset:464
	s_wait_loadcnt_dscnt 0x901
	v_mul_f64_e32 v[127:128], v[115:116], v[10:11]
	v_mul_f64_e32 v[10:11], v[117:118], v[10:11]
	v_add_f64_e32 v[6:7], v[6:7], v[125:126]
	v_add_f64_e32 v[2:3], v[2:3], v[123:124]
	ds_load_b128 v[123:126], v1 offset:832
	v_fma_f64 v[117:118], v[117:118], v[8:9], v[127:128]
	v_fma_f64 v[10:11], v[115:116], v[8:9], -v[10:11]
	s_wait_loadcnt_dscnt 0x801
	v_mul_f64_e32 v[133:134], v[79:80], v[121:122]
	v_mul_f64_e32 v[121:122], v[81:82], v[121:122]
	v_add_f64_e32 v[115:116], v[6:7], v[129:130]
	v_add_f64_e32 v[2:3], v[2:3], v[131:132]
	scratch_load_b128 v[6:9], off, off offset:480
	v_fma_f64 v[81:82], v[81:82], v[119:120], v[133:134]
	v_fma_f64 v[131:132], v[79:80], v[119:120], -v[121:122]
	ds_load_b128 v[119:122], v1 offset:864
	s_wait_loadcnt_dscnt 0x801
	v_mul_f64_e32 v[127:128], v[123:124], v[77:78]
	v_mul_f64_e32 v[129:130], v[125:126], v[77:78]
	ds_load_b128 v[77:80], v1 offset:848
	v_add_f64_e32 v[2:3], v[2:3], v[10:11]
	v_add_f64_e32 v[10:11], v[115:116], v[117:118]
	scratch_load_b128 v[115:118], off, off offset:496
	s_wait_loadcnt_dscnt 0x800
	v_mul_f64_e32 v[133:134], v[77:78], v[105:106]
	v_mul_f64_e32 v[105:106], v[79:80], v[105:106]
	v_fma_f64 v[125:126], v[125:126], v[75:76], v[127:128]
	v_fma_f64 v[75:76], v[123:124], v[75:76], -v[129:130]
	v_add_f64_e32 v[2:3], v[2:3], v[131:132]
	v_add_f64_e32 v[10:11], v[10:11], v[81:82]
	s_wait_loadcnt 0x7
	v_mul_f64_e32 v[123:124], v[119:120], v[85:86]
	v_mul_f64_e32 v[85:86], v[121:122], v[85:86]
	v_fma_f64 v[127:128], v[79:80], v[103:104], v[133:134]
	v_fma_f64 v[103:104], v[77:78], v[103:104], -v[105:106]
	v_add_f64_e32 v[2:3], v[2:3], v[75:76]
	v_add_f64_e32 v[10:11], v[10:11], v[125:126]
	ds_load_b128 v[75:78], v1 offset:880
	ds_load_b128 v[79:82], v1 offset:896
	v_fma_f64 v[121:122], v[121:122], v[83:84], v[123:124]
	v_fma_f64 v[83:84], v[119:120], v[83:84], -v[85:86]
	s_wait_loadcnt_dscnt 0x601
	v_mul_f64_e32 v[105:106], v[75:76], v[89:90]
	v_mul_f64_e32 v[89:90], v[77:78], v[89:90]
	v_add_f64_e32 v[2:3], v[2:3], v[103:104]
	v_add_f64_e32 v[10:11], v[10:11], v[127:128]
	s_wait_loadcnt_dscnt 0x500
	v_mul_f64_e32 v[103:104], v[79:80], v[93:94]
	v_mul_f64_e32 v[93:94], v[81:82], v[93:94]
	v_fma_f64 v[105:106], v[77:78], v[87:88], v[105:106]
	v_fma_f64 v[87:88], v[75:76], v[87:88], -v[89:90]
	v_add_f64_e32 v[2:3], v[2:3], v[83:84]
	v_add_f64_e32 v[10:11], v[10:11], v[121:122]
	ds_load_b128 v[75:78], v1 offset:912
	ds_load_b128 v[83:86], v1 offset:928
	v_fma_f64 v[81:82], v[81:82], v[91:92], v[103:104]
	v_fma_f64 v[79:80], v[79:80], v[91:92], -v[93:94]
	s_wait_loadcnt_dscnt 0x401
	v_mul_f64_e32 v[89:90], v[75:76], v[97:98]
	v_mul_f64_e32 v[97:98], v[77:78], v[97:98]
	s_wait_loadcnt_dscnt 0x300
	v_mul_f64_e32 v[91:92], v[85:86], v[101:102]
	v_add_f64_e32 v[2:3], v[2:3], v[87:88]
	v_add_f64_e32 v[10:11], v[10:11], v[105:106]
	v_mul_f64_e32 v[87:88], v[83:84], v[101:102]
	v_fma_f64 v[89:90], v[77:78], v[95:96], v[89:90]
	v_fma_f64 v[93:94], v[75:76], v[95:96], -v[97:98]
	v_fma_f64 v[83:84], v[83:84], v[99:100], -v[91:92]
	v_add_f64_e32 v[2:3], v[2:3], v[79:80]
	v_add_f64_e32 v[10:11], v[10:11], v[81:82]
	ds_load_b128 v[75:78], v1 offset:944
	ds_load_b128 v[79:82], v1 offset:960
	v_fma_f64 v[85:86], v[85:86], v[99:100], v[87:88]
	s_wait_loadcnt_dscnt 0x201
	v_mul_f64_e32 v[95:96], v[75:76], v[109:110]
	v_mul_f64_e32 v[97:98], v[77:78], v[109:110]
	v_add_f64_e32 v[2:3], v[2:3], v[93:94]
	v_add_f64_e32 v[10:11], v[10:11], v[89:90]
	s_wait_loadcnt_dscnt 0x100
	v_mul_f64_e32 v[87:88], v[79:80], v[8:9]
	v_mul_f64_e32 v[89:90], v[81:82], v[8:9]
	v_fma_f64 v[77:78], v[77:78], v[107:108], v[95:96]
	v_fma_f64 v[75:76], v[75:76], v[107:108], -v[97:98]
	v_add_f64_e32 v[2:3], v[2:3], v[83:84]
	v_add_f64_e32 v[83:84], v[10:11], v[85:86]
	ds_load_b128 v[8:11], v1 offset:976
	v_fma_f64 v[81:82], v[81:82], v[6:7], v[87:88]
	v_fma_f64 v[6:7], v[79:80], v[6:7], -v[89:90]
	s_wait_loadcnt_dscnt 0x0
	v_mul_f64_e32 v[85:86], v[8:9], v[117:118]
	v_mul_f64_e32 v[91:92], v[10:11], v[117:118]
	v_add_f64_e32 v[2:3], v[2:3], v[75:76]
	v_add_f64_e32 v[75:76], v[83:84], v[77:78]
	s_delay_alu instid0(VALU_DEP_4) | instskip(NEXT) | instid1(VALU_DEP_4)
	v_fma_f64 v[10:11], v[10:11], v[115:116], v[85:86]
	v_fma_f64 v[8:9], v[8:9], v[115:116], -v[91:92]
	s_delay_alu instid0(VALU_DEP_4) | instskip(NEXT) | instid1(VALU_DEP_4)
	v_add_f64_e32 v[2:3], v[2:3], v[6:7]
	v_add_f64_e32 v[6:7], v[75:76], v[81:82]
	s_delay_alu instid0(VALU_DEP_2) | instskip(NEXT) | instid1(VALU_DEP_2)
	v_add_f64_e32 v[2:3], v[2:3], v[8:9]
	v_add_f64_e32 v[8:9], v[6:7], v[10:11]
	s_delay_alu instid0(VALU_DEP_2) | instskip(NEXT) | instid1(VALU_DEP_2)
	v_add_f64_e64 v[6:7], v[111:112], -v[2:3]
	v_add_f64_e64 v[8:9], v[113:114], -v[8:9]
	scratch_store_b128 off, v[6:9], off offset:160
	v_cmpx_lt_u32_e32 8, v0
	s_cbranch_execz .LBB94_183
; %bb.182:
	scratch_load_b128 v[6:9], off, s10
	v_dual_mov_b32 v2, v1 :: v_dual_mov_b32 v3, v1
	v_mov_b32_e32 v4, v1
	scratch_store_b128 off, v[1:4], off offset:144
	s_wait_loadcnt 0x0
	ds_store_b128 v5, v[6:9]
.LBB94_183:
	s_wait_alu 0xfffe
	s_or_b32 exec_lo, exec_lo, s0
	s_wait_storecnt_dscnt 0x0
	s_barrier_signal -1
	s_barrier_wait -1
	global_inv scope:SCOPE_SE
	s_clause 0x8
	scratch_load_b128 v[6:9], off, off offset:160
	scratch_load_b128 v[75:78], off, off offset:176
	;; [unrolled: 1-line block ×9, first 2 shown]
	ds_load_b128 v[107:110], v1 offset:640
	ds_load_b128 v[111:114], v1 offset:656
	scratch_load_b128 v[115:118], off, off offset:144
	s_mov_b32 s0, exec_lo
	ds_load_b128 v[123:126], v1 offset:688
	s_wait_loadcnt_dscnt 0x902
	v_mul_f64_e32 v[2:3], v[109:110], v[8:9]
	v_mul_f64_e32 v[119:120], v[107:108], v[8:9]
	scratch_load_b128 v[8:11], off, off offset:304
	s_wait_loadcnt_dscnt 0x901
	v_mul_f64_e32 v[127:128], v[111:112], v[77:78]
	v_mul_f64_e32 v[77:78], v[113:114], v[77:78]
	v_fma_f64 v[2:3], v[107:108], v[6:7], -v[2:3]
	v_fma_f64 v[6:7], v[109:110], v[6:7], v[119:120]
	ds_load_b128 v[107:110], v1 offset:672
	scratch_load_b128 v[119:122], off, off offset:320
	v_fma_f64 v[113:114], v[113:114], v[75:76], v[127:128]
	v_fma_f64 v[111:112], v[111:112], v[75:76], -v[77:78]
	scratch_load_b128 v[75:78], off, off offset:336
	s_wait_loadcnt_dscnt 0x901
	v_mul_f64_e32 v[127:128], v[123:124], v[85:86]
	v_mul_f64_e32 v[85:86], v[125:126], v[85:86]
	s_wait_dscnt 0x0
	v_mul_f64_e32 v[129:130], v[107:108], v[81:82]
	v_mul_f64_e32 v[81:82], v[109:110], v[81:82]
	v_add_f64_e32 v[2:3], 0, v[2:3]
	v_add_f64_e32 v[6:7], 0, v[6:7]
	v_fma_f64 v[125:126], v[125:126], v[83:84], v[127:128]
	v_fma_f64 v[123:124], v[123:124], v[83:84], -v[85:86]
	scratch_load_b128 v[83:86], off, off offset:368
	v_fma_f64 v[129:130], v[109:110], v[79:80], v[129:130]
	v_fma_f64 v[131:132], v[107:108], v[79:80], -v[81:82]
	ds_load_b128 v[79:82], v1 offset:704
	scratch_load_b128 v[107:110], off, off offset:352
	v_add_f64_e32 v[2:3], v[2:3], v[111:112]
	v_add_f64_e32 v[6:7], v[6:7], v[113:114]
	ds_load_b128 v[111:114], v1 offset:720
	s_wait_loadcnt_dscnt 0xa01
	v_mul_f64_e32 v[133:134], v[79:80], v[89:90]
	v_mul_f64_e32 v[89:90], v[81:82], v[89:90]
	s_wait_loadcnt_dscnt 0x900
	v_mul_f64_e32 v[127:128], v[111:112], v[93:94]
	v_mul_f64_e32 v[93:94], v[113:114], v[93:94]
	v_add_f64_e32 v[2:3], v[2:3], v[131:132]
	v_add_f64_e32 v[6:7], v[6:7], v[129:130]
	v_fma_f64 v[129:130], v[81:82], v[87:88], v[133:134]
	v_fma_f64 v[131:132], v[79:80], v[87:88], -v[89:90]
	ds_load_b128 v[79:82], v1 offset:736
	scratch_load_b128 v[87:90], off, off offset:384
	v_fma_f64 v[113:114], v[113:114], v[91:92], v[127:128]
	v_fma_f64 v[111:112], v[111:112], v[91:92], -v[93:94]
	scratch_load_b128 v[91:94], off, off offset:400
	v_add_f64_e32 v[2:3], v[2:3], v[123:124]
	v_add_f64_e32 v[6:7], v[6:7], v[125:126]
	ds_load_b128 v[123:126], v1 offset:752
	s_wait_loadcnt_dscnt 0xa01
	v_mul_f64_e32 v[133:134], v[79:80], v[97:98]
	v_mul_f64_e32 v[97:98], v[81:82], v[97:98]
	s_wait_loadcnt_dscnt 0x900
	v_mul_f64_e32 v[127:128], v[123:124], v[101:102]
	v_mul_f64_e32 v[101:102], v[125:126], v[101:102]
	v_add_f64_e32 v[2:3], v[2:3], v[131:132]
	v_add_f64_e32 v[6:7], v[6:7], v[129:130]
	v_fma_f64 v[129:130], v[81:82], v[95:96], v[133:134]
	v_fma_f64 v[131:132], v[79:80], v[95:96], -v[97:98]
	ds_load_b128 v[79:82], v1 offset:768
	scratch_load_b128 v[95:98], off, off offset:416
	v_fma_f64 v[125:126], v[125:126], v[99:100], v[127:128]
	v_fma_f64 v[123:124], v[123:124], v[99:100], -v[101:102]
	scratch_load_b128 v[99:102], off, off offset:432
	v_add_f64_e32 v[2:3], v[2:3], v[111:112]
	v_add_f64_e32 v[6:7], v[6:7], v[113:114]
	ds_load_b128 v[111:114], v1 offset:784
	s_wait_loadcnt_dscnt 0xa01
	v_mul_f64_e32 v[133:134], v[79:80], v[105:106]
	v_mul_f64_e32 v[105:106], v[81:82], v[105:106]
	v_add_f64_e32 v[2:3], v[2:3], v[131:132]
	v_add_f64_e32 v[6:7], v[6:7], v[129:130]
	s_delay_alu instid0(VALU_DEP_4) | instskip(NEXT) | instid1(VALU_DEP_4)
	v_fma_f64 v[129:130], v[81:82], v[103:104], v[133:134]
	v_fma_f64 v[131:132], v[79:80], v[103:104], -v[105:106]
	ds_load_b128 v[79:82], v1 offset:800
	scratch_load_b128 v[103:106], off, off offset:448
	s_wait_loadcnt_dscnt 0x901
	v_mul_f64_e32 v[127:128], v[111:112], v[10:11]
	v_mul_f64_e32 v[10:11], v[113:114], v[10:11]
	v_add_f64_e32 v[2:3], v[2:3], v[123:124]
	v_add_f64_e32 v[6:7], v[6:7], v[125:126]
	ds_load_b128 v[123:126], v1 offset:816
	v_fma_f64 v[113:114], v[113:114], v[8:9], v[127:128]
	s_wait_loadcnt_dscnt 0x801
	v_mul_f64_e32 v[133:134], v[79:80], v[121:122]
	v_mul_f64_e32 v[121:122], v[81:82], v[121:122]
	v_fma_f64 v[10:11], v[111:112], v[8:9], -v[10:11]
	s_wait_loadcnt_dscnt 0x700
	v_mul_f64_e32 v[127:128], v[123:124], v[77:78]
	v_add_f64_e32 v[2:3], v[2:3], v[131:132]
	v_add_f64_e32 v[111:112], v[6:7], v[129:130]
	scratch_load_b128 v[6:9], off, off offset:464
	v_mul_f64_e32 v[129:130], v[125:126], v[77:78]
	v_fma_f64 v[81:82], v[81:82], v[119:120], v[133:134]
	v_fma_f64 v[131:132], v[79:80], v[119:120], -v[121:122]
	ds_load_b128 v[77:80], v1 offset:832
	ds_load_b128 v[119:122], v1 offset:848
	v_fma_f64 v[127:128], v[125:126], v[75:76], v[127:128]
	v_add_f64_e32 v[2:3], v[2:3], v[10:11]
	v_add_f64_e32 v[10:11], v[111:112], v[113:114]
	scratch_load_b128 v[111:114], off, off offset:480
	s_wait_loadcnt_dscnt 0x701
	v_mul_f64_e32 v[133:134], v[77:78], v[109:110]
	v_mul_f64_e32 v[109:110], v[79:80], v[109:110]
	v_fma_f64 v[75:76], v[123:124], v[75:76], -v[129:130]
	scratch_load_b128 v[123:126], off, off offset:496
	s_wait_dscnt 0x0
	v_mul_f64_e32 v[129:130], v[119:120], v[85:86]
	v_mul_f64_e32 v[85:86], v[121:122], v[85:86]
	v_add_f64_e32 v[2:3], v[2:3], v[131:132]
	v_add_f64_e32 v[10:11], v[10:11], v[81:82]
	v_fma_f64 v[131:132], v[79:80], v[107:108], v[133:134]
	v_fma_f64 v[107:108], v[77:78], v[107:108], -v[109:110]
	v_fma_f64 v[121:122], v[121:122], v[83:84], v[129:130]
	v_fma_f64 v[83:84], v[119:120], v[83:84], -v[85:86]
	v_add_f64_e32 v[2:3], v[2:3], v[75:76]
	v_add_f64_e32 v[10:11], v[10:11], v[127:128]
	ds_load_b128 v[75:78], v1 offset:864
	ds_load_b128 v[79:82], v1 offset:880
	s_wait_loadcnt_dscnt 0x701
	v_mul_f64_e32 v[109:110], v[75:76], v[89:90]
	v_mul_f64_e32 v[89:90], v[77:78], v[89:90]
	v_add_f64_e32 v[2:3], v[2:3], v[107:108]
	v_add_f64_e32 v[10:11], v[10:11], v[131:132]
	s_wait_loadcnt_dscnt 0x600
	v_mul_f64_e32 v[107:108], v[79:80], v[93:94]
	v_mul_f64_e32 v[93:94], v[81:82], v[93:94]
	v_fma_f64 v[109:110], v[77:78], v[87:88], v[109:110]
	v_fma_f64 v[87:88], v[75:76], v[87:88], -v[89:90]
	v_add_f64_e32 v[2:3], v[2:3], v[83:84]
	v_add_f64_e32 v[10:11], v[10:11], v[121:122]
	ds_load_b128 v[75:78], v1 offset:896
	ds_load_b128 v[83:86], v1 offset:912
	v_fma_f64 v[81:82], v[81:82], v[91:92], v[107:108]
	v_fma_f64 v[79:80], v[79:80], v[91:92], -v[93:94]
	s_wait_loadcnt_dscnt 0x501
	v_mul_f64_e32 v[89:90], v[75:76], v[97:98]
	v_mul_f64_e32 v[97:98], v[77:78], v[97:98]
	s_wait_loadcnt_dscnt 0x400
	v_mul_f64_e32 v[91:92], v[85:86], v[101:102]
	v_add_f64_e32 v[2:3], v[2:3], v[87:88]
	v_add_f64_e32 v[10:11], v[10:11], v[109:110]
	v_mul_f64_e32 v[87:88], v[83:84], v[101:102]
	v_fma_f64 v[89:90], v[77:78], v[95:96], v[89:90]
	v_fma_f64 v[93:94], v[75:76], v[95:96], -v[97:98]
	v_fma_f64 v[83:84], v[83:84], v[99:100], -v[91:92]
	v_add_f64_e32 v[2:3], v[2:3], v[79:80]
	v_add_f64_e32 v[10:11], v[10:11], v[81:82]
	ds_load_b128 v[75:78], v1 offset:928
	ds_load_b128 v[79:82], v1 offset:944
	v_fma_f64 v[85:86], v[85:86], v[99:100], v[87:88]
	s_wait_loadcnt_dscnt 0x301
	v_mul_f64_e32 v[95:96], v[75:76], v[105:106]
	v_mul_f64_e32 v[97:98], v[77:78], v[105:106]
	v_add_f64_e32 v[2:3], v[2:3], v[93:94]
	v_add_f64_e32 v[10:11], v[10:11], v[89:90]
	s_wait_loadcnt_dscnt 0x200
	v_mul_f64_e32 v[87:88], v[79:80], v[8:9]
	v_mul_f64_e32 v[89:90], v[81:82], v[8:9]
	v_fma_f64 v[77:78], v[77:78], v[103:104], v[95:96]
	v_fma_f64 v[75:76], v[75:76], v[103:104], -v[97:98]
	v_add_f64_e32 v[83:84], v[2:3], v[83:84]
	v_add_f64_e32 v[85:86], v[10:11], v[85:86]
	ds_load_b128 v[8:11], v1 offset:960
	ds_load_b128 v[1:4], v1 offset:976
	v_fma_f64 v[81:82], v[81:82], v[6:7], v[87:88]
	v_fma_f64 v[6:7], v[79:80], v[6:7], -v[89:90]
	s_wait_loadcnt_dscnt 0x101
	v_mul_f64_e32 v[91:92], v[8:9], v[113:114]
	v_mul_f64_e32 v[93:94], v[10:11], v[113:114]
	s_wait_loadcnt_dscnt 0x0
	v_mul_f64_e32 v[79:80], v[1:2], v[125:126]
	v_add_f64_e32 v[75:76], v[83:84], v[75:76]
	v_add_f64_e32 v[77:78], v[85:86], v[77:78]
	v_mul_f64_e32 v[83:84], v[3:4], v[125:126]
	v_fma_f64 v[10:11], v[10:11], v[111:112], v[91:92]
	v_fma_f64 v[8:9], v[8:9], v[111:112], -v[93:94]
	v_fma_f64 v[3:4], v[3:4], v[123:124], v[79:80]
	v_add_f64_e32 v[6:7], v[75:76], v[6:7]
	v_add_f64_e32 v[75:76], v[77:78], v[81:82]
	v_fma_f64 v[1:2], v[1:2], v[123:124], -v[83:84]
	s_delay_alu instid0(VALU_DEP_3) | instskip(NEXT) | instid1(VALU_DEP_3)
	v_add_f64_e32 v[6:7], v[6:7], v[8:9]
	v_add_f64_e32 v[8:9], v[75:76], v[10:11]
	s_delay_alu instid0(VALU_DEP_2) | instskip(NEXT) | instid1(VALU_DEP_2)
	v_add_f64_e32 v[1:2], v[6:7], v[1:2]
	v_add_f64_e32 v[3:4], v[8:9], v[3:4]
	s_delay_alu instid0(VALU_DEP_2) | instskip(NEXT) | instid1(VALU_DEP_2)
	v_add_f64_e64 v[1:2], v[115:116], -v[1:2]
	v_add_f64_e64 v[3:4], v[117:118], -v[3:4]
	scratch_store_b128 off, v[1:4], off offset:144
	v_cmpx_lt_u32_e32 7, v0
	s_cbranch_execz .LBB94_185
; %bb.184:
	scratch_load_b128 v[1:4], off, s25
	v_mov_b32_e32 v6, 0
	s_delay_alu instid0(VALU_DEP_1)
	v_dual_mov_b32 v7, v6 :: v_dual_mov_b32 v8, v6
	v_mov_b32_e32 v9, v6
	scratch_store_b128 off, v[6:9], off offset:128
	s_wait_loadcnt 0x0
	ds_store_b128 v5, v[1:4]
.LBB94_185:
	s_wait_alu 0xfffe
	s_or_b32 exec_lo, exec_lo, s0
	s_wait_storecnt_dscnt 0x0
	s_barrier_signal -1
	s_barrier_wait -1
	global_inv scope:SCOPE_SE
	s_clause 0x7
	scratch_load_b128 v[6:9], off, off offset:144
	scratch_load_b128 v[75:78], off, off offset:160
	;; [unrolled: 1-line block ×8, first 2 shown]
	v_mov_b32_e32 v1, 0
	s_mov_b32 s0, exec_lo
	ds_load_b128 v[103:106], v1 offset:624
	s_clause 0x1
	scratch_load_b128 v[107:110], off, off offset:272
	scratch_load_b128 v[111:114], off, off offset:128
	ds_load_b128 v[115:118], v1 offset:640
	ds_load_b128 v[123:126], v1 offset:672
	s_wait_loadcnt_dscnt 0x902
	v_mul_f64_e32 v[2:3], v[105:106], v[8:9]
	v_mul_f64_e32 v[119:120], v[103:104], v[8:9]
	scratch_load_b128 v[8:11], off, off offset:288
	v_fma_f64 v[2:3], v[103:104], v[6:7], -v[2:3]
	v_fma_f64 v[6:7], v[105:106], v[6:7], v[119:120]
	ds_load_b128 v[103:106], v1 offset:656
	s_wait_loadcnt_dscnt 0x902
	v_mul_f64_e32 v[127:128], v[115:116], v[77:78]
	v_mul_f64_e32 v[77:78], v[117:118], v[77:78]
	scratch_load_b128 v[119:122], off, off offset:304
	s_wait_loadcnt_dscnt 0x900
	v_mul_f64_e32 v[129:130], v[103:104], v[81:82]
	v_mul_f64_e32 v[81:82], v[105:106], v[81:82]
	v_add_f64_e32 v[2:3], 0, v[2:3]
	v_add_f64_e32 v[6:7], 0, v[6:7]
	v_fma_f64 v[117:118], v[117:118], v[75:76], v[127:128]
	v_fma_f64 v[115:116], v[115:116], v[75:76], -v[77:78]
	scratch_load_b128 v[75:78], off, off offset:320
	v_fma_f64 v[129:130], v[105:106], v[79:80], v[129:130]
	v_fma_f64 v[131:132], v[103:104], v[79:80], -v[81:82]
	ds_load_b128 v[79:82], v1 offset:688
	s_wait_loadcnt 0x9
	v_mul_f64_e32 v[127:128], v[123:124], v[85:86]
	v_mul_f64_e32 v[85:86], v[125:126], v[85:86]
	scratch_load_b128 v[103:106], off, off offset:336
	v_add_f64_e32 v[6:7], v[6:7], v[117:118]
	v_add_f64_e32 v[2:3], v[2:3], v[115:116]
	ds_load_b128 v[115:118], v1 offset:704
	s_wait_loadcnt_dscnt 0x901
	v_mul_f64_e32 v[133:134], v[79:80], v[89:90]
	v_mul_f64_e32 v[89:90], v[81:82], v[89:90]
	v_fma_f64 v[125:126], v[125:126], v[83:84], v[127:128]
	v_fma_f64 v[123:124], v[123:124], v[83:84], -v[85:86]
	scratch_load_b128 v[83:86], off, off offset:352
	v_add_f64_e32 v[6:7], v[6:7], v[129:130]
	v_add_f64_e32 v[2:3], v[2:3], v[131:132]
	v_fma_f64 v[129:130], v[81:82], v[87:88], v[133:134]
	v_fma_f64 v[131:132], v[79:80], v[87:88], -v[89:90]
	ds_load_b128 v[79:82], v1 offset:720
	s_wait_loadcnt_dscnt 0x901
	v_mul_f64_e32 v[127:128], v[115:116], v[93:94]
	v_mul_f64_e32 v[93:94], v[117:118], v[93:94]
	scratch_load_b128 v[87:90], off, off offset:368
	s_wait_loadcnt_dscnt 0x900
	v_mul_f64_e32 v[133:134], v[79:80], v[97:98]
	v_mul_f64_e32 v[97:98], v[81:82], v[97:98]
	v_add_f64_e32 v[6:7], v[6:7], v[125:126]
	v_add_f64_e32 v[2:3], v[2:3], v[123:124]
	ds_load_b128 v[123:126], v1 offset:736
	v_fma_f64 v[117:118], v[117:118], v[91:92], v[127:128]
	v_fma_f64 v[115:116], v[115:116], v[91:92], -v[93:94]
	scratch_load_b128 v[91:94], off, off offset:384
	v_add_f64_e32 v[6:7], v[6:7], v[129:130]
	v_add_f64_e32 v[2:3], v[2:3], v[131:132]
	v_fma_f64 v[129:130], v[81:82], v[95:96], v[133:134]
	v_fma_f64 v[131:132], v[79:80], v[95:96], -v[97:98]
	ds_load_b128 v[79:82], v1 offset:752
	s_wait_loadcnt_dscnt 0x901
	v_mul_f64_e32 v[127:128], v[123:124], v[101:102]
	v_mul_f64_e32 v[101:102], v[125:126], v[101:102]
	scratch_load_b128 v[95:98], off, off offset:400
	s_wait_loadcnt_dscnt 0x900
	v_mul_f64_e32 v[133:134], v[79:80], v[109:110]
	v_mul_f64_e32 v[109:110], v[81:82], v[109:110]
	v_add_f64_e32 v[6:7], v[6:7], v[117:118]
	v_add_f64_e32 v[2:3], v[2:3], v[115:116]
	ds_load_b128 v[115:118], v1 offset:768
	v_fma_f64 v[125:126], v[125:126], v[99:100], v[127:128]
	v_fma_f64 v[123:124], v[123:124], v[99:100], -v[101:102]
	scratch_load_b128 v[99:102], off, off offset:416
	v_add_f64_e32 v[6:7], v[6:7], v[129:130]
	v_add_f64_e32 v[2:3], v[2:3], v[131:132]
	v_fma_f64 v[129:130], v[81:82], v[107:108], v[133:134]
	v_fma_f64 v[131:132], v[79:80], v[107:108], -v[109:110]
	ds_load_b128 v[79:82], v1 offset:784
	scratch_load_b128 v[107:110], off, off offset:432
	s_wait_loadcnt_dscnt 0x901
	v_mul_f64_e32 v[127:128], v[115:116], v[10:11]
	v_mul_f64_e32 v[10:11], v[117:118], v[10:11]
	v_add_f64_e32 v[6:7], v[6:7], v[125:126]
	v_add_f64_e32 v[2:3], v[2:3], v[123:124]
	ds_load_b128 v[123:126], v1 offset:800
	v_fma_f64 v[117:118], v[117:118], v[8:9], v[127:128]
	v_fma_f64 v[10:11], v[115:116], v[8:9], -v[10:11]
	s_wait_loadcnt_dscnt 0x801
	v_mul_f64_e32 v[133:134], v[79:80], v[121:122]
	v_mul_f64_e32 v[121:122], v[81:82], v[121:122]
	v_add_f64_e32 v[115:116], v[6:7], v[129:130]
	v_add_f64_e32 v[2:3], v[2:3], v[131:132]
	scratch_load_b128 v[6:9], off, off offset:448
	v_fma_f64 v[81:82], v[81:82], v[119:120], v[133:134]
	v_fma_f64 v[131:132], v[79:80], v[119:120], -v[121:122]
	ds_load_b128 v[119:122], v1 offset:832
	s_wait_loadcnt_dscnt 0x801
	v_mul_f64_e32 v[127:128], v[123:124], v[77:78]
	v_mul_f64_e32 v[129:130], v[125:126], v[77:78]
	ds_load_b128 v[77:80], v1 offset:816
	v_add_f64_e32 v[2:3], v[2:3], v[10:11]
	v_add_f64_e32 v[10:11], v[115:116], v[117:118]
	scratch_load_b128 v[115:118], off, off offset:464
	s_wait_loadcnt_dscnt 0x800
	v_mul_f64_e32 v[133:134], v[77:78], v[105:106]
	v_mul_f64_e32 v[105:106], v[79:80], v[105:106]
	v_fma_f64 v[127:128], v[125:126], v[75:76], v[127:128]
	v_fma_f64 v[75:76], v[123:124], v[75:76], -v[129:130]
	scratch_load_b128 v[123:126], off, off offset:480
	v_add_f64_e32 v[2:3], v[2:3], v[131:132]
	v_add_f64_e32 v[10:11], v[10:11], v[81:82]
	s_wait_loadcnt 0x8
	v_mul_f64_e32 v[129:130], v[119:120], v[85:86]
	v_mul_f64_e32 v[85:86], v[121:122], v[85:86]
	v_fma_f64 v[131:132], v[79:80], v[103:104], v[133:134]
	v_fma_f64 v[133:134], v[77:78], v[103:104], -v[105:106]
	scratch_load_b128 v[79:82], off, off offset:496
	ds_load_b128 v[103:106], v1 offset:864
	v_add_f64_e32 v[2:3], v[2:3], v[75:76]
	v_add_f64_e32 v[10:11], v[10:11], v[127:128]
	ds_load_b128 v[75:78], v1 offset:848
	v_fma_f64 v[121:122], v[121:122], v[83:84], v[129:130]
	v_fma_f64 v[83:84], v[119:120], v[83:84], -v[85:86]
	s_wait_loadcnt_dscnt 0x800
	v_mul_f64_e32 v[127:128], v[75:76], v[89:90]
	v_mul_f64_e32 v[89:90], v[77:78], v[89:90]
	s_wait_loadcnt 0x7
	v_mul_f64_e32 v[119:120], v[103:104], v[93:94]
	v_mul_f64_e32 v[93:94], v[105:106], v[93:94]
	v_add_f64_e32 v[2:3], v[2:3], v[133:134]
	v_add_f64_e32 v[10:11], v[10:11], v[131:132]
	v_fma_f64 v[127:128], v[77:78], v[87:88], v[127:128]
	v_fma_f64 v[87:88], v[75:76], v[87:88], -v[89:90]
	v_fma_f64 v[105:106], v[105:106], v[91:92], v[119:120]
	v_fma_f64 v[91:92], v[103:104], v[91:92], -v[93:94]
	v_add_f64_e32 v[2:3], v[2:3], v[83:84]
	v_add_f64_e32 v[10:11], v[10:11], v[121:122]
	ds_load_b128 v[75:78], v1 offset:880
	ds_load_b128 v[83:86], v1 offset:896
	s_wait_loadcnt_dscnt 0x601
	v_mul_f64_e32 v[89:90], v[75:76], v[97:98]
	v_mul_f64_e32 v[97:98], v[77:78], v[97:98]
	s_wait_loadcnt_dscnt 0x500
	v_mul_f64_e32 v[93:94], v[83:84], v[101:102]
	v_mul_f64_e32 v[101:102], v[85:86], v[101:102]
	v_add_f64_e32 v[2:3], v[2:3], v[87:88]
	v_add_f64_e32 v[10:11], v[10:11], v[127:128]
	v_fma_f64 v[103:104], v[77:78], v[95:96], v[89:90]
	v_fma_f64 v[95:96], v[75:76], v[95:96], -v[97:98]
	ds_load_b128 v[75:78], v1 offset:912
	ds_load_b128 v[87:90], v1 offset:928
	v_fma_f64 v[85:86], v[85:86], v[99:100], v[93:94]
	v_fma_f64 v[83:84], v[83:84], v[99:100], -v[101:102]
	v_add_f64_e32 v[2:3], v[2:3], v[91:92]
	v_add_f64_e32 v[10:11], v[10:11], v[105:106]
	s_wait_loadcnt_dscnt 0x401
	v_mul_f64_e32 v[91:92], v[75:76], v[109:110]
	v_mul_f64_e32 v[97:98], v[77:78], v[109:110]
	s_delay_alu instid0(VALU_DEP_4) | instskip(NEXT) | instid1(VALU_DEP_4)
	v_add_f64_e32 v[2:3], v[2:3], v[95:96]
	v_add_f64_e32 v[10:11], v[10:11], v[103:104]
	s_delay_alu instid0(VALU_DEP_4) | instskip(NEXT) | instid1(VALU_DEP_4)
	v_fma_f64 v[91:92], v[77:78], v[107:108], v[91:92]
	v_fma_f64 v[97:98], v[75:76], v[107:108], -v[97:98]
	s_wait_loadcnt_dscnt 0x300
	v_mul_f64_e32 v[93:94], v[87:88], v[8:9]
	v_mul_f64_e32 v[95:96], v[89:90], v[8:9]
	v_add_f64_e32 v[2:3], v[2:3], v[83:84]
	v_add_f64_e32 v[83:84], v[10:11], v[85:86]
	ds_load_b128 v[8:11], v1 offset:944
	ds_load_b128 v[75:78], v1 offset:960
	v_fma_f64 v[89:90], v[89:90], v[6:7], v[93:94]
	v_fma_f64 v[6:7], v[87:88], v[6:7], -v[95:96]
	s_wait_loadcnt_dscnt 0x201
	v_mul_f64_e32 v[85:86], v[8:9], v[117:118]
	v_mul_f64_e32 v[99:100], v[10:11], v[117:118]
	s_wait_loadcnt_dscnt 0x100
	v_mul_f64_e32 v[87:88], v[75:76], v[125:126]
	v_add_f64_e32 v[2:3], v[2:3], v[97:98]
	v_add_f64_e32 v[83:84], v[83:84], v[91:92]
	v_mul_f64_e32 v[91:92], v[77:78], v[125:126]
	v_fma_f64 v[10:11], v[10:11], v[115:116], v[85:86]
	v_fma_f64 v[85:86], v[8:9], v[115:116], -v[99:100]
	v_fma_f64 v[77:78], v[77:78], v[123:124], v[87:88]
	v_add_f64_e32 v[2:3], v[2:3], v[6:7]
	v_add_f64_e32 v[83:84], v[83:84], v[89:90]
	ds_load_b128 v[6:9], v1 offset:976
	v_fma_f64 v[75:76], v[75:76], v[123:124], -v[91:92]
	s_wait_loadcnt_dscnt 0x0
	v_mul_f64_e32 v[89:90], v[6:7], v[81:82]
	v_mul_f64_e32 v[81:82], v[8:9], v[81:82]
	v_add_f64_e32 v[2:3], v[2:3], v[85:86]
	v_add_f64_e32 v[10:11], v[83:84], v[10:11]
	s_delay_alu instid0(VALU_DEP_4) | instskip(NEXT) | instid1(VALU_DEP_4)
	v_fma_f64 v[8:9], v[8:9], v[79:80], v[89:90]
	v_fma_f64 v[6:7], v[6:7], v[79:80], -v[81:82]
	s_delay_alu instid0(VALU_DEP_4) | instskip(NEXT) | instid1(VALU_DEP_4)
	v_add_f64_e32 v[2:3], v[2:3], v[75:76]
	v_add_f64_e32 v[10:11], v[10:11], v[77:78]
	s_delay_alu instid0(VALU_DEP_2) | instskip(NEXT) | instid1(VALU_DEP_2)
	v_add_f64_e32 v[2:3], v[2:3], v[6:7]
	v_add_f64_e32 v[8:9], v[10:11], v[8:9]
	s_delay_alu instid0(VALU_DEP_2) | instskip(NEXT) | instid1(VALU_DEP_2)
	v_add_f64_e64 v[6:7], v[111:112], -v[2:3]
	v_add_f64_e64 v[8:9], v[113:114], -v[8:9]
	scratch_store_b128 off, v[6:9], off offset:128
	v_cmpx_lt_u32_e32 6, v0
	s_cbranch_execz .LBB94_187
; %bb.186:
	scratch_load_b128 v[6:9], off, s5
	v_dual_mov_b32 v2, v1 :: v_dual_mov_b32 v3, v1
	v_mov_b32_e32 v4, v1
	scratch_store_b128 off, v[1:4], off offset:112
	s_wait_loadcnt 0x0
	ds_store_b128 v5, v[6:9]
.LBB94_187:
	s_wait_alu 0xfffe
	s_or_b32 exec_lo, exec_lo, s0
	s_wait_storecnt_dscnt 0x0
	s_barrier_signal -1
	s_barrier_wait -1
	global_inv scope:SCOPE_SE
	s_clause 0x8
	scratch_load_b128 v[6:9], off, off offset:128
	scratch_load_b128 v[75:78], off, off offset:144
	;; [unrolled: 1-line block ×9, first 2 shown]
	ds_load_b128 v[107:110], v1 offset:608
	ds_load_b128 v[111:114], v1 offset:624
	scratch_load_b128 v[115:118], off, off offset:112
	s_mov_b32 s0, exec_lo
	ds_load_b128 v[123:126], v1 offset:656
	s_wait_loadcnt_dscnt 0x902
	v_mul_f64_e32 v[2:3], v[109:110], v[8:9]
	v_mul_f64_e32 v[119:120], v[107:108], v[8:9]
	scratch_load_b128 v[8:11], off, off offset:272
	s_wait_loadcnt_dscnt 0x901
	v_mul_f64_e32 v[127:128], v[111:112], v[77:78]
	v_mul_f64_e32 v[77:78], v[113:114], v[77:78]
	v_fma_f64 v[2:3], v[107:108], v[6:7], -v[2:3]
	v_fma_f64 v[6:7], v[109:110], v[6:7], v[119:120]
	ds_load_b128 v[107:110], v1 offset:640
	scratch_load_b128 v[119:122], off, off offset:288
	v_fma_f64 v[113:114], v[113:114], v[75:76], v[127:128]
	v_fma_f64 v[111:112], v[111:112], v[75:76], -v[77:78]
	scratch_load_b128 v[75:78], off, off offset:304
	s_wait_loadcnt_dscnt 0x901
	v_mul_f64_e32 v[127:128], v[123:124], v[85:86]
	v_mul_f64_e32 v[85:86], v[125:126], v[85:86]
	s_wait_dscnt 0x0
	v_mul_f64_e32 v[129:130], v[107:108], v[81:82]
	v_mul_f64_e32 v[81:82], v[109:110], v[81:82]
	v_add_f64_e32 v[2:3], 0, v[2:3]
	v_add_f64_e32 v[6:7], 0, v[6:7]
	v_fma_f64 v[125:126], v[125:126], v[83:84], v[127:128]
	v_fma_f64 v[123:124], v[123:124], v[83:84], -v[85:86]
	scratch_load_b128 v[83:86], off, off offset:336
	v_fma_f64 v[129:130], v[109:110], v[79:80], v[129:130]
	v_fma_f64 v[131:132], v[107:108], v[79:80], -v[81:82]
	ds_load_b128 v[79:82], v1 offset:672
	scratch_load_b128 v[107:110], off, off offset:320
	v_add_f64_e32 v[2:3], v[2:3], v[111:112]
	v_add_f64_e32 v[6:7], v[6:7], v[113:114]
	ds_load_b128 v[111:114], v1 offset:688
	s_wait_loadcnt_dscnt 0xa01
	v_mul_f64_e32 v[133:134], v[79:80], v[89:90]
	v_mul_f64_e32 v[89:90], v[81:82], v[89:90]
	s_wait_loadcnt_dscnt 0x900
	v_mul_f64_e32 v[127:128], v[111:112], v[93:94]
	v_mul_f64_e32 v[93:94], v[113:114], v[93:94]
	v_add_f64_e32 v[2:3], v[2:3], v[131:132]
	v_add_f64_e32 v[6:7], v[6:7], v[129:130]
	v_fma_f64 v[129:130], v[81:82], v[87:88], v[133:134]
	v_fma_f64 v[131:132], v[79:80], v[87:88], -v[89:90]
	ds_load_b128 v[79:82], v1 offset:704
	scratch_load_b128 v[87:90], off, off offset:352
	v_fma_f64 v[113:114], v[113:114], v[91:92], v[127:128]
	v_fma_f64 v[111:112], v[111:112], v[91:92], -v[93:94]
	scratch_load_b128 v[91:94], off, off offset:368
	v_add_f64_e32 v[2:3], v[2:3], v[123:124]
	v_add_f64_e32 v[6:7], v[6:7], v[125:126]
	ds_load_b128 v[123:126], v1 offset:720
	s_wait_loadcnt_dscnt 0xa01
	v_mul_f64_e32 v[133:134], v[79:80], v[97:98]
	v_mul_f64_e32 v[97:98], v[81:82], v[97:98]
	s_wait_loadcnt_dscnt 0x900
	v_mul_f64_e32 v[127:128], v[123:124], v[101:102]
	v_mul_f64_e32 v[101:102], v[125:126], v[101:102]
	v_add_f64_e32 v[2:3], v[2:3], v[131:132]
	v_add_f64_e32 v[6:7], v[6:7], v[129:130]
	v_fma_f64 v[129:130], v[81:82], v[95:96], v[133:134]
	v_fma_f64 v[131:132], v[79:80], v[95:96], -v[97:98]
	ds_load_b128 v[79:82], v1 offset:736
	scratch_load_b128 v[95:98], off, off offset:384
	v_fma_f64 v[125:126], v[125:126], v[99:100], v[127:128]
	v_fma_f64 v[123:124], v[123:124], v[99:100], -v[101:102]
	scratch_load_b128 v[99:102], off, off offset:400
	v_add_f64_e32 v[2:3], v[2:3], v[111:112]
	v_add_f64_e32 v[6:7], v[6:7], v[113:114]
	ds_load_b128 v[111:114], v1 offset:752
	s_wait_loadcnt_dscnt 0xa01
	v_mul_f64_e32 v[133:134], v[79:80], v[105:106]
	v_mul_f64_e32 v[105:106], v[81:82], v[105:106]
	v_add_f64_e32 v[2:3], v[2:3], v[131:132]
	v_add_f64_e32 v[6:7], v[6:7], v[129:130]
	s_delay_alu instid0(VALU_DEP_4) | instskip(NEXT) | instid1(VALU_DEP_4)
	v_fma_f64 v[129:130], v[81:82], v[103:104], v[133:134]
	v_fma_f64 v[131:132], v[79:80], v[103:104], -v[105:106]
	ds_load_b128 v[79:82], v1 offset:768
	scratch_load_b128 v[103:106], off, off offset:416
	s_wait_loadcnt_dscnt 0x901
	v_mul_f64_e32 v[127:128], v[111:112], v[10:11]
	v_mul_f64_e32 v[10:11], v[113:114], v[10:11]
	v_add_f64_e32 v[2:3], v[2:3], v[123:124]
	v_add_f64_e32 v[6:7], v[6:7], v[125:126]
	ds_load_b128 v[123:126], v1 offset:784
	v_fma_f64 v[113:114], v[113:114], v[8:9], v[127:128]
	s_wait_loadcnt_dscnt 0x801
	v_mul_f64_e32 v[133:134], v[79:80], v[121:122]
	v_mul_f64_e32 v[121:122], v[81:82], v[121:122]
	v_fma_f64 v[10:11], v[111:112], v[8:9], -v[10:11]
	s_wait_loadcnt_dscnt 0x700
	v_mul_f64_e32 v[127:128], v[123:124], v[77:78]
	v_add_f64_e32 v[2:3], v[2:3], v[131:132]
	v_add_f64_e32 v[111:112], v[6:7], v[129:130]
	scratch_load_b128 v[6:9], off, off offset:432
	v_mul_f64_e32 v[129:130], v[125:126], v[77:78]
	v_fma_f64 v[81:82], v[81:82], v[119:120], v[133:134]
	v_fma_f64 v[131:132], v[79:80], v[119:120], -v[121:122]
	ds_load_b128 v[77:80], v1 offset:800
	ds_load_b128 v[119:122], v1 offset:816
	v_fma_f64 v[127:128], v[125:126], v[75:76], v[127:128]
	v_add_f64_e32 v[2:3], v[2:3], v[10:11]
	v_add_f64_e32 v[10:11], v[111:112], v[113:114]
	scratch_load_b128 v[111:114], off, off offset:448
	s_wait_loadcnt_dscnt 0x701
	v_mul_f64_e32 v[133:134], v[77:78], v[109:110]
	v_mul_f64_e32 v[109:110], v[79:80], v[109:110]
	v_fma_f64 v[75:76], v[123:124], v[75:76], -v[129:130]
	scratch_load_b128 v[123:126], off, off offset:464
	s_wait_dscnt 0x0
	v_mul_f64_e32 v[129:130], v[119:120], v[85:86]
	v_mul_f64_e32 v[85:86], v[121:122], v[85:86]
	v_add_f64_e32 v[2:3], v[2:3], v[131:132]
	v_add_f64_e32 v[10:11], v[10:11], v[81:82]
	v_fma_f64 v[131:132], v[79:80], v[107:108], v[133:134]
	v_fma_f64 v[133:134], v[77:78], v[107:108], -v[109:110]
	scratch_load_b128 v[79:82], off, off offset:480
	ds_load_b128 v[107:110], v1 offset:848
	v_fma_f64 v[121:122], v[121:122], v[83:84], v[129:130]
	v_fma_f64 v[119:120], v[119:120], v[83:84], -v[85:86]
	scratch_load_b128 v[83:86], off, off offset:496
	v_add_f64_e32 v[2:3], v[2:3], v[75:76]
	v_add_f64_e32 v[10:11], v[10:11], v[127:128]
	ds_load_b128 v[75:78], v1 offset:832
	s_wait_loadcnt_dscnt 0x801
	v_mul_f64_e32 v[129:130], v[107:108], v[93:94]
	v_mul_f64_e32 v[93:94], v[109:110], v[93:94]
	s_wait_dscnt 0x0
	v_mul_f64_e32 v[127:128], v[75:76], v[89:90]
	v_mul_f64_e32 v[89:90], v[77:78], v[89:90]
	v_add_f64_e32 v[2:3], v[2:3], v[133:134]
	v_add_f64_e32 v[10:11], v[10:11], v[131:132]
	v_fma_f64 v[109:110], v[109:110], v[91:92], v[129:130]
	v_fma_f64 v[91:92], v[107:108], v[91:92], -v[93:94]
	v_fma_f64 v[127:128], v[77:78], v[87:88], v[127:128]
	v_fma_f64 v[131:132], v[75:76], v[87:88], -v[89:90]
	ds_load_b128 v[75:78], v1 offset:864
	ds_load_b128 v[87:90], v1 offset:880
	v_add_f64_e32 v[2:3], v[2:3], v[119:120]
	v_add_f64_e32 v[10:11], v[10:11], v[121:122]
	s_wait_loadcnt_dscnt 0x701
	v_mul_f64_e32 v[119:120], v[75:76], v[97:98]
	v_mul_f64_e32 v[97:98], v[77:78], v[97:98]
	s_wait_loadcnt_dscnt 0x600
	v_mul_f64_e32 v[107:108], v[87:88], v[101:102]
	v_mul_f64_e32 v[101:102], v[89:90], v[101:102]
	v_add_f64_e32 v[2:3], v[2:3], v[131:132]
	v_add_f64_e32 v[10:11], v[10:11], v[127:128]
	v_fma_f64 v[119:120], v[77:78], v[95:96], v[119:120]
	v_fma_f64 v[95:96], v[75:76], v[95:96], -v[97:98]
	v_fma_f64 v[89:90], v[89:90], v[99:100], v[107:108]
	v_fma_f64 v[87:88], v[87:88], v[99:100], -v[101:102]
	v_add_f64_e32 v[2:3], v[2:3], v[91:92]
	v_add_f64_e32 v[10:11], v[10:11], v[109:110]
	ds_load_b128 v[75:78], v1 offset:896
	ds_load_b128 v[91:94], v1 offset:912
	s_wait_loadcnt_dscnt 0x501
	v_mul_f64_e32 v[97:98], v[75:76], v[105:106]
	v_mul_f64_e32 v[105:106], v[77:78], v[105:106]
	v_add_f64_e32 v[2:3], v[2:3], v[95:96]
	v_add_f64_e32 v[10:11], v[10:11], v[119:120]
	s_wait_loadcnt_dscnt 0x400
	v_mul_f64_e32 v[95:96], v[91:92], v[8:9]
	v_mul_f64_e32 v[99:100], v[93:94], v[8:9]
	v_fma_f64 v[97:98], v[77:78], v[103:104], v[97:98]
	v_fma_f64 v[101:102], v[75:76], v[103:104], -v[105:106]
	v_add_f64_e32 v[2:3], v[2:3], v[87:88]
	v_add_f64_e32 v[87:88], v[10:11], v[89:90]
	ds_load_b128 v[8:11], v1 offset:928
	ds_load_b128 v[75:78], v1 offset:944
	v_fma_f64 v[93:94], v[93:94], v[6:7], v[95:96]
	v_fma_f64 v[6:7], v[91:92], v[6:7], -v[99:100]
	s_wait_loadcnt_dscnt 0x301
	v_mul_f64_e32 v[89:90], v[8:9], v[113:114]
	v_mul_f64_e32 v[103:104], v[10:11], v[113:114]
	s_wait_loadcnt_dscnt 0x200
	v_mul_f64_e32 v[91:92], v[75:76], v[125:126]
	v_mul_f64_e32 v[95:96], v[77:78], v[125:126]
	v_add_f64_e32 v[2:3], v[2:3], v[101:102]
	v_add_f64_e32 v[87:88], v[87:88], v[97:98]
	v_fma_f64 v[10:11], v[10:11], v[111:112], v[89:90]
	v_fma_f64 v[89:90], v[8:9], v[111:112], -v[103:104]
	v_fma_f64 v[77:78], v[77:78], v[123:124], v[91:92]
	v_fma_f64 v[75:76], v[75:76], v[123:124], -v[95:96]
	v_add_f64_e32 v[97:98], v[2:3], v[6:7]
	v_add_f64_e32 v[87:88], v[87:88], v[93:94]
	ds_load_b128 v[6:9], v1 offset:960
	ds_load_b128 v[1:4], v1 offset:976
	s_wait_loadcnt_dscnt 0x101
	v_mul_f64_e32 v[93:94], v[6:7], v[81:82]
	v_mul_f64_e32 v[81:82], v[8:9], v[81:82]
	v_add_f64_e32 v[89:90], v[97:98], v[89:90]
	v_add_f64_e32 v[10:11], v[87:88], v[10:11]
	s_wait_loadcnt_dscnt 0x0
	v_mul_f64_e32 v[87:88], v[1:2], v[85:86]
	v_mul_f64_e32 v[85:86], v[3:4], v[85:86]
	v_fma_f64 v[8:9], v[8:9], v[79:80], v[93:94]
	v_fma_f64 v[6:7], v[6:7], v[79:80], -v[81:82]
	v_add_f64_e32 v[75:76], v[89:90], v[75:76]
	v_add_f64_e32 v[10:11], v[10:11], v[77:78]
	v_fma_f64 v[3:4], v[3:4], v[83:84], v[87:88]
	v_fma_f64 v[1:2], v[1:2], v[83:84], -v[85:86]
	s_delay_alu instid0(VALU_DEP_4) | instskip(NEXT) | instid1(VALU_DEP_4)
	v_add_f64_e32 v[6:7], v[75:76], v[6:7]
	v_add_f64_e32 v[8:9], v[10:11], v[8:9]
	s_delay_alu instid0(VALU_DEP_2) | instskip(NEXT) | instid1(VALU_DEP_2)
	v_add_f64_e32 v[1:2], v[6:7], v[1:2]
	v_add_f64_e32 v[3:4], v[8:9], v[3:4]
	s_delay_alu instid0(VALU_DEP_2) | instskip(NEXT) | instid1(VALU_DEP_2)
	v_add_f64_e64 v[1:2], v[115:116], -v[1:2]
	v_add_f64_e64 v[3:4], v[117:118], -v[3:4]
	scratch_store_b128 off, v[1:4], off offset:112
	v_cmpx_lt_u32_e32 5, v0
	s_cbranch_execz .LBB94_189
; %bb.188:
	scratch_load_b128 v[1:4], off, s24
	v_mov_b32_e32 v6, 0
	s_delay_alu instid0(VALU_DEP_1)
	v_dual_mov_b32 v7, v6 :: v_dual_mov_b32 v8, v6
	v_mov_b32_e32 v9, v6
	scratch_store_b128 off, v[6:9], off offset:96
	s_wait_loadcnt 0x0
	ds_store_b128 v5, v[1:4]
.LBB94_189:
	s_wait_alu 0xfffe
	s_or_b32 exec_lo, exec_lo, s0
	s_wait_storecnt_dscnt 0x0
	s_barrier_signal -1
	s_barrier_wait -1
	global_inv scope:SCOPE_SE
	s_clause 0x7
	scratch_load_b128 v[6:9], off, off offset:112
	scratch_load_b128 v[75:78], off, off offset:128
	;; [unrolled: 1-line block ×8, first 2 shown]
	v_mov_b32_e32 v1, 0
	s_mov_b32 s0, exec_lo
	ds_load_b128 v[103:106], v1 offset:592
	s_clause 0x1
	scratch_load_b128 v[107:110], off, off offset:240
	scratch_load_b128 v[111:114], off, off offset:96
	ds_load_b128 v[115:118], v1 offset:608
	ds_load_b128 v[123:126], v1 offset:640
	s_wait_loadcnt_dscnt 0x902
	v_mul_f64_e32 v[2:3], v[105:106], v[8:9]
	v_mul_f64_e32 v[119:120], v[103:104], v[8:9]
	scratch_load_b128 v[8:11], off, off offset:256
	v_fma_f64 v[2:3], v[103:104], v[6:7], -v[2:3]
	v_fma_f64 v[6:7], v[105:106], v[6:7], v[119:120]
	ds_load_b128 v[103:106], v1 offset:624
	s_wait_loadcnt_dscnt 0x902
	v_mul_f64_e32 v[127:128], v[115:116], v[77:78]
	v_mul_f64_e32 v[77:78], v[117:118], v[77:78]
	scratch_load_b128 v[119:122], off, off offset:272
	s_wait_loadcnt_dscnt 0x900
	v_mul_f64_e32 v[129:130], v[103:104], v[81:82]
	v_mul_f64_e32 v[81:82], v[105:106], v[81:82]
	v_add_f64_e32 v[2:3], 0, v[2:3]
	v_add_f64_e32 v[6:7], 0, v[6:7]
	v_fma_f64 v[117:118], v[117:118], v[75:76], v[127:128]
	v_fma_f64 v[115:116], v[115:116], v[75:76], -v[77:78]
	scratch_load_b128 v[75:78], off, off offset:288
	v_fma_f64 v[129:130], v[105:106], v[79:80], v[129:130]
	v_fma_f64 v[131:132], v[103:104], v[79:80], -v[81:82]
	ds_load_b128 v[79:82], v1 offset:656
	s_wait_loadcnt 0x9
	v_mul_f64_e32 v[127:128], v[123:124], v[85:86]
	v_mul_f64_e32 v[85:86], v[125:126], v[85:86]
	scratch_load_b128 v[103:106], off, off offset:304
	v_add_f64_e32 v[6:7], v[6:7], v[117:118]
	v_add_f64_e32 v[2:3], v[2:3], v[115:116]
	ds_load_b128 v[115:118], v1 offset:672
	s_wait_loadcnt_dscnt 0x901
	v_mul_f64_e32 v[133:134], v[79:80], v[89:90]
	v_mul_f64_e32 v[89:90], v[81:82], v[89:90]
	v_fma_f64 v[125:126], v[125:126], v[83:84], v[127:128]
	v_fma_f64 v[123:124], v[123:124], v[83:84], -v[85:86]
	scratch_load_b128 v[83:86], off, off offset:320
	v_add_f64_e32 v[6:7], v[6:7], v[129:130]
	v_add_f64_e32 v[2:3], v[2:3], v[131:132]
	v_fma_f64 v[129:130], v[81:82], v[87:88], v[133:134]
	v_fma_f64 v[131:132], v[79:80], v[87:88], -v[89:90]
	ds_load_b128 v[79:82], v1 offset:688
	s_wait_loadcnt_dscnt 0x901
	v_mul_f64_e32 v[127:128], v[115:116], v[93:94]
	v_mul_f64_e32 v[93:94], v[117:118], v[93:94]
	scratch_load_b128 v[87:90], off, off offset:336
	s_wait_loadcnt_dscnt 0x900
	v_mul_f64_e32 v[133:134], v[79:80], v[97:98]
	v_mul_f64_e32 v[97:98], v[81:82], v[97:98]
	v_add_f64_e32 v[6:7], v[6:7], v[125:126]
	v_add_f64_e32 v[2:3], v[2:3], v[123:124]
	ds_load_b128 v[123:126], v1 offset:704
	v_fma_f64 v[117:118], v[117:118], v[91:92], v[127:128]
	v_fma_f64 v[115:116], v[115:116], v[91:92], -v[93:94]
	scratch_load_b128 v[91:94], off, off offset:352
	v_add_f64_e32 v[6:7], v[6:7], v[129:130]
	v_add_f64_e32 v[2:3], v[2:3], v[131:132]
	v_fma_f64 v[129:130], v[81:82], v[95:96], v[133:134]
	v_fma_f64 v[131:132], v[79:80], v[95:96], -v[97:98]
	ds_load_b128 v[79:82], v1 offset:720
	s_wait_loadcnt_dscnt 0x901
	v_mul_f64_e32 v[127:128], v[123:124], v[101:102]
	v_mul_f64_e32 v[101:102], v[125:126], v[101:102]
	scratch_load_b128 v[95:98], off, off offset:368
	s_wait_loadcnt_dscnt 0x900
	v_mul_f64_e32 v[133:134], v[79:80], v[109:110]
	v_mul_f64_e32 v[109:110], v[81:82], v[109:110]
	v_add_f64_e32 v[6:7], v[6:7], v[117:118]
	v_add_f64_e32 v[2:3], v[2:3], v[115:116]
	ds_load_b128 v[115:118], v1 offset:736
	v_fma_f64 v[125:126], v[125:126], v[99:100], v[127:128]
	v_fma_f64 v[123:124], v[123:124], v[99:100], -v[101:102]
	scratch_load_b128 v[99:102], off, off offset:384
	v_add_f64_e32 v[6:7], v[6:7], v[129:130]
	v_add_f64_e32 v[2:3], v[2:3], v[131:132]
	v_fma_f64 v[129:130], v[81:82], v[107:108], v[133:134]
	v_fma_f64 v[131:132], v[79:80], v[107:108], -v[109:110]
	ds_load_b128 v[79:82], v1 offset:752
	scratch_load_b128 v[107:110], off, off offset:400
	s_wait_loadcnt_dscnt 0x901
	v_mul_f64_e32 v[127:128], v[115:116], v[10:11]
	v_mul_f64_e32 v[10:11], v[117:118], v[10:11]
	v_add_f64_e32 v[6:7], v[6:7], v[125:126]
	v_add_f64_e32 v[2:3], v[2:3], v[123:124]
	ds_load_b128 v[123:126], v1 offset:768
	v_fma_f64 v[117:118], v[117:118], v[8:9], v[127:128]
	v_fma_f64 v[10:11], v[115:116], v[8:9], -v[10:11]
	s_wait_loadcnt_dscnt 0x801
	v_mul_f64_e32 v[133:134], v[79:80], v[121:122]
	v_mul_f64_e32 v[121:122], v[81:82], v[121:122]
	v_add_f64_e32 v[115:116], v[6:7], v[129:130]
	v_add_f64_e32 v[2:3], v[2:3], v[131:132]
	scratch_load_b128 v[6:9], off, off offset:416
	v_fma_f64 v[81:82], v[81:82], v[119:120], v[133:134]
	v_fma_f64 v[131:132], v[79:80], v[119:120], -v[121:122]
	ds_load_b128 v[119:122], v1 offset:800
	s_wait_loadcnt_dscnt 0x801
	v_mul_f64_e32 v[127:128], v[123:124], v[77:78]
	v_mul_f64_e32 v[129:130], v[125:126], v[77:78]
	ds_load_b128 v[77:80], v1 offset:784
	v_add_f64_e32 v[2:3], v[2:3], v[10:11]
	v_add_f64_e32 v[10:11], v[115:116], v[117:118]
	scratch_load_b128 v[115:118], off, off offset:432
	s_wait_loadcnt_dscnt 0x800
	v_mul_f64_e32 v[133:134], v[77:78], v[105:106]
	v_mul_f64_e32 v[105:106], v[79:80], v[105:106]
	v_fma_f64 v[127:128], v[125:126], v[75:76], v[127:128]
	v_fma_f64 v[75:76], v[123:124], v[75:76], -v[129:130]
	scratch_load_b128 v[123:126], off, off offset:448
	v_add_f64_e32 v[2:3], v[2:3], v[131:132]
	v_add_f64_e32 v[10:11], v[10:11], v[81:82]
	s_wait_loadcnt 0x8
	v_mul_f64_e32 v[129:130], v[119:120], v[85:86]
	v_mul_f64_e32 v[85:86], v[121:122], v[85:86]
	v_fma_f64 v[131:132], v[79:80], v[103:104], v[133:134]
	v_fma_f64 v[133:134], v[77:78], v[103:104], -v[105:106]
	scratch_load_b128 v[79:82], off, off offset:464
	ds_load_b128 v[103:106], v1 offset:832
	v_add_f64_e32 v[2:3], v[2:3], v[75:76]
	v_add_f64_e32 v[10:11], v[10:11], v[127:128]
	ds_load_b128 v[75:78], v1 offset:816
	v_fma_f64 v[121:122], v[121:122], v[83:84], v[129:130]
	v_fma_f64 v[119:120], v[119:120], v[83:84], -v[85:86]
	scratch_load_b128 v[83:86], off, off offset:480
	s_wait_loadcnt_dscnt 0x900
	v_mul_f64_e32 v[127:128], v[75:76], v[89:90]
	v_mul_f64_e32 v[89:90], v[77:78], v[89:90]
	s_wait_loadcnt 0x8
	v_mul_f64_e32 v[129:130], v[103:104], v[93:94]
	v_mul_f64_e32 v[93:94], v[105:106], v[93:94]
	v_add_f64_e32 v[2:3], v[2:3], v[133:134]
	v_add_f64_e32 v[10:11], v[10:11], v[131:132]
	v_fma_f64 v[127:128], v[77:78], v[87:88], v[127:128]
	v_fma_f64 v[131:132], v[75:76], v[87:88], -v[89:90]
	ds_load_b128 v[75:78], v1 offset:848
	scratch_load_b128 v[87:90], off, off offset:496
	v_fma_f64 v[105:106], v[105:106], v[91:92], v[129:130]
	v_fma_f64 v[91:92], v[103:104], v[91:92], -v[93:94]
	v_add_f64_e32 v[2:3], v[2:3], v[119:120]
	v_add_f64_e32 v[10:11], v[10:11], v[121:122]
	ds_load_b128 v[119:122], v1 offset:864
	s_wait_loadcnt_dscnt 0x801
	v_mul_f64_e32 v[133:134], v[75:76], v[97:98]
	v_mul_f64_e32 v[97:98], v[77:78], v[97:98]
	s_wait_loadcnt_dscnt 0x700
	v_mul_f64_e32 v[103:104], v[119:120], v[101:102]
	v_mul_f64_e32 v[101:102], v[121:122], v[101:102]
	v_add_f64_e32 v[2:3], v[2:3], v[131:132]
	v_add_f64_e32 v[10:11], v[10:11], v[127:128]
	v_fma_f64 v[127:128], v[77:78], v[95:96], v[133:134]
	v_fma_f64 v[95:96], v[75:76], v[95:96], -v[97:98]
	v_fma_f64 v[103:104], v[121:122], v[99:100], v[103:104]
	v_fma_f64 v[99:100], v[119:120], v[99:100], -v[101:102]
	v_add_f64_e32 v[2:3], v[2:3], v[91:92]
	v_add_f64_e32 v[10:11], v[10:11], v[105:106]
	ds_load_b128 v[75:78], v1 offset:880
	ds_load_b128 v[91:94], v1 offset:896
	s_wait_loadcnt_dscnt 0x601
	v_mul_f64_e32 v[97:98], v[75:76], v[109:110]
	v_mul_f64_e32 v[105:106], v[77:78], v[109:110]
	v_add_f64_e32 v[2:3], v[2:3], v[95:96]
	v_add_f64_e32 v[10:11], v[10:11], v[127:128]
	s_wait_loadcnt_dscnt 0x500
	v_mul_f64_e32 v[95:96], v[91:92], v[8:9]
	v_mul_f64_e32 v[101:102], v[93:94], v[8:9]
	v_fma_f64 v[97:98], v[77:78], v[107:108], v[97:98]
	v_fma_f64 v[105:106], v[75:76], v[107:108], -v[105:106]
	v_add_f64_e32 v[2:3], v[2:3], v[99:100]
	v_add_f64_e32 v[99:100], v[10:11], v[103:104]
	ds_load_b128 v[8:11], v1 offset:912
	ds_load_b128 v[75:78], v1 offset:928
	v_fma_f64 v[93:94], v[93:94], v[6:7], v[95:96]
	v_fma_f64 v[6:7], v[91:92], v[6:7], -v[101:102]
	s_wait_loadcnt_dscnt 0x401
	v_mul_f64_e32 v[103:104], v[8:9], v[117:118]
	v_mul_f64_e32 v[107:108], v[10:11], v[117:118]
	s_wait_loadcnt_dscnt 0x300
	v_mul_f64_e32 v[95:96], v[75:76], v[125:126]
	v_add_f64_e32 v[2:3], v[2:3], v[105:106]
	v_add_f64_e32 v[91:92], v[99:100], v[97:98]
	v_mul_f64_e32 v[97:98], v[77:78], v[125:126]
	v_fma_f64 v[10:11], v[10:11], v[115:116], v[103:104]
	v_fma_f64 v[99:100], v[8:9], v[115:116], -v[107:108]
	v_fma_f64 v[77:78], v[77:78], v[123:124], v[95:96]
	v_add_f64_e32 v[2:3], v[2:3], v[6:7]
	v_add_f64_e32 v[101:102], v[91:92], v[93:94]
	ds_load_b128 v[6:9], v1 offset:944
	ds_load_b128 v[91:94], v1 offset:960
	v_fma_f64 v[75:76], v[75:76], v[123:124], -v[97:98]
	s_wait_loadcnt_dscnt 0x201
	v_mul_f64_e32 v[103:104], v[6:7], v[81:82]
	v_mul_f64_e32 v[81:82], v[8:9], v[81:82]
	s_wait_loadcnt_dscnt 0x100
	v_mul_f64_e32 v[95:96], v[91:92], v[85:86]
	v_mul_f64_e32 v[85:86], v[93:94], v[85:86]
	v_add_f64_e32 v[2:3], v[2:3], v[99:100]
	v_add_f64_e32 v[10:11], v[101:102], v[10:11]
	v_fma_f64 v[97:98], v[8:9], v[79:80], v[103:104]
	v_fma_f64 v[79:80], v[6:7], v[79:80], -v[81:82]
	ds_load_b128 v[6:9], v1 offset:976
	v_fma_f64 v[81:82], v[93:94], v[83:84], v[95:96]
	v_fma_f64 v[83:84], v[91:92], v[83:84], -v[85:86]
	v_add_f64_e32 v[2:3], v[2:3], v[75:76]
	v_add_f64_e32 v[10:11], v[10:11], v[77:78]
	s_wait_loadcnt_dscnt 0x0
	v_mul_f64_e32 v[75:76], v[6:7], v[89:90]
	v_mul_f64_e32 v[77:78], v[8:9], v[89:90]
	s_delay_alu instid0(VALU_DEP_4) | instskip(NEXT) | instid1(VALU_DEP_4)
	v_add_f64_e32 v[2:3], v[2:3], v[79:80]
	v_add_f64_e32 v[10:11], v[10:11], v[97:98]
	s_delay_alu instid0(VALU_DEP_4) | instskip(NEXT) | instid1(VALU_DEP_4)
	v_fma_f64 v[8:9], v[8:9], v[87:88], v[75:76]
	v_fma_f64 v[6:7], v[6:7], v[87:88], -v[77:78]
	s_delay_alu instid0(VALU_DEP_4) | instskip(NEXT) | instid1(VALU_DEP_4)
	v_add_f64_e32 v[2:3], v[2:3], v[83:84]
	v_add_f64_e32 v[10:11], v[10:11], v[81:82]
	s_delay_alu instid0(VALU_DEP_2) | instskip(NEXT) | instid1(VALU_DEP_2)
	v_add_f64_e32 v[2:3], v[2:3], v[6:7]
	v_add_f64_e32 v[8:9], v[10:11], v[8:9]
	s_delay_alu instid0(VALU_DEP_2) | instskip(NEXT) | instid1(VALU_DEP_2)
	v_add_f64_e64 v[6:7], v[111:112], -v[2:3]
	v_add_f64_e64 v[8:9], v[113:114], -v[8:9]
	scratch_store_b128 off, v[6:9], off offset:96
	v_cmpx_lt_u32_e32 4, v0
	s_cbranch_execz .LBB94_191
; %bb.190:
	scratch_load_b128 v[6:9], off, s4
	v_dual_mov_b32 v2, v1 :: v_dual_mov_b32 v3, v1
	v_mov_b32_e32 v4, v1
	scratch_store_b128 off, v[1:4], off offset:80
	s_wait_loadcnt 0x0
	ds_store_b128 v5, v[6:9]
.LBB94_191:
	s_wait_alu 0xfffe
	s_or_b32 exec_lo, exec_lo, s0
	s_wait_storecnt_dscnt 0x0
	s_barrier_signal -1
	s_barrier_wait -1
	global_inv scope:SCOPE_SE
	s_clause 0x8
	scratch_load_b128 v[6:9], off, off offset:96
	scratch_load_b128 v[75:78], off, off offset:112
	;; [unrolled: 1-line block ×9, first 2 shown]
	ds_load_b128 v[107:110], v1 offset:576
	ds_load_b128 v[111:114], v1 offset:592
	scratch_load_b128 v[115:118], off, off offset:80
	s_mov_b32 s0, exec_lo
	ds_load_b128 v[123:126], v1 offset:624
	s_wait_loadcnt_dscnt 0x902
	v_mul_f64_e32 v[2:3], v[109:110], v[8:9]
	v_mul_f64_e32 v[119:120], v[107:108], v[8:9]
	scratch_load_b128 v[8:11], off, off offset:240
	s_wait_loadcnt_dscnt 0x901
	v_mul_f64_e32 v[127:128], v[111:112], v[77:78]
	v_mul_f64_e32 v[77:78], v[113:114], v[77:78]
	v_fma_f64 v[2:3], v[107:108], v[6:7], -v[2:3]
	v_fma_f64 v[6:7], v[109:110], v[6:7], v[119:120]
	ds_load_b128 v[107:110], v1 offset:608
	scratch_load_b128 v[119:122], off, off offset:256
	v_fma_f64 v[113:114], v[113:114], v[75:76], v[127:128]
	v_fma_f64 v[111:112], v[111:112], v[75:76], -v[77:78]
	scratch_load_b128 v[75:78], off, off offset:272
	s_wait_loadcnt_dscnt 0x901
	v_mul_f64_e32 v[127:128], v[123:124], v[85:86]
	v_mul_f64_e32 v[85:86], v[125:126], v[85:86]
	s_wait_dscnt 0x0
	v_mul_f64_e32 v[129:130], v[107:108], v[81:82]
	v_mul_f64_e32 v[81:82], v[109:110], v[81:82]
	v_add_f64_e32 v[2:3], 0, v[2:3]
	v_add_f64_e32 v[6:7], 0, v[6:7]
	v_fma_f64 v[125:126], v[125:126], v[83:84], v[127:128]
	v_fma_f64 v[123:124], v[123:124], v[83:84], -v[85:86]
	scratch_load_b128 v[83:86], off, off offset:304
	v_fma_f64 v[129:130], v[109:110], v[79:80], v[129:130]
	v_fma_f64 v[131:132], v[107:108], v[79:80], -v[81:82]
	ds_load_b128 v[79:82], v1 offset:640
	scratch_load_b128 v[107:110], off, off offset:288
	v_add_f64_e32 v[2:3], v[2:3], v[111:112]
	v_add_f64_e32 v[6:7], v[6:7], v[113:114]
	ds_load_b128 v[111:114], v1 offset:656
	s_wait_loadcnt_dscnt 0xa01
	v_mul_f64_e32 v[133:134], v[79:80], v[89:90]
	v_mul_f64_e32 v[89:90], v[81:82], v[89:90]
	s_wait_loadcnt_dscnt 0x900
	v_mul_f64_e32 v[127:128], v[111:112], v[93:94]
	v_mul_f64_e32 v[93:94], v[113:114], v[93:94]
	v_add_f64_e32 v[2:3], v[2:3], v[131:132]
	v_add_f64_e32 v[6:7], v[6:7], v[129:130]
	v_fma_f64 v[129:130], v[81:82], v[87:88], v[133:134]
	v_fma_f64 v[131:132], v[79:80], v[87:88], -v[89:90]
	ds_load_b128 v[79:82], v1 offset:672
	scratch_load_b128 v[87:90], off, off offset:320
	v_fma_f64 v[113:114], v[113:114], v[91:92], v[127:128]
	v_fma_f64 v[111:112], v[111:112], v[91:92], -v[93:94]
	scratch_load_b128 v[91:94], off, off offset:336
	v_add_f64_e32 v[2:3], v[2:3], v[123:124]
	v_add_f64_e32 v[6:7], v[6:7], v[125:126]
	ds_load_b128 v[123:126], v1 offset:688
	s_wait_loadcnt_dscnt 0xa01
	v_mul_f64_e32 v[133:134], v[79:80], v[97:98]
	v_mul_f64_e32 v[97:98], v[81:82], v[97:98]
	s_wait_loadcnt_dscnt 0x900
	v_mul_f64_e32 v[127:128], v[123:124], v[101:102]
	v_mul_f64_e32 v[101:102], v[125:126], v[101:102]
	v_add_f64_e32 v[2:3], v[2:3], v[131:132]
	v_add_f64_e32 v[6:7], v[6:7], v[129:130]
	v_fma_f64 v[129:130], v[81:82], v[95:96], v[133:134]
	v_fma_f64 v[131:132], v[79:80], v[95:96], -v[97:98]
	ds_load_b128 v[79:82], v1 offset:704
	scratch_load_b128 v[95:98], off, off offset:352
	v_fma_f64 v[125:126], v[125:126], v[99:100], v[127:128]
	v_fma_f64 v[123:124], v[123:124], v[99:100], -v[101:102]
	scratch_load_b128 v[99:102], off, off offset:368
	v_add_f64_e32 v[2:3], v[2:3], v[111:112]
	v_add_f64_e32 v[6:7], v[6:7], v[113:114]
	ds_load_b128 v[111:114], v1 offset:720
	s_wait_loadcnt_dscnt 0xa01
	v_mul_f64_e32 v[133:134], v[79:80], v[105:106]
	v_mul_f64_e32 v[105:106], v[81:82], v[105:106]
	v_add_f64_e32 v[2:3], v[2:3], v[131:132]
	v_add_f64_e32 v[6:7], v[6:7], v[129:130]
	s_delay_alu instid0(VALU_DEP_4) | instskip(NEXT) | instid1(VALU_DEP_4)
	v_fma_f64 v[129:130], v[81:82], v[103:104], v[133:134]
	v_fma_f64 v[131:132], v[79:80], v[103:104], -v[105:106]
	ds_load_b128 v[79:82], v1 offset:736
	scratch_load_b128 v[103:106], off, off offset:384
	s_wait_loadcnt_dscnt 0x901
	v_mul_f64_e32 v[127:128], v[111:112], v[10:11]
	v_mul_f64_e32 v[10:11], v[113:114], v[10:11]
	v_add_f64_e32 v[2:3], v[2:3], v[123:124]
	v_add_f64_e32 v[6:7], v[6:7], v[125:126]
	ds_load_b128 v[123:126], v1 offset:752
	v_fma_f64 v[113:114], v[113:114], v[8:9], v[127:128]
	s_wait_loadcnt_dscnt 0x801
	v_mul_f64_e32 v[133:134], v[79:80], v[121:122]
	v_mul_f64_e32 v[121:122], v[81:82], v[121:122]
	v_fma_f64 v[10:11], v[111:112], v[8:9], -v[10:11]
	s_wait_loadcnt_dscnt 0x700
	v_mul_f64_e32 v[127:128], v[123:124], v[77:78]
	v_add_f64_e32 v[2:3], v[2:3], v[131:132]
	v_add_f64_e32 v[111:112], v[6:7], v[129:130]
	scratch_load_b128 v[6:9], off, off offset:400
	v_mul_f64_e32 v[129:130], v[125:126], v[77:78]
	v_fma_f64 v[81:82], v[81:82], v[119:120], v[133:134]
	v_fma_f64 v[131:132], v[79:80], v[119:120], -v[121:122]
	ds_load_b128 v[77:80], v1 offset:768
	ds_load_b128 v[119:122], v1 offset:784
	v_fma_f64 v[127:128], v[125:126], v[75:76], v[127:128]
	v_add_f64_e32 v[2:3], v[2:3], v[10:11]
	v_add_f64_e32 v[10:11], v[111:112], v[113:114]
	scratch_load_b128 v[111:114], off, off offset:416
	s_wait_loadcnt_dscnt 0x701
	v_mul_f64_e32 v[133:134], v[77:78], v[109:110]
	v_mul_f64_e32 v[109:110], v[79:80], v[109:110]
	v_fma_f64 v[75:76], v[123:124], v[75:76], -v[129:130]
	scratch_load_b128 v[123:126], off, off offset:432
	s_wait_dscnt 0x0
	v_mul_f64_e32 v[129:130], v[119:120], v[85:86]
	v_mul_f64_e32 v[85:86], v[121:122], v[85:86]
	v_add_f64_e32 v[2:3], v[2:3], v[131:132]
	v_add_f64_e32 v[10:11], v[10:11], v[81:82]
	v_fma_f64 v[131:132], v[79:80], v[107:108], v[133:134]
	v_fma_f64 v[133:134], v[77:78], v[107:108], -v[109:110]
	scratch_load_b128 v[79:82], off, off offset:448
	ds_load_b128 v[107:110], v1 offset:816
	v_fma_f64 v[121:122], v[121:122], v[83:84], v[129:130]
	v_fma_f64 v[119:120], v[119:120], v[83:84], -v[85:86]
	scratch_load_b128 v[83:86], off, off offset:464
	v_add_f64_e32 v[2:3], v[2:3], v[75:76]
	v_add_f64_e32 v[10:11], v[10:11], v[127:128]
	ds_load_b128 v[75:78], v1 offset:800
	s_wait_loadcnt_dscnt 0x801
	v_mul_f64_e32 v[129:130], v[107:108], v[93:94]
	v_mul_f64_e32 v[93:94], v[109:110], v[93:94]
	s_wait_dscnt 0x0
	v_mul_f64_e32 v[127:128], v[75:76], v[89:90]
	v_mul_f64_e32 v[89:90], v[77:78], v[89:90]
	v_add_f64_e32 v[2:3], v[2:3], v[133:134]
	v_add_f64_e32 v[10:11], v[10:11], v[131:132]
	v_fma_f64 v[109:110], v[109:110], v[91:92], v[129:130]
	v_fma_f64 v[107:108], v[107:108], v[91:92], -v[93:94]
	scratch_load_b128 v[91:94], off, off offset:496
	v_fma_f64 v[127:128], v[77:78], v[87:88], v[127:128]
	v_fma_f64 v[131:132], v[75:76], v[87:88], -v[89:90]
	ds_load_b128 v[75:78], v1 offset:832
	scratch_load_b128 v[87:90], off, off offset:480
	v_add_f64_e32 v[2:3], v[2:3], v[119:120]
	v_add_f64_e32 v[10:11], v[10:11], v[121:122]
	ds_load_b128 v[119:122], v1 offset:848
	s_wait_loadcnt_dscnt 0x901
	v_mul_f64_e32 v[133:134], v[75:76], v[97:98]
	v_mul_f64_e32 v[97:98], v[77:78], v[97:98]
	v_add_f64_e32 v[2:3], v[2:3], v[131:132]
	v_add_f64_e32 v[10:11], v[10:11], v[127:128]
	s_wait_loadcnt_dscnt 0x800
	v_mul_f64_e32 v[127:128], v[119:120], v[101:102]
	v_mul_f64_e32 v[101:102], v[121:122], v[101:102]
	v_fma_f64 v[129:130], v[77:78], v[95:96], v[133:134]
	v_fma_f64 v[131:132], v[75:76], v[95:96], -v[97:98]
	ds_load_b128 v[75:78], v1 offset:864
	ds_load_b128 v[95:98], v1 offset:880
	v_add_f64_e32 v[2:3], v[2:3], v[107:108]
	v_add_f64_e32 v[10:11], v[10:11], v[109:110]
	s_wait_loadcnt_dscnt 0x701
	v_mul_f64_e32 v[107:108], v[75:76], v[105:106]
	v_mul_f64_e32 v[105:106], v[77:78], v[105:106]
	v_fma_f64 v[109:110], v[121:122], v[99:100], v[127:128]
	v_fma_f64 v[99:100], v[119:120], v[99:100], -v[101:102]
	v_add_f64_e32 v[2:3], v[2:3], v[131:132]
	v_add_f64_e32 v[10:11], v[10:11], v[129:130]
	v_fma_f64 v[107:108], v[77:78], v[103:104], v[107:108]
	v_fma_f64 v[103:104], v[75:76], v[103:104], -v[105:106]
	s_wait_loadcnt_dscnt 0x600
	v_mul_f64_e32 v[101:102], v[95:96], v[8:9]
	v_mul_f64_e32 v[119:120], v[97:98], v[8:9]
	v_add_f64_e32 v[2:3], v[2:3], v[99:100]
	v_add_f64_e32 v[99:100], v[10:11], v[109:110]
	ds_load_b128 v[8:11], v1 offset:896
	ds_load_b128 v[75:78], v1 offset:912
	v_fma_f64 v[97:98], v[97:98], v[6:7], v[101:102]
	v_fma_f64 v[6:7], v[95:96], v[6:7], -v[119:120]
	s_wait_loadcnt_dscnt 0x501
	v_mul_f64_e32 v[105:106], v[8:9], v[113:114]
	v_mul_f64_e32 v[109:110], v[10:11], v[113:114]
	s_wait_loadcnt_dscnt 0x400
	v_mul_f64_e32 v[101:102], v[77:78], v[125:126]
	v_add_f64_e32 v[2:3], v[2:3], v[103:104]
	v_add_f64_e32 v[95:96], v[99:100], v[107:108]
	v_mul_f64_e32 v[99:100], v[75:76], v[125:126]
	v_fma_f64 v[10:11], v[10:11], v[111:112], v[105:106]
	v_fma_f64 v[103:104], v[8:9], v[111:112], -v[109:110]
	v_fma_f64 v[75:76], v[75:76], v[123:124], -v[101:102]
	v_add_f64_e32 v[2:3], v[2:3], v[6:7]
	v_add_f64_e32 v[105:106], v[95:96], v[97:98]
	ds_load_b128 v[6:9], v1 offset:928
	ds_load_b128 v[95:98], v1 offset:944
	v_fma_f64 v[77:78], v[77:78], v[123:124], v[99:100]
	s_wait_loadcnt_dscnt 0x301
	v_mul_f64_e32 v[107:108], v[6:7], v[81:82]
	v_mul_f64_e32 v[81:82], v[8:9], v[81:82]
	s_wait_loadcnt_dscnt 0x200
	v_mul_f64_e32 v[99:100], v[95:96], v[85:86]
	v_mul_f64_e32 v[85:86], v[97:98], v[85:86]
	v_add_f64_e32 v[2:3], v[2:3], v[103:104]
	v_add_f64_e32 v[10:11], v[105:106], v[10:11]
	v_fma_f64 v[101:102], v[8:9], v[79:80], v[107:108]
	v_fma_f64 v[79:80], v[6:7], v[79:80], -v[81:82]
	s_delay_alu instid0(VALU_DEP_4) | instskip(NEXT) | instid1(VALU_DEP_4)
	v_add_f64_e32 v[75:76], v[2:3], v[75:76]
	v_add_f64_e32 v[10:11], v[10:11], v[77:78]
	ds_load_b128 v[6:9], v1 offset:960
	ds_load_b128 v[1:4], v1 offset:976
	s_wait_loadcnt_dscnt 0x1
	v_mul_f64_e32 v[77:78], v[6:7], v[89:90]
	v_mul_f64_e32 v[81:82], v[8:9], v[89:90]
	v_fma_f64 v[89:90], v[97:98], v[83:84], v[99:100]
	v_fma_f64 v[83:84], v[95:96], v[83:84], -v[85:86]
	s_wait_dscnt 0x0
	v_mul_f64_e32 v[85:86], v[3:4], v[93:94]
	v_add_f64_e32 v[75:76], v[75:76], v[79:80]
	v_add_f64_e32 v[10:11], v[10:11], v[101:102]
	v_mul_f64_e32 v[79:80], v[1:2], v[93:94]
	v_fma_f64 v[8:9], v[8:9], v[87:88], v[77:78]
	v_fma_f64 v[6:7], v[6:7], v[87:88], -v[81:82]
	v_fma_f64 v[1:2], v[1:2], v[91:92], -v[85:86]
	v_add_f64_e32 v[75:76], v[75:76], v[83:84]
	v_add_f64_e32 v[10:11], v[10:11], v[89:90]
	v_fma_f64 v[3:4], v[3:4], v[91:92], v[79:80]
	s_delay_alu instid0(VALU_DEP_3) | instskip(NEXT) | instid1(VALU_DEP_3)
	v_add_f64_e32 v[6:7], v[75:76], v[6:7]
	v_add_f64_e32 v[8:9], v[10:11], v[8:9]
	s_delay_alu instid0(VALU_DEP_2) | instskip(NEXT) | instid1(VALU_DEP_2)
	v_add_f64_e32 v[1:2], v[6:7], v[1:2]
	v_add_f64_e32 v[3:4], v[8:9], v[3:4]
	s_delay_alu instid0(VALU_DEP_2) | instskip(NEXT) | instid1(VALU_DEP_2)
	v_add_f64_e64 v[1:2], v[115:116], -v[1:2]
	v_add_f64_e64 v[3:4], v[117:118], -v[3:4]
	scratch_store_b128 off, v[1:4], off offset:80
	v_cmpx_lt_u32_e32 3, v0
	s_cbranch_execz .LBB94_193
; %bb.192:
	scratch_load_b128 v[1:4], off, s23
	v_mov_b32_e32 v6, 0
	s_delay_alu instid0(VALU_DEP_1)
	v_dual_mov_b32 v7, v6 :: v_dual_mov_b32 v8, v6
	v_mov_b32_e32 v9, v6
	scratch_store_b128 off, v[6:9], off offset:64
	s_wait_loadcnt 0x0
	ds_store_b128 v5, v[1:4]
.LBB94_193:
	s_wait_alu 0xfffe
	s_or_b32 exec_lo, exec_lo, s0
	s_wait_storecnt_dscnt 0x0
	s_barrier_signal -1
	s_barrier_wait -1
	global_inv scope:SCOPE_SE
	s_clause 0x7
	scratch_load_b128 v[6:9], off, off offset:80
	scratch_load_b128 v[75:78], off, off offset:96
	;; [unrolled: 1-line block ×8, first 2 shown]
	v_mov_b32_e32 v1, 0
	s_mov_b32 s0, exec_lo
	ds_load_b128 v[103:106], v1 offset:560
	s_clause 0x1
	scratch_load_b128 v[107:110], off, off offset:208
	scratch_load_b128 v[111:114], off, off offset:64
	ds_load_b128 v[115:118], v1 offset:576
	ds_load_b128 v[123:126], v1 offset:608
	s_wait_loadcnt_dscnt 0x902
	v_mul_f64_e32 v[2:3], v[105:106], v[8:9]
	v_mul_f64_e32 v[119:120], v[103:104], v[8:9]
	scratch_load_b128 v[8:11], off, off offset:224
	v_fma_f64 v[2:3], v[103:104], v[6:7], -v[2:3]
	v_fma_f64 v[6:7], v[105:106], v[6:7], v[119:120]
	ds_load_b128 v[103:106], v1 offset:592
	s_wait_loadcnt_dscnt 0x902
	v_mul_f64_e32 v[127:128], v[115:116], v[77:78]
	v_mul_f64_e32 v[77:78], v[117:118], v[77:78]
	scratch_load_b128 v[119:122], off, off offset:240
	s_wait_loadcnt_dscnt 0x900
	v_mul_f64_e32 v[129:130], v[103:104], v[81:82]
	v_mul_f64_e32 v[81:82], v[105:106], v[81:82]
	v_add_f64_e32 v[2:3], 0, v[2:3]
	v_add_f64_e32 v[6:7], 0, v[6:7]
	v_fma_f64 v[117:118], v[117:118], v[75:76], v[127:128]
	v_fma_f64 v[115:116], v[115:116], v[75:76], -v[77:78]
	scratch_load_b128 v[75:78], off, off offset:256
	v_fma_f64 v[129:130], v[105:106], v[79:80], v[129:130]
	v_fma_f64 v[131:132], v[103:104], v[79:80], -v[81:82]
	ds_load_b128 v[79:82], v1 offset:624
	s_wait_loadcnt 0x9
	v_mul_f64_e32 v[127:128], v[123:124], v[85:86]
	v_mul_f64_e32 v[85:86], v[125:126], v[85:86]
	scratch_load_b128 v[103:106], off, off offset:272
	v_add_f64_e32 v[6:7], v[6:7], v[117:118]
	v_add_f64_e32 v[2:3], v[2:3], v[115:116]
	ds_load_b128 v[115:118], v1 offset:640
	s_wait_loadcnt_dscnt 0x901
	v_mul_f64_e32 v[133:134], v[79:80], v[89:90]
	v_mul_f64_e32 v[89:90], v[81:82], v[89:90]
	v_fma_f64 v[125:126], v[125:126], v[83:84], v[127:128]
	v_fma_f64 v[123:124], v[123:124], v[83:84], -v[85:86]
	scratch_load_b128 v[83:86], off, off offset:288
	v_add_f64_e32 v[6:7], v[6:7], v[129:130]
	v_add_f64_e32 v[2:3], v[2:3], v[131:132]
	v_fma_f64 v[129:130], v[81:82], v[87:88], v[133:134]
	v_fma_f64 v[131:132], v[79:80], v[87:88], -v[89:90]
	ds_load_b128 v[79:82], v1 offset:656
	s_wait_loadcnt_dscnt 0x901
	v_mul_f64_e32 v[127:128], v[115:116], v[93:94]
	v_mul_f64_e32 v[93:94], v[117:118], v[93:94]
	scratch_load_b128 v[87:90], off, off offset:304
	s_wait_loadcnt_dscnt 0x900
	v_mul_f64_e32 v[133:134], v[79:80], v[97:98]
	v_mul_f64_e32 v[97:98], v[81:82], v[97:98]
	v_add_f64_e32 v[6:7], v[6:7], v[125:126]
	v_add_f64_e32 v[2:3], v[2:3], v[123:124]
	ds_load_b128 v[123:126], v1 offset:672
	v_fma_f64 v[117:118], v[117:118], v[91:92], v[127:128]
	v_fma_f64 v[115:116], v[115:116], v[91:92], -v[93:94]
	scratch_load_b128 v[91:94], off, off offset:320
	v_add_f64_e32 v[6:7], v[6:7], v[129:130]
	v_add_f64_e32 v[2:3], v[2:3], v[131:132]
	v_fma_f64 v[129:130], v[81:82], v[95:96], v[133:134]
	v_fma_f64 v[131:132], v[79:80], v[95:96], -v[97:98]
	ds_load_b128 v[79:82], v1 offset:688
	s_wait_loadcnt_dscnt 0x901
	v_mul_f64_e32 v[127:128], v[123:124], v[101:102]
	v_mul_f64_e32 v[101:102], v[125:126], v[101:102]
	scratch_load_b128 v[95:98], off, off offset:336
	s_wait_loadcnt_dscnt 0x900
	v_mul_f64_e32 v[133:134], v[79:80], v[109:110]
	v_mul_f64_e32 v[109:110], v[81:82], v[109:110]
	v_add_f64_e32 v[6:7], v[6:7], v[117:118]
	v_add_f64_e32 v[2:3], v[2:3], v[115:116]
	ds_load_b128 v[115:118], v1 offset:704
	v_fma_f64 v[125:126], v[125:126], v[99:100], v[127:128]
	v_fma_f64 v[123:124], v[123:124], v[99:100], -v[101:102]
	scratch_load_b128 v[99:102], off, off offset:352
	v_add_f64_e32 v[6:7], v[6:7], v[129:130]
	v_add_f64_e32 v[2:3], v[2:3], v[131:132]
	v_fma_f64 v[129:130], v[81:82], v[107:108], v[133:134]
	v_fma_f64 v[131:132], v[79:80], v[107:108], -v[109:110]
	ds_load_b128 v[79:82], v1 offset:720
	scratch_load_b128 v[107:110], off, off offset:368
	s_wait_loadcnt_dscnt 0x901
	v_mul_f64_e32 v[127:128], v[115:116], v[10:11]
	v_mul_f64_e32 v[10:11], v[117:118], v[10:11]
	v_add_f64_e32 v[6:7], v[6:7], v[125:126]
	v_add_f64_e32 v[2:3], v[2:3], v[123:124]
	ds_load_b128 v[123:126], v1 offset:736
	v_fma_f64 v[117:118], v[117:118], v[8:9], v[127:128]
	v_fma_f64 v[10:11], v[115:116], v[8:9], -v[10:11]
	s_wait_loadcnt_dscnt 0x801
	v_mul_f64_e32 v[133:134], v[79:80], v[121:122]
	v_mul_f64_e32 v[121:122], v[81:82], v[121:122]
	v_add_f64_e32 v[115:116], v[6:7], v[129:130]
	v_add_f64_e32 v[2:3], v[2:3], v[131:132]
	scratch_load_b128 v[6:9], off, off offset:384
	v_fma_f64 v[81:82], v[81:82], v[119:120], v[133:134]
	v_fma_f64 v[131:132], v[79:80], v[119:120], -v[121:122]
	ds_load_b128 v[119:122], v1 offset:768
	s_wait_loadcnt_dscnt 0x801
	v_mul_f64_e32 v[127:128], v[123:124], v[77:78]
	v_mul_f64_e32 v[129:130], v[125:126], v[77:78]
	ds_load_b128 v[77:80], v1 offset:752
	v_add_f64_e32 v[2:3], v[2:3], v[10:11]
	v_add_f64_e32 v[10:11], v[115:116], v[117:118]
	scratch_load_b128 v[115:118], off, off offset:400
	s_wait_loadcnt_dscnt 0x800
	v_mul_f64_e32 v[133:134], v[77:78], v[105:106]
	v_mul_f64_e32 v[105:106], v[79:80], v[105:106]
	v_fma_f64 v[127:128], v[125:126], v[75:76], v[127:128]
	v_fma_f64 v[75:76], v[123:124], v[75:76], -v[129:130]
	scratch_load_b128 v[123:126], off, off offset:416
	v_add_f64_e32 v[2:3], v[2:3], v[131:132]
	v_add_f64_e32 v[10:11], v[10:11], v[81:82]
	s_wait_loadcnt 0x8
	v_mul_f64_e32 v[129:130], v[119:120], v[85:86]
	v_mul_f64_e32 v[85:86], v[121:122], v[85:86]
	v_fma_f64 v[131:132], v[79:80], v[103:104], v[133:134]
	v_fma_f64 v[133:134], v[77:78], v[103:104], -v[105:106]
	scratch_load_b128 v[79:82], off, off offset:432
	ds_load_b128 v[103:106], v1 offset:800
	v_add_f64_e32 v[2:3], v[2:3], v[75:76]
	v_add_f64_e32 v[10:11], v[10:11], v[127:128]
	ds_load_b128 v[75:78], v1 offset:784
	v_fma_f64 v[121:122], v[121:122], v[83:84], v[129:130]
	v_fma_f64 v[119:120], v[119:120], v[83:84], -v[85:86]
	scratch_load_b128 v[83:86], off, off offset:448
	s_wait_loadcnt_dscnt 0x900
	v_mul_f64_e32 v[127:128], v[75:76], v[89:90]
	v_mul_f64_e32 v[89:90], v[77:78], v[89:90]
	s_wait_loadcnt 0x8
	v_mul_f64_e32 v[129:130], v[103:104], v[93:94]
	v_mul_f64_e32 v[93:94], v[105:106], v[93:94]
	v_add_f64_e32 v[2:3], v[2:3], v[133:134]
	v_add_f64_e32 v[10:11], v[10:11], v[131:132]
	v_fma_f64 v[127:128], v[77:78], v[87:88], v[127:128]
	v_fma_f64 v[131:132], v[75:76], v[87:88], -v[89:90]
	ds_load_b128 v[75:78], v1 offset:816
	scratch_load_b128 v[87:90], off, off offset:464
	v_fma_f64 v[105:106], v[105:106], v[91:92], v[129:130]
	v_fma_f64 v[103:104], v[103:104], v[91:92], -v[93:94]
	scratch_load_b128 v[91:94], off, off offset:480
	v_add_f64_e32 v[2:3], v[2:3], v[119:120]
	v_add_f64_e32 v[10:11], v[10:11], v[121:122]
	ds_load_b128 v[119:122], v1 offset:832
	s_wait_loadcnt_dscnt 0x901
	v_mul_f64_e32 v[133:134], v[75:76], v[97:98]
	v_mul_f64_e32 v[97:98], v[77:78], v[97:98]
	s_wait_loadcnt_dscnt 0x800
	v_mul_f64_e32 v[129:130], v[121:122], v[101:102]
	v_add_f64_e32 v[2:3], v[2:3], v[131:132]
	v_add_f64_e32 v[10:11], v[10:11], v[127:128]
	v_mul_f64_e32 v[127:128], v[119:120], v[101:102]
	v_fma_f64 v[131:132], v[77:78], v[95:96], v[133:134]
	v_fma_f64 v[133:134], v[75:76], v[95:96], -v[97:98]
	ds_load_b128 v[75:78], v1 offset:848
	scratch_load_b128 v[95:98], off, off offset:496
	v_add_f64_e32 v[2:3], v[2:3], v[103:104]
	v_add_f64_e32 v[10:11], v[10:11], v[105:106]
	ds_load_b128 v[101:104], v1 offset:864
	s_wait_loadcnt_dscnt 0x801
	v_mul_f64_e32 v[105:106], v[75:76], v[109:110]
	v_mul_f64_e32 v[109:110], v[77:78], v[109:110]
	v_fma_f64 v[121:122], v[121:122], v[99:100], v[127:128]
	v_fma_f64 v[99:100], v[119:120], v[99:100], -v[129:130]
	v_add_f64_e32 v[2:3], v[2:3], v[133:134]
	v_add_f64_e32 v[10:11], v[10:11], v[131:132]
	v_fma_f64 v[105:106], v[77:78], v[107:108], v[105:106]
	v_fma_f64 v[107:108], v[75:76], v[107:108], -v[109:110]
	s_wait_loadcnt_dscnt 0x700
	v_mul_f64_e32 v[119:120], v[101:102], v[8:9]
	v_mul_f64_e32 v[127:128], v[103:104], v[8:9]
	v_add_f64_e32 v[2:3], v[2:3], v[99:100]
	v_add_f64_e32 v[99:100], v[10:11], v[121:122]
	ds_load_b128 v[8:11], v1 offset:880
	ds_load_b128 v[75:78], v1 offset:896
	v_fma_f64 v[103:104], v[103:104], v[6:7], v[119:120]
	v_fma_f64 v[6:7], v[101:102], v[6:7], -v[127:128]
	s_wait_loadcnt_dscnt 0x601
	v_mul_f64_e32 v[109:110], v[8:9], v[117:118]
	v_mul_f64_e32 v[117:118], v[10:11], v[117:118]
	v_add_f64_e32 v[2:3], v[2:3], v[107:108]
	v_add_f64_e32 v[99:100], v[99:100], v[105:106]
	s_wait_loadcnt_dscnt 0x500
	v_mul_f64_e32 v[105:106], v[75:76], v[125:126]
	v_mul_f64_e32 v[107:108], v[77:78], v[125:126]
	v_fma_f64 v[10:11], v[10:11], v[115:116], v[109:110]
	v_fma_f64 v[109:110], v[8:9], v[115:116], -v[117:118]
	v_add_f64_e32 v[2:3], v[2:3], v[6:7]
	v_add_f64_e32 v[103:104], v[99:100], v[103:104]
	ds_load_b128 v[6:9], v1 offset:912
	ds_load_b128 v[99:102], v1 offset:928
	v_fma_f64 v[77:78], v[77:78], v[123:124], v[105:106]
	v_fma_f64 v[75:76], v[75:76], v[123:124], -v[107:108]
	s_wait_loadcnt_dscnt 0x401
	v_mul_f64_e32 v[115:116], v[6:7], v[81:82]
	v_mul_f64_e32 v[81:82], v[8:9], v[81:82]
	v_add_f64_e32 v[2:3], v[2:3], v[109:110]
	v_add_f64_e32 v[10:11], v[103:104], v[10:11]
	s_wait_loadcnt_dscnt 0x300
	v_mul_f64_e32 v[103:104], v[99:100], v[85:86]
	v_mul_f64_e32 v[85:86], v[101:102], v[85:86]
	v_fma_f64 v[105:106], v[8:9], v[79:80], v[115:116]
	v_fma_f64 v[79:80], v[6:7], v[79:80], -v[81:82]
	v_add_f64_e32 v[2:3], v[2:3], v[75:76]
	v_add_f64_e32 v[10:11], v[10:11], v[77:78]
	ds_load_b128 v[6:9], v1 offset:944
	ds_load_b128 v[75:78], v1 offset:960
	v_fma_f64 v[101:102], v[101:102], v[83:84], v[103:104]
	v_fma_f64 v[83:84], v[99:100], v[83:84], -v[85:86]
	s_wait_loadcnt_dscnt 0x201
	v_mul_f64_e32 v[81:82], v[6:7], v[89:90]
	v_mul_f64_e32 v[89:90], v[8:9], v[89:90]
	s_wait_loadcnt_dscnt 0x100
	v_mul_f64_e32 v[85:86], v[77:78], v[93:94]
	v_add_f64_e32 v[2:3], v[2:3], v[79:80]
	v_add_f64_e32 v[10:11], v[10:11], v[105:106]
	v_mul_f64_e32 v[79:80], v[75:76], v[93:94]
	v_fma_f64 v[81:82], v[8:9], v[87:88], v[81:82]
	v_fma_f64 v[87:88], v[6:7], v[87:88], -v[89:90]
	ds_load_b128 v[6:9], v1 offset:976
	v_fma_f64 v[75:76], v[75:76], v[91:92], -v[85:86]
	v_add_f64_e32 v[2:3], v[2:3], v[83:84]
	v_add_f64_e32 v[10:11], v[10:11], v[101:102]
	v_fma_f64 v[77:78], v[77:78], v[91:92], v[79:80]
	s_wait_loadcnt_dscnt 0x0
	v_mul_f64_e32 v[83:84], v[6:7], v[97:98]
	v_mul_f64_e32 v[89:90], v[8:9], v[97:98]
	v_add_f64_e32 v[2:3], v[2:3], v[87:88]
	v_add_f64_e32 v[10:11], v[10:11], v[81:82]
	s_delay_alu instid0(VALU_DEP_4) | instskip(NEXT) | instid1(VALU_DEP_4)
	v_fma_f64 v[8:9], v[8:9], v[95:96], v[83:84]
	v_fma_f64 v[6:7], v[6:7], v[95:96], -v[89:90]
	s_delay_alu instid0(VALU_DEP_4) | instskip(NEXT) | instid1(VALU_DEP_4)
	v_add_f64_e32 v[2:3], v[2:3], v[75:76]
	v_add_f64_e32 v[10:11], v[10:11], v[77:78]
	s_delay_alu instid0(VALU_DEP_2) | instskip(NEXT) | instid1(VALU_DEP_2)
	v_add_f64_e32 v[2:3], v[2:3], v[6:7]
	v_add_f64_e32 v[8:9], v[10:11], v[8:9]
	s_delay_alu instid0(VALU_DEP_2) | instskip(NEXT) | instid1(VALU_DEP_2)
	v_add_f64_e64 v[6:7], v[111:112], -v[2:3]
	v_add_f64_e64 v[8:9], v[113:114], -v[8:9]
	scratch_store_b128 off, v[6:9], off offset:64
	v_cmpx_lt_u32_e32 2, v0
	s_cbranch_execz .LBB94_195
; %bb.194:
	scratch_load_b128 v[6:9], off, s38
	v_dual_mov_b32 v2, v1 :: v_dual_mov_b32 v3, v1
	v_mov_b32_e32 v4, v1
	scratch_store_b128 off, v[1:4], off offset:48
	s_wait_loadcnt 0x0
	ds_store_b128 v5, v[6:9]
.LBB94_195:
	s_wait_alu 0xfffe
	s_or_b32 exec_lo, exec_lo, s0
	s_wait_storecnt_dscnt 0x0
	s_barrier_signal -1
	s_barrier_wait -1
	global_inv scope:SCOPE_SE
	s_clause 0x8
	scratch_load_b128 v[6:9], off, off offset:64
	scratch_load_b128 v[75:78], off, off offset:80
	;; [unrolled: 1-line block ×9, first 2 shown]
	ds_load_b128 v[107:110], v1 offset:544
	ds_load_b128 v[111:114], v1 offset:560
	scratch_load_b128 v[115:118], off, off offset:48
	s_mov_b32 s0, exec_lo
	ds_load_b128 v[123:126], v1 offset:592
	s_wait_loadcnt_dscnt 0x902
	v_mul_f64_e32 v[2:3], v[109:110], v[8:9]
	v_mul_f64_e32 v[119:120], v[107:108], v[8:9]
	scratch_load_b128 v[8:11], off, off offset:208
	s_wait_loadcnt_dscnt 0x901
	v_mul_f64_e32 v[127:128], v[111:112], v[77:78]
	v_mul_f64_e32 v[77:78], v[113:114], v[77:78]
	v_fma_f64 v[2:3], v[107:108], v[6:7], -v[2:3]
	v_fma_f64 v[6:7], v[109:110], v[6:7], v[119:120]
	ds_load_b128 v[107:110], v1 offset:576
	scratch_load_b128 v[119:122], off, off offset:224
	v_fma_f64 v[113:114], v[113:114], v[75:76], v[127:128]
	v_fma_f64 v[111:112], v[111:112], v[75:76], -v[77:78]
	scratch_load_b128 v[75:78], off, off offset:240
	s_wait_loadcnt_dscnt 0x901
	v_mul_f64_e32 v[127:128], v[123:124], v[85:86]
	v_mul_f64_e32 v[85:86], v[125:126], v[85:86]
	s_wait_dscnt 0x0
	v_mul_f64_e32 v[129:130], v[107:108], v[81:82]
	v_mul_f64_e32 v[81:82], v[109:110], v[81:82]
	v_add_f64_e32 v[2:3], 0, v[2:3]
	v_add_f64_e32 v[6:7], 0, v[6:7]
	v_fma_f64 v[125:126], v[125:126], v[83:84], v[127:128]
	v_fma_f64 v[123:124], v[123:124], v[83:84], -v[85:86]
	scratch_load_b128 v[83:86], off, off offset:272
	v_fma_f64 v[129:130], v[109:110], v[79:80], v[129:130]
	v_fma_f64 v[131:132], v[107:108], v[79:80], -v[81:82]
	ds_load_b128 v[79:82], v1 offset:608
	scratch_load_b128 v[107:110], off, off offset:256
	v_add_f64_e32 v[2:3], v[2:3], v[111:112]
	v_add_f64_e32 v[6:7], v[6:7], v[113:114]
	ds_load_b128 v[111:114], v1 offset:624
	s_wait_loadcnt_dscnt 0xa01
	v_mul_f64_e32 v[133:134], v[79:80], v[89:90]
	v_mul_f64_e32 v[89:90], v[81:82], v[89:90]
	s_wait_loadcnt_dscnt 0x900
	v_mul_f64_e32 v[127:128], v[111:112], v[93:94]
	v_mul_f64_e32 v[93:94], v[113:114], v[93:94]
	v_add_f64_e32 v[2:3], v[2:3], v[131:132]
	v_add_f64_e32 v[6:7], v[6:7], v[129:130]
	v_fma_f64 v[129:130], v[81:82], v[87:88], v[133:134]
	v_fma_f64 v[131:132], v[79:80], v[87:88], -v[89:90]
	ds_load_b128 v[79:82], v1 offset:640
	scratch_load_b128 v[87:90], off, off offset:288
	v_fma_f64 v[113:114], v[113:114], v[91:92], v[127:128]
	v_fma_f64 v[111:112], v[111:112], v[91:92], -v[93:94]
	scratch_load_b128 v[91:94], off, off offset:304
	v_add_f64_e32 v[2:3], v[2:3], v[123:124]
	v_add_f64_e32 v[6:7], v[6:7], v[125:126]
	ds_load_b128 v[123:126], v1 offset:656
	s_wait_loadcnt_dscnt 0xa01
	v_mul_f64_e32 v[133:134], v[79:80], v[97:98]
	v_mul_f64_e32 v[97:98], v[81:82], v[97:98]
	s_wait_loadcnt_dscnt 0x900
	v_mul_f64_e32 v[127:128], v[123:124], v[101:102]
	v_mul_f64_e32 v[101:102], v[125:126], v[101:102]
	v_add_f64_e32 v[2:3], v[2:3], v[131:132]
	v_add_f64_e32 v[6:7], v[6:7], v[129:130]
	v_fma_f64 v[129:130], v[81:82], v[95:96], v[133:134]
	v_fma_f64 v[131:132], v[79:80], v[95:96], -v[97:98]
	ds_load_b128 v[79:82], v1 offset:672
	scratch_load_b128 v[95:98], off, off offset:320
	v_fma_f64 v[125:126], v[125:126], v[99:100], v[127:128]
	v_fma_f64 v[123:124], v[123:124], v[99:100], -v[101:102]
	scratch_load_b128 v[99:102], off, off offset:336
	v_add_f64_e32 v[2:3], v[2:3], v[111:112]
	v_add_f64_e32 v[6:7], v[6:7], v[113:114]
	ds_load_b128 v[111:114], v1 offset:688
	s_wait_loadcnt_dscnt 0xa01
	v_mul_f64_e32 v[133:134], v[79:80], v[105:106]
	v_mul_f64_e32 v[105:106], v[81:82], v[105:106]
	v_add_f64_e32 v[2:3], v[2:3], v[131:132]
	v_add_f64_e32 v[6:7], v[6:7], v[129:130]
	s_delay_alu instid0(VALU_DEP_4) | instskip(NEXT) | instid1(VALU_DEP_4)
	v_fma_f64 v[129:130], v[81:82], v[103:104], v[133:134]
	v_fma_f64 v[131:132], v[79:80], v[103:104], -v[105:106]
	ds_load_b128 v[79:82], v1 offset:704
	scratch_load_b128 v[103:106], off, off offset:352
	s_wait_loadcnt_dscnt 0x901
	v_mul_f64_e32 v[127:128], v[111:112], v[10:11]
	v_mul_f64_e32 v[10:11], v[113:114], v[10:11]
	v_add_f64_e32 v[2:3], v[2:3], v[123:124]
	v_add_f64_e32 v[6:7], v[6:7], v[125:126]
	ds_load_b128 v[123:126], v1 offset:720
	v_fma_f64 v[113:114], v[113:114], v[8:9], v[127:128]
	s_wait_loadcnt_dscnt 0x801
	v_mul_f64_e32 v[133:134], v[79:80], v[121:122]
	v_mul_f64_e32 v[121:122], v[81:82], v[121:122]
	v_fma_f64 v[10:11], v[111:112], v[8:9], -v[10:11]
	s_wait_loadcnt_dscnt 0x700
	v_mul_f64_e32 v[127:128], v[123:124], v[77:78]
	v_add_f64_e32 v[2:3], v[2:3], v[131:132]
	v_add_f64_e32 v[111:112], v[6:7], v[129:130]
	scratch_load_b128 v[6:9], off, off offset:368
	v_mul_f64_e32 v[129:130], v[125:126], v[77:78]
	v_fma_f64 v[81:82], v[81:82], v[119:120], v[133:134]
	v_fma_f64 v[131:132], v[79:80], v[119:120], -v[121:122]
	ds_load_b128 v[77:80], v1 offset:736
	ds_load_b128 v[119:122], v1 offset:752
	v_fma_f64 v[127:128], v[125:126], v[75:76], v[127:128]
	v_add_f64_e32 v[2:3], v[2:3], v[10:11]
	v_add_f64_e32 v[10:11], v[111:112], v[113:114]
	scratch_load_b128 v[111:114], off, off offset:384
	s_wait_loadcnt_dscnt 0x701
	v_mul_f64_e32 v[133:134], v[77:78], v[109:110]
	v_mul_f64_e32 v[109:110], v[79:80], v[109:110]
	v_fma_f64 v[75:76], v[123:124], v[75:76], -v[129:130]
	scratch_load_b128 v[123:126], off, off offset:400
	s_wait_dscnt 0x0
	v_mul_f64_e32 v[129:130], v[119:120], v[85:86]
	v_mul_f64_e32 v[85:86], v[121:122], v[85:86]
	v_add_f64_e32 v[2:3], v[2:3], v[131:132]
	v_add_f64_e32 v[10:11], v[10:11], v[81:82]
	v_fma_f64 v[131:132], v[79:80], v[107:108], v[133:134]
	v_fma_f64 v[133:134], v[77:78], v[107:108], -v[109:110]
	scratch_load_b128 v[79:82], off, off offset:416
	ds_load_b128 v[107:110], v1 offset:784
	v_fma_f64 v[121:122], v[121:122], v[83:84], v[129:130]
	v_fma_f64 v[119:120], v[119:120], v[83:84], -v[85:86]
	scratch_load_b128 v[83:86], off, off offset:432
	v_add_f64_e32 v[2:3], v[2:3], v[75:76]
	v_add_f64_e32 v[10:11], v[10:11], v[127:128]
	ds_load_b128 v[75:78], v1 offset:768
	s_wait_loadcnt_dscnt 0x801
	v_mul_f64_e32 v[129:130], v[107:108], v[93:94]
	v_mul_f64_e32 v[93:94], v[109:110], v[93:94]
	s_wait_dscnt 0x0
	v_mul_f64_e32 v[127:128], v[75:76], v[89:90]
	v_mul_f64_e32 v[89:90], v[77:78], v[89:90]
	v_add_f64_e32 v[2:3], v[2:3], v[133:134]
	v_add_f64_e32 v[10:11], v[10:11], v[131:132]
	v_fma_f64 v[109:110], v[109:110], v[91:92], v[129:130]
	v_fma_f64 v[107:108], v[107:108], v[91:92], -v[93:94]
	scratch_load_b128 v[91:94], off, off offset:464
	v_fma_f64 v[127:128], v[77:78], v[87:88], v[127:128]
	v_fma_f64 v[131:132], v[75:76], v[87:88], -v[89:90]
	ds_load_b128 v[75:78], v1 offset:800
	scratch_load_b128 v[87:90], off, off offset:448
	v_add_f64_e32 v[2:3], v[2:3], v[119:120]
	v_add_f64_e32 v[10:11], v[10:11], v[121:122]
	ds_load_b128 v[119:122], v1 offset:816
	s_wait_loadcnt_dscnt 0x901
	v_mul_f64_e32 v[133:134], v[75:76], v[97:98]
	v_mul_f64_e32 v[97:98], v[77:78], v[97:98]
	v_add_f64_e32 v[2:3], v[2:3], v[131:132]
	v_add_f64_e32 v[10:11], v[10:11], v[127:128]
	s_wait_loadcnt_dscnt 0x800
	v_mul_f64_e32 v[127:128], v[119:120], v[101:102]
	v_mul_f64_e32 v[101:102], v[121:122], v[101:102]
	v_fma_f64 v[129:130], v[77:78], v[95:96], v[133:134]
	v_fma_f64 v[131:132], v[75:76], v[95:96], -v[97:98]
	ds_load_b128 v[75:78], v1 offset:832
	scratch_load_b128 v[95:98], off, off offset:480
	v_add_f64_e32 v[2:3], v[2:3], v[107:108]
	v_add_f64_e32 v[10:11], v[10:11], v[109:110]
	ds_load_b128 v[107:110], v1 offset:848
	s_wait_loadcnt_dscnt 0x801
	v_mul_f64_e32 v[133:134], v[75:76], v[105:106]
	v_mul_f64_e32 v[105:106], v[77:78], v[105:106]
	v_fma_f64 v[121:122], v[121:122], v[99:100], v[127:128]
	v_fma_f64 v[119:120], v[119:120], v[99:100], -v[101:102]
	scratch_load_b128 v[99:102], off, off offset:496
	v_add_f64_e32 v[2:3], v[2:3], v[131:132]
	v_add_f64_e32 v[10:11], v[10:11], v[129:130]
	v_fma_f64 v[131:132], v[77:78], v[103:104], v[133:134]
	v_fma_f64 v[103:104], v[75:76], v[103:104], -v[105:106]
	s_wait_loadcnt_dscnt 0x800
	v_mul_f64_e32 v[127:128], v[107:108], v[8:9]
	v_mul_f64_e32 v[129:130], v[109:110], v[8:9]
	v_add_f64_e32 v[2:3], v[2:3], v[119:120]
	v_add_f64_e32 v[105:106], v[10:11], v[121:122]
	ds_load_b128 v[8:11], v1 offset:864
	ds_load_b128 v[75:78], v1 offset:880
	v_fma_f64 v[109:110], v[109:110], v[6:7], v[127:128]
	v_fma_f64 v[6:7], v[107:108], v[6:7], -v[129:130]
	s_wait_loadcnt_dscnt 0x701
	v_mul_f64_e32 v[119:120], v[8:9], v[113:114]
	v_mul_f64_e32 v[113:114], v[10:11], v[113:114]
	s_wait_loadcnt_dscnt 0x600
	v_mul_f64_e32 v[107:108], v[75:76], v[125:126]
	v_mul_f64_e32 v[121:122], v[77:78], v[125:126]
	v_add_f64_e32 v[2:3], v[2:3], v[103:104]
	v_add_f64_e32 v[103:104], v[105:106], v[131:132]
	v_fma_f64 v[10:11], v[10:11], v[111:112], v[119:120]
	v_fma_f64 v[111:112], v[8:9], v[111:112], -v[113:114]
	v_fma_f64 v[77:78], v[77:78], v[123:124], v[107:108]
	v_fma_f64 v[75:76], v[75:76], v[123:124], -v[121:122]
	v_add_f64_e32 v[2:3], v[2:3], v[6:7]
	v_add_f64_e32 v[109:110], v[103:104], v[109:110]
	ds_load_b128 v[6:9], v1 offset:896
	ds_load_b128 v[103:106], v1 offset:912
	s_wait_loadcnt_dscnt 0x501
	v_mul_f64_e32 v[113:114], v[6:7], v[81:82]
	v_mul_f64_e32 v[81:82], v[8:9], v[81:82]
	s_wait_loadcnt_dscnt 0x400
	v_mul_f64_e32 v[107:108], v[103:104], v[85:86]
	v_mul_f64_e32 v[85:86], v[105:106], v[85:86]
	v_add_f64_e32 v[2:3], v[2:3], v[111:112]
	v_add_f64_e32 v[10:11], v[109:110], v[10:11]
	v_fma_f64 v[109:110], v[8:9], v[79:80], v[113:114]
	v_fma_f64 v[79:80], v[6:7], v[79:80], -v[81:82]
	v_fma_f64 v[105:106], v[105:106], v[83:84], v[107:108]
	v_fma_f64 v[83:84], v[103:104], v[83:84], -v[85:86]
	v_add_f64_e32 v[2:3], v[2:3], v[75:76]
	v_add_f64_e32 v[10:11], v[10:11], v[77:78]
	ds_load_b128 v[6:9], v1 offset:928
	ds_load_b128 v[75:78], v1 offset:944
	s_wait_loadcnt_dscnt 0x201
	v_mul_f64_e32 v[81:82], v[6:7], v[89:90]
	v_mul_f64_e32 v[89:90], v[8:9], v[89:90]
	s_wait_dscnt 0x0
	v_mul_f64_e32 v[85:86], v[77:78], v[93:94]
	v_add_f64_e32 v[2:3], v[2:3], v[79:80]
	v_add_f64_e32 v[10:11], v[10:11], v[109:110]
	v_mul_f64_e32 v[79:80], v[75:76], v[93:94]
	v_fma_f64 v[81:82], v[8:9], v[87:88], v[81:82]
	v_fma_f64 v[87:88], v[6:7], v[87:88], -v[89:90]
	v_fma_f64 v[75:76], v[75:76], v[91:92], -v[85:86]
	v_add_f64_e32 v[83:84], v[2:3], v[83:84]
	v_add_f64_e32 v[10:11], v[10:11], v[105:106]
	ds_load_b128 v[6:9], v1 offset:960
	ds_load_b128 v[1:4], v1 offset:976
	v_fma_f64 v[77:78], v[77:78], v[91:92], v[79:80]
	s_wait_loadcnt_dscnt 0x101
	v_mul_f64_e32 v[89:90], v[6:7], v[97:98]
	v_mul_f64_e32 v[93:94], v[8:9], v[97:98]
	v_add_f64_e32 v[79:80], v[83:84], v[87:88]
	v_add_f64_e32 v[10:11], v[10:11], v[81:82]
	s_wait_loadcnt_dscnt 0x0
	v_mul_f64_e32 v[81:82], v[1:2], v[101:102]
	v_mul_f64_e32 v[83:84], v[3:4], v[101:102]
	v_fma_f64 v[8:9], v[8:9], v[95:96], v[89:90]
	v_fma_f64 v[6:7], v[6:7], v[95:96], -v[93:94]
	v_add_f64_e32 v[75:76], v[79:80], v[75:76]
	v_add_f64_e32 v[10:11], v[10:11], v[77:78]
	v_fma_f64 v[3:4], v[3:4], v[99:100], v[81:82]
	v_fma_f64 v[1:2], v[1:2], v[99:100], -v[83:84]
	s_delay_alu instid0(VALU_DEP_4) | instskip(NEXT) | instid1(VALU_DEP_4)
	v_add_f64_e32 v[6:7], v[75:76], v[6:7]
	v_add_f64_e32 v[8:9], v[10:11], v[8:9]
	s_delay_alu instid0(VALU_DEP_2) | instskip(NEXT) | instid1(VALU_DEP_2)
	v_add_f64_e32 v[1:2], v[6:7], v[1:2]
	v_add_f64_e32 v[3:4], v[8:9], v[3:4]
	s_delay_alu instid0(VALU_DEP_2) | instskip(NEXT) | instid1(VALU_DEP_2)
	v_add_f64_e64 v[1:2], v[115:116], -v[1:2]
	v_add_f64_e64 v[3:4], v[117:118], -v[3:4]
	scratch_store_b128 off, v[1:4], off offset:48
	v_cmpx_lt_u32_e32 1, v0
	s_cbranch_execz .LBB94_197
; %bb.196:
	scratch_load_b128 v[1:4], off, s39
	v_mov_b32_e32 v6, 0
	s_delay_alu instid0(VALU_DEP_1)
	v_dual_mov_b32 v7, v6 :: v_dual_mov_b32 v8, v6
	v_mov_b32_e32 v9, v6
	scratch_store_b128 off, v[6:9], off offset:32
	s_wait_loadcnt 0x0
	ds_store_b128 v5, v[1:4]
.LBB94_197:
	s_wait_alu 0xfffe
	s_or_b32 exec_lo, exec_lo, s0
	s_wait_storecnt_dscnt 0x0
	s_barrier_signal -1
	s_barrier_wait -1
	global_inv scope:SCOPE_SE
	s_clause 0x7
	scratch_load_b128 v[6:9], off, off offset:48
	scratch_load_b128 v[75:78], off, off offset:64
	;; [unrolled: 1-line block ×8, first 2 shown]
	v_mov_b32_e32 v1, 0
	s_mov_b32 s0, exec_lo
	ds_load_b128 v[103:106], v1 offset:528
	s_clause 0x1
	scratch_load_b128 v[107:110], off, off offset:176
	scratch_load_b128 v[111:114], off, off offset:32
	ds_load_b128 v[115:118], v1 offset:544
	ds_load_b128 v[123:126], v1 offset:576
	s_wait_loadcnt_dscnt 0x902
	v_mul_f64_e32 v[2:3], v[105:106], v[8:9]
	v_mul_f64_e32 v[119:120], v[103:104], v[8:9]
	scratch_load_b128 v[8:11], off, off offset:192
	v_fma_f64 v[2:3], v[103:104], v[6:7], -v[2:3]
	v_fma_f64 v[6:7], v[105:106], v[6:7], v[119:120]
	ds_load_b128 v[103:106], v1 offset:560
	s_wait_loadcnt_dscnt 0x902
	v_mul_f64_e32 v[127:128], v[115:116], v[77:78]
	v_mul_f64_e32 v[77:78], v[117:118], v[77:78]
	scratch_load_b128 v[119:122], off, off offset:208
	s_wait_loadcnt_dscnt 0x900
	v_mul_f64_e32 v[129:130], v[103:104], v[81:82]
	v_mul_f64_e32 v[81:82], v[105:106], v[81:82]
	v_add_f64_e32 v[2:3], 0, v[2:3]
	v_add_f64_e32 v[6:7], 0, v[6:7]
	v_fma_f64 v[117:118], v[117:118], v[75:76], v[127:128]
	v_fma_f64 v[115:116], v[115:116], v[75:76], -v[77:78]
	scratch_load_b128 v[75:78], off, off offset:224
	v_fma_f64 v[129:130], v[105:106], v[79:80], v[129:130]
	v_fma_f64 v[131:132], v[103:104], v[79:80], -v[81:82]
	ds_load_b128 v[79:82], v1 offset:592
	s_wait_loadcnt 0x9
	v_mul_f64_e32 v[127:128], v[123:124], v[85:86]
	v_mul_f64_e32 v[85:86], v[125:126], v[85:86]
	scratch_load_b128 v[103:106], off, off offset:240
	v_add_f64_e32 v[6:7], v[6:7], v[117:118]
	v_add_f64_e32 v[2:3], v[2:3], v[115:116]
	ds_load_b128 v[115:118], v1 offset:608
	s_wait_loadcnt_dscnt 0x901
	v_mul_f64_e32 v[133:134], v[79:80], v[89:90]
	v_mul_f64_e32 v[89:90], v[81:82], v[89:90]
	v_fma_f64 v[125:126], v[125:126], v[83:84], v[127:128]
	v_fma_f64 v[123:124], v[123:124], v[83:84], -v[85:86]
	scratch_load_b128 v[83:86], off, off offset:256
	v_add_f64_e32 v[6:7], v[6:7], v[129:130]
	v_add_f64_e32 v[2:3], v[2:3], v[131:132]
	v_fma_f64 v[129:130], v[81:82], v[87:88], v[133:134]
	v_fma_f64 v[131:132], v[79:80], v[87:88], -v[89:90]
	ds_load_b128 v[79:82], v1 offset:624
	s_wait_loadcnt_dscnt 0x901
	v_mul_f64_e32 v[127:128], v[115:116], v[93:94]
	v_mul_f64_e32 v[93:94], v[117:118], v[93:94]
	scratch_load_b128 v[87:90], off, off offset:272
	s_wait_loadcnt_dscnt 0x900
	v_mul_f64_e32 v[133:134], v[79:80], v[97:98]
	v_mul_f64_e32 v[97:98], v[81:82], v[97:98]
	v_add_f64_e32 v[6:7], v[6:7], v[125:126]
	v_add_f64_e32 v[2:3], v[2:3], v[123:124]
	ds_load_b128 v[123:126], v1 offset:640
	v_fma_f64 v[117:118], v[117:118], v[91:92], v[127:128]
	v_fma_f64 v[115:116], v[115:116], v[91:92], -v[93:94]
	scratch_load_b128 v[91:94], off, off offset:288
	v_add_f64_e32 v[6:7], v[6:7], v[129:130]
	v_add_f64_e32 v[2:3], v[2:3], v[131:132]
	v_fma_f64 v[129:130], v[81:82], v[95:96], v[133:134]
	v_fma_f64 v[131:132], v[79:80], v[95:96], -v[97:98]
	ds_load_b128 v[79:82], v1 offset:656
	s_wait_loadcnt_dscnt 0x901
	v_mul_f64_e32 v[127:128], v[123:124], v[101:102]
	v_mul_f64_e32 v[101:102], v[125:126], v[101:102]
	scratch_load_b128 v[95:98], off, off offset:304
	s_wait_loadcnt_dscnt 0x900
	v_mul_f64_e32 v[133:134], v[79:80], v[109:110]
	v_mul_f64_e32 v[109:110], v[81:82], v[109:110]
	v_add_f64_e32 v[6:7], v[6:7], v[117:118]
	v_add_f64_e32 v[2:3], v[2:3], v[115:116]
	ds_load_b128 v[115:118], v1 offset:672
	v_fma_f64 v[125:126], v[125:126], v[99:100], v[127:128]
	v_fma_f64 v[123:124], v[123:124], v[99:100], -v[101:102]
	scratch_load_b128 v[99:102], off, off offset:320
	v_add_f64_e32 v[6:7], v[6:7], v[129:130]
	v_add_f64_e32 v[2:3], v[2:3], v[131:132]
	v_fma_f64 v[129:130], v[81:82], v[107:108], v[133:134]
	v_fma_f64 v[131:132], v[79:80], v[107:108], -v[109:110]
	ds_load_b128 v[79:82], v1 offset:688
	scratch_load_b128 v[107:110], off, off offset:336
	s_wait_loadcnt_dscnt 0x901
	v_mul_f64_e32 v[127:128], v[115:116], v[10:11]
	v_mul_f64_e32 v[10:11], v[117:118], v[10:11]
	v_add_f64_e32 v[6:7], v[6:7], v[125:126]
	v_add_f64_e32 v[2:3], v[2:3], v[123:124]
	ds_load_b128 v[123:126], v1 offset:704
	v_fma_f64 v[117:118], v[117:118], v[8:9], v[127:128]
	v_fma_f64 v[10:11], v[115:116], v[8:9], -v[10:11]
	s_wait_loadcnt_dscnt 0x801
	v_mul_f64_e32 v[133:134], v[79:80], v[121:122]
	v_mul_f64_e32 v[121:122], v[81:82], v[121:122]
	v_add_f64_e32 v[115:116], v[6:7], v[129:130]
	v_add_f64_e32 v[2:3], v[2:3], v[131:132]
	scratch_load_b128 v[6:9], off, off offset:352
	v_fma_f64 v[81:82], v[81:82], v[119:120], v[133:134]
	v_fma_f64 v[131:132], v[79:80], v[119:120], -v[121:122]
	ds_load_b128 v[119:122], v1 offset:736
	s_wait_loadcnt_dscnt 0x801
	v_mul_f64_e32 v[127:128], v[123:124], v[77:78]
	v_mul_f64_e32 v[129:130], v[125:126], v[77:78]
	ds_load_b128 v[77:80], v1 offset:720
	v_add_f64_e32 v[2:3], v[2:3], v[10:11]
	v_add_f64_e32 v[10:11], v[115:116], v[117:118]
	scratch_load_b128 v[115:118], off, off offset:368
	s_wait_loadcnt_dscnt 0x800
	v_mul_f64_e32 v[133:134], v[77:78], v[105:106]
	v_mul_f64_e32 v[105:106], v[79:80], v[105:106]
	v_fma_f64 v[127:128], v[125:126], v[75:76], v[127:128]
	v_fma_f64 v[75:76], v[123:124], v[75:76], -v[129:130]
	scratch_load_b128 v[123:126], off, off offset:384
	v_add_f64_e32 v[2:3], v[2:3], v[131:132]
	v_add_f64_e32 v[10:11], v[10:11], v[81:82]
	s_wait_loadcnt 0x8
	v_mul_f64_e32 v[129:130], v[119:120], v[85:86]
	v_mul_f64_e32 v[85:86], v[121:122], v[85:86]
	v_fma_f64 v[131:132], v[79:80], v[103:104], v[133:134]
	v_fma_f64 v[133:134], v[77:78], v[103:104], -v[105:106]
	scratch_load_b128 v[79:82], off, off offset:400
	ds_load_b128 v[103:106], v1 offset:768
	v_add_f64_e32 v[2:3], v[2:3], v[75:76]
	v_add_f64_e32 v[10:11], v[10:11], v[127:128]
	ds_load_b128 v[75:78], v1 offset:752
	v_fma_f64 v[121:122], v[121:122], v[83:84], v[129:130]
	v_fma_f64 v[119:120], v[119:120], v[83:84], -v[85:86]
	scratch_load_b128 v[83:86], off, off offset:416
	s_wait_loadcnt_dscnt 0x900
	v_mul_f64_e32 v[127:128], v[75:76], v[89:90]
	v_mul_f64_e32 v[89:90], v[77:78], v[89:90]
	s_wait_loadcnt 0x8
	v_mul_f64_e32 v[129:130], v[103:104], v[93:94]
	v_mul_f64_e32 v[93:94], v[105:106], v[93:94]
	v_add_f64_e32 v[2:3], v[2:3], v[133:134]
	v_add_f64_e32 v[10:11], v[10:11], v[131:132]
	v_fma_f64 v[127:128], v[77:78], v[87:88], v[127:128]
	v_fma_f64 v[131:132], v[75:76], v[87:88], -v[89:90]
	ds_load_b128 v[75:78], v1 offset:784
	scratch_load_b128 v[87:90], off, off offset:432
	v_fma_f64 v[105:106], v[105:106], v[91:92], v[129:130]
	v_fma_f64 v[103:104], v[103:104], v[91:92], -v[93:94]
	scratch_load_b128 v[91:94], off, off offset:448
	v_add_f64_e32 v[2:3], v[2:3], v[119:120]
	v_add_f64_e32 v[10:11], v[10:11], v[121:122]
	ds_load_b128 v[119:122], v1 offset:800
	s_wait_loadcnt_dscnt 0x901
	v_mul_f64_e32 v[133:134], v[75:76], v[97:98]
	v_mul_f64_e32 v[97:98], v[77:78], v[97:98]
	s_wait_loadcnt_dscnt 0x800
	v_mul_f64_e32 v[129:130], v[121:122], v[101:102]
	v_add_f64_e32 v[2:3], v[2:3], v[131:132]
	v_add_f64_e32 v[10:11], v[10:11], v[127:128]
	v_mul_f64_e32 v[127:128], v[119:120], v[101:102]
	v_fma_f64 v[131:132], v[77:78], v[95:96], v[133:134]
	v_fma_f64 v[133:134], v[75:76], v[95:96], -v[97:98]
	ds_load_b128 v[75:78], v1 offset:816
	scratch_load_b128 v[95:98], off, off offset:464
	v_add_f64_e32 v[2:3], v[2:3], v[103:104]
	v_add_f64_e32 v[10:11], v[10:11], v[105:106]
	ds_load_b128 v[101:104], v1 offset:832
	s_wait_loadcnt_dscnt 0x801
	v_mul_f64_e32 v[105:106], v[75:76], v[109:110]
	v_mul_f64_e32 v[109:110], v[77:78], v[109:110]
	v_fma_f64 v[127:128], v[121:122], v[99:100], v[127:128]
	v_fma_f64 v[99:100], v[119:120], v[99:100], -v[129:130]
	scratch_load_b128 v[119:122], off, off offset:480
	v_add_f64_e32 v[2:3], v[2:3], v[133:134]
	v_add_f64_e32 v[10:11], v[10:11], v[131:132]
	v_fma_f64 v[133:134], v[77:78], v[107:108], v[105:106]
	v_fma_f64 v[109:110], v[75:76], v[107:108], -v[109:110]
	scratch_load_b128 v[75:78], off, off offset:496
	ds_load_b128 v[105:108], v1 offset:864
	s_wait_loadcnt_dscnt 0x901
	v_mul_f64_e32 v[129:130], v[101:102], v[8:9]
	v_mul_f64_e32 v[131:132], v[103:104], v[8:9]
	v_add_f64_e32 v[2:3], v[2:3], v[99:100]
	v_add_f64_e32 v[99:100], v[10:11], v[127:128]
	ds_load_b128 v[8:11], v1 offset:848
	v_fma_f64 v[103:104], v[103:104], v[6:7], v[129:130]
	v_fma_f64 v[6:7], v[101:102], v[6:7], -v[131:132]
	s_wait_loadcnt_dscnt 0x800
	v_mul_f64_e32 v[127:128], v[8:9], v[117:118]
	v_mul_f64_e32 v[117:118], v[10:11], v[117:118]
	v_add_f64_e32 v[2:3], v[2:3], v[109:110]
	v_add_f64_e32 v[99:100], v[99:100], v[133:134]
	s_wait_loadcnt 0x7
	v_mul_f64_e32 v[109:110], v[105:106], v[125:126]
	v_mul_f64_e32 v[125:126], v[107:108], v[125:126]
	v_fma_f64 v[10:11], v[10:11], v[115:116], v[127:128]
	v_fma_f64 v[115:116], v[8:9], v[115:116], -v[117:118]
	v_add_f64_e32 v[2:3], v[2:3], v[6:7]
	v_add_f64_e32 v[103:104], v[99:100], v[103:104]
	ds_load_b128 v[6:9], v1 offset:880
	ds_load_b128 v[99:102], v1 offset:896
	v_fma_f64 v[107:108], v[107:108], v[123:124], v[109:110]
	v_fma_f64 v[105:106], v[105:106], v[123:124], -v[125:126]
	s_wait_loadcnt_dscnt 0x601
	v_mul_f64_e32 v[117:118], v[6:7], v[81:82]
	v_mul_f64_e32 v[81:82], v[8:9], v[81:82]
	v_add_f64_e32 v[2:3], v[2:3], v[115:116]
	v_add_f64_e32 v[10:11], v[103:104], v[10:11]
	s_wait_loadcnt_dscnt 0x500
	v_mul_f64_e32 v[103:104], v[99:100], v[85:86]
	v_mul_f64_e32 v[85:86], v[101:102], v[85:86]
	v_fma_f64 v[109:110], v[8:9], v[79:80], v[117:118]
	v_fma_f64 v[115:116], v[6:7], v[79:80], -v[81:82]
	ds_load_b128 v[6:9], v1 offset:912
	ds_load_b128 v[79:82], v1 offset:928
	v_add_f64_e32 v[2:3], v[2:3], v[105:106]
	v_add_f64_e32 v[10:11], v[10:11], v[107:108]
	v_fma_f64 v[101:102], v[101:102], v[83:84], v[103:104]
	v_fma_f64 v[83:84], v[99:100], v[83:84], -v[85:86]
	s_wait_loadcnt_dscnt 0x401
	v_mul_f64_e32 v[105:106], v[6:7], v[89:90]
	v_mul_f64_e32 v[89:90], v[8:9], v[89:90]
	s_wait_loadcnt_dscnt 0x300
	v_mul_f64_e32 v[99:100], v[79:80], v[93:94]
	v_mul_f64_e32 v[93:94], v[81:82], v[93:94]
	v_add_f64_e32 v[2:3], v[2:3], v[115:116]
	v_add_f64_e32 v[10:11], v[10:11], v[109:110]
	v_fma_f64 v[103:104], v[8:9], v[87:88], v[105:106]
	v_fma_f64 v[87:88], v[6:7], v[87:88], -v[89:90]
	v_fma_f64 v[81:82], v[81:82], v[91:92], v[99:100]
	v_fma_f64 v[79:80], v[79:80], v[91:92], -v[93:94]
	v_add_f64_e32 v[2:3], v[2:3], v[83:84]
	v_add_f64_e32 v[10:11], v[10:11], v[101:102]
	ds_load_b128 v[6:9], v1 offset:944
	ds_load_b128 v[83:86], v1 offset:960
	s_wait_loadcnt_dscnt 0x201
	v_mul_f64_e32 v[89:90], v[6:7], v[97:98]
	v_mul_f64_e32 v[97:98], v[8:9], v[97:98]
	s_wait_loadcnt_dscnt 0x100
	v_mul_f64_e32 v[91:92], v[85:86], v[121:122]
	v_add_f64_e32 v[2:3], v[2:3], v[87:88]
	v_add_f64_e32 v[10:11], v[10:11], v[103:104]
	v_mul_f64_e32 v[87:88], v[83:84], v[121:122]
	v_fma_f64 v[89:90], v[8:9], v[95:96], v[89:90]
	v_fma_f64 v[93:94], v[6:7], v[95:96], -v[97:98]
	ds_load_b128 v[6:9], v1 offset:976
	v_fma_f64 v[83:84], v[83:84], v[119:120], -v[91:92]
	v_add_f64_e32 v[2:3], v[2:3], v[79:80]
	v_add_f64_e32 v[10:11], v[10:11], v[81:82]
	v_fma_f64 v[81:82], v[85:86], v[119:120], v[87:88]
	s_wait_loadcnt_dscnt 0x0
	v_mul_f64_e32 v[79:80], v[6:7], v[77:78]
	v_mul_f64_e32 v[77:78], v[8:9], v[77:78]
	v_add_f64_e32 v[2:3], v[2:3], v[93:94]
	v_add_f64_e32 v[10:11], v[10:11], v[89:90]
	s_delay_alu instid0(VALU_DEP_4) | instskip(NEXT) | instid1(VALU_DEP_4)
	v_fma_f64 v[8:9], v[8:9], v[75:76], v[79:80]
	v_fma_f64 v[6:7], v[6:7], v[75:76], -v[77:78]
	s_delay_alu instid0(VALU_DEP_4) | instskip(NEXT) | instid1(VALU_DEP_4)
	v_add_f64_e32 v[2:3], v[2:3], v[83:84]
	v_add_f64_e32 v[10:11], v[10:11], v[81:82]
	s_delay_alu instid0(VALU_DEP_2) | instskip(NEXT) | instid1(VALU_DEP_2)
	v_add_f64_e32 v[2:3], v[2:3], v[6:7]
	v_add_f64_e32 v[8:9], v[10:11], v[8:9]
	s_delay_alu instid0(VALU_DEP_2) | instskip(NEXT) | instid1(VALU_DEP_2)
	v_add_f64_e64 v[6:7], v[111:112], -v[2:3]
	v_add_f64_e64 v[8:9], v[113:114], -v[8:9]
	scratch_store_b128 off, v[6:9], off offset:32
	v_cmpx_ne_u32_e32 0, v0
	s_cbranch_execz .LBB94_199
; %bb.198:
	scratch_load_b128 v[6:9], off, off offset:16
	v_dual_mov_b32 v2, v1 :: v_dual_mov_b32 v3, v1
	v_mov_b32_e32 v4, v1
	scratch_store_b128 off, v[1:4], off offset:16
	s_wait_loadcnt 0x0
	ds_store_b128 v5, v[6:9]
.LBB94_199:
	s_wait_alu 0xfffe
	s_or_b32 exec_lo, exec_lo, s0
	s_wait_storecnt_dscnt 0x0
	s_barrier_signal -1
	s_barrier_wait -1
	global_inv scope:SCOPE_SE
	s_clause 0x8
	scratch_load_b128 v[2:5], off, off offset:32
	scratch_load_b128 v[6:9], off, off offset:48
	;; [unrolled: 1-line block ×9, first 2 shown]
	ds_load_b128 v[103:106], v1 offset:512
	ds_load_b128 v[107:110], v1 offset:528
	s_clause 0x1
	scratch_load_b128 v[111:114], off, off offset:16
	scratch_load_b128 v[115:118], off, off offset:176
	s_and_b32 vcc_lo, exec_lo, s12
	s_wait_loadcnt_dscnt 0xa01
	v_mul_f64_e32 v[10:11], v[105:106], v[4:5]
	v_mul_f64_e32 v[4:5], v[103:104], v[4:5]
	s_wait_loadcnt_dscnt 0x900
	v_mul_f64_e32 v[119:120], v[107:108], v[8:9]
	v_mul_f64_e32 v[121:122], v[109:110], v[8:9]
	s_delay_alu instid0(VALU_DEP_4) | instskip(NEXT) | instid1(VALU_DEP_4)
	v_fma_f64 v[123:124], v[103:104], v[2:3], -v[10:11]
	v_fma_f64 v[125:126], v[105:106], v[2:3], v[4:5]
	ds_load_b128 v[2:5], v1 offset:544
	ds_load_b128 v[103:106], v1 offset:560
	scratch_load_b128 v[8:11], off, off offset:192
	v_fma_f64 v[119:120], v[109:110], v[6:7], v[119:120]
	v_fma_f64 v[6:7], v[107:108], v[6:7], -v[121:122]
	scratch_load_b128 v[107:110], off, off offset:208
	s_wait_loadcnt_dscnt 0xa01
	v_mul_f64_e32 v[127:128], v[2:3], v[77:78]
	v_mul_f64_e32 v[77:78], v[4:5], v[77:78]
	v_add_f64_e32 v[121:122], 0, v[123:124]
	v_add_f64_e32 v[123:124], 0, v[125:126]
	s_wait_loadcnt_dscnt 0x900
	v_mul_f64_e32 v[125:126], v[103:104], v[81:82]
	v_mul_f64_e32 v[81:82], v[105:106], v[81:82]
	v_fma_f64 v[127:128], v[4:5], v[75:76], v[127:128]
	v_fma_f64 v[129:130], v[2:3], v[75:76], -v[77:78]
	ds_load_b128 v[2:5], v1 offset:576
	scratch_load_b128 v[75:78], off, off offset:224
	v_add_f64_e32 v[6:7], v[121:122], v[6:7]
	v_add_f64_e32 v[123:124], v[123:124], v[119:120]
	ds_load_b128 v[119:122], v1 offset:592
	v_fma_f64 v[105:106], v[105:106], v[79:80], v[125:126]
	v_fma_f64 v[103:104], v[103:104], v[79:80], -v[81:82]
	scratch_load_b128 v[79:82], off, off offset:240
	s_wait_loadcnt_dscnt 0xa01
	v_mul_f64_e32 v[131:132], v[2:3], v[85:86]
	v_mul_f64_e32 v[85:86], v[4:5], v[85:86]
	s_wait_loadcnt_dscnt 0x900
	v_mul_f64_e32 v[125:126], v[119:120], v[89:90]
	v_mul_f64_e32 v[89:90], v[121:122], v[89:90]
	v_add_f64_e32 v[6:7], v[6:7], v[129:130]
	v_add_f64_e32 v[123:124], v[123:124], v[127:128]
	v_fma_f64 v[127:128], v[4:5], v[83:84], v[131:132]
	v_fma_f64 v[129:130], v[2:3], v[83:84], -v[85:86]
	ds_load_b128 v[2:5], v1 offset:608
	scratch_load_b128 v[83:86], off, off offset:256
	v_fma_f64 v[121:122], v[121:122], v[87:88], v[125:126]
	v_fma_f64 v[119:120], v[119:120], v[87:88], -v[89:90]
	scratch_load_b128 v[87:90], off, off offset:272
	v_add_f64_e32 v[6:7], v[6:7], v[103:104]
	v_add_f64_e32 v[123:124], v[123:124], v[105:106]
	ds_load_b128 v[103:106], v1 offset:624
	s_wait_loadcnt_dscnt 0xa01
	v_mul_f64_e32 v[131:132], v[2:3], v[93:94]
	v_mul_f64_e32 v[93:94], v[4:5], v[93:94]
	s_wait_loadcnt_dscnt 0x900
	v_mul_f64_e32 v[125:126], v[103:104], v[97:98]
	v_mul_f64_e32 v[97:98], v[105:106], v[97:98]
	v_add_f64_e32 v[6:7], v[6:7], v[129:130]
	v_add_f64_e32 v[123:124], v[123:124], v[127:128]
	v_fma_f64 v[127:128], v[4:5], v[91:92], v[131:132]
	v_fma_f64 v[129:130], v[2:3], v[91:92], -v[93:94]
	ds_load_b128 v[2:5], v1 offset:640
	scratch_load_b128 v[91:94], off, off offset:288
	v_fma_f64 v[105:106], v[105:106], v[95:96], v[125:126]
	v_fma_f64 v[103:104], v[103:104], v[95:96], -v[97:98]
	scratch_load_b128 v[95:98], off, off offset:304
	v_add_f64_e32 v[6:7], v[6:7], v[119:120]
	v_add_f64_e32 v[123:124], v[123:124], v[121:122]
	ds_load_b128 v[119:122], v1 offset:656
	;; [unrolled: 18-line block ×3, first 2 shown]
	s_wait_loadcnt_dscnt 0x901
	v_mul_f64_e32 v[131:132], v[2:3], v[10:11]
	v_mul_f64_e32 v[10:11], v[4:5], v[10:11]
	s_wait_loadcnt_dscnt 0x800
	v_mul_f64_e32 v[125:126], v[103:104], v[109:110]
	v_mul_f64_e32 v[109:110], v[105:106], v[109:110]
	v_add_f64_e32 v[6:7], v[6:7], v[129:130]
	v_add_f64_e32 v[123:124], v[123:124], v[127:128]
	v_fma_f64 v[127:128], v[4:5], v[8:9], v[131:132]
	v_fma_f64 v[10:11], v[2:3], v[8:9], -v[10:11]
	ds_load_b128 v[2:5], v1 offset:704
	v_fma_f64 v[125:126], v[105:106], v[107:108], v[125:126]
	v_fma_f64 v[107:108], v[103:104], v[107:108], -v[109:110]
	scratch_load_b128 v[103:106], off, off offset:368
	v_add_f64_e32 v[129:130], v[6:7], v[119:120]
	v_add_f64_e32 v[123:124], v[123:124], v[121:122]
	scratch_load_b128 v[6:9], off, off offset:352
	ds_load_b128 v[119:122], v1 offset:720
	s_wait_loadcnt_dscnt 0x901
	v_mul_f64_e32 v[131:132], v[2:3], v[77:78]
	v_mul_f64_e32 v[77:78], v[4:5], v[77:78]
	v_add_f64_e32 v[10:11], v[129:130], v[10:11]
	v_add_f64_e32 v[109:110], v[123:124], v[127:128]
	s_wait_loadcnt_dscnt 0x800
	v_mul_f64_e32 v[123:124], v[119:120], v[81:82]
	v_mul_f64_e32 v[81:82], v[121:122], v[81:82]
	v_fma_f64 v[127:128], v[4:5], v[75:76], v[131:132]
	v_fma_f64 v[129:130], v[2:3], v[75:76], -v[77:78]
	ds_load_b128 v[2:5], v1 offset:736
	scratch_load_b128 v[75:78], off, off offset:384
	v_add_f64_e32 v[10:11], v[10:11], v[107:108]
	v_add_f64_e32 v[125:126], v[109:110], v[125:126]
	ds_load_b128 v[107:110], v1 offset:752
	s_wait_loadcnt_dscnt 0x801
	v_mul_f64_e32 v[131:132], v[2:3], v[85:86]
	v_mul_f64_e32 v[85:86], v[4:5], v[85:86]
	v_fma_f64 v[121:122], v[121:122], v[79:80], v[123:124]
	v_fma_f64 v[119:120], v[119:120], v[79:80], -v[81:82]
	scratch_load_b128 v[79:82], off, off offset:400
	v_add_f64_e32 v[10:11], v[10:11], v[129:130]
	v_add_f64_e32 v[123:124], v[125:126], v[127:128]
	s_wait_loadcnt_dscnt 0x800
	v_mul_f64_e32 v[125:126], v[107:108], v[89:90]
	v_mul_f64_e32 v[89:90], v[109:110], v[89:90]
	v_fma_f64 v[127:128], v[4:5], v[83:84], v[131:132]
	v_fma_f64 v[129:130], v[2:3], v[83:84], -v[85:86]
	ds_load_b128 v[2:5], v1 offset:768
	scratch_load_b128 v[83:86], off, off offset:416
	v_add_f64_e32 v[10:11], v[10:11], v[119:120]
	v_add_f64_e32 v[123:124], v[123:124], v[121:122]
	ds_load_b128 v[119:122], v1 offset:784
	s_wait_loadcnt_dscnt 0x801
	v_mul_f64_e32 v[131:132], v[2:3], v[93:94]
	v_mul_f64_e32 v[93:94], v[4:5], v[93:94]
	v_fma_f64 v[109:110], v[109:110], v[87:88], v[125:126]
	v_fma_f64 v[107:108], v[107:108], v[87:88], -v[89:90]
	scratch_load_b128 v[87:90], off, off offset:432
	s_wait_loadcnt_dscnt 0x800
	v_mul_f64_e32 v[125:126], v[119:120], v[97:98]
	v_mul_f64_e32 v[97:98], v[121:122], v[97:98]
	v_add_f64_e32 v[10:11], v[10:11], v[129:130]
	v_add_f64_e32 v[123:124], v[123:124], v[127:128]
	v_fma_f64 v[127:128], v[4:5], v[91:92], v[131:132]
	v_fma_f64 v[129:130], v[2:3], v[91:92], -v[93:94]
	ds_load_b128 v[2:5], v1 offset:800
	scratch_load_b128 v[91:94], off, off offset:448
	v_fma_f64 v[121:122], v[121:122], v[95:96], v[125:126]
	v_fma_f64 v[119:120], v[119:120], v[95:96], -v[97:98]
	scratch_load_b128 v[95:98], off, off offset:464
	v_add_f64_e32 v[10:11], v[10:11], v[107:108]
	v_add_f64_e32 v[123:124], v[123:124], v[109:110]
	ds_load_b128 v[107:110], v1 offset:816
	s_wait_loadcnt_dscnt 0x901
	v_mul_f64_e32 v[131:132], v[2:3], v[101:102]
	v_mul_f64_e32 v[101:102], v[4:5], v[101:102]
	s_wait_loadcnt_dscnt 0x800
	v_mul_f64_e32 v[125:126], v[107:108], v[117:118]
	v_add_f64_e32 v[10:11], v[10:11], v[129:130]
	v_add_f64_e32 v[123:124], v[123:124], v[127:128]
	v_mul_f64_e32 v[127:128], v[109:110], v[117:118]
	v_fma_f64 v[129:130], v[4:5], v[99:100], v[131:132]
	v_fma_f64 v[131:132], v[2:3], v[99:100], -v[101:102]
	ds_load_b128 v[2:5], v1 offset:832
	scratch_load_b128 v[99:102], off, off offset:480
	v_fma_f64 v[109:110], v[109:110], v[115:116], v[125:126]
	v_add_f64_e32 v[10:11], v[10:11], v[119:120]
	v_add_f64_e32 v[121:122], v[123:124], v[121:122]
	ds_load_b128 v[117:120], v1 offset:848
	v_fma_f64 v[107:108], v[107:108], v[115:116], -v[127:128]
	s_wait_loadcnt_dscnt 0x701
	v_mul_f64_e32 v[123:124], v[2:3], v[8:9]
	v_mul_f64_e32 v[133:134], v[4:5], v[8:9]
	s_wait_dscnt 0x0
	v_mul_f64_e32 v[125:126], v[117:118], v[105:106]
	v_mul_f64_e32 v[127:128], v[119:120], v[105:106]
	v_add_f64_e32 v[115:116], v[10:11], v[131:132]
	v_add_f64_e32 v[121:122], v[121:122], v[129:130]
	scratch_load_b128 v[8:11], off, off offset:496
	v_fma_f64 v[123:124], v[4:5], v[6:7], v[123:124]
	v_fma_f64 v[6:7], v[2:3], v[6:7], -v[133:134]
	v_fma_f64 v[119:120], v[119:120], v[103:104], v[125:126]
	v_fma_f64 v[103:104], v[117:118], v[103:104], -v[127:128]
	v_add_f64_e32 v[115:116], v[115:116], v[107:108]
	v_add_f64_e32 v[109:110], v[121:122], v[109:110]
	ds_load_b128 v[2:5], v1 offset:864
	ds_load_b128 v[105:108], v1 offset:880
	s_wait_loadcnt_dscnt 0x701
	v_mul_f64_e32 v[121:122], v[2:3], v[77:78]
	v_mul_f64_e32 v[77:78], v[4:5], v[77:78]
	v_add_f64_e32 v[6:7], v[115:116], v[6:7]
	v_add_f64_e32 v[109:110], v[109:110], v[123:124]
	s_wait_loadcnt_dscnt 0x600
	v_mul_f64_e32 v[115:116], v[105:106], v[81:82]
	v_mul_f64_e32 v[81:82], v[107:108], v[81:82]
	v_fma_f64 v[117:118], v[4:5], v[75:76], v[121:122]
	v_fma_f64 v[121:122], v[2:3], v[75:76], -v[77:78]
	ds_load_b128 v[2:5], v1 offset:896
	ds_load_b128 v[75:78], v1 offset:912
	v_add_f64_e32 v[6:7], v[6:7], v[103:104]
	v_add_f64_e32 v[103:104], v[109:110], v[119:120]
	v_fma_f64 v[107:108], v[107:108], v[79:80], v[115:116]
	v_fma_f64 v[79:80], v[105:106], v[79:80], -v[81:82]
	s_wait_loadcnt_dscnt 0x501
	v_mul_f64_e32 v[109:110], v[2:3], v[85:86]
	v_mul_f64_e32 v[85:86], v[4:5], v[85:86]
	v_add_f64_e32 v[6:7], v[6:7], v[121:122]
	v_add_f64_e32 v[81:82], v[103:104], v[117:118]
	s_wait_loadcnt_dscnt 0x400
	v_mul_f64_e32 v[103:104], v[75:76], v[89:90]
	v_mul_f64_e32 v[89:90], v[77:78], v[89:90]
	v_fma_f64 v[105:106], v[4:5], v[83:84], v[109:110]
	v_fma_f64 v[83:84], v[2:3], v[83:84], -v[85:86]
	v_add_f64_e32 v[6:7], v[6:7], v[79:80]
	v_add_f64_e32 v[85:86], v[81:82], v[107:108]
	ds_load_b128 v[2:5], v1 offset:928
	ds_load_b128 v[79:82], v1 offset:944
	v_fma_f64 v[77:78], v[77:78], v[87:88], v[103:104]
	v_fma_f64 v[75:76], v[75:76], v[87:88], -v[89:90]
	s_wait_loadcnt_dscnt 0x301
	v_mul_f64_e32 v[107:108], v[2:3], v[93:94]
	v_mul_f64_e32 v[93:94], v[4:5], v[93:94]
	s_wait_loadcnt_dscnt 0x200
	v_mul_f64_e32 v[87:88], v[81:82], v[97:98]
	v_add_f64_e32 v[6:7], v[6:7], v[83:84]
	v_add_f64_e32 v[83:84], v[85:86], v[105:106]
	v_mul_f64_e32 v[85:86], v[79:80], v[97:98]
	v_fma_f64 v[89:90], v[4:5], v[91:92], v[107:108]
	v_fma_f64 v[91:92], v[2:3], v[91:92], -v[93:94]
	v_fma_f64 v[79:80], v[79:80], v[95:96], -v[87:88]
	v_add_f64_e32 v[6:7], v[6:7], v[75:76]
	v_add_f64_e32 v[83:84], v[83:84], v[77:78]
	ds_load_b128 v[2:5], v1 offset:960
	ds_load_b128 v[75:78], v1 offset:976
	v_fma_f64 v[81:82], v[81:82], v[95:96], v[85:86]
	s_wait_loadcnt_dscnt 0x101
	v_mul_f64_e32 v[0:1], v[2:3], v[101:102]
	v_mul_f64_e32 v[93:94], v[4:5], v[101:102]
	v_add_f64_e32 v[6:7], v[6:7], v[91:92]
	v_add_f64_e32 v[83:84], v[83:84], v[89:90]
	s_wait_loadcnt_dscnt 0x0
	v_mul_f64_e32 v[85:86], v[75:76], v[10:11]
	v_mul_f64_e32 v[10:11], v[77:78], v[10:11]
	v_fma_f64 v[0:1], v[4:5], v[99:100], v[0:1]
	v_fma_f64 v[2:3], v[2:3], v[99:100], -v[93:94]
	v_add_f64_e32 v[4:5], v[6:7], v[79:80]
	v_add_f64_e32 v[6:7], v[83:84], v[81:82]
	v_fma_f64 v[77:78], v[77:78], v[8:9], v[85:86]
	v_fma_f64 v[8:9], v[75:76], v[8:9], -v[10:11]
	s_delay_alu instid0(VALU_DEP_4) | instskip(NEXT) | instid1(VALU_DEP_4)
	v_add_f64_e32 v[2:3], v[4:5], v[2:3]
	v_add_f64_e32 v[0:1], v[6:7], v[0:1]
	s_delay_alu instid0(VALU_DEP_2) | instskip(NEXT) | instid1(VALU_DEP_2)
	v_add_f64_e32 v[2:3], v[2:3], v[8:9]
	v_add_f64_e32 v[4:5], v[0:1], v[77:78]
	s_delay_alu instid0(VALU_DEP_2) | instskip(NEXT) | instid1(VALU_DEP_2)
	v_add_f64_e64 v[0:1], v[111:112], -v[2:3]
	v_add_f64_e64 v[2:3], v[113:114], -v[4:5]
	scratch_store_b128 off, v[0:3], off offset:16
	s_wait_alu 0xfffe
	s_cbranch_vccz .LBB94_260
; %bb.200:
	v_mov_b32_e32 v0, 0
	global_load_b32 v1, v0, s[2:3] offset:116
	s_wait_loadcnt 0x0
	v_cmp_ne_u32_e32 vcc_lo, 30, v1
	s_cbranch_vccz .LBB94_202
; %bb.201:
	v_lshlrev_b32_e32 v1, 4, v1
	s_delay_alu instid0(VALU_DEP_1)
	v_add_nc_u32_e32 v9, 16, v1
	s_clause 0x1
	scratch_load_b128 v[1:4], v9, off offset:-16
	scratch_load_b128 v[5:8], off, s37
	s_wait_loadcnt 0x1
	scratch_store_b128 off, v[1:4], s37
	s_wait_loadcnt 0x0
	scratch_store_b128 v9, v[5:8], off offset:-16
.LBB94_202:
	global_load_b32 v0, v0, s[2:3] offset:112
	s_wait_loadcnt 0x0
	v_cmp_eq_u32_e32 vcc_lo, 29, v0
	s_cbranch_vccnz .LBB94_204
; %bb.203:
	v_lshlrev_b32_e32 v0, 4, v0
	s_delay_alu instid0(VALU_DEP_1)
	v_add_nc_u32_e32 v8, 16, v0
	s_clause 0x1
	scratch_load_b128 v[0:3], v8, off offset:-16
	scratch_load_b128 v[4:7], off, s21
	s_wait_loadcnt 0x1
	scratch_store_b128 off, v[0:3], s21
	s_wait_loadcnt 0x0
	scratch_store_b128 v8, v[4:7], off offset:-16
.LBB94_204:
	v_mov_b32_e32 v0, 0
	global_load_b32 v1, v0, s[2:3] offset:108
	s_wait_loadcnt 0x0
	v_cmp_eq_u32_e32 vcc_lo, 28, v1
	s_cbranch_vccnz .LBB94_206
; %bb.205:
	v_lshlrev_b32_e32 v1, 4, v1
	s_delay_alu instid0(VALU_DEP_1)
	v_add_nc_u32_e32 v9, 16, v1
	s_clause 0x1
	scratch_load_b128 v[1:4], v9, off offset:-16
	scratch_load_b128 v[5:8], off, s36
	s_wait_loadcnt 0x1
	scratch_store_b128 off, v[1:4], s36
	s_wait_loadcnt 0x0
	scratch_store_b128 v9, v[5:8], off offset:-16
.LBB94_206:
	global_load_b32 v0, v0, s[2:3] offset:104
	s_wait_loadcnt 0x0
	v_cmp_eq_u32_e32 vcc_lo, 27, v0
	s_cbranch_vccnz .LBB94_208
; %bb.207:
	v_lshlrev_b32_e32 v0, 4, v0
	s_delay_alu instid0(VALU_DEP_1)
	v_add_nc_u32_e32 v8, 16, v0
	s_clause 0x1
	scratch_load_b128 v[0:3], v8, off offset:-16
	scratch_load_b128 v[4:7], off, s20
	s_wait_loadcnt 0x1
	scratch_store_b128 off, v[0:3], s20
	s_wait_loadcnt 0x0
	scratch_store_b128 v8, v[4:7], off offset:-16
.LBB94_208:
	v_mov_b32_e32 v0, 0
	global_load_b32 v1, v0, s[2:3] offset:100
	s_wait_loadcnt 0x0
	v_cmp_eq_u32_e32 vcc_lo, 26, v1
	s_cbranch_vccnz .LBB94_210
; %bb.209:
	v_lshlrev_b32_e32 v1, 4, v1
	s_delay_alu instid0(VALU_DEP_1)
	v_add_nc_u32_e32 v9, 16, v1
	s_clause 0x1
	scratch_load_b128 v[1:4], v9, off offset:-16
	scratch_load_b128 v[5:8], off, s35
	s_wait_loadcnt 0x1
	scratch_store_b128 off, v[1:4], s35
	s_wait_loadcnt 0x0
	scratch_store_b128 v9, v[5:8], off offset:-16
.LBB94_210:
	;; [unrolled: 33-line block ×14, first 2 shown]
	global_load_b32 v0, v0, s[2:3]
	s_wait_loadcnt 0x0
	v_cmp_eq_u32_e32 vcc_lo, 1, v0
	s_cbranch_vccnz .LBB94_260
; %bb.259:
	v_lshlrev_b32_e32 v0, 4, v0
	s_delay_alu instid0(VALU_DEP_1)
	v_add_nc_u32_e32 v8, 16, v0
	scratch_load_b128 v[0:3], v8, off offset:-16
	scratch_load_b128 v[4:7], off, off offset:16
	s_wait_loadcnt 0x1
	scratch_store_b128 off, v[0:3], off offset:16
	s_wait_loadcnt 0x0
	scratch_store_b128 v8, v[4:7], off offset:-16
.LBB94_260:
	scratch_load_b128 v[0:3], off, off offset:16
	s_wait_loadcnt 0x0
	flat_store_b128 v[13:14], v[0:3]
	scratch_load_b128 v[0:3], off, s39
	s_wait_loadcnt 0x0
	flat_store_b128 v[15:16], v[0:3]
	scratch_load_b128 v[0:3], off, s38
	;; [unrolled: 3-line block ×30, first 2 shown]
	s_wait_loadcnt 0x0
	flat_store_b128 v[73:74], v[0:3]
	s_nop 0
	s_sendmsg sendmsg(MSG_DEALLOC_VGPRS)
	s_endpgm
	.section	.rodata,"a",@progbits
	.p2align	6, 0x0
	.amdhsa_kernel _ZN9rocsolver6v33100L18getri_kernel_smallILi31E19rocblas_complex_numIdEPKPS3_EEvT1_iilPiilS8_bb
		.amdhsa_group_segment_fixed_size 1000
		.amdhsa_private_segment_fixed_size 528
		.amdhsa_kernarg_size 60
		.amdhsa_user_sgpr_count 2
		.amdhsa_user_sgpr_dispatch_ptr 0
		.amdhsa_user_sgpr_queue_ptr 0
		.amdhsa_user_sgpr_kernarg_segment_ptr 1
		.amdhsa_user_sgpr_dispatch_id 0
		.amdhsa_user_sgpr_private_segment_size 0
		.amdhsa_wavefront_size32 1
		.amdhsa_uses_dynamic_stack 0
		.amdhsa_enable_private_segment 1
		.amdhsa_system_sgpr_workgroup_id_x 1
		.amdhsa_system_sgpr_workgroup_id_y 0
		.amdhsa_system_sgpr_workgroup_id_z 0
		.amdhsa_system_sgpr_workgroup_info 0
		.amdhsa_system_vgpr_workitem_id 0
		.amdhsa_next_free_vgpr 135
		.amdhsa_next_free_sgpr 43
		.amdhsa_reserve_vcc 1
		.amdhsa_float_round_mode_32 0
		.amdhsa_float_round_mode_16_64 0
		.amdhsa_float_denorm_mode_32 3
		.amdhsa_float_denorm_mode_16_64 3
		.amdhsa_fp16_overflow 0
		.amdhsa_workgroup_processor_mode 1
		.amdhsa_memory_ordered 1
		.amdhsa_forward_progress 1
		.amdhsa_inst_pref_size 255
		.amdhsa_round_robin_scheduling 0
		.amdhsa_exception_fp_ieee_invalid_op 0
		.amdhsa_exception_fp_denorm_src 0
		.amdhsa_exception_fp_ieee_div_zero 0
		.amdhsa_exception_fp_ieee_overflow 0
		.amdhsa_exception_fp_ieee_underflow 0
		.amdhsa_exception_fp_ieee_inexact 0
		.amdhsa_exception_int_div_zero 0
	.end_amdhsa_kernel
	.section	.text._ZN9rocsolver6v33100L18getri_kernel_smallILi31E19rocblas_complex_numIdEPKPS3_EEvT1_iilPiilS8_bb,"axG",@progbits,_ZN9rocsolver6v33100L18getri_kernel_smallILi31E19rocblas_complex_numIdEPKPS3_EEvT1_iilPiilS8_bb,comdat
.Lfunc_end94:
	.size	_ZN9rocsolver6v33100L18getri_kernel_smallILi31E19rocblas_complex_numIdEPKPS3_EEvT1_iilPiilS8_bb, .Lfunc_end94-_ZN9rocsolver6v33100L18getri_kernel_smallILi31E19rocblas_complex_numIdEPKPS3_EEvT1_iilPiilS8_bb
                                        ; -- End function
	.set _ZN9rocsolver6v33100L18getri_kernel_smallILi31E19rocblas_complex_numIdEPKPS3_EEvT1_iilPiilS8_bb.num_vgpr, 135
	.set _ZN9rocsolver6v33100L18getri_kernel_smallILi31E19rocblas_complex_numIdEPKPS3_EEvT1_iilPiilS8_bb.num_agpr, 0
	.set _ZN9rocsolver6v33100L18getri_kernel_smallILi31E19rocblas_complex_numIdEPKPS3_EEvT1_iilPiilS8_bb.numbered_sgpr, 43
	.set _ZN9rocsolver6v33100L18getri_kernel_smallILi31E19rocblas_complex_numIdEPKPS3_EEvT1_iilPiilS8_bb.num_named_barrier, 0
	.set _ZN9rocsolver6v33100L18getri_kernel_smallILi31E19rocblas_complex_numIdEPKPS3_EEvT1_iilPiilS8_bb.private_seg_size, 528
	.set _ZN9rocsolver6v33100L18getri_kernel_smallILi31E19rocblas_complex_numIdEPKPS3_EEvT1_iilPiilS8_bb.uses_vcc, 1
	.set _ZN9rocsolver6v33100L18getri_kernel_smallILi31E19rocblas_complex_numIdEPKPS3_EEvT1_iilPiilS8_bb.uses_flat_scratch, 1
	.set _ZN9rocsolver6v33100L18getri_kernel_smallILi31E19rocblas_complex_numIdEPKPS3_EEvT1_iilPiilS8_bb.has_dyn_sized_stack, 0
	.set _ZN9rocsolver6v33100L18getri_kernel_smallILi31E19rocblas_complex_numIdEPKPS3_EEvT1_iilPiilS8_bb.has_recursion, 0
	.set _ZN9rocsolver6v33100L18getri_kernel_smallILi31E19rocblas_complex_numIdEPKPS3_EEvT1_iilPiilS8_bb.has_indirect_call, 0
	.section	.AMDGPU.csdata,"",@progbits
; Kernel info:
; codeLenInByte = 47092
; TotalNumSgprs: 45
; NumVgprs: 135
; ScratchSize: 528
; MemoryBound: 0
; FloatMode: 240
; IeeeMode: 1
; LDSByteSize: 1000 bytes/workgroup (compile time only)
; SGPRBlocks: 0
; VGPRBlocks: 16
; NumSGPRsForWavesPerEU: 45
; NumVGPRsForWavesPerEU: 135
; Occupancy: 10
; WaveLimiterHint : 1
; COMPUTE_PGM_RSRC2:SCRATCH_EN: 1
; COMPUTE_PGM_RSRC2:USER_SGPR: 2
; COMPUTE_PGM_RSRC2:TRAP_HANDLER: 0
; COMPUTE_PGM_RSRC2:TGID_X_EN: 1
; COMPUTE_PGM_RSRC2:TGID_Y_EN: 0
; COMPUTE_PGM_RSRC2:TGID_Z_EN: 0
; COMPUTE_PGM_RSRC2:TIDIG_COMP_CNT: 0
	.section	.text._ZN9rocsolver6v33100L18getri_kernel_smallILi32E19rocblas_complex_numIdEPKPS3_EEvT1_iilPiilS8_bb,"axG",@progbits,_ZN9rocsolver6v33100L18getri_kernel_smallILi32E19rocblas_complex_numIdEPKPS3_EEvT1_iilPiilS8_bb,comdat
	.globl	_ZN9rocsolver6v33100L18getri_kernel_smallILi32E19rocblas_complex_numIdEPKPS3_EEvT1_iilPiilS8_bb ; -- Begin function _ZN9rocsolver6v33100L18getri_kernel_smallILi32E19rocblas_complex_numIdEPKPS3_EEvT1_iilPiilS8_bb
	.p2align	8
	.type	_ZN9rocsolver6v33100L18getri_kernel_smallILi32E19rocblas_complex_numIdEPKPS3_EEvT1_iilPiilS8_bb,@function
_ZN9rocsolver6v33100L18getri_kernel_smallILi32E19rocblas_complex_numIdEPKPS3_EEvT1_iilPiilS8_bb: ; @_ZN9rocsolver6v33100L18getri_kernel_smallILi32E19rocblas_complex_numIdEPKPS3_EEvT1_iilPiilS8_bb
; %bb.0:
	s_mov_b32 s2, exec_lo
	v_cmpx_gt_u32_e32 32, v0
	s_cbranch_execz .LBB95_142
; %bb.1:
	s_clause 0x1
	s_load_b32 s13, s[0:1], 0x38
	s_load_b64 s[2:3], s[0:1], 0x0
	s_mov_b32 s8, ttmp9
	s_load_b128 s[4:7], s[0:1], 0x28
	s_wait_kmcnt 0x0
	s_bitcmp1_b32 s13, 8
	s_cselect_b32 s12, -1, 0
	s_ashr_i32 s9, ttmp9, 31
	s_delay_alu instid0(SALU_CYCLE_1) | instskip(NEXT) | instid1(SALU_CYCLE_1)
	s_lshl_b64 s[10:11], s[8:9], 3
	s_add_nc_u64 s[2:3], s[2:3], s[10:11]
	s_load_b64 s[10:11], s[2:3], 0x0
	s_bfe_u32 s2, s13, 0x10008
	s_delay_alu instid0(SALU_CYCLE_1)
	s_cmp_eq_u32 s2, 0
                                        ; implicit-def: $sgpr2_sgpr3
	s_cbranch_scc1 .LBB95_3
; %bb.2:
	s_load_b96 s[16:18], s[0:1], 0x18
	s_mul_u64 s[2:3], s[4:5], s[8:9]
	s_delay_alu instid0(SALU_CYCLE_1)
	s_lshl_b64 s[2:3], s[2:3], 2
	s_wait_kmcnt 0x0
	s_ashr_i32 s5, s18, 31
	s_mov_b32 s4, s18
	s_add_nc_u64 s[2:3], s[16:17], s[2:3]
	s_lshl_b64 s[4:5], s[4:5], 2
	s_delay_alu instid0(SALU_CYCLE_1)
	s_add_nc_u64 s[2:3], s[2:3], s[4:5]
.LBB95_3:
	s_clause 0x1
	s_load_b64 s[4:5], s[0:1], 0x8
	s_load_b32 s41, s[0:1], 0x38
	v_lshlrev_b32_e32 v77, 4, v0
	s_mov_b32 s40, 32
	s_mov_b32 s39, 48
	;; [unrolled: 1-line block ×3, first 2 shown]
	s_movk_i32 s24, 0x50
	s_wait_kmcnt 0x0
	s_ashr_i32 s1, s4, 31
	s_mov_b32 s0, s4
	v_add3_u32 v5, s5, s5, v0
	s_lshl_b64 s[0:1], s[0:1], 4
	s_delay_alu instid0(SALU_CYCLE_1)
	s_add_nc_u64 s[0:1], s[10:11], s[0:1]
	s_ashr_i32 s11, s5, 31
	v_add_co_u32 v13, s4, s0, v77
	s_wait_alu 0xf1ff
	v_add_co_ci_u32_e64 v14, null, s1, 0, s4
	s_mov_b32 s10, s5
	v_ashrrev_i32_e32 v6, 31, v5
	s_lshl_b64 s[10:11], s[10:11], 4
	flat_load_b128 v[1:4], v[13:14]
	v_add_co_u32 v15, vcc_lo, v13, s10
	s_delay_alu instid0(VALU_DEP_1) | instskip(SKIP_2) | instid1(VALU_DEP_2)
	v_add_co_ci_u32_e64 v16, null, s11, v14, vcc_lo
	v_lshlrev_b64_e32 v[6:7], 4, v[5:6]
	v_add_nc_u32_e32 v5, s5, v5
	v_add_co_u32 v17, vcc_lo, s0, v6
	s_wait_alu 0xfffd
	s_delay_alu instid0(VALU_DEP_3) | instskip(NEXT) | instid1(VALU_DEP_3)
	v_add_co_ci_u32_e64 v18, null, s1, v7, vcc_lo
	v_ashrrev_i32_e32 v6, 31, v5
	s_delay_alu instid0(VALU_DEP_1) | instskip(SKIP_1) | instid1(VALU_DEP_2)
	v_lshlrev_b64_e32 v[6:7], 4, v[5:6]
	v_add_nc_u32_e32 v5, s5, v5
	v_add_co_u32 v19, vcc_lo, s0, v6
	s_wait_alu 0xfffd
	s_delay_alu instid0(VALU_DEP_3) | instskip(NEXT) | instid1(VALU_DEP_3)
	v_add_co_ci_u32_e64 v20, null, s1, v7, vcc_lo
	v_ashrrev_i32_e32 v6, 31, v5
	s_delay_alu instid0(VALU_DEP_1) | instskip(SKIP_1) | instid1(VALU_DEP_2)
	;; [unrolled: 8-line block ×20, first 2 shown]
	v_lshlrev_b64_e32 v[6:7], 4, v[5:6]
	v_add_nc_u32_e32 v5, s5, v5
	v_add_co_u32 v57, vcc_lo, s0, v6
	s_wait_alu 0xfffd
	s_delay_alu instid0(VALU_DEP_3) | instskip(NEXT) | instid1(VALU_DEP_3)
	v_add_co_ci_u32_e64 v58, null, s1, v7, vcc_lo
	v_ashrrev_i32_e32 v6, 31, v5
	s_delay_alu instid0(VALU_DEP_1)
	v_lshlrev_b64_e32 v[6:7], 4, v[5:6]
	s_wait_loadcnt_dscnt 0x0
	scratch_store_b128 off, v[1:4], off offset:16
	flat_load_b128 v[1:4], v[15:16]
	v_add_nc_u32_e32 v5, s5, v5
	v_add_co_u32 v59, vcc_lo, s0, v6
	s_wait_alu 0xfffd
	v_add_co_ci_u32_e64 v60, null, s1, v7, vcc_lo
	s_delay_alu instid0(VALU_DEP_3) | instskip(NEXT) | instid1(VALU_DEP_1)
	v_ashrrev_i32_e32 v6, 31, v5
	v_lshlrev_b64_e32 v[6:7], 4, v[5:6]
	v_add_nc_u32_e32 v5, s5, v5
	s_delay_alu instid0(VALU_DEP_2) | instskip(SKIP_1) | instid1(VALU_DEP_3)
	v_add_co_u32 v61, vcc_lo, s0, v6
	s_wait_alu 0xfffd
	v_add_co_ci_u32_e64 v62, null, s1, v7, vcc_lo
	s_delay_alu instid0(VALU_DEP_3) | instskip(NEXT) | instid1(VALU_DEP_1)
	v_ashrrev_i32_e32 v6, 31, v5
	v_lshlrev_b64_e32 v[6:7], 4, v[5:6]
	v_add_nc_u32_e32 v5, s5, v5
	s_delay_alu instid0(VALU_DEP_2) | instskip(SKIP_1) | instid1(VALU_DEP_3)
	;; [unrolled: 8-line block ×7, first 2 shown]
	v_add_co_u32 v73, vcc_lo, s0, v6
	s_wait_alu 0xfffd
	v_add_co_ci_u32_e64 v74, null, s1, v7, vcc_lo
	s_delay_alu instid0(VALU_DEP_3) | instskip(NEXT) | instid1(VALU_DEP_1)
	v_ashrrev_i32_e32 v6, 31, v5
	v_lshlrev_b64_e32 v[5:6], 4, v[5:6]
	s_delay_alu instid0(VALU_DEP_1) | instskip(SKIP_1) | instid1(VALU_DEP_2)
	v_add_co_u32 v75, vcc_lo, s0, v5
	s_wait_alu 0xfffd
	v_add_co_ci_u32_e64 v76, null, s1, v6, vcc_lo
	s_movk_i32 s0, 0x50
	s_movk_i32 s1, 0x70
	s_wait_alu 0xfffe
	s_add_co_i32 s4, s0, 16
	s_movk_i32 s0, 0x60
	s_add_co_i32 s5, s1, 16
	s_wait_alu 0xfffe
	s_add_co_i32 s25, s0, 16
	s_movk_i32 s0, 0x80
	s_movk_i32 s1, 0x90
	s_wait_alu 0xfffe
	s_add_co_i32 s26, s0, 16
	s_add_co_i32 s10, s1, 16
	s_movk_i32 s0, 0xa0
	s_movk_i32 s1, 0xb0
	s_wait_alu 0xfffe
	s_add_co_i32 s27, s0, 16
	;; [unrolled: 5-line block ×12, first 2 shown]
	s_add_co_i32 s22, s1, 16
	s_bitcmp0_b32 s41, 0
	s_mov_b32 s1, -1
	s_wait_loadcnt_dscnt 0x0
	scratch_store_b128 off, v[1:4], off offset:32
	flat_load_b128 v[1:4], v[17:18]
	s_wait_loadcnt_dscnt 0x0
	scratch_store_b128 off, v[1:4], off offset:48
	flat_load_b128 v[1:4], v[19:20]
	;; [unrolled: 3-line block ×30, first 2 shown]
	s_wait_loadcnt_dscnt 0x0
	scratch_store_b128 off, v[1:4], off offset:512
	s_cbranch_scc1 .LBB95_140
; %bb.4:
	v_cmp_eq_u32_e64 s0, 0, v0
	s_and_saveexec_b32 s1, s0
; %bb.5:
	v_mov_b32_e32 v1, 0
	ds_store_b32 v1, v1 offset:1024
; %bb.6:
	s_wait_alu 0xfffe
	s_or_b32 exec_lo, exec_lo, s1
	s_wait_storecnt_dscnt 0x0
	s_barrier_signal -1
	s_barrier_wait -1
	global_inv scope:SCOPE_SE
	scratch_load_b128 v[1:4], v77, off offset:16
	s_wait_loadcnt 0x0
	v_cmp_eq_f64_e32 vcc_lo, 0, v[1:2]
	v_cmp_eq_f64_e64 s1, 0, v[3:4]
	s_and_b32 s1, vcc_lo, s1
	s_wait_alu 0xfffe
	s_and_saveexec_b32 s41, s1
	s_cbranch_execz .LBB95_10
; %bb.7:
	v_mov_b32_e32 v1, 0
	s_mov_b32 s42, 0
	ds_load_b32 v2, v1 offset:1024
	s_wait_dscnt 0x0
	v_readfirstlane_b32 s1, v2
	v_add_nc_u32_e32 v2, 1, v0
	s_cmp_eq_u32 s1, 0
	s_delay_alu instid0(VALU_DEP_1) | instskip(SKIP_1) | instid1(SALU_CYCLE_1)
	v_cmp_gt_i32_e32 vcc_lo, s1, v2
	s_cselect_b32 s43, -1, 0
	s_or_b32 s43, s43, vcc_lo
	s_delay_alu instid0(SALU_CYCLE_1)
	s_and_b32 exec_lo, exec_lo, s43
	s_cbranch_execz .LBB95_10
; %bb.8:
	v_mov_b32_e32 v3, s1
.LBB95_9:                               ; =>This Inner Loop Header: Depth=1
	ds_cmpstore_rtn_b32 v3, v1, v2, v3 offset:1024
	s_wait_dscnt 0x0
	v_cmp_ne_u32_e32 vcc_lo, 0, v3
	v_cmp_le_i32_e64 s1, v3, v2
	s_and_b32 s1, vcc_lo, s1
	s_wait_alu 0xfffe
	s_and_b32 s1, exec_lo, s1
	s_wait_alu 0xfffe
	s_or_b32 s42, s1, s42
	s_delay_alu instid0(SALU_CYCLE_1)
	s_and_not1_b32 exec_lo, exec_lo, s42
	s_cbranch_execnz .LBB95_9
.LBB95_10:
	s_or_b32 exec_lo, exec_lo, s41
	v_mov_b32_e32 v1, 0
	s_barrier_signal -1
	s_barrier_wait -1
	global_inv scope:SCOPE_SE
	ds_load_b32 v2, v1 offset:1024
	s_and_saveexec_b32 s1, s0
	s_cbranch_execz .LBB95_12
; %bb.11:
	s_lshl_b64 s[42:43], s[8:9], 2
	s_delay_alu instid0(SALU_CYCLE_1)
	s_add_nc_u64 s[42:43], s[6:7], s[42:43]
	s_wait_dscnt 0x0
	global_store_b32 v1, v2, s[42:43]
.LBB95_12:
	s_wait_alu 0xfffe
	s_or_b32 exec_lo, exec_lo, s1
	s_wait_dscnt 0x0
	v_cmp_ne_u32_e32 vcc_lo, 0, v2
	s_mov_b32 s1, 0
	s_cbranch_vccnz .LBB95_140
; %bb.13:
	v_add_nc_u32_e32 v78, 16, v77
                                        ; implicit-def: $vgpr1_vgpr2
                                        ; implicit-def: $vgpr9_vgpr10
	scratch_load_b128 v[5:8], v78, off
	s_wait_loadcnt 0x0
	v_cmp_ngt_f64_e64 s1, |v[5:6]|, |v[7:8]|
	s_wait_alu 0xfffe
	s_and_saveexec_b32 s41, s1
	s_delay_alu instid0(SALU_CYCLE_1)
	s_xor_b32 s1, exec_lo, s41
	s_cbranch_execz .LBB95_15
; %bb.14:
	v_div_scale_f64 v[1:2], null, v[7:8], v[7:8], v[5:6]
	v_div_scale_f64 v[11:12], vcc_lo, v[5:6], v[7:8], v[5:6]
	s_delay_alu instid0(VALU_DEP_2) | instskip(NEXT) | instid1(TRANS32_DEP_1)
	v_rcp_f64_e32 v[3:4], v[1:2]
	v_fma_f64 v[9:10], -v[1:2], v[3:4], 1.0
	s_delay_alu instid0(VALU_DEP_1) | instskip(NEXT) | instid1(VALU_DEP_1)
	v_fma_f64 v[3:4], v[3:4], v[9:10], v[3:4]
	v_fma_f64 v[9:10], -v[1:2], v[3:4], 1.0
	s_delay_alu instid0(VALU_DEP_1) | instskip(NEXT) | instid1(VALU_DEP_1)
	v_fma_f64 v[3:4], v[3:4], v[9:10], v[3:4]
	v_mul_f64_e32 v[9:10], v[11:12], v[3:4]
	s_delay_alu instid0(VALU_DEP_1) | instskip(SKIP_1) | instid1(VALU_DEP_1)
	v_fma_f64 v[1:2], -v[1:2], v[9:10], v[11:12]
	s_wait_alu 0xfffd
	v_div_fmas_f64 v[1:2], v[1:2], v[3:4], v[9:10]
	s_delay_alu instid0(VALU_DEP_1) | instskip(NEXT) | instid1(VALU_DEP_1)
	v_div_fixup_f64 v[1:2], v[1:2], v[7:8], v[5:6]
	v_fma_f64 v[3:4], v[5:6], v[1:2], v[7:8]
	s_delay_alu instid0(VALU_DEP_1) | instskip(SKIP_1) | instid1(VALU_DEP_2)
	v_div_scale_f64 v[5:6], null, v[3:4], v[3:4], 1.0
	v_div_scale_f64 v[11:12], vcc_lo, 1.0, v[3:4], 1.0
	v_rcp_f64_e32 v[7:8], v[5:6]
	s_delay_alu instid0(TRANS32_DEP_1) | instskip(NEXT) | instid1(VALU_DEP_1)
	v_fma_f64 v[9:10], -v[5:6], v[7:8], 1.0
	v_fma_f64 v[7:8], v[7:8], v[9:10], v[7:8]
	s_delay_alu instid0(VALU_DEP_1) | instskip(NEXT) | instid1(VALU_DEP_1)
	v_fma_f64 v[9:10], -v[5:6], v[7:8], 1.0
	v_fma_f64 v[7:8], v[7:8], v[9:10], v[7:8]
	s_delay_alu instid0(VALU_DEP_1) | instskip(NEXT) | instid1(VALU_DEP_1)
	v_mul_f64_e32 v[9:10], v[11:12], v[7:8]
	v_fma_f64 v[5:6], -v[5:6], v[9:10], v[11:12]
	s_wait_alu 0xfffd
	s_delay_alu instid0(VALU_DEP_1) | instskip(NEXT) | instid1(VALU_DEP_1)
	v_div_fmas_f64 v[5:6], v[5:6], v[7:8], v[9:10]
	v_div_fixup_f64 v[3:4], v[5:6], v[3:4], 1.0
                                        ; implicit-def: $vgpr5_vgpr6
	s_delay_alu instid0(VALU_DEP_1) | instskip(SKIP_1) | instid1(VALU_DEP_2)
	v_mul_f64_e32 v[1:2], v[1:2], v[3:4]
	v_xor_b32_e32 v4, 0x80000000, v4
	v_xor_b32_e32 v10, 0x80000000, v2
	s_delay_alu instid0(VALU_DEP_3)
	v_mov_b32_e32 v9, v1
.LBB95_15:
	s_wait_alu 0xfffe
	s_and_not1_saveexec_b32 s1, s1
	s_cbranch_execz .LBB95_17
; %bb.16:
	v_div_scale_f64 v[1:2], null, v[5:6], v[5:6], v[7:8]
	v_div_scale_f64 v[11:12], vcc_lo, v[7:8], v[5:6], v[7:8]
	s_delay_alu instid0(VALU_DEP_2) | instskip(NEXT) | instid1(TRANS32_DEP_1)
	v_rcp_f64_e32 v[3:4], v[1:2]
	v_fma_f64 v[9:10], -v[1:2], v[3:4], 1.0
	s_delay_alu instid0(VALU_DEP_1) | instskip(NEXT) | instid1(VALU_DEP_1)
	v_fma_f64 v[3:4], v[3:4], v[9:10], v[3:4]
	v_fma_f64 v[9:10], -v[1:2], v[3:4], 1.0
	s_delay_alu instid0(VALU_DEP_1) | instskip(NEXT) | instid1(VALU_DEP_1)
	v_fma_f64 v[3:4], v[3:4], v[9:10], v[3:4]
	v_mul_f64_e32 v[9:10], v[11:12], v[3:4]
	s_delay_alu instid0(VALU_DEP_1) | instskip(SKIP_1) | instid1(VALU_DEP_1)
	v_fma_f64 v[1:2], -v[1:2], v[9:10], v[11:12]
	s_wait_alu 0xfffd
	v_div_fmas_f64 v[1:2], v[1:2], v[3:4], v[9:10]
	s_delay_alu instid0(VALU_DEP_1) | instskip(NEXT) | instid1(VALU_DEP_1)
	v_div_fixup_f64 v[3:4], v[1:2], v[5:6], v[7:8]
	v_fma_f64 v[1:2], v[7:8], v[3:4], v[5:6]
	s_delay_alu instid0(VALU_DEP_1) | instskip(NEXT) | instid1(VALU_DEP_1)
	v_div_scale_f64 v[5:6], null, v[1:2], v[1:2], 1.0
	v_rcp_f64_e32 v[7:8], v[5:6]
	s_delay_alu instid0(TRANS32_DEP_1) | instskip(NEXT) | instid1(VALU_DEP_1)
	v_fma_f64 v[9:10], -v[5:6], v[7:8], 1.0
	v_fma_f64 v[7:8], v[7:8], v[9:10], v[7:8]
	s_delay_alu instid0(VALU_DEP_1) | instskip(NEXT) | instid1(VALU_DEP_1)
	v_fma_f64 v[9:10], -v[5:6], v[7:8], 1.0
	v_fma_f64 v[7:8], v[7:8], v[9:10], v[7:8]
	v_div_scale_f64 v[9:10], vcc_lo, 1.0, v[1:2], 1.0
	s_delay_alu instid0(VALU_DEP_1) | instskip(NEXT) | instid1(VALU_DEP_1)
	v_mul_f64_e32 v[11:12], v[9:10], v[7:8]
	v_fma_f64 v[5:6], -v[5:6], v[11:12], v[9:10]
	s_wait_alu 0xfffd
	s_delay_alu instid0(VALU_DEP_1) | instskip(NEXT) | instid1(VALU_DEP_1)
	v_div_fmas_f64 v[5:6], v[5:6], v[7:8], v[11:12]
	v_div_fixup_f64 v[1:2], v[5:6], v[1:2], 1.0
	s_delay_alu instid0(VALU_DEP_1)
	v_mul_f64_e64 v[3:4], v[3:4], -v[1:2]
	v_xor_b32_e32 v10, 0x80000000, v2
	v_mov_b32_e32 v9, v1
.LBB95_17:
	s_wait_alu 0xfffe
	s_or_b32 exec_lo, exec_lo, s1
	scratch_store_b128 v78, v[1:4], off
	scratch_load_b128 v[79:82], off, s40
	v_xor_b32_e32 v12, 0x80000000, v4
	v_mov_b32_e32 v11, v3
	v_add_nc_u32_e32 v5, 0x200, v77
	ds_store_b128 v77, v[9:12]
	s_wait_loadcnt 0x0
	ds_store_b128 v77, v[79:82] offset:512
	s_wait_storecnt_dscnt 0x0
	s_barrier_signal -1
	s_barrier_wait -1
	global_inv scope:SCOPE_SE
	s_and_saveexec_b32 s1, s0
	s_cbranch_execz .LBB95_19
; %bb.18:
	scratch_load_b128 v[1:4], v78, off
	ds_load_b128 v[6:9], v5
	v_mov_b32_e32 v10, 0
	ds_load_b128 v[79:82], v10 offset:16
	s_wait_loadcnt_dscnt 0x1
	v_mul_f64_e32 v[10:11], v[6:7], v[3:4]
	v_mul_f64_e32 v[3:4], v[8:9], v[3:4]
	s_delay_alu instid0(VALU_DEP_2) | instskip(NEXT) | instid1(VALU_DEP_2)
	v_fma_f64 v[8:9], v[8:9], v[1:2], v[10:11]
	v_fma_f64 v[1:2], v[6:7], v[1:2], -v[3:4]
	s_delay_alu instid0(VALU_DEP_2) | instskip(NEXT) | instid1(VALU_DEP_2)
	v_add_f64_e32 v[3:4], 0, v[8:9]
	v_add_f64_e32 v[1:2], 0, v[1:2]
	s_wait_dscnt 0x0
	s_delay_alu instid0(VALU_DEP_2) | instskip(NEXT) | instid1(VALU_DEP_2)
	v_mul_f64_e32 v[6:7], v[3:4], v[81:82]
	v_mul_f64_e32 v[8:9], v[1:2], v[81:82]
	s_delay_alu instid0(VALU_DEP_2) | instskip(NEXT) | instid1(VALU_DEP_2)
	v_fma_f64 v[1:2], v[1:2], v[79:80], -v[6:7]
	v_fma_f64 v[3:4], v[3:4], v[79:80], v[8:9]
	scratch_store_b128 off, v[1:4], off offset:32
.LBB95_19:
	s_wait_alu 0xfffe
	s_or_b32 exec_lo, exec_lo, s1
	s_wait_loadcnt 0x0
	s_wait_storecnt 0x0
	s_barrier_signal -1
	s_barrier_wait -1
	global_inv scope:SCOPE_SE
	scratch_load_b128 v[1:4], off, s39
	s_mov_b32 s1, exec_lo
	s_wait_loadcnt 0x0
	ds_store_b128 v5, v[1:4]
	s_wait_dscnt 0x0
	s_barrier_signal -1
	s_barrier_wait -1
	global_inv scope:SCOPE_SE
	v_cmpx_gt_u32_e32 2, v0
	s_cbranch_execz .LBB95_23
; %bb.20:
	scratch_load_b128 v[1:4], v78, off
	ds_load_b128 v[6:9], v5
	s_wait_loadcnt_dscnt 0x0
	v_mul_f64_e32 v[10:11], v[8:9], v[3:4]
	v_mul_f64_e32 v[3:4], v[6:7], v[3:4]
	s_delay_alu instid0(VALU_DEP_2) | instskip(NEXT) | instid1(VALU_DEP_2)
	v_fma_f64 v[6:7], v[6:7], v[1:2], -v[10:11]
	v_fma_f64 v[3:4], v[8:9], v[1:2], v[3:4]
	s_delay_alu instid0(VALU_DEP_2) | instskip(NEXT) | instid1(VALU_DEP_2)
	v_add_f64_e32 v[1:2], 0, v[6:7]
	v_add_f64_e32 v[3:4], 0, v[3:4]
	s_and_saveexec_b32 s41, s0
	s_cbranch_execz .LBB95_22
; %bb.21:
	scratch_load_b128 v[6:9], off, off offset:32
	v_mov_b32_e32 v10, 0
	ds_load_b128 v[79:82], v10 offset:528
	s_wait_loadcnt_dscnt 0x0
	v_mul_f64_e32 v[10:11], v[79:80], v[8:9]
	v_mul_f64_e32 v[8:9], v[81:82], v[8:9]
	s_delay_alu instid0(VALU_DEP_2) | instskip(NEXT) | instid1(VALU_DEP_2)
	v_fma_f64 v[10:11], v[81:82], v[6:7], v[10:11]
	v_fma_f64 v[6:7], v[79:80], v[6:7], -v[8:9]
	s_delay_alu instid0(VALU_DEP_2) | instskip(NEXT) | instid1(VALU_DEP_2)
	v_add_f64_e32 v[3:4], v[3:4], v[10:11]
	v_add_f64_e32 v[1:2], v[1:2], v[6:7]
.LBB95_22:
	s_or_b32 exec_lo, exec_lo, s41
	v_mov_b32_e32 v6, 0
	ds_load_b128 v[6:9], v6 offset:32
	s_wait_dscnt 0x0
	v_mul_f64_e32 v[10:11], v[3:4], v[8:9]
	v_mul_f64_e32 v[8:9], v[1:2], v[8:9]
	s_delay_alu instid0(VALU_DEP_2) | instskip(NEXT) | instid1(VALU_DEP_2)
	v_fma_f64 v[1:2], v[1:2], v[6:7], -v[10:11]
	v_fma_f64 v[3:4], v[3:4], v[6:7], v[8:9]
	scratch_store_b128 off, v[1:4], off offset:48
.LBB95_23:
	s_wait_alu 0xfffe
	s_or_b32 exec_lo, exec_lo, s1
	s_wait_loadcnt 0x0
	s_wait_storecnt 0x0
	s_barrier_signal -1
	s_barrier_wait -1
	global_inv scope:SCOPE_SE
	scratch_load_b128 v[1:4], off, s23
	v_add_nc_u32_e32 v6, -1, v0
	s_mov_b32 s0, exec_lo
	s_wait_loadcnt 0x0
	ds_store_b128 v5, v[1:4]
	s_wait_dscnt 0x0
	s_barrier_signal -1
	s_barrier_wait -1
	global_inv scope:SCOPE_SE
	v_cmpx_gt_u32_e32 3, v0
	s_cbranch_execz .LBB95_27
; %bb.24:
	v_dual_mov_b32 v1, 0 :: v_dual_add_nc_u32 v8, 0x200, v77
	v_mov_b32_e32 v3, 0
	v_dual_mov_b32 v2, 0 :: v_dual_add_nc_u32 v7, -1, v0
	v_mov_b32_e32 v4, 0
	v_or_b32_e32 v9, 8, v78
	s_mov_b32 s1, 0
.LBB95_25:                              ; =>This Inner Loop Header: Depth=1
	scratch_load_b128 v[79:82], v9, off offset:-8
	ds_load_b128 v[83:86], v8
	v_add_nc_u32_e32 v7, 1, v7
	v_add_nc_u32_e32 v8, 16, v8
	v_add_nc_u32_e32 v9, 16, v9
	s_delay_alu instid0(VALU_DEP_3)
	v_cmp_lt_u32_e32 vcc_lo, 1, v7
	s_wait_alu 0xfffe
	s_or_b32 s1, vcc_lo, s1
	s_wait_loadcnt_dscnt 0x0
	v_mul_f64_e32 v[10:11], v[85:86], v[81:82]
	v_mul_f64_e32 v[81:82], v[83:84], v[81:82]
	s_delay_alu instid0(VALU_DEP_2) | instskip(NEXT) | instid1(VALU_DEP_2)
	v_fma_f64 v[10:11], v[83:84], v[79:80], -v[10:11]
	v_fma_f64 v[79:80], v[85:86], v[79:80], v[81:82]
	s_delay_alu instid0(VALU_DEP_2) | instskip(NEXT) | instid1(VALU_DEP_2)
	v_add_f64_e32 v[3:4], v[3:4], v[10:11]
	v_add_f64_e32 v[1:2], v[1:2], v[79:80]
	s_wait_alu 0xfffe
	s_and_not1_b32 exec_lo, exec_lo, s1
	s_cbranch_execnz .LBB95_25
; %bb.26:
	s_or_b32 exec_lo, exec_lo, s1
	v_mov_b32_e32 v7, 0
	ds_load_b128 v[7:10], v7 offset:48
	s_wait_dscnt 0x0
	v_mul_f64_e32 v[11:12], v[1:2], v[9:10]
	v_mul_f64_e32 v[79:80], v[3:4], v[9:10]
	s_delay_alu instid0(VALU_DEP_2) | instskip(NEXT) | instid1(VALU_DEP_2)
	v_fma_f64 v[9:10], v[3:4], v[7:8], -v[11:12]
	v_fma_f64 v[11:12], v[1:2], v[7:8], v[79:80]
	scratch_store_b128 off, v[9:12], off offset:64
.LBB95_27:
	s_wait_alu 0xfffe
	s_or_b32 exec_lo, exec_lo, s0
	s_wait_loadcnt 0x0
	s_wait_storecnt 0x0
	s_barrier_signal -1
	s_barrier_wait -1
	global_inv scope:SCOPE_SE
	scratch_load_b128 v[1:4], off, s24
	s_mov_b32 s0, exec_lo
	s_wait_loadcnt 0x0
	ds_store_b128 v5, v[1:4]
	s_wait_dscnt 0x0
	s_barrier_signal -1
	s_barrier_wait -1
	global_inv scope:SCOPE_SE
	v_cmpx_gt_u32_e32 4, v0
	s_cbranch_execz .LBB95_31
; %bb.28:
	v_dual_mov_b32 v1, 0 :: v_dual_add_nc_u32 v8, 0x200, v77
	v_mov_b32_e32 v3, 0
	v_dual_mov_b32 v2, 0 :: v_dual_add_nc_u32 v7, -1, v0
	v_mov_b32_e32 v4, 0
	v_or_b32_e32 v9, 8, v78
	s_mov_b32 s1, 0
.LBB95_29:                              ; =>This Inner Loop Header: Depth=1
	scratch_load_b128 v[79:82], v9, off offset:-8
	ds_load_b128 v[83:86], v8
	v_add_nc_u32_e32 v7, 1, v7
	v_add_nc_u32_e32 v8, 16, v8
	v_add_nc_u32_e32 v9, 16, v9
	s_delay_alu instid0(VALU_DEP_3)
	v_cmp_lt_u32_e32 vcc_lo, 2, v7
	s_wait_alu 0xfffe
	s_or_b32 s1, vcc_lo, s1
	s_wait_loadcnt_dscnt 0x0
	v_mul_f64_e32 v[10:11], v[85:86], v[81:82]
	v_mul_f64_e32 v[81:82], v[83:84], v[81:82]
	s_delay_alu instid0(VALU_DEP_2) | instskip(NEXT) | instid1(VALU_DEP_2)
	v_fma_f64 v[10:11], v[83:84], v[79:80], -v[10:11]
	v_fma_f64 v[79:80], v[85:86], v[79:80], v[81:82]
	s_delay_alu instid0(VALU_DEP_2) | instskip(NEXT) | instid1(VALU_DEP_2)
	v_add_f64_e32 v[3:4], v[3:4], v[10:11]
	v_add_f64_e32 v[1:2], v[1:2], v[79:80]
	s_wait_alu 0xfffe
	s_and_not1_b32 exec_lo, exec_lo, s1
	s_cbranch_execnz .LBB95_29
; %bb.30:
	s_or_b32 exec_lo, exec_lo, s1
	v_mov_b32_e32 v7, 0
	ds_load_b128 v[7:10], v7 offset:64
	s_wait_dscnt 0x0
	v_mul_f64_e32 v[11:12], v[1:2], v[9:10]
	v_mul_f64_e32 v[79:80], v[3:4], v[9:10]
	s_delay_alu instid0(VALU_DEP_2) | instskip(NEXT) | instid1(VALU_DEP_2)
	v_fma_f64 v[9:10], v[3:4], v[7:8], -v[11:12]
	v_fma_f64 v[11:12], v[1:2], v[7:8], v[79:80]
	scratch_store_b128 off, v[9:12], off offset:80
.LBB95_31:
	s_wait_alu 0xfffe
	s_or_b32 exec_lo, exec_lo, s0
	s_wait_loadcnt 0x0
	s_wait_storecnt 0x0
	s_barrier_signal -1
	s_barrier_wait -1
	global_inv scope:SCOPE_SE
	scratch_load_b128 v[1:4], off, s4
	;; [unrolled: 58-line block ×19, first 2 shown]
	s_mov_b32 s0, exec_lo
	s_wait_loadcnt 0x0
	ds_store_b128 v5, v[1:4]
	s_wait_dscnt 0x0
	s_barrier_signal -1
	s_barrier_wait -1
	global_inv scope:SCOPE_SE
	v_cmpx_gt_u32_e32 22, v0
	s_cbranch_execz .LBB95_103
; %bb.100:
	v_dual_mov_b32 v1, 0 :: v_dual_add_nc_u32 v8, 0x200, v77
	v_mov_b32_e32 v3, 0
	v_dual_mov_b32 v2, 0 :: v_dual_add_nc_u32 v7, -1, v0
	v_mov_b32_e32 v4, 0
	v_or_b32_e32 v9, 8, v78
	s_mov_b32 s1, 0
.LBB95_101:                             ; =>This Inner Loop Header: Depth=1
	scratch_load_b128 v[79:82], v9, off offset:-8
	ds_load_b128 v[83:86], v8
	v_add_nc_u32_e32 v7, 1, v7
	v_add_nc_u32_e32 v8, 16, v8
	v_add_nc_u32_e32 v9, 16, v9
	s_delay_alu instid0(VALU_DEP_3)
	v_cmp_lt_u32_e32 vcc_lo, 20, v7
	s_wait_alu 0xfffe
	s_or_b32 s1, vcc_lo, s1
	s_wait_loadcnt_dscnt 0x0
	v_mul_f64_e32 v[10:11], v[85:86], v[81:82]
	v_mul_f64_e32 v[81:82], v[83:84], v[81:82]
	s_delay_alu instid0(VALU_DEP_2) | instskip(NEXT) | instid1(VALU_DEP_2)
	v_fma_f64 v[10:11], v[83:84], v[79:80], -v[10:11]
	v_fma_f64 v[79:80], v[85:86], v[79:80], v[81:82]
	s_delay_alu instid0(VALU_DEP_2) | instskip(NEXT) | instid1(VALU_DEP_2)
	v_add_f64_e32 v[3:4], v[3:4], v[10:11]
	v_add_f64_e32 v[1:2], v[1:2], v[79:80]
	s_wait_alu 0xfffe
	s_and_not1_b32 exec_lo, exec_lo, s1
	s_cbranch_execnz .LBB95_101
; %bb.102:
	s_or_b32 exec_lo, exec_lo, s1
	v_mov_b32_e32 v7, 0
	ds_load_b128 v[7:10], v7 offset:352
	s_wait_dscnt 0x0
	v_mul_f64_e32 v[11:12], v[1:2], v[9:10]
	v_mul_f64_e32 v[79:80], v[3:4], v[9:10]
	s_delay_alu instid0(VALU_DEP_2) | instskip(NEXT) | instid1(VALU_DEP_2)
	v_fma_f64 v[9:10], v[3:4], v[7:8], -v[11:12]
	v_fma_f64 v[11:12], v[1:2], v[7:8], v[79:80]
	scratch_store_b128 off, v[9:12], off offset:368
.LBB95_103:
	s_wait_alu 0xfffe
	s_or_b32 exec_lo, exec_lo, s0
	s_wait_loadcnt 0x0
	s_wait_storecnt 0x0
	s_barrier_signal -1
	s_barrier_wait -1
	global_inv scope:SCOPE_SE
	scratch_load_b128 v[1:4], off, s18
	s_mov_b32 s0, exec_lo
	s_wait_loadcnt 0x0
	ds_store_b128 v5, v[1:4]
	s_wait_dscnt 0x0
	s_barrier_signal -1
	s_barrier_wait -1
	global_inv scope:SCOPE_SE
	v_cmpx_gt_u32_e32 23, v0
	s_cbranch_execz .LBB95_107
; %bb.104:
	v_dual_mov_b32 v1, 0 :: v_dual_add_nc_u32 v8, 0x200, v77
	v_mov_b32_e32 v3, 0
	v_dual_mov_b32 v2, 0 :: v_dual_add_nc_u32 v7, -1, v0
	v_mov_b32_e32 v4, 0
	v_or_b32_e32 v9, 8, v78
	s_mov_b32 s1, 0
.LBB95_105:                             ; =>This Inner Loop Header: Depth=1
	scratch_load_b128 v[79:82], v9, off offset:-8
	ds_load_b128 v[83:86], v8
	v_add_nc_u32_e32 v7, 1, v7
	v_add_nc_u32_e32 v8, 16, v8
	v_add_nc_u32_e32 v9, 16, v9
	s_delay_alu instid0(VALU_DEP_3)
	v_cmp_lt_u32_e32 vcc_lo, 21, v7
	s_wait_alu 0xfffe
	s_or_b32 s1, vcc_lo, s1
	s_wait_loadcnt_dscnt 0x0
	v_mul_f64_e32 v[10:11], v[85:86], v[81:82]
	v_mul_f64_e32 v[81:82], v[83:84], v[81:82]
	s_delay_alu instid0(VALU_DEP_2) | instskip(NEXT) | instid1(VALU_DEP_2)
	v_fma_f64 v[10:11], v[83:84], v[79:80], -v[10:11]
	v_fma_f64 v[79:80], v[85:86], v[79:80], v[81:82]
	s_delay_alu instid0(VALU_DEP_2) | instskip(NEXT) | instid1(VALU_DEP_2)
	v_add_f64_e32 v[3:4], v[3:4], v[10:11]
	v_add_f64_e32 v[1:2], v[1:2], v[79:80]
	s_wait_alu 0xfffe
	s_and_not1_b32 exec_lo, exec_lo, s1
	s_cbranch_execnz .LBB95_105
; %bb.106:
	s_or_b32 exec_lo, exec_lo, s1
	v_mov_b32_e32 v7, 0
	ds_load_b128 v[7:10], v7 offset:368
	s_wait_dscnt 0x0
	v_mul_f64_e32 v[11:12], v[1:2], v[9:10]
	v_mul_f64_e32 v[79:80], v[3:4], v[9:10]
	s_delay_alu instid0(VALU_DEP_2) | instskip(NEXT) | instid1(VALU_DEP_2)
	v_fma_f64 v[9:10], v[3:4], v[7:8], -v[11:12]
	v_fma_f64 v[11:12], v[1:2], v[7:8], v[79:80]
	scratch_store_b128 off, v[9:12], off offset:384
.LBB95_107:
	s_wait_alu 0xfffe
	s_or_b32 exec_lo, exec_lo, s0
	s_wait_loadcnt 0x0
	s_wait_storecnt 0x0
	s_barrier_signal -1
	s_barrier_wait -1
	global_inv scope:SCOPE_SE
	scratch_load_b128 v[1:4], off, s35
	;; [unrolled: 58-line block ×9, first 2 shown]
	s_mov_b32 s0, exec_lo
	s_wait_loadcnt 0x0
	ds_store_b128 v5, v[1:4]
	s_wait_dscnt 0x0
	s_barrier_signal -1
	s_barrier_wait -1
	global_inv scope:SCOPE_SE
	v_cmpx_ne_u32_e32 31, v0
	s_cbranch_execz .LBB95_139
; %bb.136:
	v_mov_b32_e32 v1, 0
	v_dual_mov_b32 v2, 0 :: v_dual_mov_b32 v3, 0
	v_mov_b32_e32 v4, 0
	v_or_b32_e32 v7, 8, v78
	s_mov_b32 s1, 0
.LBB95_137:                             ; =>This Inner Loop Header: Depth=1
	scratch_load_b128 v[8:11], v7, off offset:-8
	ds_load_b128 v[77:80], v5
	v_add_nc_u32_e32 v6, 1, v6
	v_add_nc_u32_e32 v5, 16, v5
	;; [unrolled: 1-line block ×3, first 2 shown]
	s_delay_alu instid0(VALU_DEP_3)
	v_cmp_lt_u32_e32 vcc_lo, 29, v6
	s_wait_alu 0xfffe
	s_or_b32 s1, vcc_lo, s1
	s_wait_loadcnt_dscnt 0x0
	v_mul_f64_e32 v[81:82], v[79:80], v[10:11]
	v_mul_f64_e32 v[10:11], v[77:78], v[10:11]
	s_delay_alu instid0(VALU_DEP_2) | instskip(NEXT) | instid1(VALU_DEP_2)
	v_fma_f64 v[77:78], v[77:78], v[8:9], -v[81:82]
	v_fma_f64 v[8:9], v[79:80], v[8:9], v[10:11]
	s_delay_alu instid0(VALU_DEP_2) | instskip(NEXT) | instid1(VALU_DEP_2)
	v_add_f64_e32 v[3:4], v[3:4], v[77:78]
	v_add_f64_e32 v[1:2], v[1:2], v[8:9]
	s_wait_alu 0xfffe
	s_and_not1_b32 exec_lo, exec_lo, s1
	s_cbranch_execnz .LBB95_137
; %bb.138:
	s_or_b32 exec_lo, exec_lo, s1
	v_mov_b32_e32 v5, 0
	ds_load_b128 v[5:8], v5 offset:496
	s_wait_dscnt 0x0
	v_mul_f64_e32 v[9:10], v[1:2], v[7:8]
	v_mul_f64_e32 v[7:8], v[3:4], v[7:8]
	s_delay_alu instid0(VALU_DEP_2) | instskip(NEXT) | instid1(VALU_DEP_2)
	v_fma_f64 v[3:4], v[3:4], v[5:6], -v[9:10]
	v_fma_f64 v[5:6], v[1:2], v[5:6], v[7:8]
	scratch_store_b128 off, v[3:6], off offset:512
.LBB95_139:
	s_wait_alu 0xfffe
	s_or_b32 exec_lo, exec_lo, s0
	s_mov_b32 s1, -1
	s_wait_loadcnt 0x0
	s_wait_storecnt 0x0
	s_barrier_signal -1
	s_barrier_wait -1
	global_inv scope:SCOPE_SE
.LBB95_140:
	s_wait_alu 0xfffe
	s_and_b32 vcc_lo, exec_lo, s1
	s_wait_alu 0xfffe
	s_cbranch_vccz .LBB95_142
; %bb.141:
	v_mov_b32_e32 v1, 0
	s_lshl_b64 s[0:1], s[8:9], 2
	s_wait_alu 0xfffe
	s_add_nc_u64 s[0:1], s[6:7], s[0:1]
	global_load_b32 v1, v1, s[0:1]
	s_wait_loadcnt 0x0
	v_cmp_ne_u32_e32 vcc_lo, 0, v1
	s_cbranch_vccz .LBB95_143
.LBB95_142:
	s_nop 0
	s_sendmsg sendmsg(MSG_DEALLOC_VGPRS)
	s_endpgm
.LBB95_143:
	v_lshl_add_u32 v5, v0, 4, 0x200
	s_mov_b32 s0, exec_lo
	v_cmpx_eq_u32_e32 31, v0
	s_cbranch_execz .LBB95_145
; %bb.144:
	scratch_load_b128 v[1:4], off, s38
	v_mov_b32_e32 v6, 0
	s_delay_alu instid0(VALU_DEP_1)
	v_dual_mov_b32 v7, v6 :: v_dual_mov_b32 v8, v6
	v_mov_b32_e32 v9, v6
	scratch_store_b128 off, v[6:9], off offset:496
	s_wait_loadcnt 0x0
	ds_store_b128 v5, v[1:4]
.LBB95_145:
	s_wait_alu 0xfffe
	s_or_b32 exec_lo, exec_lo, s0
	s_wait_storecnt_dscnt 0x0
	s_barrier_signal -1
	s_barrier_wait -1
	global_inv scope:SCOPE_SE
	s_clause 0x1
	scratch_load_b128 v[6:9], off, off offset:512
	scratch_load_b128 v[77:80], off, off offset:496
	v_mov_b32_e32 v1, 0
	s_mov_b32 s0, exec_lo
	ds_load_b128 v[81:84], v1 offset:1008
	s_wait_loadcnt_dscnt 0x100
	v_mul_f64_e32 v[2:3], v[83:84], v[8:9]
	v_mul_f64_e32 v[8:9], v[81:82], v[8:9]
	s_delay_alu instid0(VALU_DEP_2) | instskip(NEXT) | instid1(VALU_DEP_2)
	v_fma_f64 v[2:3], v[81:82], v[6:7], -v[2:3]
	v_fma_f64 v[6:7], v[83:84], v[6:7], v[8:9]
	s_delay_alu instid0(VALU_DEP_2) | instskip(NEXT) | instid1(VALU_DEP_2)
	v_add_f64_e32 v[2:3], 0, v[2:3]
	v_add_f64_e32 v[8:9], 0, v[6:7]
	s_wait_loadcnt 0x0
	s_delay_alu instid0(VALU_DEP_2) | instskip(NEXT) | instid1(VALU_DEP_2)
	v_add_f64_e64 v[6:7], v[77:78], -v[2:3]
	v_add_f64_e64 v[8:9], v[79:80], -v[8:9]
	scratch_store_b128 off, v[6:9], off offset:496
	v_cmpx_lt_u32_e32 29, v0
	s_cbranch_execz .LBB95_147
; %bb.146:
	scratch_load_b128 v[6:9], off, s21
	v_dual_mov_b32 v2, v1 :: v_dual_mov_b32 v3, v1
	v_mov_b32_e32 v4, v1
	scratch_store_b128 off, v[1:4], off offset:480
	s_wait_loadcnt 0x0
	ds_store_b128 v5, v[6:9]
.LBB95_147:
	s_wait_alu 0xfffe
	s_or_b32 exec_lo, exec_lo, s0
	s_wait_storecnt_dscnt 0x0
	s_barrier_signal -1
	s_barrier_wait -1
	global_inv scope:SCOPE_SE
	s_clause 0x2
	scratch_load_b128 v[6:9], off, off offset:496
	scratch_load_b128 v[77:80], off, off offset:512
	;; [unrolled: 1-line block ×3, first 2 shown]
	ds_load_b128 v[85:88], v1 offset:992
	ds_load_b128 v[1:4], v1 offset:1008
	s_mov_b32 s0, exec_lo
	s_wait_loadcnt_dscnt 0x201
	v_mul_f64_e32 v[10:11], v[87:88], v[8:9]
	v_mul_f64_e32 v[8:9], v[85:86], v[8:9]
	s_wait_loadcnt_dscnt 0x100
	v_mul_f64_e32 v[89:90], v[1:2], v[79:80]
	v_mul_f64_e32 v[79:80], v[3:4], v[79:80]
	s_delay_alu instid0(VALU_DEP_4) | instskip(NEXT) | instid1(VALU_DEP_4)
	v_fma_f64 v[10:11], v[85:86], v[6:7], -v[10:11]
	v_fma_f64 v[6:7], v[87:88], v[6:7], v[8:9]
	s_delay_alu instid0(VALU_DEP_4) | instskip(NEXT) | instid1(VALU_DEP_4)
	v_fma_f64 v[3:4], v[3:4], v[77:78], v[89:90]
	v_fma_f64 v[1:2], v[1:2], v[77:78], -v[79:80]
	s_delay_alu instid0(VALU_DEP_4) | instskip(NEXT) | instid1(VALU_DEP_4)
	v_add_f64_e32 v[8:9], 0, v[10:11]
	v_add_f64_e32 v[6:7], 0, v[6:7]
	s_delay_alu instid0(VALU_DEP_2) | instskip(NEXT) | instid1(VALU_DEP_2)
	v_add_f64_e32 v[1:2], v[8:9], v[1:2]
	v_add_f64_e32 v[3:4], v[6:7], v[3:4]
	s_wait_loadcnt 0x0
	s_delay_alu instid0(VALU_DEP_2) | instskip(NEXT) | instid1(VALU_DEP_2)
	v_add_f64_e64 v[1:2], v[81:82], -v[1:2]
	v_add_f64_e64 v[3:4], v[83:84], -v[3:4]
	scratch_store_b128 off, v[1:4], off offset:480
	v_cmpx_lt_u32_e32 28, v0
	s_cbranch_execz .LBB95_149
; %bb.148:
	scratch_load_b128 v[1:4], off, s37
	v_mov_b32_e32 v6, 0
	s_delay_alu instid0(VALU_DEP_1)
	v_dual_mov_b32 v7, v6 :: v_dual_mov_b32 v8, v6
	v_mov_b32_e32 v9, v6
	scratch_store_b128 off, v[6:9], off offset:464
	s_wait_loadcnt 0x0
	ds_store_b128 v5, v[1:4]
.LBB95_149:
	s_wait_alu 0xfffe
	s_or_b32 exec_lo, exec_lo, s0
	s_wait_storecnt_dscnt 0x0
	s_barrier_signal -1
	s_barrier_wait -1
	global_inv scope:SCOPE_SE
	s_clause 0x3
	scratch_load_b128 v[6:9], off, off offset:480
	scratch_load_b128 v[77:80], off, off offset:496
	;; [unrolled: 1-line block ×4, first 2 shown]
	v_mov_b32_e32 v1, 0
	ds_load_b128 v[89:92], v1 offset:976
	ds_load_b128 v[93:96], v1 offset:992
	s_mov_b32 s0, exec_lo
	s_wait_loadcnt_dscnt 0x301
	v_mul_f64_e32 v[2:3], v[91:92], v[8:9]
	v_mul_f64_e32 v[8:9], v[89:90], v[8:9]
	s_wait_loadcnt_dscnt 0x200
	v_mul_f64_e32 v[10:11], v[93:94], v[79:80]
	v_mul_f64_e32 v[79:80], v[95:96], v[79:80]
	s_delay_alu instid0(VALU_DEP_4) | instskip(NEXT) | instid1(VALU_DEP_4)
	v_fma_f64 v[2:3], v[89:90], v[6:7], -v[2:3]
	v_fma_f64 v[89:90], v[91:92], v[6:7], v[8:9]
	ds_load_b128 v[6:9], v1 offset:1008
	v_fma_f64 v[10:11], v[95:96], v[77:78], v[10:11]
	v_fma_f64 v[77:78], v[93:94], v[77:78], -v[79:80]
	s_wait_loadcnt_dscnt 0x100
	v_mul_f64_e32 v[91:92], v[6:7], v[83:84]
	v_mul_f64_e32 v[83:84], v[8:9], v[83:84]
	v_add_f64_e32 v[2:3], 0, v[2:3]
	v_add_f64_e32 v[79:80], 0, v[89:90]
	s_delay_alu instid0(VALU_DEP_4) | instskip(NEXT) | instid1(VALU_DEP_4)
	v_fma_f64 v[8:9], v[8:9], v[81:82], v[91:92]
	v_fma_f64 v[6:7], v[6:7], v[81:82], -v[83:84]
	s_delay_alu instid0(VALU_DEP_4) | instskip(NEXT) | instid1(VALU_DEP_4)
	v_add_f64_e32 v[2:3], v[2:3], v[77:78]
	v_add_f64_e32 v[10:11], v[79:80], v[10:11]
	s_delay_alu instid0(VALU_DEP_2) | instskip(NEXT) | instid1(VALU_DEP_2)
	v_add_f64_e32 v[2:3], v[2:3], v[6:7]
	v_add_f64_e32 v[8:9], v[10:11], v[8:9]
	s_wait_loadcnt 0x0
	s_delay_alu instid0(VALU_DEP_2) | instskip(NEXT) | instid1(VALU_DEP_2)
	v_add_f64_e64 v[6:7], v[85:86], -v[2:3]
	v_add_f64_e64 v[8:9], v[87:88], -v[8:9]
	scratch_store_b128 off, v[6:9], off offset:464
	v_cmpx_lt_u32_e32 27, v0
	s_cbranch_execz .LBB95_151
; %bb.150:
	scratch_load_b128 v[6:9], off, s20
	v_dual_mov_b32 v2, v1 :: v_dual_mov_b32 v3, v1
	v_mov_b32_e32 v4, v1
	scratch_store_b128 off, v[1:4], off offset:448
	s_wait_loadcnt 0x0
	ds_store_b128 v5, v[6:9]
.LBB95_151:
	s_wait_alu 0xfffe
	s_or_b32 exec_lo, exec_lo, s0
	s_wait_storecnt_dscnt 0x0
	s_barrier_signal -1
	s_barrier_wait -1
	global_inv scope:SCOPE_SE
	s_clause 0x4
	scratch_load_b128 v[6:9], off, off offset:464
	scratch_load_b128 v[77:80], off, off offset:480
	;; [unrolled: 1-line block ×5, first 2 shown]
	ds_load_b128 v[93:96], v1 offset:960
	ds_load_b128 v[97:100], v1 offset:976
	s_mov_b32 s0, exec_lo
	s_wait_loadcnt_dscnt 0x401
	v_mul_f64_e32 v[2:3], v[95:96], v[8:9]
	v_mul_f64_e32 v[8:9], v[93:94], v[8:9]
	s_wait_loadcnt_dscnt 0x300
	v_mul_f64_e32 v[10:11], v[97:98], v[79:80]
	v_mul_f64_e32 v[79:80], v[99:100], v[79:80]
	s_delay_alu instid0(VALU_DEP_4) | instskip(NEXT) | instid1(VALU_DEP_4)
	v_fma_f64 v[93:94], v[93:94], v[6:7], -v[2:3]
	v_fma_f64 v[95:96], v[95:96], v[6:7], v[8:9]
	ds_load_b128 v[6:9], v1 offset:992
	ds_load_b128 v[1:4], v1 offset:1008
	v_fma_f64 v[10:11], v[99:100], v[77:78], v[10:11]
	v_fma_f64 v[77:78], v[97:98], v[77:78], -v[79:80]
	s_wait_loadcnt_dscnt 0x201
	v_mul_f64_e32 v[101:102], v[6:7], v[83:84]
	v_mul_f64_e32 v[83:84], v[8:9], v[83:84]
	v_add_f64_e32 v[79:80], 0, v[93:94]
	v_add_f64_e32 v[93:94], 0, v[95:96]
	s_wait_loadcnt_dscnt 0x100
	v_mul_f64_e32 v[95:96], v[1:2], v[87:88]
	v_mul_f64_e32 v[87:88], v[3:4], v[87:88]
	v_fma_f64 v[8:9], v[8:9], v[81:82], v[101:102]
	v_fma_f64 v[6:7], v[6:7], v[81:82], -v[83:84]
	v_add_f64_e32 v[77:78], v[79:80], v[77:78]
	v_add_f64_e32 v[10:11], v[93:94], v[10:11]
	v_fma_f64 v[3:4], v[3:4], v[85:86], v[95:96]
	v_fma_f64 v[1:2], v[1:2], v[85:86], -v[87:88]
	s_delay_alu instid0(VALU_DEP_4) | instskip(NEXT) | instid1(VALU_DEP_4)
	v_add_f64_e32 v[6:7], v[77:78], v[6:7]
	v_add_f64_e32 v[8:9], v[10:11], v[8:9]
	s_delay_alu instid0(VALU_DEP_2) | instskip(NEXT) | instid1(VALU_DEP_2)
	v_add_f64_e32 v[1:2], v[6:7], v[1:2]
	v_add_f64_e32 v[3:4], v[8:9], v[3:4]
	s_wait_loadcnt 0x0
	s_delay_alu instid0(VALU_DEP_2) | instskip(NEXT) | instid1(VALU_DEP_2)
	v_add_f64_e64 v[1:2], v[89:90], -v[1:2]
	v_add_f64_e64 v[3:4], v[91:92], -v[3:4]
	scratch_store_b128 off, v[1:4], off offset:448
	v_cmpx_lt_u32_e32 26, v0
	s_cbranch_execz .LBB95_153
; %bb.152:
	scratch_load_b128 v[1:4], off, s36
	v_mov_b32_e32 v6, 0
	s_delay_alu instid0(VALU_DEP_1)
	v_dual_mov_b32 v7, v6 :: v_dual_mov_b32 v8, v6
	v_mov_b32_e32 v9, v6
	scratch_store_b128 off, v[6:9], off offset:432
	s_wait_loadcnt 0x0
	ds_store_b128 v5, v[1:4]
.LBB95_153:
	s_wait_alu 0xfffe
	s_or_b32 exec_lo, exec_lo, s0
	s_wait_storecnt_dscnt 0x0
	s_barrier_signal -1
	s_barrier_wait -1
	global_inv scope:SCOPE_SE
	s_clause 0x5
	scratch_load_b128 v[6:9], off, off offset:448
	scratch_load_b128 v[77:80], off, off offset:464
	;; [unrolled: 1-line block ×6, first 2 shown]
	v_mov_b32_e32 v1, 0
	ds_load_b128 v[97:100], v1 offset:944
	ds_load_b128 v[101:104], v1 offset:960
	s_mov_b32 s0, exec_lo
	s_wait_loadcnt_dscnt 0x501
	v_mul_f64_e32 v[2:3], v[99:100], v[8:9]
	v_mul_f64_e32 v[8:9], v[97:98], v[8:9]
	s_wait_loadcnt_dscnt 0x400
	v_mul_f64_e32 v[10:11], v[101:102], v[79:80]
	v_mul_f64_e32 v[79:80], v[103:104], v[79:80]
	s_delay_alu instid0(VALU_DEP_4) | instskip(NEXT) | instid1(VALU_DEP_4)
	v_fma_f64 v[2:3], v[97:98], v[6:7], -v[2:3]
	v_fma_f64 v[105:106], v[99:100], v[6:7], v[8:9]
	ds_load_b128 v[6:9], v1 offset:976
	ds_load_b128 v[97:100], v1 offset:992
	v_fma_f64 v[10:11], v[103:104], v[77:78], v[10:11]
	v_fma_f64 v[77:78], v[101:102], v[77:78], -v[79:80]
	s_wait_loadcnt_dscnt 0x301
	v_mul_f64_e32 v[107:108], v[6:7], v[83:84]
	v_mul_f64_e32 v[83:84], v[8:9], v[83:84]
	s_wait_loadcnt_dscnt 0x200
	v_mul_f64_e32 v[101:102], v[97:98], v[87:88]
	v_mul_f64_e32 v[87:88], v[99:100], v[87:88]
	v_add_f64_e32 v[2:3], 0, v[2:3]
	v_add_f64_e32 v[79:80], 0, v[105:106]
	v_fma_f64 v[103:104], v[8:9], v[81:82], v[107:108]
	v_fma_f64 v[81:82], v[6:7], v[81:82], -v[83:84]
	ds_load_b128 v[6:9], v1 offset:1008
	v_fma_f64 v[83:84], v[99:100], v[85:86], v[101:102]
	v_fma_f64 v[85:86], v[97:98], v[85:86], -v[87:88]
	v_add_f64_e32 v[2:3], v[2:3], v[77:78]
	v_add_f64_e32 v[10:11], v[79:80], v[10:11]
	s_wait_loadcnt_dscnt 0x100
	v_mul_f64_e32 v[77:78], v[6:7], v[91:92]
	v_mul_f64_e32 v[79:80], v[8:9], v[91:92]
	s_delay_alu instid0(VALU_DEP_4) | instskip(NEXT) | instid1(VALU_DEP_4)
	v_add_f64_e32 v[2:3], v[2:3], v[81:82]
	v_add_f64_e32 v[10:11], v[10:11], v[103:104]
	s_delay_alu instid0(VALU_DEP_4) | instskip(NEXT) | instid1(VALU_DEP_4)
	v_fma_f64 v[8:9], v[8:9], v[89:90], v[77:78]
	v_fma_f64 v[6:7], v[6:7], v[89:90], -v[79:80]
	s_delay_alu instid0(VALU_DEP_4) | instskip(NEXT) | instid1(VALU_DEP_4)
	v_add_f64_e32 v[2:3], v[2:3], v[85:86]
	v_add_f64_e32 v[10:11], v[10:11], v[83:84]
	s_delay_alu instid0(VALU_DEP_2) | instskip(NEXT) | instid1(VALU_DEP_2)
	v_add_f64_e32 v[2:3], v[2:3], v[6:7]
	v_add_f64_e32 v[8:9], v[10:11], v[8:9]
	s_wait_loadcnt 0x0
	s_delay_alu instid0(VALU_DEP_2) | instskip(NEXT) | instid1(VALU_DEP_2)
	v_add_f64_e64 v[6:7], v[93:94], -v[2:3]
	v_add_f64_e64 v[8:9], v[95:96], -v[8:9]
	scratch_store_b128 off, v[6:9], off offset:432
	v_cmpx_lt_u32_e32 25, v0
	s_cbranch_execz .LBB95_155
; %bb.154:
	scratch_load_b128 v[6:9], off, s19
	v_dual_mov_b32 v2, v1 :: v_dual_mov_b32 v3, v1
	v_mov_b32_e32 v4, v1
	scratch_store_b128 off, v[1:4], off offset:416
	s_wait_loadcnt 0x0
	ds_store_b128 v5, v[6:9]
.LBB95_155:
	s_wait_alu 0xfffe
	s_or_b32 exec_lo, exec_lo, s0
	s_wait_storecnt_dscnt 0x0
	s_barrier_signal -1
	s_barrier_wait -1
	global_inv scope:SCOPE_SE
	s_clause 0x5
	scratch_load_b128 v[6:9], off, off offset:432
	scratch_load_b128 v[77:80], off, off offset:448
	scratch_load_b128 v[81:84], off, off offset:464
	scratch_load_b128 v[85:88], off, off offset:480
	scratch_load_b128 v[89:92], off, off offset:496
	scratch_load_b128 v[93:96], off, off offset:512
	ds_load_b128 v[97:100], v1 offset:928
	ds_load_b128 v[105:108], v1 offset:944
	scratch_load_b128 v[101:104], off, off offset:416
	s_mov_b32 s0, exec_lo
	s_wait_loadcnt_dscnt 0x601
	v_mul_f64_e32 v[2:3], v[99:100], v[8:9]
	v_mul_f64_e32 v[8:9], v[97:98], v[8:9]
	s_wait_loadcnt_dscnt 0x500
	v_mul_f64_e32 v[10:11], v[105:106], v[79:80]
	v_mul_f64_e32 v[79:80], v[107:108], v[79:80]
	s_delay_alu instid0(VALU_DEP_4) | instskip(NEXT) | instid1(VALU_DEP_4)
	v_fma_f64 v[2:3], v[97:98], v[6:7], -v[2:3]
	v_fma_f64 v[109:110], v[99:100], v[6:7], v[8:9]
	ds_load_b128 v[6:9], v1 offset:960
	ds_load_b128 v[97:100], v1 offset:976
	v_fma_f64 v[10:11], v[107:108], v[77:78], v[10:11]
	v_fma_f64 v[77:78], v[105:106], v[77:78], -v[79:80]
	s_wait_loadcnt_dscnt 0x401
	v_mul_f64_e32 v[111:112], v[6:7], v[83:84]
	v_mul_f64_e32 v[83:84], v[8:9], v[83:84]
	s_wait_loadcnt_dscnt 0x300
	v_mul_f64_e32 v[105:106], v[97:98], v[87:88]
	v_mul_f64_e32 v[87:88], v[99:100], v[87:88]
	v_add_f64_e32 v[2:3], 0, v[2:3]
	v_add_f64_e32 v[79:80], 0, v[109:110]
	v_fma_f64 v[107:108], v[8:9], v[81:82], v[111:112]
	v_fma_f64 v[81:82], v[6:7], v[81:82], -v[83:84]
	s_delay_alu instid0(VALU_DEP_4) | instskip(NEXT) | instid1(VALU_DEP_4)
	v_add_f64_e32 v[77:78], v[2:3], v[77:78]
	v_add_f64_e32 v[10:11], v[79:80], v[10:11]
	ds_load_b128 v[6:9], v1 offset:992
	ds_load_b128 v[1:4], v1 offset:1008
	s_wait_loadcnt_dscnt 0x201
	v_mul_f64_e32 v[79:80], v[6:7], v[91:92]
	v_mul_f64_e32 v[83:84], v[8:9], v[91:92]
	v_fma_f64 v[91:92], v[99:100], v[85:86], v[105:106]
	v_fma_f64 v[85:86], v[97:98], v[85:86], -v[87:88]
	s_wait_loadcnt_dscnt 0x100
	v_mul_f64_e32 v[87:88], v[3:4], v[95:96]
	v_add_f64_e32 v[77:78], v[77:78], v[81:82]
	v_add_f64_e32 v[10:11], v[10:11], v[107:108]
	v_mul_f64_e32 v[81:82], v[1:2], v[95:96]
	v_fma_f64 v[8:9], v[8:9], v[89:90], v[79:80]
	v_fma_f64 v[6:7], v[6:7], v[89:90], -v[83:84]
	v_fma_f64 v[1:2], v[1:2], v[93:94], -v[87:88]
	v_add_f64_e32 v[77:78], v[77:78], v[85:86]
	v_add_f64_e32 v[10:11], v[10:11], v[91:92]
	v_fma_f64 v[3:4], v[3:4], v[93:94], v[81:82]
	s_delay_alu instid0(VALU_DEP_3) | instskip(NEXT) | instid1(VALU_DEP_3)
	v_add_f64_e32 v[6:7], v[77:78], v[6:7]
	v_add_f64_e32 v[8:9], v[10:11], v[8:9]
	s_delay_alu instid0(VALU_DEP_2) | instskip(NEXT) | instid1(VALU_DEP_2)
	v_add_f64_e32 v[1:2], v[6:7], v[1:2]
	v_add_f64_e32 v[3:4], v[8:9], v[3:4]
	s_wait_loadcnt 0x0
	s_delay_alu instid0(VALU_DEP_2) | instskip(NEXT) | instid1(VALU_DEP_2)
	v_add_f64_e64 v[1:2], v[101:102], -v[1:2]
	v_add_f64_e64 v[3:4], v[103:104], -v[3:4]
	scratch_store_b128 off, v[1:4], off offset:416
	v_cmpx_lt_u32_e32 24, v0
	s_cbranch_execz .LBB95_157
; %bb.156:
	scratch_load_b128 v[1:4], off, s35
	v_mov_b32_e32 v6, 0
	s_delay_alu instid0(VALU_DEP_1)
	v_dual_mov_b32 v7, v6 :: v_dual_mov_b32 v8, v6
	v_mov_b32_e32 v9, v6
	scratch_store_b128 off, v[6:9], off offset:400
	s_wait_loadcnt 0x0
	ds_store_b128 v5, v[1:4]
.LBB95_157:
	s_wait_alu 0xfffe
	s_or_b32 exec_lo, exec_lo, s0
	s_wait_storecnt_dscnt 0x0
	s_barrier_signal -1
	s_barrier_wait -1
	global_inv scope:SCOPE_SE
	s_clause 0x6
	scratch_load_b128 v[6:9], off, off offset:416
	scratch_load_b128 v[77:80], off, off offset:432
	;; [unrolled: 1-line block ×7, first 2 shown]
	v_mov_b32_e32 v1, 0
	scratch_load_b128 v[105:108], off, off offset:400
	s_mov_b32 s0, exec_lo
	ds_load_b128 v[101:104], v1 offset:912
	ds_load_b128 v[109:112], v1 offset:928
	s_wait_loadcnt_dscnt 0x701
	v_mul_f64_e32 v[2:3], v[103:104], v[8:9]
	v_mul_f64_e32 v[8:9], v[101:102], v[8:9]
	s_wait_loadcnt_dscnt 0x600
	v_mul_f64_e32 v[10:11], v[109:110], v[79:80]
	v_mul_f64_e32 v[79:80], v[111:112], v[79:80]
	s_delay_alu instid0(VALU_DEP_4) | instskip(NEXT) | instid1(VALU_DEP_4)
	v_fma_f64 v[2:3], v[101:102], v[6:7], -v[2:3]
	v_fma_f64 v[113:114], v[103:104], v[6:7], v[8:9]
	ds_load_b128 v[6:9], v1 offset:944
	ds_load_b128 v[101:104], v1 offset:960
	v_fma_f64 v[10:11], v[111:112], v[77:78], v[10:11]
	v_fma_f64 v[77:78], v[109:110], v[77:78], -v[79:80]
	s_wait_loadcnt_dscnt 0x501
	v_mul_f64_e32 v[115:116], v[6:7], v[83:84]
	v_mul_f64_e32 v[83:84], v[8:9], v[83:84]
	s_wait_loadcnt_dscnt 0x400
	v_mul_f64_e32 v[109:110], v[101:102], v[87:88]
	v_mul_f64_e32 v[87:88], v[103:104], v[87:88]
	v_add_f64_e32 v[2:3], 0, v[2:3]
	v_add_f64_e32 v[79:80], 0, v[113:114]
	v_fma_f64 v[111:112], v[8:9], v[81:82], v[115:116]
	v_fma_f64 v[81:82], v[6:7], v[81:82], -v[83:84]
	v_fma_f64 v[103:104], v[103:104], v[85:86], v[109:110]
	v_fma_f64 v[85:86], v[101:102], v[85:86], -v[87:88]
	v_add_f64_e32 v[2:3], v[2:3], v[77:78]
	v_add_f64_e32 v[10:11], v[79:80], v[10:11]
	ds_load_b128 v[6:9], v1 offset:976
	ds_load_b128 v[77:80], v1 offset:992
	s_wait_loadcnt_dscnt 0x301
	v_mul_f64_e32 v[83:84], v[6:7], v[91:92]
	v_mul_f64_e32 v[91:92], v[8:9], v[91:92]
	s_wait_loadcnt_dscnt 0x200
	v_mul_f64_e32 v[87:88], v[79:80], v[95:96]
	v_add_f64_e32 v[2:3], v[2:3], v[81:82]
	v_add_f64_e32 v[10:11], v[10:11], v[111:112]
	v_mul_f64_e32 v[81:82], v[77:78], v[95:96]
	v_fma_f64 v[83:84], v[8:9], v[89:90], v[83:84]
	v_fma_f64 v[89:90], v[6:7], v[89:90], -v[91:92]
	ds_load_b128 v[6:9], v1 offset:1008
	v_fma_f64 v[77:78], v[77:78], v[93:94], -v[87:88]
	v_add_f64_e32 v[2:3], v[2:3], v[85:86]
	v_add_f64_e32 v[10:11], v[10:11], v[103:104]
	v_fma_f64 v[79:80], v[79:80], v[93:94], v[81:82]
	s_wait_loadcnt_dscnt 0x100
	v_mul_f64_e32 v[85:86], v[6:7], v[99:100]
	v_mul_f64_e32 v[91:92], v[8:9], v[99:100]
	v_add_f64_e32 v[2:3], v[2:3], v[89:90]
	v_add_f64_e32 v[10:11], v[10:11], v[83:84]
	s_delay_alu instid0(VALU_DEP_4) | instskip(NEXT) | instid1(VALU_DEP_4)
	v_fma_f64 v[8:9], v[8:9], v[97:98], v[85:86]
	v_fma_f64 v[6:7], v[6:7], v[97:98], -v[91:92]
	s_delay_alu instid0(VALU_DEP_4) | instskip(NEXT) | instid1(VALU_DEP_4)
	v_add_f64_e32 v[2:3], v[2:3], v[77:78]
	v_add_f64_e32 v[10:11], v[10:11], v[79:80]
	s_delay_alu instid0(VALU_DEP_2) | instskip(NEXT) | instid1(VALU_DEP_2)
	v_add_f64_e32 v[2:3], v[2:3], v[6:7]
	v_add_f64_e32 v[8:9], v[10:11], v[8:9]
	s_wait_loadcnt 0x0
	s_delay_alu instid0(VALU_DEP_2) | instskip(NEXT) | instid1(VALU_DEP_2)
	v_add_f64_e64 v[6:7], v[105:106], -v[2:3]
	v_add_f64_e64 v[8:9], v[107:108], -v[8:9]
	scratch_store_b128 off, v[6:9], off offset:400
	v_cmpx_lt_u32_e32 23, v0
	s_cbranch_execz .LBB95_159
; %bb.158:
	scratch_load_b128 v[6:9], off, s18
	v_dual_mov_b32 v2, v1 :: v_dual_mov_b32 v3, v1
	v_mov_b32_e32 v4, v1
	scratch_store_b128 off, v[1:4], off offset:384
	s_wait_loadcnt 0x0
	ds_store_b128 v5, v[6:9]
.LBB95_159:
	s_wait_alu 0xfffe
	s_or_b32 exec_lo, exec_lo, s0
	s_wait_storecnt_dscnt 0x0
	s_barrier_signal -1
	s_barrier_wait -1
	global_inv scope:SCOPE_SE
	s_clause 0x7
	scratch_load_b128 v[6:9], off, off offset:400
	scratch_load_b128 v[77:80], off, off offset:416
	;; [unrolled: 1-line block ×8, first 2 shown]
	ds_load_b128 v[105:108], v1 offset:896
	ds_load_b128 v[109:112], v1 offset:912
	scratch_load_b128 v[113:116], off, off offset:384
	s_mov_b32 s0, exec_lo
	s_wait_loadcnt_dscnt 0x801
	v_mul_f64_e32 v[2:3], v[107:108], v[8:9]
	v_mul_f64_e32 v[8:9], v[105:106], v[8:9]
	s_wait_loadcnt_dscnt 0x700
	v_mul_f64_e32 v[10:11], v[109:110], v[79:80]
	v_mul_f64_e32 v[79:80], v[111:112], v[79:80]
	s_delay_alu instid0(VALU_DEP_4) | instskip(NEXT) | instid1(VALU_DEP_4)
	v_fma_f64 v[2:3], v[105:106], v[6:7], -v[2:3]
	v_fma_f64 v[117:118], v[107:108], v[6:7], v[8:9]
	ds_load_b128 v[6:9], v1 offset:928
	ds_load_b128 v[105:108], v1 offset:944
	v_fma_f64 v[10:11], v[111:112], v[77:78], v[10:11]
	v_fma_f64 v[77:78], v[109:110], v[77:78], -v[79:80]
	s_wait_loadcnt_dscnt 0x601
	v_mul_f64_e32 v[119:120], v[6:7], v[83:84]
	v_mul_f64_e32 v[83:84], v[8:9], v[83:84]
	s_wait_loadcnt_dscnt 0x500
	v_mul_f64_e32 v[109:110], v[105:106], v[87:88]
	v_mul_f64_e32 v[87:88], v[107:108], v[87:88]
	v_add_f64_e32 v[2:3], 0, v[2:3]
	v_add_f64_e32 v[79:80], 0, v[117:118]
	v_fma_f64 v[111:112], v[8:9], v[81:82], v[119:120]
	v_fma_f64 v[81:82], v[6:7], v[81:82], -v[83:84]
	v_fma_f64 v[107:108], v[107:108], v[85:86], v[109:110]
	v_fma_f64 v[85:86], v[105:106], v[85:86], -v[87:88]
	v_add_f64_e32 v[2:3], v[2:3], v[77:78]
	v_add_f64_e32 v[10:11], v[79:80], v[10:11]
	ds_load_b128 v[6:9], v1 offset:960
	ds_load_b128 v[77:80], v1 offset:976
	s_wait_loadcnt_dscnt 0x401
	v_mul_f64_e32 v[83:84], v[6:7], v[91:92]
	v_mul_f64_e32 v[91:92], v[8:9], v[91:92]
	s_wait_loadcnt_dscnt 0x300
	v_mul_f64_e32 v[87:88], v[79:80], v[95:96]
	v_add_f64_e32 v[2:3], v[2:3], v[81:82]
	v_add_f64_e32 v[10:11], v[10:11], v[111:112]
	v_mul_f64_e32 v[81:82], v[77:78], v[95:96]
	v_fma_f64 v[83:84], v[8:9], v[89:90], v[83:84]
	v_fma_f64 v[89:90], v[6:7], v[89:90], -v[91:92]
	v_fma_f64 v[77:78], v[77:78], v[93:94], -v[87:88]
	v_add_f64_e32 v[85:86], v[2:3], v[85:86]
	v_add_f64_e32 v[10:11], v[10:11], v[107:108]
	ds_load_b128 v[6:9], v1 offset:992
	ds_load_b128 v[1:4], v1 offset:1008
	v_fma_f64 v[79:80], v[79:80], v[93:94], v[81:82]
	s_wait_loadcnt_dscnt 0x201
	v_mul_f64_e32 v[91:92], v[6:7], v[99:100]
	v_mul_f64_e32 v[95:96], v[8:9], v[99:100]
	v_add_f64_e32 v[81:82], v[85:86], v[89:90]
	v_add_f64_e32 v[10:11], v[10:11], v[83:84]
	s_wait_loadcnt_dscnt 0x100
	v_mul_f64_e32 v[83:84], v[1:2], v[103:104]
	v_mul_f64_e32 v[85:86], v[3:4], v[103:104]
	v_fma_f64 v[8:9], v[8:9], v[97:98], v[91:92]
	v_fma_f64 v[6:7], v[6:7], v[97:98], -v[95:96]
	v_add_f64_e32 v[77:78], v[81:82], v[77:78]
	v_add_f64_e32 v[10:11], v[10:11], v[79:80]
	v_fma_f64 v[3:4], v[3:4], v[101:102], v[83:84]
	v_fma_f64 v[1:2], v[1:2], v[101:102], -v[85:86]
	s_delay_alu instid0(VALU_DEP_4) | instskip(NEXT) | instid1(VALU_DEP_4)
	v_add_f64_e32 v[6:7], v[77:78], v[6:7]
	v_add_f64_e32 v[8:9], v[10:11], v[8:9]
	s_delay_alu instid0(VALU_DEP_2) | instskip(NEXT) | instid1(VALU_DEP_2)
	v_add_f64_e32 v[1:2], v[6:7], v[1:2]
	v_add_f64_e32 v[3:4], v[8:9], v[3:4]
	s_wait_loadcnt 0x0
	s_delay_alu instid0(VALU_DEP_2) | instskip(NEXT) | instid1(VALU_DEP_2)
	v_add_f64_e64 v[1:2], v[113:114], -v[1:2]
	v_add_f64_e64 v[3:4], v[115:116], -v[3:4]
	scratch_store_b128 off, v[1:4], off offset:384
	v_cmpx_lt_u32_e32 22, v0
	s_cbranch_execz .LBB95_161
; %bb.160:
	scratch_load_b128 v[1:4], off, s34
	v_mov_b32_e32 v6, 0
	s_delay_alu instid0(VALU_DEP_1)
	v_dual_mov_b32 v7, v6 :: v_dual_mov_b32 v8, v6
	v_mov_b32_e32 v9, v6
	scratch_store_b128 off, v[6:9], off offset:368
	s_wait_loadcnt 0x0
	ds_store_b128 v5, v[1:4]
.LBB95_161:
	s_wait_alu 0xfffe
	s_or_b32 exec_lo, exec_lo, s0
	s_wait_storecnt_dscnt 0x0
	s_barrier_signal -1
	s_barrier_wait -1
	global_inv scope:SCOPE_SE
	s_clause 0x7
	scratch_load_b128 v[6:9], off, off offset:384
	scratch_load_b128 v[77:80], off, off offset:400
	;; [unrolled: 1-line block ×8, first 2 shown]
	v_mov_b32_e32 v1, 0
	s_mov_b32 s0, exec_lo
	ds_load_b128 v[105:108], v1 offset:880
	s_clause 0x1
	scratch_load_b128 v[109:112], off, off offset:512
	scratch_load_b128 v[113:116], off, off offset:368
	ds_load_b128 v[117:120], v1 offset:896
	s_wait_loadcnt_dscnt 0x901
	v_mul_f64_e32 v[2:3], v[107:108], v[8:9]
	v_mul_f64_e32 v[8:9], v[105:106], v[8:9]
	s_wait_loadcnt_dscnt 0x800
	v_mul_f64_e32 v[10:11], v[117:118], v[79:80]
	v_mul_f64_e32 v[79:80], v[119:120], v[79:80]
	s_delay_alu instid0(VALU_DEP_4) | instskip(NEXT) | instid1(VALU_DEP_4)
	v_fma_f64 v[2:3], v[105:106], v[6:7], -v[2:3]
	v_fma_f64 v[121:122], v[107:108], v[6:7], v[8:9]
	ds_load_b128 v[6:9], v1 offset:912
	ds_load_b128 v[105:108], v1 offset:928
	v_fma_f64 v[10:11], v[119:120], v[77:78], v[10:11]
	v_fma_f64 v[77:78], v[117:118], v[77:78], -v[79:80]
	s_wait_loadcnt_dscnt 0x701
	v_mul_f64_e32 v[123:124], v[6:7], v[83:84]
	v_mul_f64_e32 v[83:84], v[8:9], v[83:84]
	s_wait_loadcnt_dscnt 0x600
	v_mul_f64_e32 v[117:118], v[105:106], v[87:88]
	v_mul_f64_e32 v[87:88], v[107:108], v[87:88]
	v_add_f64_e32 v[2:3], 0, v[2:3]
	v_add_f64_e32 v[79:80], 0, v[121:122]
	v_fma_f64 v[119:120], v[8:9], v[81:82], v[123:124]
	v_fma_f64 v[81:82], v[6:7], v[81:82], -v[83:84]
	v_fma_f64 v[107:108], v[107:108], v[85:86], v[117:118]
	v_fma_f64 v[85:86], v[105:106], v[85:86], -v[87:88]
	v_add_f64_e32 v[2:3], v[2:3], v[77:78]
	v_add_f64_e32 v[10:11], v[79:80], v[10:11]
	ds_load_b128 v[6:9], v1 offset:944
	ds_load_b128 v[77:80], v1 offset:960
	s_wait_loadcnt_dscnt 0x501
	v_mul_f64_e32 v[83:84], v[6:7], v[91:92]
	v_mul_f64_e32 v[91:92], v[8:9], v[91:92]
	s_wait_loadcnt_dscnt 0x400
	v_mul_f64_e32 v[87:88], v[77:78], v[95:96]
	v_mul_f64_e32 v[95:96], v[79:80], v[95:96]
	v_add_f64_e32 v[2:3], v[2:3], v[81:82]
	v_add_f64_e32 v[10:11], v[10:11], v[119:120]
	v_fma_f64 v[105:106], v[8:9], v[89:90], v[83:84]
	v_fma_f64 v[89:90], v[6:7], v[89:90], -v[91:92]
	ds_load_b128 v[6:9], v1 offset:976
	ds_load_b128 v[81:84], v1 offset:992
	v_fma_f64 v[79:80], v[79:80], v[93:94], v[87:88]
	v_fma_f64 v[77:78], v[77:78], v[93:94], -v[95:96]
	v_add_f64_e32 v[2:3], v[2:3], v[85:86]
	v_add_f64_e32 v[10:11], v[10:11], v[107:108]
	s_wait_loadcnt_dscnt 0x301
	v_mul_f64_e32 v[85:86], v[6:7], v[99:100]
	v_mul_f64_e32 v[91:92], v[8:9], v[99:100]
	s_wait_loadcnt_dscnt 0x200
	v_mul_f64_e32 v[87:88], v[81:82], v[103:104]
	v_add_f64_e32 v[2:3], v[2:3], v[89:90]
	v_add_f64_e32 v[10:11], v[10:11], v[105:106]
	v_mul_f64_e32 v[89:90], v[83:84], v[103:104]
	v_fma_f64 v[85:86], v[8:9], v[97:98], v[85:86]
	v_fma_f64 v[91:92], v[6:7], v[97:98], -v[91:92]
	ds_load_b128 v[6:9], v1 offset:1008
	v_fma_f64 v[83:84], v[83:84], v[101:102], v[87:88]
	v_add_f64_e32 v[2:3], v[2:3], v[77:78]
	v_add_f64_e32 v[10:11], v[10:11], v[79:80]
	s_wait_loadcnt_dscnt 0x100
	v_mul_f64_e32 v[77:78], v[6:7], v[111:112]
	v_mul_f64_e32 v[79:80], v[8:9], v[111:112]
	v_fma_f64 v[81:82], v[81:82], v[101:102], -v[89:90]
	v_add_f64_e32 v[2:3], v[2:3], v[91:92]
	v_add_f64_e32 v[10:11], v[10:11], v[85:86]
	v_fma_f64 v[8:9], v[8:9], v[109:110], v[77:78]
	v_fma_f64 v[6:7], v[6:7], v[109:110], -v[79:80]
	s_delay_alu instid0(VALU_DEP_4) | instskip(NEXT) | instid1(VALU_DEP_4)
	v_add_f64_e32 v[2:3], v[2:3], v[81:82]
	v_add_f64_e32 v[10:11], v[10:11], v[83:84]
	s_delay_alu instid0(VALU_DEP_2) | instskip(NEXT) | instid1(VALU_DEP_2)
	v_add_f64_e32 v[2:3], v[2:3], v[6:7]
	v_add_f64_e32 v[8:9], v[10:11], v[8:9]
	s_wait_loadcnt 0x0
	s_delay_alu instid0(VALU_DEP_2) | instskip(NEXT) | instid1(VALU_DEP_2)
	v_add_f64_e64 v[6:7], v[113:114], -v[2:3]
	v_add_f64_e64 v[8:9], v[115:116], -v[8:9]
	scratch_store_b128 off, v[6:9], off offset:368
	v_cmpx_lt_u32_e32 21, v0
	s_cbranch_execz .LBB95_163
; %bb.162:
	scratch_load_b128 v[6:9], off, s17
	v_dual_mov_b32 v2, v1 :: v_dual_mov_b32 v3, v1
	v_mov_b32_e32 v4, v1
	scratch_store_b128 off, v[1:4], off offset:352
	s_wait_loadcnt 0x0
	ds_store_b128 v5, v[6:9]
.LBB95_163:
	s_wait_alu 0xfffe
	s_or_b32 exec_lo, exec_lo, s0
	s_wait_storecnt_dscnt 0x0
	s_barrier_signal -1
	s_barrier_wait -1
	global_inv scope:SCOPE_SE
	s_clause 0x8
	scratch_load_b128 v[6:9], off, off offset:368
	scratch_load_b128 v[77:80], off, off offset:384
	;; [unrolled: 1-line block ×9, first 2 shown]
	ds_load_b128 v[109:112], v1 offset:864
	ds_load_b128 v[113:116], v1 offset:880
	scratch_load_b128 v[117:120], off, off offset:352
	s_mov_b32 s0, exec_lo
	s_wait_loadcnt_dscnt 0x901
	v_mul_f64_e32 v[2:3], v[111:112], v[8:9]
	v_mul_f64_e32 v[121:122], v[109:110], v[8:9]
	scratch_load_b128 v[8:11], off, off offset:512
	s_wait_loadcnt_dscnt 0x900
	v_mul_f64_e32 v[125:126], v[113:114], v[79:80]
	v_mul_f64_e32 v[79:80], v[115:116], v[79:80]
	v_fma_f64 v[2:3], v[109:110], v[6:7], -v[2:3]
	v_fma_f64 v[6:7], v[111:112], v[6:7], v[121:122]
	ds_load_b128 v[109:112], v1 offset:896
	ds_load_b128 v[121:124], v1 offset:912
	v_fma_f64 v[115:116], v[115:116], v[77:78], v[125:126]
	v_fma_f64 v[77:78], v[113:114], v[77:78], -v[79:80]
	s_wait_loadcnt_dscnt 0x801
	v_mul_f64_e32 v[127:128], v[109:110], v[83:84]
	v_mul_f64_e32 v[83:84], v[111:112], v[83:84]
	s_wait_loadcnt_dscnt 0x700
	v_mul_f64_e32 v[113:114], v[121:122], v[87:88]
	v_mul_f64_e32 v[87:88], v[123:124], v[87:88]
	v_add_f64_e32 v[2:3], 0, v[2:3]
	v_add_f64_e32 v[6:7], 0, v[6:7]
	v_fma_f64 v[111:112], v[111:112], v[81:82], v[127:128]
	v_fma_f64 v[109:110], v[109:110], v[81:82], -v[83:84]
	v_fma_f64 v[113:114], v[123:124], v[85:86], v[113:114]
	v_fma_f64 v[85:86], v[121:122], v[85:86], -v[87:88]
	v_add_f64_e32 v[2:3], v[2:3], v[77:78]
	v_add_f64_e32 v[6:7], v[6:7], v[115:116]
	ds_load_b128 v[77:80], v1 offset:928
	ds_load_b128 v[81:84], v1 offset:944
	s_wait_loadcnt_dscnt 0x601
	v_mul_f64_e32 v[115:116], v[77:78], v[91:92]
	v_mul_f64_e32 v[91:92], v[79:80], v[91:92]
	v_add_f64_e32 v[2:3], v[2:3], v[109:110]
	v_add_f64_e32 v[6:7], v[6:7], v[111:112]
	s_wait_loadcnt_dscnt 0x500
	v_mul_f64_e32 v[109:110], v[81:82], v[95:96]
	v_mul_f64_e32 v[95:96], v[83:84], v[95:96]
	v_fma_f64 v[111:112], v[79:80], v[89:90], v[115:116]
	v_fma_f64 v[89:90], v[77:78], v[89:90], -v[91:92]
	v_add_f64_e32 v[2:3], v[2:3], v[85:86]
	v_add_f64_e32 v[6:7], v[6:7], v[113:114]
	ds_load_b128 v[77:80], v1 offset:960
	ds_load_b128 v[85:88], v1 offset:976
	v_fma_f64 v[83:84], v[83:84], v[93:94], v[109:110]
	v_fma_f64 v[81:82], v[81:82], v[93:94], -v[95:96]
	s_wait_loadcnt_dscnt 0x401
	v_mul_f64_e32 v[91:92], v[77:78], v[99:100]
	v_mul_f64_e32 v[99:100], v[79:80], v[99:100]
	s_wait_loadcnt_dscnt 0x300
	v_mul_f64_e32 v[93:94], v[87:88], v[103:104]
	v_add_f64_e32 v[2:3], v[2:3], v[89:90]
	v_add_f64_e32 v[6:7], v[6:7], v[111:112]
	v_mul_f64_e32 v[89:90], v[85:86], v[103:104]
	v_fma_f64 v[91:92], v[79:80], v[97:98], v[91:92]
	v_fma_f64 v[95:96], v[77:78], v[97:98], -v[99:100]
	v_fma_f64 v[85:86], v[85:86], v[101:102], -v[93:94]
	v_add_f64_e32 v[81:82], v[2:3], v[81:82]
	v_add_f64_e32 v[6:7], v[6:7], v[83:84]
	ds_load_b128 v[77:80], v1 offset:992
	ds_load_b128 v[1:4], v1 offset:1008
	v_fma_f64 v[87:88], v[87:88], v[101:102], v[89:90]
	s_wait_loadcnt_dscnt 0x201
	v_mul_f64_e32 v[83:84], v[77:78], v[107:108]
	v_mul_f64_e32 v[97:98], v[79:80], v[107:108]
	v_add_f64_e32 v[81:82], v[81:82], v[95:96]
	v_add_f64_e32 v[6:7], v[6:7], v[91:92]
	s_wait_loadcnt_dscnt 0x0
	v_mul_f64_e32 v[89:90], v[1:2], v[10:11]
	v_mul_f64_e32 v[10:11], v[3:4], v[10:11]
	v_fma_f64 v[79:80], v[79:80], v[105:106], v[83:84]
	v_fma_f64 v[77:78], v[77:78], v[105:106], -v[97:98]
	v_add_f64_e32 v[81:82], v[81:82], v[85:86]
	v_add_f64_e32 v[6:7], v[6:7], v[87:88]
	v_fma_f64 v[3:4], v[3:4], v[8:9], v[89:90]
	v_fma_f64 v[1:2], v[1:2], v[8:9], -v[10:11]
	s_delay_alu instid0(VALU_DEP_4) | instskip(NEXT) | instid1(VALU_DEP_4)
	v_add_f64_e32 v[8:9], v[81:82], v[77:78]
	v_add_f64_e32 v[6:7], v[6:7], v[79:80]
	s_delay_alu instid0(VALU_DEP_2) | instskip(NEXT) | instid1(VALU_DEP_2)
	v_add_f64_e32 v[1:2], v[8:9], v[1:2]
	v_add_f64_e32 v[3:4], v[6:7], v[3:4]
	s_delay_alu instid0(VALU_DEP_2) | instskip(NEXT) | instid1(VALU_DEP_2)
	v_add_f64_e64 v[1:2], v[117:118], -v[1:2]
	v_add_f64_e64 v[3:4], v[119:120], -v[3:4]
	scratch_store_b128 off, v[1:4], off offset:352
	v_cmpx_lt_u32_e32 20, v0
	s_cbranch_execz .LBB95_165
; %bb.164:
	scratch_load_b128 v[1:4], off, s33
	v_mov_b32_e32 v6, 0
	s_delay_alu instid0(VALU_DEP_1)
	v_dual_mov_b32 v7, v6 :: v_dual_mov_b32 v8, v6
	v_mov_b32_e32 v9, v6
	scratch_store_b128 off, v[6:9], off offset:336
	s_wait_loadcnt 0x0
	ds_store_b128 v5, v[1:4]
.LBB95_165:
	s_wait_alu 0xfffe
	s_or_b32 exec_lo, exec_lo, s0
	s_wait_storecnt_dscnt 0x0
	s_barrier_signal -1
	s_barrier_wait -1
	global_inv scope:SCOPE_SE
	s_clause 0x7
	scratch_load_b128 v[6:9], off, off offset:352
	scratch_load_b128 v[77:80], off, off offset:368
	;; [unrolled: 1-line block ×8, first 2 shown]
	v_mov_b32_e32 v1, 0
	s_mov_b32 s0, exec_lo
	ds_load_b128 v[105:108], v1 offset:848
	s_clause 0x1
	scratch_load_b128 v[109:112], off, off offset:480
	scratch_load_b128 v[113:116], off, off offset:336
	ds_load_b128 v[117:120], v1 offset:864
	ds_load_b128 v[125:128], v1 offset:896
	s_wait_loadcnt_dscnt 0x902
	v_mul_f64_e32 v[2:3], v[107:108], v[8:9]
	v_mul_f64_e32 v[121:122], v[105:106], v[8:9]
	scratch_load_b128 v[8:11], off, off offset:496
	v_fma_f64 v[2:3], v[105:106], v[6:7], -v[2:3]
	v_fma_f64 v[6:7], v[107:108], v[6:7], v[121:122]
	ds_load_b128 v[105:108], v1 offset:880
	s_wait_loadcnt_dscnt 0x902
	v_mul_f64_e32 v[129:130], v[117:118], v[79:80]
	v_mul_f64_e32 v[79:80], v[119:120], v[79:80]
	scratch_load_b128 v[121:124], off, off offset:512
	s_wait_loadcnt_dscnt 0x900
	v_mul_f64_e32 v[131:132], v[105:106], v[83:84]
	v_mul_f64_e32 v[83:84], v[107:108], v[83:84]
	v_add_f64_e32 v[2:3], 0, v[2:3]
	v_add_f64_e32 v[6:7], 0, v[6:7]
	v_fma_f64 v[119:120], v[119:120], v[77:78], v[129:130]
	v_fma_f64 v[77:78], v[117:118], v[77:78], -v[79:80]
	s_wait_loadcnt 0x8
	v_mul_f64_e32 v[117:118], v[125:126], v[87:88]
	v_mul_f64_e32 v[87:88], v[127:128], v[87:88]
	v_fma_f64 v[107:108], v[107:108], v[81:82], v[131:132]
	v_fma_f64 v[105:106], v[105:106], v[81:82], -v[83:84]
	v_add_f64_e32 v[6:7], v[6:7], v[119:120]
	v_add_f64_e32 v[2:3], v[2:3], v[77:78]
	ds_load_b128 v[77:80], v1 offset:912
	ds_load_b128 v[81:84], v1 offset:928
	v_fma_f64 v[117:118], v[127:128], v[85:86], v[117:118]
	v_fma_f64 v[85:86], v[125:126], v[85:86], -v[87:88]
	s_wait_loadcnt_dscnt 0x701
	v_mul_f64_e32 v[119:120], v[77:78], v[91:92]
	v_mul_f64_e32 v[91:92], v[79:80], v[91:92]
	v_add_f64_e32 v[6:7], v[6:7], v[107:108]
	v_add_f64_e32 v[2:3], v[2:3], v[105:106]
	s_wait_loadcnt_dscnt 0x600
	v_mul_f64_e32 v[105:106], v[81:82], v[95:96]
	v_mul_f64_e32 v[95:96], v[83:84], v[95:96]
	v_fma_f64 v[107:108], v[79:80], v[89:90], v[119:120]
	v_fma_f64 v[89:90], v[77:78], v[89:90], -v[91:92]
	v_add_f64_e32 v[6:7], v[6:7], v[117:118]
	v_add_f64_e32 v[2:3], v[2:3], v[85:86]
	ds_load_b128 v[77:80], v1 offset:944
	ds_load_b128 v[85:88], v1 offset:960
	v_fma_f64 v[83:84], v[83:84], v[93:94], v[105:106]
	v_fma_f64 v[81:82], v[81:82], v[93:94], -v[95:96]
	s_wait_loadcnt_dscnt 0x501
	v_mul_f64_e32 v[91:92], v[77:78], v[99:100]
	v_mul_f64_e32 v[99:100], v[79:80], v[99:100]
	s_wait_loadcnt_dscnt 0x400
	v_mul_f64_e32 v[93:94], v[87:88], v[103:104]
	v_add_f64_e32 v[6:7], v[6:7], v[107:108]
	v_add_f64_e32 v[2:3], v[2:3], v[89:90]
	v_mul_f64_e32 v[89:90], v[85:86], v[103:104]
	v_fma_f64 v[91:92], v[79:80], v[97:98], v[91:92]
	v_fma_f64 v[95:96], v[77:78], v[97:98], -v[99:100]
	v_fma_f64 v[85:86], v[85:86], v[101:102], -v[93:94]
	v_add_f64_e32 v[6:7], v[6:7], v[83:84]
	v_add_f64_e32 v[2:3], v[2:3], v[81:82]
	ds_load_b128 v[77:80], v1 offset:976
	ds_load_b128 v[81:84], v1 offset:992
	v_fma_f64 v[87:88], v[87:88], v[101:102], v[89:90]
	s_wait_loadcnt_dscnt 0x301
	v_mul_f64_e32 v[97:98], v[77:78], v[111:112]
	v_mul_f64_e32 v[99:100], v[79:80], v[111:112]
	v_add_f64_e32 v[6:7], v[6:7], v[91:92]
	v_add_f64_e32 v[2:3], v[2:3], v[95:96]
	s_wait_loadcnt_dscnt 0x100
	v_mul_f64_e32 v[89:90], v[81:82], v[10:11]
	v_mul_f64_e32 v[10:11], v[83:84], v[10:11]
	v_fma_f64 v[91:92], v[79:80], v[109:110], v[97:98]
	v_fma_f64 v[93:94], v[77:78], v[109:110], -v[99:100]
	ds_load_b128 v[77:80], v1 offset:1008
	v_add_f64_e32 v[6:7], v[6:7], v[87:88]
	v_add_f64_e32 v[2:3], v[2:3], v[85:86]
	v_fma_f64 v[83:84], v[83:84], v[8:9], v[89:90]
	v_fma_f64 v[8:9], v[81:82], v[8:9], -v[10:11]
	s_wait_loadcnt_dscnt 0x0
	v_mul_f64_e32 v[85:86], v[77:78], v[123:124]
	v_mul_f64_e32 v[87:88], v[79:80], v[123:124]
	v_add_f64_e32 v[6:7], v[6:7], v[91:92]
	v_add_f64_e32 v[2:3], v[2:3], v[93:94]
	s_delay_alu instid0(VALU_DEP_4) | instskip(NEXT) | instid1(VALU_DEP_4)
	v_fma_f64 v[10:11], v[79:80], v[121:122], v[85:86]
	v_fma_f64 v[77:78], v[77:78], v[121:122], -v[87:88]
	s_delay_alu instid0(VALU_DEP_4) | instskip(NEXT) | instid1(VALU_DEP_4)
	v_add_f64_e32 v[6:7], v[6:7], v[83:84]
	v_add_f64_e32 v[2:3], v[2:3], v[8:9]
	s_delay_alu instid0(VALU_DEP_2) | instskip(NEXT) | instid1(VALU_DEP_2)
	v_add_f64_e32 v[8:9], v[6:7], v[10:11]
	v_add_f64_e32 v[2:3], v[2:3], v[77:78]
	s_delay_alu instid0(VALU_DEP_2) | instskip(NEXT) | instid1(VALU_DEP_2)
	v_add_f64_e64 v[8:9], v[115:116], -v[8:9]
	v_add_f64_e64 v[6:7], v[113:114], -v[2:3]
	scratch_store_b128 off, v[6:9], off offset:336
	v_cmpx_lt_u32_e32 19, v0
	s_cbranch_execz .LBB95_167
; %bb.166:
	scratch_load_b128 v[6:9], off, s16
	v_dual_mov_b32 v2, v1 :: v_dual_mov_b32 v3, v1
	v_mov_b32_e32 v4, v1
	scratch_store_b128 off, v[1:4], off offset:320
	s_wait_loadcnt 0x0
	ds_store_b128 v5, v[6:9]
.LBB95_167:
	s_wait_alu 0xfffe
	s_or_b32 exec_lo, exec_lo, s0
	s_wait_storecnt_dscnt 0x0
	s_barrier_signal -1
	s_barrier_wait -1
	global_inv scope:SCOPE_SE
	s_clause 0x8
	scratch_load_b128 v[6:9], off, off offset:336
	scratch_load_b128 v[77:80], off, off offset:352
	;; [unrolled: 1-line block ×9, first 2 shown]
	ds_load_b128 v[109:112], v1 offset:832
	ds_load_b128 v[113:116], v1 offset:848
	scratch_load_b128 v[117:120], off, off offset:320
	s_mov_b32 s0, exec_lo
	ds_load_b128 v[125:128], v1 offset:880
	s_wait_loadcnt_dscnt 0x902
	v_mul_f64_e32 v[2:3], v[111:112], v[8:9]
	v_mul_f64_e32 v[121:122], v[109:110], v[8:9]
	scratch_load_b128 v[8:11], off, off offset:480
	s_wait_loadcnt_dscnt 0x901
	v_mul_f64_e32 v[129:130], v[113:114], v[79:80]
	v_mul_f64_e32 v[79:80], v[115:116], v[79:80]
	v_fma_f64 v[2:3], v[109:110], v[6:7], -v[2:3]
	v_fma_f64 v[6:7], v[111:112], v[6:7], v[121:122]
	ds_load_b128 v[109:112], v1 offset:864
	scratch_load_b128 v[121:124], off, off offset:496
	v_fma_f64 v[115:116], v[115:116], v[77:78], v[129:130]
	v_fma_f64 v[113:114], v[113:114], v[77:78], -v[79:80]
	scratch_load_b128 v[77:80], off, off offset:512
	s_wait_loadcnt_dscnt 0x901
	v_mul_f64_e32 v[129:130], v[125:126], v[87:88]
	v_mul_f64_e32 v[87:88], v[127:128], v[87:88]
	s_wait_dscnt 0x0
	v_mul_f64_e32 v[131:132], v[109:110], v[83:84]
	v_mul_f64_e32 v[83:84], v[111:112], v[83:84]
	v_add_f64_e32 v[2:3], 0, v[2:3]
	v_add_f64_e32 v[6:7], 0, v[6:7]
	s_delay_alu instid0(VALU_DEP_4) | instskip(NEXT) | instid1(VALU_DEP_4)
	v_fma_f64 v[131:132], v[111:112], v[81:82], v[131:132]
	v_fma_f64 v[133:134], v[109:110], v[81:82], -v[83:84]
	ds_load_b128 v[81:84], v1 offset:896
	ds_load_b128 v[109:112], v1 offset:912
	v_add_f64_e32 v[2:3], v[2:3], v[113:114]
	v_add_f64_e32 v[6:7], v[6:7], v[115:116]
	v_fma_f64 v[115:116], v[127:128], v[85:86], v[129:130]
	v_fma_f64 v[85:86], v[125:126], v[85:86], -v[87:88]
	s_wait_loadcnt_dscnt 0x801
	v_mul_f64_e32 v[113:114], v[81:82], v[91:92]
	v_mul_f64_e32 v[91:92], v[83:84], v[91:92]
	s_wait_loadcnt_dscnt 0x700
	v_mul_f64_e32 v[125:126], v[109:110], v[95:96]
	v_mul_f64_e32 v[95:96], v[111:112], v[95:96]
	v_add_f64_e32 v[2:3], v[2:3], v[133:134]
	v_add_f64_e32 v[6:7], v[6:7], v[131:132]
	v_fma_f64 v[113:114], v[83:84], v[89:90], v[113:114]
	v_fma_f64 v[89:90], v[81:82], v[89:90], -v[91:92]
	v_fma_f64 v[111:112], v[111:112], v[93:94], v[125:126]
	v_fma_f64 v[93:94], v[109:110], v[93:94], -v[95:96]
	v_add_f64_e32 v[2:3], v[2:3], v[85:86]
	v_add_f64_e32 v[6:7], v[6:7], v[115:116]
	ds_load_b128 v[81:84], v1 offset:928
	ds_load_b128 v[85:88], v1 offset:944
	s_wait_loadcnt_dscnt 0x601
	v_mul_f64_e32 v[91:92], v[81:82], v[99:100]
	v_mul_f64_e32 v[99:100], v[83:84], v[99:100]
	s_wait_loadcnt_dscnt 0x500
	v_mul_f64_e32 v[95:96], v[85:86], v[103:104]
	v_mul_f64_e32 v[103:104], v[87:88], v[103:104]
	v_add_f64_e32 v[2:3], v[2:3], v[89:90]
	v_add_f64_e32 v[6:7], v[6:7], v[113:114]
	v_fma_f64 v[109:110], v[83:84], v[97:98], v[91:92]
	v_fma_f64 v[97:98], v[81:82], v[97:98], -v[99:100]
	ds_load_b128 v[81:84], v1 offset:960
	ds_load_b128 v[89:92], v1 offset:976
	v_fma_f64 v[87:88], v[87:88], v[101:102], v[95:96]
	v_fma_f64 v[85:86], v[85:86], v[101:102], -v[103:104]
	v_add_f64_e32 v[2:3], v[2:3], v[93:94]
	v_add_f64_e32 v[6:7], v[6:7], v[111:112]
	s_wait_loadcnt_dscnt 0x401
	v_mul_f64_e32 v[93:94], v[81:82], v[107:108]
	v_mul_f64_e32 v[99:100], v[83:84], v[107:108]
	s_delay_alu instid0(VALU_DEP_4) | instskip(NEXT) | instid1(VALU_DEP_4)
	v_add_f64_e32 v[2:3], v[2:3], v[97:98]
	v_add_f64_e32 v[6:7], v[6:7], v[109:110]
	s_delay_alu instid0(VALU_DEP_4) | instskip(NEXT) | instid1(VALU_DEP_4)
	v_fma_f64 v[93:94], v[83:84], v[105:106], v[93:94]
	v_fma_f64 v[97:98], v[81:82], v[105:106], -v[99:100]
	s_wait_loadcnt_dscnt 0x200
	v_mul_f64_e32 v[95:96], v[89:90], v[10:11]
	v_mul_f64_e32 v[10:11], v[91:92], v[10:11]
	v_add_f64_e32 v[85:86], v[2:3], v[85:86]
	v_add_f64_e32 v[6:7], v[6:7], v[87:88]
	ds_load_b128 v[81:84], v1 offset:992
	ds_load_b128 v[1:4], v1 offset:1008
	v_fma_f64 v[91:92], v[91:92], v[8:9], v[95:96]
	v_fma_f64 v[8:9], v[89:90], v[8:9], -v[10:11]
	s_wait_loadcnt_dscnt 0x101
	v_mul_f64_e32 v[87:88], v[81:82], v[123:124]
	v_mul_f64_e32 v[99:100], v[83:84], v[123:124]
	v_add_f64_e32 v[10:11], v[85:86], v[97:98]
	v_add_f64_e32 v[6:7], v[6:7], v[93:94]
	s_wait_loadcnt_dscnt 0x0
	v_mul_f64_e32 v[85:86], v[1:2], v[79:80]
	v_mul_f64_e32 v[79:80], v[3:4], v[79:80]
	v_fma_f64 v[83:84], v[83:84], v[121:122], v[87:88]
	v_fma_f64 v[81:82], v[81:82], v[121:122], -v[99:100]
	v_add_f64_e32 v[8:9], v[10:11], v[8:9]
	v_add_f64_e32 v[6:7], v[6:7], v[91:92]
	v_fma_f64 v[3:4], v[3:4], v[77:78], v[85:86]
	v_fma_f64 v[1:2], v[1:2], v[77:78], -v[79:80]
	s_delay_alu instid0(VALU_DEP_4) | instskip(NEXT) | instid1(VALU_DEP_4)
	v_add_f64_e32 v[8:9], v[8:9], v[81:82]
	v_add_f64_e32 v[6:7], v[6:7], v[83:84]
	s_delay_alu instid0(VALU_DEP_2) | instskip(NEXT) | instid1(VALU_DEP_2)
	v_add_f64_e32 v[1:2], v[8:9], v[1:2]
	v_add_f64_e32 v[3:4], v[6:7], v[3:4]
	s_delay_alu instid0(VALU_DEP_2) | instskip(NEXT) | instid1(VALU_DEP_2)
	v_add_f64_e64 v[1:2], v[117:118], -v[1:2]
	v_add_f64_e64 v[3:4], v[119:120], -v[3:4]
	scratch_store_b128 off, v[1:4], off offset:320
	v_cmpx_lt_u32_e32 18, v0
	s_cbranch_execz .LBB95_169
; %bb.168:
	scratch_load_b128 v[1:4], off, s31
	v_mov_b32_e32 v6, 0
	s_delay_alu instid0(VALU_DEP_1)
	v_dual_mov_b32 v7, v6 :: v_dual_mov_b32 v8, v6
	v_mov_b32_e32 v9, v6
	scratch_store_b128 off, v[6:9], off offset:304
	s_wait_loadcnt 0x0
	ds_store_b128 v5, v[1:4]
.LBB95_169:
	s_wait_alu 0xfffe
	s_or_b32 exec_lo, exec_lo, s0
	s_wait_storecnt_dscnt 0x0
	s_barrier_signal -1
	s_barrier_wait -1
	global_inv scope:SCOPE_SE
	s_clause 0x7
	scratch_load_b128 v[6:9], off, off offset:320
	scratch_load_b128 v[77:80], off, off offset:336
	;; [unrolled: 1-line block ×8, first 2 shown]
	v_mov_b32_e32 v1, 0
	s_mov_b32 s0, exec_lo
	ds_load_b128 v[105:108], v1 offset:816
	s_clause 0x1
	scratch_load_b128 v[109:112], off, off offset:448
	scratch_load_b128 v[113:116], off, off offset:304
	ds_load_b128 v[117:120], v1 offset:832
	ds_load_b128 v[125:128], v1 offset:864
	s_wait_loadcnt_dscnt 0x902
	v_mul_f64_e32 v[2:3], v[107:108], v[8:9]
	v_mul_f64_e32 v[121:122], v[105:106], v[8:9]
	scratch_load_b128 v[8:11], off, off offset:464
	v_fma_f64 v[2:3], v[105:106], v[6:7], -v[2:3]
	v_fma_f64 v[6:7], v[107:108], v[6:7], v[121:122]
	ds_load_b128 v[105:108], v1 offset:848
	s_wait_loadcnt_dscnt 0x902
	v_mul_f64_e32 v[129:130], v[117:118], v[79:80]
	v_mul_f64_e32 v[79:80], v[119:120], v[79:80]
	scratch_load_b128 v[121:124], off, off offset:480
	s_wait_loadcnt_dscnt 0x900
	v_mul_f64_e32 v[131:132], v[105:106], v[83:84]
	v_mul_f64_e32 v[83:84], v[107:108], v[83:84]
	v_add_f64_e32 v[2:3], 0, v[2:3]
	v_add_f64_e32 v[6:7], 0, v[6:7]
	v_fma_f64 v[119:120], v[119:120], v[77:78], v[129:130]
	v_fma_f64 v[117:118], v[117:118], v[77:78], -v[79:80]
	scratch_load_b128 v[77:80], off, off offset:496
	v_fma_f64 v[131:132], v[107:108], v[81:82], v[131:132]
	v_fma_f64 v[133:134], v[105:106], v[81:82], -v[83:84]
	ds_load_b128 v[81:84], v1 offset:880
	s_wait_loadcnt 0x9
	v_mul_f64_e32 v[129:130], v[125:126], v[87:88]
	v_mul_f64_e32 v[87:88], v[127:128], v[87:88]
	scratch_load_b128 v[105:108], off, off offset:512
	v_add_f64_e32 v[6:7], v[6:7], v[119:120]
	v_add_f64_e32 v[2:3], v[2:3], v[117:118]
	ds_load_b128 v[117:120], v1 offset:896
	s_wait_loadcnt_dscnt 0x901
	v_mul_f64_e32 v[135:136], v[81:82], v[91:92]
	v_mul_f64_e32 v[91:92], v[83:84], v[91:92]
	v_fma_f64 v[127:128], v[127:128], v[85:86], v[129:130]
	v_fma_f64 v[85:86], v[125:126], v[85:86], -v[87:88]
	s_wait_loadcnt_dscnt 0x800
	v_mul_f64_e32 v[125:126], v[117:118], v[95:96]
	v_mul_f64_e32 v[95:96], v[119:120], v[95:96]
	v_add_f64_e32 v[6:7], v[6:7], v[131:132]
	v_add_f64_e32 v[2:3], v[2:3], v[133:134]
	v_fma_f64 v[129:130], v[83:84], v[89:90], v[135:136]
	v_fma_f64 v[89:90], v[81:82], v[89:90], -v[91:92]
	v_fma_f64 v[119:120], v[119:120], v[93:94], v[125:126]
	v_fma_f64 v[93:94], v[117:118], v[93:94], -v[95:96]
	v_add_f64_e32 v[6:7], v[6:7], v[127:128]
	v_add_f64_e32 v[2:3], v[2:3], v[85:86]
	ds_load_b128 v[81:84], v1 offset:912
	ds_load_b128 v[85:88], v1 offset:928
	s_wait_loadcnt_dscnt 0x701
	v_mul_f64_e32 v[91:92], v[81:82], v[99:100]
	v_mul_f64_e32 v[99:100], v[83:84], v[99:100]
	s_wait_loadcnt_dscnt 0x600
	v_mul_f64_e32 v[95:96], v[85:86], v[103:104]
	v_mul_f64_e32 v[103:104], v[87:88], v[103:104]
	v_add_f64_e32 v[6:7], v[6:7], v[129:130]
	v_add_f64_e32 v[2:3], v[2:3], v[89:90]
	v_fma_f64 v[117:118], v[83:84], v[97:98], v[91:92]
	v_fma_f64 v[97:98], v[81:82], v[97:98], -v[99:100]
	ds_load_b128 v[81:84], v1 offset:944
	ds_load_b128 v[89:92], v1 offset:960
	v_fma_f64 v[87:88], v[87:88], v[101:102], v[95:96]
	v_fma_f64 v[85:86], v[85:86], v[101:102], -v[103:104]
	v_add_f64_e32 v[6:7], v[6:7], v[119:120]
	v_add_f64_e32 v[2:3], v[2:3], v[93:94]
	s_wait_loadcnt_dscnt 0x501
	v_mul_f64_e32 v[93:94], v[81:82], v[111:112]
	v_mul_f64_e32 v[99:100], v[83:84], v[111:112]
	s_delay_alu instid0(VALU_DEP_4) | instskip(NEXT) | instid1(VALU_DEP_4)
	v_add_f64_e32 v[6:7], v[6:7], v[117:118]
	v_add_f64_e32 v[2:3], v[2:3], v[97:98]
	s_delay_alu instid0(VALU_DEP_4) | instskip(NEXT) | instid1(VALU_DEP_4)
	v_fma_f64 v[93:94], v[83:84], v[109:110], v[93:94]
	v_fma_f64 v[97:98], v[81:82], v[109:110], -v[99:100]
	s_wait_loadcnt_dscnt 0x300
	v_mul_f64_e32 v[95:96], v[89:90], v[10:11]
	v_mul_f64_e32 v[10:11], v[91:92], v[10:11]
	v_add_f64_e32 v[6:7], v[6:7], v[87:88]
	v_add_f64_e32 v[2:3], v[2:3], v[85:86]
	ds_load_b128 v[81:84], v1 offset:976
	ds_load_b128 v[85:88], v1 offset:992
	v_fma_f64 v[91:92], v[91:92], v[8:9], v[95:96]
	v_fma_f64 v[8:9], v[89:90], v[8:9], -v[10:11]
	s_wait_loadcnt_dscnt 0x201
	v_mul_f64_e32 v[99:100], v[81:82], v[123:124]
	v_mul_f64_e32 v[101:102], v[83:84], v[123:124]
	v_add_f64_e32 v[6:7], v[6:7], v[93:94]
	v_add_f64_e32 v[2:3], v[2:3], v[97:98]
	s_wait_loadcnt_dscnt 0x100
	v_mul_f64_e32 v[10:11], v[85:86], v[79:80]
	v_mul_f64_e32 v[79:80], v[87:88], v[79:80]
	v_fma_f64 v[83:84], v[83:84], v[121:122], v[99:100]
	v_fma_f64 v[81:82], v[81:82], v[121:122], -v[101:102]
	v_add_f64_e32 v[89:90], v[6:7], v[91:92]
	v_add_f64_e32 v[2:3], v[2:3], v[8:9]
	ds_load_b128 v[6:9], v1 offset:1008
	v_fma_f64 v[10:11], v[87:88], v[77:78], v[10:11]
	v_fma_f64 v[77:78], v[85:86], v[77:78], -v[79:80]
	s_wait_loadcnt_dscnt 0x0
	v_mul_f64_e32 v[91:92], v[6:7], v[107:108]
	v_mul_f64_e32 v[93:94], v[8:9], v[107:108]
	v_add_f64_e32 v[79:80], v[89:90], v[83:84]
	v_add_f64_e32 v[2:3], v[2:3], v[81:82]
	s_delay_alu instid0(VALU_DEP_4) | instskip(NEXT) | instid1(VALU_DEP_4)
	v_fma_f64 v[8:9], v[8:9], v[105:106], v[91:92]
	v_fma_f64 v[6:7], v[6:7], v[105:106], -v[93:94]
	s_delay_alu instid0(VALU_DEP_4) | instskip(NEXT) | instid1(VALU_DEP_4)
	v_add_f64_e32 v[10:11], v[79:80], v[10:11]
	v_add_f64_e32 v[2:3], v[2:3], v[77:78]
	s_delay_alu instid0(VALU_DEP_2) | instskip(NEXT) | instid1(VALU_DEP_2)
	v_add_f64_e32 v[8:9], v[10:11], v[8:9]
	v_add_f64_e32 v[2:3], v[2:3], v[6:7]
	s_delay_alu instid0(VALU_DEP_2) | instskip(NEXT) | instid1(VALU_DEP_2)
	v_add_f64_e64 v[8:9], v[115:116], -v[8:9]
	v_add_f64_e64 v[6:7], v[113:114], -v[2:3]
	scratch_store_b128 off, v[6:9], off offset:304
	v_cmpx_lt_u32_e32 17, v0
	s_cbranch_execz .LBB95_171
; %bb.170:
	scratch_load_b128 v[6:9], off, s15
	v_dual_mov_b32 v2, v1 :: v_dual_mov_b32 v3, v1
	v_mov_b32_e32 v4, v1
	scratch_store_b128 off, v[1:4], off offset:288
	s_wait_loadcnt 0x0
	ds_store_b128 v5, v[6:9]
.LBB95_171:
	s_wait_alu 0xfffe
	s_or_b32 exec_lo, exec_lo, s0
	s_wait_storecnt_dscnt 0x0
	s_barrier_signal -1
	s_barrier_wait -1
	global_inv scope:SCOPE_SE
	s_clause 0x8
	scratch_load_b128 v[6:9], off, off offset:304
	scratch_load_b128 v[77:80], off, off offset:320
	;; [unrolled: 1-line block ×9, first 2 shown]
	ds_load_b128 v[109:112], v1 offset:800
	ds_load_b128 v[113:116], v1 offset:816
	scratch_load_b128 v[117:120], off, off offset:288
	s_mov_b32 s0, exec_lo
	ds_load_b128 v[125:128], v1 offset:848
	s_wait_loadcnt_dscnt 0x902
	v_mul_f64_e32 v[2:3], v[111:112], v[8:9]
	v_mul_f64_e32 v[121:122], v[109:110], v[8:9]
	scratch_load_b128 v[8:11], off, off offset:448
	s_wait_loadcnt_dscnt 0x901
	v_mul_f64_e32 v[129:130], v[113:114], v[79:80]
	v_mul_f64_e32 v[79:80], v[115:116], v[79:80]
	v_fma_f64 v[2:3], v[109:110], v[6:7], -v[2:3]
	v_fma_f64 v[6:7], v[111:112], v[6:7], v[121:122]
	ds_load_b128 v[109:112], v1 offset:832
	scratch_load_b128 v[121:124], off, off offset:464
	v_fma_f64 v[115:116], v[115:116], v[77:78], v[129:130]
	v_fma_f64 v[113:114], v[113:114], v[77:78], -v[79:80]
	scratch_load_b128 v[77:80], off, off offset:480
	s_wait_loadcnt_dscnt 0x901
	v_mul_f64_e32 v[129:130], v[125:126], v[87:88]
	v_mul_f64_e32 v[87:88], v[127:128], v[87:88]
	s_wait_dscnt 0x0
	v_mul_f64_e32 v[131:132], v[109:110], v[83:84]
	v_mul_f64_e32 v[83:84], v[111:112], v[83:84]
	v_add_f64_e32 v[2:3], 0, v[2:3]
	v_add_f64_e32 v[6:7], 0, v[6:7]
	v_fma_f64 v[127:128], v[127:128], v[85:86], v[129:130]
	v_fma_f64 v[125:126], v[125:126], v[85:86], -v[87:88]
	scratch_load_b128 v[85:88], off, off offset:512
	v_fma_f64 v[131:132], v[111:112], v[81:82], v[131:132]
	v_fma_f64 v[133:134], v[109:110], v[81:82], -v[83:84]
	ds_load_b128 v[81:84], v1 offset:864
	scratch_load_b128 v[109:112], off, off offset:496
	v_add_f64_e32 v[2:3], v[2:3], v[113:114]
	v_add_f64_e32 v[6:7], v[6:7], v[115:116]
	ds_load_b128 v[113:116], v1 offset:880
	s_wait_loadcnt_dscnt 0xa01
	v_mul_f64_e32 v[135:136], v[81:82], v[91:92]
	v_mul_f64_e32 v[91:92], v[83:84], v[91:92]
	s_wait_loadcnt_dscnt 0x900
	v_mul_f64_e32 v[129:130], v[113:114], v[95:96]
	v_mul_f64_e32 v[95:96], v[115:116], v[95:96]
	v_add_f64_e32 v[2:3], v[2:3], v[133:134]
	v_add_f64_e32 v[6:7], v[6:7], v[131:132]
	v_fma_f64 v[131:132], v[83:84], v[89:90], v[135:136]
	v_fma_f64 v[133:134], v[81:82], v[89:90], -v[91:92]
	ds_load_b128 v[81:84], v1 offset:896
	ds_load_b128 v[89:92], v1 offset:912
	v_fma_f64 v[115:116], v[115:116], v[93:94], v[129:130]
	v_fma_f64 v[93:94], v[113:114], v[93:94], -v[95:96]
	s_wait_loadcnt_dscnt 0x700
	v_mul_f64_e32 v[113:114], v[89:90], v[103:104]
	v_mul_f64_e32 v[103:104], v[91:92], v[103:104]
	v_add_f64_e32 v[2:3], v[2:3], v[125:126]
	v_add_f64_e32 v[6:7], v[6:7], v[127:128]
	v_mul_f64_e32 v[125:126], v[81:82], v[99:100]
	v_mul_f64_e32 v[99:100], v[83:84], v[99:100]
	v_fma_f64 v[91:92], v[91:92], v[101:102], v[113:114]
	v_fma_f64 v[89:90], v[89:90], v[101:102], -v[103:104]
	v_add_f64_e32 v[2:3], v[2:3], v[133:134]
	v_add_f64_e32 v[6:7], v[6:7], v[131:132]
	v_fma_f64 v[125:126], v[83:84], v[97:98], v[125:126]
	v_fma_f64 v[97:98], v[81:82], v[97:98], -v[99:100]
	s_delay_alu instid0(VALU_DEP_4) | instskip(NEXT) | instid1(VALU_DEP_4)
	v_add_f64_e32 v[2:3], v[2:3], v[93:94]
	v_add_f64_e32 v[6:7], v[6:7], v[115:116]
	ds_load_b128 v[81:84], v1 offset:928
	ds_load_b128 v[93:96], v1 offset:944
	s_wait_loadcnt_dscnt 0x601
	v_mul_f64_e32 v[99:100], v[81:82], v[107:108]
	v_mul_f64_e32 v[107:108], v[83:84], v[107:108]
	v_add_f64_e32 v[2:3], v[2:3], v[97:98]
	v_add_f64_e32 v[6:7], v[6:7], v[125:126]
	s_wait_loadcnt_dscnt 0x400
	v_mul_f64_e32 v[97:98], v[93:94], v[10:11]
	v_mul_f64_e32 v[10:11], v[95:96], v[10:11]
	v_fma_f64 v[99:100], v[83:84], v[105:106], v[99:100]
	v_fma_f64 v[101:102], v[81:82], v[105:106], -v[107:108]
	v_add_f64_e32 v[2:3], v[2:3], v[89:90]
	v_add_f64_e32 v[6:7], v[6:7], v[91:92]
	ds_load_b128 v[81:84], v1 offset:960
	ds_load_b128 v[89:92], v1 offset:976
	v_fma_f64 v[95:96], v[95:96], v[8:9], v[97:98]
	v_fma_f64 v[8:9], v[93:94], v[8:9], -v[10:11]
	s_wait_loadcnt_dscnt 0x301
	v_mul_f64_e32 v[103:104], v[81:82], v[123:124]
	v_mul_f64_e32 v[105:106], v[83:84], v[123:124]
	s_wait_loadcnt_dscnt 0x200
	v_mul_f64_e32 v[10:11], v[89:90], v[79:80]
	v_mul_f64_e32 v[79:80], v[91:92], v[79:80]
	v_add_f64_e32 v[2:3], v[2:3], v[101:102]
	v_add_f64_e32 v[6:7], v[6:7], v[99:100]
	v_fma_f64 v[83:84], v[83:84], v[121:122], v[103:104]
	v_fma_f64 v[81:82], v[81:82], v[121:122], -v[105:106]
	v_fma_f64 v[10:11], v[91:92], v[77:78], v[10:11]
	v_fma_f64 v[77:78], v[89:90], v[77:78], -v[79:80]
	v_add_f64_e32 v[93:94], v[2:3], v[8:9]
	v_add_f64_e32 v[95:96], v[6:7], v[95:96]
	ds_load_b128 v[6:9], v1 offset:992
	ds_load_b128 v[1:4], v1 offset:1008
	s_wait_loadcnt_dscnt 0x1
	v_mul_f64_e32 v[97:98], v[6:7], v[111:112]
	v_mul_f64_e32 v[99:100], v[8:9], v[111:112]
	v_add_f64_e32 v[79:80], v[93:94], v[81:82]
	v_add_f64_e32 v[81:82], v[95:96], v[83:84]
	s_wait_dscnt 0x0
	v_mul_f64_e32 v[83:84], v[1:2], v[87:88]
	v_mul_f64_e32 v[87:88], v[3:4], v[87:88]
	v_fma_f64 v[8:9], v[8:9], v[109:110], v[97:98]
	v_fma_f64 v[6:7], v[6:7], v[109:110], -v[99:100]
	v_add_f64_e32 v[77:78], v[79:80], v[77:78]
	v_add_f64_e32 v[10:11], v[81:82], v[10:11]
	v_fma_f64 v[3:4], v[3:4], v[85:86], v[83:84]
	v_fma_f64 v[1:2], v[1:2], v[85:86], -v[87:88]
	s_delay_alu instid0(VALU_DEP_4) | instskip(NEXT) | instid1(VALU_DEP_4)
	v_add_f64_e32 v[6:7], v[77:78], v[6:7]
	v_add_f64_e32 v[8:9], v[10:11], v[8:9]
	s_delay_alu instid0(VALU_DEP_2) | instskip(NEXT) | instid1(VALU_DEP_2)
	v_add_f64_e32 v[1:2], v[6:7], v[1:2]
	v_add_f64_e32 v[3:4], v[8:9], v[3:4]
	s_delay_alu instid0(VALU_DEP_2) | instskip(NEXT) | instid1(VALU_DEP_2)
	v_add_f64_e64 v[1:2], v[117:118], -v[1:2]
	v_add_f64_e64 v[3:4], v[119:120], -v[3:4]
	scratch_store_b128 off, v[1:4], off offset:288
	v_cmpx_lt_u32_e32 16, v0
	s_cbranch_execz .LBB95_173
; %bb.172:
	scratch_load_b128 v[1:4], off, s30
	v_mov_b32_e32 v6, 0
	s_delay_alu instid0(VALU_DEP_1)
	v_dual_mov_b32 v7, v6 :: v_dual_mov_b32 v8, v6
	v_mov_b32_e32 v9, v6
	scratch_store_b128 off, v[6:9], off offset:272
	s_wait_loadcnt 0x0
	ds_store_b128 v5, v[1:4]
.LBB95_173:
	s_wait_alu 0xfffe
	s_or_b32 exec_lo, exec_lo, s0
	s_wait_storecnt_dscnt 0x0
	s_barrier_signal -1
	s_barrier_wait -1
	global_inv scope:SCOPE_SE
	s_clause 0x7
	scratch_load_b128 v[6:9], off, off offset:288
	scratch_load_b128 v[77:80], off, off offset:304
	;; [unrolled: 1-line block ×8, first 2 shown]
	v_mov_b32_e32 v1, 0
	s_mov_b32 s0, exec_lo
	ds_load_b128 v[105:108], v1 offset:784
	s_clause 0x1
	scratch_load_b128 v[109:112], off, off offset:416
	scratch_load_b128 v[113:116], off, off offset:272
	ds_load_b128 v[117:120], v1 offset:800
	ds_load_b128 v[125:128], v1 offset:832
	s_wait_loadcnt_dscnt 0x902
	v_mul_f64_e32 v[2:3], v[107:108], v[8:9]
	v_mul_f64_e32 v[121:122], v[105:106], v[8:9]
	scratch_load_b128 v[8:11], off, off offset:432
	v_fma_f64 v[2:3], v[105:106], v[6:7], -v[2:3]
	v_fma_f64 v[6:7], v[107:108], v[6:7], v[121:122]
	ds_load_b128 v[105:108], v1 offset:816
	s_wait_loadcnt_dscnt 0x902
	v_mul_f64_e32 v[129:130], v[117:118], v[79:80]
	v_mul_f64_e32 v[79:80], v[119:120], v[79:80]
	scratch_load_b128 v[121:124], off, off offset:448
	s_wait_loadcnt_dscnt 0x900
	v_mul_f64_e32 v[131:132], v[105:106], v[83:84]
	v_mul_f64_e32 v[83:84], v[107:108], v[83:84]
	v_add_f64_e32 v[2:3], 0, v[2:3]
	v_add_f64_e32 v[6:7], 0, v[6:7]
	v_fma_f64 v[119:120], v[119:120], v[77:78], v[129:130]
	v_fma_f64 v[117:118], v[117:118], v[77:78], -v[79:80]
	scratch_load_b128 v[77:80], off, off offset:464
	v_fma_f64 v[131:132], v[107:108], v[81:82], v[131:132]
	v_fma_f64 v[133:134], v[105:106], v[81:82], -v[83:84]
	ds_load_b128 v[81:84], v1 offset:848
	s_wait_loadcnt 0x9
	v_mul_f64_e32 v[129:130], v[125:126], v[87:88]
	v_mul_f64_e32 v[87:88], v[127:128], v[87:88]
	scratch_load_b128 v[105:108], off, off offset:480
	v_add_f64_e32 v[6:7], v[6:7], v[119:120]
	v_add_f64_e32 v[2:3], v[2:3], v[117:118]
	ds_load_b128 v[117:120], v1 offset:864
	s_wait_loadcnt_dscnt 0x901
	v_mul_f64_e32 v[135:136], v[81:82], v[91:92]
	v_mul_f64_e32 v[91:92], v[83:84], v[91:92]
	v_fma_f64 v[127:128], v[127:128], v[85:86], v[129:130]
	v_fma_f64 v[125:126], v[125:126], v[85:86], -v[87:88]
	scratch_load_b128 v[85:88], off, off offset:496
	v_add_f64_e32 v[6:7], v[6:7], v[131:132]
	v_add_f64_e32 v[2:3], v[2:3], v[133:134]
	v_fma_f64 v[131:132], v[83:84], v[89:90], v[135:136]
	v_fma_f64 v[133:134], v[81:82], v[89:90], -v[91:92]
	ds_load_b128 v[81:84], v1 offset:880
	s_wait_loadcnt_dscnt 0x901
	v_mul_f64_e32 v[129:130], v[117:118], v[95:96]
	v_mul_f64_e32 v[95:96], v[119:120], v[95:96]
	scratch_load_b128 v[89:92], off, off offset:512
	s_wait_loadcnt_dscnt 0x900
	v_mul_f64_e32 v[135:136], v[81:82], v[99:100]
	v_mul_f64_e32 v[99:100], v[83:84], v[99:100]
	v_add_f64_e32 v[6:7], v[6:7], v[127:128]
	v_add_f64_e32 v[2:3], v[2:3], v[125:126]
	ds_load_b128 v[125:128], v1 offset:896
	v_fma_f64 v[119:120], v[119:120], v[93:94], v[129:130]
	v_fma_f64 v[93:94], v[117:118], v[93:94], -v[95:96]
	s_wait_loadcnt_dscnt 0x800
	v_mul_f64_e32 v[117:118], v[125:126], v[103:104]
	v_mul_f64_e32 v[103:104], v[127:128], v[103:104]
	v_fma_f64 v[129:130], v[83:84], v[97:98], v[135:136]
	v_fma_f64 v[97:98], v[81:82], v[97:98], -v[99:100]
	v_add_f64_e32 v[6:7], v[6:7], v[131:132]
	v_add_f64_e32 v[2:3], v[2:3], v[133:134]
	v_fma_f64 v[117:118], v[127:128], v[101:102], v[117:118]
	v_fma_f64 v[101:102], v[125:126], v[101:102], -v[103:104]
	s_delay_alu instid0(VALU_DEP_4) | instskip(NEXT) | instid1(VALU_DEP_4)
	v_add_f64_e32 v[6:7], v[6:7], v[119:120]
	v_add_f64_e32 v[2:3], v[2:3], v[93:94]
	ds_load_b128 v[81:84], v1 offset:912
	ds_load_b128 v[93:96], v1 offset:928
	s_wait_loadcnt_dscnt 0x701
	v_mul_f64_e32 v[99:100], v[81:82], v[111:112]
	v_mul_f64_e32 v[111:112], v[83:84], v[111:112]
	v_add_f64_e32 v[6:7], v[6:7], v[129:130]
	v_add_f64_e32 v[2:3], v[2:3], v[97:98]
	s_wait_loadcnt_dscnt 0x500
	v_mul_f64_e32 v[103:104], v[93:94], v[10:11]
	v_mul_f64_e32 v[10:11], v[95:96], v[10:11]
	v_fma_f64 v[119:120], v[83:84], v[109:110], v[99:100]
	v_fma_f64 v[109:110], v[81:82], v[109:110], -v[111:112]
	ds_load_b128 v[81:84], v1 offset:944
	ds_load_b128 v[97:100], v1 offset:960
	v_add_f64_e32 v[6:7], v[6:7], v[117:118]
	v_add_f64_e32 v[2:3], v[2:3], v[101:102]
	v_fma_f64 v[95:96], v[95:96], v[8:9], v[103:104]
	v_fma_f64 v[8:9], v[93:94], v[8:9], -v[10:11]
	s_wait_loadcnt_dscnt 0x401
	v_mul_f64_e32 v[101:102], v[81:82], v[123:124]
	v_mul_f64_e32 v[111:112], v[83:84], v[123:124]
	v_add_f64_e32 v[6:7], v[6:7], v[119:120]
	v_add_f64_e32 v[2:3], v[2:3], v[109:110]
	s_wait_loadcnt_dscnt 0x300
	v_mul_f64_e32 v[10:11], v[97:98], v[79:80]
	v_mul_f64_e32 v[93:94], v[99:100], v[79:80]
	v_fma_f64 v[83:84], v[83:84], v[121:122], v[101:102]
	v_fma_f64 v[101:102], v[81:82], v[121:122], -v[111:112]
	v_add_f64_e32 v[95:96], v[6:7], v[95:96]
	v_add_f64_e32 v[2:3], v[2:3], v[8:9]
	ds_load_b128 v[6:9], v1 offset:976
	ds_load_b128 v[79:82], v1 offset:992
	v_fma_f64 v[10:11], v[99:100], v[77:78], v[10:11]
	v_fma_f64 v[77:78], v[97:98], v[77:78], -v[93:94]
	s_wait_loadcnt_dscnt 0x201
	v_mul_f64_e32 v[103:104], v[6:7], v[107:108]
	v_mul_f64_e32 v[107:108], v[8:9], v[107:108]
	v_add_f64_e32 v[83:84], v[95:96], v[83:84]
	v_add_f64_e32 v[2:3], v[2:3], v[101:102]
	s_wait_loadcnt_dscnt 0x100
	v_mul_f64_e32 v[93:94], v[79:80], v[87:88]
	v_mul_f64_e32 v[87:88], v[81:82], v[87:88]
	v_fma_f64 v[95:96], v[8:9], v[105:106], v[103:104]
	v_fma_f64 v[97:98], v[6:7], v[105:106], -v[107:108]
	ds_load_b128 v[6:9], v1 offset:1008
	v_add_f64_e32 v[10:11], v[83:84], v[10:11]
	v_add_f64_e32 v[2:3], v[2:3], v[77:78]
	v_fma_f64 v[81:82], v[81:82], v[85:86], v[93:94]
	v_fma_f64 v[79:80], v[79:80], v[85:86], -v[87:88]
	s_wait_loadcnt_dscnt 0x0
	v_mul_f64_e32 v[77:78], v[6:7], v[91:92]
	v_mul_f64_e32 v[83:84], v[8:9], v[91:92]
	v_add_f64_e32 v[10:11], v[10:11], v[95:96]
	v_add_f64_e32 v[2:3], v[2:3], v[97:98]
	s_delay_alu instid0(VALU_DEP_4) | instskip(NEXT) | instid1(VALU_DEP_4)
	v_fma_f64 v[8:9], v[8:9], v[89:90], v[77:78]
	v_fma_f64 v[6:7], v[6:7], v[89:90], -v[83:84]
	s_delay_alu instid0(VALU_DEP_4) | instskip(NEXT) | instid1(VALU_DEP_4)
	v_add_f64_e32 v[10:11], v[10:11], v[81:82]
	v_add_f64_e32 v[2:3], v[2:3], v[79:80]
	s_delay_alu instid0(VALU_DEP_2) | instskip(NEXT) | instid1(VALU_DEP_2)
	v_add_f64_e32 v[8:9], v[10:11], v[8:9]
	v_add_f64_e32 v[2:3], v[2:3], v[6:7]
	s_delay_alu instid0(VALU_DEP_2) | instskip(NEXT) | instid1(VALU_DEP_2)
	v_add_f64_e64 v[8:9], v[115:116], -v[8:9]
	v_add_f64_e64 v[6:7], v[113:114], -v[2:3]
	scratch_store_b128 off, v[6:9], off offset:272
	v_cmpx_lt_u32_e32 15, v0
	s_cbranch_execz .LBB95_175
; %bb.174:
	scratch_load_b128 v[6:9], off, s14
	v_dual_mov_b32 v2, v1 :: v_dual_mov_b32 v3, v1
	v_mov_b32_e32 v4, v1
	scratch_store_b128 off, v[1:4], off offset:256
	s_wait_loadcnt 0x0
	ds_store_b128 v5, v[6:9]
.LBB95_175:
	s_wait_alu 0xfffe
	s_or_b32 exec_lo, exec_lo, s0
	s_wait_storecnt_dscnt 0x0
	s_barrier_signal -1
	s_barrier_wait -1
	global_inv scope:SCOPE_SE
	s_clause 0x8
	scratch_load_b128 v[6:9], off, off offset:272
	scratch_load_b128 v[77:80], off, off offset:288
	;; [unrolled: 1-line block ×9, first 2 shown]
	ds_load_b128 v[109:112], v1 offset:768
	ds_load_b128 v[113:116], v1 offset:784
	scratch_load_b128 v[117:120], off, off offset:256
	s_mov_b32 s0, exec_lo
	ds_load_b128 v[125:128], v1 offset:816
	s_wait_loadcnt_dscnt 0x902
	v_mul_f64_e32 v[2:3], v[111:112], v[8:9]
	v_mul_f64_e32 v[121:122], v[109:110], v[8:9]
	scratch_load_b128 v[8:11], off, off offset:416
	s_wait_loadcnt_dscnt 0x901
	v_mul_f64_e32 v[129:130], v[113:114], v[79:80]
	v_mul_f64_e32 v[79:80], v[115:116], v[79:80]
	v_fma_f64 v[2:3], v[109:110], v[6:7], -v[2:3]
	v_fma_f64 v[6:7], v[111:112], v[6:7], v[121:122]
	ds_load_b128 v[109:112], v1 offset:800
	scratch_load_b128 v[121:124], off, off offset:432
	v_fma_f64 v[115:116], v[115:116], v[77:78], v[129:130]
	v_fma_f64 v[113:114], v[113:114], v[77:78], -v[79:80]
	scratch_load_b128 v[77:80], off, off offset:448
	s_wait_loadcnt_dscnt 0x901
	v_mul_f64_e32 v[129:130], v[125:126], v[87:88]
	v_mul_f64_e32 v[87:88], v[127:128], v[87:88]
	s_wait_dscnt 0x0
	v_mul_f64_e32 v[131:132], v[109:110], v[83:84]
	v_mul_f64_e32 v[83:84], v[111:112], v[83:84]
	v_add_f64_e32 v[2:3], 0, v[2:3]
	v_add_f64_e32 v[6:7], 0, v[6:7]
	v_fma_f64 v[127:128], v[127:128], v[85:86], v[129:130]
	v_fma_f64 v[125:126], v[125:126], v[85:86], -v[87:88]
	scratch_load_b128 v[85:88], off, off offset:480
	v_fma_f64 v[131:132], v[111:112], v[81:82], v[131:132]
	v_fma_f64 v[133:134], v[109:110], v[81:82], -v[83:84]
	ds_load_b128 v[81:84], v1 offset:832
	scratch_load_b128 v[109:112], off, off offset:464
	v_add_f64_e32 v[2:3], v[2:3], v[113:114]
	v_add_f64_e32 v[6:7], v[6:7], v[115:116]
	ds_load_b128 v[113:116], v1 offset:848
	s_wait_loadcnt_dscnt 0xa01
	v_mul_f64_e32 v[135:136], v[81:82], v[91:92]
	v_mul_f64_e32 v[91:92], v[83:84], v[91:92]
	s_wait_loadcnt_dscnt 0x900
	v_mul_f64_e32 v[129:130], v[113:114], v[95:96]
	v_mul_f64_e32 v[95:96], v[115:116], v[95:96]
	v_add_f64_e32 v[2:3], v[2:3], v[133:134]
	v_add_f64_e32 v[6:7], v[6:7], v[131:132]
	v_fma_f64 v[131:132], v[83:84], v[89:90], v[135:136]
	v_fma_f64 v[133:134], v[81:82], v[89:90], -v[91:92]
	ds_load_b128 v[81:84], v1 offset:864
	scratch_load_b128 v[89:92], off, off offset:496
	v_fma_f64 v[115:116], v[115:116], v[93:94], v[129:130]
	v_fma_f64 v[113:114], v[113:114], v[93:94], -v[95:96]
	scratch_load_b128 v[93:96], off, off offset:512
	v_add_f64_e32 v[2:3], v[2:3], v[125:126]
	v_add_f64_e32 v[6:7], v[6:7], v[127:128]
	ds_load_b128 v[125:128], v1 offset:880
	s_wait_loadcnt_dscnt 0xa01
	v_mul_f64_e32 v[135:136], v[81:82], v[99:100]
	v_mul_f64_e32 v[99:100], v[83:84], v[99:100]
	s_wait_loadcnt_dscnt 0x900
	v_mul_f64_e32 v[129:130], v[125:126], v[103:104]
	v_mul_f64_e32 v[103:104], v[127:128], v[103:104]
	v_add_f64_e32 v[2:3], v[2:3], v[133:134]
	v_add_f64_e32 v[6:7], v[6:7], v[131:132]
	v_fma_f64 v[131:132], v[83:84], v[97:98], v[135:136]
	v_fma_f64 v[133:134], v[81:82], v[97:98], -v[99:100]
	ds_load_b128 v[81:84], v1 offset:896
	ds_load_b128 v[97:100], v1 offset:912
	v_add_f64_e32 v[2:3], v[2:3], v[113:114]
	v_add_f64_e32 v[6:7], v[6:7], v[115:116]
	s_wait_loadcnt_dscnt 0x801
	v_mul_f64_e32 v[113:114], v[81:82], v[107:108]
	v_mul_f64_e32 v[107:108], v[83:84], v[107:108]
	v_fma_f64 v[115:116], v[127:128], v[101:102], v[129:130]
	v_fma_f64 v[101:102], v[125:126], v[101:102], -v[103:104]
	v_add_f64_e32 v[2:3], v[2:3], v[133:134]
	v_add_f64_e32 v[6:7], v[6:7], v[131:132]
	v_fma_f64 v[113:114], v[83:84], v[105:106], v[113:114]
	v_fma_f64 v[105:106], v[81:82], v[105:106], -v[107:108]
	s_wait_loadcnt_dscnt 0x600
	v_mul_f64_e32 v[125:126], v[97:98], v[10:11]
	v_mul_f64_e32 v[10:11], v[99:100], v[10:11]
	v_add_f64_e32 v[2:3], v[2:3], v[101:102]
	v_add_f64_e32 v[6:7], v[6:7], v[115:116]
	ds_load_b128 v[81:84], v1 offset:928
	ds_load_b128 v[101:104], v1 offset:944
	v_fma_f64 v[99:100], v[99:100], v[8:9], v[125:126]
	v_fma_f64 v[8:9], v[97:98], v[8:9], -v[10:11]
	s_wait_loadcnt_dscnt 0x501
	v_mul_f64_e32 v[107:108], v[81:82], v[123:124]
	v_mul_f64_e32 v[115:116], v[83:84], v[123:124]
	s_wait_loadcnt_dscnt 0x400
	v_mul_f64_e32 v[10:11], v[101:102], v[79:80]
	v_mul_f64_e32 v[97:98], v[103:104], v[79:80]
	v_add_f64_e32 v[2:3], v[2:3], v[105:106]
	v_add_f64_e32 v[6:7], v[6:7], v[113:114]
	v_fma_f64 v[83:84], v[83:84], v[121:122], v[107:108]
	v_fma_f64 v[105:106], v[81:82], v[121:122], -v[115:116]
	v_fma_f64 v[10:11], v[103:104], v[77:78], v[10:11]
	v_fma_f64 v[77:78], v[101:102], v[77:78], -v[97:98]
	v_add_f64_e32 v[2:3], v[2:3], v[8:9]
	v_add_f64_e32 v[99:100], v[6:7], v[99:100]
	ds_load_b128 v[6:9], v1 offset:960
	ds_load_b128 v[79:82], v1 offset:976
	s_wait_loadcnt_dscnt 0x201
	v_mul_f64_e32 v[107:108], v[6:7], v[111:112]
	v_mul_f64_e32 v[111:112], v[8:9], v[111:112]
	s_wait_dscnt 0x0
	v_mul_f64_e32 v[97:98], v[79:80], v[87:88]
	v_mul_f64_e32 v[87:88], v[81:82], v[87:88]
	v_add_f64_e32 v[2:3], v[2:3], v[105:106]
	v_add_f64_e32 v[83:84], v[99:100], v[83:84]
	v_fma_f64 v[99:100], v[8:9], v[109:110], v[107:108]
	v_fma_f64 v[101:102], v[6:7], v[109:110], -v[111:112]
	v_fma_f64 v[81:82], v[81:82], v[85:86], v[97:98]
	v_fma_f64 v[79:80], v[79:80], v[85:86], -v[87:88]
	v_add_f64_e32 v[77:78], v[2:3], v[77:78]
	v_add_f64_e32 v[10:11], v[83:84], v[10:11]
	ds_load_b128 v[6:9], v1 offset:992
	ds_load_b128 v[1:4], v1 offset:1008
	s_wait_loadcnt_dscnt 0x101
	v_mul_f64_e32 v[83:84], v[6:7], v[91:92]
	v_mul_f64_e32 v[91:92], v[8:9], v[91:92]
	s_wait_loadcnt_dscnt 0x0
	v_mul_f64_e32 v[85:86], v[1:2], v[95:96]
	v_mul_f64_e32 v[87:88], v[3:4], v[95:96]
	v_add_f64_e32 v[77:78], v[77:78], v[101:102]
	v_add_f64_e32 v[10:11], v[10:11], v[99:100]
	v_fma_f64 v[8:9], v[8:9], v[89:90], v[83:84]
	v_fma_f64 v[6:7], v[6:7], v[89:90], -v[91:92]
	v_fma_f64 v[3:4], v[3:4], v[93:94], v[85:86]
	v_fma_f64 v[1:2], v[1:2], v[93:94], -v[87:88]
	v_add_f64_e32 v[77:78], v[77:78], v[79:80]
	v_add_f64_e32 v[10:11], v[10:11], v[81:82]
	s_delay_alu instid0(VALU_DEP_2) | instskip(NEXT) | instid1(VALU_DEP_2)
	v_add_f64_e32 v[6:7], v[77:78], v[6:7]
	v_add_f64_e32 v[8:9], v[10:11], v[8:9]
	s_delay_alu instid0(VALU_DEP_2) | instskip(NEXT) | instid1(VALU_DEP_2)
	;; [unrolled: 3-line block ×3, first 2 shown]
	v_add_f64_e64 v[1:2], v[117:118], -v[1:2]
	v_add_f64_e64 v[3:4], v[119:120], -v[3:4]
	scratch_store_b128 off, v[1:4], off offset:256
	v_cmpx_lt_u32_e32 14, v0
	s_cbranch_execz .LBB95_177
; %bb.176:
	scratch_load_b128 v[1:4], off, s29
	v_mov_b32_e32 v6, 0
	s_delay_alu instid0(VALU_DEP_1)
	v_dual_mov_b32 v7, v6 :: v_dual_mov_b32 v8, v6
	v_mov_b32_e32 v9, v6
	scratch_store_b128 off, v[6:9], off offset:240
	s_wait_loadcnt 0x0
	ds_store_b128 v5, v[1:4]
.LBB95_177:
	s_wait_alu 0xfffe
	s_or_b32 exec_lo, exec_lo, s0
	s_wait_storecnt_dscnt 0x0
	s_barrier_signal -1
	s_barrier_wait -1
	global_inv scope:SCOPE_SE
	s_clause 0x7
	scratch_load_b128 v[6:9], off, off offset:256
	scratch_load_b128 v[77:80], off, off offset:272
	;; [unrolled: 1-line block ×8, first 2 shown]
	v_mov_b32_e32 v1, 0
	s_mov_b32 s0, exec_lo
	ds_load_b128 v[105:108], v1 offset:752
	s_clause 0x1
	scratch_load_b128 v[109:112], off, off offset:384
	scratch_load_b128 v[113:116], off, off offset:240
	ds_load_b128 v[117:120], v1 offset:768
	ds_load_b128 v[125:128], v1 offset:800
	s_wait_loadcnt_dscnt 0x902
	v_mul_f64_e32 v[2:3], v[107:108], v[8:9]
	v_mul_f64_e32 v[121:122], v[105:106], v[8:9]
	scratch_load_b128 v[8:11], off, off offset:400
	v_fma_f64 v[2:3], v[105:106], v[6:7], -v[2:3]
	v_fma_f64 v[6:7], v[107:108], v[6:7], v[121:122]
	ds_load_b128 v[105:108], v1 offset:784
	s_wait_loadcnt_dscnt 0x902
	v_mul_f64_e32 v[129:130], v[117:118], v[79:80]
	v_mul_f64_e32 v[79:80], v[119:120], v[79:80]
	scratch_load_b128 v[121:124], off, off offset:416
	s_wait_loadcnt_dscnt 0x900
	v_mul_f64_e32 v[131:132], v[105:106], v[83:84]
	v_mul_f64_e32 v[83:84], v[107:108], v[83:84]
	v_add_f64_e32 v[2:3], 0, v[2:3]
	v_add_f64_e32 v[6:7], 0, v[6:7]
	v_fma_f64 v[119:120], v[119:120], v[77:78], v[129:130]
	v_fma_f64 v[117:118], v[117:118], v[77:78], -v[79:80]
	scratch_load_b128 v[77:80], off, off offset:432
	v_fma_f64 v[131:132], v[107:108], v[81:82], v[131:132]
	v_fma_f64 v[133:134], v[105:106], v[81:82], -v[83:84]
	ds_load_b128 v[81:84], v1 offset:816
	s_wait_loadcnt 0x9
	v_mul_f64_e32 v[129:130], v[125:126], v[87:88]
	v_mul_f64_e32 v[87:88], v[127:128], v[87:88]
	scratch_load_b128 v[105:108], off, off offset:448
	v_add_f64_e32 v[6:7], v[6:7], v[119:120]
	v_add_f64_e32 v[2:3], v[2:3], v[117:118]
	ds_load_b128 v[117:120], v1 offset:832
	s_wait_loadcnt_dscnt 0x901
	v_mul_f64_e32 v[135:136], v[81:82], v[91:92]
	v_mul_f64_e32 v[91:92], v[83:84], v[91:92]
	v_fma_f64 v[127:128], v[127:128], v[85:86], v[129:130]
	v_fma_f64 v[125:126], v[125:126], v[85:86], -v[87:88]
	scratch_load_b128 v[85:88], off, off offset:464
	v_add_f64_e32 v[6:7], v[6:7], v[131:132]
	v_add_f64_e32 v[2:3], v[2:3], v[133:134]
	v_fma_f64 v[131:132], v[83:84], v[89:90], v[135:136]
	v_fma_f64 v[133:134], v[81:82], v[89:90], -v[91:92]
	ds_load_b128 v[81:84], v1 offset:848
	s_wait_loadcnt_dscnt 0x901
	v_mul_f64_e32 v[129:130], v[117:118], v[95:96]
	v_mul_f64_e32 v[95:96], v[119:120], v[95:96]
	scratch_load_b128 v[89:92], off, off offset:480
	s_wait_loadcnt_dscnt 0x900
	v_mul_f64_e32 v[135:136], v[81:82], v[99:100]
	v_mul_f64_e32 v[99:100], v[83:84], v[99:100]
	v_add_f64_e32 v[6:7], v[6:7], v[127:128]
	v_add_f64_e32 v[2:3], v[2:3], v[125:126]
	ds_load_b128 v[125:128], v1 offset:864
	v_fma_f64 v[119:120], v[119:120], v[93:94], v[129:130]
	v_fma_f64 v[117:118], v[117:118], v[93:94], -v[95:96]
	scratch_load_b128 v[93:96], off, off offset:496
	v_add_f64_e32 v[6:7], v[6:7], v[131:132]
	v_add_f64_e32 v[2:3], v[2:3], v[133:134]
	v_fma_f64 v[131:132], v[83:84], v[97:98], v[135:136]
	v_fma_f64 v[133:134], v[81:82], v[97:98], -v[99:100]
	ds_load_b128 v[81:84], v1 offset:880
	s_wait_loadcnt_dscnt 0x901
	v_mul_f64_e32 v[129:130], v[125:126], v[103:104]
	v_mul_f64_e32 v[103:104], v[127:128], v[103:104]
	scratch_load_b128 v[97:100], off, off offset:512
	s_wait_loadcnt_dscnt 0x900
	v_mul_f64_e32 v[135:136], v[81:82], v[111:112]
	v_mul_f64_e32 v[111:112], v[83:84], v[111:112]
	v_add_f64_e32 v[6:7], v[6:7], v[119:120]
	v_add_f64_e32 v[2:3], v[2:3], v[117:118]
	ds_load_b128 v[117:120], v1 offset:896
	v_fma_f64 v[127:128], v[127:128], v[101:102], v[129:130]
	v_fma_f64 v[101:102], v[125:126], v[101:102], -v[103:104]
	v_fma_f64 v[129:130], v[83:84], v[109:110], v[135:136]
	v_fma_f64 v[109:110], v[81:82], v[109:110], -v[111:112]
	v_add_f64_e32 v[6:7], v[6:7], v[131:132]
	v_add_f64_e32 v[2:3], v[2:3], v[133:134]
	s_wait_loadcnt_dscnt 0x700
	v_mul_f64_e32 v[125:126], v[117:118], v[10:11]
	v_mul_f64_e32 v[10:11], v[119:120], v[10:11]
	s_delay_alu instid0(VALU_DEP_4) | instskip(NEXT) | instid1(VALU_DEP_4)
	v_add_f64_e32 v[6:7], v[6:7], v[127:128]
	v_add_f64_e32 v[2:3], v[2:3], v[101:102]
	ds_load_b128 v[81:84], v1 offset:912
	ds_load_b128 v[101:104], v1 offset:928
	v_fma_f64 v[119:120], v[119:120], v[8:9], v[125:126]
	v_fma_f64 v[8:9], v[117:118], v[8:9], -v[10:11]
	s_wait_loadcnt_dscnt 0x601
	v_mul_f64_e32 v[111:112], v[81:82], v[123:124]
	v_mul_f64_e32 v[123:124], v[83:84], v[123:124]
	v_add_f64_e32 v[6:7], v[6:7], v[129:130]
	v_add_f64_e32 v[2:3], v[2:3], v[109:110]
	s_wait_loadcnt_dscnt 0x500
	v_mul_f64_e32 v[10:11], v[101:102], v[79:80]
	v_mul_f64_e32 v[109:110], v[103:104], v[79:80]
	v_fma_f64 v[83:84], v[83:84], v[121:122], v[111:112]
	v_fma_f64 v[111:112], v[81:82], v[121:122], -v[123:124]
	v_add_f64_e32 v[117:118], v[6:7], v[119:120]
	v_add_f64_e32 v[2:3], v[2:3], v[8:9]
	ds_load_b128 v[6:9], v1 offset:944
	ds_load_b128 v[79:82], v1 offset:960
	v_fma_f64 v[10:11], v[103:104], v[77:78], v[10:11]
	v_fma_f64 v[77:78], v[101:102], v[77:78], -v[109:110]
	s_wait_loadcnt_dscnt 0x401
	v_mul_f64_e32 v[119:120], v[6:7], v[107:108]
	v_mul_f64_e32 v[107:108], v[8:9], v[107:108]
	v_add_f64_e32 v[83:84], v[117:118], v[83:84]
	v_add_f64_e32 v[2:3], v[2:3], v[111:112]
	s_wait_loadcnt_dscnt 0x300
	v_mul_f64_e32 v[109:110], v[79:80], v[87:88]
	v_mul_f64_e32 v[87:88], v[81:82], v[87:88]
	v_fma_f64 v[111:112], v[8:9], v[105:106], v[119:120]
	v_fma_f64 v[105:106], v[6:7], v[105:106], -v[107:108]
	ds_load_b128 v[6:9], v1 offset:976
	ds_load_b128 v[101:104], v1 offset:992
	v_add_f64_e32 v[10:11], v[83:84], v[10:11]
	v_add_f64_e32 v[2:3], v[2:3], v[77:78]
	v_fma_f64 v[81:82], v[81:82], v[85:86], v[109:110]
	v_fma_f64 v[79:80], v[79:80], v[85:86], -v[87:88]
	s_wait_loadcnt_dscnt 0x201
	v_mul_f64_e32 v[77:78], v[6:7], v[91:92]
	v_mul_f64_e32 v[83:84], v[8:9], v[91:92]
	s_wait_loadcnt_dscnt 0x100
	v_mul_f64_e32 v[85:86], v[101:102], v[95:96]
	v_mul_f64_e32 v[87:88], v[103:104], v[95:96]
	v_add_f64_e32 v[10:11], v[10:11], v[111:112]
	v_add_f64_e32 v[2:3], v[2:3], v[105:106]
	v_fma_f64 v[77:78], v[8:9], v[89:90], v[77:78]
	v_fma_f64 v[83:84], v[6:7], v[89:90], -v[83:84]
	ds_load_b128 v[6:9], v1 offset:1008
	v_fma_f64 v[85:86], v[103:104], v[93:94], v[85:86]
	v_fma_f64 v[87:88], v[101:102], v[93:94], -v[87:88]
	v_add_f64_e32 v[10:11], v[10:11], v[81:82]
	v_add_f64_e32 v[2:3], v[2:3], v[79:80]
	s_wait_loadcnt_dscnt 0x0
	v_mul_f64_e32 v[79:80], v[6:7], v[99:100]
	v_mul_f64_e32 v[81:82], v[8:9], v[99:100]
	s_delay_alu instid0(VALU_DEP_4) | instskip(NEXT) | instid1(VALU_DEP_4)
	v_add_f64_e32 v[10:11], v[10:11], v[77:78]
	v_add_f64_e32 v[2:3], v[2:3], v[83:84]
	s_delay_alu instid0(VALU_DEP_4) | instskip(NEXT) | instid1(VALU_DEP_4)
	v_fma_f64 v[8:9], v[8:9], v[97:98], v[79:80]
	v_fma_f64 v[6:7], v[6:7], v[97:98], -v[81:82]
	s_delay_alu instid0(VALU_DEP_4) | instskip(NEXT) | instid1(VALU_DEP_4)
	v_add_f64_e32 v[10:11], v[10:11], v[85:86]
	v_add_f64_e32 v[2:3], v[2:3], v[87:88]
	s_delay_alu instid0(VALU_DEP_2) | instskip(NEXT) | instid1(VALU_DEP_2)
	v_add_f64_e32 v[8:9], v[10:11], v[8:9]
	v_add_f64_e32 v[2:3], v[2:3], v[6:7]
	s_delay_alu instid0(VALU_DEP_2) | instskip(NEXT) | instid1(VALU_DEP_2)
	v_add_f64_e64 v[8:9], v[115:116], -v[8:9]
	v_add_f64_e64 v[6:7], v[113:114], -v[2:3]
	scratch_store_b128 off, v[6:9], off offset:240
	v_cmpx_lt_u32_e32 13, v0
	s_cbranch_execz .LBB95_179
; %bb.178:
	scratch_load_b128 v[6:9], off, s13
	v_dual_mov_b32 v2, v1 :: v_dual_mov_b32 v3, v1
	v_mov_b32_e32 v4, v1
	scratch_store_b128 off, v[1:4], off offset:224
	s_wait_loadcnt 0x0
	ds_store_b128 v5, v[6:9]
.LBB95_179:
	s_wait_alu 0xfffe
	s_or_b32 exec_lo, exec_lo, s0
	s_wait_storecnt_dscnt 0x0
	s_barrier_signal -1
	s_barrier_wait -1
	global_inv scope:SCOPE_SE
	s_clause 0x8
	scratch_load_b128 v[6:9], off, off offset:240
	scratch_load_b128 v[77:80], off, off offset:256
	scratch_load_b128 v[81:84], off, off offset:272
	scratch_load_b128 v[85:88], off, off offset:288
	scratch_load_b128 v[89:92], off, off offset:304
	scratch_load_b128 v[93:96], off, off offset:320
	scratch_load_b128 v[97:100], off, off offset:336
	scratch_load_b128 v[101:104], off, off offset:352
	scratch_load_b128 v[105:108], off, off offset:368
	ds_load_b128 v[109:112], v1 offset:736
	ds_load_b128 v[113:116], v1 offset:752
	scratch_load_b128 v[117:120], off, off offset:224
	s_mov_b32 s0, exec_lo
	ds_load_b128 v[125:128], v1 offset:784
	s_wait_loadcnt_dscnt 0x902
	v_mul_f64_e32 v[2:3], v[111:112], v[8:9]
	v_mul_f64_e32 v[121:122], v[109:110], v[8:9]
	scratch_load_b128 v[8:11], off, off offset:384
	s_wait_loadcnt_dscnt 0x901
	v_mul_f64_e32 v[129:130], v[113:114], v[79:80]
	v_mul_f64_e32 v[79:80], v[115:116], v[79:80]
	v_fma_f64 v[2:3], v[109:110], v[6:7], -v[2:3]
	v_fma_f64 v[6:7], v[111:112], v[6:7], v[121:122]
	ds_load_b128 v[109:112], v1 offset:768
	scratch_load_b128 v[121:124], off, off offset:400
	v_fma_f64 v[115:116], v[115:116], v[77:78], v[129:130]
	v_fma_f64 v[113:114], v[113:114], v[77:78], -v[79:80]
	scratch_load_b128 v[77:80], off, off offset:416
	s_wait_loadcnt_dscnt 0x901
	v_mul_f64_e32 v[129:130], v[125:126], v[87:88]
	v_mul_f64_e32 v[87:88], v[127:128], v[87:88]
	s_wait_dscnt 0x0
	v_mul_f64_e32 v[131:132], v[109:110], v[83:84]
	v_mul_f64_e32 v[83:84], v[111:112], v[83:84]
	v_add_f64_e32 v[2:3], 0, v[2:3]
	v_add_f64_e32 v[6:7], 0, v[6:7]
	v_fma_f64 v[127:128], v[127:128], v[85:86], v[129:130]
	v_fma_f64 v[125:126], v[125:126], v[85:86], -v[87:88]
	scratch_load_b128 v[85:88], off, off offset:448
	v_fma_f64 v[131:132], v[111:112], v[81:82], v[131:132]
	v_fma_f64 v[133:134], v[109:110], v[81:82], -v[83:84]
	ds_load_b128 v[81:84], v1 offset:800
	scratch_load_b128 v[109:112], off, off offset:432
	v_add_f64_e32 v[2:3], v[2:3], v[113:114]
	v_add_f64_e32 v[6:7], v[6:7], v[115:116]
	ds_load_b128 v[113:116], v1 offset:816
	s_wait_loadcnt_dscnt 0xa01
	v_mul_f64_e32 v[135:136], v[81:82], v[91:92]
	v_mul_f64_e32 v[91:92], v[83:84], v[91:92]
	s_wait_loadcnt_dscnt 0x900
	v_mul_f64_e32 v[129:130], v[113:114], v[95:96]
	v_mul_f64_e32 v[95:96], v[115:116], v[95:96]
	v_add_f64_e32 v[2:3], v[2:3], v[133:134]
	v_add_f64_e32 v[6:7], v[6:7], v[131:132]
	v_fma_f64 v[131:132], v[83:84], v[89:90], v[135:136]
	v_fma_f64 v[133:134], v[81:82], v[89:90], -v[91:92]
	ds_load_b128 v[81:84], v1 offset:832
	scratch_load_b128 v[89:92], off, off offset:464
	v_fma_f64 v[115:116], v[115:116], v[93:94], v[129:130]
	v_fma_f64 v[113:114], v[113:114], v[93:94], -v[95:96]
	scratch_load_b128 v[93:96], off, off offset:480
	v_add_f64_e32 v[2:3], v[2:3], v[125:126]
	v_add_f64_e32 v[6:7], v[6:7], v[127:128]
	ds_load_b128 v[125:128], v1 offset:848
	s_wait_loadcnt_dscnt 0xa01
	v_mul_f64_e32 v[135:136], v[81:82], v[99:100]
	v_mul_f64_e32 v[99:100], v[83:84], v[99:100]
	s_wait_loadcnt_dscnt 0x900
	v_mul_f64_e32 v[129:130], v[125:126], v[103:104]
	v_mul_f64_e32 v[103:104], v[127:128], v[103:104]
	v_add_f64_e32 v[2:3], v[2:3], v[133:134]
	v_add_f64_e32 v[6:7], v[6:7], v[131:132]
	v_fma_f64 v[131:132], v[83:84], v[97:98], v[135:136]
	v_fma_f64 v[133:134], v[81:82], v[97:98], -v[99:100]
	ds_load_b128 v[81:84], v1 offset:864
	scratch_load_b128 v[97:100], off, off offset:496
	v_fma_f64 v[127:128], v[127:128], v[101:102], v[129:130]
	v_fma_f64 v[125:126], v[125:126], v[101:102], -v[103:104]
	scratch_load_b128 v[101:104], off, off offset:512
	v_add_f64_e32 v[2:3], v[2:3], v[113:114]
	v_add_f64_e32 v[6:7], v[6:7], v[115:116]
	ds_load_b128 v[113:116], v1 offset:880
	s_wait_loadcnt_dscnt 0xa01
	v_mul_f64_e32 v[135:136], v[81:82], v[107:108]
	v_mul_f64_e32 v[107:108], v[83:84], v[107:108]
	v_add_f64_e32 v[2:3], v[2:3], v[133:134]
	v_add_f64_e32 v[6:7], v[6:7], v[131:132]
	s_delay_alu instid0(VALU_DEP_4) | instskip(NEXT) | instid1(VALU_DEP_4)
	v_fma_f64 v[131:132], v[83:84], v[105:106], v[135:136]
	v_fma_f64 v[133:134], v[81:82], v[105:106], -v[107:108]
	ds_load_b128 v[81:84], v1 offset:896
	ds_load_b128 v[105:108], v1 offset:912
	s_wait_loadcnt_dscnt 0x802
	v_mul_f64_e32 v[129:130], v[113:114], v[10:11]
	v_mul_f64_e32 v[10:11], v[115:116], v[10:11]
	v_add_f64_e32 v[2:3], v[2:3], v[125:126]
	v_add_f64_e32 v[6:7], v[6:7], v[127:128]
	s_delay_alu instid0(VALU_DEP_4)
	v_fma_f64 v[115:116], v[115:116], v[8:9], v[129:130]
	s_wait_loadcnt_dscnt 0x701
	v_mul_f64_e32 v[125:126], v[81:82], v[123:124]
	v_mul_f64_e32 v[123:124], v[83:84], v[123:124]
	v_fma_f64 v[8:9], v[113:114], v[8:9], -v[10:11]
	s_wait_loadcnt_dscnt 0x600
	v_mul_f64_e32 v[10:11], v[105:106], v[79:80]
	v_mul_f64_e32 v[113:114], v[107:108], v[79:80]
	v_add_f64_e32 v[2:3], v[2:3], v[133:134]
	v_add_f64_e32 v[6:7], v[6:7], v[131:132]
	v_fma_f64 v[83:84], v[83:84], v[121:122], v[125:126]
	v_fma_f64 v[121:122], v[81:82], v[121:122], -v[123:124]
	v_fma_f64 v[10:11], v[107:108], v[77:78], v[10:11]
	v_fma_f64 v[77:78], v[105:106], v[77:78], -v[113:114]
	v_add_f64_e32 v[2:3], v[2:3], v[8:9]
	v_add_f64_e32 v[115:116], v[6:7], v[115:116]
	ds_load_b128 v[6:9], v1 offset:928
	ds_load_b128 v[79:82], v1 offset:944
	s_wait_loadcnt_dscnt 0x401
	v_mul_f64_e32 v[123:124], v[6:7], v[111:112]
	v_mul_f64_e32 v[111:112], v[8:9], v[111:112]
	s_wait_dscnt 0x0
	v_mul_f64_e32 v[113:114], v[79:80], v[87:88]
	v_mul_f64_e32 v[87:88], v[81:82], v[87:88]
	v_add_f64_e32 v[2:3], v[2:3], v[121:122]
	v_add_f64_e32 v[83:84], v[115:116], v[83:84]
	v_fma_f64 v[115:116], v[8:9], v[109:110], v[123:124]
	v_fma_f64 v[109:110], v[6:7], v[109:110], -v[111:112]
	ds_load_b128 v[6:9], v1 offset:960
	ds_load_b128 v[105:108], v1 offset:976
	v_fma_f64 v[81:82], v[81:82], v[85:86], v[113:114]
	v_fma_f64 v[79:80], v[79:80], v[85:86], -v[87:88]
	v_add_f64_e32 v[2:3], v[2:3], v[77:78]
	v_add_f64_e32 v[10:11], v[83:84], v[10:11]
	s_wait_loadcnt_dscnt 0x301
	v_mul_f64_e32 v[77:78], v[6:7], v[91:92]
	v_mul_f64_e32 v[83:84], v[8:9], v[91:92]
	s_wait_loadcnt_dscnt 0x200
	v_mul_f64_e32 v[85:86], v[105:106], v[95:96]
	v_mul_f64_e32 v[87:88], v[107:108], v[95:96]
	v_add_f64_e32 v[2:3], v[2:3], v[109:110]
	v_add_f64_e32 v[10:11], v[10:11], v[115:116]
	v_fma_f64 v[77:78], v[8:9], v[89:90], v[77:78]
	v_fma_f64 v[83:84], v[6:7], v[89:90], -v[83:84]
	v_fma_f64 v[85:86], v[107:108], v[93:94], v[85:86]
	v_fma_f64 v[87:88], v[105:106], v[93:94], -v[87:88]
	v_add_f64_e32 v[79:80], v[2:3], v[79:80]
	v_add_f64_e32 v[10:11], v[10:11], v[81:82]
	ds_load_b128 v[6:9], v1 offset:992
	ds_load_b128 v[1:4], v1 offset:1008
	s_wait_loadcnt_dscnt 0x101
	v_mul_f64_e32 v[81:82], v[6:7], v[99:100]
	v_mul_f64_e32 v[89:90], v[8:9], v[99:100]
	v_add_f64_e32 v[79:80], v[79:80], v[83:84]
	v_add_f64_e32 v[10:11], v[10:11], v[77:78]
	s_wait_loadcnt_dscnt 0x0
	v_mul_f64_e32 v[77:78], v[1:2], v[103:104]
	v_mul_f64_e32 v[83:84], v[3:4], v[103:104]
	v_fma_f64 v[8:9], v[8:9], v[97:98], v[81:82]
	v_fma_f64 v[6:7], v[6:7], v[97:98], -v[89:90]
	v_add_f64_e32 v[79:80], v[79:80], v[87:88]
	v_add_f64_e32 v[10:11], v[10:11], v[85:86]
	v_fma_f64 v[3:4], v[3:4], v[101:102], v[77:78]
	v_fma_f64 v[1:2], v[1:2], v[101:102], -v[83:84]
	s_delay_alu instid0(VALU_DEP_4) | instskip(NEXT) | instid1(VALU_DEP_4)
	v_add_f64_e32 v[6:7], v[79:80], v[6:7]
	v_add_f64_e32 v[8:9], v[10:11], v[8:9]
	s_delay_alu instid0(VALU_DEP_2) | instskip(NEXT) | instid1(VALU_DEP_2)
	v_add_f64_e32 v[1:2], v[6:7], v[1:2]
	v_add_f64_e32 v[3:4], v[8:9], v[3:4]
	s_delay_alu instid0(VALU_DEP_2) | instskip(NEXT) | instid1(VALU_DEP_2)
	v_add_f64_e64 v[1:2], v[117:118], -v[1:2]
	v_add_f64_e64 v[3:4], v[119:120], -v[3:4]
	scratch_store_b128 off, v[1:4], off offset:224
	v_cmpx_lt_u32_e32 12, v0
	s_cbranch_execz .LBB95_181
; %bb.180:
	scratch_load_b128 v[1:4], off, s28
	v_mov_b32_e32 v6, 0
	s_delay_alu instid0(VALU_DEP_1)
	v_dual_mov_b32 v7, v6 :: v_dual_mov_b32 v8, v6
	v_mov_b32_e32 v9, v6
	scratch_store_b128 off, v[6:9], off offset:208
	s_wait_loadcnt 0x0
	ds_store_b128 v5, v[1:4]
.LBB95_181:
	s_wait_alu 0xfffe
	s_or_b32 exec_lo, exec_lo, s0
	s_wait_storecnt_dscnt 0x0
	s_barrier_signal -1
	s_barrier_wait -1
	global_inv scope:SCOPE_SE
	s_clause 0x7
	scratch_load_b128 v[6:9], off, off offset:224
	scratch_load_b128 v[77:80], off, off offset:240
	;; [unrolled: 1-line block ×8, first 2 shown]
	v_mov_b32_e32 v1, 0
	s_mov_b32 s0, exec_lo
	ds_load_b128 v[105:108], v1 offset:720
	s_clause 0x1
	scratch_load_b128 v[109:112], off, off offset:352
	scratch_load_b128 v[113:116], off, off offset:208
	ds_load_b128 v[117:120], v1 offset:736
	ds_load_b128 v[125:128], v1 offset:768
	s_wait_loadcnt_dscnt 0x902
	v_mul_f64_e32 v[2:3], v[107:108], v[8:9]
	v_mul_f64_e32 v[121:122], v[105:106], v[8:9]
	scratch_load_b128 v[8:11], off, off offset:368
	v_fma_f64 v[2:3], v[105:106], v[6:7], -v[2:3]
	v_fma_f64 v[6:7], v[107:108], v[6:7], v[121:122]
	ds_load_b128 v[105:108], v1 offset:752
	s_wait_loadcnt_dscnt 0x902
	v_mul_f64_e32 v[129:130], v[117:118], v[79:80]
	v_mul_f64_e32 v[79:80], v[119:120], v[79:80]
	scratch_load_b128 v[121:124], off, off offset:384
	s_wait_loadcnt_dscnt 0x900
	v_mul_f64_e32 v[131:132], v[105:106], v[83:84]
	v_mul_f64_e32 v[83:84], v[107:108], v[83:84]
	v_add_f64_e32 v[2:3], 0, v[2:3]
	v_add_f64_e32 v[6:7], 0, v[6:7]
	v_fma_f64 v[119:120], v[119:120], v[77:78], v[129:130]
	v_fma_f64 v[117:118], v[117:118], v[77:78], -v[79:80]
	scratch_load_b128 v[77:80], off, off offset:400
	v_fma_f64 v[131:132], v[107:108], v[81:82], v[131:132]
	v_fma_f64 v[133:134], v[105:106], v[81:82], -v[83:84]
	ds_load_b128 v[81:84], v1 offset:784
	s_wait_loadcnt 0x9
	v_mul_f64_e32 v[129:130], v[125:126], v[87:88]
	v_mul_f64_e32 v[87:88], v[127:128], v[87:88]
	scratch_load_b128 v[105:108], off, off offset:416
	v_add_f64_e32 v[6:7], v[6:7], v[119:120]
	v_add_f64_e32 v[2:3], v[2:3], v[117:118]
	ds_load_b128 v[117:120], v1 offset:800
	s_wait_loadcnt_dscnt 0x901
	v_mul_f64_e32 v[135:136], v[81:82], v[91:92]
	v_mul_f64_e32 v[91:92], v[83:84], v[91:92]
	v_fma_f64 v[127:128], v[127:128], v[85:86], v[129:130]
	v_fma_f64 v[125:126], v[125:126], v[85:86], -v[87:88]
	scratch_load_b128 v[85:88], off, off offset:432
	v_add_f64_e32 v[6:7], v[6:7], v[131:132]
	v_add_f64_e32 v[2:3], v[2:3], v[133:134]
	v_fma_f64 v[131:132], v[83:84], v[89:90], v[135:136]
	v_fma_f64 v[133:134], v[81:82], v[89:90], -v[91:92]
	ds_load_b128 v[81:84], v1 offset:816
	s_wait_loadcnt_dscnt 0x901
	v_mul_f64_e32 v[129:130], v[117:118], v[95:96]
	v_mul_f64_e32 v[95:96], v[119:120], v[95:96]
	scratch_load_b128 v[89:92], off, off offset:448
	s_wait_loadcnt_dscnt 0x900
	v_mul_f64_e32 v[135:136], v[81:82], v[99:100]
	v_mul_f64_e32 v[99:100], v[83:84], v[99:100]
	v_add_f64_e32 v[6:7], v[6:7], v[127:128]
	v_add_f64_e32 v[2:3], v[2:3], v[125:126]
	ds_load_b128 v[125:128], v1 offset:832
	v_fma_f64 v[119:120], v[119:120], v[93:94], v[129:130]
	v_fma_f64 v[117:118], v[117:118], v[93:94], -v[95:96]
	scratch_load_b128 v[93:96], off, off offset:464
	v_add_f64_e32 v[6:7], v[6:7], v[131:132]
	v_add_f64_e32 v[2:3], v[2:3], v[133:134]
	v_fma_f64 v[131:132], v[83:84], v[97:98], v[135:136]
	v_fma_f64 v[133:134], v[81:82], v[97:98], -v[99:100]
	ds_load_b128 v[81:84], v1 offset:848
	s_wait_loadcnt_dscnt 0x901
	v_mul_f64_e32 v[129:130], v[125:126], v[103:104]
	v_mul_f64_e32 v[103:104], v[127:128], v[103:104]
	scratch_load_b128 v[97:100], off, off offset:480
	s_wait_loadcnt_dscnt 0x900
	v_mul_f64_e32 v[135:136], v[81:82], v[111:112]
	v_mul_f64_e32 v[111:112], v[83:84], v[111:112]
	v_add_f64_e32 v[6:7], v[6:7], v[119:120]
	v_add_f64_e32 v[2:3], v[2:3], v[117:118]
	ds_load_b128 v[117:120], v1 offset:864
	v_fma_f64 v[127:128], v[127:128], v[101:102], v[129:130]
	v_fma_f64 v[125:126], v[125:126], v[101:102], -v[103:104]
	scratch_load_b128 v[101:104], off, off offset:496
	v_add_f64_e32 v[6:7], v[6:7], v[131:132]
	v_add_f64_e32 v[2:3], v[2:3], v[133:134]
	v_fma_f64 v[131:132], v[83:84], v[109:110], v[135:136]
	v_fma_f64 v[133:134], v[81:82], v[109:110], -v[111:112]
	ds_load_b128 v[81:84], v1 offset:880
	scratch_load_b128 v[109:112], off, off offset:512
	s_wait_loadcnt_dscnt 0x901
	v_mul_f64_e32 v[129:130], v[117:118], v[10:11]
	v_mul_f64_e32 v[10:11], v[119:120], v[10:11]
	v_add_f64_e32 v[6:7], v[6:7], v[127:128]
	v_add_f64_e32 v[2:3], v[2:3], v[125:126]
	ds_load_b128 v[125:128], v1 offset:896
	v_fma_f64 v[119:120], v[119:120], v[8:9], v[129:130]
	v_fma_f64 v[8:9], v[117:118], v[8:9], -v[10:11]
	s_wait_loadcnt_dscnt 0x801
	v_mul_f64_e32 v[135:136], v[81:82], v[123:124]
	v_mul_f64_e32 v[123:124], v[83:84], v[123:124]
	v_add_f64_e32 v[6:7], v[6:7], v[131:132]
	v_add_f64_e32 v[2:3], v[2:3], v[133:134]
	s_wait_loadcnt_dscnt 0x700
	v_mul_f64_e32 v[10:11], v[125:126], v[79:80]
	v_mul_f64_e32 v[117:118], v[127:128], v[79:80]
	v_fma_f64 v[83:84], v[83:84], v[121:122], v[135:136]
	v_fma_f64 v[121:122], v[81:82], v[121:122], -v[123:124]
	v_add_f64_e32 v[119:120], v[6:7], v[119:120]
	v_add_f64_e32 v[2:3], v[2:3], v[8:9]
	ds_load_b128 v[6:9], v1 offset:912
	ds_load_b128 v[79:82], v1 offset:928
	v_fma_f64 v[10:11], v[127:128], v[77:78], v[10:11]
	v_fma_f64 v[77:78], v[125:126], v[77:78], -v[117:118]
	s_wait_loadcnt_dscnt 0x601
	v_mul_f64_e32 v[123:124], v[6:7], v[107:108]
	v_mul_f64_e32 v[107:108], v[8:9], v[107:108]
	v_add_f64_e32 v[83:84], v[119:120], v[83:84]
	v_add_f64_e32 v[2:3], v[2:3], v[121:122]
	s_wait_loadcnt_dscnt 0x500
	v_mul_f64_e32 v[117:118], v[79:80], v[87:88]
	v_mul_f64_e32 v[87:88], v[81:82], v[87:88]
	v_fma_f64 v[119:120], v[8:9], v[105:106], v[123:124]
	v_fma_f64 v[121:122], v[6:7], v[105:106], -v[107:108]
	ds_load_b128 v[6:9], v1 offset:944
	ds_load_b128 v[105:108], v1 offset:960
	v_add_f64_e32 v[10:11], v[83:84], v[10:11]
	v_add_f64_e32 v[2:3], v[2:3], v[77:78]
	v_fma_f64 v[81:82], v[81:82], v[85:86], v[117:118]
	v_fma_f64 v[79:80], v[79:80], v[85:86], -v[87:88]
	s_wait_loadcnt_dscnt 0x401
	v_mul_f64_e32 v[77:78], v[6:7], v[91:92]
	v_mul_f64_e32 v[83:84], v[8:9], v[91:92]
	s_wait_loadcnt_dscnt 0x300
	v_mul_f64_e32 v[85:86], v[105:106], v[95:96]
	v_mul_f64_e32 v[87:88], v[107:108], v[95:96]
	v_add_f64_e32 v[10:11], v[10:11], v[119:120]
	v_add_f64_e32 v[2:3], v[2:3], v[121:122]
	v_fma_f64 v[91:92], v[8:9], v[89:90], v[77:78]
	v_fma_f64 v[83:84], v[6:7], v[89:90], -v[83:84]
	v_fma_f64 v[85:86], v[107:108], v[93:94], v[85:86]
	v_fma_f64 v[87:88], v[105:106], v[93:94], -v[87:88]
	v_add_f64_e32 v[10:11], v[10:11], v[81:82]
	v_add_f64_e32 v[2:3], v[2:3], v[79:80]
	ds_load_b128 v[6:9], v1 offset:976
	ds_load_b128 v[77:80], v1 offset:992
	s_wait_loadcnt_dscnt 0x201
	v_mul_f64_e32 v[81:82], v[6:7], v[99:100]
	v_mul_f64_e32 v[89:90], v[8:9], v[99:100]
	v_add_f64_e32 v[10:11], v[10:11], v[91:92]
	v_add_f64_e32 v[2:3], v[2:3], v[83:84]
	s_wait_loadcnt_dscnt 0x100
	v_mul_f64_e32 v[83:84], v[77:78], v[103:104]
	v_mul_f64_e32 v[91:92], v[79:80], v[103:104]
	v_fma_f64 v[81:82], v[8:9], v[97:98], v[81:82]
	v_fma_f64 v[89:90], v[6:7], v[97:98], -v[89:90]
	ds_load_b128 v[6:9], v1 offset:1008
	v_add_f64_e32 v[10:11], v[10:11], v[85:86]
	v_add_f64_e32 v[2:3], v[2:3], v[87:88]
	v_fma_f64 v[79:80], v[79:80], v[101:102], v[83:84]
	v_fma_f64 v[77:78], v[77:78], v[101:102], -v[91:92]
	s_wait_loadcnt_dscnt 0x0
	v_mul_f64_e32 v[85:86], v[6:7], v[111:112]
	v_mul_f64_e32 v[87:88], v[8:9], v[111:112]
	v_add_f64_e32 v[10:11], v[10:11], v[81:82]
	v_add_f64_e32 v[2:3], v[2:3], v[89:90]
	s_delay_alu instid0(VALU_DEP_4) | instskip(NEXT) | instid1(VALU_DEP_4)
	v_fma_f64 v[8:9], v[8:9], v[109:110], v[85:86]
	v_fma_f64 v[6:7], v[6:7], v[109:110], -v[87:88]
	s_delay_alu instid0(VALU_DEP_4) | instskip(NEXT) | instid1(VALU_DEP_4)
	v_add_f64_e32 v[10:11], v[10:11], v[79:80]
	v_add_f64_e32 v[2:3], v[2:3], v[77:78]
	s_delay_alu instid0(VALU_DEP_2) | instskip(NEXT) | instid1(VALU_DEP_2)
	v_add_f64_e32 v[8:9], v[10:11], v[8:9]
	v_add_f64_e32 v[2:3], v[2:3], v[6:7]
	s_delay_alu instid0(VALU_DEP_2) | instskip(NEXT) | instid1(VALU_DEP_2)
	v_add_f64_e64 v[8:9], v[115:116], -v[8:9]
	v_add_f64_e64 v[6:7], v[113:114], -v[2:3]
	scratch_store_b128 off, v[6:9], off offset:208
	v_cmpx_lt_u32_e32 11, v0
	s_cbranch_execz .LBB95_183
; %bb.182:
	scratch_load_b128 v[6:9], off, s11
	v_dual_mov_b32 v2, v1 :: v_dual_mov_b32 v3, v1
	v_mov_b32_e32 v4, v1
	scratch_store_b128 off, v[1:4], off offset:192
	s_wait_loadcnt 0x0
	ds_store_b128 v5, v[6:9]
.LBB95_183:
	s_wait_alu 0xfffe
	s_or_b32 exec_lo, exec_lo, s0
	s_wait_storecnt_dscnt 0x0
	s_barrier_signal -1
	s_barrier_wait -1
	global_inv scope:SCOPE_SE
	s_clause 0x8
	scratch_load_b128 v[6:9], off, off offset:208
	scratch_load_b128 v[77:80], off, off offset:224
	;; [unrolled: 1-line block ×9, first 2 shown]
	ds_load_b128 v[109:112], v1 offset:704
	ds_load_b128 v[113:116], v1 offset:720
	scratch_load_b128 v[117:120], off, off offset:192
	s_mov_b32 s0, exec_lo
	ds_load_b128 v[125:128], v1 offset:752
	s_wait_loadcnt_dscnt 0x902
	v_mul_f64_e32 v[2:3], v[111:112], v[8:9]
	v_mul_f64_e32 v[121:122], v[109:110], v[8:9]
	scratch_load_b128 v[8:11], off, off offset:352
	s_wait_loadcnt_dscnt 0x901
	v_mul_f64_e32 v[129:130], v[113:114], v[79:80]
	v_mul_f64_e32 v[79:80], v[115:116], v[79:80]
	v_fma_f64 v[2:3], v[109:110], v[6:7], -v[2:3]
	v_fma_f64 v[6:7], v[111:112], v[6:7], v[121:122]
	ds_load_b128 v[109:112], v1 offset:736
	scratch_load_b128 v[121:124], off, off offset:368
	v_fma_f64 v[115:116], v[115:116], v[77:78], v[129:130]
	v_fma_f64 v[113:114], v[113:114], v[77:78], -v[79:80]
	scratch_load_b128 v[77:80], off, off offset:384
	s_wait_loadcnt_dscnt 0x901
	v_mul_f64_e32 v[129:130], v[125:126], v[87:88]
	v_mul_f64_e32 v[87:88], v[127:128], v[87:88]
	s_wait_dscnt 0x0
	v_mul_f64_e32 v[131:132], v[109:110], v[83:84]
	v_mul_f64_e32 v[83:84], v[111:112], v[83:84]
	v_add_f64_e32 v[2:3], 0, v[2:3]
	v_add_f64_e32 v[6:7], 0, v[6:7]
	v_fma_f64 v[127:128], v[127:128], v[85:86], v[129:130]
	v_fma_f64 v[125:126], v[125:126], v[85:86], -v[87:88]
	scratch_load_b128 v[85:88], off, off offset:416
	v_fma_f64 v[131:132], v[111:112], v[81:82], v[131:132]
	v_fma_f64 v[133:134], v[109:110], v[81:82], -v[83:84]
	ds_load_b128 v[81:84], v1 offset:768
	scratch_load_b128 v[109:112], off, off offset:400
	v_add_f64_e32 v[2:3], v[2:3], v[113:114]
	v_add_f64_e32 v[6:7], v[6:7], v[115:116]
	ds_load_b128 v[113:116], v1 offset:784
	s_wait_loadcnt_dscnt 0xa01
	v_mul_f64_e32 v[135:136], v[81:82], v[91:92]
	v_mul_f64_e32 v[91:92], v[83:84], v[91:92]
	s_wait_loadcnt_dscnt 0x900
	v_mul_f64_e32 v[129:130], v[113:114], v[95:96]
	v_mul_f64_e32 v[95:96], v[115:116], v[95:96]
	v_add_f64_e32 v[2:3], v[2:3], v[133:134]
	v_add_f64_e32 v[6:7], v[6:7], v[131:132]
	v_fma_f64 v[131:132], v[83:84], v[89:90], v[135:136]
	v_fma_f64 v[133:134], v[81:82], v[89:90], -v[91:92]
	ds_load_b128 v[81:84], v1 offset:800
	scratch_load_b128 v[89:92], off, off offset:432
	v_fma_f64 v[115:116], v[115:116], v[93:94], v[129:130]
	v_fma_f64 v[113:114], v[113:114], v[93:94], -v[95:96]
	scratch_load_b128 v[93:96], off, off offset:448
	v_add_f64_e32 v[2:3], v[2:3], v[125:126]
	v_add_f64_e32 v[6:7], v[6:7], v[127:128]
	ds_load_b128 v[125:128], v1 offset:816
	s_wait_loadcnt_dscnt 0xa01
	v_mul_f64_e32 v[135:136], v[81:82], v[99:100]
	v_mul_f64_e32 v[99:100], v[83:84], v[99:100]
	s_wait_loadcnt_dscnt 0x900
	v_mul_f64_e32 v[129:130], v[125:126], v[103:104]
	v_mul_f64_e32 v[103:104], v[127:128], v[103:104]
	v_add_f64_e32 v[2:3], v[2:3], v[133:134]
	v_add_f64_e32 v[6:7], v[6:7], v[131:132]
	v_fma_f64 v[131:132], v[83:84], v[97:98], v[135:136]
	v_fma_f64 v[133:134], v[81:82], v[97:98], -v[99:100]
	ds_load_b128 v[81:84], v1 offset:832
	scratch_load_b128 v[97:100], off, off offset:464
	v_fma_f64 v[127:128], v[127:128], v[101:102], v[129:130]
	v_fma_f64 v[125:126], v[125:126], v[101:102], -v[103:104]
	scratch_load_b128 v[101:104], off, off offset:480
	v_add_f64_e32 v[2:3], v[2:3], v[113:114]
	v_add_f64_e32 v[6:7], v[6:7], v[115:116]
	ds_load_b128 v[113:116], v1 offset:848
	s_wait_loadcnt_dscnt 0xa01
	v_mul_f64_e32 v[135:136], v[81:82], v[107:108]
	v_mul_f64_e32 v[107:108], v[83:84], v[107:108]
	v_add_f64_e32 v[2:3], v[2:3], v[133:134]
	v_add_f64_e32 v[6:7], v[6:7], v[131:132]
	s_delay_alu instid0(VALU_DEP_4) | instskip(NEXT) | instid1(VALU_DEP_4)
	v_fma_f64 v[131:132], v[83:84], v[105:106], v[135:136]
	v_fma_f64 v[133:134], v[81:82], v[105:106], -v[107:108]
	ds_load_b128 v[81:84], v1 offset:864
	scratch_load_b128 v[105:108], off, off offset:496
	s_wait_loadcnt_dscnt 0x901
	v_mul_f64_e32 v[129:130], v[113:114], v[10:11]
	v_mul_f64_e32 v[10:11], v[115:116], v[10:11]
	v_add_f64_e32 v[2:3], v[2:3], v[125:126]
	v_add_f64_e32 v[6:7], v[6:7], v[127:128]
	ds_load_b128 v[125:128], v1 offset:880
	v_fma_f64 v[115:116], v[115:116], v[8:9], v[129:130]
	s_wait_loadcnt_dscnt 0x801
	v_mul_f64_e32 v[135:136], v[81:82], v[123:124]
	v_mul_f64_e32 v[123:124], v[83:84], v[123:124]
	v_fma_f64 v[10:11], v[113:114], v[8:9], -v[10:11]
	s_wait_loadcnt_dscnt 0x700
	v_mul_f64_e32 v[129:130], v[125:126], v[79:80]
	v_add_f64_e32 v[2:3], v[2:3], v[133:134]
	v_add_f64_e32 v[113:114], v[6:7], v[131:132]
	scratch_load_b128 v[6:9], off, off offset:512
	v_mul_f64_e32 v[131:132], v[127:128], v[79:80]
	v_fma_f64 v[83:84], v[83:84], v[121:122], v[135:136]
	v_fma_f64 v[121:122], v[81:82], v[121:122], -v[123:124]
	v_fma_f64 v[127:128], v[127:128], v[77:78], v[129:130]
	v_add_f64_e32 v[2:3], v[2:3], v[10:11]
	v_add_f64_e32 v[10:11], v[113:114], v[115:116]
	ds_load_b128 v[79:82], v1 offset:896
	ds_load_b128 v[113:116], v1 offset:912
	v_fma_f64 v[77:78], v[125:126], v[77:78], -v[131:132]
	s_wait_loadcnt_dscnt 0x601
	v_mul_f64_e32 v[123:124], v[79:80], v[111:112]
	v_mul_f64_e32 v[111:112], v[81:82], v[111:112]
	v_add_f64_e32 v[2:3], v[2:3], v[121:122]
	v_add_f64_e32 v[10:11], v[10:11], v[83:84]
	s_wait_dscnt 0x0
	v_mul_f64_e32 v[121:122], v[113:114], v[87:88]
	v_mul_f64_e32 v[87:88], v[115:116], v[87:88]
	v_fma_f64 v[123:124], v[81:82], v[109:110], v[123:124]
	v_fma_f64 v[109:110], v[79:80], v[109:110], -v[111:112]
	v_add_f64_e32 v[2:3], v[2:3], v[77:78]
	v_add_f64_e32 v[10:11], v[10:11], v[127:128]
	ds_load_b128 v[77:80], v1 offset:928
	ds_load_b128 v[81:84], v1 offset:944
	v_fma_f64 v[115:116], v[115:116], v[85:86], v[121:122]
	v_fma_f64 v[85:86], v[113:114], v[85:86], -v[87:88]
	s_wait_loadcnt_dscnt 0x501
	v_mul_f64_e32 v[111:112], v[77:78], v[91:92]
	v_mul_f64_e32 v[91:92], v[79:80], v[91:92]
	v_add_f64_e32 v[2:3], v[2:3], v[109:110]
	v_add_f64_e32 v[10:11], v[10:11], v[123:124]
	s_wait_loadcnt_dscnt 0x400
	v_mul_f64_e32 v[109:110], v[81:82], v[95:96]
	v_mul_f64_e32 v[95:96], v[83:84], v[95:96]
	v_fma_f64 v[111:112], v[79:80], v[89:90], v[111:112]
	v_fma_f64 v[89:90], v[77:78], v[89:90], -v[91:92]
	v_add_f64_e32 v[2:3], v[2:3], v[85:86]
	v_add_f64_e32 v[10:11], v[10:11], v[115:116]
	ds_load_b128 v[77:80], v1 offset:960
	ds_load_b128 v[85:88], v1 offset:976
	v_fma_f64 v[83:84], v[83:84], v[93:94], v[109:110]
	v_fma_f64 v[81:82], v[81:82], v[93:94], -v[95:96]
	s_wait_loadcnt_dscnt 0x301
	v_mul_f64_e32 v[91:92], v[77:78], v[99:100]
	v_mul_f64_e32 v[99:100], v[79:80], v[99:100]
	s_wait_loadcnt_dscnt 0x200
	v_mul_f64_e32 v[93:94], v[87:88], v[103:104]
	v_add_f64_e32 v[2:3], v[2:3], v[89:90]
	v_add_f64_e32 v[10:11], v[10:11], v[111:112]
	v_mul_f64_e32 v[89:90], v[85:86], v[103:104]
	v_fma_f64 v[91:92], v[79:80], v[97:98], v[91:92]
	v_fma_f64 v[95:96], v[77:78], v[97:98], -v[99:100]
	v_fma_f64 v[85:86], v[85:86], v[101:102], -v[93:94]
	v_add_f64_e32 v[81:82], v[2:3], v[81:82]
	v_add_f64_e32 v[10:11], v[10:11], v[83:84]
	ds_load_b128 v[77:80], v1 offset:992
	ds_load_b128 v[1:4], v1 offset:1008
	v_fma_f64 v[87:88], v[87:88], v[101:102], v[89:90]
	s_wait_loadcnt_dscnt 0x101
	v_mul_f64_e32 v[83:84], v[77:78], v[107:108]
	v_mul_f64_e32 v[97:98], v[79:80], v[107:108]
	v_add_f64_e32 v[81:82], v[81:82], v[95:96]
	v_add_f64_e32 v[10:11], v[10:11], v[91:92]
	s_wait_loadcnt_dscnt 0x0
	v_mul_f64_e32 v[89:90], v[1:2], v[8:9]
	v_mul_f64_e32 v[8:9], v[3:4], v[8:9]
	v_fma_f64 v[79:80], v[79:80], v[105:106], v[83:84]
	v_fma_f64 v[77:78], v[77:78], v[105:106], -v[97:98]
	v_add_f64_e32 v[81:82], v[81:82], v[85:86]
	v_add_f64_e32 v[10:11], v[10:11], v[87:88]
	v_fma_f64 v[3:4], v[3:4], v[6:7], v[89:90]
	v_fma_f64 v[1:2], v[1:2], v[6:7], -v[8:9]
	s_delay_alu instid0(VALU_DEP_4) | instskip(NEXT) | instid1(VALU_DEP_4)
	v_add_f64_e32 v[6:7], v[81:82], v[77:78]
	v_add_f64_e32 v[8:9], v[10:11], v[79:80]
	s_delay_alu instid0(VALU_DEP_2) | instskip(NEXT) | instid1(VALU_DEP_2)
	v_add_f64_e32 v[1:2], v[6:7], v[1:2]
	v_add_f64_e32 v[3:4], v[8:9], v[3:4]
	s_delay_alu instid0(VALU_DEP_2) | instskip(NEXT) | instid1(VALU_DEP_2)
	v_add_f64_e64 v[1:2], v[117:118], -v[1:2]
	v_add_f64_e64 v[3:4], v[119:120], -v[3:4]
	scratch_store_b128 off, v[1:4], off offset:192
	v_cmpx_lt_u32_e32 10, v0
	s_cbranch_execz .LBB95_185
; %bb.184:
	scratch_load_b128 v[1:4], off, s27
	v_mov_b32_e32 v6, 0
	s_delay_alu instid0(VALU_DEP_1)
	v_dual_mov_b32 v7, v6 :: v_dual_mov_b32 v8, v6
	v_mov_b32_e32 v9, v6
	scratch_store_b128 off, v[6:9], off offset:176
	s_wait_loadcnt 0x0
	ds_store_b128 v5, v[1:4]
.LBB95_185:
	s_wait_alu 0xfffe
	s_or_b32 exec_lo, exec_lo, s0
	s_wait_storecnt_dscnt 0x0
	s_barrier_signal -1
	s_barrier_wait -1
	global_inv scope:SCOPE_SE
	s_clause 0x7
	scratch_load_b128 v[6:9], off, off offset:192
	scratch_load_b128 v[77:80], off, off offset:208
	;; [unrolled: 1-line block ×8, first 2 shown]
	v_mov_b32_e32 v1, 0
	s_mov_b32 s0, exec_lo
	ds_load_b128 v[105:108], v1 offset:688
	s_clause 0x1
	scratch_load_b128 v[109:112], off, off offset:320
	scratch_load_b128 v[113:116], off, off offset:176
	ds_load_b128 v[117:120], v1 offset:704
	ds_load_b128 v[125:128], v1 offset:736
	s_wait_loadcnt_dscnt 0x902
	v_mul_f64_e32 v[2:3], v[107:108], v[8:9]
	v_mul_f64_e32 v[121:122], v[105:106], v[8:9]
	scratch_load_b128 v[8:11], off, off offset:336
	v_fma_f64 v[2:3], v[105:106], v[6:7], -v[2:3]
	v_fma_f64 v[6:7], v[107:108], v[6:7], v[121:122]
	ds_load_b128 v[105:108], v1 offset:720
	s_wait_loadcnt_dscnt 0x902
	v_mul_f64_e32 v[129:130], v[117:118], v[79:80]
	v_mul_f64_e32 v[79:80], v[119:120], v[79:80]
	scratch_load_b128 v[121:124], off, off offset:352
	s_wait_loadcnt_dscnt 0x900
	v_mul_f64_e32 v[131:132], v[105:106], v[83:84]
	v_mul_f64_e32 v[83:84], v[107:108], v[83:84]
	v_add_f64_e32 v[2:3], 0, v[2:3]
	v_add_f64_e32 v[6:7], 0, v[6:7]
	v_fma_f64 v[119:120], v[119:120], v[77:78], v[129:130]
	v_fma_f64 v[117:118], v[117:118], v[77:78], -v[79:80]
	scratch_load_b128 v[77:80], off, off offset:368
	v_fma_f64 v[131:132], v[107:108], v[81:82], v[131:132]
	v_fma_f64 v[133:134], v[105:106], v[81:82], -v[83:84]
	ds_load_b128 v[81:84], v1 offset:752
	s_wait_loadcnt 0x9
	v_mul_f64_e32 v[129:130], v[125:126], v[87:88]
	v_mul_f64_e32 v[87:88], v[127:128], v[87:88]
	scratch_load_b128 v[105:108], off, off offset:384
	v_add_f64_e32 v[6:7], v[6:7], v[119:120]
	v_add_f64_e32 v[2:3], v[2:3], v[117:118]
	ds_load_b128 v[117:120], v1 offset:768
	s_wait_loadcnt_dscnt 0x901
	v_mul_f64_e32 v[135:136], v[81:82], v[91:92]
	v_mul_f64_e32 v[91:92], v[83:84], v[91:92]
	v_fma_f64 v[127:128], v[127:128], v[85:86], v[129:130]
	v_fma_f64 v[125:126], v[125:126], v[85:86], -v[87:88]
	scratch_load_b128 v[85:88], off, off offset:400
	v_add_f64_e32 v[6:7], v[6:7], v[131:132]
	v_add_f64_e32 v[2:3], v[2:3], v[133:134]
	v_fma_f64 v[131:132], v[83:84], v[89:90], v[135:136]
	v_fma_f64 v[133:134], v[81:82], v[89:90], -v[91:92]
	ds_load_b128 v[81:84], v1 offset:784
	s_wait_loadcnt_dscnt 0x901
	v_mul_f64_e32 v[129:130], v[117:118], v[95:96]
	v_mul_f64_e32 v[95:96], v[119:120], v[95:96]
	scratch_load_b128 v[89:92], off, off offset:416
	s_wait_loadcnt_dscnt 0x900
	v_mul_f64_e32 v[135:136], v[81:82], v[99:100]
	v_mul_f64_e32 v[99:100], v[83:84], v[99:100]
	v_add_f64_e32 v[6:7], v[6:7], v[127:128]
	v_add_f64_e32 v[2:3], v[2:3], v[125:126]
	ds_load_b128 v[125:128], v1 offset:800
	v_fma_f64 v[119:120], v[119:120], v[93:94], v[129:130]
	v_fma_f64 v[117:118], v[117:118], v[93:94], -v[95:96]
	scratch_load_b128 v[93:96], off, off offset:432
	v_add_f64_e32 v[6:7], v[6:7], v[131:132]
	v_add_f64_e32 v[2:3], v[2:3], v[133:134]
	v_fma_f64 v[131:132], v[83:84], v[97:98], v[135:136]
	v_fma_f64 v[133:134], v[81:82], v[97:98], -v[99:100]
	ds_load_b128 v[81:84], v1 offset:816
	s_wait_loadcnt_dscnt 0x901
	v_mul_f64_e32 v[129:130], v[125:126], v[103:104]
	v_mul_f64_e32 v[103:104], v[127:128], v[103:104]
	scratch_load_b128 v[97:100], off, off offset:448
	s_wait_loadcnt_dscnt 0x900
	v_mul_f64_e32 v[135:136], v[81:82], v[111:112]
	v_mul_f64_e32 v[111:112], v[83:84], v[111:112]
	v_add_f64_e32 v[6:7], v[6:7], v[119:120]
	v_add_f64_e32 v[2:3], v[2:3], v[117:118]
	ds_load_b128 v[117:120], v1 offset:832
	v_fma_f64 v[127:128], v[127:128], v[101:102], v[129:130]
	v_fma_f64 v[125:126], v[125:126], v[101:102], -v[103:104]
	scratch_load_b128 v[101:104], off, off offset:464
	v_add_f64_e32 v[6:7], v[6:7], v[131:132]
	v_add_f64_e32 v[2:3], v[2:3], v[133:134]
	v_fma_f64 v[131:132], v[83:84], v[109:110], v[135:136]
	v_fma_f64 v[133:134], v[81:82], v[109:110], -v[111:112]
	ds_load_b128 v[81:84], v1 offset:848
	scratch_load_b128 v[109:112], off, off offset:480
	s_wait_loadcnt_dscnt 0x901
	v_mul_f64_e32 v[129:130], v[117:118], v[10:11]
	v_mul_f64_e32 v[10:11], v[119:120], v[10:11]
	v_add_f64_e32 v[6:7], v[6:7], v[127:128]
	v_add_f64_e32 v[2:3], v[2:3], v[125:126]
	ds_load_b128 v[125:128], v1 offset:864
	v_fma_f64 v[119:120], v[119:120], v[8:9], v[129:130]
	v_fma_f64 v[10:11], v[117:118], v[8:9], -v[10:11]
	s_wait_loadcnt_dscnt 0x801
	v_mul_f64_e32 v[135:136], v[81:82], v[123:124]
	v_mul_f64_e32 v[123:124], v[83:84], v[123:124]
	v_add_f64_e32 v[117:118], v[6:7], v[131:132]
	v_add_f64_e32 v[2:3], v[2:3], v[133:134]
	scratch_load_b128 v[6:9], off, off offset:496
	v_fma_f64 v[83:84], v[83:84], v[121:122], v[135:136]
	v_fma_f64 v[133:134], v[81:82], v[121:122], -v[123:124]
	ds_load_b128 v[121:124], v1 offset:896
	s_wait_loadcnt_dscnt 0x801
	v_mul_f64_e32 v[129:130], v[125:126], v[79:80]
	v_mul_f64_e32 v[131:132], v[127:128], v[79:80]
	ds_load_b128 v[79:82], v1 offset:880
	v_add_f64_e32 v[2:3], v[2:3], v[10:11]
	v_add_f64_e32 v[10:11], v[117:118], v[119:120]
	scratch_load_b128 v[117:120], off, off offset:512
	s_wait_loadcnt_dscnt 0x800
	v_mul_f64_e32 v[135:136], v[79:80], v[107:108]
	v_mul_f64_e32 v[107:108], v[81:82], v[107:108]
	v_fma_f64 v[127:128], v[127:128], v[77:78], v[129:130]
	v_fma_f64 v[77:78], v[125:126], v[77:78], -v[131:132]
	v_add_f64_e32 v[2:3], v[2:3], v[133:134]
	v_add_f64_e32 v[10:11], v[10:11], v[83:84]
	s_wait_loadcnt 0x7
	v_mul_f64_e32 v[125:126], v[121:122], v[87:88]
	v_mul_f64_e32 v[87:88], v[123:124], v[87:88]
	v_fma_f64 v[129:130], v[81:82], v[105:106], v[135:136]
	v_fma_f64 v[105:106], v[79:80], v[105:106], -v[107:108]
	v_add_f64_e32 v[2:3], v[2:3], v[77:78]
	v_add_f64_e32 v[10:11], v[10:11], v[127:128]
	ds_load_b128 v[77:80], v1 offset:912
	ds_load_b128 v[81:84], v1 offset:928
	v_fma_f64 v[123:124], v[123:124], v[85:86], v[125:126]
	v_fma_f64 v[85:86], v[121:122], v[85:86], -v[87:88]
	s_wait_loadcnt_dscnt 0x601
	v_mul_f64_e32 v[107:108], v[77:78], v[91:92]
	v_mul_f64_e32 v[91:92], v[79:80], v[91:92]
	v_add_f64_e32 v[2:3], v[2:3], v[105:106]
	v_add_f64_e32 v[10:11], v[10:11], v[129:130]
	s_wait_loadcnt_dscnt 0x500
	v_mul_f64_e32 v[105:106], v[81:82], v[95:96]
	v_mul_f64_e32 v[95:96], v[83:84], v[95:96]
	v_fma_f64 v[107:108], v[79:80], v[89:90], v[107:108]
	v_fma_f64 v[89:90], v[77:78], v[89:90], -v[91:92]
	v_add_f64_e32 v[2:3], v[2:3], v[85:86]
	v_add_f64_e32 v[10:11], v[10:11], v[123:124]
	ds_load_b128 v[77:80], v1 offset:944
	ds_load_b128 v[85:88], v1 offset:960
	v_fma_f64 v[83:84], v[83:84], v[93:94], v[105:106]
	v_fma_f64 v[81:82], v[81:82], v[93:94], -v[95:96]
	s_wait_loadcnt_dscnt 0x401
	v_mul_f64_e32 v[91:92], v[77:78], v[99:100]
	v_mul_f64_e32 v[99:100], v[79:80], v[99:100]
	s_wait_loadcnt_dscnt 0x300
	v_mul_f64_e32 v[93:94], v[87:88], v[103:104]
	v_add_f64_e32 v[2:3], v[2:3], v[89:90]
	v_add_f64_e32 v[10:11], v[10:11], v[107:108]
	v_mul_f64_e32 v[89:90], v[85:86], v[103:104]
	v_fma_f64 v[91:92], v[79:80], v[97:98], v[91:92]
	v_fma_f64 v[95:96], v[77:78], v[97:98], -v[99:100]
	v_fma_f64 v[85:86], v[85:86], v[101:102], -v[93:94]
	v_add_f64_e32 v[2:3], v[2:3], v[81:82]
	v_add_f64_e32 v[10:11], v[10:11], v[83:84]
	ds_load_b128 v[77:80], v1 offset:976
	ds_load_b128 v[81:84], v1 offset:992
	v_fma_f64 v[87:88], v[87:88], v[101:102], v[89:90]
	s_wait_loadcnt_dscnt 0x201
	v_mul_f64_e32 v[97:98], v[77:78], v[111:112]
	v_mul_f64_e32 v[99:100], v[79:80], v[111:112]
	v_add_f64_e32 v[2:3], v[2:3], v[95:96]
	v_add_f64_e32 v[10:11], v[10:11], v[91:92]
	s_wait_loadcnt_dscnt 0x100
	v_mul_f64_e32 v[89:90], v[81:82], v[8:9]
	v_mul_f64_e32 v[91:92], v[83:84], v[8:9]
	v_fma_f64 v[79:80], v[79:80], v[109:110], v[97:98]
	v_fma_f64 v[77:78], v[77:78], v[109:110], -v[99:100]
	v_add_f64_e32 v[2:3], v[2:3], v[85:86]
	v_add_f64_e32 v[85:86], v[10:11], v[87:88]
	ds_load_b128 v[8:11], v1 offset:1008
	v_fma_f64 v[83:84], v[83:84], v[6:7], v[89:90]
	v_fma_f64 v[6:7], v[81:82], v[6:7], -v[91:92]
	s_wait_loadcnt_dscnt 0x0
	v_mul_f64_e32 v[87:88], v[8:9], v[119:120]
	v_mul_f64_e32 v[93:94], v[10:11], v[119:120]
	v_add_f64_e32 v[2:3], v[2:3], v[77:78]
	v_add_f64_e32 v[77:78], v[85:86], v[79:80]
	s_delay_alu instid0(VALU_DEP_4) | instskip(NEXT) | instid1(VALU_DEP_4)
	v_fma_f64 v[10:11], v[10:11], v[117:118], v[87:88]
	v_fma_f64 v[8:9], v[8:9], v[117:118], -v[93:94]
	s_delay_alu instid0(VALU_DEP_4) | instskip(NEXT) | instid1(VALU_DEP_4)
	v_add_f64_e32 v[2:3], v[2:3], v[6:7]
	v_add_f64_e32 v[6:7], v[77:78], v[83:84]
	s_delay_alu instid0(VALU_DEP_2) | instskip(NEXT) | instid1(VALU_DEP_2)
	v_add_f64_e32 v[2:3], v[2:3], v[8:9]
	v_add_f64_e32 v[8:9], v[6:7], v[10:11]
	s_delay_alu instid0(VALU_DEP_2) | instskip(NEXT) | instid1(VALU_DEP_2)
	v_add_f64_e64 v[6:7], v[113:114], -v[2:3]
	v_add_f64_e64 v[8:9], v[115:116], -v[8:9]
	scratch_store_b128 off, v[6:9], off offset:176
	v_cmpx_lt_u32_e32 9, v0
	s_cbranch_execz .LBB95_187
; %bb.186:
	scratch_load_b128 v[6:9], off, s10
	v_dual_mov_b32 v2, v1 :: v_dual_mov_b32 v3, v1
	v_mov_b32_e32 v4, v1
	scratch_store_b128 off, v[1:4], off offset:160
	s_wait_loadcnt 0x0
	ds_store_b128 v5, v[6:9]
.LBB95_187:
	s_wait_alu 0xfffe
	s_or_b32 exec_lo, exec_lo, s0
	s_wait_storecnt_dscnt 0x0
	s_barrier_signal -1
	s_barrier_wait -1
	global_inv scope:SCOPE_SE
	s_clause 0x8
	scratch_load_b128 v[6:9], off, off offset:176
	scratch_load_b128 v[77:80], off, off offset:192
	;; [unrolled: 1-line block ×9, first 2 shown]
	ds_load_b128 v[109:112], v1 offset:672
	ds_load_b128 v[113:116], v1 offset:688
	scratch_load_b128 v[117:120], off, off offset:160
	s_mov_b32 s0, exec_lo
	ds_load_b128 v[125:128], v1 offset:720
	s_wait_loadcnt_dscnt 0x902
	v_mul_f64_e32 v[2:3], v[111:112], v[8:9]
	v_mul_f64_e32 v[121:122], v[109:110], v[8:9]
	scratch_load_b128 v[8:11], off, off offset:320
	s_wait_loadcnt_dscnt 0x901
	v_mul_f64_e32 v[129:130], v[113:114], v[79:80]
	v_mul_f64_e32 v[79:80], v[115:116], v[79:80]
	v_fma_f64 v[2:3], v[109:110], v[6:7], -v[2:3]
	v_fma_f64 v[6:7], v[111:112], v[6:7], v[121:122]
	ds_load_b128 v[109:112], v1 offset:704
	scratch_load_b128 v[121:124], off, off offset:336
	v_fma_f64 v[115:116], v[115:116], v[77:78], v[129:130]
	v_fma_f64 v[113:114], v[113:114], v[77:78], -v[79:80]
	scratch_load_b128 v[77:80], off, off offset:352
	s_wait_loadcnt_dscnt 0x901
	v_mul_f64_e32 v[129:130], v[125:126], v[87:88]
	v_mul_f64_e32 v[87:88], v[127:128], v[87:88]
	s_wait_dscnt 0x0
	v_mul_f64_e32 v[131:132], v[109:110], v[83:84]
	v_mul_f64_e32 v[83:84], v[111:112], v[83:84]
	v_add_f64_e32 v[2:3], 0, v[2:3]
	v_add_f64_e32 v[6:7], 0, v[6:7]
	v_fma_f64 v[127:128], v[127:128], v[85:86], v[129:130]
	v_fma_f64 v[125:126], v[125:126], v[85:86], -v[87:88]
	scratch_load_b128 v[85:88], off, off offset:384
	v_fma_f64 v[131:132], v[111:112], v[81:82], v[131:132]
	v_fma_f64 v[133:134], v[109:110], v[81:82], -v[83:84]
	ds_load_b128 v[81:84], v1 offset:736
	scratch_load_b128 v[109:112], off, off offset:368
	v_add_f64_e32 v[2:3], v[2:3], v[113:114]
	v_add_f64_e32 v[6:7], v[6:7], v[115:116]
	ds_load_b128 v[113:116], v1 offset:752
	s_wait_loadcnt_dscnt 0xa01
	v_mul_f64_e32 v[135:136], v[81:82], v[91:92]
	v_mul_f64_e32 v[91:92], v[83:84], v[91:92]
	s_wait_loadcnt_dscnt 0x900
	v_mul_f64_e32 v[129:130], v[113:114], v[95:96]
	v_mul_f64_e32 v[95:96], v[115:116], v[95:96]
	v_add_f64_e32 v[2:3], v[2:3], v[133:134]
	v_add_f64_e32 v[6:7], v[6:7], v[131:132]
	v_fma_f64 v[131:132], v[83:84], v[89:90], v[135:136]
	v_fma_f64 v[133:134], v[81:82], v[89:90], -v[91:92]
	ds_load_b128 v[81:84], v1 offset:768
	scratch_load_b128 v[89:92], off, off offset:400
	v_fma_f64 v[115:116], v[115:116], v[93:94], v[129:130]
	v_fma_f64 v[113:114], v[113:114], v[93:94], -v[95:96]
	scratch_load_b128 v[93:96], off, off offset:416
	v_add_f64_e32 v[2:3], v[2:3], v[125:126]
	v_add_f64_e32 v[6:7], v[6:7], v[127:128]
	ds_load_b128 v[125:128], v1 offset:784
	s_wait_loadcnt_dscnt 0xa01
	v_mul_f64_e32 v[135:136], v[81:82], v[99:100]
	v_mul_f64_e32 v[99:100], v[83:84], v[99:100]
	s_wait_loadcnt_dscnt 0x900
	v_mul_f64_e32 v[129:130], v[125:126], v[103:104]
	v_mul_f64_e32 v[103:104], v[127:128], v[103:104]
	v_add_f64_e32 v[2:3], v[2:3], v[133:134]
	v_add_f64_e32 v[6:7], v[6:7], v[131:132]
	v_fma_f64 v[131:132], v[83:84], v[97:98], v[135:136]
	v_fma_f64 v[133:134], v[81:82], v[97:98], -v[99:100]
	ds_load_b128 v[81:84], v1 offset:800
	scratch_load_b128 v[97:100], off, off offset:432
	v_fma_f64 v[127:128], v[127:128], v[101:102], v[129:130]
	v_fma_f64 v[125:126], v[125:126], v[101:102], -v[103:104]
	scratch_load_b128 v[101:104], off, off offset:448
	v_add_f64_e32 v[2:3], v[2:3], v[113:114]
	v_add_f64_e32 v[6:7], v[6:7], v[115:116]
	ds_load_b128 v[113:116], v1 offset:816
	s_wait_loadcnt_dscnt 0xa01
	v_mul_f64_e32 v[135:136], v[81:82], v[107:108]
	v_mul_f64_e32 v[107:108], v[83:84], v[107:108]
	v_add_f64_e32 v[2:3], v[2:3], v[133:134]
	v_add_f64_e32 v[6:7], v[6:7], v[131:132]
	s_delay_alu instid0(VALU_DEP_4) | instskip(NEXT) | instid1(VALU_DEP_4)
	v_fma_f64 v[131:132], v[83:84], v[105:106], v[135:136]
	v_fma_f64 v[133:134], v[81:82], v[105:106], -v[107:108]
	ds_load_b128 v[81:84], v1 offset:832
	scratch_load_b128 v[105:108], off, off offset:464
	s_wait_loadcnt_dscnt 0x901
	v_mul_f64_e32 v[129:130], v[113:114], v[10:11]
	v_mul_f64_e32 v[10:11], v[115:116], v[10:11]
	v_add_f64_e32 v[2:3], v[2:3], v[125:126]
	v_add_f64_e32 v[6:7], v[6:7], v[127:128]
	ds_load_b128 v[125:128], v1 offset:848
	v_fma_f64 v[115:116], v[115:116], v[8:9], v[129:130]
	s_wait_loadcnt_dscnt 0x801
	v_mul_f64_e32 v[135:136], v[81:82], v[123:124]
	v_mul_f64_e32 v[123:124], v[83:84], v[123:124]
	v_fma_f64 v[10:11], v[113:114], v[8:9], -v[10:11]
	s_wait_loadcnt_dscnt 0x700
	v_mul_f64_e32 v[129:130], v[125:126], v[79:80]
	v_add_f64_e32 v[2:3], v[2:3], v[133:134]
	v_add_f64_e32 v[113:114], v[6:7], v[131:132]
	scratch_load_b128 v[6:9], off, off offset:480
	v_mul_f64_e32 v[131:132], v[127:128], v[79:80]
	v_fma_f64 v[83:84], v[83:84], v[121:122], v[135:136]
	v_fma_f64 v[133:134], v[81:82], v[121:122], -v[123:124]
	ds_load_b128 v[79:82], v1 offset:864
	ds_load_b128 v[121:124], v1 offset:880
	v_fma_f64 v[129:130], v[127:128], v[77:78], v[129:130]
	v_add_f64_e32 v[2:3], v[2:3], v[10:11]
	v_add_f64_e32 v[10:11], v[113:114], v[115:116]
	scratch_load_b128 v[113:116], off, off offset:496
	s_wait_loadcnt_dscnt 0x701
	v_mul_f64_e32 v[135:136], v[79:80], v[111:112]
	v_mul_f64_e32 v[111:112], v[81:82], v[111:112]
	v_fma_f64 v[77:78], v[125:126], v[77:78], -v[131:132]
	scratch_load_b128 v[125:128], off, off offset:512
	s_wait_dscnt 0x0
	v_mul_f64_e32 v[131:132], v[121:122], v[87:88]
	v_mul_f64_e32 v[87:88], v[123:124], v[87:88]
	v_add_f64_e32 v[2:3], v[2:3], v[133:134]
	v_add_f64_e32 v[10:11], v[10:11], v[83:84]
	v_fma_f64 v[133:134], v[81:82], v[109:110], v[135:136]
	v_fma_f64 v[109:110], v[79:80], v[109:110], -v[111:112]
	v_fma_f64 v[123:124], v[123:124], v[85:86], v[131:132]
	v_fma_f64 v[85:86], v[121:122], v[85:86], -v[87:88]
	v_add_f64_e32 v[2:3], v[2:3], v[77:78]
	v_add_f64_e32 v[10:11], v[10:11], v[129:130]
	ds_load_b128 v[77:80], v1 offset:896
	ds_load_b128 v[81:84], v1 offset:912
	s_wait_loadcnt_dscnt 0x701
	v_mul_f64_e32 v[111:112], v[77:78], v[91:92]
	v_mul_f64_e32 v[91:92], v[79:80], v[91:92]
	v_add_f64_e32 v[2:3], v[2:3], v[109:110]
	v_add_f64_e32 v[10:11], v[10:11], v[133:134]
	s_wait_loadcnt_dscnt 0x600
	v_mul_f64_e32 v[109:110], v[81:82], v[95:96]
	v_mul_f64_e32 v[95:96], v[83:84], v[95:96]
	v_fma_f64 v[111:112], v[79:80], v[89:90], v[111:112]
	v_fma_f64 v[89:90], v[77:78], v[89:90], -v[91:92]
	v_add_f64_e32 v[2:3], v[2:3], v[85:86]
	v_add_f64_e32 v[10:11], v[10:11], v[123:124]
	ds_load_b128 v[77:80], v1 offset:928
	ds_load_b128 v[85:88], v1 offset:944
	v_fma_f64 v[83:84], v[83:84], v[93:94], v[109:110]
	v_fma_f64 v[81:82], v[81:82], v[93:94], -v[95:96]
	s_wait_loadcnt_dscnt 0x501
	v_mul_f64_e32 v[91:92], v[77:78], v[99:100]
	v_mul_f64_e32 v[99:100], v[79:80], v[99:100]
	s_wait_loadcnt_dscnt 0x400
	v_mul_f64_e32 v[93:94], v[87:88], v[103:104]
	v_add_f64_e32 v[2:3], v[2:3], v[89:90]
	v_add_f64_e32 v[10:11], v[10:11], v[111:112]
	v_mul_f64_e32 v[89:90], v[85:86], v[103:104]
	v_fma_f64 v[91:92], v[79:80], v[97:98], v[91:92]
	v_fma_f64 v[95:96], v[77:78], v[97:98], -v[99:100]
	v_fma_f64 v[85:86], v[85:86], v[101:102], -v[93:94]
	v_add_f64_e32 v[2:3], v[2:3], v[81:82]
	v_add_f64_e32 v[10:11], v[10:11], v[83:84]
	ds_load_b128 v[77:80], v1 offset:960
	ds_load_b128 v[81:84], v1 offset:976
	v_fma_f64 v[87:88], v[87:88], v[101:102], v[89:90]
	s_wait_loadcnt_dscnt 0x301
	v_mul_f64_e32 v[97:98], v[77:78], v[107:108]
	v_mul_f64_e32 v[99:100], v[79:80], v[107:108]
	v_add_f64_e32 v[2:3], v[2:3], v[95:96]
	v_add_f64_e32 v[10:11], v[10:11], v[91:92]
	s_wait_loadcnt_dscnt 0x200
	v_mul_f64_e32 v[89:90], v[81:82], v[8:9]
	v_mul_f64_e32 v[91:92], v[83:84], v[8:9]
	v_fma_f64 v[79:80], v[79:80], v[105:106], v[97:98]
	v_fma_f64 v[77:78], v[77:78], v[105:106], -v[99:100]
	v_add_f64_e32 v[85:86], v[2:3], v[85:86]
	v_add_f64_e32 v[87:88], v[10:11], v[87:88]
	ds_load_b128 v[8:11], v1 offset:992
	ds_load_b128 v[1:4], v1 offset:1008
	v_fma_f64 v[83:84], v[83:84], v[6:7], v[89:90]
	v_fma_f64 v[6:7], v[81:82], v[6:7], -v[91:92]
	s_wait_loadcnt_dscnt 0x101
	v_mul_f64_e32 v[93:94], v[8:9], v[115:116]
	v_mul_f64_e32 v[95:96], v[10:11], v[115:116]
	s_wait_loadcnt_dscnt 0x0
	v_mul_f64_e32 v[81:82], v[1:2], v[127:128]
	v_add_f64_e32 v[77:78], v[85:86], v[77:78]
	v_add_f64_e32 v[79:80], v[87:88], v[79:80]
	v_mul_f64_e32 v[85:86], v[3:4], v[127:128]
	v_fma_f64 v[10:11], v[10:11], v[113:114], v[93:94]
	v_fma_f64 v[8:9], v[8:9], v[113:114], -v[95:96]
	v_fma_f64 v[3:4], v[3:4], v[125:126], v[81:82]
	v_add_f64_e32 v[6:7], v[77:78], v[6:7]
	v_add_f64_e32 v[77:78], v[79:80], v[83:84]
	v_fma_f64 v[1:2], v[1:2], v[125:126], -v[85:86]
	s_delay_alu instid0(VALU_DEP_3) | instskip(NEXT) | instid1(VALU_DEP_3)
	v_add_f64_e32 v[6:7], v[6:7], v[8:9]
	v_add_f64_e32 v[8:9], v[77:78], v[10:11]
	s_delay_alu instid0(VALU_DEP_2) | instskip(NEXT) | instid1(VALU_DEP_2)
	v_add_f64_e32 v[1:2], v[6:7], v[1:2]
	v_add_f64_e32 v[3:4], v[8:9], v[3:4]
	s_delay_alu instid0(VALU_DEP_2) | instskip(NEXT) | instid1(VALU_DEP_2)
	v_add_f64_e64 v[1:2], v[117:118], -v[1:2]
	v_add_f64_e64 v[3:4], v[119:120], -v[3:4]
	scratch_store_b128 off, v[1:4], off offset:160
	v_cmpx_lt_u32_e32 8, v0
	s_cbranch_execz .LBB95_189
; %bb.188:
	scratch_load_b128 v[1:4], off, s26
	v_mov_b32_e32 v6, 0
	s_delay_alu instid0(VALU_DEP_1)
	v_dual_mov_b32 v7, v6 :: v_dual_mov_b32 v8, v6
	v_mov_b32_e32 v9, v6
	scratch_store_b128 off, v[6:9], off offset:144
	s_wait_loadcnt 0x0
	ds_store_b128 v5, v[1:4]
.LBB95_189:
	s_wait_alu 0xfffe
	s_or_b32 exec_lo, exec_lo, s0
	s_wait_storecnt_dscnt 0x0
	s_barrier_signal -1
	s_barrier_wait -1
	global_inv scope:SCOPE_SE
	s_clause 0x7
	scratch_load_b128 v[6:9], off, off offset:160
	scratch_load_b128 v[77:80], off, off offset:176
	;; [unrolled: 1-line block ×8, first 2 shown]
	v_mov_b32_e32 v1, 0
	s_mov_b32 s0, exec_lo
	ds_load_b128 v[105:108], v1 offset:656
	s_clause 0x1
	scratch_load_b128 v[109:112], off, off offset:288
	scratch_load_b128 v[113:116], off, off offset:144
	ds_load_b128 v[117:120], v1 offset:672
	ds_load_b128 v[125:128], v1 offset:704
	s_wait_loadcnt_dscnt 0x902
	v_mul_f64_e32 v[2:3], v[107:108], v[8:9]
	v_mul_f64_e32 v[121:122], v[105:106], v[8:9]
	scratch_load_b128 v[8:11], off, off offset:304
	v_fma_f64 v[2:3], v[105:106], v[6:7], -v[2:3]
	v_fma_f64 v[6:7], v[107:108], v[6:7], v[121:122]
	ds_load_b128 v[105:108], v1 offset:688
	s_wait_loadcnt_dscnt 0x902
	v_mul_f64_e32 v[129:130], v[117:118], v[79:80]
	v_mul_f64_e32 v[79:80], v[119:120], v[79:80]
	scratch_load_b128 v[121:124], off, off offset:320
	s_wait_loadcnt_dscnt 0x900
	v_mul_f64_e32 v[131:132], v[105:106], v[83:84]
	v_mul_f64_e32 v[83:84], v[107:108], v[83:84]
	v_add_f64_e32 v[2:3], 0, v[2:3]
	v_add_f64_e32 v[6:7], 0, v[6:7]
	v_fma_f64 v[119:120], v[119:120], v[77:78], v[129:130]
	v_fma_f64 v[117:118], v[117:118], v[77:78], -v[79:80]
	scratch_load_b128 v[77:80], off, off offset:336
	v_fma_f64 v[131:132], v[107:108], v[81:82], v[131:132]
	v_fma_f64 v[133:134], v[105:106], v[81:82], -v[83:84]
	ds_load_b128 v[81:84], v1 offset:720
	s_wait_loadcnt 0x9
	v_mul_f64_e32 v[129:130], v[125:126], v[87:88]
	v_mul_f64_e32 v[87:88], v[127:128], v[87:88]
	scratch_load_b128 v[105:108], off, off offset:352
	v_add_f64_e32 v[6:7], v[6:7], v[119:120]
	v_add_f64_e32 v[2:3], v[2:3], v[117:118]
	ds_load_b128 v[117:120], v1 offset:736
	s_wait_loadcnt_dscnt 0x901
	v_mul_f64_e32 v[135:136], v[81:82], v[91:92]
	v_mul_f64_e32 v[91:92], v[83:84], v[91:92]
	v_fma_f64 v[127:128], v[127:128], v[85:86], v[129:130]
	v_fma_f64 v[125:126], v[125:126], v[85:86], -v[87:88]
	scratch_load_b128 v[85:88], off, off offset:368
	v_add_f64_e32 v[6:7], v[6:7], v[131:132]
	v_add_f64_e32 v[2:3], v[2:3], v[133:134]
	v_fma_f64 v[131:132], v[83:84], v[89:90], v[135:136]
	v_fma_f64 v[133:134], v[81:82], v[89:90], -v[91:92]
	ds_load_b128 v[81:84], v1 offset:752
	s_wait_loadcnt_dscnt 0x901
	v_mul_f64_e32 v[129:130], v[117:118], v[95:96]
	v_mul_f64_e32 v[95:96], v[119:120], v[95:96]
	scratch_load_b128 v[89:92], off, off offset:384
	s_wait_loadcnt_dscnt 0x900
	v_mul_f64_e32 v[135:136], v[81:82], v[99:100]
	v_mul_f64_e32 v[99:100], v[83:84], v[99:100]
	v_add_f64_e32 v[6:7], v[6:7], v[127:128]
	v_add_f64_e32 v[2:3], v[2:3], v[125:126]
	ds_load_b128 v[125:128], v1 offset:768
	v_fma_f64 v[119:120], v[119:120], v[93:94], v[129:130]
	v_fma_f64 v[117:118], v[117:118], v[93:94], -v[95:96]
	scratch_load_b128 v[93:96], off, off offset:400
	v_add_f64_e32 v[6:7], v[6:7], v[131:132]
	v_add_f64_e32 v[2:3], v[2:3], v[133:134]
	v_fma_f64 v[131:132], v[83:84], v[97:98], v[135:136]
	v_fma_f64 v[133:134], v[81:82], v[97:98], -v[99:100]
	ds_load_b128 v[81:84], v1 offset:784
	s_wait_loadcnt_dscnt 0x901
	v_mul_f64_e32 v[129:130], v[125:126], v[103:104]
	v_mul_f64_e32 v[103:104], v[127:128], v[103:104]
	scratch_load_b128 v[97:100], off, off offset:416
	s_wait_loadcnt_dscnt 0x900
	v_mul_f64_e32 v[135:136], v[81:82], v[111:112]
	v_mul_f64_e32 v[111:112], v[83:84], v[111:112]
	v_add_f64_e32 v[6:7], v[6:7], v[119:120]
	v_add_f64_e32 v[2:3], v[2:3], v[117:118]
	ds_load_b128 v[117:120], v1 offset:800
	v_fma_f64 v[127:128], v[127:128], v[101:102], v[129:130]
	v_fma_f64 v[125:126], v[125:126], v[101:102], -v[103:104]
	scratch_load_b128 v[101:104], off, off offset:432
	v_add_f64_e32 v[6:7], v[6:7], v[131:132]
	v_add_f64_e32 v[2:3], v[2:3], v[133:134]
	v_fma_f64 v[131:132], v[83:84], v[109:110], v[135:136]
	v_fma_f64 v[133:134], v[81:82], v[109:110], -v[111:112]
	ds_load_b128 v[81:84], v1 offset:816
	scratch_load_b128 v[109:112], off, off offset:448
	s_wait_loadcnt_dscnt 0x901
	v_mul_f64_e32 v[129:130], v[117:118], v[10:11]
	v_mul_f64_e32 v[10:11], v[119:120], v[10:11]
	v_add_f64_e32 v[6:7], v[6:7], v[127:128]
	v_add_f64_e32 v[2:3], v[2:3], v[125:126]
	ds_load_b128 v[125:128], v1 offset:832
	v_fma_f64 v[119:120], v[119:120], v[8:9], v[129:130]
	v_fma_f64 v[10:11], v[117:118], v[8:9], -v[10:11]
	s_wait_loadcnt_dscnt 0x801
	v_mul_f64_e32 v[135:136], v[81:82], v[123:124]
	v_mul_f64_e32 v[123:124], v[83:84], v[123:124]
	v_add_f64_e32 v[117:118], v[6:7], v[131:132]
	v_add_f64_e32 v[2:3], v[2:3], v[133:134]
	scratch_load_b128 v[6:9], off, off offset:464
	v_fma_f64 v[83:84], v[83:84], v[121:122], v[135:136]
	v_fma_f64 v[133:134], v[81:82], v[121:122], -v[123:124]
	ds_load_b128 v[121:124], v1 offset:864
	s_wait_loadcnt_dscnt 0x801
	v_mul_f64_e32 v[129:130], v[125:126], v[79:80]
	v_mul_f64_e32 v[131:132], v[127:128], v[79:80]
	ds_load_b128 v[79:82], v1 offset:848
	v_add_f64_e32 v[2:3], v[2:3], v[10:11]
	v_add_f64_e32 v[10:11], v[117:118], v[119:120]
	scratch_load_b128 v[117:120], off, off offset:480
	s_wait_loadcnt_dscnt 0x800
	v_mul_f64_e32 v[135:136], v[79:80], v[107:108]
	v_mul_f64_e32 v[107:108], v[81:82], v[107:108]
	v_fma_f64 v[129:130], v[127:128], v[77:78], v[129:130]
	v_fma_f64 v[77:78], v[125:126], v[77:78], -v[131:132]
	scratch_load_b128 v[125:128], off, off offset:496
	v_add_f64_e32 v[2:3], v[2:3], v[133:134]
	v_add_f64_e32 v[10:11], v[10:11], v[83:84]
	s_wait_loadcnt 0x8
	v_mul_f64_e32 v[131:132], v[121:122], v[87:88]
	v_mul_f64_e32 v[87:88], v[123:124], v[87:88]
	v_fma_f64 v[133:134], v[81:82], v[105:106], v[135:136]
	v_fma_f64 v[135:136], v[79:80], v[105:106], -v[107:108]
	scratch_load_b128 v[81:84], off, off offset:512
	ds_load_b128 v[105:108], v1 offset:896
	v_add_f64_e32 v[2:3], v[2:3], v[77:78]
	v_add_f64_e32 v[10:11], v[10:11], v[129:130]
	ds_load_b128 v[77:80], v1 offset:880
	v_fma_f64 v[123:124], v[123:124], v[85:86], v[131:132]
	v_fma_f64 v[85:86], v[121:122], v[85:86], -v[87:88]
	s_wait_loadcnt_dscnt 0x800
	v_mul_f64_e32 v[129:130], v[77:78], v[91:92]
	v_mul_f64_e32 v[91:92], v[79:80], v[91:92]
	s_wait_loadcnt 0x7
	v_mul_f64_e32 v[121:122], v[105:106], v[95:96]
	v_mul_f64_e32 v[95:96], v[107:108], v[95:96]
	v_add_f64_e32 v[2:3], v[2:3], v[135:136]
	v_add_f64_e32 v[10:11], v[10:11], v[133:134]
	v_fma_f64 v[129:130], v[79:80], v[89:90], v[129:130]
	v_fma_f64 v[89:90], v[77:78], v[89:90], -v[91:92]
	v_fma_f64 v[107:108], v[107:108], v[93:94], v[121:122]
	v_fma_f64 v[93:94], v[105:106], v[93:94], -v[95:96]
	v_add_f64_e32 v[2:3], v[2:3], v[85:86]
	v_add_f64_e32 v[10:11], v[10:11], v[123:124]
	ds_load_b128 v[77:80], v1 offset:912
	ds_load_b128 v[85:88], v1 offset:928
	s_wait_loadcnt_dscnt 0x601
	v_mul_f64_e32 v[91:92], v[77:78], v[99:100]
	v_mul_f64_e32 v[99:100], v[79:80], v[99:100]
	s_wait_loadcnt_dscnt 0x500
	v_mul_f64_e32 v[95:96], v[85:86], v[103:104]
	v_mul_f64_e32 v[103:104], v[87:88], v[103:104]
	v_add_f64_e32 v[2:3], v[2:3], v[89:90]
	v_add_f64_e32 v[10:11], v[10:11], v[129:130]
	v_fma_f64 v[105:106], v[79:80], v[97:98], v[91:92]
	v_fma_f64 v[97:98], v[77:78], v[97:98], -v[99:100]
	ds_load_b128 v[77:80], v1 offset:944
	ds_load_b128 v[89:92], v1 offset:960
	v_fma_f64 v[87:88], v[87:88], v[101:102], v[95:96]
	v_fma_f64 v[85:86], v[85:86], v[101:102], -v[103:104]
	v_add_f64_e32 v[2:3], v[2:3], v[93:94]
	v_add_f64_e32 v[10:11], v[10:11], v[107:108]
	s_wait_loadcnt_dscnt 0x401
	v_mul_f64_e32 v[93:94], v[77:78], v[111:112]
	v_mul_f64_e32 v[99:100], v[79:80], v[111:112]
	s_delay_alu instid0(VALU_DEP_4) | instskip(NEXT) | instid1(VALU_DEP_4)
	v_add_f64_e32 v[2:3], v[2:3], v[97:98]
	v_add_f64_e32 v[10:11], v[10:11], v[105:106]
	s_delay_alu instid0(VALU_DEP_4) | instskip(NEXT) | instid1(VALU_DEP_4)
	v_fma_f64 v[93:94], v[79:80], v[109:110], v[93:94]
	v_fma_f64 v[99:100], v[77:78], v[109:110], -v[99:100]
	s_wait_loadcnt_dscnt 0x300
	v_mul_f64_e32 v[95:96], v[89:90], v[8:9]
	v_mul_f64_e32 v[97:98], v[91:92], v[8:9]
	v_add_f64_e32 v[2:3], v[2:3], v[85:86]
	v_add_f64_e32 v[85:86], v[10:11], v[87:88]
	ds_load_b128 v[8:11], v1 offset:976
	ds_load_b128 v[77:80], v1 offset:992
	v_fma_f64 v[91:92], v[91:92], v[6:7], v[95:96]
	v_fma_f64 v[6:7], v[89:90], v[6:7], -v[97:98]
	s_wait_loadcnt_dscnt 0x201
	v_mul_f64_e32 v[87:88], v[8:9], v[119:120]
	v_mul_f64_e32 v[101:102], v[10:11], v[119:120]
	s_wait_loadcnt_dscnt 0x100
	v_mul_f64_e32 v[89:90], v[77:78], v[127:128]
	v_add_f64_e32 v[2:3], v[2:3], v[99:100]
	v_add_f64_e32 v[85:86], v[85:86], v[93:94]
	v_mul_f64_e32 v[93:94], v[79:80], v[127:128]
	v_fma_f64 v[10:11], v[10:11], v[117:118], v[87:88]
	v_fma_f64 v[87:88], v[8:9], v[117:118], -v[101:102]
	v_fma_f64 v[79:80], v[79:80], v[125:126], v[89:90]
	v_add_f64_e32 v[2:3], v[2:3], v[6:7]
	v_add_f64_e32 v[85:86], v[85:86], v[91:92]
	ds_load_b128 v[6:9], v1 offset:1008
	v_fma_f64 v[77:78], v[77:78], v[125:126], -v[93:94]
	s_wait_loadcnt_dscnt 0x0
	v_mul_f64_e32 v[91:92], v[6:7], v[83:84]
	v_mul_f64_e32 v[83:84], v[8:9], v[83:84]
	v_add_f64_e32 v[2:3], v[2:3], v[87:88]
	v_add_f64_e32 v[10:11], v[85:86], v[10:11]
	s_delay_alu instid0(VALU_DEP_4) | instskip(NEXT) | instid1(VALU_DEP_4)
	v_fma_f64 v[8:9], v[8:9], v[81:82], v[91:92]
	v_fma_f64 v[6:7], v[6:7], v[81:82], -v[83:84]
	s_delay_alu instid0(VALU_DEP_4) | instskip(NEXT) | instid1(VALU_DEP_4)
	v_add_f64_e32 v[2:3], v[2:3], v[77:78]
	v_add_f64_e32 v[10:11], v[10:11], v[79:80]
	s_delay_alu instid0(VALU_DEP_2) | instskip(NEXT) | instid1(VALU_DEP_2)
	v_add_f64_e32 v[2:3], v[2:3], v[6:7]
	v_add_f64_e32 v[8:9], v[10:11], v[8:9]
	s_delay_alu instid0(VALU_DEP_2) | instskip(NEXT) | instid1(VALU_DEP_2)
	v_add_f64_e64 v[6:7], v[113:114], -v[2:3]
	v_add_f64_e64 v[8:9], v[115:116], -v[8:9]
	scratch_store_b128 off, v[6:9], off offset:144
	v_cmpx_lt_u32_e32 7, v0
	s_cbranch_execz .LBB95_191
; %bb.190:
	scratch_load_b128 v[6:9], off, s5
	v_dual_mov_b32 v2, v1 :: v_dual_mov_b32 v3, v1
	v_mov_b32_e32 v4, v1
	scratch_store_b128 off, v[1:4], off offset:128
	s_wait_loadcnt 0x0
	ds_store_b128 v5, v[6:9]
.LBB95_191:
	s_wait_alu 0xfffe
	s_or_b32 exec_lo, exec_lo, s0
	s_wait_storecnt_dscnt 0x0
	s_barrier_signal -1
	s_barrier_wait -1
	global_inv scope:SCOPE_SE
	s_clause 0x8
	scratch_load_b128 v[6:9], off, off offset:144
	scratch_load_b128 v[77:80], off, off offset:160
	;; [unrolled: 1-line block ×9, first 2 shown]
	ds_load_b128 v[109:112], v1 offset:640
	ds_load_b128 v[113:116], v1 offset:656
	scratch_load_b128 v[117:120], off, off offset:128
	s_mov_b32 s0, exec_lo
	ds_load_b128 v[125:128], v1 offset:688
	s_wait_loadcnt_dscnt 0x902
	v_mul_f64_e32 v[2:3], v[111:112], v[8:9]
	v_mul_f64_e32 v[121:122], v[109:110], v[8:9]
	scratch_load_b128 v[8:11], off, off offset:288
	s_wait_loadcnt_dscnt 0x901
	v_mul_f64_e32 v[129:130], v[113:114], v[79:80]
	v_mul_f64_e32 v[79:80], v[115:116], v[79:80]
	v_fma_f64 v[2:3], v[109:110], v[6:7], -v[2:3]
	v_fma_f64 v[6:7], v[111:112], v[6:7], v[121:122]
	ds_load_b128 v[109:112], v1 offset:672
	scratch_load_b128 v[121:124], off, off offset:304
	v_fma_f64 v[115:116], v[115:116], v[77:78], v[129:130]
	v_fma_f64 v[113:114], v[113:114], v[77:78], -v[79:80]
	scratch_load_b128 v[77:80], off, off offset:320
	s_wait_loadcnt_dscnt 0x901
	v_mul_f64_e32 v[129:130], v[125:126], v[87:88]
	v_mul_f64_e32 v[87:88], v[127:128], v[87:88]
	s_wait_dscnt 0x0
	v_mul_f64_e32 v[131:132], v[109:110], v[83:84]
	v_mul_f64_e32 v[83:84], v[111:112], v[83:84]
	v_add_f64_e32 v[2:3], 0, v[2:3]
	v_add_f64_e32 v[6:7], 0, v[6:7]
	v_fma_f64 v[127:128], v[127:128], v[85:86], v[129:130]
	v_fma_f64 v[125:126], v[125:126], v[85:86], -v[87:88]
	scratch_load_b128 v[85:88], off, off offset:352
	v_fma_f64 v[131:132], v[111:112], v[81:82], v[131:132]
	v_fma_f64 v[133:134], v[109:110], v[81:82], -v[83:84]
	ds_load_b128 v[81:84], v1 offset:704
	scratch_load_b128 v[109:112], off, off offset:336
	v_add_f64_e32 v[2:3], v[2:3], v[113:114]
	v_add_f64_e32 v[6:7], v[6:7], v[115:116]
	ds_load_b128 v[113:116], v1 offset:720
	s_wait_loadcnt_dscnt 0xa01
	v_mul_f64_e32 v[135:136], v[81:82], v[91:92]
	v_mul_f64_e32 v[91:92], v[83:84], v[91:92]
	s_wait_loadcnt_dscnt 0x900
	v_mul_f64_e32 v[129:130], v[113:114], v[95:96]
	v_mul_f64_e32 v[95:96], v[115:116], v[95:96]
	v_add_f64_e32 v[2:3], v[2:3], v[133:134]
	v_add_f64_e32 v[6:7], v[6:7], v[131:132]
	v_fma_f64 v[131:132], v[83:84], v[89:90], v[135:136]
	v_fma_f64 v[133:134], v[81:82], v[89:90], -v[91:92]
	ds_load_b128 v[81:84], v1 offset:736
	scratch_load_b128 v[89:92], off, off offset:368
	v_fma_f64 v[115:116], v[115:116], v[93:94], v[129:130]
	v_fma_f64 v[113:114], v[113:114], v[93:94], -v[95:96]
	scratch_load_b128 v[93:96], off, off offset:384
	v_add_f64_e32 v[2:3], v[2:3], v[125:126]
	v_add_f64_e32 v[6:7], v[6:7], v[127:128]
	ds_load_b128 v[125:128], v1 offset:752
	s_wait_loadcnt_dscnt 0xa01
	v_mul_f64_e32 v[135:136], v[81:82], v[99:100]
	v_mul_f64_e32 v[99:100], v[83:84], v[99:100]
	s_wait_loadcnt_dscnt 0x900
	v_mul_f64_e32 v[129:130], v[125:126], v[103:104]
	v_mul_f64_e32 v[103:104], v[127:128], v[103:104]
	v_add_f64_e32 v[2:3], v[2:3], v[133:134]
	v_add_f64_e32 v[6:7], v[6:7], v[131:132]
	v_fma_f64 v[131:132], v[83:84], v[97:98], v[135:136]
	v_fma_f64 v[133:134], v[81:82], v[97:98], -v[99:100]
	ds_load_b128 v[81:84], v1 offset:768
	scratch_load_b128 v[97:100], off, off offset:400
	v_fma_f64 v[127:128], v[127:128], v[101:102], v[129:130]
	v_fma_f64 v[125:126], v[125:126], v[101:102], -v[103:104]
	scratch_load_b128 v[101:104], off, off offset:416
	v_add_f64_e32 v[2:3], v[2:3], v[113:114]
	v_add_f64_e32 v[6:7], v[6:7], v[115:116]
	ds_load_b128 v[113:116], v1 offset:784
	s_wait_loadcnt_dscnt 0xa01
	v_mul_f64_e32 v[135:136], v[81:82], v[107:108]
	v_mul_f64_e32 v[107:108], v[83:84], v[107:108]
	v_add_f64_e32 v[2:3], v[2:3], v[133:134]
	v_add_f64_e32 v[6:7], v[6:7], v[131:132]
	s_delay_alu instid0(VALU_DEP_4) | instskip(NEXT) | instid1(VALU_DEP_4)
	v_fma_f64 v[131:132], v[83:84], v[105:106], v[135:136]
	v_fma_f64 v[133:134], v[81:82], v[105:106], -v[107:108]
	ds_load_b128 v[81:84], v1 offset:800
	scratch_load_b128 v[105:108], off, off offset:432
	s_wait_loadcnt_dscnt 0x901
	v_mul_f64_e32 v[129:130], v[113:114], v[10:11]
	v_mul_f64_e32 v[10:11], v[115:116], v[10:11]
	v_add_f64_e32 v[2:3], v[2:3], v[125:126]
	v_add_f64_e32 v[6:7], v[6:7], v[127:128]
	ds_load_b128 v[125:128], v1 offset:816
	v_fma_f64 v[115:116], v[115:116], v[8:9], v[129:130]
	s_wait_loadcnt_dscnt 0x801
	v_mul_f64_e32 v[135:136], v[81:82], v[123:124]
	v_mul_f64_e32 v[123:124], v[83:84], v[123:124]
	v_fma_f64 v[10:11], v[113:114], v[8:9], -v[10:11]
	s_wait_loadcnt_dscnt 0x700
	v_mul_f64_e32 v[129:130], v[125:126], v[79:80]
	v_add_f64_e32 v[2:3], v[2:3], v[133:134]
	v_add_f64_e32 v[113:114], v[6:7], v[131:132]
	scratch_load_b128 v[6:9], off, off offset:448
	v_mul_f64_e32 v[131:132], v[127:128], v[79:80]
	v_fma_f64 v[83:84], v[83:84], v[121:122], v[135:136]
	v_fma_f64 v[133:134], v[81:82], v[121:122], -v[123:124]
	ds_load_b128 v[79:82], v1 offset:832
	ds_load_b128 v[121:124], v1 offset:848
	v_fma_f64 v[129:130], v[127:128], v[77:78], v[129:130]
	v_add_f64_e32 v[2:3], v[2:3], v[10:11]
	v_add_f64_e32 v[10:11], v[113:114], v[115:116]
	scratch_load_b128 v[113:116], off, off offset:464
	s_wait_loadcnt_dscnt 0x701
	v_mul_f64_e32 v[135:136], v[79:80], v[111:112]
	v_mul_f64_e32 v[111:112], v[81:82], v[111:112]
	v_fma_f64 v[77:78], v[125:126], v[77:78], -v[131:132]
	scratch_load_b128 v[125:128], off, off offset:480
	s_wait_dscnt 0x0
	v_mul_f64_e32 v[131:132], v[121:122], v[87:88]
	v_mul_f64_e32 v[87:88], v[123:124], v[87:88]
	v_add_f64_e32 v[2:3], v[2:3], v[133:134]
	v_add_f64_e32 v[10:11], v[10:11], v[83:84]
	v_fma_f64 v[133:134], v[81:82], v[109:110], v[135:136]
	v_fma_f64 v[135:136], v[79:80], v[109:110], -v[111:112]
	scratch_load_b128 v[81:84], off, off offset:496
	ds_load_b128 v[109:112], v1 offset:880
	v_fma_f64 v[123:124], v[123:124], v[85:86], v[131:132]
	v_fma_f64 v[121:122], v[121:122], v[85:86], -v[87:88]
	scratch_load_b128 v[85:88], off, off offset:512
	v_add_f64_e32 v[2:3], v[2:3], v[77:78]
	v_add_f64_e32 v[10:11], v[10:11], v[129:130]
	ds_load_b128 v[77:80], v1 offset:864
	s_wait_loadcnt_dscnt 0x801
	v_mul_f64_e32 v[131:132], v[109:110], v[95:96]
	v_mul_f64_e32 v[95:96], v[111:112], v[95:96]
	s_wait_dscnt 0x0
	v_mul_f64_e32 v[129:130], v[77:78], v[91:92]
	v_mul_f64_e32 v[91:92], v[79:80], v[91:92]
	v_add_f64_e32 v[2:3], v[2:3], v[135:136]
	v_add_f64_e32 v[10:11], v[10:11], v[133:134]
	v_fma_f64 v[111:112], v[111:112], v[93:94], v[131:132]
	v_fma_f64 v[93:94], v[109:110], v[93:94], -v[95:96]
	v_fma_f64 v[129:130], v[79:80], v[89:90], v[129:130]
	v_fma_f64 v[133:134], v[77:78], v[89:90], -v[91:92]
	ds_load_b128 v[77:80], v1 offset:896
	ds_load_b128 v[89:92], v1 offset:912
	v_add_f64_e32 v[2:3], v[2:3], v[121:122]
	v_add_f64_e32 v[10:11], v[10:11], v[123:124]
	s_wait_loadcnt_dscnt 0x701
	v_mul_f64_e32 v[121:122], v[77:78], v[99:100]
	v_mul_f64_e32 v[99:100], v[79:80], v[99:100]
	s_wait_loadcnt_dscnt 0x600
	v_mul_f64_e32 v[109:110], v[89:90], v[103:104]
	v_mul_f64_e32 v[103:104], v[91:92], v[103:104]
	v_add_f64_e32 v[2:3], v[2:3], v[133:134]
	v_add_f64_e32 v[10:11], v[10:11], v[129:130]
	v_fma_f64 v[121:122], v[79:80], v[97:98], v[121:122]
	v_fma_f64 v[97:98], v[77:78], v[97:98], -v[99:100]
	v_fma_f64 v[91:92], v[91:92], v[101:102], v[109:110]
	v_fma_f64 v[89:90], v[89:90], v[101:102], -v[103:104]
	v_add_f64_e32 v[2:3], v[2:3], v[93:94]
	v_add_f64_e32 v[10:11], v[10:11], v[111:112]
	ds_load_b128 v[77:80], v1 offset:928
	ds_load_b128 v[93:96], v1 offset:944
	s_wait_loadcnt_dscnt 0x501
	v_mul_f64_e32 v[99:100], v[77:78], v[107:108]
	v_mul_f64_e32 v[107:108], v[79:80], v[107:108]
	v_add_f64_e32 v[2:3], v[2:3], v[97:98]
	v_add_f64_e32 v[10:11], v[10:11], v[121:122]
	s_wait_loadcnt_dscnt 0x400
	v_mul_f64_e32 v[97:98], v[93:94], v[8:9]
	v_mul_f64_e32 v[101:102], v[95:96], v[8:9]
	v_fma_f64 v[99:100], v[79:80], v[105:106], v[99:100]
	v_fma_f64 v[103:104], v[77:78], v[105:106], -v[107:108]
	v_add_f64_e32 v[2:3], v[2:3], v[89:90]
	v_add_f64_e32 v[89:90], v[10:11], v[91:92]
	ds_load_b128 v[8:11], v1 offset:960
	ds_load_b128 v[77:80], v1 offset:976
	v_fma_f64 v[95:96], v[95:96], v[6:7], v[97:98]
	v_fma_f64 v[6:7], v[93:94], v[6:7], -v[101:102]
	s_wait_loadcnt_dscnt 0x301
	v_mul_f64_e32 v[91:92], v[8:9], v[115:116]
	v_mul_f64_e32 v[105:106], v[10:11], v[115:116]
	s_wait_loadcnt_dscnt 0x200
	v_mul_f64_e32 v[93:94], v[77:78], v[127:128]
	v_mul_f64_e32 v[97:98], v[79:80], v[127:128]
	v_add_f64_e32 v[2:3], v[2:3], v[103:104]
	v_add_f64_e32 v[89:90], v[89:90], v[99:100]
	v_fma_f64 v[10:11], v[10:11], v[113:114], v[91:92]
	v_fma_f64 v[91:92], v[8:9], v[113:114], -v[105:106]
	v_fma_f64 v[79:80], v[79:80], v[125:126], v[93:94]
	v_fma_f64 v[77:78], v[77:78], v[125:126], -v[97:98]
	v_add_f64_e32 v[99:100], v[2:3], v[6:7]
	v_add_f64_e32 v[89:90], v[89:90], v[95:96]
	ds_load_b128 v[6:9], v1 offset:992
	ds_load_b128 v[1:4], v1 offset:1008
	s_wait_loadcnt_dscnt 0x101
	v_mul_f64_e32 v[95:96], v[6:7], v[83:84]
	v_mul_f64_e32 v[83:84], v[8:9], v[83:84]
	v_add_f64_e32 v[91:92], v[99:100], v[91:92]
	v_add_f64_e32 v[10:11], v[89:90], v[10:11]
	s_wait_loadcnt_dscnt 0x0
	v_mul_f64_e32 v[89:90], v[1:2], v[87:88]
	v_mul_f64_e32 v[87:88], v[3:4], v[87:88]
	v_fma_f64 v[8:9], v[8:9], v[81:82], v[95:96]
	v_fma_f64 v[6:7], v[6:7], v[81:82], -v[83:84]
	v_add_f64_e32 v[77:78], v[91:92], v[77:78]
	v_add_f64_e32 v[10:11], v[10:11], v[79:80]
	v_fma_f64 v[3:4], v[3:4], v[85:86], v[89:90]
	v_fma_f64 v[1:2], v[1:2], v[85:86], -v[87:88]
	s_delay_alu instid0(VALU_DEP_4) | instskip(NEXT) | instid1(VALU_DEP_4)
	v_add_f64_e32 v[6:7], v[77:78], v[6:7]
	v_add_f64_e32 v[8:9], v[10:11], v[8:9]
	s_delay_alu instid0(VALU_DEP_2) | instskip(NEXT) | instid1(VALU_DEP_2)
	v_add_f64_e32 v[1:2], v[6:7], v[1:2]
	v_add_f64_e32 v[3:4], v[8:9], v[3:4]
	s_delay_alu instid0(VALU_DEP_2) | instskip(NEXT) | instid1(VALU_DEP_2)
	v_add_f64_e64 v[1:2], v[117:118], -v[1:2]
	v_add_f64_e64 v[3:4], v[119:120], -v[3:4]
	scratch_store_b128 off, v[1:4], off offset:128
	v_cmpx_lt_u32_e32 6, v0
	s_cbranch_execz .LBB95_193
; %bb.192:
	scratch_load_b128 v[1:4], off, s25
	v_mov_b32_e32 v6, 0
	s_delay_alu instid0(VALU_DEP_1)
	v_dual_mov_b32 v7, v6 :: v_dual_mov_b32 v8, v6
	v_mov_b32_e32 v9, v6
	scratch_store_b128 off, v[6:9], off offset:112
	s_wait_loadcnt 0x0
	ds_store_b128 v5, v[1:4]
.LBB95_193:
	s_wait_alu 0xfffe
	s_or_b32 exec_lo, exec_lo, s0
	s_wait_storecnt_dscnt 0x0
	s_barrier_signal -1
	s_barrier_wait -1
	global_inv scope:SCOPE_SE
	s_clause 0x7
	scratch_load_b128 v[6:9], off, off offset:128
	scratch_load_b128 v[77:80], off, off offset:144
	scratch_load_b128 v[81:84], off, off offset:160
	scratch_load_b128 v[85:88], off, off offset:176
	scratch_load_b128 v[89:92], off, off offset:192
	scratch_load_b128 v[93:96], off, off offset:208
	scratch_load_b128 v[97:100], off, off offset:224
	scratch_load_b128 v[101:104], off, off offset:240
	v_mov_b32_e32 v1, 0
	s_mov_b32 s0, exec_lo
	ds_load_b128 v[105:108], v1 offset:624
	s_clause 0x1
	scratch_load_b128 v[109:112], off, off offset:256
	scratch_load_b128 v[113:116], off, off offset:112
	ds_load_b128 v[117:120], v1 offset:640
	ds_load_b128 v[125:128], v1 offset:672
	s_wait_loadcnt_dscnt 0x902
	v_mul_f64_e32 v[2:3], v[107:108], v[8:9]
	v_mul_f64_e32 v[121:122], v[105:106], v[8:9]
	scratch_load_b128 v[8:11], off, off offset:272
	v_fma_f64 v[2:3], v[105:106], v[6:7], -v[2:3]
	v_fma_f64 v[6:7], v[107:108], v[6:7], v[121:122]
	ds_load_b128 v[105:108], v1 offset:656
	s_wait_loadcnt_dscnt 0x902
	v_mul_f64_e32 v[129:130], v[117:118], v[79:80]
	v_mul_f64_e32 v[79:80], v[119:120], v[79:80]
	scratch_load_b128 v[121:124], off, off offset:288
	s_wait_loadcnt_dscnt 0x900
	v_mul_f64_e32 v[131:132], v[105:106], v[83:84]
	v_mul_f64_e32 v[83:84], v[107:108], v[83:84]
	v_add_f64_e32 v[2:3], 0, v[2:3]
	v_add_f64_e32 v[6:7], 0, v[6:7]
	v_fma_f64 v[119:120], v[119:120], v[77:78], v[129:130]
	v_fma_f64 v[117:118], v[117:118], v[77:78], -v[79:80]
	scratch_load_b128 v[77:80], off, off offset:304
	v_fma_f64 v[131:132], v[107:108], v[81:82], v[131:132]
	v_fma_f64 v[133:134], v[105:106], v[81:82], -v[83:84]
	ds_load_b128 v[81:84], v1 offset:688
	s_wait_loadcnt 0x9
	v_mul_f64_e32 v[129:130], v[125:126], v[87:88]
	v_mul_f64_e32 v[87:88], v[127:128], v[87:88]
	scratch_load_b128 v[105:108], off, off offset:320
	v_add_f64_e32 v[6:7], v[6:7], v[119:120]
	v_add_f64_e32 v[2:3], v[2:3], v[117:118]
	ds_load_b128 v[117:120], v1 offset:704
	s_wait_loadcnt_dscnt 0x901
	v_mul_f64_e32 v[135:136], v[81:82], v[91:92]
	v_mul_f64_e32 v[91:92], v[83:84], v[91:92]
	v_fma_f64 v[127:128], v[127:128], v[85:86], v[129:130]
	v_fma_f64 v[125:126], v[125:126], v[85:86], -v[87:88]
	scratch_load_b128 v[85:88], off, off offset:336
	v_add_f64_e32 v[6:7], v[6:7], v[131:132]
	v_add_f64_e32 v[2:3], v[2:3], v[133:134]
	v_fma_f64 v[131:132], v[83:84], v[89:90], v[135:136]
	v_fma_f64 v[133:134], v[81:82], v[89:90], -v[91:92]
	ds_load_b128 v[81:84], v1 offset:720
	s_wait_loadcnt_dscnt 0x901
	v_mul_f64_e32 v[129:130], v[117:118], v[95:96]
	v_mul_f64_e32 v[95:96], v[119:120], v[95:96]
	scratch_load_b128 v[89:92], off, off offset:352
	s_wait_loadcnt_dscnt 0x900
	v_mul_f64_e32 v[135:136], v[81:82], v[99:100]
	v_mul_f64_e32 v[99:100], v[83:84], v[99:100]
	v_add_f64_e32 v[6:7], v[6:7], v[127:128]
	v_add_f64_e32 v[2:3], v[2:3], v[125:126]
	ds_load_b128 v[125:128], v1 offset:736
	v_fma_f64 v[119:120], v[119:120], v[93:94], v[129:130]
	v_fma_f64 v[117:118], v[117:118], v[93:94], -v[95:96]
	scratch_load_b128 v[93:96], off, off offset:368
	v_add_f64_e32 v[6:7], v[6:7], v[131:132]
	v_add_f64_e32 v[2:3], v[2:3], v[133:134]
	v_fma_f64 v[131:132], v[83:84], v[97:98], v[135:136]
	v_fma_f64 v[133:134], v[81:82], v[97:98], -v[99:100]
	ds_load_b128 v[81:84], v1 offset:752
	s_wait_loadcnt_dscnt 0x901
	v_mul_f64_e32 v[129:130], v[125:126], v[103:104]
	v_mul_f64_e32 v[103:104], v[127:128], v[103:104]
	scratch_load_b128 v[97:100], off, off offset:384
	s_wait_loadcnt_dscnt 0x900
	v_mul_f64_e32 v[135:136], v[81:82], v[111:112]
	v_mul_f64_e32 v[111:112], v[83:84], v[111:112]
	v_add_f64_e32 v[6:7], v[6:7], v[119:120]
	v_add_f64_e32 v[2:3], v[2:3], v[117:118]
	ds_load_b128 v[117:120], v1 offset:768
	v_fma_f64 v[127:128], v[127:128], v[101:102], v[129:130]
	v_fma_f64 v[125:126], v[125:126], v[101:102], -v[103:104]
	scratch_load_b128 v[101:104], off, off offset:400
	v_add_f64_e32 v[6:7], v[6:7], v[131:132]
	v_add_f64_e32 v[2:3], v[2:3], v[133:134]
	v_fma_f64 v[131:132], v[83:84], v[109:110], v[135:136]
	v_fma_f64 v[133:134], v[81:82], v[109:110], -v[111:112]
	ds_load_b128 v[81:84], v1 offset:784
	scratch_load_b128 v[109:112], off, off offset:416
	s_wait_loadcnt_dscnt 0x901
	v_mul_f64_e32 v[129:130], v[117:118], v[10:11]
	v_mul_f64_e32 v[10:11], v[119:120], v[10:11]
	v_add_f64_e32 v[6:7], v[6:7], v[127:128]
	v_add_f64_e32 v[2:3], v[2:3], v[125:126]
	ds_load_b128 v[125:128], v1 offset:800
	v_fma_f64 v[119:120], v[119:120], v[8:9], v[129:130]
	v_fma_f64 v[10:11], v[117:118], v[8:9], -v[10:11]
	s_wait_loadcnt_dscnt 0x801
	v_mul_f64_e32 v[135:136], v[81:82], v[123:124]
	v_mul_f64_e32 v[123:124], v[83:84], v[123:124]
	v_add_f64_e32 v[117:118], v[6:7], v[131:132]
	v_add_f64_e32 v[2:3], v[2:3], v[133:134]
	scratch_load_b128 v[6:9], off, off offset:432
	v_fma_f64 v[83:84], v[83:84], v[121:122], v[135:136]
	v_fma_f64 v[133:134], v[81:82], v[121:122], -v[123:124]
	ds_load_b128 v[121:124], v1 offset:832
	s_wait_loadcnt_dscnt 0x801
	v_mul_f64_e32 v[129:130], v[125:126], v[79:80]
	v_mul_f64_e32 v[131:132], v[127:128], v[79:80]
	ds_load_b128 v[79:82], v1 offset:816
	v_add_f64_e32 v[2:3], v[2:3], v[10:11]
	v_add_f64_e32 v[10:11], v[117:118], v[119:120]
	scratch_load_b128 v[117:120], off, off offset:448
	s_wait_loadcnt_dscnt 0x800
	v_mul_f64_e32 v[135:136], v[79:80], v[107:108]
	v_mul_f64_e32 v[107:108], v[81:82], v[107:108]
	v_fma_f64 v[129:130], v[127:128], v[77:78], v[129:130]
	v_fma_f64 v[77:78], v[125:126], v[77:78], -v[131:132]
	scratch_load_b128 v[125:128], off, off offset:464
	v_add_f64_e32 v[2:3], v[2:3], v[133:134]
	v_add_f64_e32 v[10:11], v[10:11], v[83:84]
	s_wait_loadcnt 0x8
	v_mul_f64_e32 v[131:132], v[121:122], v[87:88]
	v_mul_f64_e32 v[87:88], v[123:124], v[87:88]
	v_fma_f64 v[133:134], v[81:82], v[105:106], v[135:136]
	v_fma_f64 v[135:136], v[79:80], v[105:106], -v[107:108]
	scratch_load_b128 v[81:84], off, off offset:480
	ds_load_b128 v[105:108], v1 offset:864
	v_add_f64_e32 v[2:3], v[2:3], v[77:78]
	v_add_f64_e32 v[10:11], v[10:11], v[129:130]
	ds_load_b128 v[77:80], v1 offset:848
	v_fma_f64 v[123:124], v[123:124], v[85:86], v[131:132]
	v_fma_f64 v[121:122], v[121:122], v[85:86], -v[87:88]
	scratch_load_b128 v[85:88], off, off offset:496
	s_wait_loadcnt_dscnt 0x900
	v_mul_f64_e32 v[129:130], v[77:78], v[91:92]
	v_mul_f64_e32 v[91:92], v[79:80], v[91:92]
	s_wait_loadcnt 0x8
	v_mul_f64_e32 v[131:132], v[105:106], v[95:96]
	v_mul_f64_e32 v[95:96], v[107:108], v[95:96]
	v_add_f64_e32 v[2:3], v[2:3], v[135:136]
	v_add_f64_e32 v[10:11], v[10:11], v[133:134]
	v_fma_f64 v[129:130], v[79:80], v[89:90], v[129:130]
	v_fma_f64 v[133:134], v[77:78], v[89:90], -v[91:92]
	ds_load_b128 v[77:80], v1 offset:880
	scratch_load_b128 v[89:92], off, off offset:512
	v_fma_f64 v[107:108], v[107:108], v[93:94], v[131:132]
	v_fma_f64 v[93:94], v[105:106], v[93:94], -v[95:96]
	v_add_f64_e32 v[2:3], v[2:3], v[121:122]
	v_add_f64_e32 v[10:11], v[10:11], v[123:124]
	ds_load_b128 v[121:124], v1 offset:896
	s_wait_loadcnt_dscnt 0x801
	v_mul_f64_e32 v[135:136], v[77:78], v[99:100]
	v_mul_f64_e32 v[99:100], v[79:80], v[99:100]
	s_wait_loadcnt_dscnt 0x700
	v_mul_f64_e32 v[105:106], v[121:122], v[103:104]
	v_mul_f64_e32 v[103:104], v[123:124], v[103:104]
	v_add_f64_e32 v[2:3], v[2:3], v[133:134]
	v_add_f64_e32 v[10:11], v[10:11], v[129:130]
	v_fma_f64 v[129:130], v[79:80], v[97:98], v[135:136]
	v_fma_f64 v[97:98], v[77:78], v[97:98], -v[99:100]
	v_fma_f64 v[105:106], v[123:124], v[101:102], v[105:106]
	v_fma_f64 v[101:102], v[121:122], v[101:102], -v[103:104]
	v_add_f64_e32 v[2:3], v[2:3], v[93:94]
	v_add_f64_e32 v[10:11], v[10:11], v[107:108]
	ds_load_b128 v[77:80], v1 offset:912
	ds_load_b128 v[93:96], v1 offset:928
	s_wait_loadcnt_dscnt 0x601
	v_mul_f64_e32 v[99:100], v[77:78], v[111:112]
	v_mul_f64_e32 v[107:108], v[79:80], v[111:112]
	v_add_f64_e32 v[2:3], v[2:3], v[97:98]
	v_add_f64_e32 v[10:11], v[10:11], v[129:130]
	s_wait_loadcnt_dscnt 0x500
	v_mul_f64_e32 v[97:98], v[93:94], v[8:9]
	v_mul_f64_e32 v[103:104], v[95:96], v[8:9]
	v_fma_f64 v[99:100], v[79:80], v[109:110], v[99:100]
	v_fma_f64 v[107:108], v[77:78], v[109:110], -v[107:108]
	v_add_f64_e32 v[2:3], v[2:3], v[101:102]
	v_add_f64_e32 v[101:102], v[10:11], v[105:106]
	ds_load_b128 v[8:11], v1 offset:944
	ds_load_b128 v[77:80], v1 offset:960
	v_fma_f64 v[95:96], v[95:96], v[6:7], v[97:98]
	v_fma_f64 v[6:7], v[93:94], v[6:7], -v[103:104]
	s_wait_loadcnt_dscnt 0x401
	v_mul_f64_e32 v[105:106], v[8:9], v[119:120]
	v_mul_f64_e32 v[109:110], v[10:11], v[119:120]
	s_wait_loadcnt_dscnt 0x300
	v_mul_f64_e32 v[97:98], v[77:78], v[127:128]
	v_add_f64_e32 v[2:3], v[2:3], v[107:108]
	v_add_f64_e32 v[93:94], v[101:102], v[99:100]
	v_mul_f64_e32 v[99:100], v[79:80], v[127:128]
	v_fma_f64 v[10:11], v[10:11], v[117:118], v[105:106]
	v_fma_f64 v[101:102], v[8:9], v[117:118], -v[109:110]
	v_fma_f64 v[79:80], v[79:80], v[125:126], v[97:98]
	v_add_f64_e32 v[2:3], v[2:3], v[6:7]
	v_add_f64_e32 v[103:104], v[93:94], v[95:96]
	ds_load_b128 v[6:9], v1 offset:976
	ds_load_b128 v[93:96], v1 offset:992
	v_fma_f64 v[77:78], v[77:78], v[125:126], -v[99:100]
	s_wait_loadcnt_dscnt 0x201
	v_mul_f64_e32 v[105:106], v[6:7], v[83:84]
	v_mul_f64_e32 v[83:84], v[8:9], v[83:84]
	s_wait_loadcnt_dscnt 0x100
	v_mul_f64_e32 v[97:98], v[93:94], v[87:88]
	v_mul_f64_e32 v[87:88], v[95:96], v[87:88]
	v_add_f64_e32 v[2:3], v[2:3], v[101:102]
	v_add_f64_e32 v[10:11], v[103:104], v[10:11]
	v_fma_f64 v[99:100], v[8:9], v[81:82], v[105:106]
	v_fma_f64 v[81:82], v[6:7], v[81:82], -v[83:84]
	ds_load_b128 v[6:9], v1 offset:1008
	v_fma_f64 v[83:84], v[95:96], v[85:86], v[97:98]
	v_fma_f64 v[85:86], v[93:94], v[85:86], -v[87:88]
	v_add_f64_e32 v[2:3], v[2:3], v[77:78]
	v_add_f64_e32 v[10:11], v[10:11], v[79:80]
	s_wait_loadcnt_dscnt 0x0
	v_mul_f64_e32 v[77:78], v[6:7], v[91:92]
	v_mul_f64_e32 v[79:80], v[8:9], v[91:92]
	s_delay_alu instid0(VALU_DEP_4) | instskip(NEXT) | instid1(VALU_DEP_4)
	v_add_f64_e32 v[2:3], v[2:3], v[81:82]
	v_add_f64_e32 v[10:11], v[10:11], v[99:100]
	s_delay_alu instid0(VALU_DEP_4) | instskip(NEXT) | instid1(VALU_DEP_4)
	v_fma_f64 v[8:9], v[8:9], v[89:90], v[77:78]
	v_fma_f64 v[6:7], v[6:7], v[89:90], -v[79:80]
	s_delay_alu instid0(VALU_DEP_4) | instskip(NEXT) | instid1(VALU_DEP_4)
	v_add_f64_e32 v[2:3], v[2:3], v[85:86]
	v_add_f64_e32 v[10:11], v[10:11], v[83:84]
	s_delay_alu instid0(VALU_DEP_2) | instskip(NEXT) | instid1(VALU_DEP_2)
	v_add_f64_e32 v[2:3], v[2:3], v[6:7]
	v_add_f64_e32 v[8:9], v[10:11], v[8:9]
	s_delay_alu instid0(VALU_DEP_2) | instskip(NEXT) | instid1(VALU_DEP_2)
	v_add_f64_e64 v[6:7], v[113:114], -v[2:3]
	v_add_f64_e64 v[8:9], v[115:116], -v[8:9]
	scratch_store_b128 off, v[6:9], off offset:112
	v_cmpx_lt_u32_e32 5, v0
	s_cbranch_execz .LBB95_195
; %bb.194:
	scratch_load_b128 v[6:9], off, s4
	v_dual_mov_b32 v2, v1 :: v_dual_mov_b32 v3, v1
	v_mov_b32_e32 v4, v1
	scratch_store_b128 off, v[1:4], off offset:96
	s_wait_loadcnt 0x0
	ds_store_b128 v5, v[6:9]
.LBB95_195:
	s_wait_alu 0xfffe
	s_or_b32 exec_lo, exec_lo, s0
	s_wait_storecnt_dscnt 0x0
	s_barrier_signal -1
	s_barrier_wait -1
	global_inv scope:SCOPE_SE
	s_clause 0x8
	scratch_load_b128 v[6:9], off, off offset:112
	scratch_load_b128 v[77:80], off, off offset:128
	;; [unrolled: 1-line block ×9, first 2 shown]
	ds_load_b128 v[109:112], v1 offset:608
	ds_load_b128 v[113:116], v1 offset:624
	scratch_load_b128 v[117:120], off, off offset:96
	s_mov_b32 s0, exec_lo
	ds_load_b128 v[125:128], v1 offset:656
	s_wait_loadcnt_dscnt 0x902
	v_mul_f64_e32 v[2:3], v[111:112], v[8:9]
	v_mul_f64_e32 v[121:122], v[109:110], v[8:9]
	scratch_load_b128 v[8:11], off, off offset:256
	s_wait_loadcnt_dscnt 0x901
	v_mul_f64_e32 v[129:130], v[113:114], v[79:80]
	v_mul_f64_e32 v[79:80], v[115:116], v[79:80]
	v_fma_f64 v[2:3], v[109:110], v[6:7], -v[2:3]
	v_fma_f64 v[6:7], v[111:112], v[6:7], v[121:122]
	ds_load_b128 v[109:112], v1 offset:640
	scratch_load_b128 v[121:124], off, off offset:272
	v_fma_f64 v[115:116], v[115:116], v[77:78], v[129:130]
	v_fma_f64 v[113:114], v[113:114], v[77:78], -v[79:80]
	scratch_load_b128 v[77:80], off, off offset:288
	s_wait_loadcnt_dscnt 0x901
	v_mul_f64_e32 v[129:130], v[125:126], v[87:88]
	v_mul_f64_e32 v[87:88], v[127:128], v[87:88]
	s_wait_dscnt 0x0
	v_mul_f64_e32 v[131:132], v[109:110], v[83:84]
	v_mul_f64_e32 v[83:84], v[111:112], v[83:84]
	v_add_f64_e32 v[2:3], 0, v[2:3]
	v_add_f64_e32 v[6:7], 0, v[6:7]
	v_fma_f64 v[127:128], v[127:128], v[85:86], v[129:130]
	v_fma_f64 v[125:126], v[125:126], v[85:86], -v[87:88]
	scratch_load_b128 v[85:88], off, off offset:320
	v_fma_f64 v[131:132], v[111:112], v[81:82], v[131:132]
	v_fma_f64 v[133:134], v[109:110], v[81:82], -v[83:84]
	ds_load_b128 v[81:84], v1 offset:672
	scratch_load_b128 v[109:112], off, off offset:304
	v_add_f64_e32 v[2:3], v[2:3], v[113:114]
	v_add_f64_e32 v[6:7], v[6:7], v[115:116]
	ds_load_b128 v[113:116], v1 offset:688
	s_wait_loadcnt_dscnt 0xa01
	v_mul_f64_e32 v[135:136], v[81:82], v[91:92]
	v_mul_f64_e32 v[91:92], v[83:84], v[91:92]
	s_wait_loadcnt_dscnt 0x900
	v_mul_f64_e32 v[129:130], v[113:114], v[95:96]
	v_mul_f64_e32 v[95:96], v[115:116], v[95:96]
	v_add_f64_e32 v[2:3], v[2:3], v[133:134]
	v_add_f64_e32 v[6:7], v[6:7], v[131:132]
	v_fma_f64 v[131:132], v[83:84], v[89:90], v[135:136]
	v_fma_f64 v[133:134], v[81:82], v[89:90], -v[91:92]
	ds_load_b128 v[81:84], v1 offset:704
	scratch_load_b128 v[89:92], off, off offset:336
	v_fma_f64 v[115:116], v[115:116], v[93:94], v[129:130]
	v_fma_f64 v[113:114], v[113:114], v[93:94], -v[95:96]
	scratch_load_b128 v[93:96], off, off offset:352
	v_add_f64_e32 v[2:3], v[2:3], v[125:126]
	v_add_f64_e32 v[6:7], v[6:7], v[127:128]
	ds_load_b128 v[125:128], v1 offset:720
	s_wait_loadcnt_dscnt 0xa01
	v_mul_f64_e32 v[135:136], v[81:82], v[99:100]
	v_mul_f64_e32 v[99:100], v[83:84], v[99:100]
	s_wait_loadcnt_dscnt 0x900
	v_mul_f64_e32 v[129:130], v[125:126], v[103:104]
	v_mul_f64_e32 v[103:104], v[127:128], v[103:104]
	v_add_f64_e32 v[2:3], v[2:3], v[133:134]
	v_add_f64_e32 v[6:7], v[6:7], v[131:132]
	v_fma_f64 v[131:132], v[83:84], v[97:98], v[135:136]
	v_fma_f64 v[133:134], v[81:82], v[97:98], -v[99:100]
	ds_load_b128 v[81:84], v1 offset:736
	scratch_load_b128 v[97:100], off, off offset:368
	v_fma_f64 v[127:128], v[127:128], v[101:102], v[129:130]
	v_fma_f64 v[125:126], v[125:126], v[101:102], -v[103:104]
	scratch_load_b128 v[101:104], off, off offset:384
	v_add_f64_e32 v[2:3], v[2:3], v[113:114]
	v_add_f64_e32 v[6:7], v[6:7], v[115:116]
	ds_load_b128 v[113:116], v1 offset:752
	s_wait_loadcnt_dscnt 0xa01
	v_mul_f64_e32 v[135:136], v[81:82], v[107:108]
	v_mul_f64_e32 v[107:108], v[83:84], v[107:108]
	v_add_f64_e32 v[2:3], v[2:3], v[133:134]
	v_add_f64_e32 v[6:7], v[6:7], v[131:132]
	s_delay_alu instid0(VALU_DEP_4) | instskip(NEXT) | instid1(VALU_DEP_4)
	v_fma_f64 v[131:132], v[83:84], v[105:106], v[135:136]
	v_fma_f64 v[133:134], v[81:82], v[105:106], -v[107:108]
	ds_load_b128 v[81:84], v1 offset:768
	scratch_load_b128 v[105:108], off, off offset:400
	s_wait_loadcnt_dscnt 0x901
	v_mul_f64_e32 v[129:130], v[113:114], v[10:11]
	v_mul_f64_e32 v[10:11], v[115:116], v[10:11]
	v_add_f64_e32 v[2:3], v[2:3], v[125:126]
	v_add_f64_e32 v[6:7], v[6:7], v[127:128]
	ds_load_b128 v[125:128], v1 offset:784
	v_fma_f64 v[115:116], v[115:116], v[8:9], v[129:130]
	s_wait_loadcnt_dscnt 0x801
	v_mul_f64_e32 v[135:136], v[81:82], v[123:124]
	v_mul_f64_e32 v[123:124], v[83:84], v[123:124]
	v_fma_f64 v[10:11], v[113:114], v[8:9], -v[10:11]
	s_wait_loadcnt_dscnt 0x700
	v_mul_f64_e32 v[129:130], v[125:126], v[79:80]
	v_add_f64_e32 v[2:3], v[2:3], v[133:134]
	v_add_f64_e32 v[113:114], v[6:7], v[131:132]
	scratch_load_b128 v[6:9], off, off offset:416
	v_mul_f64_e32 v[131:132], v[127:128], v[79:80]
	v_fma_f64 v[83:84], v[83:84], v[121:122], v[135:136]
	v_fma_f64 v[133:134], v[81:82], v[121:122], -v[123:124]
	ds_load_b128 v[79:82], v1 offset:800
	ds_load_b128 v[121:124], v1 offset:816
	v_fma_f64 v[129:130], v[127:128], v[77:78], v[129:130]
	v_add_f64_e32 v[2:3], v[2:3], v[10:11]
	v_add_f64_e32 v[10:11], v[113:114], v[115:116]
	scratch_load_b128 v[113:116], off, off offset:432
	s_wait_loadcnt_dscnt 0x701
	v_mul_f64_e32 v[135:136], v[79:80], v[111:112]
	v_mul_f64_e32 v[111:112], v[81:82], v[111:112]
	v_fma_f64 v[77:78], v[125:126], v[77:78], -v[131:132]
	scratch_load_b128 v[125:128], off, off offset:448
	s_wait_dscnt 0x0
	v_mul_f64_e32 v[131:132], v[121:122], v[87:88]
	v_mul_f64_e32 v[87:88], v[123:124], v[87:88]
	v_add_f64_e32 v[2:3], v[2:3], v[133:134]
	v_add_f64_e32 v[10:11], v[10:11], v[83:84]
	v_fma_f64 v[133:134], v[81:82], v[109:110], v[135:136]
	v_fma_f64 v[135:136], v[79:80], v[109:110], -v[111:112]
	scratch_load_b128 v[81:84], off, off offset:464
	ds_load_b128 v[109:112], v1 offset:848
	v_fma_f64 v[123:124], v[123:124], v[85:86], v[131:132]
	v_fma_f64 v[121:122], v[121:122], v[85:86], -v[87:88]
	scratch_load_b128 v[85:88], off, off offset:480
	v_add_f64_e32 v[2:3], v[2:3], v[77:78]
	v_add_f64_e32 v[10:11], v[10:11], v[129:130]
	ds_load_b128 v[77:80], v1 offset:832
	s_wait_loadcnt_dscnt 0x801
	v_mul_f64_e32 v[131:132], v[109:110], v[95:96]
	v_mul_f64_e32 v[95:96], v[111:112], v[95:96]
	s_wait_dscnt 0x0
	v_mul_f64_e32 v[129:130], v[77:78], v[91:92]
	v_mul_f64_e32 v[91:92], v[79:80], v[91:92]
	v_add_f64_e32 v[2:3], v[2:3], v[135:136]
	v_add_f64_e32 v[10:11], v[10:11], v[133:134]
	v_fma_f64 v[111:112], v[111:112], v[93:94], v[131:132]
	v_fma_f64 v[109:110], v[109:110], v[93:94], -v[95:96]
	scratch_load_b128 v[93:96], off, off offset:512
	v_fma_f64 v[129:130], v[79:80], v[89:90], v[129:130]
	v_fma_f64 v[133:134], v[77:78], v[89:90], -v[91:92]
	ds_load_b128 v[77:80], v1 offset:864
	scratch_load_b128 v[89:92], off, off offset:496
	v_add_f64_e32 v[2:3], v[2:3], v[121:122]
	v_add_f64_e32 v[10:11], v[10:11], v[123:124]
	ds_load_b128 v[121:124], v1 offset:880
	s_wait_loadcnt_dscnt 0x901
	v_mul_f64_e32 v[135:136], v[77:78], v[99:100]
	v_mul_f64_e32 v[99:100], v[79:80], v[99:100]
	v_add_f64_e32 v[2:3], v[2:3], v[133:134]
	v_add_f64_e32 v[10:11], v[10:11], v[129:130]
	s_wait_loadcnt_dscnt 0x800
	v_mul_f64_e32 v[129:130], v[121:122], v[103:104]
	v_mul_f64_e32 v[103:104], v[123:124], v[103:104]
	v_fma_f64 v[131:132], v[79:80], v[97:98], v[135:136]
	v_fma_f64 v[133:134], v[77:78], v[97:98], -v[99:100]
	ds_load_b128 v[77:80], v1 offset:896
	ds_load_b128 v[97:100], v1 offset:912
	v_add_f64_e32 v[2:3], v[2:3], v[109:110]
	v_add_f64_e32 v[10:11], v[10:11], v[111:112]
	s_wait_loadcnt_dscnt 0x701
	v_mul_f64_e32 v[109:110], v[77:78], v[107:108]
	v_mul_f64_e32 v[107:108], v[79:80], v[107:108]
	v_fma_f64 v[111:112], v[123:124], v[101:102], v[129:130]
	v_fma_f64 v[101:102], v[121:122], v[101:102], -v[103:104]
	v_add_f64_e32 v[2:3], v[2:3], v[133:134]
	v_add_f64_e32 v[10:11], v[10:11], v[131:132]
	v_fma_f64 v[109:110], v[79:80], v[105:106], v[109:110]
	v_fma_f64 v[105:106], v[77:78], v[105:106], -v[107:108]
	s_wait_loadcnt_dscnt 0x600
	v_mul_f64_e32 v[103:104], v[97:98], v[8:9]
	v_mul_f64_e32 v[121:122], v[99:100], v[8:9]
	v_add_f64_e32 v[2:3], v[2:3], v[101:102]
	v_add_f64_e32 v[101:102], v[10:11], v[111:112]
	ds_load_b128 v[8:11], v1 offset:928
	ds_load_b128 v[77:80], v1 offset:944
	v_fma_f64 v[99:100], v[99:100], v[6:7], v[103:104]
	v_fma_f64 v[6:7], v[97:98], v[6:7], -v[121:122]
	s_wait_loadcnt_dscnt 0x501
	v_mul_f64_e32 v[107:108], v[8:9], v[115:116]
	v_mul_f64_e32 v[111:112], v[10:11], v[115:116]
	s_wait_loadcnt_dscnt 0x400
	v_mul_f64_e32 v[103:104], v[79:80], v[127:128]
	v_add_f64_e32 v[2:3], v[2:3], v[105:106]
	v_add_f64_e32 v[97:98], v[101:102], v[109:110]
	v_mul_f64_e32 v[101:102], v[77:78], v[127:128]
	v_fma_f64 v[10:11], v[10:11], v[113:114], v[107:108]
	v_fma_f64 v[105:106], v[8:9], v[113:114], -v[111:112]
	v_fma_f64 v[77:78], v[77:78], v[125:126], -v[103:104]
	v_add_f64_e32 v[2:3], v[2:3], v[6:7]
	v_add_f64_e32 v[107:108], v[97:98], v[99:100]
	ds_load_b128 v[6:9], v1 offset:960
	ds_load_b128 v[97:100], v1 offset:976
	v_fma_f64 v[79:80], v[79:80], v[125:126], v[101:102]
	s_wait_loadcnt_dscnt 0x301
	v_mul_f64_e32 v[109:110], v[6:7], v[83:84]
	v_mul_f64_e32 v[83:84], v[8:9], v[83:84]
	s_wait_loadcnt_dscnt 0x200
	v_mul_f64_e32 v[101:102], v[97:98], v[87:88]
	v_mul_f64_e32 v[87:88], v[99:100], v[87:88]
	v_add_f64_e32 v[2:3], v[2:3], v[105:106]
	v_add_f64_e32 v[10:11], v[107:108], v[10:11]
	v_fma_f64 v[103:104], v[8:9], v[81:82], v[109:110]
	v_fma_f64 v[81:82], v[6:7], v[81:82], -v[83:84]
	s_delay_alu instid0(VALU_DEP_4) | instskip(NEXT) | instid1(VALU_DEP_4)
	v_add_f64_e32 v[77:78], v[2:3], v[77:78]
	v_add_f64_e32 v[10:11], v[10:11], v[79:80]
	ds_load_b128 v[6:9], v1 offset:992
	ds_load_b128 v[1:4], v1 offset:1008
	s_wait_loadcnt_dscnt 0x1
	v_mul_f64_e32 v[79:80], v[6:7], v[91:92]
	v_mul_f64_e32 v[83:84], v[8:9], v[91:92]
	v_fma_f64 v[91:92], v[99:100], v[85:86], v[101:102]
	v_fma_f64 v[85:86], v[97:98], v[85:86], -v[87:88]
	s_wait_dscnt 0x0
	v_mul_f64_e32 v[87:88], v[3:4], v[95:96]
	v_add_f64_e32 v[77:78], v[77:78], v[81:82]
	v_add_f64_e32 v[10:11], v[10:11], v[103:104]
	v_mul_f64_e32 v[81:82], v[1:2], v[95:96]
	v_fma_f64 v[8:9], v[8:9], v[89:90], v[79:80]
	v_fma_f64 v[6:7], v[6:7], v[89:90], -v[83:84]
	v_fma_f64 v[1:2], v[1:2], v[93:94], -v[87:88]
	v_add_f64_e32 v[77:78], v[77:78], v[85:86]
	v_add_f64_e32 v[10:11], v[10:11], v[91:92]
	v_fma_f64 v[3:4], v[3:4], v[93:94], v[81:82]
	s_delay_alu instid0(VALU_DEP_3) | instskip(NEXT) | instid1(VALU_DEP_3)
	v_add_f64_e32 v[6:7], v[77:78], v[6:7]
	v_add_f64_e32 v[8:9], v[10:11], v[8:9]
	s_delay_alu instid0(VALU_DEP_2) | instskip(NEXT) | instid1(VALU_DEP_2)
	v_add_f64_e32 v[1:2], v[6:7], v[1:2]
	v_add_f64_e32 v[3:4], v[8:9], v[3:4]
	s_delay_alu instid0(VALU_DEP_2) | instskip(NEXT) | instid1(VALU_DEP_2)
	v_add_f64_e64 v[1:2], v[117:118], -v[1:2]
	v_add_f64_e64 v[3:4], v[119:120], -v[3:4]
	scratch_store_b128 off, v[1:4], off offset:96
	v_cmpx_lt_u32_e32 4, v0
	s_cbranch_execz .LBB95_197
; %bb.196:
	scratch_load_b128 v[1:4], off, s24
	v_mov_b32_e32 v6, 0
	s_delay_alu instid0(VALU_DEP_1)
	v_dual_mov_b32 v7, v6 :: v_dual_mov_b32 v8, v6
	v_mov_b32_e32 v9, v6
	scratch_store_b128 off, v[6:9], off offset:80
	s_wait_loadcnt 0x0
	ds_store_b128 v5, v[1:4]
.LBB95_197:
	s_wait_alu 0xfffe
	s_or_b32 exec_lo, exec_lo, s0
	s_wait_storecnt_dscnt 0x0
	s_barrier_signal -1
	s_barrier_wait -1
	global_inv scope:SCOPE_SE
	s_clause 0x7
	scratch_load_b128 v[6:9], off, off offset:96
	scratch_load_b128 v[77:80], off, off offset:112
	;; [unrolled: 1-line block ×8, first 2 shown]
	v_mov_b32_e32 v1, 0
	s_mov_b32 s0, exec_lo
	ds_load_b128 v[105:108], v1 offset:592
	s_clause 0x1
	scratch_load_b128 v[109:112], off, off offset:224
	scratch_load_b128 v[113:116], off, off offset:80
	ds_load_b128 v[117:120], v1 offset:608
	ds_load_b128 v[125:128], v1 offset:640
	s_wait_loadcnt_dscnt 0x902
	v_mul_f64_e32 v[2:3], v[107:108], v[8:9]
	v_mul_f64_e32 v[121:122], v[105:106], v[8:9]
	scratch_load_b128 v[8:11], off, off offset:240
	v_fma_f64 v[2:3], v[105:106], v[6:7], -v[2:3]
	v_fma_f64 v[6:7], v[107:108], v[6:7], v[121:122]
	ds_load_b128 v[105:108], v1 offset:624
	s_wait_loadcnt_dscnt 0x902
	v_mul_f64_e32 v[129:130], v[117:118], v[79:80]
	v_mul_f64_e32 v[79:80], v[119:120], v[79:80]
	scratch_load_b128 v[121:124], off, off offset:256
	s_wait_loadcnt_dscnt 0x900
	v_mul_f64_e32 v[131:132], v[105:106], v[83:84]
	v_mul_f64_e32 v[83:84], v[107:108], v[83:84]
	v_add_f64_e32 v[2:3], 0, v[2:3]
	v_add_f64_e32 v[6:7], 0, v[6:7]
	v_fma_f64 v[119:120], v[119:120], v[77:78], v[129:130]
	v_fma_f64 v[117:118], v[117:118], v[77:78], -v[79:80]
	scratch_load_b128 v[77:80], off, off offset:272
	v_fma_f64 v[131:132], v[107:108], v[81:82], v[131:132]
	v_fma_f64 v[133:134], v[105:106], v[81:82], -v[83:84]
	ds_load_b128 v[81:84], v1 offset:656
	s_wait_loadcnt 0x9
	v_mul_f64_e32 v[129:130], v[125:126], v[87:88]
	v_mul_f64_e32 v[87:88], v[127:128], v[87:88]
	scratch_load_b128 v[105:108], off, off offset:288
	v_add_f64_e32 v[6:7], v[6:7], v[119:120]
	v_add_f64_e32 v[2:3], v[2:3], v[117:118]
	ds_load_b128 v[117:120], v1 offset:672
	s_wait_loadcnt_dscnt 0x901
	v_mul_f64_e32 v[135:136], v[81:82], v[91:92]
	v_mul_f64_e32 v[91:92], v[83:84], v[91:92]
	v_fma_f64 v[127:128], v[127:128], v[85:86], v[129:130]
	v_fma_f64 v[125:126], v[125:126], v[85:86], -v[87:88]
	scratch_load_b128 v[85:88], off, off offset:304
	v_add_f64_e32 v[6:7], v[6:7], v[131:132]
	v_add_f64_e32 v[2:3], v[2:3], v[133:134]
	v_fma_f64 v[131:132], v[83:84], v[89:90], v[135:136]
	v_fma_f64 v[133:134], v[81:82], v[89:90], -v[91:92]
	ds_load_b128 v[81:84], v1 offset:688
	s_wait_loadcnt_dscnt 0x901
	v_mul_f64_e32 v[129:130], v[117:118], v[95:96]
	v_mul_f64_e32 v[95:96], v[119:120], v[95:96]
	scratch_load_b128 v[89:92], off, off offset:320
	s_wait_loadcnt_dscnt 0x900
	v_mul_f64_e32 v[135:136], v[81:82], v[99:100]
	v_mul_f64_e32 v[99:100], v[83:84], v[99:100]
	v_add_f64_e32 v[6:7], v[6:7], v[127:128]
	v_add_f64_e32 v[2:3], v[2:3], v[125:126]
	ds_load_b128 v[125:128], v1 offset:704
	v_fma_f64 v[119:120], v[119:120], v[93:94], v[129:130]
	v_fma_f64 v[117:118], v[117:118], v[93:94], -v[95:96]
	scratch_load_b128 v[93:96], off, off offset:336
	v_add_f64_e32 v[6:7], v[6:7], v[131:132]
	v_add_f64_e32 v[2:3], v[2:3], v[133:134]
	v_fma_f64 v[131:132], v[83:84], v[97:98], v[135:136]
	v_fma_f64 v[133:134], v[81:82], v[97:98], -v[99:100]
	ds_load_b128 v[81:84], v1 offset:720
	s_wait_loadcnt_dscnt 0x901
	v_mul_f64_e32 v[129:130], v[125:126], v[103:104]
	v_mul_f64_e32 v[103:104], v[127:128], v[103:104]
	scratch_load_b128 v[97:100], off, off offset:352
	s_wait_loadcnt_dscnt 0x900
	v_mul_f64_e32 v[135:136], v[81:82], v[111:112]
	v_mul_f64_e32 v[111:112], v[83:84], v[111:112]
	v_add_f64_e32 v[6:7], v[6:7], v[119:120]
	v_add_f64_e32 v[2:3], v[2:3], v[117:118]
	ds_load_b128 v[117:120], v1 offset:736
	v_fma_f64 v[127:128], v[127:128], v[101:102], v[129:130]
	v_fma_f64 v[125:126], v[125:126], v[101:102], -v[103:104]
	scratch_load_b128 v[101:104], off, off offset:368
	v_add_f64_e32 v[6:7], v[6:7], v[131:132]
	v_add_f64_e32 v[2:3], v[2:3], v[133:134]
	v_fma_f64 v[131:132], v[83:84], v[109:110], v[135:136]
	v_fma_f64 v[133:134], v[81:82], v[109:110], -v[111:112]
	ds_load_b128 v[81:84], v1 offset:752
	scratch_load_b128 v[109:112], off, off offset:384
	s_wait_loadcnt_dscnt 0x901
	v_mul_f64_e32 v[129:130], v[117:118], v[10:11]
	v_mul_f64_e32 v[10:11], v[119:120], v[10:11]
	v_add_f64_e32 v[6:7], v[6:7], v[127:128]
	v_add_f64_e32 v[2:3], v[2:3], v[125:126]
	ds_load_b128 v[125:128], v1 offset:768
	v_fma_f64 v[119:120], v[119:120], v[8:9], v[129:130]
	v_fma_f64 v[10:11], v[117:118], v[8:9], -v[10:11]
	s_wait_loadcnt_dscnt 0x801
	v_mul_f64_e32 v[135:136], v[81:82], v[123:124]
	v_mul_f64_e32 v[123:124], v[83:84], v[123:124]
	v_add_f64_e32 v[117:118], v[6:7], v[131:132]
	v_add_f64_e32 v[2:3], v[2:3], v[133:134]
	scratch_load_b128 v[6:9], off, off offset:400
	v_fma_f64 v[83:84], v[83:84], v[121:122], v[135:136]
	v_fma_f64 v[133:134], v[81:82], v[121:122], -v[123:124]
	ds_load_b128 v[121:124], v1 offset:800
	s_wait_loadcnt_dscnt 0x801
	v_mul_f64_e32 v[129:130], v[125:126], v[79:80]
	v_mul_f64_e32 v[131:132], v[127:128], v[79:80]
	ds_load_b128 v[79:82], v1 offset:784
	v_add_f64_e32 v[2:3], v[2:3], v[10:11]
	v_add_f64_e32 v[10:11], v[117:118], v[119:120]
	scratch_load_b128 v[117:120], off, off offset:416
	s_wait_loadcnt_dscnt 0x800
	v_mul_f64_e32 v[135:136], v[79:80], v[107:108]
	v_mul_f64_e32 v[107:108], v[81:82], v[107:108]
	v_fma_f64 v[129:130], v[127:128], v[77:78], v[129:130]
	v_fma_f64 v[77:78], v[125:126], v[77:78], -v[131:132]
	scratch_load_b128 v[125:128], off, off offset:432
	v_add_f64_e32 v[2:3], v[2:3], v[133:134]
	v_add_f64_e32 v[10:11], v[10:11], v[83:84]
	s_wait_loadcnt 0x8
	v_mul_f64_e32 v[131:132], v[121:122], v[87:88]
	v_mul_f64_e32 v[87:88], v[123:124], v[87:88]
	v_fma_f64 v[133:134], v[81:82], v[105:106], v[135:136]
	v_fma_f64 v[135:136], v[79:80], v[105:106], -v[107:108]
	scratch_load_b128 v[81:84], off, off offset:448
	ds_load_b128 v[105:108], v1 offset:832
	v_add_f64_e32 v[2:3], v[2:3], v[77:78]
	v_add_f64_e32 v[10:11], v[10:11], v[129:130]
	ds_load_b128 v[77:80], v1 offset:816
	v_fma_f64 v[123:124], v[123:124], v[85:86], v[131:132]
	v_fma_f64 v[121:122], v[121:122], v[85:86], -v[87:88]
	scratch_load_b128 v[85:88], off, off offset:464
	s_wait_loadcnt_dscnt 0x900
	v_mul_f64_e32 v[129:130], v[77:78], v[91:92]
	v_mul_f64_e32 v[91:92], v[79:80], v[91:92]
	s_wait_loadcnt 0x8
	v_mul_f64_e32 v[131:132], v[105:106], v[95:96]
	v_mul_f64_e32 v[95:96], v[107:108], v[95:96]
	v_add_f64_e32 v[2:3], v[2:3], v[135:136]
	v_add_f64_e32 v[10:11], v[10:11], v[133:134]
	v_fma_f64 v[129:130], v[79:80], v[89:90], v[129:130]
	v_fma_f64 v[133:134], v[77:78], v[89:90], -v[91:92]
	ds_load_b128 v[77:80], v1 offset:848
	scratch_load_b128 v[89:92], off, off offset:480
	v_fma_f64 v[107:108], v[107:108], v[93:94], v[131:132]
	v_fma_f64 v[105:106], v[105:106], v[93:94], -v[95:96]
	scratch_load_b128 v[93:96], off, off offset:496
	v_add_f64_e32 v[2:3], v[2:3], v[121:122]
	v_add_f64_e32 v[10:11], v[10:11], v[123:124]
	ds_load_b128 v[121:124], v1 offset:864
	s_wait_loadcnt_dscnt 0x901
	v_mul_f64_e32 v[135:136], v[77:78], v[99:100]
	v_mul_f64_e32 v[99:100], v[79:80], v[99:100]
	s_wait_loadcnt_dscnt 0x800
	v_mul_f64_e32 v[131:132], v[123:124], v[103:104]
	v_add_f64_e32 v[2:3], v[2:3], v[133:134]
	v_add_f64_e32 v[10:11], v[10:11], v[129:130]
	v_mul_f64_e32 v[129:130], v[121:122], v[103:104]
	v_fma_f64 v[133:134], v[79:80], v[97:98], v[135:136]
	v_fma_f64 v[135:136], v[77:78], v[97:98], -v[99:100]
	ds_load_b128 v[77:80], v1 offset:880
	scratch_load_b128 v[97:100], off, off offset:512
	v_add_f64_e32 v[2:3], v[2:3], v[105:106]
	v_add_f64_e32 v[10:11], v[10:11], v[107:108]
	ds_load_b128 v[103:106], v1 offset:896
	s_wait_loadcnt_dscnt 0x801
	v_mul_f64_e32 v[107:108], v[77:78], v[111:112]
	v_mul_f64_e32 v[111:112], v[79:80], v[111:112]
	v_fma_f64 v[123:124], v[123:124], v[101:102], v[129:130]
	v_fma_f64 v[101:102], v[121:122], v[101:102], -v[131:132]
	v_add_f64_e32 v[2:3], v[2:3], v[135:136]
	v_add_f64_e32 v[10:11], v[10:11], v[133:134]
	v_fma_f64 v[107:108], v[79:80], v[109:110], v[107:108]
	v_fma_f64 v[109:110], v[77:78], v[109:110], -v[111:112]
	s_wait_loadcnt_dscnt 0x700
	v_mul_f64_e32 v[121:122], v[103:104], v[8:9]
	v_mul_f64_e32 v[129:130], v[105:106], v[8:9]
	v_add_f64_e32 v[2:3], v[2:3], v[101:102]
	v_add_f64_e32 v[101:102], v[10:11], v[123:124]
	ds_load_b128 v[8:11], v1 offset:912
	ds_load_b128 v[77:80], v1 offset:928
	v_fma_f64 v[105:106], v[105:106], v[6:7], v[121:122]
	v_fma_f64 v[6:7], v[103:104], v[6:7], -v[129:130]
	s_wait_loadcnt_dscnt 0x601
	v_mul_f64_e32 v[111:112], v[8:9], v[119:120]
	v_mul_f64_e32 v[119:120], v[10:11], v[119:120]
	v_add_f64_e32 v[2:3], v[2:3], v[109:110]
	v_add_f64_e32 v[101:102], v[101:102], v[107:108]
	s_wait_loadcnt_dscnt 0x500
	v_mul_f64_e32 v[107:108], v[77:78], v[127:128]
	v_mul_f64_e32 v[109:110], v[79:80], v[127:128]
	v_fma_f64 v[10:11], v[10:11], v[117:118], v[111:112]
	v_fma_f64 v[111:112], v[8:9], v[117:118], -v[119:120]
	v_add_f64_e32 v[2:3], v[2:3], v[6:7]
	v_add_f64_e32 v[105:106], v[101:102], v[105:106]
	ds_load_b128 v[6:9], v1 offset:944
	ds_load_b128 v[101:104], v1 offset:960
	v_fma_f64 v[79:80], v[79:80], v[125:126], v[107:108]
	v_fma_f64 v[77:78], v[77:78], v[125:126], -v[109:110]
	s_wait_loadcnt_dscnt 0x401
	v_mul_f64_e32 v[117:118], v[6:7], v[83:84]
	v_mul_f64_e32 v[83:84], v[8:9], v[83:84]
	v_add_f64_e32 v[2:3], v[2:3], v[111:112]
	v_add_f64_e32 v[10:11], v[105:106], v[10:11]
	s_wait_loadcnt_dscnt 0x300
	v_mul_f64_e32 v[105:106], v[101:102], v[87:88]
	v_mul_f64_e32 v[87:88], v[103:104], v[87:88]
	v_fma_f64 v[107:108], v[8:9], v[81:82], v[117:118]
	v_fma_f64 v[81:82], v[6:7], v[81:82], -v[83:84]
	v_add_f64_e32 v[2:3], v[2:3], v[77:78]
	v_add_f64_e32 v[10:11], v[10:11], v[79:80]
	ds_load_b128 v[6:9], v1 offset:976
	ds_load_b128 v[77:80], v1 offset:992
	v_fma_f64 v[103:104], v[103:104], v[85:86], v[105:106]
	v_fma_f64 v[85:86], v[101:102], v[85:86], -v[87:88]
	s_wait_loadcnt_dscnt 0x201
	v_mul_f64_e32 v[83:84], v[6:7], v[91:92]
	v_mul_f64_e32 v[91:92], v[8:9], v[91:92]
	s_wait_loadcnt_dscnt 0x100
	v_mul_f64_e32 v[87:88], v[79:80], v[95:96]
	v_add_f64_e32 v[2:3], v[2:3], v[81:82]
	v_add_f64_e32 v[10:11], v[10:11], v[107:108]
	v_mul_f64_e32 v[81:82], v[77:78], v[95:96]
	v_fma_f64 v[83:84], v[8:9], v[89:90], v[83:84]
	v_fma_f64 v[89:90], v[6:7], v[89:90], -v[91:92]
	ds_load_b128 v[6:9], v1 offset:1008
	v_fma_f64 v[77:78], v[77:78], v[93:94], -v[87:88]
	v_add_f64_e32 v[2:3], v[2:3], v[85:86]
	v_add_f64_e32 v[10:11], v[10:11], v[103:104]
	v_fma_f64 v[79:80], v[79:80], v[93:94], v[81:82]
	s_wait_loadcnt_dscnt 0x0
	v_mul_f64_e32 v[85:86], v[6:7], v[99:100]
	v_mul_f64_e32 v[91:92], v[8:9], v[99:100]
	v_add_f64_e32 v[2:3], v[2:3], v[89:90]
	v_add_f64_e32 v[10:11], v[10:11], v[83:84]
	s_delay_alu instid0(VALU_DEP_4) | instskip(NEXT) | instid1(VALU_DEP_4)
	v_fma_f64 v[8:9], v[8:9], v[97:98], v[85:86]
	v_fma_f64 v[6:7], v[6:7], v[97:98], -v[91:92]
	s_delay_alu instid0(VALU_DEP_4) | instskip(NEXT) | instid1(VALU_DEP_4)
	v_add_f64_e32 v[2:3], v[2:3], v[77:78]
	v_add_f64_e32 v[10:11], v[10:11], v[79:80]
	s_delay_alu instid0(VALU_DEP_2) | instskip(NEXT) | instid1(VALU_DEP_2)
	v_add_f64_e32 v[2:3], v[2:3], v[6:7]
	v_add_f64_e32 v[8:9], v[10:11], v[8:9]
	s_delay_alu instid0(VALU_DEP_2) | instskip(NEXT) | instid1(VALU_DEP_2)
	v_add_f64_e64 v[6:7], v[113:114], -v[2:3]
	v_add_f64_e64 v[8:9], v[115:116], -v[8:9]
	scratch_store_b128 off, v[6:9], off offset:80
	v_cmpx_lt_u32_e32 3, v0
	s_cbranch_execz .LBB95_199
; %bb.198:
	scratch_load_b128 v[6:9], off, s23
	v_dual_mov_b32 v2, v1 :: v_dual_mov_b32 v3, v1
	v_mov_b32_e32 v4, v1
	scratch_store_b128 off, v[1:4], off offset:64
	s_wait_loadcnt 0x0
	ds_store_b128 v5, v[6:9]
.LBB95_199:
	s_wait_alu 0xfffe
	s_or_b32 exec_lo, exec_lo, s0
	s_wait_storecnt_dscnt 0x0
	s_barrier_signal -1
	s_barrier_wait -1
	global_inv scope:SCOPE_SE
	s_clause 0x8
	scratch_load_b128 v[6:9], off, off offset:80
	scratch_load_b128 v[77:80], off, off offset:96
	scratch_load_b128 v[81:84], off, off offset:112
	scratch_load_b128 v[85:88], off, off offset:128
	scratch_load_b128 v[89:92], off, off offset:144
	scratch_load_b128 v[93:96], off, off offset:160
	scratch_load_b128 v[97:100], off, off offset:176
	scratch_load_b128 v[101:104], off, off offset:192
	scratch_load_b128 v[105:108], off, off offset:208
	ds_load_b128 v[109:112], v1 offset:576
	ds_load_b128 v[113:116], v1 offset:592
	scratch_load_b128 v[117:120], off, off offset:64
	s_mov_b32 s0, exec_lo
	ds_load_b128 v[125:128], v1 offset:624
	s_wait_loadcnt_dscnt 0x902
	v_mul_f64_e32 v[2:3], v[111:112], v[8:9]
	v_mul_f64_e32 v[121:122], v[109:110], v[8:9]
	scratch_load_b128 v[8:11], off, off offset:224
	s_wait_loadcnt_dscnt 0x901
	v_mul_f64_e32 v[129:130], v[113:114], v[79:80]
	v_mul_f64_e32 v[79:80], v[115:116], v[79:80]
	v_fma_f64 v[2:3], v[109:110], v[6:7], -v[2:3]
	v_fma_f64 v[6:7], v[111:112], v[6:7], v[121:122]
	ds_load_b128 v[109:112], v1 offset:608
	scratch_load_b128 v[121:124], off, off offset:240
	v_fma_f64 v[115:116], v[115:116], v[77:78], v[129:130]
	v_fma_f64 v[113:114], v[113:114], v[77:78], -v[79:80]
	scratch_load_b128 v[77:80], off, off offset:256
	s_wait_loadcnt_dscnt 0x901
	v_mul_f64_e32 v[129:130], v[125:126], v[87:88]
	v_mul_f64_e32 v[87:88], v[127:128], v[87:88]
	s_wait_dscnt 0x0
	v_mul_f64_e32 v[131:132], v[109:110], v[83:84]
	v_mul_f64_e32 v[83:84], v[111:112], v[83:84]
	v_add_f64_e32 v[2:3], 0, v[2:3]
	v_add_f64_e32 v[6:7], 0, v[6:7]
	v_fma_f64 v[127:128], v[127:128], v[85:86], v[129:130]
	v_fma_f64 v[125:126], v[125:126], v[85:86], -v[87:88]
	scratch_load_b128 v[85:88], off, off offset:288
	v_fma_f64 v[131:132], v[111:112], v[81:82], v[131:132]
	v_fma_f64 v[133:134], v[109:110], v[81:82], -v[83:84]
	ds_load_b128 v[81:84], v1 offset:640
	scratch_load_b128 v[109:112], off, off offset:272
	v_add_f64_e32 v[2:3], v[2:3], v[113:114]
	v_add_f64_e32 v[6:7], v[6:7], v[115:116]
	ds_load_b128 v[113:116], v1 offset:656
	s_wait_loadcnt_dscnt 0xa01
	v_mul_f64_e32 v[135:136], v[81:82], v[91:92]
	v_mul_f64_e32 v[91:92], v[83:84], v[91:92]
	s_wait_loadcnt_dscnt 0x900
	v_mul_f64_e32 v[129:130], v[113:114], v[95:96]
	v_mul_f64_e32 v[95:96], v[115:116], v[95:96]
	v_add_f64_e32 v[2:3], v[2:3], v[133:134]
	v_add_f64_e32 v[6:7], v[6:7], v[131:132]
	v_fma_f64 v[131:132], v[83:84], v[89:90], v[135:136]
	v_fma_f64 v[133:134], v[81:82], v[89:90], -v[91:92]
	ds_load_b128 v[81:84], v1 offset:672
	scratch_load_b128 v[89:92], off, off offset:304
	v_fma_f64 v[115:116], v[115:116], v[93:94], v[129:130]
	v_fma_f64 v[113:114], v[113:114], v[93:94], -v[95:96]
	scratch_load_b128 v[93:96], off, off offset:320
	v_add_f64_e32 v[2:3], v[2:3], v[125:126]
	v_add_f64_e32 v[6:7], v[6:7], v[127:128]
	ds_load_b128 v[125:128], v1 offset:688
	s_wait_loadcnt_dscnt 0xa01
	v_mul_f64_e32 v[135:136], v[81:82], v[99:100]
	v_mul_f64_e32 v[99:100], v[83:84], v[99:100]
	s_wait_loadcnt_dscnt 0x900
	v_mul_f64_e32 v[129:130], v[125:126], v[103:104]
	v_mul_f64_e32 v[103:104], v[127:128], v[103:104]
	v_add_f64_e32 v[2:3], v[2:3], v[133:134]
	v_add_f64_e32 v[6:7], v[6:7], v[131:132]
	v_fma_f64 v[131:132], v[83:84], v[97:98], v[135:136]
	v_fma_f64 v[133:134], v[81:82], v[97:98], -v[99:100]
	ds_load_b128 v[81:84], v1 offset:704
	scratch_load_b128 v[97:100], off, off offset:336
	v_fma_f64 v[127:128], v[127:128], v[101:102], v[129:130]
	v_fma_f64 v[125:126], v[125:126], v[101:102], -v[103:104]
	scratch_load_b128 v[101:104], off, off offset:352
	v_add_f64_e32 v[2:3], v[2:3], v[113:114]
	v_add_f64_e32 v[6:7], v[6:7], v[115:116]
	ds_load_b128 v[113:116], v1 offset:720
	s_wait_loadcnt_dscnt 0xa01
	v_mul_f64_e32 v[135:136], v[81:82], v[107:108]
	v_mul_f64_e32 v[107:108], v[83:84], v[107:108]
	v_add_f64_e32 v[2:3], v[2:3], v[133:134]
	v_add_f64_e32 v[6:7], v[6:7], v[131:132]
	s_delay_alu instid0(VALU_DEP_4) | instskip(NEXT) | instid1(VALU_DEP_4)
	v_fma_f64 v[131:132], v[83:84], v[105:106], v[135:136]
	v_fma_f64 v[133:134], v[81:82], v[105:106], -v[107:108]
	ds_load_b128 v[81:84], v1 offset:736
	scratch_load_b128 v[105:108], off, off offset:368
	s_wait_loadcnt_dscnt 0x901
	v_mul_f64_e32 v[129:130], v[113:114], v[10:11]
	v_mul_f64_e32 v[10:11], v[115:116], v[10:11]
	v_add_f64_e32 v[2:3], v[2:3], v[125:126]
	v_add_f64_e32 v[6:7], v[6:7], v[127:128]
	ds_load_b128 v[125:128], v1 offset:752
	v_fma_f64 v[115:116], v[115:116], v[8:9], v[129:130]
	s_wait_loadcnt_dscnt 0x801
	v_mul_f64_e32 v[135:136], v[81:82], v[123:124]
	v_mul_f64_e32 v[123:124], v[83:84], v[123:124]
	v_fma_f64 v[10:11], v[113:114], v[8:9], -v[10:11]
	s_wait_loadcnt_dscnt 0x700
	v_mul_f64_e32 v[129:130], v[125:126], v[79:80]
	v_add_f64_e32 v[2:3], v[2:3], v[133:134]
	v_add_f64_e32 v[113:114], v[6:7], v[131:132]
	scratch_load_b128 v[6:9], off, off offset:384
	v_mul_f64_e32 v[131:132], v[127:128], v[79:80]
	v_fma_f64 v[83:84], v[83:84], v[121:122], v[135:136]
	v_fma_f64 v[133:134], v[81:82], v[121:122], -v[123:124]
	ds_load_b128 v[79:82], v1 offset:768
	ds_load_b128 v[121:124], v1 offset:784
	v_fma_f64 v[129:130], v[127:128], v[77:78], v[129:130]
	v_add_f64_e32 v[2:3], v[2:3], v[10:11]
	v_add_f64_e32 v[10:11], v[113:114], v[115:116]
	scratch_load_b128 v[113:116], off, off offset:400
	s_wait_loadcnt_dscnt 0x701
	v_mul_f64_e32 v[135:136], v[79:80], v[111:112]
	v_mul_f64_e32 v[111:112], v[81:82], v[111:112]
	v_fma_f64 v[77:78], v[125:126], v[77:78], -v[131:132]
	scratch_load_b128 v[125:128], off, off offset:416
	s_wait_dscnt 0x0
	v_mul_f64_e32 v[131:132], v[121:122], v[87:88]
	v_mul_f64_e32 v[87:88], v[123:124], v[87:88]
	v_add_f64_e32 v[2:3], v[2:3], v[133:134]
	v_add_f64_e32 v[10:11], v[10:11], v[83:84]
	v_fma_f64 v[133:134], v[81:82], v[109:110], v[135:136]
	v_fma_f64 v[135:136], v[79:80], v[109:110], -v[111:112]
	scratch_load_b128 v[81:84], off, off offset:432
	ds_load_b128 v[109:112], v1 offset:816
	v_fma_f64 v[123:124], v[123:124], v[85:86], v[131:132]
	v_fma_f64 v[121:122], v[121:122], v[85:86], -v[87:88]
	scratch_load_b128 v[85:88], off, off offset:448
	v_add_f64_e32 v[2:3], v[2:3], v[77:78]
	v_add_f64_e32 v[10:11], v[10:11], v[129:130]
	ds_load_b128 v[77:80], v1 offset:800
	s_wait_loadcnt_dscnt 0x801
	v_mul_f64_e32 v[131:132], v[109:110], v[95:96]
	v_mul_f64_e32 v[95:96], v[111:112], v[95:96]
	s_wait_dscnt 0x0
	v_mul_f64_e32 v[129:130], v[77:78], v[91:92]
	v_mul_f64_e32 v[91:92], v[79:80], v[91:92]
	v_add_f64_e32 v[2:3], v[2:3], v[135:136]
	v_add_f64_e32 v[10:11], v[10:11], v[133:134]
	v_fma_f64 v[111:112], v[111:112], v[93:94], v[131:132]
	v_fma_f64 v[109:110], v[109:110], v[93:94], -v[95:96]
	scratch_load_b128 v[93:96], off, off offset:480
	v_fma_f64 v[129:130], v[79:80], v[89:90], v[129:130]
	v_fma_f64 v[133:134], v[77:78], v[89:90], -v[91:92]
	ds_load_b128 v[77:80], v1 offset:832
	scratch_load_b128 v[89:92], off, off offset:464
	v_add_f64_e32 v[2:3], v[2:3], v[121:122]
	v_add_f64_e32 v[10:11], v[10:11], v[123:124]
	ds_load_b128 v[121:124], v1 offset:848
	s_wait_loadcnt_dscnt 0x901
	v_mul_f64_e32 v[135:136], v[77:78], v[99:100]
	v_mul_f64_e32 v[99:100], v[79:80], v[99:100]
	v_add_f64_e32 v[2:3], v[2:3], v[133:134]
	v_add_f64_e32 v[10:11], v[10:11], v[129:130]
	s_wait_loadcnt_dscnt 0x800
	v_mul_f64_e32 v[129:130], v[121:122], v[103:104]
	v_mul_f64_e32 v[103:104], v[123:124], v[103:104]
	v_fma_f64 v[131:132], v[79:80], v[97:98], v[135:136]
	v_fma_f64 v[133:134], v[77:78], v[97:98], -v[99:100]
	ds_load_b128 v[77:80], v1 offset:864
	scratch_load_b128 v[97:100], off, off offset:496
	v_add_f64_e32 v[2:3], v[2:3], v[109:110]
	v_add_f64_e32 v[10:11], v[10:11], v[111:112]
	ds_load_b128 v[109:112], v1 offset:880
	s_wait_loadcnt_dscnt 0x801
	v_mul_f64_e32 v[135:136], v[77:78], v[107:108]
	v_mul_f64_e32 v[107:108], v[79:80], v[107:108]
	v_fma_f64 v[123:124], v[123:124], v[101:102], v[129:130]
	v_fma_f64 v[121:122], v[121:122], v[101:102], -v[103:104]
	scratch_load_b128 v[101:104], off, off offset:512
	v_add_f64_e32 v[2:3], v[2:3], v[133:134]
	v_add_f64_e32 v[10:11], v[10:11], v[131:132]
	v_fma_f64 v[133:134], v[79:80], v[105:106], v[135:136]
	v_fma_f64 v[105:106], v[77:78], v[105:106], -v[107:108]
	s_wait_loadcnt_dscnt 0x800
	v_mul_f64_e32 v[129:130], v[109:110], v[8:9]
	v_mul_f64_e32 v[131:132], v[111:112], v[8:9]
	v_add_f64_e32 v[2:3], v[2:3], v[121:122]
	v_add_f64_e32 v[107:108], v[10:11], v[123:124]
	ds_load_b128 v[8:11], v1 offset:896
	ds_load_b128 v[77:80], v1 offset:912
	v_fma_f64 v[111:112], v[111:112], v[6:7], v[129:130]
	v_fma_f64 v[6:7], v[109:110], v[6:7], -v[131:132]
	s_wait_loadcnt_dscnt 0x701
	v_mul_f64_e32 v[121:122], v[8:9], v[115:116]
	v_mul_f64_e32 v[115:116], v[10:11], v[115:116]
	s_wait_loadcnt_dscnt 0x600
	v_mul_f64_e32 v[109:110], v[77:78], v[127:128]
	v_mul_f64_e32 v[123:124], v[79:80], v[127:128]
	v_add_f64_e32 v[2:3], v[2:3], v[105:106]
	v_add_f64_e32 v[105:106], v[107:108], v[133:134]
	v_fma_f64 v[10:11], v[10:11], v[113:114], v[121:122]
	v_fma_f64 v[113:114], v[8:9], v[113:114], -v[115:116]
	v_fma_f64 v[79:80], v[79:80], v[125:126], v[109:110]
	v_fma_f64 v[77:78], v[77:78], v[125:126], -v[123:124]
	v_add_f64_e32 v[2:3], v[2:3], v[6:7]
	v_add_f64_e32 v[111:112], v[105:106], v[111:112]
	ds_load_b128 v[6:9], v1 offset:928
	ds_load_b128 v[105:108], v1 offset:944
	s_wait_loadcnt_dscnt 0x501
	v_mul_f64_e32 v[115:116], v[6:7], v[83:84]
	v_mul_f64_e32 v[83:84], v[8:9], v[83:84]
	s_wait_loadcnt_dscnt 0x400
	v_mul_f64_e32 v[109:110], v[105:106], v[87:88]
	v_mul_f64_e32 v[87:88], v[107:108], v[87:88]
	v_add_f64_e32 v[2:3], v[2:3], v[113:114]
	v_add_f64_e32 v[10:11], v[111:112], v[10:11]
	v_fma_f64 v[111:112], v[8:9], v[81:82], v[115:116]
	v_fma_f64 v[81:82], v[6:7], v[81:82], -v[83:84]
	v_fma_f64 v[107:108], v[107:108], v[85:86], v[109:110]
	v_fma_f64 v[85:86], v[105:106], v[85:86], -v[87:88]
	v_add_f64_e32 v[2:3], v[2:3], v[77:78]
	v_add_f64_e32 v[10:11], v[10:11], v[79:80]
	ds_load_b128 v[6:9], v1 offset:960
	ds_load_b128 v[77:80], v1 offset:976
	s_wait_loadcnt_dscnt 0x201
	v_mul_f64_e32 v[83:84], v[6:7], v[91:92]
	v_mul_f64_e32 v[91:92], v[8:9], v[91:92]
	s_wait_dscnt 0x0
	v_mul_f64_e32 v[87:88], v[79:80], v[95:96]
	v_add_f64_e32 v[2:3], v[2:3], v[81:82]
	v_add_f64_e32 v[10:11], v[10:11], v[111:112]
	v_mul_f64_e32 v[81:82], v[77:78], v[95:96]
	v_fma_f64 v[83:84], v[8:9], v[89:90], v[83:84]
	v_fma_f64 v[89:90], v[6:7], v[89:90], -v[91:92]
	v_fma_f64 v[77:78], v[77:78], v[93:94], -v[87:88]
	v_add_f64_e32 v[85:86], v[2:3], v[85:86]
	v_add_f64_e32 v[10:11], v[10:11], v[107:108]
	ds_load_b128 v[6:9], v1 offset:992
	ds_load_b128 v[1:4], v1 offset:1008
	v_fma_f64 v[79:80], v[79:80], v[93:94], v[81:82]
	s_wait_loadcnt_dscnt 0x101
	v_mul_f64_e32 v[91:92], v[6:7], v[99:100]
	v_mul_f64_e32 v[95:96], v[8:9], v[99:100]
	v_add_f64_e32 v[81:82], v[85:86], v[89:90]
	v_add_f64_e32 v[10:11], v[10:11], v[83:84]
	s_wait_loadcnt_dscnt 0x0
	v_mul_f64_e32 v[83:84], v[1:2], v[103:104]
	v_mul_f64_e32 v[85:86], v[3:4], v[103:104]
	v_fma_f64 v[8:9], v[8:9], v[97:98], v[91:92]
	v_fma_f64 v[6:7], v[6:7], v[97:98], -v[95:96]
	v_add_f64_e32 v[77:78], v[81:82], v[77:78]
	v_add_f64_e32 v[10:11], v[10:11], v[79:80]
	v_fma_f64 v[3:4], v[3:4], v[101:102], v[83:84]
	v_fma_f64 v[1:2], v[1:2], v[101:102], -v[85:86]
	s_delay_alu instid0(VALU_DEP_4) | instskip(NEXT) | instid1(VALU_DEP_4)
	v_add_f64_e32 v[6:7], v[77:78], v[6:7]
	v_add_f64_e32 v[8:9], v[10:11], v[8:9]
	s_delay_alu instid0(VALU_DEP_2) | instskip(NEXT) | instid1(VALU_DEP_2)
	v_add_f64_e32 v[1:2], v[6:7], v[1:2]
	v_add_f64_e32 v[3:4], v[8:9], v[3:4]
	s_delay_alu instid0(VALU_DEP_2) | instskip(NEXT) | instid1(VALU_DEP_2)
	v_add_f64_e64 v[1:2], v[117:118], -v[1:2]
	v_add_f64_e64 v[3:4], v[119:120], -v[3:4]
	scratch_store_b128 off, v[1:4], off offset:64
	v_cmpx_lt_u32_e32 2, v0
	s_cbranch_execz .LBB95_201
; %bb.200:
	scratch_load_b128 v[1:4], off, s39
	v_mov_b32_e32 v6, 0
	s_delay_alu instid0(VALU_DEP_1)
	v_dual_mov_b32 v7, v6 :: v_dual_mov_b32 v8, v6
	v_mov_b32_e32 v9, v6
	scratch_store_b128 off, v[6:9], off offset:48
	s_wait_loadcnt 0x0
	ds_store_b128 v5, v[1:4]
.LBB95_201:
	s_wait_alu 0xfffe
	s_or_b32 exec_lo, exec_lo, s0
	s_wait_storecnt_dscnt 0x0
	s_barrier_signal -1
	s_barrier_wait -1
	global_inv scope:SCOPE_SE
	s_clause 0x7
	scratch_load_b128 v[6:9], off, off offset:64
	scratch_load_b128 v[77:80], off, off offset:80
	;; [unrolled: 1-line block ×8, first 2 shown]
	v_mov_b32_e32 v1, 0
	s_mov_b32 s0, exec_lo
	ds_load_b128 v[105:108], v1 offset:560
	s_clause 0x1
	scratch_load_b128 v[109:112], off, off offset:192
	scratch_load_b128 v[113:116], off, off offset:48
	ds_load_b128 v[117:120], v1 offset:576
	ds_load_b128 v[125:128], v1 offset:608
	s_wait_loadcnt_dscnt 0x902
	v_mul_f64_e32 v[2:3], v[107:108], v[8:9]
	v_mul_f64_e32 v[121:122], v[105:106], v[8:9]
	scratch_load_b128 v[8:11], off, off offset:208
	v_fma_f64 v[2:3], v[105:106], v[6:7], -v[2:3]
	v_fma_f64 v[6:7], v[107:108], v[6:7], v[121:122]
	ds_load_b128 v[105:108], v1 offset:592
	s_wait_loadcnt_dscnt 0x902
	v_mul_f64_e32 v[129:130], v[117:118], v[79:80]
	v_mul_f64_e32 v[79:80], v[119:120], v[79:80]
	scratch_load_b128 v[121:124], off, off offset:224
	s_wait_loadcnt_dscnt 0x900
	v_mul_f64_e32 v[131:132], v[105:106], v[83:84]
	v_mul_f64_e32 v[83:84], v[107:108], v[83:84]
	v_add_f64_e32 v[2:3], 0, v[2:3]
	v_add_f64_e32 v[6:7], 0, v[6:7]
	v_fma_f64 v[119:120], v[119:120], v[77:78], v[129:130]
	v_fma_f64 v[117:118], v[117:118], v[77:78], -v[79:80]
	scratch_load_b128 v[77:80], off, off offset:240
	v_fma_f64 v[131:132], v[107:108], v[81:82], v[131:132]
	v_fma_f64 v[133:134], v[105:106], v[81:82], -v[83:84]
	ds_load_b128 v[81:84], v1 offset:624
	s_wait_loadcnt 0x9
	v_mul_f64_e32 v[129:130], v[125:126], v[87:88]
	v_mul_f64_e32 v[87:88], v[127:128], v[87:88]
	scratch_load_b128 v[105:108], off, off offset:256
	v_add_f64_e32 v[6:7], v[6:7], v[119:120]
	v_add_f64_e32 v[2:3], v[2:3], v[117:118]
	ds_load_b128 v[117:120], v1 offset:640
	s_wait_loadcnt_dscnt 0x901
	v_mul_f64_e32 v[135:136], v[81:82], v[91:92]
	v_mul_f64_e32 v[91:92], v[83:84], v[91:92]
	v_fma_f64 v[127:128], v[127:128], v[85:86], v[129:130]
	v_fma_f64 v[125:126], v[125:126], v[85:86], -v[87:88]
	scratch_load_b128 v[85:88], off, off offset:272
	v_add_f64_e32 v[6:7], v[6:7], v[131:132]
	v_add_f64_e32 v[2:3], v[2:3], v[133:134]
	v_fma_f64 v[131:132], v[83:84], v[89:90], v[135:136]
	v_fma_f64 v[133:134], v[81:82], v[89:90], -v[91:92]
	ds_load_b128 v[81:84], v1 offset:656
	s_wait_loadcnt_dscnt 0x901
	v_mul_f64_e32 v[129:130], v[117:118], v[95:96]
	v_mul_f64_e32 v[95:96], v[119:120], v[95:96]
	scratch_load_b128 v[89:92], off, off offset:288
	s_wait_loadcnt_dscnt 0x900
	v_mul_f64_e32 v[135:136], v[81:82], v[99:100]
	v_mul_f64_e32 v[99:100], v[83:84], v[99:100]
	v_add_f64_e32 v[6:7], v[6:7], v[127:128]
	v_add_f64_e32 v[2:3], v[2:3], v[125:126]
	ds_load_b128 v[125:128], v1 offset:672
	v_fma_f64 v[119:120], v[119:120], v[93:94], v[129:130]
	v_fma_f64 v[117:118], v[117:118], v[93:94], -v[95:96]
	scratch_load_b128 v[93:96], off, off offset:304
	v_add_f64_e32 v[6:7], v[6:7], v[131:132]
	v_add_f64_e32 v[2:3], v[2:3], v[133:134]
	v_fma_f64 v[131:132], v[83:84], v[97:98], v[135:136]
	v_fma_f64 v[133:134], v[81:82], v[97:98], -v[99:100]
	ds_load_b128 v[81:84], v1 offset:688
	s_wait_loadcnt_dscnt 0x901
	v_mul_f64_e32 v[129:130], v[125:126], v[103:104]
	v_mul_f64_e32 v[103:104], v[127:128], v[103:104]
	scratch_load_b128 v[97:100], off, off offset:320
	s_wait_loadcnt_dscnt 0x900
	v_mul_f64_e32 v[135:136], v[81:82], v[111:112]
	v_mul_f64_e32 v[111:112], v[83:84], v[111:112]
	v_add_f64_e32 v[6:7], v[6:7], v[119:120]
	v_add_f64_e32 v[2:3], v[2:3], v[117:118]
	ds_load_b128 v[117:120], v1 offset:704
	v_fma_f64 v[127:128], v[127:128], v[101:102], v[129:130]
	v_fma_f64 v[125:126], v[125:126], v[101:102], -v[103:104]
	scratch_load_b128 v[101:104], off, off offset:336
	v_add_f64_e32 v[6:7], v[6:7], v[131:132]
	v_add_f64_e32 v[2:3], v[2:3], v[133:134]
	v_fma_f64 v[131:132], v[83:84], v[109:110], v[135:136]
	v_fma_f64 v[133:134], v[81:82], v[109:110], -v[111:112]
	ds_load_b128 v[81:84], v1 offset:720
	scratch_load_b128 v[109:112], off, off offset:352
	s_wait_loadcnt_dscnt 0x901
	v_mul_f64_e32 v[129:130], v[117:118], v[10:11]
	v_mul_f64_e32 v[10:11], v[119:120], v[10:11]
	v_add_f64_e32 v[6:7], v[6:7], v[127:128]
	v_add_f64_e32 v[2:3], v[2:3], v[125:126]
	ds_load_b128 v[125:128], v1 offset:736
	v_fma_f64 v[119:120], v[119:120], v[8:9], v[129:130]
	v_fma_f64 v[10:11], v[117:118], v[8:9], -v[10:11]
	s_wait_loadcnt_dscnt 0x801
	v_mul_f64_e32 v[135:136], v[81:82], v[123:124]
	v_mul_f64_e32 v[123:124], v[83:84], v[123:124]
	v_add_f64_e32 v[117:118], v[6:7], v[131:132]
	v_add_f64_e32 v[2:3], v[2:3], v[133:134]
	scratch_load_b128 v[6:9], off, off offset:368
	v_fma_f64 v[83:84], v[83:84], v[121:122], v[135:136]
	v_fma_f64 v[133:134], v[81:82], v[121:122], -v[123:124]
	ds_load_b128 v[121:124], v1 offset:768
	s_wait_loadcnt_dscnt 0x801
	v_mul_f64_e32 v[129:130], v[125:126], v[79:80]
	v_mul_f64_e32 v[131:132], v[127:128], v[79:80]
	ds_load_b128 v[79:82], v1 offset:752
	v_add_f64_e32 v[2:3], v[2:3], v[10:11]
	v_add_f64_e32 v[10:11], v[117:118], v[119:120]
	scratch_load_b128 v[117:120], off, off offset:384
	s_wait_loadcnt_dscnt 0x800
	v_mul_f64_e32 v[135:136], v[79:80], v[107:108]
	v_mul_f64_e32 v[107:108], v[81:82], v[107:108]
	v_fma_f64 v[129:130], v[127:128], v[77:78], v[129:130]
	v_fma_f64 v[77:78], v[125:126], v[77:78], -v[131:132]
	scratch_load_b128 v[125:128], off, off offset:400
	v_add_f64_e32 v[2:3], v[2:3], v[133:134]
	v_add_f64_e32 v[10:11], v[10:11], v[83:84]
	s_wait_loadcnt 0x8
	v_mul_f64_e32 v[131:132], v[121:122], v[87:88]
	v_mul_f64_e32 v[87:88], v[123:124], v[87:88]
	v_fma_f64 v[133:134], v[81:82], v[105:106], v[135:136]
	v_fma_f64 v[135:136], v[79:80], v[105:106], -v[107:108]
	scratch_load_b128 v[81:84], off, off offset:416
	ds_load_b128 v[105:108], v1 offset:800
	v_add_f64_e32 v[2:3], v[2:3], v[77:78]
	v_add_f64_e32 v[10:11], v[10:11], v[129:130]
	ds_load_b128 v[77:80], v1 offset:784
	v_fma_f64 v[123:124], v[123:124], v[85:86], v[131:132]
	v_fma_f64 v[121:122], v[121:122], v[85:86], -v[87:88]
	scratch_load_b128 v[85:88], off, off offset:432
	s_wait_loadcnt_dscnt 0x900
	v_mul_f64_e32 v[129:130], v[77:78], v[91:92]
	v_mul_f64_e32 v[91:92], v[79:80], v[91:92]
	s_wait_loadcnt 0x8
	v_mul_f64_e32 v[131:132], v[105:106], v[95:96]
	v_mul_f64_e32 v[95:96], v[107:108], v[95:96]
	v_add_f64_e32 v[2:3], v[2:3], v[135:136]
	v_add_f64_e32 v[10:11], v[10:11], v[133:134]
	v_fma_f64 v[129:130], v[79:80], v[89:90], v[129:130]
	v_fma_f64 v[133:134], v[77:78], v[89:90], -v[91:92]
	ds_load_b128 v[77:80], v1 offset:816
	scratch_load_b128 v[89:92], off, off offset:448
	v_fma_f64 v[107:108], v[107:108], v[93:94], v[131:132]
	v_fma_f64 v[105:106], v[105:106], v[93:94], -v[95:96]
	scratch_load_b128 v[93:96], off, off offset:464
	v_add_f64_e32 v[2:3], v[2:3], v[121:122]
	v_add_f64_e32 v[10:11], v[10:11], v[123:124]
	ds_load_b128 v[121:124], v1 offset:832
	s_wait_loadcnt_dscnt 0x901
	v_mul_f64_e32 v[135:136], v[77:78], v[99:100]
	v_mul_f64_e32 v[99:100], v[79:80], v[99:100]
	s_wait_loadcnt_dscnt 0x800
	v_mul_f64_e32 v[131:132], v[123:124], v[103:104]
	v_add_f64_e32 v[2:3], v[2:3], v[133:134]
	v_add_f64_e32 v[10:11], v[10:11], v[129:130]
	v_mul_f64_e32 v[129:130], v[121:122], v[103:104]
	v_fma_f64 v[133:134], v[79:80], v[97:98], v[135:136]
	v_fma_f64 v[135:136], v[77:78], v[97:98], -v[99:100]
	ds_load_b128 v[77:80], v1 offset:848
	scratch_load_b128 v[97:100], off, off offset:480
	v_add_f64_e32 v[2:3], v[2:3], v[105:106]
	v_add_f64_e32 v[10:11], v[10:11], v[107:108]
	ds_load_b128 v[103:106], v1 offset:864
	s_wait_loadcnt_dscnt 0x801
	v_mul_f64_e32 v[107:108], v[77:78], v[111:112]
	v_mul_f64_e32 v[111:112], v[79:80], v[111:112]
	v_fma_f64 v[129:130], v[123:124], v[101:102], v[129:130]
	v_fma_f64 v[101:102], v[121:122], v[101:102], -v[131:132]
	scratch_load_b128 v[121:124], off, off offset:496
	v_add_f64_e32 v[2:3], v[2:3], v[135:136]
	v_add_f64_e32 v[10:11], v[10:11], v[133:134]
	v_fma_f64 v[135:136], v[79:80], v[109:110], v[107:108]
	v_fma_f64 v[111:112], v[77:78], v[109:110], -v[111:112]
	scratch_load_b128 v[77:80], off, off offset:512
	ds_load_b128 v[107:110], v1 offset:896
	s_wait_loadcnt_dscnt 0x901
	v_mul_f64_e32 v[131:132], v[103:104], v[8:9]
	v_mul_f64_e32 v[133:134], v[105:106], v[8:9]
	v_add_f64_e32 v[2:3], v[2:3], v[101:102]
	v_add_f64_e32 v[101:102], v[10:11], v[129:130]
	ds_load_b128 v[8:11], v1 offset:880
	v_fma_f64 v[105:106], v[105:106], v[6:7], v[131:132]
	v_fma_f64 v[6:7], v[103:104], v[6:7], -v[133:134]
	s_wait_loadcnt_dscnt 0x800
	v_mul_f64_e32 v[129:130], v[8:9], v[119:120]
	v_mul_f64_e32 v[119:120], v[10:11], v[119:120]
	v_add_f64_e32 v[2:3], v[2:3], v[111:112]
	v_add_f64_e32 v[101:102], v[101:102], v[135:136]
	s_wait_loadcnt 0x7
	v_mul_f64_e32 v[111:112], v[107:108], v[127:128]
	v_mul_f64_e32 v[127:128], v[109:110], v[127:128]
	v_fma_f64 v[10:11], v[10:11], v[117:118], v[129:130]
	v_fma_f64 v[117:118], v[8:9], v[117:118], -v[119:120]
	v_add_f64_e32 v[2:3], v[2:3], v[6:7]
	v_add_f64_e32 v[105:106], v[101:102], v[105:106]
	ds_load_b128 v[6:9], v1 offset:912
	ds_load_b128 v[101:104], v1 offset:928
	v_fma_f64 v[109:110], v[109:110], v[125:126], v[111:112]
	v_fma_f64 v[107:108], v[107:108], v[125:126], -v[127:128]
	s_wait_loadcnt_dscnt 0x601
	v_mul_f64_e32 v[119:120], v[6:7], v[83:84]
	v_mul_f64_e32 v[83:84], v[8:9], v[83:84]
	v_add_f64_e32 v[2:3], v[2:3], v[117:118]
	v_add_f64_e32 v[10:11], v[105:106], v[10:11]
	s_wait_loadcnt_dscnt 0x500
	v_mul_f64_e32 v[105:106], v[101:102], v[87:88]
	v_mul_f64_e32 v[87:88], v[103:104], v[87:88]
	v_fma_f64 v[111:112], v[8:9], v[81:82], v[119:120]
	v_fma_f64 v[117:118], v[6:7], v[81:82], -v[83:84]
	ds_load_b128 v[6:9], v1 offset:944
	ds_load_b128 v[81:84], v1 offset:960
	v_add_f64_e32 v[2:3], v[2:3], v[107:108]
	v_add_f64_e32 v[10:11], v[10:11], v[109:110]
	v_fma_f64 v[103:104], v[103:104], v[85:86], v[105:106]
	v_fma_f64 v[85:86], v[101:102], v[85:86], -v[87:88]
	s_wait_loadcnt_dscnt 0x401
	v_mul_f64_e32 v[107:108], v[6:7], v[91:92]
	v_mul_f64_e32 v[91:92], v[8:9], v[91:92]
	s_wait_loadcnt_dscnt 0x300
	v_mul_f64_e32 v[101:102], v[81:82], v[95:96]
	v_mul_f64_e32 v[95:96], v[83:84], v[95:96]
	v_add_f64_e32 v[2:3], v[2:3], v[117:118]
	v_add_f64_e32 v[10:11], v[10:11], v[111:112]
	v_fma_f64 v[105:106], v[8:9], v[89:90], v[107:108]
	v_fma_f64 v[89:90], v[6:7], v[89:90], -v[91:92]
	v_fma_f64 v[83:84], v[83:84], v[93:94], v[101:102]
	v_fma_f64 v[81:82], v[81:82], v[93:94], -v[95:96]
	v_add_f64_e32 v[2:3], v[2:3], v[85:86]
	v_add_f64_e32 v[10:11], v[10:11], v[103:104]
	ds_load_b128 v[6:9], v1 offset:976
	ds_load_b128 v[85:88], v1 offset:992
	s_wait_loadcnt_dscnt 0x201
	v_mul_f64_e32 v[91:92], v[6:7], v[99:100]
	v_mul_f64_e32 v[99:100], v[8:9], v[99:100]
	s_wait_loadcnt_dscnt 0x100
	v_mul_f64_e32 v[93:94], v[87:88], v[123:124]
	v_add_f64_e32 v[2:3], v[2:3], v[89:90]
	v_add_f64_e32 v[10:11], v[10:11], v[105:106]
	v_mul_f64_e32 v[89:90], v[85:86], v[123:124]
	v_fma_f64 v[91:92], v[8:9], v[97:98], v[91:92]
	v_fma_f64 v[95:96], v[6:7], v[97:98], -v[99:100]
	ds_load_b128 v[6:9], v1 offset:1008
	v_fma_f64 v[85:86], v[85:86], v[121:122], -v[93:94]
	v_add_f64_e32 v[2:3], v[2:3], v[81:82]
	v_add_f64_e32 v[10:11], v[10:11], v[83:84]
	v_fma_f64 v[83:84], v[87:88], v[121:122], v[89:90]
	s_wait_loadcnt_dscnt 0x0
	v_mul_f64_e32 v[81:82], v[6:7], v[79:80]
	v_mul_f64_e32 v[79:80], v[8:9], v[79:80]
	v_add_f64_e32 v[2:3], v[2:3], v[95:96]
	v_add_f64_e32 v[10:11], v[10:11], v[91:92]
	s_delay_alu instid0(VALU_DEP_4) | instskip(NEXT) | instid1(VALU_DEP_4)
	v_fma_f64 v[8:9], v[8:9], v[77:78], v[81:82]
	v_fma_f64 v[6:7], v[6:7], v[77:78], -v[79:80]
	s_delay_alu instid0(VALU_DEP_4) | instskip(NEXT) | instid1(VALU_DEP_4)
	v_add_f64_e32 v[2:3], v[2:3], v[85:86]
	v_add_f64_e32 v[10:11], v[10:11], v[83:84]
	s_delay_alu instid0(VALU_DEP_2) | instskip(NEXT) | instid1(VALU_DEP_2)
	v_add_f64_e32 v[2:3], v[2:3], v[6:7]
	v_add_f64_e32 v[8:9], v[10:11], v[8:9]
	s_delay_alu instid0(VALU_DEP_2) | instskip(NEXT) | instid1(VALU_DEP_2)
	v_add_f64_e64 v[6:7], v[113:114], -v[2:3]
	v_add_f64_e64 v[8:9], v[115:116], -v[8:9]
	scratch_store_b128 off, v[6:9], off offset:48
	v_cmpx_lt_u32_e32 1, v0
	s_cbranch_execz .LBB95_203
; %bb.202:
	scratch_load_b128 v[6:9], off, s40
	v_dual_mov_b32 v2, v1 :: v_dual_mov_b32 v3, v1
	v_mov_b32_e32 v4, v1
	scratch_store_b128 off, v[1:4], off offset:32
	s_wait_loadcnt 0x0
	ds_store_b128 v5, v[6:9]
.LBB95_203:
	s_wait_alu 0xfffe
	s_or_b32 exec_lo, exec_lo, s0
	s_wait_storecnt_dscnt 0x0
	s_barrier_signal -1
	s_barrier_wait -1
	global_inv scope:SCOPE_SE
	s_clause 0x8
	scratch_load_b128 v[6:9], off, off offset:48
	scratch_load_b128 v[77:80], off, off offset:64
	;; [unrolled: 1-line block ×9, first 2 shown]
	ds_load_b128 v[109:112], v1 offset:544
	ds_load_b128 v[113:116], v1 offset:560
	scratch_load_b128 v[117:120], off, off offset:32
	s_mov_b32 s0, exec_lo
	ds_load_b128 v[125:128], v1 offset:592
	s_wait_loadcnt_dscnt 0x902
	v_mul_f64_e32 v[2:3], v[111:112], v[8:9]
	v_mul_f64_e32 v[121:122], v[109:110], v[8:9]
	scratch_load_b128 v[8:11], off, off offset:192
	s_wait_loadcnt_dscnt 0x901
	v_mul_f64_e32 v[129:130], v[113:114], v[79:80]
	v_mul_f64_e32 v[79:80], v[115:116], v[79:80]
	v_fma_f64 v[2:3], v[109:110], v[6:7], -v[2:3]
	v_fma_f64 v[6:7], v[111:112], v[6:7], v[121:122]
	ds_load_b128 v[109:112], v1 offset:576
	scratch_load_b128 v[121:124], off, off offset:208
	v_fma_f64 v[115:116], v[115:116], v[77:78], v[129:130]
	v_fma_f64 v[113:114], v[113:114], v[77:78], -v[79:80]
	scratch_load_b128 v[77:80], off, off offset:224
	s_wait_loadcnt_dscnt 0x901
	v_mul_f64_e32 v[129:130], v[125:126], v[87:88]
	v_mul_f64_e32 v[87:88], v[127:128], v[87:88]
	s_wait_dscnt 0x0
	v_mul_f64_e32 v[131:132], v[109:110], v[83:84]
	v_mul_f64_e32 v[83:84], v[111:112], v[83:84]
	v_add_f64_e32 v[2:3], 0, v[2:3]
	v_add_f64_e32 v[6:7], 0, v[6:7]
	v_fma_f64 v[127:128], v[127:128], v[85:86], v[129:130]
	v_fma_f64 v[125:126], v[125:126], v[85:86], -v[87:88]
	scratch_load_b128 v[85:88], off, off offset:256
	v_fma_f64 v[131:132], v[111:112], v[81:82], v[131:132]
	v_fma_f64 v[133:134], v[109:110], v[81:82], -v[83:84]
	ds_load_b128 v[81:84], v1 offset:608
	scratch_load_b128 v[109:112], off, off offset:240
	v_add_f64_e32 v[2:3], v[2:3], v[113:114]
	v_add_f64_e32 v[6:7], v[6:7], v[115:116]
	ds_load_b128 v[113:116], v1 offset:624
	s_wait_loadcnt_dscnt 0xa01
	v_mul_f64_e32 v[135:136], v[81:82], v[91:92]
	v_mul_f64_e32 v[91:92], v[83:84], v[91:92]
	s_wait_loadcnt_dscnt 0x900
	v_mul_f64_e32 v[129:130], v[113:114], v[95:96]
	v_mul_f64_e32 v[95:96], v[115:116], v[95:96]
	v_add_f64_e32 v[2:3], v[2:3], v[133:134]
	v_add_f64_e32 v[6:7], v[6:7], v[131:132]
	v_fma_f64 v[131:132], v[83:84], v[89:90], v[135:136]
	v_fma_f64 v[133:134], v[81:82], v[89:90], -v[91:92]
	ds_load_b128 v[81:84], v1 offset:640
	scratch_load_b128 v[89:92], off, off offset:272
	v_fma_f64 v[115:116], v[115:116], v[93:94], v[129:130]
	v_fma_f64 v[113:114], v[113:114], v[93:94], -v[95:96]
	scratch_load_b128 v[93:96], off, off offset:288
	v_add_f64_e32 v[2:3], v[2:3], v[125:126]
	v_add_f64_e32 v[6:7], v[6:7], v[127:128]
	ds_load_b128 v[125:128], v1 offset:656
	s_wait_loadcnt_dscnt 0xa01
	v_mul_f64_e32 v[135:136], v[81:82], v[99:100]
	v_mul_f64_e32 v[99:100], v[83:84], v[99:100]
	s_wait_loadcnt_dscnt 0x900
	v_mul_f64_e32 v[129:130], v[125:126], v[103:104]
	v_mul_f64_e32 v[103:104], v[127:128], v[103:104]
	v_add_f64_e32 v[2:3], v[2:3], v[133:134]
	v_add_f64_e32 v[6:7], v[6:7], v[131:132]
	v_fma_f64 v[131:132], v[83:84], v[97:98], v[135:136]
	v_fma_f64 v[133:134], v[81:82], v[97:98], -v[99:100]
	ds_load_b128 v[81:84], v1 offset:672
	scratch_load_b128 v[97:100], off, off offset:304
	v_fma_f64 v[127:128], v[127:128], v[101:102], v[129:130]
	v_fma_f64 v[125:126], v[125:126], v[101:102], -v[103:104]
	scratch_load_b128 v[101:104], off, off offset:320
	v_add_f64_e32 v[2:3], v[2:3], v[113:114]
	v_add_f64_e32 v[6:7], v[6:7], v[115:116]
	ds_load_b128 v[113:116], v1 offset:688
	s_wait_loadcnt_dscnt 0xa01
	v_mul_f64_e32 v[135:136], v[81:82], v[107:108]
	v_mul_f64_e32 v[107:108], v[83:84], v[107:108]
	v_add_f64_e32 v[2:3], v[2:3], v[133:134]
	v_add_f64_e32 v[6:7], v[6:7], v[131:132]
	s_delay_alu instid0(VALU_DEP_4) | instskip(NEXT) | instid1(VALU_DEP_4)
	v_fma_f64 v[131:132], v[83:84], v[105:106], v[135:136]
	v_fma_f64 v[133:134], v[81:82], v[105:106], -v[107:108]
	ds_load_b128 v[81:84], v1 offset:704
	scratch_load_b128 v[105:108], off, off offset:336
	s_wait_loadcnt_dscnt 0x901
	v_mul_f64_e32 v[129:130], v[113:114], v[10:11]
	v_mul_f64_e32 v[10:11], v[115:116], v[10:11]
	v_add_f64_e32 v[2:3], v[2:3], v[125:126]
	v_add_f64_e32 v[6:7], v[6:7], v[127:128]
	ds_load_b128 v[125:128], v1 offset:720
	v_fma_f64 v[115:116], v[115:116], v[8:9], v[129:130]
	s_wait_loadcnt_dscnt 0x801
	v_mul_f64_e32 v[135:136], v[81:82], v[123:124]
	v_mul_f64_e32 v[123:124], v[83:84], v[123:124]
	v_fma_f64 v[10:11], v[113:114], v[8:9], -v[10:11]
	s_wait_loadcnt_dscnt 0x700
	v_mul_f64_e32 v[129:130], v[125:126], v[79:80]
	v_add_f64_e32 v[2:3], v[2:3], v[133:134]
	v_add_f64_e32 v[113:114], v[6:7], v[131:132]
	scratch_load_b128 v[6:9], off, off offset:352
	v_mul_f64_e32 v[131:132], v[127:128], v[79:80]
	v_fma_f64 v[83:84], v[83:84], v[121:122], v[135:136]
	v_fma_f64 v[133:134], v[81:82], v[121:122], -v[123:124]
	ds_load_b128 v[79:82], v1 offset:736
	ds_load_b128 v[121:124], v1 offset:752
	v_fma_f64 v[129:130], v[127:128], v[77:78], v[129:130]
	v_add_f64_e32 v[2:3], v[2:3], v[10:11]
	v_add_f64_e32 v[10:11], v[113:114], v[115:116]
	scratch_load_b128 v[113:116], off, off offset:368
	s_wait_loadcnt_dscnt 0x701
	v_mul_f64_e32 v[135:136], v[79:80], v[111:112]
	v_mul_f64_e32 v[111:112], v[81:82], v[111:112]
	v_fma_f64 v[77:78], v[125:126], v[77:78], -v[131:132]
	scratch_load_b128 v[125:128], off, off offset:384
	s_wait_dscnt 0x0
	v_mul_f64_e32 v[131:132], v[121:122], v[87:88]
	v_mul_f64_e32 v[87:88], v[123:124], v[87:88]
	v_add_f64_e32 v[2:3], v[2:3], v[133:134]
	v_add_f64_e32 v[10:11], v[10:11], v[83:84]
	v_fma_f64 v[133:134], v[81:82], v[109:110], v[135:136]
	v_fma_f64 v[135:136], v[79:80], v[109:110], -v[111:112]
	scratch_load_b128 v[81:84], off, off offset:400
	ds_load_b128 v[109:112], v1 offset:784
	v_fma_f64 v[123:124], v[123:124], v[85:86], v[131:132]
	v_fma_f64 v[121:122], v[121:122], v[85:86], -v[87:88]
	scratch_load_b128 v[85:88], off, off offset:416
	v_add_f64_e32 v[2:3], v[2:3], v[77:78]
	v_add_f64_e32 v[10:11], v[10:11], v[129:130]
	ds_load_b128 v[77:80], v1 offset:768
	s_wait_loadcnt_dscnt 0x801
	v_mul_f64_e32 v[131:132], v[109:110], v[95:96]
	v_mul_f64_e32 v[95:96], v[111:112], v[95:96]
	s_wait_dscnt 0x0
	v_mul_f64_e32 v[129:130], v[77:78], v[91:92]
	v_mul_f64_e32 v[91:92], v[79:80], v[91:92]
	v_add_f64_e32 v[2:3], v[2:3], v[135:136]
	v_add_f64_e32 v[10:11], v[10:11], v[133:134]
	v_fma_f64 v[111:112], v[111:112], v[93:94], v[131:132]
	v_fma_f64 v[109:110], v[109:110], v[93:94], -v[95:96]
	scratch_load_b128 v[93:96], off, off offset:448
	v_fma_f64 v[129:130], v[79:80], v[89:90], v[129:130]
	v_fma_f64 v[133:134], v[77:78], v[89:90], -v[91:92]
	ds_load_b128 v[77:80], v1 offset:800
	scratch_load_b128 v[89:92], off, off offset:432
	v_add_f64_e32 v[2:3], v[2:3], v[121:122]
	v_add_f64_e32 v[10:11], v[10:11], v[123:124]
	ds_load_b128 v[121:124], v1 offset:816
	s_wait_loadcnt_dscnt 0x901
	v_mul_f64_e32 v[135:136], v[77:78], v[99:100]
	v_mul_f64_e32 v[99:100], v[79:80], v[99:100]
	v_add_f64_e32 v[2:3], v[2:3], v[133:134]
	v_add_f64_e32 v[10:11], v[10:11], v[129:130]
	s_wait_loadcnt_dscnt 0x800
	v_mul_f64_e32 v[129:130], v[121:122], v[103:104]
	v_mul_f64_e32 v[103:104], v[123:124], v[103:104]
	v_fma_f64 v[131:132], v[79:80], v[97:98], v[135:136]
	v_fma_f64 v[133:134], v[77:78], v[97:98], -v[99:100]
	ds_load_b128 v[77:80], v1 offset:832
	scratch_load_b128 v[97:100], off, off offset:464
	v_add_f64_e32 v[2:3], v[2:3], v[109:110]
	v_add_f64_e32 v[10:11], v[10:11], v[111:112]
	ds_load_b128 v[109:112], v1 offset:848
	s_wait_loadcnt_dscnt 0x801
	v_mul_f64_e32 v[135:136], v[77:78], v[107:108]
	v_mul_f64_e32 v[107:108], v[79:80], v[107:108]
	v_fma_f64 v[123:124], v[123:124], v[101:102], v[129:130]
	v_fma_f64 v[121:122], v[121:122], v[101:102], -v[103:104]
	scratch_load_b128 v[101:104], off, off offset:480
	v_add_f64_e32 v[2:3], v[2:3], v[133:134]
	v_add_f64_e32 v[10:11], v[10:11], v[131:132]
	v_fma_f64 v[133:134], v[79:80], v[105:106], v[135:136]
	v_fma_f64 v[135:136], v[77:78], v[105:106], -v[107:108]
	scratch_load_b128 v[77:80], off, off offset:496
	ds_load_b128 v[105:108], v1 offset:880
	s_wait_loadcnt_dscnt 0x901
	v_mul_f64_e32 v[129:130], v[109:110], v[8:9]
	v_mul_f64_e32 v[131:132], v[111:112], v[8:9]
	v_add_f64_e32 v[2:3], v[2:3], v[121:122]
	v_add_f64_e32 v[121:122], v[10:11], v[123:124]
	ds_load_b128 v[8:11], v1 offset:864
	v_fma_f64 v[129:130], v[111:112], v[6:7], v[129:130]
	v_fma_f64 v[6:7], v[109:110], v[6:7], -v[131:132]
	scratch_load_b128 v[109:112], off, off offset:512
	s_wait_loadcnt_dscnt 0x900
	v_mul_f64_e32 v[123:124], v[8:9], v[115:116]
	v_mul_f64_e32 v[115:116], v[10:11], v[115:116]
	s_wait_loadcnt 0x8
	v_mul_f64_e32 v[131:132], v[105:106], v[127:128]
	v_mul_f64_e32 v[127:128], v[107:108], v[127:128]
	v_add_f64_e32 v[2:3], v[2:3], v[135:136]
	v_add_f64_e32 v[121:122], v[121:122], v[133:134]
	v_fma_f64 v[10:11], v[10:11], v[113:114], v[123:124]
	v_fma_f64 v[123:124], v[8:9], v[113:114], -v[115:116]
	v_fma_f64 v[107:108], v[107:108], v[125:126], v[131:132]
	v_fma_f64 v[105:106], v[105:106], v[125:126], -v[127:128]
	v_add_f64_e32 v[2:3], v[2:3], v[6:7]
	v_add_f64_e32 v[121:122], v[121:122], v[129:130]
	ds_load_b128 v[6:9], v1 offset:896
	ds_load_b128 v[113:116], v1 offset:912
	s_wait_loadcnt_dscnt 0x701
	v_mul_f64_e32 v[129:130], v[6:7], v[83:84]
	v_mul_f64_e32 v[83:84], v[8:9], v[83:84]
	v_add_f64_e32 v[2:3], v[2:3], v[123:124]
	v_add_f64_e32 v[10:11], v[121:122], v[10:11]
	s_wait_loadcnt_dscnt 0x600
	v_mul_f64_e32 v[121:122], v[113:114], v[87:88]
	v_mul_f64_e32 v[87:88], v[115:116], v[87:88]
	v_fma_f64 v[123:124], v[8:9], v[81:82], v[129:130]
	v_fma_f64 v[125:126], v[6:7], v[81:82], -v[83:84]
	ds_load_b128 v[6:9], v1 offset:928
	ds_load_b128 v[81:84], v1 offset:944
	v_add_f64_e32 v[2:3], v[2:3], v[105:106]
	v_add_f64_e32 v[10:11], v[10:11], v[107:108]
	v_fma_f64 v[107:108], v[115:116], v[85:86], v[121:122]
	v_fma_f64 v[85:86], v[113:114], v[85:86], -v[87:88]
	s_wait_loadcnt_dscnt 0x401
	v_mul_f64_e32 v[105:106], v[6:7], v[91:92]
	v_mul_f64_e32 v[91:92], v[8:9], v[91:92]
	s_wait_dscnt 0x0
	v_mul_f64_e32 v[113:114], v[81:82], v[95:96]
	v_mul_f64_e32 v[95:96], v[83:84], v[95:96]
	v_add_f64_e32 v[2:3], v[2:3], v[125:126]
	v_add_f64_e32 v[10:11], v[10:11], v[123:124]
	v_fma_f64 v[105:106], v[8:9], v[89:90], v[105:106]
	v_fma_f64 v[89:90], v[6:7], v[89:90], -v[91:92]
	v_fma_f64 v[83:84], v[83:84], v[93:94], v[113:114]
	v_fma_f64 v[81:82], v[81:82], v[93:94], -v[95:96]
	v_add_f64_e32 v[2:3], v[2:3], v[85:86]
	v_add_f64_e32 v[10:11], v[10:11], v[107:108]
	ds_load_b128 v[6:9], v1 offset:960
	ds_load_b128 v[85:88], v1 offset:976
	s_wait_loadcnt_dscnt 0x301
	v_mul_f64_e32 v[91:92], v[6:7], v[99:100]
	v_mul_f64_e32 v[99:100], v[8:9], v[99:100]
	s_wait_loadcnt_dscnt 0x200
	v_mul_f64_e32 v[93:94], v[87:88], v[103:104]
	v_add_f64_e32 v[2:3], v[2:3], v[89:90]
	v_add_f64_e32 v[10:11], v[10:11], v[105:106]
	v_mul_f64_e32 v[89:90], v[85:86], v[103:104]
	v_fma_f64 v[91:92], v[8:9], v[97:98], v[91:92]
	v_fma_f64 v[95:96], v[6:7], v[97:98], -v[99:100]
	v_fma_f64 v[85:86], v[85:86], v[101:102], -v[93:94]
	v_add_f64_e32 v[81:82], v[2:3], v[81:82]
	v_add_f64_e32 v[10:11], v[10:11], v[83:84]
	ds_load_b128 v[6:9], v1 offset:992
	ds_load_b128 v[1:4], v1 offset:1008
	v_fma_f64 v[87:88], v[87:88], v[101:102], v[89:90]
	s_wait_loadcnt_dscnt 0x101
	v_mul_f64_e32 v[83:84], v[6:7], v[79:80]
	v_mul_f64_e32 v[79:80], v[8:9], v[79:80]
	s_wait_loadcnt_dscnt 0x0
	v_mul_f64_e32 v[89:90], v[1:2], v[111:112]
	v_add_f64_e32 v[81:82], v[81:82], v[95:96]
	v_add_f64_e32 v[10:11], v[10:11], v[91:92]
	v_mul_f64_e32 v[91:92], v[3:4], v[111:112]
	v_fma_f64 v[8:9], v[8:9], v[77:78], v[83:84]
	v_fma_f64 v[6:7], v[6:7], v[77:78], -v[79:80]
	v_fma_f64 v[3:4], v[3:4], v[109:110], v[89:90]
	v_add_f64_e32 v[77:78], v[81:82], v[85:86]
	v_add_f64_e32 v[10:11], v[10:11], v[87:88]
	v_fma_f64 v[1:2], v[1:2], v[109:110], -v[91:92]
	s_delay_alu instid0(VALU_DEP_3) | instskip(NEXT) | instid1(VALU_DEP_3)
	v_add_f64_e32 v[6:7], v[77:78], v[6:7]
	v_add_f64_e32 v[8:9], v[10:11], v[8:9]
	s_delay_alu instid0(VALU_DEP_2) | instskip(NEXT) | instid1(VALU_DEP_2)
	v_add_f64_e32 v[1:2], v[6:7], v[1:2]
	v_add_f64_e32 v[3:4], v[8:9], v[3:4]
	s_delay_alu instid0(VALU_DEP_2) | instskip(NEXT) | instid1(VALU_DEP_2)
	v_add_f64_e64 v[1:2], v[117:118], -v[1:2]
	v_add_f64_e64 v[3:4], v[119:120], -v[3:4]
	scratch_store_b128 off, v[1:4], off offset:32
	v_cmpx_ne_u32_e32 0, v0
	s_cbranch_execz .LBB95_205
; %bb.204:
	scratch_load_b128 v[0:3], off, off offset:16
	v_mov_b32_e32 v6, 0
	s_delay_alu instid0(VALU_DEP_1)
	v_dual_mov_b32 v7, v6 :: v_dual_mov_b32 v8, v6
	v_mov_b32_e32 v9, v6
	scratch_store_b128 off, v[6:9], off offset:16
	s_wait_loadcnt 0x0
	ds_store_b128 v5, v[0:3]
.LBB95_205:
	s_wait_alu 0xfffe
	s_or_b32 exec_lo, exec_lo, s0
	s_wait_storecnt_dscnt 0x0
	s_barrier_signal -1
	s_barrier_wait -1
	global_inv scope:SCOPE_SE
	s_clause 0x7
	scratch_load_b128 v[1:4], off, off offset:32
	scratch_load_b128 v[5:8], off, off offset:48
	;; [unrolled: 1-line block ×8, first 2 shown]
	v_mov_b32_e32 v0, 0
	s_and_b32 vcc_lo, exec_lo, s12
	ds_load_b128 v[97:100], v0 offset:528
	s_clause 0x1
	scratch_load_b128 v[101:104], off, off offset:160
	scratch_load_b128 v[105:108], off, off offset:16
	ds_load_b128 v[109:112], v0 offset:544
	scratch_load_b128 v[113:116], off, off offset:176
	s_wait_loadcnt_dscnt 0xa01
	v_mul_f64_e32 v[117:118], v[99:100], v[3:4]
	v_mul_f64_e32 v[3:4], v[97:98], v[3:4]
	s_delay_alu instid0(VALU_DEP_2) | instskip(NEXT) | instid1(VALU_DEP_2)
	v_fma_f64 v[123:124], v[97:98], v[1:2], -v[117:118]
	v_fma_f64 v[125:126], v[99:100], v[1:2], v[3:4]
	ds_load_b128 v[1:4], v0 offset:560
	s_wait_loadcnt_dscnt 0x901
	v_mul_f64_e32 v[121:122], v[109:110], v[7:8]
	v_mul_f64_e32 v[7:8], v[111:112], v[7:8]
	scratch_load_b128 v[97:100], off, off offset:192
	ds_load_b128 v[117:120], v0 offset:576
	s_wait_loadcnt_dscnt 0x901
	v_mul_f64_e32 v[127:128], v[1:2], v[11:12]
	v_mul_f64_e32 v[11:12], v[3:4], v[11:12]
	v_fma_f64 v[111:112], v[111:112], v[5:6], v[121:122]
	v_fma_f64 v[109:110], v[109:110], v[5:6], -v[7:8]
	v_add_f64_e32 v[121:122], 0, v[123:124]
	v_add_f64_e32 v[123:124], 0, v[125:126]
	scratch_load_b128 v[5:8], off, off offset:208
	v_fma_f64 v[127:128], v[3:4], v[9:10], v[127:128]
	v_fma_f64 v[129:130], v[1:2], v[9:10], -v[11:12]
	ds_load_b128 v[1:4], v0 offset:592
	s_wait_loadcnt_dscnt 0x901
	v_mul_f64_e32 v[125:126], v[117:118], v[79:80]
	v_mul_f64_e32 v[79:80], v[119:120], v[79:80]
	scratch_load_b128 v[9:12], off, off offset:224
	v_add_f64_e32 v[121:122], v[121:122], v[109:110]
	v_add_f64_e32 v[123:124], v[123:124], v[111:112]
	s_wait_loadcnt_dscnt 0x900
	v_mul_f64_e32 v[131:132], v[1:2], v[83:84]
	v_mul_f64_e32 v[83:84], v[3:4], v[83:84]
	ds_load_b128 v[109:112], v0 offset:608
	v_fma_f64 v[119:120], v[119:120], v[77:78], v[125:126]
	v_fma_f64 v[117:118], v[117:118], v[77:78], -v[79:80]
	scratch_load_b128 v[77:80], off, off offset:240
	v_add_f64_e32 v[121:122], v[121:122], v[129:130]
	v_add_f64_e32 v[123:124], v[123:124], v[127:128]
	v_fma_f64 v[127:128], v[3:4], v[81:82], v[131:132]
	v_fma_f64 v[129:130], v[1:2], v[81:82], -v[83:84]
	ds_load_b128 v[1:4], v0 offset:624
	s_wait_loadcnt_dscnt 0x901
	v_mul_f64_e32 v[125:126], v[109:110], v[87:88]
	v_mul_f64_e32 v[87:88], v[111:112], v[87:88]
	scratch_load_b128 v[81:84], off, off offset:256
	s_wait_loadcnt_dscnt 0x900
	v_mul_f64_e32 v[131:132], v[1:2], v[91:92]
	v_mul_f64_e32 v[91:92], v[3:4], v[91:92]
	v_add_f64_e32 v[121:122], v[121:122], v[117:118]
	v_add_f64_e32 v[123:124], v[123:124], v[119:120]
	ds_load_b128 v[117:120], v0 offset:640
	v_fma_f64 v[111:112], v[111:112], v[85:86], v[125:126]
	v_fma_f64 v[109:110], v[109:110], v[85:86], -v[87:88]
	scratch_load_b128 v[85:88], off, off offset:272
	v_add_f64_e32 v[121:122], v[121:122], v[129:130]
	v_add_f64_e32 v[123:124], v[123:124], v[127:128]
	v_fma_f64 v[127:128], v[3:4], v[89:90], v[131:132]
	v_fma_f64 v[129:130], v[1:2], v[89:90], -v[91:92]
	ds_load_b128 v[1:4], v0 offset:656
	s_wait_loadcnt_dscnt 0x901
	v_mul_f64_e32 v[125:126], v[117:118], v[95:96]
	v_mul_f64_e32 v[95:96], v[119:120], v[95:96]
	scratch_load_b128 v[89:92], off, off offset:288
	s_wait_loadcnt_dscnt 0x900
	v_mul_f64_e32 v[131:132], v[1:2], v[103:104]
	v_mul_f64_e32 v[103:104], v[3:4], v[103:104]
	v_add_f64_e32 v[121:122], v[121:122], v[109:110]
	v_add_f64_e32 v[123:124], v[123:124], v[111:112]
	ds_load_b128 v[109:112], v0 offset:672
	v_fma_f64 v[119:120], v[119:120], v[93:94], v[125:126]
	v_fma_f64 v[117:118], v[117:118], v[93:94], -v[95:96]
	scratch_load_b128 v[93:96], off, off offset:304
	v_add_f64_e32 v[121:122], v[121:122], v[129:130]
	v_add_f64_e32 v[123:124], v[123:124], v[127:128]
	v_fma_f64 v[129:130], v[3:4], v[101:102], v[131:132]
	v_fma_f64 v[131:132], v[1:2], v[101:102], -v[103:104]
	ds_load_b128 v[1:4], v0 offset:688
	s_wait_loadcnt_dscnt 0x801
	v_mul_f64_e32 v[125:126], v[109:110], v[115:116]
	v_mul_f64_e32 v[127:128], v[111:112], v[115:116]
	scratch_load_b128 v[101:104], off, off offset:320
	v_add_f64_e32 v[121:122], v[121:122], v[117:118]
	v_add_f64_e32 v[119:120], v[123:124], v[119:120]
	ds_load_b128 v[115:118], v0 offset:704
	v_fma_f64 v[125:126], v[111:112], v[113:114], v[125:126]
	v_fma_f64 v[113:114], v[109:110], v[113:114], -v[127:128]
	scratch_load_b128 v[109:112], off, off offset:336
	s_wait_loadcnt_dscnt 0x901
	v_mul_f64_e32 v[123:124], v[1:2], v[99:100]
	v_mul_f64_e32 v[99:100], v[3:4], v[99:100]
	v_add_f64_e32 v[121:122], v[121:122], v[131:132]
	v_add_f64_e32 v[119:120], v[119:120], v[129:130]
	s_delay_alu instid0(VALU_DEP_4) | instskip(NEXT) | instid1(VALU_DEP_4)
	v_fma_f64 v[123:124], v[3:4], v[97:98], v[123:124]
	v_fma_f64 v[129:130], v[1:2], v[97:98], -v[99:100]
	ds_load_b128 v[1:4], v0 offset:720
	s_wait_loadcnt_dscnt 0x801
	v_mul_f64_e32 v[127:128], v[115:116], v[7:8]
	v_mul_f64_e32 v[7:8], v[117:118], v[7:8]
	scratch_load_b128 v[97:100], off, off offset:352
	s_wait_loadcnt_dscnt 0x800
	v_mul_f64_e32 v[131:132], v[1:2], v[11:12]
	v_add_f64_e32 v[113:114], v[121:122], v[113:114]
	v_add_f64_e32 v[125:126], v[119:120], v[125:126]
	v_mul_f64_e32 v[11:12], v[3:4], v[11:12]
	ds_load_b128 v[119:122], v0 offset:736
	v_fma_f64 v[117:118], v[117:118], v[5:6], v[127:128]
	v_fma_f64 v[115:116], v[115:116], v[5:6], -v[7:8]
	scratch_load_b128 v[5:8], off, off offset:368
	v_fma_f64 v[127:128], v[3:4], v[9:10], v[131:132]
	v_add_f64_e32 v[113:114], v[113:114], v[129:130]
	v_add_f64_e32 v[123:124], v[125:126], v[123:124]
	v_fma_f64 v[129:130], v[1:2], v[9:10], -v[11:12]
	ds_load_b128 v[1:4], v0 offset:752
	s_wait_loadcnt_dscnt 0x801
	v_mul_f64_e32 v[125:126], v[119:120], v[79:80]
	v_mul_f64_e32 v[79:80], v[121:122], v[79:80]
	scratch_load_b128 v[9:12], off, off offset:384
	v_add_f64_e32 v[131:132], v[113:114], v[115:116]
	v_add_f64_e32 v[117:118], v[123:124], v[117:118]
	s_wait_loadcnt_dscnt 0x800
	v_mul_f64_e32 v[123:124], v[1:2], v[83:84]
	v_mul_f64_e32 v[83:84], v[3:4], v[83:84]
	v_fma_f64 v[121:122], v[121:122], v[77:78], v[125:126]
	v_fma_f64 v[119:120], v[119:120], v[77:78], -v[79:80]
	ds_load_b128 v[113:116], v0 offset:768
	scratch_load_b128 v[77:80], off, off offset:400
	v_add_f64_e32 v[125:126], v[131:132], v[129:130]
	v_add_f64_e32 v[117:118], v[117:118], v[127:128]
	v_fma_f64 v[123:124], v[3:4], v[81:82], v[123:124]
	v_fma_f64 v[129:130], v[1:2], v[81:82], -v[83:84]
	ds_load_b128 v[1:4], v0 offset:784
	s_wait_loadcnt_dscnt 0x801
	v_mul_f64_e32 v[127:128], v[113:114], v[87:88]
	v_mul_f64_e32 v[87:88], v[115:116], v[87:88]
	scratch_load_b128 v[81:84], off, off offset:416
	s_wait_loadcnt_dscnt 0x800
	v_mul_f64_e32 v[131:132], v[1:2], v[91:92]
	v_mul_f64_e32 v[91:92], v[3:4], v[91:92]
	v_add_f64_e32 v[125:126], v[125:126], v[119:120]
	v_add_f64_e32 v[121:122], v[117:118], v[121:122]
	ds_load_b128 v[117:120], v0 offset:800
	v_fma_f64 v[115:116], v[115:116], v[85:86], v[127:128]
	v_fma_f64 v[113:114], v[113:114], v[85:86], -v[87:88]
	scratch_load_b128 v[85:88], off, off offset:432
	v_fma_f64 v[127:128], v[3:4], v[89:90], v[131:132]
	v_add_f64_e32 v[125:126], v[125:126], v[129:130]
	v_add_f64_e32 v[121:122], v[121:122], v[123:124]
	v_fma_f64 v[129:130], v[1:2], v[89:90], -v[91:92]
	ds_load_b128 v[1:4], v0 offset:816
	s_wait_loadcnt_dscnt 0x801
	v_mul_f64_e32 v[123:124], v[117:118], v[95:96]
	v_mul_f64_e32 v[95:96], v[119:120], v[95:96]
	scratch_load_b128 v[89:92], off, off offset:448
	s_wait_loadcnt_dscnt 0x800
	v_mul_f64_e32 v[131:132], v[1:2], v[103:104]
	v_mul_f64_e32 v[103:104], v[3:4], v[103:104]
	v_add_f64_e32 v[125:126], v[125:126], v[113:114]
	v_add_f64_e32 v[121:122], v[121:122], v[115:116]
	ds_load_b128 v[113:116], v0 offset:832
	v_fma_f64 v[119:120], v[119:120], v[93:94], v[123:124]
	v_fma_f64 v[117:118], v[117:118], v[93:94], -v[95:96]
	scratch_load_b128 v[93:96], off, off offset:464
	v_add_f64_e32 v[123:124], v[125:126], v[129:130]
	v_add_f64_e32 v[121:122], v[121:122], v[127:128]
	v_fma_f64 v[127:128], v[3:4], v[101:102], v[131:132]
	v_fma_f64 v[129:130], v[1:2], v[101:102], -v[103:104]
	ds_load_b128 v[1:4], v0 offset:848
	s_wait_loadcnt_dscnt 0x801
	v_mul_f64_e32 v[125:126], v[113:114], v[111:112]
	v_mul_f64_e32 v[111:112], v[115:116], v[111:112]
	scratch_load_b128 v[101:104], off, off offset:480
	s_wait_loadcnt_dscnt 0x800
	v_mul_f64_e32 v[131:132], v[1:2], v[99:100]
	v_mul_f64_e32 v[99:100], v[3:4], v[99:100]
	v_add_f64_e32 v[123:124], v[123:124], v[117:118]
	v_add_f64_e32 v[121:122], v[121:122], v[119:120]
	ds_load_b128 v[117:120], v0 offset:864
	v_fma_f64 v[115:116], v[115:116], v[109:110], v[125:126]
	v_fma_f64 v[113:114], v[113:114], v[109:110], -v[111:112]
	scratch_load_b128 v[109:112], off, off offset:496
	v_add_f64_e32 v[123:124], v[123:124], v[129:130]
	v_add_f64_e32 v[121:122], v[121:122], v[127:128]
	v_fma_f64 v[127:128], v[3:4], v[97:98], v[131:132]
	v_fma_f64 v[129:130], v[1:2], v[97:98], -v[99:100]
	ds_load_b128 v[1:4], v0 offset:880
	s_wait_loadcnt_dscnt 0x801
	v_mul_f64_e32 v[125:126], v[117:118], v[7:8]
	v_mul_f64_e32 v[7:8], v[119:120], v[7:8]
	scratch_load_b128 v[97:100], off, off offset:512
	s_wait_loadcnt_dscnt 0x800
	v_mul_f64_e32 v[131:132], v[1:2], v[11:12]
	v_mul_f64_e32 v[11:12], v[3:4], v[11:12]
	v_add_f64_e32 v[123:124], v[123:124], v[113:114]
	v_add_f64_e32 v[121:122], v[121:122], v[115:116]
	ds_load_b128 v[113:116], v0 offset:896
	v_fma_f64 v[119:120], v[119:120], v[5:6], v[125:126]
	v_fma_f64 v[5:6], v[117:118], v[5:6], -v[7:8]
	v_add_f64_e32 v[7:8], v[123:124], v[129:130]
	v_add_f64_e32 v[117:118], v[121:122], v[127:128]
	s_wait_loadcnt_dscnt 0x700
	v_mul_f64_e32 v[121:122], v[113:114], v[79:80]
	v_mul_f64_e32 v[79:80], v[115:116], v[79:80]
	v_fma_f64 v[123:124], v[3:4], v[9:10], v[131:132]
	v_fma_f64 v[9:10], v[1:2], v[9:10], -v[11:12]
	v_add_f64_e32 v[11:12], v[7:8], v[5:6]
	v_add_f64_e32 v[117:118], v[117:118], v[119:120]
	ds_load_b128 v[1:4], v0 offset:912
	ds_load_b128 v[5:8], v0 offset:928
	v_fma_f64 v[115:116], v[115:116], v[77:78], v[121:122]
	v_fma_f64 v[77:78], v[113:114], v[77:78], -v[79:80]
	s_wait_loadcnt_dscnt 0x601
	v_mul_f64_e32 v[119:120], v[1:2], v[83:84]
	v_mul_f64_e32 v[83:84], v[3:4], v[83:84]
	s_wait_loadcnt_dscnt 0x500
	v_mul_f64_e32 v[79:80], v[5:6], v[87:88]
	v_mul_f64_e32 v[87:88], v[7:8], v[87:88]
	v_add_f64_e32 v[9:10], v[11:12], v[9:10]
	v_add_f64_e32 v[11:12], v[117:118], v[123:124]
	v_fma_f64 v[113:114], v[3:4], v[81:82], v[119:120]
	v_fma_f64 v[81:82], v[1:2], v[81:82], -v[83:84]
	v_fma_f64 v[7:8], v[7:8], v[85:86], v[79:80]
	v_fma_f64 v[5:6], v[5:6], v[85:86], -v[87:88]
	v_add_f64_e32 v[77:78], v[9:10], v[77:78]
	v_add_f64_e32 v[83:84], v[11:12], v[115:116]
	ds_load_b128 v[1:4], v0 offset:944
	ds_load_b128 v[9:12], v0 offset:960
	s_wait_loadcnt_dscnt 0x401
	v_mul_f64_e32 v[115:116], v[1:2], v[91:92]
	v_mul_f64_e32 v[91:92], v[3:4], v[91:92]
	v_add_f64_e32 v[77:78], v[77:78], v[81:82]
	v_add_f64_e32 v[79:80], v[83:84], v[113:114]
	s_wait_loadcnt_dscnt 0x300
	v_mul_f64_e32 v[81:82], v[9:10], v[95:96]
	v_mul_f64_e32 v[83:84], v[11:12], v[95:96]
	v_fma_f64 v[85:86], v[3:4], v[89:90], v[115:116]
	v_fma_f64 v[87:88], v[1:2], v[89:90], -v[91:92]
	v_add_f64_e32 v[77:78], v[77:78], v[5:6]
	v_add_f64_e32 v[79:80], v[79:80], v[7:8]
	ds_load_b128 v[1:4], v0 offset:976
	ds_load_b128 v[5:8], v0 offset:992
	v_fma_f64 v[11:12], v[11:12], v[93:94], v[81:82]
	v_fma_f64 v[9:10], v[9:10], v[93:94], -v[83:84]
	s_wait_loadcnt_dscnt 0x201
	v_mul_f64_e32 v[89:90], v[1:2], v[103:104]
	v_mul_f64_e32 v[91:92], v[3:4], v[103:104]
	s_wait_loadcnt_dscnt 0x100
	v_mul_f64_e32 v[81:82], v[5:6], v[111:112]
	v_mul_f64_e32 v[83:84], v[7:8], v[111:112]
	v_add_f64_e32 v[77:78], v[77:78], v[87:88]
	v_add_f64_e32 v[79:80], v[79:80], v[85:86]
	v_fma_f64 v[85:86], v[3:4], v[101:102], v[89:90]
	v_fma_f64 v[87:88], v[1:2], v[101:102], -v[91:92]
	ds_load_b128 v[1:4], v0 offset:1008
	v_fma_f64 v[7:8], v[7:8], v[109:110], v[81:82]
	v_fma_f64 v[5:6], v[5:6], v[109:110], -v[83:84]
	v_add_f64_e32 v[9:10], v[77:78], v[9:10]
	v_add_f64_e32 v[11:12], v[79:80], v[11:12]
	s_wait_loadcnt_dscnt 0x0
	v_mul_f64_e32 v[77:78], v[1:2], v[99:100]
	v_mul_f64_e32 v[79:80], v[3:4], v[99:100]
	s_delay_alu instid0(VALU_DEP_4) | instskip(NEXT) | instid1(VALU_DEP_4)
	v_add_f64_e32 v[9:10], v[9:10], v[87:88]
	v_add_f64_e32 v[11:12], v[11:12], v[85:86]
	s_delay_alu instid0(VALU_DEP_4) | instskip(NEXT) | instid1(VALU_DEP_4)
	v_fma_f64 v[3:4], v[3:4], v[97:98], v[77:78]
	v_fma_f64 v[1:2], v[1:2], v[97:98], -v[79:80]
	s_delay_alu instid0(VALU_DEP_4) | instskip(NEXT) | instid1(VALU_DEP_4)
	v_add_f64_e32 v[5:6], v[9:10], v[5:6]
	v_add_f64_e32 v[7:8], v[11:12], v[7:8]
	s_delay_alu instid0(VALU_DEP_2) | instskip(NEXT) | instid1(VALU_DEP_2)
	v_add_f64_e32 v[1:2], v[5:6], v[1:2]
	v_add_f64_e32 v[3:4], v[7:8], v[3:4]
	s_delay_alu instid0(VALU_DEP_2) | instskip(NEXT) | instid1(VALU_DEP_2)
	v_add_f64_e64 v[1:2], v[105:106], -v[1:2]
	v_add_f64_e64 v[3:4], v[107:108], -v[3:4]
	scratch_store_b128 off, v[1:4], off offset:16
	s_wait_alu 0xfffe
	s_cbranch_vccz .LBB95_268
; %bb.206:
	global_load_b32 v0, v0, s[2:3] offset:120
	s_wait_loadcnt 0x0
	v_cmp_ne_u32_e32 vcc_lo, 31, v0
	s_cbranch_vccz .LBB95_208
; %bb.207:
	v_lshlrev_b32_e32 v0, 4, v0
	s_delay_alu instid0(VALU_DEP_1)
	v_add_nc_u32_e32 v8, 16, v0
	s_clause 0x1
	scratch_load_b128 v[0:3], v8, off offset:-16
	scratch_load_b128 v[4:7], off, s38
	s_wait_loadcnt 0x1
	scratch_store_b128 off, v[0:3], s38
	s_wait_loadcnt 0x0
	scratch_store_b128 v8, v[4:7], off offset:-16
.LBB95_208:
	v_mov_b32_e32 v0, 0
	global_load_b32 v1, v0, s[2:3] offset:116
	s_wait_loadcnt 0x0
	v_cmp_eq_u32_e32 vcc_lo, 30, v1
	s_cbranch_vccnz .LBB95_210
; %bb.209:
	v_lshlrev_b32_e32 v1, 4, v1
	s_delay_alu instid0(VALU_DEP_1)
	v_add_nc_u32_e32 v9, 16, v1
	s_clause 0x1
	scratch_load_b128 v[1:4], v9, off offset:-16
	scratch_load_b128 v[5:8], off, s21
	s_wait_loadcnt 0x1
	scratch_store_b128 off, v[1:4], s21
	s_wait_loadcnt 0x0
	scratch_store_b128 v9, v[5:8], off offset:-16
.LBB95_210:
	global_load_b32 v0, v0, s[2:3] offset:112
	s_wait_loadcnt 0x0
	v_cmp_eq_u32_e32 vcc_lo, 29, v0
	s_cbranch_vccnz .LBB95_212
; %bb.211:
	v_lshlrev_b32_e32 v0, 4, v0
	s_delay_alu instid0(VALU_DEP_1)
	v_add_nc_u32_e32 v8, 16, v0
	s_clause 0x1
	scratch_load_b128 v[0:3], v8, off offset:-16
	scratch_load_b128 v[4:7], off, s37
	s_wait_loadcnt 0x1
	scratch_store_b128 off, v[0:3], s37
	s_wait_loadcnt 0x0
	scratch_store_b128 v8, v[4:7], off offset:-16
.LBB95_212:
	v_mov_b32_e32 v0, 0
	global_load_b32 v1, v0, s[2:3] offset:108
	s_wait_loadcnt 0x0
	v_cmp_eq_u32_e32 vcc_lo, 28, v1
	s_cbranch_vccnz .LBB95_214
; %bb.213:
	v_lshlrev_b32_e32 v1, 4, v1
	s_delay_alu instid0(VALU_DEP_1)
	v_add_nc_u32_e32 v9, 16, v1
	s_clause 0x1
	scratch_load_b128 v[1:4], v9, off offset:-16
	scratch_load_b128 v[5:8], off, s20
	s_wait_loadcnt 0x1
	scratch_store_b128 off, v[1:4], s20
	s_wait_loadcnt 0x0
	scratch_store_b128 v9, v[5:8], off offset:-16
.LBB95_214:
	global_load_b32 v0, v0, s[2:3] offset:104
	s_wait_loadcnt 0x0
	v_cmp_eq_u32_e32 vcc_lo, 27, v0
	s_cbranch_vccnz .LBB95_216
; %bb.215:
	v_lshlrev_b32_e32 v0, 4, v0
	s_delay_alu instid0(VALU_DEP_1)
	v_add_nc_u32_e32 v8, 16, v0
	s_clause 0x1
	scratch_load_b128 v[0:3], v8, off offset:-16
	scratch_load_b128 v[4:7], off, s36
	s_wait_loadcnt 0x1
	scratch_store_b128 off, v[0:3], s36
	s_wait_loadcnt 0x0
	scratch_store_b128 v8, v[4:7], off offset:-16
.LBB95_216:
	;; [unrolled: 33-line block ×14, first 2 shown]
	v_mov_b32_e32 v0, 0
	global_load_b32 v1, v0, s[2:3] offset:4
	s_wait_loadcnt 0x0
	v_cmp_eq_u32_e32 vcc_lo, 2, v1
	s_cbranch_vccnz .LBB95_266
; %bb.265:
	v_lshlrev_b32_e32 v1, 4, v1
	s_delay_alu instid0(VALU_DEP_1)
	v_add_nc_u32_e32 v9, 16, v1
	s_clause 0x1
	scratch_load_b128 v[1:4], v9, off offset:-16
	scratch_load_b128 v[5:8], off, s40
	s_wait_loadcnt 0x1
	scratch_store_b128 off, v[1:4], s40
	s_wait_loadcnt 0x0
	scratch_store_b128 v9, v[5:8], off offset:-16
.LBB95_266:
	global_load_b32 v0, v0, s[2:3]
	s_wait_loadcnt 0x0
	v_cmp_eq_u32_e32 vcc_lo, 1, v0
	s_cbranch_vccnz .LBB95_268
; %bb.267:
	v_lshlrev_b32_e32 v0, 4, v0
	s_delay_alu instid0(VALU_DEP_1)
	v_add_nc_u32_e32 v8, 16, v0
	scratch_load_b128 v[0:3], v8, off offset:-16
	scratch_load_b128 v[4:7], off, off offset:16
	s_wait_loadcnt 0x1
	scratch_store_b128 off, v[0:3], off offset:16
	s_wait_loadcnt 0x0
	scratch_store_b128 v8, v[4:7], off offset:-16
.LBB95_268:
	scratch_load_b128 v[0:3], off, off offset:16
	s_wait_loadcnt 0x0
	flat_store_b128 v[13:14], v[0:3]
	scratch_load_b128 v[0:3], off, s40
	s_wait_loadcnt 0x0
	flat_store_b128 v[15:16], v[0:3]
	scratch_load_b128 v[0:3], off, s39
	;; [unrolled: 3-line block ×31, first 2 shown]
	s_wait_loadcnt 0x0
	flat_store_b128 v[75:76], v[0:3]
	s_nop 0
	s_sendmsg sendmsg(MSG_DEALLOC_VGPRS)
	s_endpgm
	.section	.rodata,"a",@progbits
	.p2align	6, 0x0
	.amdhsa_kernel _ZN9rocsolver6v33100L18getri_kernel_smallILi32E19rocblas_complex_numIdEPKPS3_EEvT1_iilPiilS8_bb
		.amdhsa_group_segment_fixed_size 1032
		.amdhsa_private_segment_fixed_size 544
		.amdhsa_kernarg_size 60
		.amdhsa_user_sgpr_count 2
		.amdhsa_user_sgpr_dispatch_ptr 0
		.amdhsa_user_sgpr_queue_ptr 0
		.amdhsa_user_sgpr_kernarg_segment_ptr 1
		.amdhsa_user_sgpr_dispatch_id 0
		.amdhsa_user_sgpr_private_segment_size 0
		.amdhsa_wavefront_size32 1
		.amdhsa_uses_dynamic_stack 0
		.amdhsa_enable_private_segment 1
		.amdhsa_system_sgpr_workgroup_id_x 1
		.amdhsa_system_sgpr_workgroup_id_y 0
		.amdhsa_system_sgpr_workgroup_id_z 0
		.amdhsa_system_sgpr_workgroup_info 0
		.amdhsa_system_vgpr_workitem_id 0
		.amdhsa_next_free_vgpr 137
		.amdhsa_next_free_sgpr 44
		.amdhsa_reserve_vcc 1
		.amdhsa_float_round_mode_32 0
		.amdhsa_float_round_mode_16_64 0
		.amdhsa_float_denorm_mode_32 3
		.amdhsa_float_denorm_mode_16_64 3
		.amdhsa_fp16_overflow 0
		.amdhsa_workgroup_processor_mode 1
		.amdhsa_memory_ordered 1
		.amdhsa_forward_progress 1
		.amdhsa_inst_pref_size 255
		.amdhsa_round_robin_scheduling 0
		.amdhsa_exception_fp_ieee_invalid_op 0
		.amdhsa_exception_fp_denorm_src 0
		.amdhsa_exception_fp_ieee_div_zero 0
		.amdhsa_exception_fp_ieee_overflow 0
		.amdhsa_exception_fp_ieee_underflow 0
		.amdhsa_exception_fp_ieee_inexact 0
		.amdhsa_exception_int_div_zero 0
	.end_amdhsa_kernel
	.section	.text._ZN9rocsolver6v33100L18getri_kernel_smallILi32E19rocblas_complex_numIdEPKPS3_EEvT1_iilPiilS8_bb,"axG",@progbits,_ZN9rocsolver6v33100L18getri_kernel_smallILi32E19rocblas_complex_numIdEPKPS3_EEvT1_iilPiilS8_bb,comdat
.Lfunc_end95:
	.size	_ZN9rocsolver6v33100L18getri_kernel_smallILi32E19rocblas_complex_numIdEPKPS3_EEvT1_iilPiilS8_bb, .Lfunc_end95-_ZN9rocsolver6v33100L18getri_kernel_smallILi32E19rocblas_complex_numIdEPKPS3_EEvT1_iilPiilS8_bb
                                        ; -- End function
	.set _ZN9rocsolver6v33100L18getri_kernel_smallILi32E19rocblas_complex_numIdEPKPS3_EEvT1_iilPiilS8_bb.num_vgpr, 137
	.set _ZN9rocsolver6v33100L18getri_kernel_smallILi32E19rocblas_complex_numIdEPKPS3_EEvT1_iilPiilS8_bb.num_agpr, 0
	.set _ZN9rocsolver6v33100L18getri_kernel_smallILi32E19rocblas_complex_numIdEPKPS3_EEvT1_iilPiilS8_bb.numbered_sgpr, 44
	.set _ZN9rocsolver6v33100L18getri_kernel_smallILi32E19rocblas_complex_numIdEPKPS3_EEvT1_iilPiilS8_bb.num_named_barrier, 0
	.set _ZN9rocsolver6v33100L18getri_kernel_smallILi32E19rocblas_complex_numIdEPKPS3_EEvT1_iilPiilS8_bb.private_seg_size, 544
	.set _ZN9rocsolver6v33100L18getri_kernel_smallILi32E19rocblas_complex_numIdEPKPS3_EEvT1_iilPiilS8_bb.uses_vcc, 1
	.set _ZN9rocsolver6v33100L18getri_kernel_smallILi32E19rocblas_complex_numIdEPKPS3_EEvT1_iilPiilS8_bb.uses_flat_scratch, 1
	.set _ZN9rocsolver6v33100L18getri_kernel_smallILi32E19rocblas_complex_numIdEPKPS3_EEvT1_iilPiilS8_bb.has_dyn_sized_stack, 0
	.set _ZN9rocsolver6v33100L18getri_kernel_smallILi32E19rocblas_complex_numIdEPKPS3_EEvT1_iilPiilS8_bb.has_recursion, 0
	.set _ZN9rocsolver6v33100L18getri_kernel_smallILi32E19rocblas_complex_numIdEPKPS3_EEvT1_iilPiilS8_bb.has_indirect_call, 0
	.section	.AMDGPU.csdata,"",@progbits
; Kernel info:
; codeLenInByte = 49508
; TotalNumSgprs: 46
; NumVgprs: 137
; ScratchSize: 544
; MemoryBound: 0
; FloatMode: 240
; IeeeMode: 1
; LDSByteSize: 1032 bytes/workgroup (compile time only)
; SGPRBlocks: 0
; VGPRBlocks: 17
; NumSGPRsForWavesPerEU: 46
; NumVGPRsForWavesPerEU: 137
; Occupancy: 10
; WaveLimiterHint : 1
; COMPUTE_PGM_RSRC2:SCRATCH_EN: 1
; COMPUTE_PGM_RSRC2:USER_SGPR: 2
; COMPUTE_PGM_RSRC2:TRAP_HANDLER: 0
; COMPUTE_PGM_RSRC2:TGID_X_EN: 1
; COMPUTE_PGM_RSRC2:TGID_Y_EN: 0
; COMPUTE_PGM_RSRC2:TGID_Z_EN: 0
; COMPUTE_PGM_RSRC2:TIDIG_COMP_CNT: 0
	.section	.text._ZN9rocsolver6v33100L18getri_kernel_smallILi33E19rocblas_complex_numIdEPKPS3_EEvT1_iilPiilS8_bb,"axG",@progbits,_ZN9rocsolver6v33100L18getri_kernel_smallILi33E19rocblas_complex_numIdEPKPS3_EEvT1_iilPiilS8_bb,comdat
	.globl	_ZN9rocsolver6v33100L18getri_kernel_smallILi33E19rocblas_complex_numIdEPKPS3_EEvT1_iilPiilS8_bb ; -- Begin function _ZN9rocsolver6v33100L18getri_kernel_smallILi33E19rocblas_complex_numIdEPKPS3_EEvT1_iilPiilS8_bb
	.p2align	8
	.type	_ZN9rocsolver6v33100L18getri_kernel_smallILi33E19rocblas_complex_numIdEPKPS3_EEvT1_iilPiilS8_bb,@function
_ZN9rocsolver6v33100L18getri_kernel_smallILi33E19rocblas_complex_numIdEPKPS3_EEvT1_iilPiilS8_bb: ; @_ZN9rocsolver6v33100L18getri_kernel_smallILi33E19rocblas_complex_numIdEPKPS3_EEvT1_iilPiilS8_bb
; %bb.0:
	s_mov_b32 s2, exec_lo
	v_cmpx_gt_u32_e32 33, v0
	s_cbranch_execz .LBB96_146
; %bb.1:
	s_clause 0x1
	s_load_b32 s13, s[0:1], 0x38
	s_load_b64 s[2:3], s[0:1], 0x0
	s_mov_b32 s8, ttmp9
	s_load_b128 s[4:7], s[0:1], 0x28
	s_wait_kmcnt 0x0
	s_bitcmp1_b32 s13, 8
	s_cselect_b32 s12, -1, 0
	s_ashr_i32 s9, ttmp9, 31
	s_delay_alu instid0(SALU_CYCLE_1) | instskip(NEXT) | instid1(SALU_CYCLE_1)
	s_lshl_b64 s[10:11], s[8:9], 3
	s_add_nc_u64 s[2:3], s[2:3], s[10:11]
	s_load_b64 s[10:11], s[2:3], 0x0
	s_bfe_u32 s2, s13, 0x10008
	s_delay_alu instid0(SALU_CYCLE_1)
	s_cmp_eq_u32 s2, 0
                                        ; implicit-def: $sgpr2_sgpr3
	s_cbranch_scc1 .LBB96_3
; %bb.2:
	s_load_b96 s[16:18], s[0:1], 0x18
	s_mul_u64 s[2:3], s[4:5], s[8:9]
	s_delay_alu instid0(SALU_CYCLE_1)
	s_lshl_b64 s[2:3], s[2:3], 2
	s_wait_kmcnt 0x0
	s_ashr_i32 s5, s18, 31
	s_mov_b32 s4, s18
	s_add_nc_u64 s[2:3], s[16:17], s[2:3]
	s_lshl_b64 s[4:5], s[4:5], 2
	s_delay_alu instid0(SALU_CYCLE_1)
	s_add_nc_u64 s[2:3], s[2:3], s[4:5]
.LBB96_3:
	s_clause 0x1
	s_load_b64 s[4:5], s[0:1], 0x8
	s_load_b32 s42, s[0:1], 0x38
	v_lshlrev_b32_e32 v79, 4, v0
	s_mov_b32 s41, 32
	s_mov_b32 s40, 48
	;; [unrolled: 1-line block ×3, first 2 shown]
	s_wait_kmcnt 0x0
	s_ashr_i32 s1, s4, 31
	s_mov_b32 s0, s4
	v_add3_u32 v5, s5, s5, v0
	s_lshl_b64 s[0:1], s[0:1], 4
	s_delay_alu instid0(SALU_CYCLE_1)
	s_add_nc_u64 s[0:1], s[10:11], s[0:1]
	s_ashr_i32 s11, s5, 31
	v_add_co_u32 v13, s4, s0, v79
	s_wait_alu 0xf1ff
	v_add_co_ci_u32_e64 v14, null, s1, 0, s4
	s_mov_b32 s10, s5
	v_ashrrev_i32_e32 v6, 31, v5
	s_lshl_b64 s[10:11], s[10:11], 4
	flat_load_b128 v[1:4], v[13:14]
	v_add_co_u32 v15, vcc_lo, v13, s10
	s_delay_alu instid0(VALU_DEP_1) | instskip(SKIP_3) | instid1(VALU_DEP_2)
	v_add_co_ci_u32_e64 v16, null, s11, v14, vcc_lo
	v_lshlrev_b64_e32 v[6:7], 4, v[5:6]
	v_add_nc_u32_e32 v5, s5, v5
	s_movk_i32 s4, 0x50
	v_add_co_u32 v17, vcc_lo, s0, v6
	s_wait_alu 0xfffd
	s_delay_alu instid0(VALU_DEP_3) | instskip(SKIP_1) | instid1(VALU_DEP_1)
	v_add_co_ci_u32_e64 v18, null, s1, v7, vcc_lo
	v_ashrrev_i32_e32 v6, 31, v5
	v_lshlrev_b64_e32 v[6:7], 4, v[5:6]
	v_add_nc_u32_e32 v5, s5, v5
	s_delay_alu instid0(VALU_DEP_2) | instskip(SKIP_1) | instid1(VALU_DEP_3)
	v_add_co_u32 v19, vcc_lo, s0, v6
	s_wait_alu 0xfffd
	v_add_co_ci_u32_e64 v20, null, s1, v7, vcc_lo
	s_delay_alu instid0(VALU_DEP_3) | instskip(NEXT) | instid1(VALU_DEP_1)
	v_ashrrev_i32_e32 v6, 31, v5
	v_lshlrev_b64_e32 v[6:7], 4, v[5:6]
	v_add_nc_u32_e32 v5, s5, v5
	s_delay_alu instid0(VALU_DEP_2) | instskip(SKIP_1) | instid1(VALU_DEP_3)
	v_add_co_u32 v21, vcc_lo, s0, v6
	s_wait_alu 0xfffd
	v_add_co_ci_u32_e64 v22, null, s1, v7, vcc_lo
	s_delay_alu instid0(VALU_DEP_3) | instskip(NEXT) | instid1(VALU_DEP_1)
	v_ashrrev_i32_e32 v6, 31, v5
	v_lshlrev_b64_e32 v[6:7], 4, v[5:6]
	v_add_nc_u32_e32 v5, s5, v5
	s_delay_alu instid0(VALU_DEP_2) | instskip(SKIP_1) | instid1(VALU_DEP_3)
	v_add_co_u32 v23, vcc_lo, s0, v6
	s_wait_alu 0xfffd
	v_add_co_ci_u32_e64 v24, null, s1, v7, vcc_lo
	s_delay_alu instid0(VALU_DEP_3) | instskip(NEXT) | instid1(VALU_DEP_1)
	v_ashrrev_i32_e32 v6, 31, v5
	v_lshlrev_b64_e32 v[6:7], 4, v[5:6]
	v_add_nc_u32_e32 v5, s5, v5
	s_delay_alu instid0(VALU_DEP_2) | instskip(SKIP_1) | instid1(VALU_DEP_3)
	v_add_co_u32 v25, vcc_lo, s0, v6
	s_wait_alu 0xfffd
	v_add_co_ci_u32_e64 v26, null, s1, v7, vcc_lo
	s_delay_alu instid0(VALU_DEP_3) | instskip(NEXT) | instid1(VALU_DEP_1)
	v_ashrrev_i32_e32 v6, 31, v5
	v_lshlrev_b64_e32 v[6:7], 4, v[5:6]
	v_add_nc_u32_e32 v5, s5, v5
	s_delay_alu instid0(VALU_DEP_2) | instskip(SKIP_1) | instid1(VALU_DEP_3)
	v_add_co_u32 v27, vcc_lo, s0, v6
	s_wait_alu 0xfffd
	v_add_co_ci_u32_e64 v28, null, s1, v7, vcc_lo
	s_delay_alu instid0(VALU_DEP_3) | instskip(NEXT) | instid1(VALU_DEP_1)
	v_ashrrev_i32_e32 v6, 31, v5
	v_lshlrev_b64_e32 v[6:7], 4, v[5:6]
	v_add_nc_u32_e32 v5, s5, v5
	s_delay_alu instid0(VALU_DEP_2) | instskip(SKIP_1) | instid1(VALU_DEP_3)
	v_add_co_u32 v29, vcc_lo, s0, v6
	s_wait_alu 0xfffd
	v_add_co_ci_u32_e64 v30, null, s1, v7, vcc_lo
	s_delay_alu instid0(VALU_DEP_3) | instskip(NEXT) | instid1(VALU_DEP_1)
	v_ashrrev_i32_e32 v6, 31, v5
	v_lshlrev_b64_e32 v[6:7], 4, v[5:6]
	v_add_nc_u32_e32 v5, s5, v5
	s_delay_alu instid0(VALU_DEP_2) | instskip(SKIP_1) | instid1(VALU_DEP_3)
	v_add_co_u32 v31, vcc_lo, s0, v6
	s_wait_alu 0xfffd
	v_add_co_ci_u32_e64 v32, null, s1, v7, vcc_lo
	s_delay_alu instid0(VALU_DEP_3) | instskip(NEXT) | instid1(VALU_DEP_1)
	v_ashrrev_i32_e32 v6, 31, v5
	v_lshlrev_b64_e32 v[6:7], 4, v[5:6]
	v_add_nc_u32_e32 v5, s5, v5
	s_delay_alu instid0(VALU_DEP_2) | instskip(SKIP_1) | instid1(VALU_DEP_3)
	v_add_co_u32 v33, vcc_lo, s0, v6
	s_wait_alu 0xfffd
	v_add_co_ci_u32_e64 v34, null, s1, v7, vcc_lo
	s_delay_alu instid0(VALU_DEP_3) | instskip(NEXT) | instid1(VALU_DEP_1)
	v_ashrrev_i32_e32 v6, 31, v5
	v_lshlrev_b64_e32 v[6:7], 4, v[5:6]
	v_add_nc_u32_e32 v5, s5, v5
	s_delay_alu instid0(VALU_DEP_2) | instskip(SKIP_1) | instid1(VALU_DEP_3)
	v_add_co_u32 v35, vcc_lo, s0, v6
	s_wait_alu 0xfffd
	v_add_co_ci_u32_e64 v36, null, s1, v7, vcc_lo
	s_delay_alu instid0(VALU_DEP_3) | instskip(NEXT) | instid1(VALU_DEP_1)
	v_ashrrev_i32_e32 v6, 31, v5
	v_lshlrev_b64_e32 v[6:7], 4, v[5:6]
	v_add_nc_u32_e32 v5, s5, v5
	s_delay_alu instid0(VALU_DEP_2) | instskip(SKIP_1) | instid1(VALU_DEP_3)
	v_add_co_u32 v37, vcc_lo, s0, v6
	s_wait_alu 0xfffd
	v_add_co_ci_u32_e64 v38, null, s1, v7, vcc_lo
	s_delay_alu instid0(VALU_DEP_3) | instskip(NEXT) | instid1(VALU_DEP_1)
	v_ashrrev_i32_e32 v6, 31, v5
	v_lshlrev_b64_e32 v[6:7], 4, v[5:6]
	v_add_nc_u32_e32 v5, s5, v5
	s_delay_alu instid0(VALU_DEP_2) | instskip(SKIP_1) | instid1(VALU_DEP_3)
	v_add_co_u32 v39, vcc_lo, s0, v6
	s_wait_alu 0xfffd
	v_add_co_ci_u32_e64 v40, null, s1, v7, vcc_lo
	s_delay_alu instid0(VALU_DEP_3) | instskip(NEXT) | instid1(VALU_DEP_1)
	v_ashrrev_i32_e32 v6, 31, v5
	v_lshlrev_b64_e32 v[6:7], 4, v[5:6]
	v_add_nc_u32_e32 v5, s5, v5
	s_delay_alu instid0(VALU_DEP_2) | instskip(SKIP_1) | instid1(VALU_DEP_3)
	v_add_co_u32 v41, vcc_lo, s0, v6
	s_wait_alu 0xfffd
	v_add_co_ci_u32_e64 v42, null, s1, v7, vcc_lo
	s_delay_alu instid0(VALU_DEP_3) | instskip(NEXT) | instid1(VALU_DEP_1)
	v_ashrrev_i32_e32 v6, 31, v5
	v_lshlrev_b64_e32 v[6:7], 4, v[5:6]
	v_add_nc_u32_e32 v5, s5, v5
	s_delay_alu instid0(VALU_DEP_2) | instskip(SKIP_1) | instid1(VALU_DEP_3)
	v_add_co_u32 v43, vcc_lo, s0, v6
	s_wait_alu 0xfffd
	v_add_co_ci_u32_e64 v44, null, s1, v7, vcc_lo
	s_delay_alu instid0(VALU_DEP_3) | instskip(NEXT) | instid1(VALU_DEP_1)
	v_ashrrev_i32_e32 v6, 31, v5
	v_lshlrev_b64_e32 v[6:7], 4, v[5:6]
	v_add_nc_u32_e32 v5, s5, v5
	s_delay_alu instid0(VALU_DEP_2) | instskip(SKIP_1) | instid1(VALU_DEP_3)
	v_add_co_u32 v45, vcc_lo, s0, v6
	s_wait_alu 0xfffd
	v_add_co_ci_u32_e64 v46, null, s1, v7, vcc_lo
	s_delay_alu instid0(VALU_DEP_3) | instskip(NEXT) | instid1(VALU_DEP_1)
	v_ashrrev_i32_e32 v6, 31, v5
	v_lshlrev_b64_e32 v[6:7], 4, v[5:6]
	v_add_nc_u32_e32 v5, s5, v5
	s_delay_alu instid0(VALU_DEP_2) | instskip(SKIP_1) | instid1(VALU_DEP_3)
	v_add_co_u32 v47, vcc_lo, s0, v6
	s_wait_alu 0xfffd
	v_add_co_ci_u32_e64 v48, null, s1, v7, vcc_lo
	s_delay_alu instid0(VALU_DEP_3) | instskip(NEXT) | instid1(VALU_DEP_1)
	v_ashrrev_i32_e32 v6, 31, v5
	v_lshlrev_b64_e32 v[6:7], 4, v[5:6]
	v_add_nc_u32_e32 v5, s5, v5
	s_delay_alu instid0(VALU_DEP_2) | instskip(SKIP_1) | instid1(VALU_DEP_3)
	v_add_co_u32 v49, vcc_lo, s0, v6
	s_wait_alu 0xfffd
	v_add_co_ci_u32_e64 v50, null, s1, v7, vcc_lo
	s_delay_alu instid0(VALU_DEP_3) | instskip(NEXT) | instid1(VALU_DEP_1)
	v_ashrrev_i32_e32 v6, 31, v5
	v_lshlrev_b64_e32 v[6:7], 4, v[5:6]
	v_add_nc_u32_e32 v5, s5, v5
	s_delay_alu instid0(VALU_DEP_2) | instskip(SKIP_1) | instid1(VALU_DEP_3)
	v_add_co_u32 v51, vcc_lo, s0, v6
	s_wait_alu 0xfffd
	v_add_co_ci_u32_e64 v52, null, s1, v7, vcc_lo
	s_delay_alu instid0(VALU_DEP_3) | instskip(NEXT) | instid1(VALU_DEP_1)
	v_ashrrev_i32_e32 v6, 31, v5
	v_lshlrev_b64_e32 v[6:7], 4, v[5:6]
	v_add_nc_u32_e32 v5, s5, v5
	s_delay_alu instid0(VALU_DEP_2) | instskip(SKIP_1) | instid1(VALU_DEP_3)
	v_add_co_u32 v53, vcc_lo, s0, v6
	s_wait_alu 0xfffd
	v_add_co_ci_u32_e64 v54, null, s1, v7, vcc_lo
	s_delay_alu instid0(VALU_DEP_3) | instskip(NEXT) | instid1(VALU_DEP_1)
	v_ashrrev_i32_e32 v6, 31, v5
	v_lshlrev_b64_e32 v[6:7], 4, v[5:6]
	v_add_nc_u32_e32 v5, s5, v5
	s_delay_alu instid0(VALU_DEP_2) | instskip(SKIP_1) | instid1(VALU_DEP_3)
	v_add_co_u32 v55, vcc_lo, s0, v6
	s_wait_alu 0xfffd
	v_add_co_ci_u32_e64 v56, null, s1, v7, vcc_lo
	s_delay_alu instid0(VALU_DEP_3) | instskip(NEXT) | instid1(VALU_DEP_1)
	v_ashrrev_i32_e32 v6, 31, v5
	v_lshlrev_b64_e32 v[6:7], 4, v[5:6]
	v_add_nc_u32_e32 v5, s5, v5
	s_delay_alu instid0(VALU_DEP_2) | instskip(SKIP_1) | instid1(VALU_DEP_3)
	v_add_co_u32 v57, vcc_lo, s0, v6
	s_wait_alu 0xfffd
	v_add_co_ci_u32_e64 v58, null, s1, v7, vcc_lo
	s_delay_alu instid0(VALU_DEP_3) | instskip(NEXT) | instid1(VALU_DEP_1)
	v_ashrrev_i32_e32 v6, 31, v5
	v_lshlrev_b64_e32 v[6:7], 4, v[5:6]
	s_wait_loadcnt_dscnt 0x0
	scratch_store_b128 off, v[1:4], off offset:16
	flat_load_b128 v[1:4], v[15:16]
	v_add_nc_u32_e32 v5, s5, v5
	v_add_co_u32 v59, vcc_lo, s0, v6
	s_wait_alu 0xfffd
	v_add_co_ci_u32_e64 v60, null, s1, v7, vcc_lo
	s_delay_alu instid0(VALU_DEP_3) | instskip(NEXT) | instid1(VALU_DEP_1)
	v_ashrrev_i32_e32 v6, 31, v5
	v_lshlrev_b64_e32 v[6:7], 4, v[5:6]
	v_add_nc_u32_e32 v5, s5, v5
	s_delay_alu instid0(VALU_DEP_2) | instskip(SKIP_1) | instid1(VALU_DEP_3)
	v_add_co_u32 v61, vcc_lo, s0, v6
	s_wait_alu 0xfffd
	v_add_co_ci_u32_e64 v62, null, s1, v7, vcc_lo
	s_delay_alu instid0(VALU_DEP_3) | instskip(NEXT) | instid1(VALU_DEP_1)
	v_ashrrev_i32_e32 v6, 31, v5
	v_lshlrev_b64_e32 v[6:7], 4, v[5:6]
	v_add_nc_u32_e32 v5, s5, v5
	s_delay_alu instid0(VALU_DEP_2) | instskip(SKIP_1) | instid1(VALU_DEP_3)
	;; [unrolled: 8-line block ×8, first 2 shown]
	v_add_co_u32 v75, vcc_lo, s0, v6
	s_wait_alu 0xfffd
	v_add_co_ci_u32_e64 v76, null, s1, v7, vcc_lo
	s_delay_alu instid0(VALU_DEP_3) | instskip(NEXT) | instid1(VALU_DEP_1)
	v_ashrrev_i32_e32 v6, 31, v5
	v_lshlrev_b64_e32 v[5:6], 4, v[5:6]
	s_delay_alu instid0(VALU_DEP_1) | instskip(SKIP_1) | instid1(VALU_DEP_2)
	v_add_co_u32 v77, vcc_lo, s0, v5
	s_wait_alu 0xfffd
	v_add_co_ci_u32_e64 v78, null, s1, v6, vcc_lo
	s_movk_i32 s0, 0x50
	s_movk_i32 s1, 0x60
	s_wait_alu 0xfffe
	s_add_co_i32 s25, s0, 16
	s_add_co_i32 s5, s1, 16
	s_movk_i32 s0, 0x70
	s_movk_i32 s1, 0x80
	s_wait_alu 0xfffe
	s_add_co_i32 s26, s0, 16
	s_add_co_i32 s10, s1, 16
	;; [unrolled: 5-line block ×14, first 2 shown]
	s_bitcmp0_b32 s42, 0
	s_mov_b32 s1, -1
	s_wait_loadcnt_dscnt 0x0
	scratch_store_b128 off, v[1:4], off offset:32
	flat_load_b128 v[1:4], v[17:18]
	s_wait_loadcnt_dscnt 0x0
	scratch_store_b128 off, v[1:4], off offset:48
	flat_load_b128 v[1:4], v[19:20]
	;; [unrolled: 3-line block ×31, first 2 shown]
	s_wait_loadcnt_dscnt 0x0
	scratch_store_b128 off, v[1:4], off offset:528
	s_cbranch_scc1 .LBB96_144
; %bb.4:
	v_cmp_eq_u32_e64 s0, 0, v0
	s_and_saveexec_b32 s1, s0
; %bb.5:
	v_mov_b32_e32 v1, 0
	ds_store_b32 v1, v1 offset:1056
; %bb.6:
	s_wait_alu 0xfffe
	s_or_b32 exec_lo, exec_lo, s1
	s_wait_storecnt_dscnt 0x0
	s_barrier_signal -1
	s_barrier_wait -1
	global_inv scope:SCOPE_SE
	scratch_load_b128 v[1:4], v79, off offset:16
	s_wait_loadcnt 0x0
	v_cmp_eq_f64_e32 vcc_lo, 0, v[1:2]
	v_cmp_eq_f64_e64 s1, 0, v[3:4]
	s_and_b32 s1, vcc_lo, s1
	s_wait_alu 0xfffe
	s_and_saveexec_b32 s42, s1
	s_cbranch_execz .LBB96_10
; %bb.7:
	v_mov_b32_e32 v1, 0
	s_mov_b32 s43, 0
	ds_load_b32 v2, v1 offset:1056
	s_wait_dscnt 0x0
	v_readfirstlane_b32 s1, v2
	v_add_nc_u32_e32 v2, 1, v0
	s_cmp_eq_u32 s1, 0
	s_delay_alu instid0(VALU_DEP_1) | instskip(SKIP_1) | instid1(SALU_CYCLE_1)
	v_cmp_gt_i32_e32 vcc_lo, s1, v2
	s_cselect_b32 s44, -1, 0
	s_or_b32 s44, s44, vcc_lo
	s_delay_alu instid0(SALU_CYCLE_1)
	s_and_b32 exec_lo, exec_lo, s44
	s_cbranch_execz .LBB96_10
; %bb.8:
	v_mov_b32_e32 v3, s1
.LBB96_9:                               ; =>This Inner Loop Header: Depth=1
	ds_cmpstore_rtn_b32 v3, v1, v2, v3 offset:1056
	s_wait_dscnt 0x0
	v_cmp_ne_u32_e32 vcc_lo, 0, v3
	v_cmp_le_i32_e64 s1, v3, v2
	s_and_b32 s1, vcc_lo, s1
	s_wait_alu 0xfffe
	s_and_b32 s1, exec_lo, s1
	s_wait_alu 0xfffe
	s_or_b32 s43, s1, s43
	s_delay_alu instid0(SALU_CYCLE_1)
	s_and_not1_b32 exec_lo, exec_lo, s43
	s_cbranch_execnz .LBB96_9
.LBB96_10:
	s_or_b32 exec_lo, exec_lo, s42
	v_mov_b32_e32 v1, 0
	s_barrier_signal -1
	s_barrier_wait -1
	global_inv scope:SCOPE_SE
	ds_load_b32 v2, v1 offset:1056
	s_and_saveexec_b32 s1, s0
	s_cbranch_execz .LBB96_12
; %bb.11:
	s_lshl_b64 s[42:43], s[8:9], 2
	s_delay_alu instid0(SALU_CYCLE_1)
	s_add_nc_u64 s[42:43], s[6:7], s[42:43]
	s_wait_dscnt 0x0
	global_store_b32 v1, v2, s[42:43]
.LBB96_12:
	s_wait_alu 0xfffe
	s_or_b32 exec_lo, exec_lo, s1
	s_wait_dscnt 0x0
	v_cmp_ne_u32_e32 vcc_lo, 0, v2
	s_mov_b32 s1, 0
	s_cbranch_vccnz .LBB96_144
; %bb.13:
	v_add_nc_u32_e32 v80, 16, v79
                                        ; implicit-def: $vgpr1_vgpr2
                                        ; implicit-def: $vgpr9_vgpr10
	scratch_load_b128 v[5:8], v80, off
	s_wait_loadcnt 0x0
	v_cmp_ngt_f64_e64 s1, |v[5:6]|, |v[7:8]|
	s_wait_alu 0xfffe
	s_and_saveexec_b32 s42, s1
	s_delay_alu instid0(SALU_CYCLE_1)
	s_xor_b32 s1, exec_lo, s42
	s_cbranch_execz .LBB96_15
; %bb.14:
	v_div_scale_f64 v[1:2], null, v[7:8], v[7:8], v[5:6]
	v_div_scale_f64 v[11:12], vcc_lo, v[5:6], v[7:8], v[5:6]
	s_delay_alu instid0(VALU_DEP_2) | instskip(NEXT) | instid1(TRANS32_DEP_1)
	v_rcp_f64_e32 v[3:4], v[1:2]
	v_fma_f64 v[9:10], -v[1:2], v[3:4], 1.0
	s_delay_alu instid0(VALU_DEP_1) | instskip(NEXT) | instid1(VALU_DEP_1)
	v_fma_f64 v[3:4], v[3:4], v[9:10], v[3:4]
	v_fma_f64 v[9:10], -v[1:2], v[3:4], 1.0
	s_delay_alu instid0(VALU_DEP_1) | instskip(NEXT) | instid1(VALU_DEP_1)
	v_fma_f64 v[3:4], v[3:4], v[9:10], v[3:4]
	v_mul_f64_e32 v[9:10], v[11:12], v[3:4]
	s_delay_alu instid0(VALU_DEP_1) | instskip(SKIP_1) | instid1(VALU_DEP_1)
	v_fma_f64 v[1:2], -v[1:2], v[9:10], v[11:12]
	s_wait_alu 0xfffd
	v_div_fmas_f64 v[1:2], v[1:2], v[3:4], v[9:10]
	s_delay_alu instid0(VALU_DEP_1) | instskip(NEXT) | instid1(VALU_DEP_1)
	v_div_fixup_f64 v[1:2], v[1:2], v[7:8], v[5:6]
	v_fma_f64 v[3:4], v[5:6], v[1:2], v[7:8]
	s_delay_alu instid0(VALU_DEP_1) | instskip(SKIP_1) | instid1(VALU_DEP_2)
	v_div_scale_f64 v[5:6], null, v[3:4], v[3:4], 1.0
	v_div_scale_f64 v[11:12], vcc_lo, 1.0, v[3:4], 1.0
	v_rcp_f64_e32 v[7:8], v[5:6]
	s_delay_alu instid0(TRANS32_DEP_1) | instskip(NEXT) | instid1(VALU_DEP_1)
	v_fma_f64 v[9:10], -v[5:6], v[7:8], 1.0
	v_fma_f64 v[7:8], v[7:8], v[9:10], v[7:8]
	s_delay_alu instid0(VALU_DEP_1) | instskip(NEXT) | instid1(VALU_DEP_1)
	v_fma_f64 v[9:10], -v[5:6], v[7:8], 1.0
	v_fma_f64 v[7:8], v[7:8], v[9:10], v[7:8]
	s_delay_alu instid0(VALU_DEP_1) | instskip(NEXT) | instid1(VALU_DEP_1)
	v_mul_f64_e32 v[9:10], v[11:12], v[7:8]
	v_fma_f64 v[5:6], -v[5:6], v[9:10], v[11:12]
	s_wait_alu 0xfffd
	s_delay_alu instid0(VALU_DEP_1) | instskip(NEXT) | instid1(VALU_DEP_1)
	v_div_fmas_f64 v[5:6], v[5:6], v[7:8], v[9:10]
	v_div_fixup_f64 v[3:4], v[5:6], v[3:4], 1.0
                                        ; implicit-def: $vgpr5_vgpr6
	s_delay_alu instid0(VALU_DEP_1) | instskip(SKIP_1) | instid1(VALU_DEP_2)
	v_mul_f64_e32 v[1:2], v[1:2], v[3:4]
	v_xor_b32_e32 v4, 0x80000000, v4
	v_xor_b32_e32 v10, 0x80000000, v2
	s_delay_alu instid0(VALU_DEP_3)
	v_mov_b32_e32 v9, v1
.LBB96_15:
	s_wait_alu 0xfffe
	s_and_not1_saveexec_b32 s1, s1
	s_cbranch_execz .LBB96_17
; %bb.16:
	v_div_scale_f64 v[1:2], null, v[5:6], v[5:6], v[7:8]
	v_div_scale_f64 v[11:12], vcc_lo, v[7:8], v[5:6], v[7:8]
	s_delay_alu instid0(VALU_DEP_2) | instskip(NEXT) | instid1(TRANS32_DEP_1)
	v_rcp_f64_e32 v[3:4], v[1:2]
	v_fma_f64 v[9:10], -v[1:2], v[3:4], 1.0
	s_delay_alu instid0(VALU_DEP_1) | instskip(NEXT) | instid1(VALU_DEP_1)
	v_fma_f64 v[3:4], v[3:4], v[9:10], v[3:4]
	v_fma_f64 v[9:10], -v[1:2], v[3:4], 1.0
	s_delay_alu instid0(VALU_DEP_1) | instskip(NEXT) | instid1(VALU_DEP_1)
	v_fma_f64 v[3:4], v[3:4], v[9:10], v[3:4]
	v_mul_f64_e32 v[9:10], v[11:12], v[3:4]
	s_delay_alu instid0(VALU_DEP_1) | instskip(SKIP_1) | instid1(VALU_DEP_1)
	v_fma_f64 v[1:2], -v[1:2], v[9:10], v[11:12]
	s_wait_alu 0xfffd
	v_div_fmas_f64 v[1:2], v[1:2], v[3:4], v[9:10]
	s_delay_alu instid0(VALU_DEP_1) | instskip(NEXT) | instid1(VALU_DEP_1)
	v_div_fixup_f64 v[3:4], v[1:2], v[5:6], v[7:8]
	v_fma_f64 v[1:2], v[7:8], v[3:4], v[5:6]
	s_delay_alu instid0(VALU_DEP_1) | instskip(NEXT) | instid1(VALU_DEP_1)
	v_div_scale_f64 v[5:6], null, v[1:2], v[1:2], 1.0
	v_rcp_f64_e32 v[7:8], v[5:6]
	s_delay_alu instid0(TRANS32_DEP_1) | instskip(NEXT) | instid1(VALU_DEP_1)
	v_fma_f64 v[9:10], -v[5:6], v[7:8], 1.0
	v_fma_f64 v[7:8], v[7:8], v[9:10], v[7:8]
	s_delay_alu instid0(VALU_DEP_1) | instskip(NEXT) | instid1(VALU_DEP_1)
	v_fma_f64 v[9:10], -v[5:6], v[7:8], 1.0
	v_fma_f64 v[7:8], v[7:8], v[9:10], v[7:8]
	v_div_scale_f64 v[9:10], vcc_lo, 1.0, v[1:2], 1.0
	s_delay_alu instid0(VALU_DEP_1) | instskip(NEXT) | instid1(VALU_DEP_1)
	v_mul_f64_e32 v[11:12], v[9:10], v[7:8]
	v_fma_f64 v[5:6], -v[5:6], v[11:12], v[9:10]
	s_wait_alu 0xfffd
	s_delay_alu instid0(VALU_DEP_1) | instskip(NEXT) | instid1(VALU_DEP_1)
	v_div_fmas_f64 v[5:6], v[5:6], v[7:8], v[11:12]
	v_div_fixup_f64 v[1:2], v[5:6], v[1:2], 1.0
	s_delay_alu instid0(VALU_DEP_1)
	v_mul_f64_e64 v[3:4], v[3:4], -v[1:2]
	v_xor_b32_e32 v10, 0x80000000, v2
	v_mov_b32_e32 v9, v1
.LBB96_17:
	s_wait_alu 0xfffe
	s_or_b32 exec_lo, exec_lo, s1
	scratch_store_b128 v80, v[1:4], off
	scratch_load_b128 v[81:84], off, s41
	v_xor_b32_e32 v12, 0x80000000, v4
	v_mov_b32_e32 v11, v3
	v_add_nc_u32_e32 v5, 0x210, v79
	ds_store_b128 v79, v[9:12]
	s_wait_loadcnt 0x0
	ds_store_b128 v79, v[81:84] offset:528
	s_wait_storecnt_dscnt 0x0
	s_barrier_signal -1
	s_barrier_wait -1
	global_inv scope:SCOPE_SE
	s_and_saveexec_b32 s1, s0
	s_cbranch_execz .LBB96_19
; %bb.18:
	scratch_load_b128 v[1:4], v80, off
	ds_load_b128 v[6:9], v5
	v_mov_b32_e32 v10, 0
	ds_load_b128 v[81:84], v10 offset:16
	s_wait_loadcnt_dscnt 0x1
	v_mul_f64_e32 v[10:11], v[6:7], v[3:4]
	v_mul_f64_e32 v[3:4], v[8:9], v[3:4]
	s_delay_alu instid0(VALU_DEP_2) | instskip(NEXT) | instid1(VALU_DEP_2)
	v_fma_f64 v[8:9], v[8:9], v[1:2], v[10:11]
	v_fma_f64 v[1:2], v[6:7], v[1:2], -v[3:4]
	s_delay_alu instid0(VALU_DEP_2) | instskip(NEXT) | instid1(VALU_DEP_2)
	v_add_f64_e32 v[3:4], 0, v[8:9]
	v_add_f64_e32 v[1:2], 0, v[1:2]
	s_wait_dscnt 0x0
	s_delay_alu instid0(VALU_DEP_2) | instskip(NEXT) | instid1(VALU_DEP_2)
	v_mul_f64_e32 v[6:7], v[3:4], v[83:84]
	v_mul_f64_e32 v[8:9], v[1:2], v[83:84]
	s_delay_alu instid0(VALU_DEP_2) | instskip(NEXT) | instid1(VALU_DEP_2)
	v_fma_f64 v[1:2], v[1:2], v[81:82], -v[6:7]
	v_fma_f64 v[3:4], v[3:4], v[81:82], v[8:9]
	scratch_store_b128 off, v[1:4], off offset:32
.LBB96_19:
	s_wait_alu 0xfffe
	s_or_b32 exec_lo, exec_lo, s1
	s_wait_loadcnt 0x0
	s_wait_storecnt 0x0
	s_barrier_signal -1
	s_barrier_wait -1
	global_inv scope:SCOPE_SE
	scratch_load_b128 v[1:4], off, s40
	s_mov_b32 s1, exec_lo
	s_wait_loadcnt 0x0
	ds_store_b128 v5, v[1:4]
	s_wait_dscnt 0x0
	s_barrier_signal -1
	s_barrier_wait -1
	global_inv scope:SCOPE_SE
	v_cmpx_gt_u32_e32 2, v0
	s_cbranch_execz .LBB96_23
; %bb.20:
	scratch_load_b128 v[1:4], v80, off
	ds_load_b128 v[6:9], v5
	s_wait_loadcnt_dscnt 0x0
	v_mul_f64_e32 v[10:11], v[8:9], v[3:4]
	v_mul_f64_e32 v[3:4], v[6:7], v[3:4]
	s_delay_alu instid0(VALU_DEP_2) | instskip(NEXT) | instid1(VALU_DEP_2)
	v_fma_f64 v[6:7], v[6:7], v[1:2], -v[10:11]
	v_fma_f64 v[3:4], v[8:9], v[1:2], v[3:4]
	s_delay_alu instid0(VALU_DEP_2) | instskip(NEXT) | instid1(VALU_DEP_2)
	v_add_f64_e32 v[1:2], 0, v[6:7]
	v_add_f64_e32 v[3:4], 0, v[3:4]
	s_and_saveexec_b32 s42, s0
	s_cbranch_execz .LBB96_22
; %bb.21:
	scratch_load_b128 v[6:9], off, off offset:32
	v_mov_b32_e32 v10, 0
	ds_load_b128 v[81:84], v10 offset:544
	s_wait_loadcnt_dscnt 0x0
	v_mul_f64_e32 v[10:11], v[81:82], v[8:9]
	v_mul_f64_e32 v[8:9], v[83:84], v[8:9]
	s_delay_alu instid0(VALU_DEP_2) | instskip(NEXT) | instid1(VALU_DEP_2)
	v_fma_f64 v[10:11], v[83:84], v[6:7], v[10:11]
	v_fma_f64 v[6:7], v[81:82], v[6:7], -v[8:9]
	s_delay_alu instid0(VALU_DEP_2) | instskip(NEXT) | instid1(VALU_DEP_2)
	v_add_f64_e32 v[3:4], v[3:4], v[10:11]
	v_add_f64_e32 v[1:2], v[1:2], v[6:7]
.LBB96_22:
	s_or_b32 exec_lo, exec_lo, s42
	v_mov_b32_e32 v6, 0
	ds_load_b128 v[6:9], v6 offset:32
	s_wait_dscnt 0x0
	v_mul_f64_e32 v[10:11], v[3:4], v[8:9]
	v_mul_f64_e32 v[8:9], v[1:2], v[8:9]
	s_delay_alu instid0(VALU_DEP_2) | instskip(NEXT) | instid1(VALU_DEP_2)
	v_fma_f64 v[1:2], v[1:2], v[6:7], -v[10:11]
	v_fma_f64 v[3:4], v[3:4], v[6:7], v[8:9]
	scratch_store_b128 off, v[1:4], off offset:48
.LBB96_23:
	s_wait_alu 0xfffe
	s_or_b32 exec_lo, exec_lo, s1
	s_wait_loadcnt 0x0
	s_wait_storecnt 0x0
	s_barrier_signal -1
	s_barrier_wait -1
	global_inv scope:SCOPE_SE
	scratch_load_b128 v[1:4], off, s24
	v_add_nc_u32_e32 v6, -1, v0
	s_mov_b32 s0, exec_lo
	s_wait_loadcnt 0x0
	ds_store_b128 v5, v[1:4]
	s_wait_dscnt 0x0
	s_barrier_signal -1
	s_barrier_wait -1
	global_inv scope:SCOPE_SE
	v_cmpx_gt_u32_e32 3, v0
	s_cbranch_execz .LBB96_27
; %bb.24:
	v_dual_mov_b32 v1, 0 :: v_dual_add_nc_u32 v8, 0x210, v79
	v_mov_b32_e32 v3, 0
	v_dual_mov_b32 v2, 0 :: v_dual_add_nc_u32 v7, -1, v0
	v_mov_b32_e32 v4, 0
	v_or_b32_e32 v9, 8, v80
	s_mov_b32 s1, 0
.LBB96_25:                              ; =>This Inner Loop Header: Depth=1
	scratch_load_b128 v[81:84], v9, off offset:-8
	ds_load_b128 v[85:88], v8
	v_add_nc_u32_e32 v7, 1, v7
	v_add_nc_u32_e32 v8, 16, v8
	v_add_nc_u32_e32 v9, 16, v9
	s_delay_alu instid0(VALU_DEP_3)
	v_cmp_lt_u32_e32 vcc_lo, 1, v7
	s_wait_alu 0xfffe
	s_or_b32 s1, vcc_lo, s1
	s_wait_loadcnt_dscnt 0x0
	v_mul_f64_e32 v[10:11], v[87:88], v[83:84]
	v_mul_f64_e32 v[83:84], v[85:86], v[83:84]
	s_delay_alu instid0(VALU_DEP_2) | instskip(NEXT) | instid1(VALU_DEP_2)
	v_fma_f64 v[10:11], v[85:86], v[81:82], -v[10:11]
	v_fma_f64 v[81:82], v[87:88], v[81:82], v[83:84]
	s_delay_alu instid0(VALU_DEP_2) | instskip(NEXT) | instid1(VALU_DEP_2)
	v_add_f64_e32 v[3:4], v[3:4], v[10:11]
	v_add_f64_e32 v[1:2], v[1:2], v[81:82]
	s_wait_alu 0xfffe
	s_and_not1_b32 exec_lo, exec_lo, s1
	s_cbranch_execnz .LBB96_25
; %bb.26:
	s_or_b32 exec_lo, exec_lo, s1
	v_mov_b32_e32 v7, 0
	ds_load_b128 v[7:10], v7 offset:48
	s_wait_dscnt 0x0
	v_mul_f64_e32 v[11:12], v[1:2], v[9:10]
	v_mul_f64_e32 v[81:82], v[3:4], v[9:10]
	s_delay_alu instid0(VALU_DEP_2) | instskip(NEXT) | instid1(VALU_DEP_2)
	v_fma_f64 v[9:10], v[3:4], v[7:8], -v[11:12]
	v_fma_f64 v[11:12], v[1:2], v[7:8], v[81:82]
	scratch_store_b128 off, v[9:12], off offset:64
.LBB96_27:
	s_wait_alu 0xfffe
	s_or_b32 exec_lo, exec_lo, s0
	s_wait_loadcnt 0x0
	s_wait_storecnt 0x0
	s_barrier_signal -1
	s_barrier_wait -1
	global_inv scope:SCOPE_SE
	scratch_load_b128 v[1:4], off, s4
	s_mov_b32 s0, exec_lo
	s_wait_loadcnt 0x0
	ds_store_b128 v5, v[1:4]
	s_wait_dscnt 0x0
	s_barrier_signal -1
	s_barrier_wait -1
	global_inv scope:SCOPE_SE
	v_cmpx_gt_u32_e32 4, v0
	s_cbranch_execz .LBB96_31
; %bb.28:
	v_dual_mov_b32 v1, 0 :: v_dual_add_nc_u32 v8, 0x210, v79
	v_mov_b32_e32 v3, 0
	v_dual_mov_b32 v2, 0 :: v_dual_add_nc_u32 v7, -1, v0
	v_mov_b32_e32 v4, 0
	v_or_b32_e32 v9, 8, v80
	s_mov_b32 s1, 0
.LBB96_29:                              ; =>This Inner Loop Header: Depth=1
	scratch_load_b128 v[81:84], v9, off offset:-8
	ds_load_b128 v[85:88], v8
	v_add_nc_u32_e32 v7, 1, v7
	v_add_nc_u32_e32 v8, 16, v8
	v_add_nc_u32_e32 v9, 16, v9
	s_delay_alu instid0(VALU_DEP_3)
	v_cmp_lt_u32_e32 vcc_lo, 2, v7
	s_wait_alu 0xfffe
	s_or_b32 s1, vcc_lo, s1
	s_wait_loadcnt_dscnt 0x0
	v_mul_f64_e32 v[10:11], v[87:88], v[83:84]
	v_mul_f64_e32 v[83:84], v[85:86], v[83:84]
	s_delay_alu instid0(VALU_DEP_2) | instskip(NEXT) | instid1(VALU_DEP_2)
	v_fma_f64 v[10:11], v[85:86], v[81:82], -v[10:11]
	v_fma_f64 v[81:82], v[87:88], v[81:82], v[83:84]
	s_delay_alu instid0(VALU_DEP_2) | instskip(NEXT) | instid1(VALU_DEP_2)
	v_add_f64_e32 v[3:4], v[3:4], v[10:11]
	v_add_f64_e32 v[1:2], v[1:2], v[81:82]
	s_wait_alu 0xfffe
	s_and_not1_b32 exec_lo, exec_lo, s1
	s_cbranch_execnz .LBB96_29
; %bb.30:
	s_or_b32 exec_lo, exec_lo, s1
	v_mov_b32_e32 v7, 0
	ds_load_b128 v[7:10], v7 offset:64
	s_wait_dscnt 0x0
	v_mul_f64_e32 v[11:12], v[1:2], v[9:10]
	v_mul_f64_e32 v[81:82], v[3:4], v[9:10]
	s_delay_alu instid0(VALU_DEP_2) | instskip(NEXT) | instid1(VALU_DEP_2)
	v_fma_f64 v[9:10], v[3:4], v[7:8], -v[11:12]
	v_fma_f64 v[11:12], v[1:2], v[7:8], v[81:82]
	scratch_store_b128 off, v[9:12], off offset:80
.LBB96_31:
	s_wait_alu 0xfffe
	s_or_b32 exec_lo, exec_lo, s0
	s_wait_loadcnt 0x0
	s_wait_storecnt 0x0
	s_barrier_signal -1
	s_barrier_wait -1
	global_inv scope:SCOPE_SE
	scratch_load_b128 v[1:4], off, s25
	;; [unrolled: 58-line block ×19, first 2 shown]
	s_mov_b32 s0, exec_lo
	s_wait_loadcnt 0x0
	ds_store_b128 v5, v[1:4]
	s_wait_dscnt 0x0
	s_barrier_signal -1
	s_barrier_wait -1
	global_inv scope:SCOPE_SE
	v_cmpx_gt_u32_e32 22, v0
	s_cbranch_execz .LBB96_103
; %bb.100:
	v_dual_mov_b32 v1, 0 :: v_dual_add_nc_u32 v8, 0x210, v79
	v_mov_b32_e32 v3, 0
	v_dual_mov_b32 v2, 0 :: v_dual_add_nc_u32 v7, -1, v0
	v_mov_b32_e32 v4, 0
	v_or_b32_e32 v9, 8, v80
	s_mov_b32 s1, 0
.LBB96_101:                             ; =>This Inner Loop Header: Depth=1
	scratch_load_b128 v[81:84], v9, off offset:-8
	ds_load_b128 v[85:88], v8
	v_add_nc_u32_e32 v7, 1, v7
	v_add_nc_u32_e32 v8, 16, v8
	v_add_nc_u32_e32 v9, 16, v9
	s_delay_alu instid0(VALU_DEP_3)
	v_cmp_lt_u32_e32 vcc_lo, 20, v7
	s_wait_alu 0xfffe
	s_or_b32 s1, vcc_lo, s1
	s_wait_loadcnt_dscnt 0x0
	v_mul_f64_e32 v[10:11], v[87:88], v[83:84]
	v_mul_f64_e32 v[83:84], v[85:86], v[83:84]
	s_delay_alu instid0(VALU_DEP_2) | instskip(NEXT) | instid1(VALU_DEP_2)
	v_fma_f64 v[10:11], v[85:86], v[81:82], -v[10:11]
	v_fma_f64 v[81:82], v[87:88], v[81:82], v[83:84]
	s_delay_alu instid0(VALU_DEP_2) | instskip(NEXT) | instid1(VALU_DEP_2)
	v_add_f64_e32 v[3:4], v[3:4], v[10:11]
	v_add_f64_e32 v[1:2], v[1:2], v[81:82]
	s_wait_alu 0xfffe
	s_and_not1_b32 exec_lo, exec_lo, s1
	s_cbranch_execnz .LBB96_101
; %bb.102:
	s_or_b32 exec_lo, exec_lo, s1
	v_mov_b32_e32 v7, 0
	ds_load_b128 v[7:10], v7 offset:352
	s_wait_dscnt 0x0
	v_mul_f64_e32 v[11:12], v[1:2], v[9:10]
	v_mul_f64_e32 v[81:82], v[3:4], v[9:10]
	s_delay_alu instid0(VALU_DEP_2) | instskip(NEXT) | instid1(VALU_DEP_2)
	v_fma_f64 v[9:10], v[3:4], v[7:8], -v[11:12]
	v_fma_f64 v[11:12], v[1:2], v[7:8], v[81:82]
	scratch_store_b128 off, v[9:12], off offset:368
.LBB96_103:
	s_wait_alu 0xfffe
	s_or_b32 exec_lo, exec_lo, s0
	s_wait_loadcnt 0x0
	s_wait_storecnt 0x0
	s_barrier_signal -1
	s_barrier_wait -1
	global_inv scope:SCOPE_SE
	scratch_load_b128 v[1:4], off, s35
	s_mov_b32 s0, exec_lo
	s_wait_loadcnt 0x0
	ds_store_b128 v5, v[1:4]
	s_wait_dscnt 0x0
	s_barrier_signal -1
	s_barrier_wait -1
	global_inv scope:SCOPE_SE
	v_cmpx_gt_u32_e32 23, v0
	s_cbranch_execz .LBB96_107
; %bb.104:
	v_dual_mov_b32 v1, 0 :: v_dual_add_nc_u32 v8, 0x210, v79
	v_mov_b32_e32 v3, 0
	v_dual_mov_b32 v2, 0 :: v_dual_add_nc_u32 v7, -1, v0
	v_mov_b32_e32 v4, 0
	v_or_b32_e32 v9, 8, v80
	s_mov_b32 s1, 0
.LBB96_105:                             ; =>This Inner Loop Header: Depth=1
	scratch_load_b128 v[81:84], v9, off offset:-8
	ds_load_b128 v[85:88], v8
	v_add_nc_u32_e32 v7, 1, v7
	v_add_nc_u32_e32 v8, 16, v8
	v_add_nc_u32_e32 v9, 16, v9
	s_delay_alu instid0(VALU_DEP_3)
	v_cmp_lt_u32_e32 vcc_lo, 21, v7
	s_wait_alu 0xfffe
	s_or_b32 s1, vcc_lo, s1
	s_wait_loadcnt_dscnt 0x0
	v_mul_f64_e32 v[10:11], v[87:88], v[83:84]
	v_mul_f64_e32 v[83:84], v[85:86], v[83:84]
	s_delay_alu instid0(VALU_DEP_2) | instskip(NEXT) | instid1(VALU_DEP_2)
	v_fma_f64 v[10:11], v[85:86], v[81:82], -v[10:11]
	v_fma_f64 v[81:82], v[87:88], v[81:82], v[83:84]
	s_delay_alu instid0(VALU_DEP_2) | instskip(NEXT) | instid1(VALU_DEP_2)
	v_add_f64_e32 v[3:4], v[3:4], v[10:11]
	v_add_f64_e32 v[1:2], v[1:2], v[81:82]
	s_wait_alu 0xfffe
	s_and_not1_b32 exec_lo, exec_lo, s1
	s_cbranch_execnz .LBB96_105
; %bb.106:
	s_or_b32 exec_lo, exec_lo, s1
	v_mov_b32_e32 v7, 0
	ds_load_b128 v[7:10], v7 offset:368
	s_wait_dscnt 0x0
	v_mul_f64_e32 v[11:12], v[1:2], v[9:10]
	v_mul_f64_e32 v[81:82], v[3:4], v[9:10]
	s_delay_alu instid0(VALU_DEP_2) | instskip(NEXT) | instid1(VALU_DEP_2)
	v_fma_f64 v[9:10], v[3:4], v[7:8], -v[11:12]
	v_fma_f64 v[11:12], v[1:2], v[7:8], v[81:82]
	scratch_store_b128 off, v[9:12], off offset:384
.LBB96_107:
	s_wait_alu 0xfffe
	s_or_b32 exec_lo, exec_lo, s0
	s_wait_loadcnt 0x0
	s_wait_storecnt 0x0
	s_barrier_signal -1
	s_barrier_wait -1
	global_inv scope:SCOPE_SE
	scratch_load_b128 v[1:4], off, s19
	s_mov_b32 s0, exec_lo
	s_wait_loadcnt 0x0
	ds_store_b128 v5, v[1:4]
	s_wait_dscnt 0x0
	s_barrier_signal -1
	s_barrier_wait -1
	global_inv scope:SCOPE_SE
	v_cmpx_gt_u32_e32 24, v0
	s_cbranch_execz .LBB96_111
; %bb.108:
	v_dual_mov_b32 v1, 0 :: v_dual_add_nc_u32 v8, 0x210, v79
	v_mov_b32_e32 v3, 0
	v_dual_mov_b32 v2, 0 :: v_dual_add_nc_u32 v7, -1, v0
	v_mov_b32_e32 v4, 0
	v_or_b32_e32 v9, 8, v80
	s_mov_b32 s1, 0
.LBB96_109:                             ; =>This Inner Loop Header: Depth=1
	scratch_load_b128 v[81:84], v9, off offset:-8
	ds_load_b128 v[85:88], v8
	v_add_nc_u32_e32 v7, 1, v7
	v_add_nc_u32_e32 v8, 16, v8
	v_add_nc_u32_e32 v9, 16, v9
	s_delay_alu instid0(VALU_DEP_3)
	v_cmp_lt_u32_e32 vcc_lo, 22, v7
	s_wait_alu 0xfffe
	s_or_b32 s1, vcc_lo, s1
	s_wait_loadcnt_dscnt 0x0
	v_mul_f64_e32 v[10:11], v[87:88], v[83:84]
	v_mul_f64_e32 v[83:84], v[85:86], v[83:84]
	s_delay_alu instid0(VALU_DEP_2) | instskip(NEXT) | instid1(VALU_DEP_2)
	v_fma_f64 v[10:11], v[85:86], v[81:82], -v[10:11]
	v_fma_f64 v[81:82], v[87:88], v[81:82], v[83:84]
	s_delay_alu instid0(VALU_DEP_2) | instskip(NEXT) | instid1(VALU_DEP_2)
	v_add_f64_e32 v[3:4], v[3:4], v[10:11]
	v_add_f64_e32 v[1:2], v[1:2], v[81:82]
	s_wait_alu 0xfffe
	s_and_not1_b32 exec_lo, exec_lo, s1
	s_cbranch_execnz .LBB96_109
; %bb.110:
	s_or_b32 exec_lo, exec_lo, s1
	v_mov_b32_e32 v7, 0
	ds_load_b128 v[7:10], v7 offset:384
	s_wait_dscnt 0x0
	v_mul_f64_e32 v[11:12], v[1:2], v[9:10]
	v_mul_f64_e32 v[81:82], v[3:4], v[9:10]
	s_delay_alu instid0(VALU_DEP_2) | instskip(NEXT) | instid1(VALU_DEP_2)
	v_fma_f64 v[9:10], v[3:4], v[7:8], -v[11:12]
	v_fma_f64 v[11:12], v[1:2], v[7:8], v[81:82]
	scratch_store_b128 off, v[9:12], off offset:400
.LBB96_111:
	s_wait_alu 0xfffe
	s_or_b32 exec_lo, exec_lo, s0
	s_wait_loadcnt 0x0
	s_wait_storecnt 0x0
	s_barrier_signal -1
	s_barrier_wait -1
	global_inv scope:SCOPE_SE
	scratch_load_b128 v[1:4], off, s36
	s_mov_b32 s0, exec_lo
	s_wait_loadcnt 0x0
	ds_store_b128 v5, v[1:4]
	s_wait_dscnt 0x0
	s_barrier_signal -1
	s_barrier_wait -1
	global_inv scope:SCOPE_SE
	v_cmpx_gt_u32_e32 25, v0
	s_cbranch_execz .LBB96_115
; %bb.112:
	v_dual_mov_b32 v1, 0 :: v_dual_add_nc_u32 v8, 0x210, v79
	v_mov_b32_e32 v3, 0
	v_dual_mov_b32 v2, 0 :: v_dual_add_nc_u32 v7, -1, v0
	v_mov_b32_e32 v4, 0
	v_or_b32_e32 v9, 8, v80
	s_mov_b32 s1, 0
.LBB96_113:                             ; =>This Inner Loop Header: Depth=1
	scratch_load_b128 v[81:84], v9, off offset:-8
	ds_load_b128 v[85:88], v8
	v_add_nc_u32_e32 v7, 1, v7
	v_add_nc_u32_e32 v8, 16, v8
	v_add_nc_u32_e32 v9, 16, v9
	s_delay_alu instid0(VALU_DEP_3)
	v_cmp_lt_u32_e32 vcc_lo, 23, v7
	s_wait_alu 0xfffe
	s_or_b32 s1, vcc_lo, s1
	s_wait_loadcnt_dscnt 0x0
	v_mul_f64_e32 v[10:11], v[87:88], v[83:84]
	v_mul_f64_e32 v[83:84], v[85:86], v[83:84]
	s_delay_alu instid0(VALU_DEP_2) | instskip(NEXT) | instid1(VALU_DEP_2)
	v_fma_f64 v[10:11], v[85:86], v[81:82], -v[10:11]
	v_fma_f64 v[81:82], v[87:88], v[81:82], v[83:84]
	s_delay_alu instid0(VALU_DEP_2) | instskip(NEXT) | instid1(VALU_DEP_2)
	v_add_f64_e32 v[3:4], v[3:4], v[10:11]
	v_add_f64_e32 v[1:2], v[1:2], v[81:82]
	s_wait_alu 0xfffe
	s_and_not1_b32 exec_lo, exec_lo, s1
	s_cbranch_execnz .LBB96_113
; %bb.114:
	s_or_b32 exec_lo, exec_lo, s1
	v_mov_b32_e32 v7, 0
	ds_load_b128 v[7:10], v7 offset:400
	s_wait_dscnt 0x0
	v_mul_f64_e32 v[11:12], v[1:2], v[9:10]
	v_mul_f64_e32 v[81:82], v[3:4], v[9:10]
	s_delay_alu instid0(VALU_DEP_2) | instskip(NEXT) | instid1(VALU_DEP_2)
	v_fma_f64 v[9:10], v[3:4], v[7:8], -v[11:12]
	v_fma_f64 v[11:12], v[1:2], v[7:8], v[81:82]
	scratch_store_b128 off, v[9:12], off offset:416
.LBB96_115:
	s_wait_alu 0xfffe
	s_or_b32 exec_lo, exec_lo, s0
	s_wait_loadcnt 0x0
	s_wait_storecnt 0x0
	s_barrier_signal -1
	s_barrier_wait -1
	global_inv scope:SCOPE_SE
	scratch_load_b128 v[1:4], off, s20
	s_mov_b32 s0, exec_lo
	s_wait_loadcnt 0x0
	ds_store_b128 v5, v[1:4]
	s_wait_dscnt 0x0
	s_barrier_signal -1
	s_barrier_wait -1
	global_inv scope:SCOPE_SE
	v_cmpx_gt_u32_e32 26, v0
	s_cbranch_execz .LBB96_119
; %bb.116:
	v_dual_mov_b32 v1, 0 :: v_dual_add_nc_u32 v8, 0x210, v79
	v_mov_b32_e32 v3, 0
	v_dual_mov_b32 v2, 0 :: v_dual_add_nc_u32 v7, -1, v0
	v_mov_b32_e32 v4, 0
	v_or_b32_e32 v9, 8, v80
	s_mov_b32 s1, 0
.LBB96_117:                             ; =>This Inner Loop Header: Depth=1
	scratch_load_b128 v[81:84], v9, off offset:-8
	ds_load_b128 v[85:88], v8
	v_add_nc_u32_e32 v7, 1, v7
	v_add_nc_u32_e32 v8, 16, v8
	v_add_nc_u32_e32 v9, 16, v9
	s_delay_alu instid0(VALU_DEP_3)
	v_cmp_lt_u32_e32 vcc_lo, 24, v7
	s_wait_alu 0xfffe
	s_or_b32 s1, vcc_lo, s1
	s_wait_loadcnt_dscnt 0x0
	v_mul_f64_e32 v[10:11], v[87:88], v[83:84]
	v_mul_f64_e32 v[83:84], v[85:86], v[83:84]
	s_delay_alu instid0(VALU_DEP_2) | instskip(NEXT) | instid1(VALU_DEP_2)
	v_fma_f64 v[10:11], v[85:86], v[81:82], -v[10:11]
	v_fma_f64 v[81:82], v[87:88], v[81:82], v[83:84]
	s_delay_alu instid0(VALU_DEP_2) | instskip(NEXT) | instid1(VALU_DEP_2)
	v_add_f64_e32 v[3:4], v[3:4], v[10:11]
	v_add_f64_e32 v[1:2], v[1:2], v[81:82]
	s_wait_alu 0xfffe
	s_and_not1_b32 exec_lo, exec_lo, s1
	s_cbranch_execnz .LBB96_117
; %bb.118:
	s_or_b32 exec_lo, exec_lo, s1
	v_mov_b32_e32 v7, 0
	ds_load_b128 v[7:10], v7 offset:416
	s_wait_dscnt 0x0
	v_mul_f64_e32 v[11:12], v[1:2], v[9:10]
	v_mul_f64_e32 v[81:82], v[3:4], v[9:10]
	s_delay_alu instid0(VALU_DEP_2) | instskip(NEXT) | instid1(VALU_DEP_2)
	v_fma_f64 v[9:10], v[3:4], v[7:8], -v[11:12]
	v_fma_f64 v[11:12], v[1:2], v[7:8], v[81:82]
	scratch_store_b128 off, v[9:12], off offset:432
.LBB96_119:
	s_wait_alu 0xfffe
	s_or_b32 exec_lo, exec_lo, s0
	s_wait_loadcnt 0x0
	s_wait_storecnt 0x0
	s_barrier_signal -1
	s_barrier_wait -1
	global_inv scope:SCOPE_SE
	scratch_load_b128 v[1:4], off, s37
	s_mov_b32 s0, exec_lo
	s_wait_loadcnt 0x0
	ds_store_b128 v5, v[1:4]
	s_wait_dscnt 0x0
	s_barrier_signal -1
	s_barrier_wait -1
	global_inv scope:SCOPE_SE
	v_cmpx_gt_u32_e32 27, v0
	s_cbranch_execz .LBB96_123
; %bb.120:
	v_dual_mov_b32 v1, 0 :: v_dual_add_nc_u32 v8, 0x210, v79
	v_mov_b32_e32 v3, 0
	v_dual_mov_b32 v2, 0 :: v_dual_add_nc_u32 v7, -1, v0
	v_mov_b32_e32 v4, 0
	v_or_b32_e32 v9, 8, v80
	s_mov_b32 s1, 0
.LBB96_121:                             ; =>This Inner Loop Header: Depth=1
	scratch_load_b128 v[81:84], v9, off offset:-8
	ds_load_b128 v[85:88], v8
	v_add_nc_u32_e32 v7, 1, v7
	v_add_nc_u32_e32 v8, 16, v8
	v_add_nc_u32_e32 v9, 16, v9
	s_delay_alu instid0(VALU_DEP_3)
	v_cmp_lt_u32_e32 vcc_lo, 25, v7
	s_wait_alu 0xfffe
	s_or_b32 s1, vcc_lo, s1
	s_wait_loadcnt_dscnt 0x0
	v_mul_f64_e32 v[10:11], v[87:88], v[83:84]
	v_mul_f64_e32 v[83:84], v[85:86], v[83:84]
	s_delay_alu instid0(VALU_DEP_2) | instskip(NEXT) | instid1(VALU_DEP_2)
	v_fma_f64 v[10:11], v[85:86], v[81:82], -v[10:11]
	v_fma_f64 v[81:82], v[87:88], v[81:82], v[83:84]
	s_delay_alu instid0(VALU_DEP_2) | instskip(NEXT) | instid1(VALU_DEP_2)
	v_add_f64_e32 v[3:4], v[3:4], v[10:11]
	v_add_f64_e32 v[1:2], v[1:2], v[81:82]
	s_wait_alu 0xfffe
	s_and_not1_b32 exec_lo, exec_lo, s1
	s_cbranch_execnz .LBB96_121
; %bb.122:
	s_or_b32 exec_lo, exec_lo, s1
	v_mov_b32_e32 v7, 0
	ds_load_b128 v[7:10], v7 offset:432
	s_wait_dscnt 0x0
	v_mul_f64_e32 v[11:12], v[1:2], v[9:10]
	v_mul_f64_e32 v[81:82], v[3:4], v[9:10]
	s_delay_alu instid0(VALU_DEP_2) | instskip(NEXT) | instid1(VALU_DEP_2)
	v_fma_f64 v[9:10], v[3:4], v[7:8], -v[11:12]
	v_fma_f64 v[11:12], v[1:2], v[7:8], v[81:82]
	scratch_store_b128 off, v[9:12], off offset:448
.LBB96_123:
	s_wait_alu 0xfffe
	s_or_b32 exec_lo, exec_lo, s0
	s_wait_loadcnt 0x0
	s_wait_storecnt 0x0
	s_barrier_signal -1
	s_barrier_wait -1
	global_inv scope:SCOPE_SE
	scratch_load_b128 v[1:4], off, s21
	s_mov_b32 s0, exec_lo
	s_wait_loadcnt 0x0
	ds_store_b128 v5, v[1:4]
	s_wait_dscnt 0x0
	s_barrier_signal -1
	s_barrier_wait -1
	global_inv scope:SCOPE_SE
	v_cmpx_gt_u32_e32 28, v0
	s_cbranch_execz .LBB96_127
; %bb.124:
	v_dual_mov_b32 v1, 0 :: v_dual_add_nc_u32 v8, 0x210, v79
	v_mov_b32_e32 v3, 0
	v_dual_mov_b32 v2, 0 :: v_dual_add_nc_u32 v7, -1, v0
	v_mov_b32_e32 v4, 0
	v_or_b32_e32 v9, 8, v80
	s_mov_b32 s1, 0
.LBB96_125:                             ; =>This Inner Loop Header: Depth=1
	scratch_load_b128 v[81:84], v9, off offset:-8
	ds_load_b128 v[85:88], v8
	v_add_nc_u32_e32 v7, 1, v7
	v_add_nc_u32_e32 v8, 16, v8
	v_add_nc_u32_e32 v9, 16, v9
	s_delay_alu instid0(VALU_DEP_3)
	v_cmp_lt_u32_e32 vcc_lo, 26, v7
	s_wait_alu 0xfffe
	s_or_b32 s1, vcc_lo, s1
	s_wait_loadcnt_dscnt 0x0
	v_mul_f64_e32 v[10:11], v[87:88], v[83:84]
	v_mul_f64_e32 v[83:84], v[85:86], v[83:84]
	s_delay_alu instid0(VALU_DEP_2) | instskip(NEXT) | instid1(VALU_DEP_2)
	v_fma_f64 v[10:11], v[85:86], v[81:82], -v[10:11]
	v_fma_f64 v[81:82], v[87:88], v[81:82], v[83:84]
	s_delay_alu instid0(VALU_DEP_2) | instskip(NEXT) | instid1(VALU_DEP_2)
	v_add_f64_e32 v[3:4], v[3:4], v[10:11]
	v_add_f64_e32 v[1:2], v[1:2], v[81:82]
	s_wait_alu 0xfffe
	s_and_not1_b32 exec_lo, exec_lo, s1
	s_cbranch_execnz .LBB96_125
; %bb.126:
	s_or_b32 exec_lo, exec_lo, s1
	v_mov_b32_e32 v7, 0
	ds_load_b128 v[7:10], v7 offset:448
	s_wait_dscnt 0x0
	v_mul_f64_e32 v[11:12], v[1:2], v[9:10]
	v_mul_f64_e32 v[81:82], v[3:4], v[9:10]
	s_delay_alu instid0(VALU_DEP_2) | instskip(NEXT) | instid1(VALU_DEP_2)
	v_fma_f64 v[9:10], v[3:4], v[7:8], -v[11:12]
	v_fma_f64 v[11:12], v[1:2], v[7:8], v[81:82]
	scratch_store_b128 off, v[9:12], off offset:464
.LBB96_127:
	s_wait_alu 0xfffe
	s_or_b32 exec_lo, exec_lo, s0
	s_wait_loadcnt 0x0
	s_wait_storecnt 0x0
	s_barrier_signal -1
	s_barrier_wait -1
	global_inv scope:SCOPE_SE
	scratch_load_b128 v[1:4], off, s38
	s_mov_b32 s0, exec_lo
	s_wait_loadcnt 0x0
	ds_store_b128 v5, v[1:4]
	s_wait_dscnt 0x0
	s_barrier_signal -1
	s_barrier_wait -1
	global_inv scope:SCOPE_SE
	v_cmpx_gt_u32_e32 29, v0
	s_cbranch_execz .LBB96_131
; %bb.128:
	v_dual_mov_b32 v1, 0 :: v_dual_add_nc_u32 v8, 0x210, v79
	v_mov_b32_e32 v3, 0
	v_dual_mov_b32 v2, 0 :: v_dual_add_nc_u32 v7, -1, v0
	v_mov_b32_e32 v4, 0
	v_or_b32_e32 v9, 8, v80
	s_mov_b32 s1, 0
.LBB96_129:                             ; =>This Inner Loop Header: Depth=1
	scratch_load_b128 v[81:84], v9, off offset:-8
	ds_load_b128 v[85:88], v8
	v_add_nc_u32_e32 v7, 1, v7
	v_add_nc_u32_e32 v8, 16, v8
	v_add_nc_u32_e32 v9, 16, v9
	s_delay_alu instid0(VALU_DEP_3)
	v_cmp_lt_u32_e32 vcc_lo, 27, v7
	s_wait_alu 0xfffe
	s_or_b32 s1, vcc_lo, s1
	s_wait_loadcnt_dscnt 0x0
	v_mul_f64_e32 v[10:11], v[87:88], v[83:84]
	v_mul_f64_e32 v[83:84], v[85:86], v[83:84]
	s_delay_alu instid0(VALU_DEP_2) | instskip(NEXT) | instid1(VALU_DEP_2)
	v_fma_f64 v[10:11], v[85:86], v[81:82], -v[10:11]
	v_fma_f64 v[81:82], v[87:88], v[81:82], v[83:84]
	s_delay_alu instid0(VALU_DEP_2) | instskip(NEXT) | instid1(VALU_DEP_2)
	v_add_f64_e32 v[3:4], v[3:4], v[10:11]
	v_add_f64_e32 v[1:2], v[1:2], v[81:82]
	s_wait_alu 0xfffe
	s_and_not1_b32 exec_lo, exec_lo, s1
	s_cbranch_execnz .LBB96_129
; %bb.130:
	s_or_b32 exec_lo, exec_lo, s1
	v_mov_b32_e32 v7, 0
	ds_load_b128 v[7:10], v7 offset:464
	s_wait_dscnt 0x0
	v_mul_f64_e32 v[11:12], v[1:2], v[9:10]
	v_mul_f64_e32 v[81:82], v[3:4], v[9:10]
	s_delay_alu instid0(VALU_DEP_2) | instskip(NEXT) | instid1(VALU_DEP_2)
	v_fma_f64 v[9:10], v[3:4], v[7:8], -v[11:12]
	v_fma_f64 v[11:12], v[1:2], v[7:8], v[81:82]
	scratch_store_b128 off, v[9:12], off offset:480
.LBB96_131:
	s_wait_alu 0xfffe
	s_or_b32 exec_lo, exec_lo, s0
	s_wait_loadcnt 0x0
	s_wait_storecnt 0x0
	s_barrier_signal -1
	s_barrier_wait -1
	global_inv scope:SCOPE_SE
	scratch_load_b128 v[1:4], off, s22
	s_mov_b32 s0, exec_lo
	s_wait_loadcnt 0x0
	ds_store_b128 v5, v[1:4]
	s_wait_dscnt 0x0
	s_barrier_signal -1
	s_barrier_wait -1
	global_inv scope:SCOPE_SE
	v_cmpx_gt_u32_e32 30, v0
	s_cbranch_execz .LBB96_135
; %bb.132:
	v_dual_mov_b32 v1, 0 :: v_dual_add_nc_u32 v8, 0x210, v79
	v_mov_b32_e32 v3, 0
	v_dual_mov_b32 v2, 0 :: v_dual_add_nc_u32 v7, -1, v0
	v_mov_b32_e32 v4, 0
	v_or_b32_e32 v9, 8, v80
	s_mov_b32 s1, 0
.LBB96_133:                             ; =>This Inner Loop Header: Depth=1
	scratch_load_b128 v[81:84], v9, off offset:-8
	ds_load_b128 v[85:88], v8
	v_add_nc_u32_e32 v7, 1, v7
	v_add_nc_u32_e32 v8, 16, v8
	v_add_nc_u32_e32 v9, 16, v9
	s_delay_alu instid0(VALU_DEP_3)
	v_cmp_lt_u32_e32 vcc_lo, 28, v7
	s_wait_alu 0xfffe
	s_or_b32 s1, vcc_lo, s1
	s_wait_loadcnt_dscnt 0x0
	v_mul_f64_e32 v[10:11], v[87:88], v[83:84]
	v_mul_f64_e32 v[83:84], v[85:86], v[83:84]
	s_delay_alu instid0(VALU_DEP_2) | instskip(NEXT) | instid1(VALU_DEP_2)
	v_fma_f64 v[10:11], v[85:86], v[81:82], -v[10:11]
	v_fma_f64 v[81:82], v[87:88], v[81:82], v[83:84]
	s_delay_alu instid0(VALU_DEP_2) | instskip(NEXT) | instid1(VALU_DEP_2)
	v_add_f64_e32 v[3:4], v[3:4], v[10:11]
	v_add_f64_e32 v[1:2], v[1:2], v[81:82]
	s_wait_alu 0xfffe
	s_and_not1_b32 exec_lo, exec_lo, s1
	s_cbranch_execnz .LBB96_133
; %bb.134:
	s_or_b32 exec_lo, exec_lo, s1
	v_mov_b32_e32 v7, 0
	ds_load_b128 v[7:10], v7 offset:480
	s_wait_dscnt 0x0
	v_mul_f64_e32 v[11:12], v[1:2], v[9:10]
	v_mul_f64_e32 v[81:82], v[3:4], v[9:10]
	s_delay_alu instid0(VALU_DEP_2) | instskip(NEXT) | instid1(VALU_DEP_2)
	v_fma_f64 v[9:10], v[3:4], v[7:8], -v[11:12]
	v_fma_f64 v[11:12], v[1:2], v[7:8], v[81:82]
	scratch_store_b128 off, v[9:12], off offset:496
.LBB96_135:
	s_wait_alu 0xfffe
	s_or_b32 exec_lo, exec_lo, s0
	s_wait_loadcnt 0x0
	s_wait_storecnt 0x0
	s_barrier_signal -1
	s_barrier_wait -1
	global_inv scope:SCOPE_SE
	scratch_load_b128 v[1:4], off, s39
	s_mov_b32 s0, exec_lo
	s_wait_loadcnt 0x0
	ds_store_b128 v5, v[1:4]
	s_wait_dscnt 0x0
	s_barrier_signal -1
	s_barrier_wait -1
	global_inv scope:SCOPE_SE
	v_cmpx_gt_u32_e32 31, v0
	s_cbranch_execz .LBB96_139
; %bb.136:
	v_dual_mov_b32 v1, 0 :: v_dual_add_nc_u32 v8, 0x210, v79
	v_mov_b32_e32 v3, 0
	v_dual_mov_b32 v2, 0 :: v_dual_add_nc_u32 v7, -1, v0
	v_mov_b32_e32 v4, 0
	v_or_b32_e32 v9, 8, v80
	s_mov_b32 s1, 0
.LBB96_137:                             ; =>This Inner Loop Header: Depth=1
	scratch_load_b128 v[81:84], v9, off offset:-8
	ds_load_b128 v[85:88], v8
	v_add_nc_u32_e32 v7, 1, v7
	v_add_nc_u32_e32 v8, 16, v8
	v_add_nc_u32_e32 v9, 16, v9
	s_delay_alu instid0(VALU_DEP_3)
	v_cmp_lt_u32_e32 vcc_lo, 29, v7
	s_wait_alu 0xfffe
	s_or_b32 s1, vcc_lo, s1
	s_wait_loadcnt_dscnt 0x0
	v_mul_f64_e32 v[10:11], v[87:88], v[83:84]
	v_mul_f64_e32 v[83:84], v[85:86], v[83:84]
	s_delay_alu instid0(VALU_DEP_2) | instskip(NEXT) | instid1(VALU_DEP_2)
	v_fma_f64 v[10:11], v[85:86], v[81:82], -v[10:11]
	v_fma_f64 v[81:82], v[87:88], v[81:82], v[83:84]
	s_delay_alu instid0(VALU_DEP_2) | instskip(NEXT) | instid1(VALU_DEP_2)
	v_add_f64_e32 v[3:4], v[3:4], v[10:11]
	v_add_f64_e32 v[1:2], v[1:2], v[81:82]
	s_wait_alu 0xfffe
	s_and_not1_b32 exec_lo, exec_lo, s1
	s_cbranch_execnz .LBB96_137
; %bb.138:
	s_or_b32 exec_lo, exec_lo, s1
	v_mov_b32_e32 v7, 0
	ds_load_b128 v[7:10], v7 offset:496
	s_wait_dscnt 0x0
	v_mul_f64_e32 v[11:12], v[1:2], v[9:10]
	v_mul_f64_e32 v[81:82], v[3:4], v[9:10]
	s_delay_alu instid0(VALU_DEP_2) | instskip(NEXT) | instid1(VALU_DEP_2)
	v_fma_f64 v[9:10], v[3:4], v[7:8], -v[11:12]
	v_fma_f64 v[11:12], v[1:2], v[7:8], v[81:82]
	scratch_store_b128 off, v[9:12], off offset:512
.LBB96_139:
	s_wait_alu 0xfffe
	s_or_b32 exec_lo, exec_lo, s0
	s_wait_loadcnt 0x0
	s_wait_storecnt 0x0
	s_barrier_signal -1
	s_barrier_wait -1
	global_inv scope:SCOPE_SE
	scratch_load_b128 v[1:4], off, s23
	s_mov_b32 s0, exec_lo
	s_wait_loadcnt 0x0
	ds_store_b128 v5, v[1:4]
	s_wait_dscnt 0x0
	s_barrier_signal -1
	s_barrier_wait -1
	global_inv scope:SCOPE_SE
	v_cmpx_ne_u32_e32 32, v0
	s_cbranch_execz .LBB96_143
; %bb.140:
	v_mov_b32_e32 v1, 0
	v_dual_mov_b32 v2, 0 :: v_dual_mov_b32 v3, 0
	v_mov_b32_e32 v4, 0
	v_or_b32_e32 v7, 8, v80
	s_mov_b32 s1, 0
.LBB96_141:                             ; =>This Inner Loop Header: Depth=1
	scratch_load_b128 v[8:11], v7, off offset:-8
	ds_load_b128 v[79:82], v5
	v_add_nc_u32_e32 v6, 1, v6
	v_add_nc_u32_e32 v5, 16, v5
	;; [unrolled: 1-line block ×3, first 2 shown]
	s_delay_alu instid0(VALU_DEP_3)
	v_cmp_lt_u32_e32 vcc_lo, 30, v6
	s_wait_alu 0xfffe
	s_or_b32 s1, vcc_lo, s1
	s_wait_loadcnt_dscnt 0x0
	v_mul_f64_e32 v[83:84], v[81:82], v[10:11]
	v_mul_f64_e32 v[10:11], v[79:80], v[10:11]
	s_delay_alu instid0(VALU_DEP_2) | instskip(NEXT) | instid1(VALU_DEP_2)
	v_fma_f64 v[79:80], v[79:80], v[8:9], -v[83:84]
	v_fma_f64 v[8:9], v[81:82], v[8:9], v[10:11]
	s_delay_alu instid0(VALU_DEP_2) | instskip(NEXT) | instid1(VALU_DEP_2)
	v_add_f64_e32 v[3:4], v[3:4], v[79:80]
	v_add_f64_e32 v[1:2], v[1:2], v[8:9]
	s_wait_alu 0xfffe
	s_and_not1_b32 exec_lo, exec_lo, s1
	s_cbranch_execnz .LBB96_141
; %bb.142:
	s_or_b32 exec_lo, exec_lo, s1
	v_mov_b32_e32 v5, 0
	ds_load_b128 v[5:8], v5 offset:512
	s_wait_dscnt 0x0
	v_mul_f64_e32 v[9:10], v[1:2], v[7:8]
	v_mul_f64_e32 v[7:8], v[3:4], v[7:8]
	s_delay_alu instid0(VALU_DEP_2) | instskip(NEXT) | instid1(VALU_DEP_2)
	v_fma_f64 v[3:4], v[3:4], v[5:6], -v[9:10]
	v_fma_f64 v[5:6], v[1:2], v[5:6], v[7:8]
	scratch_store_b128 off, v[3:6], off offset:528
.LBB96_143:
	s_wait_alu 0xfffe
	s_or_b32 exec_lo, exec_lo, s0
	s_mov_b32 s1, -1
	s_wait_loadcnt 0x0
	s_wait_storecnt 0x0
	s_barrier_signal -1
	s_barrier_wait -1
	global_inv scope:SCOPE_SE
.LBB96_144:
	s_wait_alu 0xfffe
	s_and_b32 vcc_lo, exec_lo, s1
	s_wait_alu 0xfffe
	s_cbranch_vccz .LBB96_146
; %bb.145:
	v_mov_b32_e32 v1, 0
	s_lshl_b64 s[0:1], s[8:9], 2
	s_wait_alu 0xfffe
	s_add_nc_u64 s[0:1], s[6:7], s[0:1]
	global_load_b32 v1, v1, s[0:1]
	s_wait_loadcnt 0x0
	v_cmp_ne_u32_e32 vcc_lo, 0, v1
	s_cbranch_vccz .LBB96_147
.LBB96_146:
	s_nop 0
	s_sendmsg sendmsg(MSG_DEALLOC_VGPRS)
	s_endpgm
.LBB96_147:
	v_lshl_add_u32 v5, v0, 4, 0x210
	s_mov_b32 s0, exec_lo
	v_cmpx_eq_u32_e32 32, v0
	s_cbranch_execz .LBB96_149
; %bb.148:
	scratch_load_b128 v[1:4], off, s39
	v_mov_b32_e32 v6, 0
	s_delay_alu instid0(VALU_DEP_1)
	v_dual_mov_b32 v7, v6 :: v_dual_mov_b32 v8, v6
	v_mov_b32_e32 v9, v6
	scratch_store_b128 off, v[6:9], off offset:512
	s_wait_loadcnt 0x0
	ds_store_b128 v5, v[1:4]
.LBB96_149:
	s_wait_alu 0xfffe
	s_or_b32 exec_lo, exec_lo, s0
	s_wait_storecnt_dscnt 0x0
	s_barrier_signal -1
	s_barrier_wait -1
	global_inv scope:SCOPE_SE
	s_clause 0x1
	scratch_load_b128 v[6:9], off, off offset:528
	scratch_load_b128 v[79:82], off, off offset:512
	v_mov_b32_e32 v1, 0
	s_mov_b32 s0, exec_lo
	ds_load_b128 v[83:86], v1 offset:1040
	s_wait_loadcnt_dscnt 0x100
	v_mul_f64_e32 v[2:3], v[85:86], v[8:9]
	v_mul_f64_e32 v[8:9], v[83:84], v[8:9]
	s_delay_alu instid0(VALU_DEP_2) | instskip(NEXT) | instid1(VALU_DEP_2)
	v_fma_f64 v[2:3], v[83:84], v[6:7], -v[2:3]
	v_fma_f64 v[6:7], v[85:86], v[6:7], v[8:9]
	s_delay_alu instid0(VALU_DEP_2) | instskip(NEXT) | instid1(VALU_DEP_2)
	v_add_f64_e32 v[2:3], 0, v[2:3]
	v_add_f64_e32 v[8:9], 0, v[6:7]
	s_wait_loadcnt 0x0
	s_delay_alu instid0(VALU_DEP_2) | instskip(NEXT) | instid1(VALU_DEP_2)
	v_add_f64_e64 v[6:7], v[79:80], -v[2:3]
	v_add_f64_e64 v[8:9], v[81:82], -v[8:9]
	scratch_store_b128 off, v[6:9], off offset:512
	v_cmpx_lt_u32_e32 30, v0
	s_cbranch_execz .LBB96_151
; %bb.150:
	scratch_load_b128 v[6:9], off, s22
	v_dual_mov_b32 v2, v1 :: v_dual_mov_b32 v3, v1
	v_mov_b32_e32 v4, v1
	scratch_store_b128 off, v[1:4], off offset:496
	s_wait_loadcnt 0x0
	ds_store_b128 v5, v[6:9]
.LBB96_151:
	s_wait_alu 0xfffe
	s_or_b32 exec_lo, exec_lo, s0
	s_wait_storecnt_dscnt 0x0
	s_barrier_signal -1
	s_barrier_wait -1
	global_inv scope:SCOPE_SE
	s_clause 0x2
	scratch_load_b128 v[6:9], off, off offset:512
	scratch_load_b128 v[79:82], off, off offset:528
	;; [unrolled: 1-line block ×3, first 2 shown]
	ds_load_b128 v[87:90], v1 offset:1024
	ds_load_b128 v[1:4], v1 offset:1040
	s_mov_b32 s0, exec_lo
	s_wait_loadcnt_dscnt 0x201
	v_mul_f64_e32 v[10:11], v[89:90], v[8:9]
	v_mul_f64_e32 v[8:9], v[87:88], v[8:9]
	s_wait_loadcnt_dscnt 0x100
	v_mul_f64_e32 v[91:92], v[1:2], v[81:82]
	v_mul_f64_e32 v[81:82], v[3:4], v[81:82]
	s_delay_alu instid0(VALU_DEP_4) | instskip(NEXT) | instid1(VALU_DEP_4)
	v_fma_f64 v[10:11], v[87:88], v[6:7], -v[10:11]
	v_fma_f64 v[6:7], v[89:90], v[6:7], v[8:9]
	s_delay_alu instid0(VALU_DEP_4) | instskip(NEXT) | instid1(VALU_DEP_4)
	v_fma_f64 v[3:4], v[3:4], v[79:80], v[91:92]
	v_fma_f64 v[1:2], v[1:2], v[79:80], -v[81:82]
	s_delay_alu instid0(VALU_DEP_4) | instskip(NEXT) | instid1(VALU_DEP_4)
	v_add_f64_e32 v[8:9], 0, v[10:11]
	v_add_f64_e32 v[6:7], 0, v[6:7]
	s_delay_alu instid0(VALU_DEP_2) | instskip(NEXT) | instid1(VALU_DEP_2)
	v_add_f64_e32 v[1:2], v[8:9], v[1:2]
	v_add_f64_e32 v[3:4], v[6:7], v[3:4]
	s_wait_loadcnt 0x0
	s_delay_alu instid0(VALU_DEP_2) | instskip(NEXT) | instid1(VALU_DEP_2)
	v_add_f64_e64 v[1:2], v[83:84], -v[1:2]
	v_add_f64_e64 v[3:4], v[85:86], -v[3:4]
	scratch_store_b128 off, v[1:4], off offset:496
	v_cmpx_lt_u32_e32 29, v0
	s_cbranch_execz .LBB96_153
; %bb.152:
	scratch_load_b128 v[1:4], off, s38
	v_mov_b32_e32 v6, 0
	s_delay_alu instid0(VALU_DEP_1)
	v_dual_mov_b32 v7, v6 :: v_dual_mov_b32 v8, v6
	v_mov_b32_e32 v9, v6
	scratch_store_b128 off, v[6:9], off offset:480
	s_wait_loadcnt 0x0
	ds_store_b128 v5, v[1:4]
.LBB96_153:
	s_wait_alu 0xfffe
	s_or_b32 exec_lo, exec_lo, s0
	s_wait_storecnt_dscnt 0x0
	s_barrier_signal -1
	s_barrier_wait -1
	global_inv scope:SCOPE_SE
	s_clause 0x3
	scratch_load_b128 v[6:9], off, off offset:496
	scratch_load_b128 v[79:82], off, off offset:512
	scratch_load_b128 v[83:86], off, off offset:528
	scratch_load_b128 v[87:90], off, off offset:480
	v_mov_b32_e32 v1, 0
	ds_load_b128 v[91:94], v1 offset:1008
	ds_load_b128 v[95:98], v1 offset:1024
	s_mov_b32 s0, exec_lo
	s_wait_loadcnt_dscnt 0x301
	v_mul_f64_e32 v[2:3], v[93:94], v[8:9]
	v_mul_f64_e32 v[8:9], v[91:92], v[8:9]
	s_wait_loadcnt_dscnt 0x200
	v_mul_f64_e32 v[10:11], v[95:96], v[81:82]
	v_mul_f64_e32 v[81:82], v[97:98], v[81:82]
	s_delay_alu instid0(VALU_DEP_4) | instskip(NEXT) | instid1(VALU_DEP_4)
	v_fma_f64 v[2:3], v[91:92], v[6:7], -v[2:3]
	v_fma_f64 v[91:92], v[93:94], v[6:7], v[8:9]
	ds_load_b128 v[6:9], v1 offset:1040
	v_fma_f64 v[10:11], v[97:98], v[79:80], v[10:11]
	v_fma_f64 v[79:80], v[95:96], v[79:80], -v[81:82]
	s_wait_loadcnt_dscnt 0x100
	v_mul_f64_e32 v[93:94], v[6:7], v[85:86]
	v_mul_f64_e32 v[85:86], v[8:9], v[85:86]
	v_add_f64_e32 v[2:3], 0, v[2:3]
	v_add_f64_e32 v[81:82], 0, v[91:92]
	s_delay_alu instid0(VALU_DEP_4) | instskip(NEXT) | instid1(VALU_DEP_4)
	v_fma_f64 v[8:9], v[8:9], v[83:84], v[93:94]
	v_fma_f64 v[6:7], v[6:7], v[83:84], -v[85:86]
	s_delay_alu instid0(VALU_DEP_4) | instskip(NEXT) | instid1(VALU_DEP_4)
	v_add_f64_e32 v[2:3], v[2:3], v[79:80]
	v_add_f64_e32 v[10:11], v[81:82], v[10:11]
	s_delay_alu instid0(VALU_DEP_2) | instskip(NEXT) | instid1(VALU_DEP_2)
	v_add_f64_e32 v[2:3], v[2:3], v[6:7]
	v_add_f64_e32 v[8:9], v[10:11], v[8:9]
	s_wait_loadcnt 0x0
	s_delay_alu instid0(VALU_DEP_2) | instskip(NEXT) | instid1(VALU_DEP_2)
	v_add_f64_e64 v[6:7], v[87:88], -v[2:3]
	v_add_f64_e64 v[8:9], v[89:90], -v[8:9]
	scratch_store_b128 off, v[6:9], off offset:480
	v_cmpx_lt_u32_e32 28, v0
	s_cbranch_execz .LBB96_155
; %bb.154:
	scratch_load_b128 v[6:9], off, s21
	v_dual_mov_b32 v2, v1 :: v_dual_mov_b32 v3, v1
	v_mov_b32_e32 v4, v1
	scratch_store_b128 off, v[1:4], off offset:464
	s_wait_loadcnt 0x0
	ds_store_b128 v5, v[6:9]
.LBB96_155:
	s_wait_alu 0xfffe
	s_or_b32 exec_lo, exec_lo, s0
	s_wait_storecnt_dscnt 0x0
	s_barrier_signal -1
	s_barrier_wait -1
	global_inv scope:SCOPE_SE
	s_clause 0x4
	scratch_load_b128 v[6:9], off, off offset:480
	scratch_load_b128 v[79:82], off, off offset:496
	;; [unrolled: 1-line block ×5, first 2 shown]
	ds_load_b128 v[95:98], v1 offset:992
	ds_load_b128 v[99:102], v1 offset:1008
	s_mov_b32 s0, exec_lo
	s_wait_loadcnt_dscnt 0x401
	v_mul_f64_e32 v[2:3], v[97:98], v[8:9]
	v_mul_f64_e32 v[8:9], v[95:96], v[8:9]
	s_wait_loadcnt_dscnt 0x300
	v_mul_f64_e32 v[10:11], v[99:100], v[81:82]
	v_mul_f64_e32 v[81:82], v[101:102], v[81:82]
	s_delay_alu instid0(VALU_DEP_4) | instskip(NEXT) | instid1(VALU_DEP_4)
	v_fma_f64 v[95:96], v[95:96], v[6:7], -v[2:3]
	v_fma_f64 v[97:98], v[97:98], v[6:7], v[8:9]
	ds_load_b128 v[6:9], v1 offset:1024
	ds_load_b128 v[1:4], v1 offset:1040
	v_fma_f64 v[10:11], v[101:102], v[79:80], v[10:11]
	v_fma_f64 v[79:80], v[99:100], v[79:80], -v[81:82]
	s_wait_loadcnt_dscnt 0x201
	v_mul_f64_e32 v[103:104], v[6:7], v[85:86]
	v_mul_f64_e32 v[85:86], v[8:9], v[85:86]
	v_add_f64_e32 v[81:82], 0, v[95:96]
	v_add_f64_e32 v[95:96], 0, v[97:98]
	s_wait_loadcnt_dscnt 0x100
	v_mul_f64_e32 v[97:98], v[1:2], v[89:90]
	v_mul_f64_e32 v[89:90], v[3:4], v[89:90]
	v_fma_f64 v[8:9], v[8:9], v[83:84], v[103:104]
	v_fma_f64 v[6:7], v[6:7], v[83:84], -v[85:86]
	v_add_f64_e32 v[79:80], v[81:82], v[79:80]
	v_add_f64_e32 v[10:11], v[95:96], v[10:11]
	v_fma_f64 v[3:4], v[3:4], v[87:88], v[97:98]
	v_fma_f64 v[1:2], v[1:2], v[87:88], -v[89:90]
	s_delay_alu instid0(VALU_DEP_4) | instskip(NEXT) | instid1(VALU_DEP_4)
	v_add_f64_e32 v[6:7], v[79:80], v[6:7]
	v_add_f64_e32 v[8:9], v[10:11], v[8:9]
	s_delay_alu instid0(VALU_DEP_2) | instskip(NEXT) | instid1(VALU_DEP_2)
	v_add_f64_e32 v[1:2], v[6:7], v[1:2]
	v_add_f64_e32 v[3:4], v[8:9], v[3:4]
	s_wait_loadcnt 0x0
	s_delay_alu instid0(VALU_DEP_2) | instskip(NEXT) | instid1(VALU_DEP_2)
	v_add_f64_e64 v[1:2], v[91:92], -v[1:2]
	v_add_f64_e64 v[3:4], v[93:94], -v[3:4]
	scratch_store_b128 off, v[1:4], off offset:464
	v_cmpx_lt_u32_e32 27, v0
	s_cbranch_execz .LBB96_157
; %bb.156:
	scratch_load_b128 v[1:4], off, s37
	v_mov_b32_e32 v6, 0
	s_delay_alu instid0(VALU_DEP_1)
	v_dual_mov_b32 v7, v6 :: v_dual_mov_b32 v8, v6
	v_mov_b32_e32 v9, v6
	scratch_store_b128 off, v[6:9], off offset:448
	s_wait_loadcnt 0x0
	ds_store_b128 v5, v[1:4]
.LBB96_157:
	s_wait_alu 0xfffe
	s_or_b32 exec_lo, exec_lo, s0
	s_wait_storecnt_dscnt 0x0
	s_barrier_signal -1
	s_barrier_wait -1
	global_inv scope:SCOPE_SE
	s_clause 0x5
	scratch_load_b128 v[6:9], off, off offset:464
	scratch_load_b128 v[79:82], off, off offset:480
	;; [unrolled: 1-line block ×6, first 2 shown]
	v_mov_b32_e32 v1, 0
	ds_load_b128 v[99:102], v1 offset:976
	ds_load_b128 v[103:106], v1 offset:992
	s_mov_b32 s0, exec_lo
	s_wait_loadcnt_dscnt 0x501
	v_mul_f64_e32 v[2:3], v[101:102], v[8:9]
	v_mul_f64_e32 v[8:9], v[99:100], v[8:9]
	s_wait_loadcnt_dscnt 0x400
	v_mul_f64_e32 v[10:11], v[103:104], v[81:82]
	v_mul_f64_e32 v[81:82], v[105:106], v[81:82]
	s_delay_alu instid0(VALU_DEP_4) | instskip(NEXT) | instid1(VALU_DEP_4)
	v_fma_f64 v[2:3], v[99:100], v[6:7], -v[2:3]
	v_fma_f64 v[107:108], v[101:102], v[6:7], v[8:9]
	ds_load_b128 v[6:9], v1 offset:1008
	ds_load_b128 v[99:102], v1 offset:1024
	v_fma_f64 v[10:11], v[105:106], v[79:80], v[10:11]
	v_fma_f64 v[79:80], v[103:104], v[79:80], -v[81:82]
	s_wait_loadcnt_dscnt 0x301
	v_mul_f64_e32 v[109:110], v[6:7], v[85:86]
	v_mul_f64_e32 v[85:86], v[8:9], v[85:86]
	s_wait_loadcnt_dscnt 0x200
	v_mul_f64_e32 v[103:104], v[99:100], v[89:90]
	v_mul_f64_e32 v[89:90], v[101:102], v[89:90]
	v_add_f64_e32 v[2:3], 0, v[2:3]
	v_add_f64_e32 v[81:82], 0, v[107:108]
	v_fma_f64 v[105:106], v[8:9], v[83:84], v[109:110]
	v_fma_f64 v[83:84], v[6:7], v[83:84], -v[85:86]
	ds_load_b128 v[6:9], v1 offset:1040
	v_fma_f64 v[85:86], v[101:102], v[87:88], v[103:104]
	v_fma_f64 v[87:88], v[99:100], v[87:88], -v[89:90]
	v_add_f64_e32 v[2:3], v[2:3], v[79:80]
	v_add_f64_e32 v[10:11], v[81:82], v[10:11]
	s_wait_loadcnt_dscnt 0x100
	v_mul_f64_e32 v[79:80], v[6:7], v[93:94]
	v_mul_f64_e32 v[81:82], v[8:9], v[93:94]
	s_delay_alu instid0(VALU_DEP_4) | instskip(NEXT) | instid1(VALU_DEP_4)
	v_add_f64_e32 v[2:3], v[2:3], v[83:84]
	v_add_f64_e32 v[10:11], v[10:11], v[105:106]
	s_delay_alu instid0(VALU_DEP_4) | instskip(NEXT) | instid1(VALU_DEP_4)
	v_fma_f64 v[8:9], v[8:9], v[91:92], v[79:80]
	v_fma_f64 v[6:7], v[6:7], v[91:92], -v[81:82]
	s_delay_alu instid0(VALU_DEP_4) | instskip(NEXT) | instid1(VALU_DEP_4)
	v_add_f64_e32 v[2:3], v[2:3], v[87:88]
	v_add_f64_e32 v[10:11], v[10:11], v[85:86]
	s_delay_alu instid0(VALU_DEP_2) | instskip(NEXT) | instid1(VALU_DEP_2)
	v_add_f64_e32 v[2:3], v[2:3], v[6:7]
	v_add_f64_e32 v[8:9], v[10:11], v[8:9]
	s_wait_loadcnt 0x0
	s_delay_alu instid0(VALU_DEP_2) | instskip(NEXT) | instid1(VALU_DEP_2)
	v_add_f64_e64 v[6:7], v[95:96], -v[2:3]
	v_add_f64_e64 v[8:9], v[97:98], -v[8:9]
	scratch_store_b128 off, v[6:9], off offset:448
	v_cmpx_lt_u32_e32 26, v0
	s_cbranch_execz .LBB96_159
; %bb.158:
	scratch_load_b128 v[6:9], off, s20
	v_dual_mov_b32 v2, v1 :: v_dual_mov_b32 v3, v1
	v_mov_b32_e32 v4, v1
	scratch_store_b128 off, v[1:4], off offset:432
	s_wait_loadcnt 0x0
	ds_store_b128 v5, v[6:9]
.LBB96_159:
	s_wait_alu 0xfffe
	s_or_b32 exec_lo, exec_lo, s0
	s_wait_storecnt_dscnt 0x0
	s_barrier_signal -1
	s_barrier_wait -1
	global_inv scope:SCOPE_SE
	s_clause 0x5
	scratch_load_b128 v[6:9], off, off offset:448
	scratch_load_b128 v[79:82], off, off offset:464
	scratch_load_b128 v[83:86], off, off offset:480
	scratch_load_b128 v[87:90], off, off offset:496
	scratch_load_b128 v[91:94], off, off offset:512
	scratch_load_b128 v[95:98], off, off offset:528
	ds_load_b128 v[99:102], v1 offset:960
	ds_load_b128 v[107:110], v1 offset:976
	scratch_load_b128 v[103:106], off, off offset:432
	s_mov_b32 s0, exec_lo
	s_wait_loadcnt_dscnt 0x601
	v_mul_f64_e32 v[2:3], v[101:102], v[8:9]
	v_mul_f64_e32 v[8:9], v[99:100], v[8:9]
	s_wait_loadcnt_dscnt 0x500
	v_mul_f64_e32 v[10:11], v[107:108], v[81:82]
	v_mul_f64_e32 v[81:82], v[109:110], v[81:82]
	s_delay_alu instid0(VALU_DEP_4) | instskip(NEXT) | instid1(VALU_DEP_4)
	v_fma_f64 v[2:3], v[99:100], v[6:7], -v[2:3]
	v_fma_f64 v[111:112], v[101:102], v[6:7], v[8:9]
	ds_load_b128 v[6:9], v1 offset:992
	ds_load_b128 v[99:102], v1 offset:1008
	v_fma_f64 v[10:11], v[109:110], v[79:80], v[10:11]
	v_fma_f64 v[79:80], v[107:108], v[79:80], -v[81:82]
	s_wait_loadcnt_dscnt 0x401
	v_mul_f64_e32 v[113:114], v[6:7], v[85:86]
	v_mul_f64_e32 v[85:86], v[8:9], v[85:86]
	s_wait_loadcnt_dscnt 0x300
	v_mul_f64_e32 v[107:108], v[99:100], v[89:90]
	v_mul_f64_e32 v[89:90], v[101:102], v[89:90]
	v_add_f64_e32 v[2:3], 0, v[2:3]
	v_add_f64_e32 v[81:82], 0, v[111:112]
	v_fma_f64 v[109:110], v[8:9], v[83:84], v[113:114]
	v_fma_f64 v[83:84], v[6:7], v[83:84], -v[85:86]
	s_delay_alu instid0(VALU_DEP_4) | instskip(NEXT) | instid1(VALU_DEP_4)
	v_add_f64_e32 v[79:80], v[2:3], v[79:80]
	v_add_f64_e32 v[10:11], v[81:82], v[10:11]
	ds_load_b128 v[6:9], v1 offset:1024
	ds_load_b128 v[1:4], v1 offset:1040
	s_wait_loadcnt_dscnt 0x201
	v_mul_f64_e32 v[81:82], v[6:7], v[93:94]
	v_mul_f64_e32 v[85:86], v[8:9], v[93:94]
	v_fma_f64 v[93:94], v[101:102], v[87:88], v[107:108]
	v_fma_f64 v[87:88], v[99:100], v[87:88], -v[89:90]
	s_wait_loadcnt_dscnt 0x100
	v_mul_f64_e32 v[89:90], v[3:4], v[97:98]
	v_add_f64_e32 v[79:80], v[79:80], v[83:84]
	v_add_f64_e32 v[10:11], v[10:11], v[109:110]
	v_mul_f64_e32 v[83:84], v[1:2], v[97:98]
	v_fma_f64 v[8:9], v[8:9], v[91:92], v[81:82]
	v_fma_f64 v[6:7], v[6:7], v[91:92], -v[85:86]
	v_fma_f64 v[1:2], v[1:2], v[95:96], -v[89:90]
	v_add_f64_e32 v[79:80], v[79:80], v[87:88]
	v_add_f64_e32 v[10:11], v[10:11], v[93:94]
	v_fma_f64 v[3:4], v[3:4], v[95:96], v[83:84]
	s_delay_alu instid0(VALU_DEP_3) | instskip(NEXT) | instid1(VALU_DEP_3)
	v_add_f64_e32 v[6:7], v[79:80], v[6:7]
	v_add_f64_e32 v[8:9], v[10:11], v[8:9]
	s_delay_alu instid0(VALU_DEP_2) | instskip(NEXT) | instid1(VALU_DEP_2)
	v_add_f64_e32 v[1:2], v[6:7], v[1:2]
	v_add_f64_e32 v[3:4], v[8:9], v[3:4]
	s_wait_loadcnt 0x0
	s_delay_alu instid0(VALU_DEP_2) | instskip(NEXT) | instid1(VALU_DEP_2)
	v_add_f64_e64 v[1:2], v[103:104], -v[1:2]
	v_add_f64_e64 v[3:4], v[105:106], -v[3:4]
	scratch_store_b128 off, v[1:4], off offset:432
	v_cmpx_lt_u32_e32 25, v0
	s_cbranch_execz .LBB96_161
; %bb.160:
	scratch_load_b128 v[1:4], off, s36
	v_mov_b32_e32 v6, 0
	s_delay_alu instid0(VALU_DEP_1)
	v_dual_mov_b32 v7, v6 :: v_dual_mov_b32 v8, v6
	v_mov_b32_e32 v9, v6
	scratch_store_b128 off, v[6:9], off offset:416
	s_wait_loadcnt 0x0
	ds_store_b128 v5, v[1:4]
.LBB96_161:
	s_wait_alu 0xfffe
	s_or_b32 exec_lo, exec_lo, s0
	s_wait_storecnt_dscnt 0x0
	s_barrier_signal -1
	s_barrier_wait -1
	global_inv scope:SCOPE_SE
	s_clause 0x6
	scratch_load_b128 v[6:9], off, off offset:432
	scratch_load_b128 v[79:82], off, off offset:448
	;; [unrolled: 1-line block ×7, first 2 shown]
	v_mov_b32_e32 v1, 0
	scratch_load_b128 v[107:110], off, off offset:416
	s_mov_b32 s0, exec_lo
	ds_load_b128 v[103:106], v1 offset:944
	ds_load_b128 v[111:114], v1 offset:960
	s_wait_loadcnt_dscnt 0x701
	v_mul_f64_e32 v[2:3], v[105:106], v[8:9]
	v_mul_f64_e32 v[8:9], v[103:104], v[8:9]
	s_wait_loadcnt_dscnt 0x600
	v_mul_f64_e32 v[10:11], v[111:112], v[81:82]
	v_mul_f64_e32 v[81:82], v[113:114], v[81:82]
	s_delay_alu instid0(VALU_DEP_4) | instskip(NEXT) | instid1(VALU_DEP_4)
	v_fma_f64 v[2:3], v[103:104], v[6:7], -v[2:3]
	v_fma_f64 v[115:116], v[105:106], v[6:7], v[8:9]
	ds_load_b128 v[6:9], v1 offset:976
	ds_load_b128 v[103:106], v1 offset:992
	v_fma_f64 v[10:11], v[113:114], v[79:80], v[10:11]
	v_fma_f64 v[79:80], v[111:112], v[79:80], -v[81:82]
	s_wait_loadcnt_dscnt 0x501
	v_mul_f64_e32 v[117:118], v[6:7], v[85:86]
	v_mul_f64_e32 v[85:86], v[8:9], v[85:86]
	s_wait_loadcnt_dscnt 0x400
	v_mul_f64_e32 v[111:112], v[103:104], v[89:90]
	v_mul_f64_e32 v[89:90], v[105:106], v[89:90]
	v_add_f64_e32 v[2:3], 0, v[2:3]
	v_add_f64_e32 v[81:82], 0, v[115:116]
	v_fma_f64 v[113:114], v[8:9], v[83:84], v[117:118]
	v_fma_f64 v[83:84], v[6:7], v[83:84], -v[85:86]
	v_fma_f64 v[105:106], v[105:106], v[87:88], v[111:112]
	v_fma_f64 v[87:88], v[103:104], v[87:88], -v[89:90]
	v_add_f64_e32 v[2:3], v[2:3], v[79:80]
	v_add_f64_e32 v[10:11], v[81:82], v[10:11]
	ds_load_b128 v[6:9], v1 offset:1008
	ds_load_b128 v[79:82], v1 offset:1024
	s_wait_loadcnt_dscnt 0x301
	v_mul_f64_e32 v[85:86], v[6:7], v[93:94]
	v_mul_f64_e32 v[93:94], v[8:9], v[93:94]
	s_wait_loadcnt_dscnt 0x200
	v_mul_f64_e32 v[89:90], v[81:82], v[97:98]
	v_add_f64_e32 v[2:3], v[2:3], v[83:84]
	v_add_f64_e32 v[10:11], v[10:11], v[113:114]
	v_mul_f64_e32 v[83:84], v[79:80], v[97:98]
	v_fma_f64 v[85:86], v[8:9], v[91:92], v[85:86]
	v_fma_f64 v[91:92], v[6:7], v[91:92], -v[93:94]
	ds_load_b128 v[6:9], v1 offset:1040
	v_fma_f64 v[79:80], v[79:80], v[95:96], -v[89:90]
	v_add_f64_e32 v[2:3], v[2:3], v[87:88]
	v_add_f64_e32 v[10:11], v[10:11], v[105:106]
	v_fma_f64 v[81:82], v[81:82], v[95:96], v[83:84]
	s_wait_loadcnt_dscnt 0x100
	v_mul_f64_e32 v[87:88], v[6:7], v[101:102]
	v_mul_f64_e32 v[93:94], v[8:9], v[101:102]
	v_add_f64_e32 v[2:3], v[2:3], v[91:92]
	v_add_f64_e32 v[10:11], v[10:11], v[85:86]
	s_delay_alu instid0(VALU_DEP_4) | instskip(NEXT) | instid1(VALU_DEP_4)
	v_fma_f64 v[8:9], v[8:9], v[99:100], v[87:88]
	v_fma_f64 v[6:7], v[6:7], v[99:100], -v[93:94]
	s_delay_alu instid0(VALU_DEP_4) | instskip(NEXT) | instid1(VALU_DEP_4)
	v_add_f64_e32 v[2:3], v[2:3], v[79:80]
	v_add_f64_e32 v[10:11], v[10:11], v[81:82]
	s_delay_alu instid0(VALU_DEP_2) | instskip(NEXT) | instid1(VALU_DEP_2)
	v_add_f64_e32 v[2:3], v[2:3], v[6:7]
	v_add_f64_e32 v[8:9], v[10:11], v[8:9]
	s_wait_loadcnt 0x0
	s_delay_alu instid0(VALU_DEP_2) | instskip(NEXT) | instid1(VALU_DEP_2)
	v_add_f64_e64 v[6:7], v[107:108], -v[2:3]
	v_add_f64_e64 v[8:9], v[109:110], -v[8:9]
	scratch_store_b128 off, v[6:9], off offset:416
	v_cmpx_lt_u32_e32 24, v0
	s_cbranch_execz .LBB96_163
; %bb.162:
	scratch_load_b128 v[6:9], off, s19
	v_dual_mov_b32 v2, v1 :: v_dual_mov_b32 v3, v1
	v_mov_b32_e32 v4, v1
	scratch_store_b128 off, v[1:4], off offset:400
	s_wait_loadcnt 0x0
	ds_store_b128 v5, v[6:9]
.LBB96_163:
	s_wait_alu 0xfffe
	s_or_b32 exec_lo, exec_lo, s0
	s_wait_storecnt_dscnt 0x0
	s_barrier_signal -1
	s_barrier_wait -1
	global_inv scope:SCOPE_SE
	s_clause 0x7
	scratch_load_b128 v[6:9], off, off offset:416
	scratch_load_b128 v[79:82], off, off offset:432
	;; [unrolled: 1-line block ×8, first 2 shown]
	ds_load_b128 v[107:110], v1 offset:928
	ds_load_b128 v[111:114], v1 offset:944
	scratch_load_b128 v[115:118], off, off offset:400
	s_mov_b32 s0, exec_lo
	s_wait_loadcnt_dscnt 0x801
	v_mul_f64_e32 v[2:3], v[109:110], v[8:9]
	v_mul_f64_e32 v[8:9], v[107:108], v[8:9]
	s_wait_loadcnt_dscnt 0x700
	v_mul_f64_e32 v[10:11], v[111:112], v[81:82]
	v_mul_f64_e32 v[81:82], v[113:114], v[81:82]
	s_delay_alu instid0(VALU_DEP_4) | instskip(NEXT) | instid1(VALU_DEP_4)
	v_fma_f64 v[2:3], v[107:108], v[6:7], -v[2:3]
	v_fma_f64 v[119:120], v[109:110], v[6:7], v[8:9]
	ds_load_b128 v[6:9], v1 offset:960
	ds_load_b128 v[107:110], v1 offset:976
	v_fma_f64 v[10:11], v[113:114], v[79:80], v[10:11]
	v_fma_f64 v[79:80], v[111:112], v[79:80], -v[81:82]
	s_wait_loadcnt_dscnt 0x601
	v_mul_f64_e32 v[121:122], v[6:7], v[85:86]
	v_mul_f64_e32 v[85:86], v[8:9], v[85:86]
	s_wait_loadcnt_dscnt 0x500
	v_mul_f64_e32 v[111:112], v[107:108], v[89:90]
	v_mul_f64_e32 v[89:90], v[109:110], v[89:90]
	v_add_f64_e32 v[2:3], 0, v[2:3]
	v_add_f64_e32 v[81:82], 0, v[119:120]
	v_fma_f64 v[113:114], v[8:9], v[83:84], v[121:122]
	v_fma_f64 v[83:84], v[6:7], v[83:84], -v[85:86]
	v_fma_f64 v[109:110], v[109:110], v[87:88], v[111:112]
	v_fma_f64 v[87:88], v[107:108], v[87:88], -v[89:90]
	v_add_f64_e32 v[2:3], v[2:3], v[79:80]
	v_add_f64_e32 v[10:11], v[81:82], v[10:11]
	ds_load_b128 v[6:9], v1 offset:992
	ds_load_b128 v[79:82], v1 offset:1008
	s_wait_loadcnt_dscnt 0x401
	v_mul_f64_e32 v[85:86], v[6:7], v[93:94]
	v_mul_f64_e32 v[93:94], v[8:9], v[93:94]
	s_wait_loadcnt_dscnt 0x300
	v_mul_f64_e32 v[89:90], v[81:82], v[97:98]
	v_add_f64_e32 v[2:3], v[2:3], v[83:84]
	v_add_f64_e32 v[10:11], v[10:11], v[113:114]
	v_mul_f64_e32 v[83:84], v[79:80], v[97:98]
	v_fma_f64 v[85:86], v[8:9], v[91:92], v[85:86]
	v_fma_f64 v[91:92], v[6:7], v[91:92], -v[93:94]
	v_fma_f64 v[79:80], v[79:80], v[95:96], -v[89:90]
	v_add_f64_e32 v[87:88], v[2:3], v[87:88]
	v_add_f64_e32 v[10:11], v[10:11], v[109:110]
	ds_load_b128 v[6:9], v1 offset:1024
	ds_load_b128 v[1:4], v1 offset:1040
	v_fma_f64 v[81:82], v[81:82], v[95:96], v[83:84]
	s_wait_loadcnt_dscnt 0x201
	v_mul_f64_e32 v[93:94], v[6:7], v[101:102]
	v_mul_f64_e32 v[97:98], v[8:9], v[101:102]
	v_add_f64_e32 v[83:84], v[87:88], v[91:92]
	v_add_f64_e32 v[10:11], v[10:11], v[85:86]
	s_wait_loadcnt_dscnt 0x100
	v_mul_f64_e32 v[85:86], v[1:2], v[105:106]
	v_mul_f64_e32 v[87:88], v[3:4], v[105:106]
	v_fma_f64 v[8:9], v[8:9], v[99:100], v[93:94]
	v_fma_f64 v[6:7], v[6:7], v[99:100], -v[97:98]
	v_add_f64_e32 v[79:80], v[83:84], v[79:80]
	v_add_f64_e32 v[10:11], v[10:11], v[81:82]
	v_fma_f64 v[3:4], v[3:4], v[103:104], v[85:86]
	v_fma_f64 v[1:2], v[1:2], v[103:104], -v[87:88]
	s_delay_alu instid0(VALU_DEP_4) | instskip(NEXT) | instid1(VALU_DEP_4)
	v_add_f64_e32 v[6:7], v[79:80], v[6:7]
	v_add_f64_e32 v[8:9], v[10:11], v[8:9]
	s_delay_alu instid0(VALU_DEP_2) | instskip(NEXT) | instid1(VALU_DEP_2)
	v_add_f64_e32 v[1:2], v[6:7], v[1:2]
	v_add_f64_e32 v[3:4], v[8:9], v[3:4]
	s_wait_loadcnt 0x0
	s_delay_alu instid0(VALU_DEP_2) | instskip(NEXT) | instid1(VALU_DEP_2)
	v_add_f64_e64 v[1:2], v[115:116], -v[1:2]
	v_add_f64_e64 v[3:4], v[117:118], -v[3:4]
	scratch_store_b128 off, v[1:4], off offset:400
	v_cmpx_lt_u32_e32 23, v0
	s_cbranch_execz .LBB96_165
; %bb.164:
	scratch_load_b128 v[1:4], off, s35
	v_mov_b32_e32 v6, 0
	s_delay_alu instid0(VALU_DEP_1)
	v_dual_mov_b32 v7, v6 :: v_dual_mov_b32 v8, v6
	v_mov_b32_e32 v9, v6
	scratch_store_b128 off, v[6:9], off offset:384
	s_wait_loadcnt 0x0
	ds_store_b128 v5, v[1:4]
.LBB96_165:
	s_wait_alu 0xfffe
	s_or_b32 exec_lo, exec_lo, s0
	s_wait_storecnt_dscnt 0x0
	s_barrier_signal -1
	s_barrier_wait -1
	global_inv scope:SCOPE_SE
	s_clause 0x7
	scratch_load_b128 v[6:9], off, off offset:400
	scratch_load_b128 v[79:82], off, off offset:416
	;; [unrolled: 1-line block ×8, first 2 shown]
	v_mov_b32_e32 v1, 0
	s_mov_b32 s0, exec_lo
	ds_load_b128 v[107:110], v1 offset:912
	s_clause 0x1
	scratch_load_b128 v[111:114], off, off offset:528
	scratch_load_b128 v[115:118], off, off offset:384
	ds_load_b128 v[119:122], v1 offset:928
	s_wait_loadcnt_dscnt 0x901
	v_mul_f64_e32 v[2:3], v[109:110], v[8:9]
	v_mul_f64_e32 v[8:9], v[107:108], v[8:9]
	s_wait_loadcnt_dscnt 0x800
	v_mul_f64_e32 v[10:11], v[119:120], v[81:82]
	v_mul_f64_e32 v[81:82], v[121:122], v[81:82]
	s_delay_alu instid0(VALU_DEP_4) | instskip(NEXT) | instid1(VALU_DEP_4)
	v_fma_f64 v[2:3], v[107:108], v[6:7], -v[2:3]
	v_fma_f64 v[123:124], v[109:110], v[6:7], v[8:9]
	ds_load_b128 v[6:9], v1 offset:944
	ds_load_b128 v[107:110], v1 offset:960
	v_fma_f64 v[10:11], v[121:122], v[79:80], v[10:11]
	v_fma_f64 v[79:80], v[119:120], v[79:80], -v[81:82]
	s_wait_loadcnt_dscnt 0x701
	v_mul_f64_e32 v[125:126], v[6:7], v[85:86]
	v_mul_f64_e32 v[85:86], v[8:9], v[85:86]
	s_wait_loadcnt_dscnt 0x600
	v_mul_f64_e32 v[119:120], v[107:108], v[89:90]
	v_mul_f64_e32 v[89:90], v[109:110], v[89:90]
	v_add_f64_e32 v[2:3], 0, v[2:3]
	v_add_f64_e32 v[81:82], 0, v[123:124]
	v_fma_f64 v[121:122], v[8:9], v[83:84], v[125:126]
	v_fma_f64 v[83:84], v[6:7], v[83:84], -v[85:86]
	v_fma_f64 v[109:110], v[109:110], v[87:88], v[119:120]
	v_fma_f64 v[87:88], v[107:108], v[87:88], -v[89:90]
	v_add_f64_e32 v[2:3], v[2:3], v[79:80]
	v_add_f64_e32 v[10:11], v[81:82], v[10:11]
	ds_load_b128 v[6:9], v1 offset:976
	ds_load_b128 v[79:82], v1 offset:992
	s_wait_loadcnt_dscnt 0x501
	v_mul_f64_e32 v[85:86], v[6:7], v[93:94]
	v_mul_f64_e32 v[93:94], v[8:9], v[93:94]
	s_wait_loadcnt_dscnt 0x400
	v_mul_f64_e32 v[89:90], v[79:80], v[97:98]
	v_mul_f64_e32 v[97:98], v[81:82], v[97:98]
	v_add_f64_e32 v[2:3], v[2:3], v[83:84]
	v_add_f64_e32 v[10:11], v[10:11], v[121:122]
	v_fma_f64 v[107:108], v[8:9], v[91:92], v[85:86]
	v_fma_f64 v[91:92], v[6:7], v[91:92], -v[93:94]
	ds_load_b128 v[6:9], v1 offset:1008
	ds_load_b128 v[83:86], v1 offset:1024
	v_fma_f64 v[81:82], v[81:82], v[95:96], v[89:90]
	v_fma_f64 v[79:80], v[79:80], v[95:96], -v[97:98]
	v_add_f64_e32 v[2:3], v[2:3], v[87:88]
	v_add_f64_e32 v[10:11], v[10:11], v[109:110]
	s_wait_loadcnt_dscnt 0x301
	v_mul_f64_e32 v[87:88], v[6:7], v[101:102]
	v_mul_f64_e32 v[93:94], v[8:9], v[101:102]
	s_wait_loadcnt_dscnt 0x200
	v_mul_f64_e32 v[89:90], v[83:84], v[105:106]
	v_add_f64_e32 v[2:3], v[2:3], v[91:92]
	v_add_f64_e32 v[10:11], v[10:11], v[107:108]
	v_mul_f64_e32 v[91:92], v[85:86], v[105:106]
	v_fma_f64 v[87:88], v[8:9], v[99:100], v[87:88]
	v_fma_f64 v[93:94], v[6:7], v[99:100], -v[93:94]
	ds_load_b128 v[6:9], v1 offset:1040
	v_fma_f64 v[85:86], v[85:86], v[103:104], v[89:90]
	v_add_f64_e32 v[2:3], v[2:3], v[79:80]
	v_add_f64_e32 v[10:11], v[10:11], v[81:82]
	s_wait_loadcnt_dscnt 0x100
	v_mul_f64_e32 v[79:80], v[6:7], v[113:114]
	v_mul_f64_e32 v[81:82], v[8:9], v[113:114]
	v_fma_f64 v[83:84], v[83:84], v[103:104], -v[91:92]
	v_add_f64_e32 v[2:3], v[2:3], v[93:94]
	v_add_f64_e32 v[10:11], v[10:11], v[87:88]
	v_fma_f64 v[8:9], v[8:9], v[111:112], v[79:80]
	v_fma_f64 v[6:7], v[6:7], v[111:112], -v[81:82]
	s_delay_alu instid0(VALU_DEP_4) | instskip(NEXT) | instid1(VALU_DEP_4)
	v_add_f64_e32 v[2:3], v[2:3], v[83:84]
	v_add_f64_e32 v[10:11], v[10:11], v[85:86]
	s_delay_alu instid0(VALU_DEP_2) | instskip(NEXT) | instid1(VALU_DEP_2)
	v_add_f64_e32 v[2:3], v[2:3], v[6:7]
	v_add_f64_e32 v[8:9], v[10:11], v[8:9]
	s_wait_loadcnt 0x0
	s_delay_alu instid0(VALU_DEP_2) | instskip(NEXT) | instid1(VALU_DEP_2)
	v_add_f64_e64 v[6:7], v[115:116], -v[2:3]
	v_add_f64_e64 v[8:9], v[117:118], -v[8:9]
	scratch_store_b128 off, v[6:9], off offset:384
	v_cmpx_lt_u32_e32 22, v0
	s_cbranch_execz .LBB96_167
; %bb.166:
	scratch_load_b128 v[6:9], off, s18
	v_dual_mov_b32 v2, v1 :: v_dual_mov_b32 v3, v1
	v_mov_b32_e32 v4, v1
	scratch_store_b128 off, v[1:4], off offset:368
	s_wait_loadcnt 0x0
	ds_store_b128 v5, v[6:9]
.LBB96_167:
	s_wait_alu 0xfffe
	s_or_b32 exec_lo, exec_lo, s0
	s_wait_storecnt_dscnt 0x0
	s_barrier_signal -1
	s_barrier_wait -1
	global_inv scope:SCOPE_SE
	s_clause 0x8
	scratch_load_b128 v[6:9], off, off offset:384
	scratch_load_b128 v[79:82], off, off offset:400
	;; [unrolled: 1-line block ×9, first 2 shown]
	ds_load_b128 v[111:114], v1 offset:896
	ds_load_b128 v[115:118], v1 offset:912
	scratch_load_b128 v[119:122], off, off offset:368
	s_mov_b32 s0, exec_lo
	s_wait_loadcnt_dscnt 0x901
	v_mul_f64_e32 v[2:3], v[113:114], v[8:9]
	v_mul_f64_e32 v[123:124], v[111:112], v[8:9]
	scratch_load_b128 v[8:11], off, off offset:528
	s_wait_loadcnt_dscnt 0x900
	v_mul_f64_e32 v[127:128], v[115:116], v[81:82]
	v_mul_f64_e32 v[81:82], v[117:118], v[81:82]
	v_fma_f64 v[2:3], v[111:112], v[6:7], -v[2:3]
	v_fma_f64 v[6:7], v[113:114], v[6:7], v[123:124]
	ds_load_b128 v[111:114], v1 offset:928
	ds_load_b128 v[123:126], v1 offset:944
	v_fma_f64 v[117:118], v[117:118], v[79:80], v[127:128]
	v_fma_f64 v[79:80], v[115:116], v[79:80], -v[81:82]
	s_wait_loadcnt_dscnt 0x801
	v_mul_f64_e32 v[129:130], v[111:112], v[85:86]
	v_mul_f64_e32 v[85:86], v[113:114], v[85:86]
	s_wait_loadcnt_dscnt 0x700
	v_mul_f64_e32 v[115:116], v[123:124], v[89:90]
	v_mul_f64_e32 v[89:90], v[125:126], v[89:90]
	v_add_f64_e32 v[2:3], 0, v[2:3]
	v_add_f64_e32 v[6:7], 0, v[6:7]
	v_fma_f64 v[113:114], v[113:114], v[83:84], v[129:130]
	v_fma_f64 v[111:112], v[111:112], v[83:84], -v[85:86]
	v_fma_f64 v[115:116], v[125:126], v[87:88], v[115:116]
	v_fma_f64 v[87:88], v[123:124], v[87:88], -v[89:90]
	v_add_f64_e32 v[2:3], v[2:3], v[79:80]
	v_add_f64_e32 v[6:7], v[6:7], v[117:118]
	ds_load_b128 v[79:82], v1 offset:960
	ds_load_b128 v[83:86], v1 offset:976
	s_wait_loadcnt_dscnt 0x601
	v_mul_f64_e32 v[117:118], v[79:80], v[93:94]
	v_mul_f64_e32 v[93:94], v[81:82], v[93:94]
	v_add_f64_e32 v[2:3], v[2:3], v[111:112]
	v_add_f64_e32 v[6:7], v[6:7], v[113:114]
	s_wait_loadcnt_dscnt 0x500
	v_mul_f64_e32 v[111:112], v[83:84], v[97:98]
	v_mul_f64_e32 v[97:98], v[85:86], v[97:98]
	v_fma_f64 v[113:114], v[81:82], v[91:92], v[117:118]
	v_fma_f64 v[91:92], v[79:80], v[91:92], -v[93:94]
	v_add_f64_e32 v[2:3], v[2:3], v[87:88]
	v_add_f64_e32 v[6:7], v[6:7], v[115:116]
	ds_load_b128 v[79:82], v1 offset:992
	ds_load_b128 v[87:90], v1 offset:1008
	v_fma_f64 v[85:86], v[85:86], v[95:96], v[111:112]
	v_fma_f64 v[83:84], v[83:84], v[95:96], -v[97:98]
	s_wait_loadcnt_dscnt 0x401
	v_mul_f64_e32 v[93:94], v[79:80], v[101:102]
	v_mul_f64_e32 v[101:102], v[81:82], v[101:102]
	s_wait_loadcnt_dscnt 0x300
	v_mul_f64_e32 v[95:96], v[89:90], v[105:106]
	v_add_f64_e32 v[2:3], v[2:3], v[91:92]
	v_add_f64_e32 v[6:7], v[6:7], v[113:114]
	v_mul_f64_e32 v[91:92], v[87:88], v[105:106]
	v_fma_f64 v[93:94], v[81:82], v[99:100], v[93:94]
	v_fma_f64 v[97:98], v[79:80], v[99:100], -v[101:102]
	v_fma_f64 v[87:88], v[87:88], v[103:104], -v[95:96]
	v_add_f64_e32 v[83:84], v[2:3], v[83:84]
	v_add_f64_e32 v[6:7], v[6:7], v[85:86]
	ds_load_b128 v[79:82], v1 offset:1024
	ds_load_b128 v[1:4], v1 offset:1040
	v_fma_f64 v[89:90], v[89:90], v[103:104], v[91:92]
	s_wait_loadcnt_dscnt 0x201
	v_mul_f64_e32 v[85:86], v[79:80], v[109:110]
	v_mul_f64_e32 v[99:100], v[81:82], v[109:110]
	v_add_f64_e32 v[83:84], v[83:84], v[97:98]
	v_add_f64_e32 v[6:7], v[6:7], v[93:94]
	s_wait_loadcnt_dscnt 0x0
	v_mul_f64_e32 v[91:92], v[1:2], v[10:11]
	v_mul_f64_e32 v[10:11], v[3:4], v[10:11]
	v_fma_f64 v[81:82], v[81:82], v[107:108], v[85:86]
	v_fma_f64 v[79:80], v[79:80], v[107:108], -v[99:100]
	v_add_f64_e32 v[83:84], v[83:84], v[87:88]
	v_add_f64_e32 v[6:7], v[6:7], v[89:90]
	v_fma_f64 v[3:4], v[3:4], v[8:9], v[91:92]
	v_fma_f64 v[1:2], v[1:2], v[8:9], -v[10:11]
	s_delay_alu instid0(VALU_DEP_4) | instskip(NEXT) | instid1(VALU_DEP_4)
	v_add_f64_e32 v[8:9], v[83:84], v[79:80]
	v_add_f64_e32 v[6:7], v[6:7], v[81:82]
	s_delay_alu instid0(VALU_DEP_2) | instskip(NEXT) | instid1(VALU_DEP_2)
	v_add_f64_e32 v[1:2], v[8:9], v[1:2]
	v_add_f64_e32 v[3:4], v[6:7], v[3:4]
	s_delay_alu instid0(VALU_DEP_2) | instskip(NEXT) | instid1(VALU_DEP_2)
	v_add_f64_e64 v[1:2], v[119:120], -v[1:2]
	v_add_f64_e64 v[3:4], v[121:122], -v[3:4]
	scratch_store_b128 off, v[1:4], off offset:368
	v_cmpx_lt_u32_e32 21, v0
	s_cbranch_execz .LBB96_169
; %bb.168:
	scratch_load_b128 v[1:4], off, s34
	v_mov_b32_e32 v6, 0
	s_delay_alu instid0(VALU_DEP_1)
	v_dual_mov_b32 v7, v6 :: v_dual_mov_b32 v8, v6
	v_mov_b32_e32 v9, v6
	scratch_store_b128 off, v[6:9], off offset:352
	s_wait_loadcnt 0x0
	ds_store_b128 v5, v[1:4]
.LBB96_169:
	s_wait_alu 0xfffe
	s_or_b32 exec_lo, exec_lo, s0
	s_wait_storecnt_dscnt 0x0
	s_barrier_signal -1
	s_barrier_wait -1
	global_inv scope:SCOPE_SE
	s_clause 0x7
	scratch_load_b128 v[6:9], off, off offset:368
	scratch_load_b128 v[79:82], off, off offset:384
	;; [unrolled: 1-line block ×8, first 2 shown]
	v_mov_b32_e32 v1, 0
	s_mov_b32 s0, exec_lo
	ds_load_b128 v[107:110], v1 offset:880
	s_clause 0x1
	scratch_load_b128 v[111:114], off, off offset:496
	scratch_load_b128 v[115:118], off, off offset:352
	ds_load_b128 v[119:122], v1 offset:896
	ds_load_b128 v[127:130], v1 offset:928
	s_wait_loadcnt_dscnt 0x902
	v_mul_f64_e32 v[2:3], v[109:110], v[8:9]
	v_mul_f64_e32 v[123:124], v[107:108], v[8:9]
	scratch_load_b128 v[8:11], off, off offset:512
	v_fma_f64 v[2:3], v[107:108], v[6:7], -v[2:3]
	v_fma_f64 v[6:7], v[109:110], v[6:7], v[123:124]
	ds_load_b128 v[107:110], v1 offset:912
	s_wait_loadcnt_dscnt 0x902
	v_mul_f64_e32 v[131:132], v[119:120], v[81:82]
	v_mul_f64_e32 v[81:82], v[121:122], v[81:82]
	scratch_load_b128 v[123:126], off, off offset:528
	s_wait_loadcnt_dscnt 0x900
	v_mul_f64_e32 v[133:134], v[107:108], v[85:86]
	v_mul_f64_e32 v[85:86], v[109:110], v[85:86]
	v_add_f64_e32 v[2:3], 0, v[2:3]
	v_add_f64_e32 v[6:7], 0, v[6:7]
	v_fma_f64 v[121:122], v[121:122], v[79:80], v[131:132]
	v_fma_f64 v[79:80], v[119:120], v[79:80], -v[81:82]
	s_wait_loadcnt 0x8
	v_mul_f64_e32 v[119:120], v[127:128], v[89:90]
	v_mul_f64_e32 v[89:90], v[129:130], v[89:90]
	v_fma_f64 v[109:110], v[109:110], v[83:84], v[133:134]
	v_fma_f64 v[107:108], v[107:108], v[83:84], -v[85:86]
	v_add_f64_e32 v[6:7], v[6:7], v[121:122]
	v_add_f64_e32 v[2:3], v[2:3], v[79:80]
	ds_load_b128 v[79:82], v1 offset:944
	ds_load_b128 v[83:86], v1 offset:960
	v_fma_f64 v[119:120], v[129:130], v[87:88], v[119:120]
	v_fma_f64 v[87:88], v[127:128], v[87:88], -v[89:90]
	s_wait_loadcnt_dscnt 0x701
	v_mul_f64_e32 v[121:122], v[79:80], v[93:94]
	v_mul_f64_e32 v[93:94], v[81:82], v[93:94]
	v_add_f64_e32 v[6:7], v[6:7], v[109:110]
	v_add_f64_e32 v[2:3], v[2:3], v[107:108]
	s_wait_loadcnt_dscnt 0x600
	v_mul_f64_e32 v[107:108], v[83:84], v[97:98]
	v_mul_f64_e32 v[97:98], v[85:86], v[97:98]
	v_fma_f64 v[109:110], v[81:82], v[91:92], v[121:122]
	v_fma_f64 v[91:92], v[79:80], v[91:92], -v[93:94]
	v_add_f64_e32 v[6:7], v[6:7], v[119:120]
	v_add_f64_e32 v[2:3], v[2:3], v[87:88]
	ds_load_b128 v[79:82], v1 offset:976
	ds_load_b128 v[87:90], v1 offset:992
	v_fma_f64 v[85:86], v[85:86], v[95:96], v[107:108]
	v_fma_f64 v[83:84], v[83:84], v[95:96], -v[97:98]
	s_wait_loadcnt_dscnt 0x501
	v_mul_f64_e32 v[93:94], v[79:80], v[101:102]
	v_mul_f64_e32 v[101:102], v[81:82], v[101:102]
	s_wait_loadcnt_dscnt 0x400
	v_mul_f64_e32 v[95:96], v[89:90], v[105:106]
	v_add_f64_e32 v[6:7], v[6:7], v[109:110]
	v_add_f64_e32 v[2:3], v[2:3], v[91:92]
	v_mul_f64_e32 v[91:92], v[87:88], v[105:106]
	v_fma_f64 v[93:94], v[81:82], v[99:100], v[93:94]
	v_fma_f64 v[97:98], v[79:80], v[99:100], -v[101:102]
	v_fma_f64 v[87:88], v[87:88], v[103:104], -v[95:96]
	v_add_f64_e32 v[6:7], v[6:7], v[85:86]
	v_add_f64_e32 v[2:3], v[2:3], v[83:84]
	ds_load_b128 v[79:82], v1 offset:1008
	ds_load_b128 v[83:86], v1 offset:1024
	v_fma_f64 v[89:90], v[89:90], v[103:104], v[91:92]
	s_wait_loadcnt_dscnt 0x301
	v_mul_f64_e32 v[99:100], v[79:80], v[113:114]
	v_mul_f64_e32 v[101:102], v[81:82], v[113:114]
	v_add_f64_e32 v[6:7], v[6:7], v[93:94]
	v_add_f64_e32 v[2:3], v[2:3], v[97:98]
	s_wait_loadcnt_dscnt 0x100
	v_mul_f64_e32 v[91:92], v[83:84], v[10:11]
	v_mul_f64_e32 v[10:11], v[85:86], v[10:11]
	v_fma_f64 v[93:94], v[81:82], v[111:112], v[99:100]
	v_fma_f64 v[95:96], v[79:80], v[111:112], -v[101:102]
	ds_load_b128 v[79:82], v1 offset:1040
	v_add_f64_e32 v[6:7], v[6:7], v[89:90]
	v_add_f64_e32 v[2:3], v[2:3], v[87:88]
	v_fma_f64 v[85:86], v[85:86], v[8:9], v[91:92]
	v_fma_f64 v[8:9], v[83:84], v[8:9], -v[10:11]
	s_wait_loadcnt_dscnt 0x0
	v_mul_f64_e32 v[87:88], v[79:80], v[125:126]
	v_mul_f64_e32 v[89:90], v[81:82], v[125:126]
	v_add_f64_e32 v[6:7], v[6:7], v[93:94]
	v_add_f64_e32 v[2:3], v[2:3], v[95:96]
	s_delay_alu instid0(VALU_DEP_4) | instskip(NEXT) | instid1(VALU_DEP_4)
	v_fma_f64 v[10:11], v[81:82], v[123:124], v[87:88]
	v_fma_f64 v[79:80], v[79:80], v[123:124], -v[89:90]
	s_delay_alu instid0(VALU_DEP_4) | instskip(NEXT) | instid1(VALU_DEP_4)
	v_add_f64_e32 v[6:7], v[6:7], v[85:86]
	v_add_f64_e32 v[2:3], v[2:3], v[8:9]
	s_delay_alu instid0(VALU_DEP_2) | instskip(NEXT) | instid1(VALU_DEP_2)
	v_add_f64_e32 v[8:9], v[6:7], v[10:11]
	v_add_f64_e32 v[2:3], v[2:3], v[79:80]
	s_delay_alu instid0(VALU_DEP_2) | instskip(NEXT) | instid1(VALU_DEP_2)
	v_add_f64_e64 v[8:9], v[117:118], -v[8:9]
	v_add_f64_e64 v[6:7], v[115:116], -v[2:3]
	scratch_store_b128 off, v[6:9], off offset:352
	v_cmpx_lt_u32_e32 20, v0
	s_cbranch_execz .LBB96_171
; %bb.170:
	scratch_load_b128 v[6:9], off, s17
	v_dual_mov_b32 v2, v1 :: v_dual_mov_b32 v3, v1
	v_mov_b32_e32 v4, v1
	scratch_store_b128 off, v[1:4], off offset:336
	s_wait_loadcnt 0x0
	ds_store_b128 v5, v[6:9]
.LBB96_171:
	s_wait_alu 0xfffe
	s_or_b32 exec_lo, exec_lo, s0
	s_wait_storecnt_dscnt 0x0
	s_barrier_signal -1
	s_barrier_wait -1
	global_inv scope:SCOPE_SE
	s_clause 0x8
	scratch_load_b128 v[6:9], off, off offset:352
	scratch_load_b128 v[79:82], off, off offset:368
	;; [unrolled: 1-line block ×9, first 2 shown]
	ds_load_b128 v[111:114], v1 offset:864
	ds_load_b128 v[115:118], v1 offset:880
	scratch_load_b128 v[119:122], off, off offset:336
	s_mov_b32 s0, exec_lo
	ds_load_b128 v[127:130], v1 offset:912
	s_wait_loadcnt_dscnt 0x902
	v_mul_f64_e32 v[2:3], v[113:114], v[8:9]
	v_mul_f64_e32 v[123:124], v[111:112], v[8:9]
	scratch_load_b128 v[8:11], off, off offset:496
	s_wait_loadcnt_dscnt 0x901
	v_mul_f64_e32 v[131:132], v[115:116], v[81:82]
	v_mul_f64_e32 v[81:82], v[117:118], v[81:82]
	v_fma_f64 v[2:3], v[111:112], v[6:7], -v[2:3]
	v_fma_f64 v[6:7], v[113:114], v[6:7], v[123:124]
	ds_load_b128 v[111:114], v1 offset:896
	scratch_load_b128 v[123:126], off, off offset:512
	v_fma_f64 v[117:118], v[117:118], v[79:80], v[131:132]
	v_fma_f64 v[115:116], v[115:116], v[79:80], -v[81:82]
	scratch_load_b128 v[79:82], off, off offset:528
	s_wait_loadcnt_dscnt 0x901
	v_mul_f64_e32 v[131:132], v[127:128], v[89:90]
	v_mul_f64_e32 v[89:90], v[129:130], v[89:90]
	s_wait_dscnt 0x0
	v_mul_f64_e32 v[133:134], v[111:112], v[85:86]
	v_mul_f64_e32 v[85:86], v[113:114], v[85:86]
	v_add_f64_e32 v[2:3], 0, v[2:3]
	v_add_f64_e32 v[6:7], 0, v[6:7]
	s_delay_alu instid0(VALU_DEP_4) | instskip(NEXT) | instid1(VALU_DEP_4)
	v_fma_f64 v[133:134], v[113:114], v[83:84], v[133:134]
	v_fma_f64 v[135:136], v[111:112], v[83:84], -v[85:86]
	ds_load_b128 v[83:86], v1 offset:928
	ds_load_b128 v[111:114], v1 offset:944
	v_add_f64_e32 v[2:3], v[2:3], v[115:116]
	v_add_f64_e32 v[6:7], v[6:7], v[117:118]
	v_fma_f64 v[117:118], v[129:130], v[87:88], v[131:132]
	v_fma_f64 v[87:88], v[127:128], v[87:88], -v[89:90]
	s_wait_loadcnt_dscnt 0x801
	v_mul_f64_e32 v[115:116], v[83:84], v[93:94]
	v_mul_f64_e32 v[93:94], v[85:86], v[93:94]
	s_wait_loadcnt_dscnt 0x700
	v_mul_f64_e32 v[127:128], v[111:112], v[97:98]
	v_mul_f64_e32 v[97:98], v[113:114], v[97:98]
	v_add_f64_e32 v[2:3], v[2:3], v[135:136]
	v_add_f64_e32 v[6:7], v[6:7], v[133:134]
	v_fma_f64 v[115:116], v[85:86], v[91:92], v[115:116]
	v_fma_f64 v[91:92], v[83:84], v[91:92], -v[93:94]
	v_fma_f64 v[113:114], v[113:114], v[95:96], v[127:128]
	v_fma_f64 v[95:96], v[111:112], v[95:96], -v[97:98]
	v_add_f64_e32 v[2:3], v[2:3], v[87:88]
	v_add_f64_e32 v[6:7], v[6:7], v[117:118]
	ds_load_b128 v[83:86], v1 offset:960
	ds_load_b128 v[87:90], v1 offset:976
	s_wait_loadcnt_dscnt 0x601
	v_mul_f64_e32 v[93:94], v[83:84], v[101:102]
	v_mul_f64_e32 v[101:102], v[85:86], v[101:102]
	s_wait_loadcnt_dscnt 0x500
	v_mul_f64_e32 v[97:98], v[87:88], v[105:106]
	v_mul_f64_e32 v[105:106], v[89:90], v[105:106]
	v_add_f64_e32 v[2:3], v[2:3], v[91:92]
	v_add_f64_e32 v[6:7], v[6:7], v[115:116]
	v_fma_f64 v[111:112], v[85:86], v[99:100], v[93:94]
	v_fma_f64 v[99:100], v[83:84], v[99:100], -v[101:102]
	ds_load_b128 v[83:86], v1 offset:992
	ds_load_b128 v[91:94], v1 offset:1008
	v_fma_f64 v[89:90], v[89:90], v[103:104], v[97:98]
	v_fma_f64 v[87:88], v[87:88], v[103:104], -v[105:106]
	v_add_f64_e32 v[2:3], v[2:3], v[95:96]
	v_add_f64_e32 v[6:7], v[6:7], v[113:114]
	s_wait_loadcnt_dscnt 0x401
	v_mul_f64_e32 v[95:96], v[83:84], v[109:110]
	v_mul_f64_e32 v[101:102], v[85:86], v[109:110]
	s_delay_alu instid0(VALU_DEP_4) | instskip(NEXT) | instid1(VALU_DEP_4)
	v_add_f64_e32 v[2:3], v[2:3], v[99:100]
	v_add_f64_e32 v[6:7], v[6:7], v[111:112]
	s_delay_alu instid0(VALU_DEP_4) | instskip(NEXT) | instid1(VALU_DEP_4)
	v_fma_f64 v[95:96], v[85:86], v[107:108], v[95:96]
	v_fma_f64 v[99:100], v[83:84], v[107:108], -v[101:102]
	s_wait_loadcnt_dscnt 0x200
	v_mul_f64_e32 v[97:98], v[91:92], v[10:11]
	v_mul_f64_e32 v[10:11], v[93:94], v[10:11]
	v_add_f64_e32 v[87:88], v[2:3], v[87:88]
	v_add_f64_e32 v[6:7], v[6:7], v[89:90]
	ds_load_b128 v[83:86], v1 offset:1024
	ds_load_b128 v[1:4], v1 offset:1040
	v_fma_f64 v[93:94], v[93:94], v[8:9], v[97:98]
	v_fma_f64 v[8:9], v[91:92], v[8:9], -v[10:11]
	s_wait_loadcnt_dscnt 0x101
	v_mul_f64_e32 v[89:90], v[83:84], v[125:126]
	v_mul_f64_e32 v[101:102], v[85:86], v[125:126]
	v_add_f64_e32 v[10:11], v[87:88], v[99:100]
	v_add_f64_e32 v[6:7], v[6:7], v[95:96]
	s_wait_loadcnt_dscnt 0x0
	v_mul_f64_e32 v[87:88], v[1:2], v[81:82]
	v_mul_f64_e32 v[81:82], v[3:4], v[81:82]
	v_fma_f64 v[85:86], v[85:86], v[123:124], v[89:90]
	v_fma_f64 v[83:84], v[83:84], v[123:124], -v[101:102]
	v_add_f64_e32 v[8:9], v[10:11], v[8:9]
	v_add_f64_e32 v[6:7], v[6:7], v[93:94]
	v_fma_f64 v[3:4], v[3:4], v[79:80], v[87:88]
	v_fma_f64 v[1:2], v[1:2], v[79:80], -v[81:82]
	s_delay_alu instid0(VALU_DEP_4) | instskip(NEXT) | instid1(VALU_DEP_4)
	v_add_f64_e32 v[8:9], v[8:9], v[83:84]
	v_add_f64_e32 v[6:7], v[6:7], v[85:86]
	s_delay_alu instid0(VALU_DEP_2) | instskip(NEXT) | instid1(VALU_DEP_2)
	v_add_f64_e32 v[1:2], v[8:9], v[1:2]
	v_add_f64_e32 v[3:4], v[6:7], v[3:4]
	s_delay_alu instid0(VALU_DEP_2) | instskip(NEXT) | instid1(VALU_DEP_2)
	v_add_f64_e64 v[1:2], v[119:120], -v[1:2]
	v_add_f64_e64 v[3:4], v[121:122], -v[3:4]
	scratch_store_b128 off, v[1:4], off offset:336
	v_cmpx_lt_u32_e32 19, v0
	s_cbranch_execz .LBB96_173
; %bb.172:
	scratch_load_b128 v[1:4], off, s33
	v_mov_b32_e32 v6, 0
	s_delay_alu instid0(VALU_DEP_1)
	v_dual_mov_b32 v7, v6 :: v_dual_mov_b32 v8, v6
	v_mov_b32_e32 v9, v6
	scratch_store_b128 off, v[6:9], off offset:320
	s_wait_loadcnt 0x0
	ds_store_b128 v5, v[1:4]
.LBB96_173:
	s_wait_alu 0xfffe
	s_or_b32 exec_lo, exec_lo, s0
	s_wait_storecnt_dscnt 0x0
	s_barrier_signal -1
	s_barrier_wait -1
	global_inv scope:SCOPE_SE
	s_clause 0x7
	scratch_load_b128 v[6:9], off, off offset:336
	scratch_load_b128 v[79:82], off, off offset:352
	;; [unrolled: 1-line block ×8, first 2 shown]
	v_mov_b32_e32 v1, 0
	s_mov_b32 s0, exec_lo
	ds_load_b128 v[107:110], v1 offset:848
	s_clause 0x1
	scratch_load_b128 v[111:114], off, off offset:464
	scratch_load_b128 v[115:118], off, off offset:320
	ds_load_b128 v[119:122], v1 offset:864
	ds_load_b128 v[127:130], v1 offset:896
	s_wait_loadcnt_dscnt 0x902
	v_mul_f64_e32 v[2:3], v[109:110], v[8:9]
	v_mul_f64_e32 v[123:124], v[107:108], v[8:9]
	scratch_load_b128 v[8:11], off, off offset:480
	v_fma_f64 v[2:3], v[107:108], v[6:7], -v[2:3]
	v_fma_f64 v[6:7], v[109:110], v[6:7], v[123:124]
	ds_load_b128 v[107:110], v1 offset:880
	s_wait_loadcnt_dscnt 0x902
	v_mul_f64_e32 v[131:132], v[119:120], v[81:82]
	v_mul_f64_e32 v[81:82], v[121:122], v[81:82]
	scratch_load_b128 v[123:126], off, off offset:496
	s_wait_loadcnt_dscnt 0x900
	v_mul_f64_e32 v[133:134], v[107:108], v[85:86]
	v_mul_f64_e32 v[85:86], v[109:110], v[85:86]
	v_add_f64_e32 v[2:3], 0, v[2:3]
	v_add_f64_e32 v[6:7], 0, v[6:7]
	v_fma_f64 v[121:122], v[121:122], v[79:80], v[131:132]
	v_fma_f64 v[119:120], v[119:120], v[79:80], -v[81:82]
	scratch_load_b128 v[79:82], off, off offset:512
	v_fma_f64 v[133:134], v[109:110], v[83:84], v[133:134]
	v_fma_f64 v[135:136], v[107:108], v[83:84], -v[85:86]
	ds_load_b128 v[83:86], v1 offset:912
	s_wait_loadcnt 0x9
	v_mul_f64_e32 v[131:132], v[127:128], v[89:90]
	v_mul_f64_e32 v[89:90], v[129:130], v[89:90]
	scratch_load_b128 v[107:110], off, off offset:528
	v_add_f64_e32 v[6:7], v[6:7], v[121:122]
	v_add_f64_e32 v[2:3], v[2:3], v[119:120]
	ds_load_b128 v[119:122], v1 offset:928
	s_wait_loadcnt_dscnt 0x901
	v_mul_f64_e32 v[137:138], v[83:84], v[93:94]
	v_mul_f64_e32 v[93:94], v[85:86], v[93:94]
	v_fma_f64 v[129:130], v[129:130], v[87:88], v[131:132]
	v_fma_f64 v[87:88], v[127:128], v[87:88], -v[89:90]
	s_wait_loadcnt_dscnt 0x800
	v_mul_f64_e32 v[127:128], v[119:120], v[97:98]
	v_mul_f64_e32 v[97:98], v[121:122], v[97:98]
	v_add_f64_e32 v[6:7], v[6:7], v[133:134]
	v_add_f64_e32 v[2:3], v[2:3], v[135:136]
	v_fma_f64 v[131:132], v[85:86], v[91:92], v[137:138]
	v_fma_f64 v[91:92], v[83:84], v[91:92], -v[93:94]
	v_fma_f64 v[121:122], v[121:122], v[95:96], v[127:128]
	v_fma_f64 v[95:96], v[119:120], v[95:96], -v[97:98]
	v_add_f64_e32 v[6:7], v[6:7], v[129:130]
	v_add_f64_e32 v[2:3], v[2:3], v[87:88]
	ds_load_b128 v[83:86], v1 offset:944
	ds_load_b128 v[87:90], v1 offset:960
	s_wait_loadcnt_dscnt 0x701
	v_mul_f64_e32 v[93:94], v[83:84], v[101:102]
	v_mul_f64_e32 v[101:102], v[85:86], v[101:102]
	s_wait_loadcnt_dscnt 0x600
	v_mul_f64_e32 v[97:98], v[87:88], v[105:106]
	v_mul_f64_e32 v[105:106], v[89:90], v[105:106]
	v_add_f64_e32 v[6:7], v[6:7], v[131:132]
	v_add_f64_e32 v[2:3], v[2:3], v[91:92]
	v_fma_f64 v[119:120], v[85:86], v[99:100], v[93:94]
	v_fma_f64 v[99:100], v[83:84], v[99:100], -v[101:102]
	ds_load_b128 v[83:86], v1 offset:976
	ds_load_b128 v[91:94], v1 offset:992
	v_fma_f64 v[89:90], v[89:90], v[103:104], v[97:98]
	v_fma_f64 v[87:88], v[87:88], v[103:104], -v[105:106]
	v_add_f64_e32 v[6:7], v[6:7], v[121:122]
	v_add_f64_e32 v[2:3], v[2:3], v[95:96]
	s_wait_loadcnt_dscnt 0x501
	v_mul_f64_e32 v[95:96], v[83:84], v[113:114]
	v_mul_f64_e32 v[101:102], v[85:86], v[113:114]
	s_delay_alu instid0(VALU_DEP_4) | instskip(NEXT) | instid1(VALU_DEP_4)
	v_add_f64_e32 v[6:7], v[6:7], v[119:120]
	v_add_f64_e32 v[2:3], v[2:3], v[99:100]
	s_delay_alu instid0(VALU_DEP_4) | instskip(NEXT) | instid1(VALU_DEP_4)
	v_fma_f64 v[95:96], v[85:86], v[111:112], v[95:96]
	v_fma_f64 v[99:100], v[83:84], v[111:112], -v[101:102]
	s_wait_loadcnt_dscnt 0x300
	v_mul_f64_e32 v[97:98], v[91:92], v[10:11]
	v_mul_f64_e32 v[10:11], v[93:94], v[10:11]
	v_add_f64_e32 v[6:7], v[6:7], v[89:90]
	v_add_f64_e32 v[2:3], v[2:3], v[87:88]
	ds_load_b128 v[83:86], v1 offset:1008
	ds_load_b128 v[87:90], v1 offset:1024
	v_fma_f64 v[93:94], v[93:94], v[8:9], v[97:98]
	v_fma_f64 v[8:9], v[91:92], v[8:9], -v[10:11]
	s_wait_loadcnt_dscnt 0x201
	v_mul_f64_e32 v[101:102], v[83:84], v[125:126]
	v_mul_f64_e32 v[103:104], v[85:86], v[125:126]
	v_add_f64_e32 v[6:7], v[6:7], v[95:96]
	v_add_f64_e32 v[2:3], v[2:3], v[99:100]
	s_wait_loadcnt_dscnt 0x100
	v_mul_f64_e32 v[10:11], v[87:88], v[81:82]
	v_mul_f64_e32 v[81:82], v[89:90], v[81:82]
	v_fma_f64 v[85:86], v[85:86], v[123:124], v[101:102]
	v_fma_f64 v[83:84], v[83:84], v[123:124], -v[103:104]
	v_add_f64_e32 v[91:92], v[6:7], v[93:94]
	v_add_f64_e32 v[2:3], v[2:3], v[8:9]
	ds_load_b128 v[6:9], v1 offset:1040
	v_fma_f64 v[10:11], v[89:90], v[79:80], v[10:11]
	v_fma_f64 v[79:80], v[87:88], v[79:80], -v[81:82]
	s_wait_loadcnt_dscnt 0x0
	v_mul_f64_e32 v[93:94], v[6:7], v[109:110]
	v_mul_f64_e32 v[95:96], v[8:9], v[109:110]
	v_add_f64_e32 v[81:82], v[91:92], v[85:86]
	v_add_f64_e32 v[2:3], v[2:3], v[83:84]
	s_delay_alu instid0(VALU_DEP_4) | instskip(NEXT) | instid1(VALU_DEP_4)
	v_fma_f64 v[8:9], v[8:9], v[107:108], v[93:94]
	v_fma_f64 v[6:7], v[6:7], v[107:108], -v[95:96]
	s_delay_alu instid0(VALU_DEP_4) | instskip(NEXT) | instid1(VALU_DEP_4)
	v_add_f64_e32 v[10:11], v[81:82], v[10:11]
	v_add_f64_e32 v[2:3], v[2:3], v[79:80]
	s_delay_alu instid0(VALU_DEP_2) | instskip(NEXT) | instid1(VALU_DEP_2)
	v_add_f64_e32 v[8:9], v[10:11], v[8:9]
	v_add_f64_e32 v[2:3], v[2:3], v[6:7]
	s_delay_alu instid0(VALU_DEP_2) | instskip(NEXT) | instid1(VALU_DEP_2)
	v_add_f64_e64 v[8:9], v[117:118], -v[8:9]
	v_add_f64_e64 v[6:7], v[115:116], -v[2:3]
	scratch_store_b128 off, v[6:9], off offset:320
	v_cmpx_lt_u32_e32 18, v0
	s_cbranch_execz .LBB96_175
; %bb.174:
	scratch_load_b128 v[6:9], off, s16
	v_dual_mov_b32 v2, v1 :: v_dual_mov_b32 v3, v1
	v_mov_b32_e32 v4, v1
	scratch_store_b128 off, v[1:4], off offset:304
	s_wait_loadcnt 0x0
	ds_store_b128 v5, v[6:9]
.LBB96_175:
	s_wait_alu 0xfffe
	s_or_b32 exec_lo, exec_lo, s0
	s_wait_storecnt_dscnt 0x0
	s_barrier_signal -1
	s_barrier_wait -1
	global_inv scope:SCOPE_SE
	s_clause 0x8
	scratch_load_b128 v[6:9], off, off offset:320
	scratch_load_b128 v[79:82], off, off offset:336
	;; [unrolled: 1-line block ×9, first 2 shown]
	ds_load_b128 v[111:114], v1 offset:832
	ds_load_b128 v[115:118], v1 offset:848
	scratch_load_b128 v[119:122], off, off offset:304
	s_mov_b32 s0, exec_lo
	ds_load_b128 v[127:130], v1 offset:880
	s_wait_loadcnt_dscnt 0x902
	v_mul_f64_e32 v[2:3], v[113:114], v[8:9]
	v_mul_f64_e32 v[123:124], v[111:112], v[8:9]
	scratch_load_b128 v[8:11], off, off offset:464
	s_wait_loadcnt_dscnt 0x901
	v_mul_f64_e32 v[131:132], v[115:116], v[81:82]
	v_mul_f64_e32 v[81:82], v[117:118], v[81:82]
	v_fma_f64 v[2:3], v[111:112], v[6:7], -v[2:3]
	v_fma_f64 v[6:7], v[113:114], v[6:7], v[123:124]
	ds_load_b128 v[111:114], v1 offset:864
	scratch_load_b128 v[123:126], off, off offset:480
	v_fma_f64 v[117:118], v[117:118], v[79:80], v[131:132]
	v_fma_f64 v[115:116], v[115:116], v[79:80], -v[81:82]
	scratch_load_b128 v[79:82], off, off offset:496
	s_wait_loadcnt_dscnt 0x901
	v_mul_f64_e32 v[131:132], v[127:128], v[89:90]
	v_mul_f64_e32 v[89:90], v[129:130], v[89:90]
	s_wait_dscnt 0x0
	v_mul_f64_e32 v[133:134], v[111:112], v[85:86]
	v_mul_f64_e32 v[85:86], v[113:114], v[85:86]
	v_add_f64_e32 v[2:3], 0, v[2:3]
	v_add_f64_e32 v[6:7], 0, v[6:7]
	v_fma_f64 v[129:130], v[129:130], v[87:88], v[131:132]
	v_fma_f64 v[127:128], v[127:128], v[87:88], -v[89:90]
	scratch_load_b128 v[87:90], off, off offset:528
	v_fma_f64 v[133:134], v[113:114], v[83:84], v[133:134]
	v_fma_f64 v[135:136], v[111:112], v[83:84], -v[85:86]
	ds_load_b128 v[83:86], v1 offset:896
	scratch_load_b128 v[111:114], off, off offset:512
	v_add_f64_e32 v[2:3], v[2:3], v[115:116]
	v_add_f64_e32 v[6:7], v[6:7], v[117:118]
	ds_load_b128 v[115:118], v1 offset:912
	s_wait_loadcnt_dscnt 0xa01
	v_mul_f64_e32 v[137:138], v[83:84], v[93:94]
	v_mul_f64_e32 v[93:94], v[85:86], v[93:94]
	s_wait_loadcnt_dscnt 0x900
	v_mul_f64_e32 v[131:132], v[115:116], v[97:98]
	v_mul_f64_e32 v[97:98], v[117:118], v[97:98]
	v_add_f64_e32 v[2:3], v[2:3], v[135:136]
	v_add_f64_e32 v[6:7], v[6:7], v[133:134]
	v_fma_f64 v[133:134], v[85:86], v[91:92], v[137:138]
	v_fma_f64 v[135:136], v[83:84], v[91:92], -v[93:94]
	ds_load_b128 v[83:86], v1 offset:928
	ds_load_b128 v[91:94], v1 offset:944
	v_fma_f64 v[117:118], v[117:118], v[95:96], v[131:132]
	v_fma_f64 v[95:96], v[115:116], v[95:96], -v[97:98]
	s_wait_loadcnt_dscnt 0x700
	v_mul_f64_e32 v[115:116], v[91:92], v[105:106]
	v_mul_f64_e32 v[105:106], v[93:94], v[105:106]
	v_add_f64_e32 v[2:3], v[2:3], v[127:128]
	v_add_f64_e32 v[6:7], v[6:7], v[129:130]
	v_mul_f64_e32 v[127:128], v[83:84], v[101:102]
	v_mul_f64_e32 v[101:102], v[85:86], v[101:102]
	v_fma_f64 v[93:94], v[93:94], v[103:104], v[115:116]
	v_fma_f64 v[91:92], v[91:92], v[103:104], -v[105:106]
	v_add_f64_e32 v[2:3], v[2:3], v[135:136]
	v_add_f64_e32 v[6:7], v[6:7], v[133:134]
	v_fma_f64 v[127:128], v[85:86], v[99:100], v[127:128]
	v_fma_f64 v[99:100], v[83:84], v[99:100], -v[101:102]
	s_delay_alu instid0(VALU_DEP_4) | instskip(NEXT) | instid1(VALU_DEP_4)
	v_add_f64_e32 v[2:3], v[2:3], v[95:96]
	v_add_f64_e32 v[6:7], v[6:7], v[117:118]
	ds_load_b128 v[83:86], v1 offset:960
	ds_load_b128 v[95:98], v1 offset:976
	s_wait_loadcnt_dscnt 0x601
	v_mul_f64_e32 v[101:102], v[83:84], v[109:110]
	v_mul_f64_e32 v[109:110], v[85:86], v[109:110]
	v_add_f64_e32 v[2:3], v[2:3], v[99:100]
	v_add_f64_e32 v[6:7], v[6:7], v[127:128]
	s_wait_loadcnt_dscnt 0x400
	v_mul_f64_e32 v[99:100], v[95:96], v[10:11]
	v_mul_f64_e32 v[10:11], v[97:98], v[10:11]
	v_fma_f64 v[101:102], v[85:86], v[107:108], v[101:102]
	v_fma_f64 v[103:104], v[83:84], v[107:108], -v[109:110]
	v_add_f64_e32 v[2:3], v[2:3], v[91:92]
	v_add_f64_e32 v[6:7], v[6:7], v[93:94]
	ds_load_b128 v[83:86], v1 offset:992
	ds_load_b128 v[91:94], v1 offset:1008
	v_fma_f64 v[97:98], v[97:98], v[8:9], v[99:100]
	v_fma_f64 v[8:9], v[95:96], v[8:9], -v[10:11]
	s_wait_loadcnt_dscnt 0x301
	v_mul_f64_e32 v[105:106], v[83:84], v[125:126]
	v_mul_f64_e32 v[107:108], v[85:86], v[125:126]
	s_wait_loadcnt_dscnt 0x200
	v_mul_f64_e32 v[10:11], v[91:92], v[81:82]
	v_mul_f64_e32 v[81:82], v[93:94], v[81:82]
	v_add_f64_e32 v[2:3], v[2:3], v[103:104]
	v_add_f64_e32 v[6:7], v[6:7], v[101:102]
	v_fma_f64 v[85:86], v[85:86], v[123:124], v[105:106]
	v_fma_f64 v[83:84], v[83:84], v[123:124], -v[107:108]
	v_fma_f64 v[10:11], v[93:94], v[79:80], v[10:11]
	v_fma_f64 v[79:80], v[91:92], v[79:80], -v[81:82]
	v_add_f64_e32 v[95:96], v[2:3], v[8:9]
	v_add_f64_e32 v[97:98], v[6:7], v[97:98]
	ds_load_b128 v[6:9], v1 offset:1024
	ds_load_b128 v[1:4], v1 offset:1040
	s_wait_loadcnt_dscnt 0x1
	v_mul_f64_e32 v[99:100], v[6:7], v[113:114]
	v_mul_f64_e32 v[101:102], v[8:9], v[113:114]
	v_add_f64_e32 v[81:82], v[95:96], v[83:84]
	v_add_f64_e32 v[83:84], v[97:98], v[85:86]
	s_wait_dscnt 0x0
	v_mul_f64_e32 v[85:86], v[1:2], v[89:90]
	v_mul_f64_e32 v[89:90], v[3:4], v[89:90]
	v_fma_f64 v[8:9], v[8:9], v[111:112], v[99:100]
	v_fma_f64 v[6:7], v[6:7], v[111:112], -v[101:102]
	v_add_f64_e32 v[79:80], v[81:82], v[79:80]
	v_add_f64_e32 v[10:11], v[83:84], v[10:11]
	v_fma_f64 v[3:4], v[3:4], v[87:88], v[85:86]
	v_fma_f64 v[1:2], v[1:2], v[87:88], -v[89:90]
	s_delay_alu instid0(VALU_DEP_4) | instskip(NEXT) | instid1(VALU_DEP_4)
	v_add_f64_e32 v[6:7], v[79:80], v[6:7]
	v_add_f64_e32 v[8:9], v[10:11], v[8:9]
	s_delay_alu instid0(VALU_DEP_2) | instskip(NEXT) | instid1(VALU_DEP_2)
	v_add_f64_e32 v[1:2], v[6:7], v[1:2]
	v_add_f64_e32 v[3:4], v[8:9], v[3:4]
	s_delay_alu instid0(VALU_DEP_2) | instskip(NEXT) | instid1(VALU_DEP_2)
	v_add_f64_e64 v[1:2], v[119:120], -v[1:2]
	v_add_f64_e64 v[3:4], v[121:122], -v[3:4]
	scratch_store_b128 off, v[1:4], off offset:304
	v_cmpx_lt_u32_e32 17, v0
	s_cbranch_execz .LBB96_177
; %bb.176:
	scratch_load_b128 v[1:4], off, s31
	v_mov_b32_e32 v6, 0
	s_delay_alu instid0(VALU_DEP_1)
	v_dual_mov_b32 v7, v6 :: v_dual_mov_b32 v8, v6
	v_mov_b32_e32 v9, v6
	scratch_store_b128 off, v[6:9], off offset:288
	s_wait_loadcnt 0x0
	ds_store_b128 v5, v[1:4]
.LBB96_177:
	s_wait_alu 0xfffe
	s_or_b32 exec_lo, exec_lo, s0
	s_wait_storecnt_dscnt 0x0
	s_barrier_signal -1
	s_barrier_wait -1
	global_inv scope:SCOPE_SE
	s_clause 0x7
	scratch_load_b128 v[6:9], off, off offset:304
	scratch_load_b128 v[79:82], off, off offset:320
	;; [unrolled: 1-line block ×8, first 2 shown]
	v_mov_b32_e32 v1, 0
	s_mov_b32 s0, exec_lo
	ds_load_b128 v[107:110], v1 offset:816
	s_clause 0x1
	scratch_load_b128 v[111:114], off, off offset:432
	scratch_load_b128 v[115:118], off, off offset:288
	ds_load_b128 v[119:122], v1 offset:832
	ds_load_b128 v[127:130], v1 offset:864
	s_wait_loadcnt_dscnt 0x902
	v_mul_f64_e32 v[2:3], v[109:110], v[8:9]
	v_mul_f64_e32 v[123:124], v[107:108], v[8:9]
	scratch_load_b128 v[8:11], off, off offset:448
	v_fma_f64 v[2:3], v[107:108], v[6:7], -v[2:3]
	v_fma_f64 v[6:7], v[109:110], v[6:7], v[123:124]
	ds_load_b128 v[107:110], v1 offset:848
	s_wait_loadcnt_dscnt 0x902
	v_mul_f64_e32 v[131:132], v[119:120], v[81:82]
	v_mul_f64_e32 v[81:82], v[121:122], v[81:82]
	scratch_load_b128 v[123:126], off, off offset:464
	s_wait_loadcnt_dscnt 0x900
	v_mul_f64_e32 v[133:134], v[107:108], v[85:86]
	v_mul_f64_e32 v[85:86], v[109:110], v[85:86]
	v_add_f64_e32 v[2:3], 0, v[2:3]
	v_add_f64_e32 v[6:7], 0, v[6:7]
	v_fma_f64 v[121:122], v[121:122], v[79:80], v[131:132]
	v_fma_f64 v[119:120], v[119:120], v[79:80], -v[81:82]
	scratch_load_b128 v[79:82], off, off offset:480
	v_fma_f64 v[133:134], v[109:110], v[83:84], v[133:134]
	v_fma_f64 v[135:136], v[107:108], v[83:84], -v[85:86]
	ds_load_b128 v[83:86], v1 offset:880
	s_wait_loadcnt 0x9
	v_mul_f64_e32 v[131:132], v[127:128], v[89:90]
	v_mul_f64_e32 v[89:90], v[129:130], v[89:90]
	scratch_load_b128 v[107:110], off, off offset:496
	v_add_f64_e32 v[6:7], v[6:7], v[121:122]
	v_add_f64_e32 v[2:3], v[2:3], v[119:120]
	ds_load_b128 v[119:122], v1 offset:896
	s_wait_loadcnt_dscnt 0x901
	v_mul_f64_e32 v[137:138], v[83:84], v[93:94]
	v_mul_f64_e32 v[93:94], v[85:86], v[93:94]
	v_fma_f64 v[129:130], v[129:130], v[87:88], v[131:132]
	v_fma_f64 v[127:128], v[127:128], v[87:88], -v[89:90]
	scratch_load_b128 v[87:90], off, off offset:512
	v_add_f64_e32 v[6:7], v[6:7], v[133:134]
	v_add_f64_e32 v[2:3], v[2:3], v[135:136]
	v_fma_f64 v[133:134], v[85:86], v[91:92], v[137:138]
	v_fma_f64 v[135:136], v[83:84], v[91:92], -v[93:94]
	ds_load_b128 v[83:86], v1 offset:912
	s_wait_loadcnt_dscnt 0x901
	v_mul_f64_e32 v[131:132], v[119:120], v[97:98]
	v_mul_f64_e32 v[97:98], v[121:122], v[97:98]
	scratch_load_b128 v[91:94], off, off offset:528
	s_wait_loadcnt_dscnt 0x900
	v_mul_f64_e32 v[137:138], v[83:84], v[101:102]
	v_mul_f64_e32 v[101:102], v[85:86], v[101:102]
	v_add_f64_e32 v[6:7], v[6:7], v[129:130]
	v_add_f64_e32 v[2:3], v[2:3], v[127:128]
	ds_load_b128 v[127:130], v1 offset:928
	v_fma_f64 v[121:122], v[121:122], v[95:96], v[131:132]
	v_fma_f64 v[95:96], v[119:120], v[95:96], -v[97:98]
	s_wait_loadcnt_dscnt 0x800
	v_mul_f64_e32 v[119:120], v[127:128], v[105:106]
	v_mul_f64_e32 v[105:106], v[129:130], v[105:106]
	v_fma_f64 v[131:132], v[85:86], v[99:100], v[137:138]
	v_fma_f64 v[99:100], v[83:84], v[99:100], -v[101:102]
	v_add_f64_e32 v[6:7], v[6:7], v[133:134]
	v_add_f64_e32 v[2:3], v[2:3], v[135:136]
	v_fma_f64 v[119:120], v[129:130], v[103:104], v[119:120]
	v_fma_f64 v[103:104], v[127:128], v[103:104], -v[105:106]
	s_delay_alu instid0(VALU_DEP_4) | instskip(NEXT) | instid1(VALU_DEP_4)
	v_add_f64_e32 v[6:7], v[6:7], v[121:122]
	v_add_f64_e32 v[2:3], v[2:3], v[95:96]
	ds_load_b128 v[83:86], v1 offset:944
	ds_load_b128 v[95:98], v1 offset:960
	s_wait_loadcnt_dscnt 0x701
	v_mul_f64_e32 v[101:102], v[83:84], v[113:114]
	v_mul_f64_e32 v[113:114], v[85:86], v[113:114]
	v_add_f64_e32 v[6:7], v[6:7], v[131:132]
	v_add_f64_e32 v[2:3], v[2:3], v[99:100]
	s_wait_loadcnt_dscnt 0x500
	v_mul_f64_e32 v[105:106], v[95:96], v[10:11]
	v_mul_f64_e32 v[10:11], v[97:98], v[10:11]
	v_fma_f64 v[121:122], v[85:86], v[111:112], v[101:102]
	v_fma_f64 v[111:112], v[83:84], v[111:112], -v[113:114]
	ds_load_b128 v[83:86], v1 offset:976
	ds_load_b128 v[99:102], v1 offset:992
	v_add_f64_e32 v[6:7], v[6:7], v[119:120]
	v_add_f64_e32 v[2:3], v[2:3], v[103:104]
	v_fma_f64 v[97:98], v[97:98], v[8:9], v[105:106]
	v_fma_f64 v[8:9], v[95:96], v[8:9], -v[10:11]
	s_wait_loadcnt_dscnt 0x401
	v_mul_f64_e32 v[103:104], v[83:84], v[125:126]
	v_mul_f64_e32 v[113:114], v[85:86], v[125:126]
	v_add_f64_e32 v[6:7], v[6:7], v[121:122]
	v_add_f64_e32 v[2:3], v[2:3], v[111:112]
	s_wait_loadcnt_dscnt 0x300
	v_mul_f64_e32 v[10:11], v[99:100], v[81:82]
	v_mul_f64_e32 v[95:96], v[101:102], v[81:82]
	v_fma_f64 v[85:86], v[85:86], v[123:124], v[103:104]
	v_fma_f64 v[103:104], v[83:84], v[123:124], -v[113:114]
	v_add_f64_e32 v[97:98], v[6:7], v[97:98]
	v_add_f64_e32 v[2:3], v[2:3], v[8:9]
	ds_load_b128 v[6:9], v1 offset:1008
	ds_load_b128 v[81:84], v1 offset:1024
	v_fma_f64 v[10:11], v[101:102], v[79:80], v[10:11]
	v_fma_f64 v[79:80], v[99:100], v[79:80], -v[95:96]
	s_wait_loadcnt_dscnt 0x201
	v_mul_f64_e32 v[105:106], v[6:7], v[109:110]
	v_mul_f64_e32 v[109:110], v[8:9], v[109:110]
	v_add_f64_e32 v[85:86], v[97:98], v[85:86]
	v_add_f64_e32 v[2:3], v[2:3], v[103:104]
	s_wait_loadcnt_dscnt 0x100
	v_mul_f64_e32 v[95:96], v[81:82], v[89:90]
	v_mul_f64_e32 v[89:90], v[83:84], v[89:90]
	v_fma_f64 v[97:98], v[8:9], v[107:108], v[105:106]
	v_fma_f64 v[99:100], v[6:7], v[107:108], -v[109:110]
	ds_load_b128 v[6:9], v1 offset:1040
	v_add_f64_e32 v[10:11], v[85:86], v[10:11]
	v_add_f64_e32 v[2:3], v[2:3], v[79:80]
	v_fma_f64 v[83:84], v[83:84], v[87:88], v[95:96]
	v_fma_f64 v[81:82], v[81:82], v[87:88], -v[89:90]
	s_wait_loadcnt_dscnt 0x0
	v_mul_f64_e32 v[79:80], v[6:7], v[93:94]
	v_mul_f64_e32 v[85:86], v[8:9], v[93:94]
	v_add_f64_e32 v[10:11], v[10:11], v[97:98]
	v_add_f64_e32 v[2:3], v[2:3], v[99:100]
	s_delay_alu instid0(VALU_DEP_4) | instskip(NEXT) | instid1(VALU_DEP_4)
	v_fma_f64 v[8:9], v[8:9], v[91:92], v[79:80]
	v_fma_f64 v[6:7], v[6:7], v[91:92], -v[85:86]
	s_delay_alu instid0(VALU_DEP_4) | instskip(NEXT) | instid1(VALU_DEP_4)
	v_add_f64_e32 v[10:11], v[10:11], v[83:84]
	v_add_f64_e32 v[2:3], v[2:3], v[81:82]
	s_delay_alu instid0(VALU_DEP_2) | instskip(NEXT) | instid1(VALU_DEP_2)
	v_add_f64_e32 v[8:9], v[10:11], v[8:9]
	v_add_f64_e32 v[2:3], v[2:3], v[6:7]
	s_delay_alu instid0(VALU_DEP_2) | instskip(NEXT) | instid1(VALU_DEP_2)
	v_add_f64_e64 v[8:9], v[117:118], -v[8:9]
	v_add_f64_e64 v[6:7], v[115:116], -v[2:3]
	scratch_store_b128 off, v[6:9], off offset:288
	v_cmpx_lt_u32_e32 16, v0
	s_cbranch_execz .LBB96_179
; %bb.178:
	scratch_load_b128 v[6:9], off, s15
	v_dual_mov_b32 v2, v1 :: v_dual_mov_b32 v3, v1
	v_mov_b32_e32 v4, v1
	scratch_store_b128 off, v[1:4], off offset:272
	s_wait_loadcnt 0x0
	ds_store_b128 v5, v[6:9]
.LBB96_179:
	s_wait_alu 0xfffe
	s_or_b32 exec_lo, exec_lo, s0
	s_wait_storecnt_dscnt 0x0
	s_barrier_signal -1
	s_barrier_wait -1
	global_inv scope:SCOPE_SE
	s_clause 0x8
	scratch_load_b128 v[6:9], off, off offset:288
	scratch_load_b128 v[79:82], off, off offset:304
	scratch_load_b128 v[83:86], off, off offset:320
	scratch_load_b128 v[87:90], off, off offset:336
	scratch_load_b128 v[91:94], off, off offset:352
	scratch_load_b128 v[95:98], off, off offset:368
	scratch_load_b128 v[99:102], off, off offset:384
	scratch_load_b128 v[103:106], off, off offset:400
	scratch_load_b128 v[107:110], off, off offset:416
	ds_load_b128 v[111:114], v1 offset:800
	ds_load_b128 v[115:118], v1 offset:816
	scratch_load_b128 v[119:122], off, off offset:272
	s_mov_b32 s0, exec_lo
	ds_load_b128 v[127:130], v1 offset:848
	s_wait_loadcnt_dscnt 0x902
	v_mul_f64_e32 v[2:3], v[113:114], v[8:9]
	v_mul_f64_e32 v[123:124], v[111:112], v[8:9]
	scratch_load_b128 v[8:11], off, off offset:432
	s_wait_loadcnt_dscnt 0x901
	v_mul_f64_e32 v[131:132], v[115:116], v[81:82]
	v_mul_f64_e32 v[81:82], v[117:118], v[81:82]
	v_fma_f64 v[2:3], v[111:112], v[6:7], -v[2:3]
	v_fma_f64 v[6:7], v[113:114], v[6:7], v[123:124]
	ds_load_b128 v[111:114], v1 offset:832
	scratch_load_b128 v[123:126], off, off offset:448
	v_fma_f64 v[117:118], v[117:118], v[79:80], v[131:132]
	v_fma_f64 v[115:116], v[115:116], v[79:80], -v[81:82]
	scratch_load_b128 v[79:82], off, off offset:464
	s_wait_loadcnt_dscnt 0x901
	v_mul_f64_e32 v[131:132], v[127:128], v[89:90]
	v_mul_f64_e32 v[89:90], v[129:130], v[89:90]
	s_wait_dscnt 0x0
	v_mul_f64_e32 v[133:134], v[111:112], v[85:86]
	v_mul_f64_e32 v[85:86], v[113:114], v[85:86]
	v_add_f64_e32 v[2:3], 0, v[2:3]
	v_add_f64_e32 v[6:7], 0, v[6:7]
	v_fma_f64 v[129:130], v[129:130], v[87:88], v[131:132]
	v_fma_f64 v[127:128], v[127:128], v[87:88], -v[89:90]
	scratch_load_b128 v[87:90], off, off offset:496
	v_fma_f64 v[133:134], v[113:114], v[83:84], v[133:134]
	v_fma_f64 v[135:136], v[111:112], v[83:84], -v[85:86]
	ds_load_b128 v[83:86], v1 offset:864
	scratch_load_b128 v[111:114], off, off offset:480
	v_add_f64_e32 v[2:3], v[2:3], v[115:116]
	v_add_f64_e32 v[6:7], v[6:7], v[117:118]
	ds_load_b128 v[115:118], v1 offset:880
	s_wait_loadcnt_dscnt 0xa01
	v_mul_f64_e32 v[137:138], v[83:84], v[93:94]
	v_mul_f64_e32 v[93:94], v[85:86], v[93:94]
	s_wait_loadcnt_dscnt 0x900
	v_mul_f64_e32 v[131:132], v[115:116], v[97:98]
	v_mul_f64_e32 v[97:98], v[117:118], v[97:98]
	v_add_f64_e32 v[2:3], v[2:3], v[135:136]
	v_add_f64_e32 v[6:7], v[6:7], v[133:134]
	v_fma_f64 v[133:134], v[85:86], v[91:92], v[137:138]
	v_fma_f64 v[135:136], v[83:84], v[91:92], -v[93:94]
	ds_load_b128 v[83:86], v1 offset:896
	scratch_load_b128 v[91:94], off, off offset:512
	v_fma_f64 v[117:118], v[117:118], v[95:96], v[131:132]
	v_fma_f64 v[115:116], v[115:116], v[95:96], -v[97:98]
	scratch_load_b128 v[95:98], off, off offset:528
	v_add_f64_e32 v[2:3], v[2:3], v[127:128]
	v_add_f64_e32 v[6:7], v[6:7], v[129:130]
	ds_load_b128 v[127:130], v1 offset:912
	s_wait_loadcnt_dscnt 0xa01
	v_mul_f64_e32 v[137:138], v[83:84], v[101:102]
	v_mul_f64_e32 v[101:102], v[85:86], v[101:102]
	s_wait_loadcnt_dscnt 0x900
	v_mul_f64_e32 v[131:132], v[127:128], v[105:106]
	v_mul_f64_e32 v[105:106], v[129:130], v[105:106]
	v_add_f64_e32 v[2:3], v[2:3], v[135:136]
	v_add_f64_e32 v[6:7], v[6:7], v[133:134]
	v_fma_f64 v[133:134], v[85:86], v[99:100], v[137:138]
	v_fma_f64 v[135:136], v[83:84], v[99:100], -v[101:102]
	ds_load_b128 v[83:86], v1 offset:928
	ds_load_b128 v[99:102], v1 offset:944
	v_add_f64_e32 v[2:3], v[2:3], v[115:116]
	v_add_f64_e32 v[6:7], v[6:7], v[117:118]
	s_wait_loadcnt_dscnt 0x801
	v_mul_f64_e32 v[115:116], v[83:84], v[109:110]
	v_mul_f64_e32 v[109:110], v[85:86], v[109:110]
	v_fma_f64 v[117:118], v[129:130], v[103:104], v[131:132]
	v_fma_f64 v[103:104], v[127:128], v[103:104], -v[105:106]
	v_add_f64_e32 v[2:3], v[2:3], v[135:136]
	v_add_f64_e32 v[6:7], v[6:7], v[133:134]
	v_fma_f64 v[115:116], v[85:86], v[107:108], v[115:116]
	v_fma_f64 v[107:108], v[83:84], v[107:108], -v[109:110]
	s_wait_loadcnt_dscnt 0x600
	v_mul_f64_e32 v[127:128], v[99:100], v[10:11]
	v_mul_f64_e32 v[10:11], v[101:102], v[10:11]
	v_add_f64_e32 v[2:3], v[2:3], v[103:104]
	v_add_f64_e32 v[6:7], v[6:7], v[117:118]
	ds_load_b128 v[83:86], v1 offset:960
	ds_load_b128 v[103:106], v1 offset:976
	v_fma_f64 v[101:102], v[101:102], v[8:9], v[127:128]
	v_fma_f64 v[8:9], v[99:100], v[8:9], -v[10:11]
	s_wait_loadcnt_dscnt 0x501
	v_mul_f64_e32 v[109:110], v[83:84], v[125:126]
	v_mul_f64_e32 v[117:118], v[85:86], v[125:126]
	s_wait_loadcnt_dscnt 0x400
	v_mul_f64_e32 v[10:11], v[103:104], v[81:82]
	v_mul_f64_e32 v[99:100], v[105:106], v[81:82]
	v_add_f64_e32 v[2:3], v[2:3], v[107:108]
	v_add_f64_e32 v[6:7], v[6:7], v[115:116]
	v_fma_f64 v[85:86], v[85:86], v[123:124], v[109:110]
	v_fma_f64 v[107:108], v[83:84], v[123:124], -v[117:118]
	v_fma_f64 v[10:11], v[105:106], v[79:80], v[10:11]
	v_fma_f64 v[79:80], v[103:104], v[79:80], -v[99:100]
	v_add_f64_e32 v[2:3], v[2:3], v[8:9]
	v_add_f64_e32 v[101:102], v[6:7], v[101:102]
	ds_load_b128 v[6:9], v1 offset:992
	ds_load_b128 v[81:84], v1 offset:1008
	s_wait_loadcnt_dscnt 0x201
	v_mul_f64_e32 v[109:110], v[6:7], v[113:114]
	v_mul_f64_e32 v[113:114], v[8:9], v[113:114]
	s_wait_dscnt 0x0
	v_mul_f64_e32 v[99:100], v[81:82], v[89:90]
	v_mul_f64_e32 v[89:90], v[83:84], v[89:90]
	v_add_f64_e32 v[2:3], v[2:3], v[107:108]
	v_add_f64_e32 v[85:86], v[101:102], v[85:86]
	v_fma_f64 v[101:102], v[8:9], v[111:112], v[109:110]
	v_fma_f64 v[103:104], v[6:7], v[111:112], -v[113:114]
	v_fma_f64 v[83:84], v[83:84], v[87:88], v[99:100]
	v_fma_f64 v[81:82], v[81:82], v[87:88], -v[89:90]
	v_add_f64_e32 v[79:80], v[2:3], v[79:80]
	v_add_f64_e32 v[10:11], v[85:86], v[10:11]
	ds_load_b128 v[6:9], v1 offset:1024
	ds_load_b128 v[1:4], v1 offset:1040
	s_wait_loadcnt_dscnt 0x101
	v_mul_f64_e32 v[85:86], v[6:7], v[93:94]
	v_mul_f64_e32 v[93:94], v[8:9], v[93:94]
	s_wait_loadcnt_dscnt 0x0
	v_mul_f64_e32 v[87:88], v[1:2], v[97:98]
	v_mul_f64_e32 v[89:90], v[3:4], v[97:98]
	v_add_f64_e32 v[79:80], v[79:80], v[103:104]
	v_add_f64_e32 v[10:11], v[10:11], v[101:102]
	v_fma_f64 v[8:9], v[8:9], v[91:92], v[85:86]
	v_fma_f64 v[6:7], v[6:7], v[91:92], -v[93:94]
	v_fma_f64 v[3:4], v[3:4], v[95:96], v[87:88]
	v_fma_f64 v[1:2], v[1:2], v[95:96], -v[89:90]
	v_add_f64_e32 v[79:80], v[79:80], v[81:82]
	v_add_f64_e32 v[10:11], v[10:11], v[83:84]
	s_delay_alu instid0(VALU_DEP_2) | instskip(NEXT) | instid1(VALU_DEP_2)
	v_add_f64_e32 v[6:7], v[79:80], v[6:7]
	v_add_f64_e32 v[8:9], v[10:11], v[8:9]
	s_delay_alu instid0(VALU_DEP_2) | instskip(NEXT) | instid1(VALU_DEP_2)
	;; [unrolled: 3-line block ×3, first 2 shown]
	v_add_f64_e64 v[1:2], v[119:120], -v[1:2]
	v_add_f64_e64 v[3:4], v[121:122], -v[3:4]
	scratch_store_b128 off, v[1:4], off offset:272
	v_cmpx_lt_u32_e32 15, v0
	s_cbranch_execz .LBB96_181
; %bb.180:
	scratch_load_b128 v[1:4], off, s30
	v_mov_b32_e32 v6, 0
	s_delay_alu instid0(VALU_DEP_1)
	v_dual_mov_b32 v7, v6 :: v_dual_mov_b32 v8, v6
	v_mov_b32_e32 v9, v6
	scratch_store_b128 off, v[6:9], off offset:256
	s_wait_loadcnt 0x0
	ds_store_b128 v5, v[1:4]
.LBB96_181:
	s_wait_alu 0xfffe
	s_or_b32 exec_lo, exec_lo, s0
	s_wait_storecnt_dscnt 0x0
	s_barrier_signal -1
	s_barrier_wait -1
	global_inv scope:SCOPE_SE
	s_clause 0x7
	scratch_load_b128 v[6:9], off, off offset:272
	scratch_load_b128 v[79:82], off, off offset:288
	;; [unrolled: 1-line block ×8, first 2 shown]
	v_mov_b32_e32 v1, 0
	s_mov_b32 s0, exec_lo
	ds_load_b128 v[107:110], v1 offset:784
	s_clause 0x1
	scratch_load_b128 v[111:114], off, off offset:400
	scratch_load_b128 v[115:118], off, off offset:256
	ds_load_b128 v[119:122], v1 offset:800
	ds_load_b128 v[127:130], v1 offset:832
	s_wait_loadcnt_dscnt 0x902
	v_mul_f64_e32 v[2:3], v[109:110], v[8:9]
	v_mul_f64_e32 v[123:124], v[107:108], v[8:9]
	scratch_load_b128 v[8:11], off, off offset:416
	v_fma_f64 v[2:3], v[107:108], v[6:7], -v[2:3]
	v_fma_f64 v[6:7], v[109:110], v[6:7], v[123:124]
	ds_load_b128 v[107:110], v1 offset:816
	s_wait_loadcnt_dscnt 0x902
	v_mul_f64_e32 v[131:132], v[119:120], v[81:82]
	v_mul_f64_e32 v[81:82], v[121:122], v[81:82]
	scratch_load_b128 v[123:126], off, off offset:432
	s_wait_loadcnt_dscnt 0x900
	v_mul_f64_e32 v[133:134], v[107:108], v[85:86]
	v_mul_f64_e32 v[85:86], v[109:110], v[85:86]
	v_add_f64_e32 v[2:3], 0, v[2:3]
	v_add_f64_e32 v[6:7], 0, v[6:7]
	v_fma_f64 v[121:122], v[121:122], v[79:80], v[131:132]
	v_fma_f64 v[119:120], v[119:120], v[79:80], -v[81:82]
	scratch_load_b128 v[79:82], off, off offset:448
	v_fma_f64 v[133:134], v[109:110], v[83:84], v[133:134]
	v_fma_f64 v[135:136], v[107:108], v[83:84], -v[85:86]
	ds_load_b128 v[83:86], v1 offset:848
	s_wait_loadcnt 0x9
	v_mul_f64_e32 v[131:132], v[127:128], v[89:90]
	v_mul_f64_e32 v[89:90], v[129:130], v[89:90]
	scratch_load_b128 v[107:110], off, off offset:464
	v_add_f64_e32 v[6:7], v[6:7], v[121:122]
	v_add_f64_e32 v[2:3], v[2:3], v[119:120]
	ds_load_b128 v[119:122], v1 offset:864
	s_wait_loadcnt_dscnt 0x901
	v_mul_f64_e32 v[137:138], v[83:84], v[93:94]
	v_mul_f64_e32 v[93:94], v[85:86], v[93:94]
	v_fma_f64 v[129:130], v[129:130], v[87:88], v[131:132]
	v_fma_f64 v[127:128], v[127:128], v[87:88], -v[89:90]
	scratch_load_b128 v[87:90], off, off offset:480
	v_add_f64_e32 v[6:7], v[6:7], v[133:134]
	v_add_f64_e32 v[2:3], v[2:3], v[135:136]
	v_fma_f64 v[133:134], v[85:86], v[91:92], v[137:138]
	v_fma_f64 v[135:136], v[83:84], v[91:92], -v[93:94]
	ds_load_b128 v[83:86], v1 offset:880
	s_wait_loadcnt_dscnt 0x901
	v_mul_f64_e32 v[131:132], v[119:120], v[97:98]
	v_mul_f64_e32 v[97:98], v[121:122], v[97:98]
	scratch_load_b128 v[91:94], off, off offset:496
	s_wait_loadcnt_dscnt 0x900
	v_mul_f64_e32 v[137:138], v[83:84], v[101:102]
	v_mul_f64_e32 v[101:102], v[85:86], v[101:102]
	v_add_f64_e32 v[6:7], v[6:7], v[129:130]
	v_add_f64_e32 v[2:3], v[2:3], v[127:128]
	ds_load_b128 v[127:130], v1 offset:896
	v_fma_f64 v[121:122], v[121:122], v[95:96], v[131:132]
	v_fma_f64 v[119:120], v[119:120], v[95:96], -v[97:98]
	scratch_load_b128 v[95:98], off, off offset:512
	v_add_f64_e32 v[6:7], v[6:7], v[133:134]
	v_add_f64_e32 v[2:3], v[2:3], v[135:136]
	v_fma_f64 v[133:134], v[85:86], v[99:100], v[137:138]
	v_fma_f64 v[135:136], v[83:84], v[99:100], -v[101:102]
	ds_load_b128 v[83:86], v1 offset:912
	s_wait_loadcnt_dscnt 0x901
	v_mul_f64_e32 v[131:132], v[127:128], v[105:106]
	v_mul_f64_e32 v[105:106], v[129:130], v[105:106]
	scratch_load_b128 v[99:102], off, off offset:528
	s_wait_loadcnt_dscnt 0x900
	v_mul_f64_e32 v[137:138], v[83:84], v[113:114]
	v_mul_f64_e32 v[113:114], v[85:86], v[113:114]
	v_add_f64_e32 v[6:7], v[6:7], v[121:122]
	v_add_f64_e32 v[2:3], v[2:3], v[119:120]
	ds_load_b128 v[119:122], v1 offset:928
	v_fma_f64 v[129:130], v[129:130], v[103:104], v[131:132]
	v_fma_f64 v[103:104], v[127:128], v[103:104], -v[105:106]
	v_fma_f64 v[131:132], v[85:86], v[111:112], v[137:138]
	v_fma_f64 v[111:112], v[83:84], v[111:112], -v[113:114]
	v_add_f64_e32 v[6:7], v[6:7], v[133:134]
	v_add_f64_e32 v[2:3], v[2:3], v[135:136]
	s_wait_loadcnt_dscnt 0x700
	v_mul_f64_e32 v[127:128], v[119:120], v[10:11]
	v_mul_f64_e32 v[10:11], v[121:122], v[10:11]
	s_delay_alu instid0(VALU_DEP_4) | instskip(NEXT) | instid1(VALU_DEP_4)
	v_add_f64_e32 v[6:7], v[6:7], v[129:130]
	v_add_f64_e32 v[2:3], v[2:3], v[103:104]
	ds_load_b128 v[83:86], v1 offset:944
	ds_load_b128 v[103:106], v1 offset:960
	v_fma_f64 v[121:122], v[121:122], v[8:9], v[127:128]
	v_fma_f64 v[8:9], v[119:120], v[8:9], -v[10:11]
	s_wait_loadcnt_dscnt 0x601
	v_mul_f64_e32 v[113:114], v[83:84], v[125:126]
	v_mul_f64_e32 v[125:126], v[85:86], v[125:126]
	v_add_f64_e32 v[6:7], v[6:7], v[131:132]
	v_add_f64_e32 v[2:3], v[2:3], v[111:112]
	s_wait_loadcnt_dscnt 0x500
	v_mul_f64_e32 v[10:11], v[103:104], v[81:82]
	v_mul_f64_e32 v[111:112], v[105:106], v[81:82]
	v_fma_f64 v[85:86], v[85:86], v[123:124], v[113:114]
	v_fma_f64 v[113:114], v[83:84], v[123:124], -v[125:126]
	v_add_f64_e32 v[119:120], v[6:7], v[121:122]
	v_add_f64_e32 v[2:3], v[2:3], v[8:9]
	ds_load_b128 v[6:9], v1 offset:976
	ds_load_b128 v[81:84], v1 offset:992
	v_fma_f64 v[10:11], v[105:106], v[79:80], v[10:11]
	v_fma_f64 v[79:80], v[103:104], v[79:80], -v[111:112]
	s_wait_loadcnt_dscnt 0x401
	v_mul_f64_e32 v[121:122], v[6:7], v[109:110]
	v_mul_f64_e32 v[109:110], v[8:9], v[109:110]
	v_add_f64_e32 v[85:86], v[119:120], v[85:86]
	v_add_f64_e32 v[2:3], v[2:3], v[113:114]
	s_wait_loadcnt_dscnt 0x300
	v_mul_f64_e32 v[111:112], v[81:82], v[89:90]
	v_mul_f64_e32 v[89:90], v[83:84], v[89:90]
	v_fma_f64 v[113:114], v[8:9], v[107:108], v[121:122]
	v_fma_f64 v[107:108], v[6:7], v[107:108], -v[109:110]
	ds_load_b128 v[6:9], v1 offset:1008
	ds_load_b128 v[103:106], v1 offset:1024
	v_add_f64_e32 v[10:11], v[85:86], v[10:11]
	v_add_f64_e32 v[2:3], v[2:3], v[79:80]
	v_fma_f64 v[83:84], v[83:84], v[87:88], v[111:112]
	v_fma_f64 v[81:82], v[81:82], v[87:88], -v[89:90]
	s_wait_loadcnt_dscnt 0x201
	v_mul_f64_e32 v[79:80], v[6:7], v[93:94]
	v_mul_f64_e32 v[85:86], v[8:9], v[93:94]
	s_wait_loadcnt_dscnt 0x100
	v_mul_f64_e32 v[87:88], v[103:104], v[97:98]
	v_mul_f64_e32 v[89:90], v[105:106], v[97:98]
	v_add_f64_e32 v[10:11], v[10:11], v[113:114]
	v_add_f64_e32 v[2:3], v[2:3], v[107:108]
	v_fma_f64 v[79:80], v[8:9], v[91:92], v[79:80]
	v_fma_f64 v[85:86], v[6:7], v[91:92], -v[85:86]
	ds_load_b128 v[6:9], v1 offset:1040
	v_fma_f64 v[87:88], v[105:106], v[95:96], v[87:88]
	v_fma_f64 v[89:90], v[103:104], v[95:96], -v[89:90]
	v_add_f64_e32 v[10:11], v[10:11], v[83:84]
	v_add_f64_e32 v[2:3], v[2:3], v[81:82]
	s_wait_loadcnt_dscnt 0x0
	v_mul_f64_e32 v[81:82], v[6:7], v[101:102]
	v_mul_f64_e32 v[83:84], v[8:9], v[101:102]
	s_delay_alu instid0(VALU_DEP_4) | instskip(NEXT) | instid1(VALU_DEP_4)
	v_add_f64_e32 v[10:11], v[10:11], v[79:80]
	v_add_f64_e32 v[2:3], v[2:3], v[85:86]
	s_delay_alu instid0(VALU_DEP_4) | instskip(NEXT) | instid1(VALU_DEP_4)
	v_fma_f64 v[8:9], v[8:9], v[99:100], v[81:82]
	v_fma_f64 v[6:7], v[6:7], v[99:100], -v[83:84]
	s_delay_alu instid0(VALU_DEP_4) | instskip(NEXT) | instid1(VALU_DEP_4)
	v_add_f64_e32 v[10:11], v[10:11], v[87:88]
	v_add_f64_e32 v[2:3], v[2:3], v[89:90]
	s_delay_alu instid0(VALU_DEP_2) | instskip(NEXT) | instid1(VALU_DEP_2)
	v_add_f64_e32 v[8:9], v[10:11], v[8:9]
	v_add_f64_e32 v[2:3], v[2:3], v[6:7]
	s_delay_alu instid0(VALU_DEP_2) | instskip(NEXT) | instid1(VALU_DEP_2)
	v_add_f64_e64 v[8:9], v[117:118], -v[8:9]
	v_add_f64_e64 v[6:7], v[115:116], -v[2:3]
	scratch_store_b128 off, v[6:9], off offset:256
	v_cmpx_lt_u32_e32 14, v0
	s_cbranch_execz .LBB96_183
; %bb.182:
	scratch_load_b128 v[6:9], off, s14
	v_dual_mov_b32 v2, v1 :: v_dual_mov_b32 v3, v1
	v_mov_b32_e32 v4, v1
	scratch_store_b128 off, v[1:4], off offset:240
	s_wait_loadcnt 0x0
	ds_store_b128 v5, v[6:9]
.LBB96_183:
	s_wait_alu 0xfffe
	s_or_b32 exec_lo, exec_lo, s0
	s_wait_storecnt_dscnt 0x0
	s_barrier_signal -1
	s_barrier_wait -1
	global_inv scope:SCOPE_SE
	s_clause 0x8
	scratch_load_b128 v[6:9], off, off offset:256
	scratch_load_b128 v[79:82], off, off offset:272
	;; [unrolled: 1-line block ×9, first 2 shown]
	ds_load_b128 v[111:114], v1 offset:768
	ds_load_b128 v[115:118], v1 offset:784
	scratch_load_b128 v[119:122], off, off offset:240
	s_mov_b32 s0, exec_lo
	ds_load_b128 v[127:130], v1 offset:816
	s_wait_loadcnt_dscnt 0x902
	v_mul_f64_e32 v[2:3], v[113:114], v[8:9]
	v_mul_f64_e32 v[123:124], v[111:112], v[8:9]
	scratch_load_b128 v[8:11], off, off offset:400
	s_wait_loadcnt_dscnt 0x901
	v_mul_f64_e32 v[131:132], v[115:116], v[81:82]
	v_mul_f64_e32 v[81:82], v[117:118], v[81:82]
	v_fma_f64 v[2:3], v[111:112], v[6:7], -v[2:3]
	v_fma_f64 v[6:7], v[113:114], v[6:7], v[123:124]
	ds_load_b128 v[111:114], v1 offset:800
	scratch_load_b128 v[123:126], off, off offset:416
	v_fma_f64 v[117:118], v[117:118], v[79:80], v[131:132]
	v_fma_f64 v[115:116], v[115:116], v[79:80], -v[81:82]
	scratch_load_b128 v[79:82], off, off offset:432
	s_wait_loadcnt_dscnt 0x901
	v_mul_f64_e32 v[131:132], v[127:128], v[89:90]
	v_mul_f64_e32 v[89:90], v[129:130], v[89:90]
	s_wait_dscnt 0x0
	v_mul_f64_e32 v[133:134], v[111:112], v[85:86]
	v_mul_f64_e32 v[85:86], v[113:114], v[85:86]
	v_add_f64_e32 v[2:3], 0, v[2:3]
	v_add_f64_e32 v[6:7], 0, v[6:7]
	v_fma_f64 v[129:130], v[129:130], v[87:88], v[131:132]
	v_fma_f64 v[127:128], v[127:128], v[87:88], -v[89:90]
	scratch_load_b128 v[87:90], off, off offset:464
	v_fma_f64 v[133:134], v[113:114], v[83:84], v[133:134]
	v_fma_f64 v[135:136], v[111:112], v[83:84], -v[85:86]
	ds_load_b128 v[83:86], v1 offset:832
	scratch_load_b128 v[111:114], off, off offset:448
	v_add_f64_e32 v[2:3], v[2:3], v[115:116]
	v_add_f64_e32 v[6:7], v[6:7], v[117:118]
	ds_load_b128 v[115:118], v1 offset:848
	s_wait_loadcnt_dscnt 0xa01
	v_mul_f64_e32 v[137:138], v[83:84], v[93:94]
	v_mul_f64_e32 v[93:94], v[85:86], v[93:94]
	s_wait_loadcnt_dscnt 0x900
	v_mul_f64_e32 v[131:132], v[115:116], v[97:98]
	v_mul_f64_e32 v[97:98], v[117:118], v[97:98]
	v_add_f64_e32 v[2:3], v[2:3], v[135:136]
	v_add_f64_e32 v[6:7], v[6:7], v[133:134]
	v_fma_f64 v[133:134], v[85:86], v[91:92], v[137:138]
	v_fma_f64 v[135:136], v[83:84], v[91:92], -v[93:94]
	ds_load_b128 v[83:86], v1 offset:864
	scratch_load_b128 v[91:94], off, off offset:480
	v_fma_f64 v[117:118], v[117:118], v[95:96], v[131:132]
	v_fma_f64 v[115:116], v[115:116], v[95:96], -v[97:98]
	scratch_load_b128 v[95:98], off, off offset:496
	v_add_f64_e32 v[2:3], v[2:3], v[127:128]
	v_add_f64_e32 v[6:7], v[6:7], v[129:130]
	ds_load_b128 v[127:130], v1 offset:880
	s_wait_loadcnt_dscnt 0xa01
	v_mul_f64_e32 v[137:138], v[83:84], v[101:102]
	v_mul_f64_e32 v[101:102], v[85:86], v[101:102]
	s_wait_loadcnt_dscnt 0x900
	v_mul_f64_e32 v[131:132], v[127:128], v[105:106]
	v_mul_f64_e32 v[105:106], v[129:130], v[105:106]
	v_add_f64_e32 v[2:3], v[2:3], v[135:136]
	v_add_f64_e32 v[6:7], v[6:7], v[133:134]
	v_fma_f64 v[133:134], v[85:86], v[99:100], v[137:138]
	v_fma_f64 v[135:136], v[83:84], v[99:100], -v[101:102]
	ds_load_b128 v[83:86], v1 offset:896
	scratch_load_b128 v[99:102], off, off offset:512
	v_fma_f64 v[129:130], v[129:130], v[103:104], v[131:132]
	v_fma_f64 v[127:128], v[127:128], v[103:104], -v[105:106]
	scratch_load_b128 v[103:106], off, off offset:528
	v_add_f64_e32 v[2:3], v[2:3], v[115:116]
	v_add_f64_e32 v[6:7], v[6:7], v[117:118]
	ds_load_b128 v[115:118], v1 offset:912
	s_wait_loadcnt_dscnt 0xa01
	v_mul_f64_e32 v[137:138], v[83:84], v[109:110]
	v_mul_f64_e32 v[109:110], v[85:86], v[109:110]
	v_add_f64_e32 v[2:3], v[2:3], v[135:136]
	v_add_f64_e32 v[6:7], v[6:7], v[133:134]
	s_delay_alu instid0(VALU_DEP_4) | instskip(NEXT) | instid1(VALU_DEP_4)
	v_fma_f64 v[133:134], v[85:86], v[107:108], v[137:138]
	v_fma_f64 v[135:136], v[83:84], v[107:108], -v[109:110]
	ds_load_b128 v[83:86], v1 offset:928
	ds_load_b128 v[107:110], v1 offset:944
	s_wait_loadcnt_dscnt 0x802
	v_mul_f64_e32 v[131:132], v[115:116], v[10:11]
	v_mul_f64_e32 v[10:11], v[117:118], v[10:11]
	v_add_f64_e32 v[2:3], v[2:3], v[127:128]
	v_add_f64_e32 v[6:7], v[6:7], v[129:130]
	s_delay_alu instid0(VALU_DEP_4)
	v_fma_f64 v[117:118], v[117:118], v[8:9], v[131:132]
	s_wait_loadcnt_dscnt 0x701
	v_mul_f64_e32 v[127:128], v[83:84], v[125:126]
	v_mul_f64_e32 v[125:126], v[85:86], v[125:126]
	v_fma_f64 v[8:9], v[115:116], v[8:9], -v[10:11]
	s_wait_loadcnt_dscnt 0x600
	v_mul_f64_e32 v[10:11], v[107:108], v[81:82]
	v_mul_f64_e32 v[115:116], v[109:110], v[81:82]
	v_add_f64_e32 v[2:3], v[2:3], v[135:136]
	v_add_f64_e32 v[6:7], v[6:7], v[133:134]
	v_fma_f64 v[85:86], v[85:86], v[123:124], v[127:128]
	v_fma_f64 v[123:124], v[83:84], v[123:124], -v[125:126]
	v_fma_f64 v[10:11], v[109:110], v[79:80], v[10:11]
	v_fma_f64 v[79:80], v[107:108], v[79:80], -v[115:116]
	v_add_f64_e32 v[2:3], v[2:3], v[8:9]
	v_add_f64_e32 v[117:118], v[6:7], v[117:118]
	ds_load_b128 v[6:9], v1 offset:960
	ds_load_b128 v[81:84], v1 offset:976
	s_wait_loadcnt_dscnt 0x401
	v_mul_f64_e32 v[125:126], v[6:7], v[113:114]
	v_mul_f64_e32 v[113:114], v[8:9], v[113:114]
	s_wait_dscnt 0x0
	v_mul_f64_e32 v[115:116], v[81:82], v[89:90]
	v_mul_f64_e32 v[89:90], v[83:84], v[89:90]
	v_add_f64_e32 v[2:3], v[2:3], v[123:124]
	v_add_f64_e32 v[85:86], v[117:118], v[85:86]
	v_fma_f64 v[117:118], v[8:9], v[111:112], v[125:126]
	v_fma_f64 v[111:112], v[6:7], v[111:112], -v[113:114]
	ds_load_b128 v[6:9], v1 offset:992
	ds_load_b128 v[107:110], v1 offset:1008
	v_fma_f64 v[83:84], v[83:84], v[87:88], v[115:116]
	v_fma_f64 v[81:82], v[81:82], v[87:88], -v[89:90]
	v_add_f64_e32 v[2:3], v[2:3], v[79:80]
	v_add_f64_e32 v[10:11], v[85:86], v[10:11]
	s_wait_loadcnt_dscnt 0x301
	v_mul_f64_e32 v[79:80], v[6:7], v[93:94]
	v_mul_f64_e32 v[85:86], v[8:9], v[93:94]
	s_wait_loadcnt_dscnt 0x200
	v_mul_f64_e32 v[87:88], v[107:108], v[97:98]
	v_mul_f64_e32 v[89:90], v[109:110], v[97:98]
	v_add_f64_e32 v[2:3], v[2:3], v[111:112]
	v_add_f64_e32 v[10:11], v[10:11], v[117:118]
	v_fma_f64 v[79:80], v[8:9], v[91:92], v[79:80]
	v_fma_f64 v[85:86], v[6:7], v[91:92], -v[85:86]
	v_fma_f64 v[87:88], v[109:110], v[95:96], v[87:88]
	v_fma_f64 v[89:90], v[107:108], v[95:96], -v[89:90]
	v_add_f64_e32 v[81:82], v[2:3], v[81:82]
	v_add_f64_e32 v[10:11], v[10:11], v[83:84]
	ds_load_b128 v[6:9], v1 offset:1024
	ds_load_b128 v[1:4], v1 offset:1040
	s_wait_loadcnt_dscnt 0x101
	v_mul_f64_e32 v[83:84], v[6:7], v[101:102]
	v_mul_f64_e32 v[91:92], v[8:9], v[101:102]
	v_add_f64_e32 v[81:82], v[81:82], v[85:86]
	v_add_f64_e32 v[10:11], v[10:11], v[79:80]
	s_wait_loadcnt_dscnt 0x0
	v_mul_f64_e32 v[79:80], v[1:2], v[105:106]
	v_mul_f64_e32 v[85:86], v[3:4], v[105:106]
	v_fma_f64 v[8:9], v[8:9], v[99:100], v[83:84]
	v_fma_f64 v[6:7], v[6:7], v[99:100], -v[91:92]
	v_add_f64_e32 v[81:82], v[81:82], v[89:90]
	v_add_f64_e32 v[10:11], v[10:11], v[87:88]
	v_fma_f64 v[3:4], v[3:4], v[103:104], v[79:80]
	v_fma_f64 v[1:2], v[1:2], v[103:104], -v[85:86]
	s_delay_alu instid0(VALU_DEP_4) | instskip(NEXT) | instid1(VALU_DEP_4)
	v_add_f64_e32 v[6:7], v[81:82], v[6:7]
	v_add_f64_e32 v[8:9], v[10:11], v[8:9]
	s_delay_alu instid0(VALU_DEP_2) | instskip(NEXT) | instid1(VALU_DEP_2)
	v_add_f64_e32 v[1:2], v[6:7], v[1:2]
	v_add_f64_e32 v[3:4], v[8:9], v[3:4]
	s_delay_alu instid0(VALU_DEP_2) | instskip(NEXT) | instid1(VALU_DEP_2)
	v_add_f64_e64 v[1:2], v[119:120], -v[1:2]
	v_add_f64_e64 v[3:4], v[121:122], -v[3:4]
	scratch_store_b128 off, v[1:4], off offset:240
	v_cmpx_lt_u32_e32 13, v0
	s_cbranch_execz .LBB96_185
; %bb.184:
	scratch_load_b128 v[1:4], off, s29
	v_mov_b32_e32 v6, 0
	s_delay_alu instid0(VALU_DEP_1)
	v_dual_mov_b32 v7, v6 :: v_dual_mov_b32 v8, v6
	v_mov_b32_e32 v9, v6
	scratch_store_b128 off, v[6:9], off offset:224
	s_wait_loadcnt 0x0
	ds_store_b128 v5, v[1:4]
.LBB96_185:
	s_wait_alu 0xfffe
	s_or_b32 exec_lo, exec_lo, s0
	s_wait_storecnt_dscnt 0x0
	s_barrier_signal -1
	s_barrier_wait -1
	global_inv scope:SCOPE_SE
	s_clause 0x7
	scratch_load_b128 v[6:9], off, off offset:240
	scratch_load_b128 v[79:82], off, off offset:256
	;; [unrolled: 1-line block ×8, first 2 shown]
	v_mov_b32_e32 v1, 0
	s_mov_b32 s0, exec_lo
	ds_load_b128 v[107:110], v1 offset:752
	s_clause 0x1
	scratch_load_b128 v[111:114], off, off offset:368
	scratch_load_b128 v[115:118], off, off offset:224
	ds_load_b128 v[119:122], v1 offset:768
	ds_load_b128 v[127:130], v1 offset:800
	s_wait_loadcnt_dscnt 0x902
	v_mul_f64_e32 v[2:3], v[109:110], v[8:9]
	v_mul_f64_e32 v[123:124], v[107:108], v[8:9]
	scratch_load_b128 v[8:11], off, off offset:384
	v_fma_f64 v[2:3], v[107:108], v[6:7], -v[2:3]
	v_fma_f64 v[6:7], v[109:110], v[6:7], v[123:124]
	ds_load_b128 v[107:110], v1 offset:784
	s_wait_loadcnt_dscnt 0x902
	v_mul_f64_e32 v[131:132], v[119:120], v[81:82]
	v_mul_f64_e32 v[81:82], v[121:122], v[81:82]
	scratch_load_b128 v[123:126], off, off offset:400
	s_wait_loadcnt_dscnt 0x900
	v_mul_f64_e32 v[133:134], v[107:108], v[85:86]
	v_mul_f64_e32 v[85:86], v[109:110], v[85:86]
	v_add_f64_e32 v[2:3], 0, v[2:3]
	v_add_f64_e32 v[6:7], 0, v[6:7]
	v_fma_f64 v[121:122], v[121:122], v[79:80], v[131:132]
	v_fma_f64 v[119:120], v[119:120], v[79:80], -v[81:82]
	scratch_load_b128 v[79:82], off, off offset:416
	v_fma_f64 v[133:134], v[109:110], v[83:84], v[133:134]
	v_fma_f64 v[135:136], v[107:108], v[83:84], -v[85:86]
	ds_load_b128 v[83:86], v1 offset:816
	s_wait_loadcnt 0x9
	v_mul_f64_e32 v[131:132], v[127:128], v[89:90]
	v_mul_f64_e32 v[89:90], v[129:130], v[89:90]
	scratch_load_b128 v[107:110], off, off offset:432
	v_add_f64_e32 v[6:7], v[6:7], v[121:122]
	v_add_f64_e32 v[2:3], v[2:3], v[119:120]
	ds_load_b128 v[119:122], v1 offset:832
	s_wait_loadcnt_dscnt 0x901
	v_mul_f64_e32 v[137:138], v[83:84], v[93:94]
	v_mul_f64_e32 v[93:94], v[85:86], v[93:94]
	v_fma_f64 v[129:130], v[129:130], v[87:88], v[131:132]
	v_fma_f64 v[127:128], v[127:128], v[87:88], -v[89:90]
	scratch_load_b128 v[87:90], off, off offset:448
	v_add_f64_e32 v[6:7], v[6:7], v[133:134]
	v_add_f64_e32 v[2:3], v[2:3], v[135:136]
	v_fma_f64 v[133:134], v[85:86], v[91:92], v[137:138]
	v_fma_f64 v[135:136], v[83:84], v[91:92], -v[93:94]
	ds_load_b128 v[83:86], v1 offset:848
	s_wait_loadcnt_dscnt 0x901
	v_mul_f64_e32 v[131:132], v[119:120], v[97:98]
	v_mul_f64_e32 v[97:98], v[121:122], v[97:98]
	scratch_load_b128 v[91:94], off, off offset:464
	s_wait_loadcnt_dscnt 0x900
	v_mul_f64_e32 v[137:138], v[83:84], v[101:102]
	v_mul_f64_e32 v[101:102], v[85:86], v[101:102]
	v_add_f64_e32 v[6:7], v[6:7], v[129:130]
	v_add_f64_e32 v[2:3], v[2:3], v[127:128]
	ds_load_b128 v[127:130], v1 offset:864
	v_fma_f64 v[121:122], v[121:122], v[95:96], v[131:132]
	v_fma_f64 v[119:120], v[119:120], v[95:96], -v[97:98]
	scratch_load_b128 v[95:98], off, off offset:480
	v_add_f64_e32 v[6:7], v[6:7], v[133:134]
	v_add_f64_e32 v[2:3], v[2:3], v[135:136]
	v_fma_f64 v[133:134], v[85:86], v[99:100], v[137:138]
	v_fma_f64 v[135:136], v[83:84], v[99:100], -v[101:102]
	ds_load_b128 v[83:86], v1 offset:880
	s_wait_loadcnt_dscnt 0x901
	v_mul_f64_e32 v[131:132], v[127:128], v[105:106]
	v_mul_f64_e32 v[105:106], v[129:130], v[105:106]
	scratch_load_b128 v[99:102], off, off offset:496
	s_wait_loadcnt_dscnt 0x900
	v_mul_f64_e32 v[137:138], v[83:84], v[113:114]
	v_mul_f64_e32 v[113:114], v[85:86], v[113:114]
	v_add_f64_e32 v[6:7], v[6:7], v[121:122]
	v_add_f64_e32 v[2:3], v[2:3], v[119:120]
	ds_load_b128 v[119:122], v1 offset:896
	v_fma_f64 v[129:130], v[129:130], v[103:104], v[131:132]
	v_fma_f64 v[127:128], v[127:128], v[103:104], -v[105:106]
	scratch_load_b128 v[103:106], off, off offset:512
	v_add_f64_e32 v[6:7], v[6:7], v[133:134]
	v_add_f64_e32 v[2:3], v[2:3], v[135:136]
	v_fma_f64 v[133:134], v[85:86], v[111:112], v[137:138]
	v_fma_f64 v[135:136], v[83:84], v[111:112], -v[113:114]
	ds_load_b128 v[83:86], v1 offset:912
	scratch_load_b128 v[111:114], off, off offset:528
	s_wait_loadcnt_dscnt 0x901
	v_mul_f64_e32 v[131:132], v[119:120], v[10:11]
	v_mul_f64_e32 v[10:11], v[121:122], v[10:11]
	v_add_f64_e32 v[6:7], v[6:7], v[129:130]
	v_add_f64_e32 v[2:3], v[2:3], v[127:128]
	ds_load_b128 v[127:130], v1 offset:928
	v_fma_f64 v[121:122], v[121:122], v[8:9], v[131:132]
	v_fma_f64 v[8:9], v[119:120], v[8:9], -v[10:11]
	s_wait_loadcnt_dscnt 0x801
	v_mul_f64_e32 v[137:138], v[83:84], v[125:126]
	v_mul_f64_e32 v[125:126], v[85:86], v[125:126]
	v_add_f64_e32 v[6:7], v[6:7], v[133:134]
	v_add_f64_e32 v[2:3], v[2:3], v[135:136]
	s_wait_loadcnt_dscnt 0x700
	v_mul_f64_e32 v[10:11], v[127:128], v[81:82]
	v_mul_f64_e32 v[119:120], v[129:130], v[81:82]
	v_fma_f64 v[85:86], v[85:86], v[123:124], v[137:138]
	v_fma_f64 v[123:124], v[83:84], v[123:124], -v[125:126]
	v_add_f64_e32 v[121:122], v[6:7], v[121:122]
	v_add_f64_e32 v[2:3], v[2:3], v[8:9]
	ds_load_b128 v[6:9], v1 offset:944
	ds_load_b128 v[81:84], v1 offset:960
	v_fma_f64 v[10:11], v[129:130], v[79:80], v[10:11]
	v_fma_f64 v[79:80], v[127:128], v[79:80], -v[119:120]
	s_wait_loadcnt_dscnt 0x601
	v_mul_f64_e32 v[125:126], v[6:7], v[109:110]
	v_mul_f64_e32 v[109:110], v[8:9], v[109:110]
	v_add_f64_e32 v[85:86], v[121:122], v[85:86]
	v_add_f64_e32 v[2:3], v[2:3], v[123:124]
	s_wait_loadcnt_dscnt 0x500
	v_mul_f64_e32 v[119:120], v[81:82], v[89:90]
	v_mul_f64_e32 v[89:90], v[83:84], v[89:90]
	v_fma_f64 v[121:122], v[8:9], v[107:108], v[125:126]
	v_fma_f64 v[123:124], v[6:7], v[107:108], -v[109:110]
	ds_load_b128 v[6:9], v1 offset:976
	ds_load_b128 v[107:110], v1 offset:992
	v_add_f64_e32 v[10:11], v[85:86], v[10:11]
	v_add_f64_e32 v[2:3], v[2:3], v[79:80]
	v_fma_f64 v[83:84], v[83:84], v[87:88], v[119:120]
	v_fma_f64 v[81:82], v[81:82], v[87:88], -v[89:90]
	s_wait_loadcnt_dscnt 0x401
	v_mul_f64_e32 v[79:80], v[6:7], v[93:94]
	v_mul_f64_e32 v[85:86], v[8:9], v[93:94]
	s_wait_loadcnt_dscnt 0x300
	v_mul_f64_e32 v[87:88], v[107:108], v[97:98]
	v_mul_f64_e32 v[89:90], v[109:110], v[97:98]
	v_add_f64_e32 v[10:11], v[10:11], v[121:122]
	v_add_f64_e32 v[2:3], v[2:3], v[123:124]
	v_fma_f64 v[93:94], v[8:9], v[91:92], v[79:80]
	v_fma_f64 v[85:86], v[6:7], v[91:92], -v[85:86]
	v_fma_f64 v[87:88], v[109:110], v[95:96], v[87:88]
	v_fma_f64 v[89:90], v[107:108], v[95:96], -v[89:90]
	v_add_f64_e32 v[10:11], v[10:11], v[83:84]
	v_add_f64_e32 v[2:3], v[2:3], v[81:82]
	ds_load_b128 v[6:9], v1 offset:1008
	ds_load_b128 v[79:82], v1 offset:1024
	s_wait_loadcnt_dscnt 0x201
	v_mul_f64_e32 v[83:84], v[6:7], v[101:102]
	v_mul_f64_e32 v[91:92], v[8:9], v[101:102]
	v_add_f64_e32 v[10:11], v[10:11], v[93:94]
	v_add_f64_e32 v[2:3], v[2:3], v[85:86]
	s_wait_loadcnt_dscnt 0x100
	v_mul_f64_e32 v[85:86], v[79:80], v[105:106]
	v_mul_f64_e32 v[93:94], v[81:82], v[105:106]
	v_fma_f64 v[83:84], v[8:9], v[99:100], v[83:84]
	v_fma_f64 v[91:92], v[6:7], v[99:100], -v[91:92]
	ds_load_b128 v[6:9], v1 offset:1040
	v_add_f64_e32 v[10:11], v[10:11], v[87:88]
	v_add_f64_e32 v[2:3], v[2:3], v[89:90]
	v_fma_f64 v[81:82], v[81:82], v[103:104], v[85:86]
	v_fma_f64 v[79:80], v[79:80], v[103:104], -v[93:94]
	s_wait_loadcnt_dscnt 0x0
	v_mul_f64_e32 v[87:88], v[6:7], v[113:114]
	v_mul_f64_e32 v[89:90], v[8:9], v[113:114]
	v_add_f64_e32 v[10:11], v[10:11], v[83:84]
	v_add_f64_e32 v[2:3], v[2:3], v[91:92]
	s_delay_alu instid0(VALU_DEP_4) | instskip(NEXT) | instid1(VALU_DEP_4)
	v_fma_f64 v[8:9], v[8:9], v[111:112], v[87:88]
	v_fma_f64 v[6:7], v[6:7], v[111:112], -v[89:90]
	s_delay_alu instid0(VALU_DEP_4) | instskip(NEXT) | instid1(VALU_DEP_4)
	v_add_f64_e32 v[10:11], v[10:11], v[81:82]
	v_add_f64_e32 v[2:3], v[2:3], v[79:80]
	s_delay_alu instid0(VALU_DEP_2) | instskip(NEXT) | instid1(VALU_DEP_2)
	v_add_f64_e32 v[8:9], v[10:11], v[8:9]
	v_add_f64_e32 v[2:3], v[2:3], v[6:7]
	s_delay_alu instid0(VALU_DEP_2) | instskip(NEXT) | instid1(VALU_DEP_2)
	v_add_f64_e64 v[8:9], v[117:118], -v[8:9]
	v_add_f64_e64 v[6:7], v[115:116], -v[2:3]
	scratch_store_b128 off, v[6:9], off offset:224
	v_cmpx_lt_u32_e32 12, v0
	s_cbranch_execz .LBB96_187
; %bb.186:
	scratch_load_b128 v[6:9], off, s13
	v_dual_mov_b32 v2, v1 :: v_dual_mov_b32 v3, v1
	v_mov_b32_e32 v4, v1
	scratch_store_b128 off, v[1:4], off offset:208
	s_wait_loadcnt 0x0
	ds_store_b128 v5, v[6:9]
.LBB96_187:
	s_wait_alu 0xfffe
	s_or_b32 exec_lo, exec_lo, s0
	s_wait_storecnt_dscnt 0x0
	s_barrier_signal -1
	s_barrier_wait -1
	global_inv scope:SCOPE_SE
	s_clause 0x8
	scratch_load_b128 v[6:9], off, off offset:224
	scratch_load_b128 v[79:82], off, off offset:240
	;; [unrolled: 1-line block ×9, first 2 shown]
	ds_load_b128 v[111:114], v1 offset:736
	ds_load_b128 v[115:118], v1 offset:752
	scratch_load_b128 v[119:122], off, off offset:208
	s_mov_b32 s0, exec_lo
	ds_load_b128 v[127:130], v1 offset:784
	s_wait_loadcnt_dscnt 0x902
	v_mul_f64_e32 v[2:3], v[113:114], v[8:9]
	v_mul_f64_e32 v[123:124], v[111:112], v[8:9]
	scratch_load_b128 v[8:11], off, off offset:368
	s_wait_loadcnt_dscnt 0x901
	v_mul_f64_e32 v[131:132], v[115:116], v[81:82]
	v_mul_f64_e32 v[81:82], v[117:118], v[81:82]
	v_fma_f64 v[2:3], v[111:112], v[6:7], -v[2:3]
	v_fma_f64 v[6:7], v[113:114], v[6:7], v[123:124]
	ds_load_b128 v[111:114], v1 offset:768
	scratch_load_b128 v[123:126], off, off offset:384
	v_fma_f64 v[117:118], v[117:118], v[79:80], v[131:132]
	v_fma_f64 v[115:116], v[115:116], v[79:80], -v[81:82]
	scratch_load_b128 v[79:82], off, off offset:400
	s_wait_loadcnt_dscnt 0x901
	v_mul_f64_e32 v[131:132], v[127:128], v[89:90]
	v_mul_f64_e32 v[89:90], v[129:130], v[89:90]
	s_wait_dscnt 0x0
	v_mul_f64_e32 v[133:134], v[111:112], v[85:86]
	v_mul_f64_e32 v[85:86], v[113:114], v[85:86]
	v_add_f64_e32 v[2:3], 0, v[2:3]
	v_add_f64_e32 v[6:7], 0, v[6:7]
	v_fma_f64 v[129:130], v[129:130], v[87:88], v[131:132]
	v_fma_f64 v[127:128], v[127:128], v[87:88], -v[89:90]
	scratch_load_b128 v[87:90], off, off offset:432
	v_fma_f64 v[133:134], v[113:114], v[83:84], v[133:134]
	v_fma_f64 v[135:136], v[111:112], v[83:84], -v[85:86]
	ds_load_b128 v[83:86], v1 offset:800
	scratch_load_b128 v[111:114], off, off offset:416
	v_add_f64_e32 v[2:3], v[2:3], v[115:116]
	v_add_f64_e32 v[6:7], v[6:7], v[117:118]
	ds_load_b128 v[115:118], v1 offset:816
	s_wait_loadcnt_dscnt 0xa01
	v_mul_f64_e32 v[137:138], v[83:84], v[93:94]
	v_mul_f64_e32 v[93:94], v[85:86], v[93:94]
	s_wait_loadcnt_dscnt 0x900
	v_mul_f64_e32 v[131:132], v[115:116], v[97:98]
	v_mul_f64_e32 v[97:98], v[117:118], v[97:98]
	v_add_f64_e32 v[2:3], v[2:3], v[135:136]
	v_add_f64_e32 v[6:7], v[6:7], v[133:134]
	v_fma_f64 v[133:134], v[85:86], v[91:92], v[137:138]
	v_fma_f64 v[135:136], v[83:84], v[91:92], -v[93:94]
	ds_load_b128 v[83:86], v1 offset:832
	scratch_load_b128 v[91:94], off, off offset:448
	v_fma_f64 v[117:118], v[117:118], v[95:96], v[131:132]
	v_fma_f64 v[115:116], v[115:116], v[95:96], -v[97:98]
	scratch_load_b128 v[95:98], off, off offset:464
	v_add_f64_e32 v[2:3], v[2:3], v[127:128]
	v_add_f64_e32 v[6:7], v[6:7], v[129:130]
	ds_load_b128 v[127:130], v1 offset:848
	s_wait_loadcnt_dscnt 0xa01
	v_mul_f64_e32 v[137:138], v[83:84], v[101:102]
	v_mul_f64_e32 v[101:102], v[85:86], v[101:102]
	s_wait_loadcnt_dscnt 0x900
	v_mul_f64_e32 v[131:132], v[127:128], v[105:106]
	v_mul_f64_e32 v[105:106], v[129:130], v[105:106]
	v_add_f64_e32 v[2:3], v[2:3], v[135:136]
	v_add_f64_e32 v[6:7], v[6:7], v[133:134]
	v_fma_f64 v[133:134], v[85:86], v[99:100], v[137:138]
	v_fma_f64 v[135:136], v[83:84], v[99:100], -v[101:102]
	ds_load_b128 v[83:86], v1 offset:864
	scratch_load_b128 v[99:102], off, off offset:480
	v_fma_f64 v[129:130], v[129:130], v[103:104], v[131:132]
	v_fma_f64 v[127:128], v[127:128], v[103:104], -v[105:106]
	scratch_load_b128 v[103:106], off, off offset:496
	v_add_f64_e32 v[2:3], v[2:3], v[115:116]
	v_add_f64_e32 v[6:7], v[6:7], v[117:118]
	ds_load_b128 v[115:118], v1 offset:880
	s_wait_loadcnt_dscnt 0xa01
	v_mul_f64_e32 v[137:138], v[83:84], v[109:110]
	v_mul_f64_e32 v[109:110], v[85:86], v[109:110]
	v_add_f64_e32 v[2:3], v[2:3], v[135:136]
	v_add_f64_e32 v[6:7], v[6:7], v[133:134]
	s_delay_alu instid0(VALU_DEP_4) | instskip(NEXT) | instid1(VALU_DEP_4)
	v_fma_f64 v[133:134], v[85:86], v[107:108], v[137:138]
	v_fma_f64 v[135:136], v[83:84], v[107:108], -v[109:110]
	ds_load_b128 v[83:86], v1 offset:896
	scratch_load_b128 v[107:110], off, off offset:512
	s_wait_loadcnt_dscnt 0x901
	v_mul_f64_e32 v[131:132], v[115:116], v[10:11]
	v_mul_f64_e32 v[10:11], v[117:118], v[10:11]
	v_add_f64_e32 v[2:3], v[2:3], v[127:128]
	v_add_f64_e32 v[6:7], v[6:7], v[129:130]
	ds_load_b128 v[127:130], v1 offset:912
	v_fma_f64 v[117:118], v[117:118], v[8:9], v[131:132]
	s_wait_loadcnt_dscnt 0x801
	v_mul_f64_e32 v[137:138], v[83:84], v[125:126]
	v_mul_f64_e32 v[125:126], v[85:86], v[125:126]
	v_fma_f64 v[10:11], v[115:116], v[8:9], -v[10:11]
	s_wait_loadcnt_dscnt 0x700
	v_mul_f64_e32 v[131:132], v[127:128], v[81:82]
	v_add_f64_e32 v[2:3], v[2:3], v[135:136]
	v_add_f64_e32 v[115:116], v[6:7], v[133:134]
	scratch_load_b128 v[6:9], off, off offset:528
	v_mul_f64_e32 v[133:134], v[129:130], v[81:82]
	v_fma_f64 v[85:86], v[85:86], v[123:124], v[137:138]
	v_fma_f64 v[123:124], v[83:84], v[123:124], -v[125:126]
	v_fma_f64 v[129:130], v[129:130], v[79:80], v[131:132]
	v_add_f64_e32 v[2:3], v[2:3], v[10:11]
	v_add_f64_e32 v[10:11], v[115:116], v[117:118]
	ds_load_b128 v[81:84], v1 offset:928
	ds_load_b128 v[115:118], v1 offset:944
	v_fma_f64 v[79:80], v[127:128], v[79:80], -v[133:134]
	s_wait_loadcnt_dscnt 0x601
	v_mul_f64_e32 v[125:126], v[81:82], v[113:114]
	v_mul_f64_e32 v[113:114], v[83:84], v[113:114]
	v_add_f64_e32 v[2:3], v[2:3], v[123:124]
	v_add_f64_e32 v[10:11], v[10:11], v[85:86]
	s_wait_dscnt 0x0
	v_mul_f64_e32 v[123:124], v[115:116], v[89:90]
	v_mul_f64_e32 v[89:90], v[117:118], v[89:90]
	v_fma_f64 v[125:126], v[83:84], v[111:112], v[125:126]
	v_fma_f64 v[111:112], v[81:82], v[111:112], -v[113:114]
	v_add_f64_e32 v[2:3], v[2:3], v[79:80]
	v_add_f64_e32 v[10:11], v[10:11], v[129:130]
	ds_load_b128 v[79:82], v1 offset:960
	ds_load_b128 v[83:86], v1 offset:976
	v_fma_f64 v[117:118], v[117:118], v[87:88], v[123:124]
	v_fma_f64 v[87:88], v[115:116], v[87:88], -v[89:90]
	s_wait_loadcnt_dscnt 0x501
	v_mul_f64_e32 v[113:114], v[79:80], v[93:94]
	v_mul_f64_e32 v[93:94], v[81:82], v[93:94]
	v_add_f64_e32 v[2:3], v[2:3], v[111:112]
	v_add_f64_e32 v[10:11], v[10:11], v[125:126]
	s_wait_loadcnt_dscnt 0x400
	v_mul_f64_e32 v[111:112], v[83:84], v[97:98]
	v_mul_f64_e32 v[97:98], v[85:86], v[97:98]
	v_fma_f64 v[113:114], v[81:82], v[91:92], v[113:114]
	v_fma_f64 v[91:92], v[79:80], v[91:92], -v[93:94]
	v_add_f64_e32 v[2:3], v[2:3], v[87:88]
	v_add_f64_e32 v[10:11], v[10:11], v[117:118]
	ds_load_b128 v[79:82], v1 offset:992
	ds_load_b128 v[87:90], v1 offset:1008
	v_fma_f64 v[85:86], v[85:86], v[95:96], v[111:112]
	v_fma_f64 v[83:84], v[83:84], v[95:96], -v[97:98]
	s_wait_loadcnt_dscnt 0x301
	v_mul_f64_e32 v[93:94], v[79:80], v[101:102]
	v_mul_f64_e32 v[101:102], v[81:82], v[101:102]
	s_wait_loadcnt_dscnt 0x200
	v_mul_f64_e32 v[95:96], v[89:90], v[105:106]
	v_add_f64_e32 v[2:3], v[2:3], v[91:92]
	v_add_f64_e32 v[10:11], v[10:11], v[113:114]
	v_mul_f64_e32 v[91:92], v[87:88], v[105:106]
	v_fma_f64 v[93:94], v[81:82], v[99:100], v[93:94]
	v_fma_f64 v[97:98], v[79:80], v[99:100], -v[101:102]
	v_fma_f64 v[87:88], v[87:88], v[103:104], -v[95:96]
	v_add_f64_e32 v[83:84], v[2:3], v[83:84]
	v_add_f64_e32 v[10:11], v[10:11], v[85:86]
	ds_load_b128 v[79:82], v1 offset:1024
	ds_load_b128 v[1:4], v1 offset:1040
	v_fma_f64 v[89:90], v[89:90], v[103:104], v[91:92]
	s_wait_loadcnt_dscnt 0x101
	v_mul_f64_e32 v[85:86], v[79:80], v[109:110]
	v_mul_f64_e32 v[99:100], v[81:82], v[109:110]
	v_add_f64_e32 v[83:84], v[83:84], v[97:98]
	v_add_f64_e32 v[10:11], v[10:11], v[93:94]
	s_wait_loadcnt_dscnt 0x0
	v_mul_f64_e32 v[91:92], v[1:2], v[8:9]
	v_mul_f64_e32 v[8:9], v[3:4], v[8:9]
	v_fma_f64 v[81:82], v[81:82], v[107:108], v[85:86]
	v_fma_f64 v[79:80], v[79:80], v[107:108], -v[99:100]
	v_add_f64_e32 v[83:84], v[83:84], v[87:88]
	v_add_f64_e32 v[10:11], v[10:11], v[89:90]
	v_fma_f64 v[3:4], v[3:4], v[6:7], v[91:92]
	v_fma_f64 v[1:2], v[1:2], v[6:7], -v[8:9]
	s_delay_alu instid0(VALU_DEP_4) | instskip(NEXT) | instid1(VALU_DEP_4)
	v_add_f64_e32 v[6:7], v[83:84], v[79:80]
	v_add_f64_e32 v[8:9], v[10:11], v[81:82]
	s_delay_alu instid0(VALU_DEP_2) | instskip(NEXT) | instid1(VALU_DEP_2)
	v_add_f64_e32 v[1:2], v[6:7], v[1:2]
	v_add_f64_e32 v[3:4], v[8:9], v[3:4]
	s_delay_alu instid0(VALU_DEP_2) | instskip(NEXT) | instid1(VALU_DEP_2)
	v_add_f64_e64 v[1:2], v[119:120], -v[1:2]
	v_add_f64_e64 v[3:4], v[121:122], -v[3:4]
	scratch_store_b128 off, v[1:4], off offset:208
	v_cmpx_lt_u32_e32 11, v0
	s_cbranch_execz .LBB96_189
; %bb.188:
	scratch_load_b128 v[1:4], off, s28
	v_mov_b32_e32 v6, 0
	s_delay_alu instid0(VALU_DEP_1)
	v_dual_mov_b32 v7, v6 :: v_dual_mov_b32 v8, v6
	v_mov_b32_e32 v9, v6
	scratch_store_b128 off, v[6:9], off offset:192
	s_wait_loadcnt 0x0
	ds_store_b128 v5, v[1:4]
.LBB96_189:
	s_wait_alu 0xfffe
	s_or_b32 exec_lo, exec_lo, s0
	s_wait_storecnt_dscnt 0x0
	s_barrier_signal -1
	s_barrier_wait -1
	global_inv scope:SCOPE_SE
	s_clause 0x7
	scratch_load_b128 v[6:9], off, off offset:208
	scratch_load_b128 v[79:82], off, off offset:224
	;; [unrolled: 1-line block ×8, first 2 shown]
	v_mov_b32_e32 v1, 0
	s_mov_b32 s0, exec_lo
	ds_load_b128 v[107:110], v1 offset:720
	s_clause 0x1
	scratch_load_b128 v[111:114], off, off offset:336
	scratch_load_b128 v[115:118], off, off offset:192
	ds_load_b128 v[119:122], v1 offset:736
	ds_load_b128 v[127:130], v1 offset:768
	s_wait_loadcnt_dscnt 0x902
	v_mul_f64_e32 v[2:3], v[109:110], v[8:9]
	v_mul_f64_e32 v[123:124], v[107:108], v[8:9]
	scratch_load_b128 v[8:11], off, off offset:352
	v_fma_f64 v[2:3], v[107:108], v[6:7], -v[2:3]
	v_fma_f64 v[6:7], v[109:110], v[6:7], v[123:124]
	ds_load_b128 v[107:110], v1 offset:752
	s_wait_loadcnt_dscnt 0x902
	v_mul_f64_e32 v[131:132], v[119:120], v[81:82]
	v_mul_f64_e32 v[81:82], v[121:122], v[81:82]
	scratch_load_b128 v[123:126], off, off offset:368
	s_wait_loadcnt_dscnt 0x900
	v_mul_f64_e32 v[133:134], v[107:108], v[85:86]
	v_mul_f64_e32 v[85:86], v[109:110], v[85:86]
	v_add_f64_e32 v[2:3], 0, v[2:3]
	v_add_f64_e32 v[6:7], 0, v[6:7]
	v_fma_f64 v[121:122], v[121:122], v[79:80], v[131:132]
	v_fma_f64 v[119:120], v[119:120], v[79:80], -v[81:82]
	scratch_load_b128 v[79:82], off, off offset:384
	v_fma_f64 v[133:134], v[109:110], v[83:84], v[133:134]
	v_fma_f64 v[135:136], v[107:108], v[83:84], -v[85:86]
	ds_load_b128 v[83:86], v1 offset:784
	s_wait_loadcnt 0x9
	v_mul_f64_e32 v[131:132], v[127:128], v[89:90]
	v_mul_f64_e32 v[89:90], v[129:130], v[89:90]
	scratch_load_b128 v[107:110], off, off offset:400
	v_add_f64_e32 v[6:7], v[6:7], v[121:122]
	v_add_f64_e32 v[2:3], v[2:3], v[119:120]
	ds_load_b128 v[119:122], v1 offset:800
	s_wait_loadcnt_dscnt 0x901
	v_mul_f64_e32 v[137:138], v[83:84], v[93:94]
	v_mul_f64_e32 v[93:94], v[85:86], v[93:94]
	v_fma_f64 v[129:130], v[129:130], v[87:88], v[131:132]
	v_fma_f64 v[127:128], v[127:128], v[87:88], -v[89:90]
	scratch_load_b128 v[87:90], off, off offset:416
	v_add_f64_e32 v[6:7], v[6:7], v[133:134]
	v_add_f64_e32 v[2:3], v[2:3], v[135:136]
	v_fma_f64 v[133:134], v[85:86], v[91:92], v[137:138]
	v_fma_f64 v[135:136], v[83:84], v[91:92], -v[93:94]
	ds_load_b128 v[83:86], v1 offset:816
	s_wait_loadcnt_dscnt 0x901
	v_mul_f64_e32 v[131:132], v[119:120], v[97:98]
	v_mul_f64_e32 v[97:98], v[121:122], v[97:98]
	scratch_load_b128 v[91:94], off, off offset:432
	s_wait_loadcnt_dscnt 0x900
	v_mul_f64_e32 v[137:138], v[83:84], v[101:102]
	v_mul_f64_e32 v[101:102], v[85:86], v[101:102]
	v_add_f64_e32 v[6:7], v[6:7], v[129:130]
	v_add_f64_e32 v[2:3], v[2:3], v[127:128]
	ds_load_b128 v[127:130], v1 offset:832
	v_fma_f64 v[121:122], v[121:122], v[95:96], v[131:132]
	v_fma_f64 v[119:120], v[119:120], v[95:96], -v[97:98]
	scratch_load_b128 v[95:98], off, off offset:448
	v_add_f64_e32 v[6:7], v[6:7], v[133:134]
	v_add_f64_e32 v[2:3], v[2:3], v[135:136]
	v_fma_f64 v[133:134], v[85:86], v[99:100], v[137:138]
	v_fma_f64 v[135:136], v[83:84], v[99:100], -v[101:102]
	ds_load_b128 v[83:86], v1 offset:848
	s_wait_loadcnt_dscnt 0x901
	v_mul_f64_e32 v[131:132], v[127:128], v[105:106]
	v_mul_f64_e32 v[105:106], v[129:130], v[105:106]
	scratch_load_b128 v[99:102], off, off offset:464
	s_wait_loadcnt_dscnt 0x900
	v_mul_f64_e32 v[137:138], v[83:84], v[113:114]
	v_mul_f64_e32 v[113:114], v[85:86], v[113:114]
	v_add_f64_e32 v[6:7], v[6:7], v[121:122]
	v_add_f64_e32 v[2:3], v[2:3], v[119:120]
	ds_load_b128 v[119:122], v1 offset:864
	v_fma_f64 v[129:130], v[129:130], v[103:104], v[131:132]
	v_fma_f64 v[127:128], v[127:128], v[103:104], -v[105:106]
	scratch_load_b128 v[103:106], off, off offset:480
	v_add_f64_e32 v[6:7], v[6:7], v[133:134]
	v_add_f64_e32 v[2:3], v[2:3], v[135:136]
	v_fma_f64 v[133:134], v[85:86], v[111:112], v[137:138]
	v_fma_f64 v[135:136], v[83:84], v[111:112], -v[113:114]
	ds_load_b128 v[83:86], v1 offset:880
	scratch_load_b128 v[111:114], off, off offset:496
	s_wait_loadcnt_dscnt 0x901
	v_mul_f64_e32 v[131:132], v[119:120], v[10:11]
	v_mul_f64_e32 v[10:11], v[121:122], v[10:11]
	v_add_f64_e32 v[6:7], v[6:7], v[129:130]
	v_add_f64_e32 v[2:3], v[2:3], v[127:128]
	ds_load_b128 v[127:130], v1 offset:896
	v_fma_f64 v[121:122], v[121:122], v[8:9], v[131:132]
	v_fma_f64 v[10:11], v[119:120], v[8:9], -v[10:11]
	s_wait_loadcnt_dscnt 0x801
	v_mul_f64_e32 v[137:138], v[83:84], v[125:126]
	v_mul_f64_e32 v[125:126], v[85:86], v[125:126]
	v_add_f64_e32 v[119:120], v[6:7], v[133:134]
	v_add_f64_e32 v[2:3], v[2:3], v[135:136]
	scratch_load_b128 v[6:9], off, off offset:512
	v_fma_f64 v[85:86], v[85:86], v[123:124], v[137:138]
	v_fma_f64 v[135:136], v[83:84], v[123:124], -v[125:126]
	ds_load_b128 v[123:126], v1 offset:928
	s_wait_loadcnt_dscnt 0x801
	v_mul_f64_e32 v[131:132], v[127:128], v[81:82]
	v_mul_f64_e32 v[133:134], v[129:130], v[81:82]
	ds_load_b128 v[81:84], v1 offset:912
	v_add_f64_e32 v[2:3], v[2:3], v[10:11]
	v_add_f64_e32 v[10:11], v[119:120], v[121:122]
	scratch_load_b128 v[119:122], off, off offset:528
	s_wait_loadcnt_dscnt 0x800
	v_mul_f64_e32 v[137:138], v[81:82], v[109:110]
	v_mul_f64_e32 v[109:110], v[83:84], v[109:110]
	v_fma_f64 v[129:130], v[129:130], v[79:80], v[131:132]
	v_fma_f64 v[79:80], v[127:128], v[79:80], -v[133:134]
	v_add_f64_e32 v[2:3], v[2:3], v[135:136]
	v_add_f64_e32 v[10:11], v[10:11], v[85:86]
	s_wait_loadcnt 0x7
	v_mul_f64_e32 v[127:128], v[123:124], v[89:90]
	v_mul_f64_e32 v[89:90], v[125:126], v[89:90]
	v_fma_f64 v[131:132], v[83:84], v[107:108], v[137:138]
	v_fma_f64 v[107:108], v[81:82], v[107:108], -v[109:110]
	v_add_f64_e32 v[2:3], v[2:3], v[79:80]
	v_add_f64_e32 v[10:11], v[10:11], v[129:130]
	ds_load_b128 v[79:82], v1 offset:944
	ds_load_b128 v[83:86], v1 offset:960
	v_fma_f64 v[125:126], v[125:126], v[87:88], v[127:128]
	v_fma_f64 v[87:88], v[123:124], v[87:88], -v[89:90]
	s_wait_loadcnt_dscnt 0x601
	v_mul_f64_e32 v[109:110], v[79:80], v[93:94]
	v_mul_f64_e32 v[93:94], v[81:82], v[93:94]
	v_add_f64_e32 v[2:3], v[2:3], v[107:108]
	v_add_f64_e32 v[10:11], v[10:11], v[131:132]
	s_wait_loadcnt_dscnt 0x500
	v_mul_f64_e32 v[107:108], v[83:84], v[97:98]
	v_mul_f64_e32 v[97:98], v[85:86], v[97:98]
	v_fma_f64 v[109:110], v[81:82], v[91:92], v[109:110]
	v_fma_f64 v[91:92], v[79:80], v[91:92], -v[93:94]
	v_add_f64_e32 v[2:3], v[2:3], v[87:88]
	v_add_f64_e32 v[10:11], v[10:11], v[125:126]
	ds_load_b128 v[79:82], v1 offset:976
	ds_load_b128 v[87:90], v1 offset:992
	v_fma_f64 v[85:86], v[85:86], v[95:96], v[107:108]
	v_fma_f64 v[83:84], v[83:84], v[95:96], -v[97:98]
	s_wait_loadcnt_dscnt 0x401
	v_mul_f64_e32 v[93:94], v[79:80], v[101:102]
	v_mul_f64_e32 v[101:102], v[81:82], v[101:102]
	s_wait_loadcnt_dscnt 0x300
	v_mul_f64_e32 v[95:96], v[89:90], v[105:106]
	v_add_f64_e32 v[2:3], v[2:3], v[91:92]
	v_add_f64_e32 v[10:11], v[10:11], v[109:110]
	v_mul_f64_e32 v[91:92], v[87:88], v[105:106]
	v_fma_f64 v[93:94], v[81:82], v[99:100], v[93:94]
	v_fma_f64 v[97:98], v[79:80], v[99:100], -v[101:102]
	v_fma_f64 v[87:88], v[87:88], v[103:104], -v[95:96]
	v_add_f64_e32 v[2:3], v[2:3], v[83:84]
	v_add_f64_e32 v[10:11], v[10:11], v[85:86]
	ds_load_b128 v[79:82], v1 offset:1008
	ds_load_b128 v[83:86], v1 offset:1024
	v_fma_f64 v[89:90], v[89:90], v[103:104], v[91:92]
	s_wait_loadcnt_dscnt 0x201
	v_mul_f64_e32 v[99:100], v[79:80], v[113:114]
	v_mul_f64_e32 v[101:102], v[81:82], v[113:114]
	v_add_f64_e32 v[2:3], v[2:3], v[97:98]
	v_add_f64_e32 v[10:11], v[10:11], v[93:94]
	s_wait_loadcnt_dscnt 0x100
	v_mul_f64_e32 v[91:92], v[83:84], v[8:9]
	v_mul_f64_e32 v[93:94], v[85:86], v[8:9]
	v_fma_f64 v[81:82], v[81:82], v[111:112], v[99:100]
	v_fma_f64 v[79:80], v[79:80], v[111:112], -v[101:102]
	v_add_f64_e32 v[2:3], v[2:3], v[87:88]
	v_add_f64_e32 v[87:88], v[10:11], v[89:90]
	ds_load_b128 v[8:11], v1 offset:1040
	v_fma_f64 v[85:86], v[85:86], v[6:7], v[91:92]
	v_fma_f64 v[6:7], v[83:84], v[6:7], -v[93:94]
	s_wait_loadcnt_dscnt 0x0
	v_mul_f64_e32 v[89:90], v[8:9], v[121:122]
	v_mul_f64_e32 v[95:96], v[10:11], v[121:122]
	v_add_f64_e32 v[2:3], v[2:3], v[79:80]
	v_add_f64_e32 v[79:80], v[87:88], v[81:82]
	s_delay_alu instid0(VALU_DEP_4) | instskip(NEXT) | instid1(VALU_DEP_4)
	v_fma_f64 v[10:11], v[10:11], v[119:120], v[89:90]
	v_fma_f64 v[8:9], v[8:9], v[119:120], -v[95:96]
	s_delay_alu instid0(VALU_DEP_4) | instskip(NEXT) | instid1(VALU_DEP_4)
	v_add_f64_e32 v[2:3], v[2:3], v[6:7]
	v_add_f64_e32 v[6:7], v[79:80], v[85:86]
	s_delay_alu instid0(VALU_DEP_2) | instskip(NEXT) | instid1(VALU_DEP_2)
	v_add_f64_e32 v[2:3], v[2:3], v[8:9]
	v_add_f64_e32 v[8:9], v[6:7], v[10:11]
	s_delay_alu instid0(VALU_DEP_2) | instskip(NEXT) | instid1(VALU_DEP_2)
	v_add_f64_e64 v[6:7], v[115:116], -v[2:3]
	v_add_f64_e64 v[8:9], v[117:118], -v[8:9]
	scratch_store_b128 off, v[6:9], off offset:192
	v_cmpx_lt_u32_e32 10, v0
	s_cbranch_execz .LBB96_191
; %bb.190:
	scratch_load_b128 v[6:9], off, s11
	v_dual_mov_b32 v2, v1 :: v_dual_mov_b32 v3, v1
	v_mov_b32_e32 v4, v1
	scratch_store_b128 off, v[1:4], off offset:176
	s_wait_loadcnt 0x0
	ds_store_b128 v5, v[6:9]
.LBB96_191:
	s_wait_alu 0xfffe
	s_or_b32 exec_lo, exec_lo, s0
	s_wait_storecnt_dscnt 0x0
	s_barrier_signal -1
	s_barrier_wait -1
	global_inv scope:SCOPE_SE
	s_clause 0x8
	scratch_load_b128 v[6:9], off, off offset:192
	scratch_load_b128 v[79:82], off, off offset:208
	;; [unrolled: 1-line block ×9, first 2 shown]
	ds_load_b128 v[111:114], v1 offset:704
	ds_load_b128 v[115:118], v1 offset:720
	scratch_load_b128 v[119:122], off, off offset:176
	s_mov_b32 s0, exec_lo
	ds_load_b128 v[127:130], v1 offset:752
	s_wait_loadcnt_dscnt 0x902
	v_mul_f64_e32 v[2:3], v[113:114], v[8:9]
	v_mul_f64_e32 v[123:124], v[111:112], v[8:9]
	scratch_load_b128 v[8:11], off, off offset:336
	s_wait_loadcnt_dscnt 0x901
	v_mul_f64_e32 v[131:132], v[115:116], v[81:82]
	v_mul_f64_e32 v[81:82], v[117:118], v[81:82]
	v_fma_f64 v[2:3], v[111:112], v[6:7], -v[2:3]
	v_fma_f64 v[6:7], v[113:114], v[6:7], v[123:124]
	ds_load_b128 v[111:114], v1 offset:736
	scratch_load_b128 v[123:126], off, off offset:352
	v_fma_f64 v[117:118], v[117:118], v[79:80], v[131:132]
	v_fma_f64 v[115:116], v[115:116], v[79:80], -v[81:82]
	scratch_load_b128 v[79:82], off, off offset:368
	s_wait_loadcnt_dscnt 0x901
	v_mul_f64_e32 v[131:132], v[127:128], v[89:90]
	v_mul_f64_e32 v[89:90], v[129:130], v[89:90]
	s_wait_dscnt 0x0
	v_mul_f64_e32 v[133:134], v[111:112], v[85:86]
	v_mul_f64_e32 v[85:86], v[113:114], v[85:86]
	v_add_f64_e32 v[2:3], 0, v[2:3]
	v_add_f64_e32 v[6:7], 0, v[6:7]
	v_fma_f64 v[129:130], v[129:130], v[87:88], v[131:132]
	v_fma_f64 v[127:128], v[127:128], v[87:88], -v[89:90]
	scratch_load_b128 v[87:90], off, off offset:400
	v_fma_f64 v[133:134], v[113:114], v[83:84], v[133:134]
	v_fma_f64 v[135:136], v[111:112], v[83:84], -v[85:86]
	ds_load_b128 v[83:86], v1 offset:768
	scratch_load_b128 v[111:114], off, off offset:384
	v_add_f64_e32 v[2:3], v[2:3], v[115:116]
	v_add_f64_e32 v[6:7], v[6:7], v[117:118]
	ds_load_b128 v[115:118], v1 offset:784
	s_wait_loadcnt_dscnt 0xa01
	v_mul_f64_e32 v[137:138], v[83:84], v[93:94]
	v_mul_f64_e32 v[93:94], v[85:86], v[93:94]
	s_wait_loadcnt_dscnt 0x900
	v_mul_f64_e32 v[131:132], v[115:116], v[97:98]
	v_mul_f64_e32 v[97:98], v[117:118], v[97:98]
	v_add_f64_e32 v[2:3], v[2:3], v[135:136]
	v_add_f64_e32 v[6:7], v[6:7], v[133:134]
	v_fma_f64 v[133:134], v[85:86], v[91:92], v[137:138]
	v_fma_f64 v[135:136], v[83:84], v[91:92], -v[93:94]
	ds_load_b128 v[83:86], v1 offset:800
	scratch_load_b128 v[91:94], off, off offset:416
	v_fma_f64 v[117:118], v[117:118], v[95:96], v[131:132]
	v_fma_f64 v[115:116], v[115:116], v[95:96], -v[97:98]
	scratch_load_b128 v[95:98], off, off offset:432
	v_add_f64_e32 v[2:3], v[2:3], v[127:128]
	v_add_f64_e32 v[6:7], v[6:7], v[129:130]
	ds_load_b128 v[127:130], v1 offset:816
	s_wait_loadcnt_dscnt 0xa01
	v_mul_f64_e32 v[137:138], v[83:84], v[101:102]
	v_mul_f64_e32 v[101:102], v[85:86], v[101:102]
	s_wait_loadcnt_dscnt 0x900
	v_mul_f64_e32 v[131:132], v[127:128], v[105:106]
	v_mul_f64_e32 v[105:106], v[129:130], v[105:106]
	v_add_f64_e32 v[2:3], v[2:3], v[135:136]
	v_add_f64_e32 v[6:7], v[6:7], v[133:134]
	v_fma_f64 v[133:134], v[85:86], v[99:100], v[137:138]
	v_fma_f64 v[135:136], v[83:84], v[99:100], -v[101:102]
	ds_load_b128 v[83:86], v1 offset:832
	scratch_load_b128 v[99:102], off, off offset:448
	v_fma_f64 v[129:130], v[129:130], v[103:104], v[131:132]
	v_fma_f64 v[127:128], v[127:128], v[103:104], -v[105:106]
	scratch_load_b128 v[103:106], off, off offset:464
	v_add_f64_e32 v[2:3], v[2:3], v[115:116]
	v_add_f64_e32 v[6:7], v[6:7], v[117:118]
	ds_load_b128 v[115:118], v1 offset:848
	s_wait_loadcnt_dscnt 0xa01
	v_mul_f64_e32 v[137:138], v[83:84], v[109:110]
	v_mul_f64_e32 v[109:110], v[85:86], v[109:110]
	v_add_f64_e32 v[2:3], v[2:3], v[135:136]
	v_add_f64_e32 v[6:7], v[6:7], v[133:134]
	s_delay_alu instid0(VALU_DEP_4) | instskip(NEXT) | instid1(VALU_DEP_4)
	v_fma_f64 v[133:134], v[85:86], v[107:108], v[137:138]
	v_fma_f64 v[135:136], v[83:84], v[107:108], -v[109:110]
	ds_load_b128 v[83:86], v1 offset:864
	scratch_load_b128 v[107:110], off, off offset:480
	s_wait_loadcnt_dscnt 0x901
	v_mul_f64_e32 v[131:132], v[115:116], v[10:11]
	v_mul_f64_e32 v[10:11], v[117:118], v[10:11]
	v_add_f64_e32 v[2:3], v[2:3], v[127:128]
	v_add_f64_e32 v[6:7], v[6:7], v[129:130]
	ds_load_b128 v[127:130], v1 offset:880
	v_fma_f64 v[117:118], v[117:118], v[8:9], v[131:132]
	s_wait_loadcnt_dscnt 0x801
	v_mul_f64_e32 v[137:138], v[83:84], v[125:126]
	v_mul_f64_e32 v[125:126], v[85:86], v[125:126]
	v_fma_f64 v[10:11], v[115:116], v[8:9], -v[10:11]
	s_wait_loadcnt_dscnt 0x700
	v_mul_f64_e32 v[131:132], v[127:128], v[81:82]
	v_add_f64_e32 v[2:3], v[2:3], v[135:136]
	v_add_f64_e32 v[115:116], v[6:7], v[133:134]
	scratch_load_b128 v[6:9], off, off offset:496
	v_mul_f64_e32 v[133:134], v[129:130], v[81:82]
	v_fma_f64 v[85:86], v[85:86], v[123:124], v[137:138]
	v_fma_f64 v[135:136], v[83:84], v[123:124], -v[125:126]
	ds_load_b128 v[81:84], v1 offset:896
	ds_load_b128 v[123:126], v1 offset:912
	v_fma_f64 v[131:132], v[129:130], v[79:80], v[131:132]
	v_add_f64_e32 v[2:3], v[2:3], v[10:11]
	v_add_f64_e32 v[10:11], v[115:116], v[117:118]
	scratch_load_b128 v[115:118], off, off offset:512
	s_wait_loadcnt_dscnt 0x701
	v_mul_f64_e32 v[137:138], v[81:82], v[113:114]
	v_mul_f64_e32 v[113:114], v[83:84], v[113:114]
	v_fma_f64 v[79:80], v[127:128], v[79:80], -v[133:134]
	scratch_load_b128 v[127:130], off, off offset:528
	s_wait_dscnt 0x0
	v_mul_f64_e32 v[133:134], v[123:124], v[89:90]
	v_mul_f64_e32 v[89:90], v[125:126], v[89:90]
	v_add_f64_e32 v[2:3], v[2:3], v[135:136]
	v_add_f64_e32 v[10:11], v[10:11], v[85:86]
	v_fma_f64 v[135:136], v[83:84], v[111:112], v[137:138]
	v_fma_f64 v[111:112], v[81:82], v[111:112], -v[113:114]
	v_fma_f64 v[125:126], v[125:126], v[87:88], v[133:134]
	v_fma_f64 v[87:88], v[123:124], v[87:88], -v[89:90]
	v_add_f64_e32 v[2:3], v[2:3], v[79:80]
	v_add_f64_e32 v[10:11], v[10:11], v[131:132]
	ds_load_b128 v[79:82], v1 offset:928
	ds_load_b128 v[83:86], v1 offset:944
	s_wait_loadcnt_dscnt 0x701
	v_mul_f64_e32 v[113:114], v[79:80], v[93:94]
	v_mul_f64_e32 v[93:94], v[81:82], v[93:94]
	v_add_f64_e32 v[2:3], v[2:3], v[111:112]
	v_add_f64_e32 v[10:11], v[10:11], v[135:136]
	s_wait_loadcnt_dscnt 0x600
	v_mul_f64_e32 v[111:112], v[83:84], v[97:98]
	v_mul_f64_e32 v[97:98], v[85:86], v[97:98]
	v_fma_f64 v[113:114], v[81:82], v[91:92], v[113:114]
	v_fma_f64 v[91:92], v[79:80], v[91:92], -v[93:94]
	v_add_f64_e32 v[2:3], v[2:3], v[87:88]
	v_add_f64_e32 v[10:11], v[10:11], v[125:126]
	ds_load_b128 v[79:82], v1 offset:960
	ds_load_b128 v[87:90], v1 offset:976
	v_fma_f64 v[85:86], v[85:86], v[95:96], v[111:112]
	v_fma_f64 v[83:84], v[83:84], v[95:96], -v[97:98]
	s_wait_loadcnt_dscnt 0x501
	v_mul_f64_e32 v[93:94], v[79:80], v[101:102]
	v_mul_f64_e32 v[101:102], v[81:82], v[101:102]
	s_wait_loadcnt_dscnt 0x400
	v_mul_f64_e32 v[95:96], v[89:90], v[105:106]
	v_add_f64_e32 v[2:3], v[2:3], v[91:92]
	v_add_f64_e32 v[10:11], v[10:11], v[113:114]
	v_mul_f64_e32 v[91:92], v[87:88], v[105:106]
	v_fma_f64 v[93:94], v[81:82], v[99:100], v[93:94]
	v_fma_f64 v[97:98], v[79:80], v[99:100], -v[101:102]
	v_fma_f64 v[87:88], v[87:88], v[103:104], -v[95:96]
	v_add_f64_e32 v[2:3], v[2:3], v[83:84]
	v_add_f64_e32 v[10:11], v[10:11], v[85:86]
	ds_load_b128 v[79:82], v1 offset:992
	ds_load_b128 v[83:86], v1 offset:1008
	v_fma_f64 v[89:90], v[89:90], v[103:104], v[91:92]
	s_wait_loadcnt_dscnt 0x301
	v_mul_f64_e32 v[99:100], v[79:80], v[109:110]
	v_mul_f64_e32 v[101:102], v[81:82], v[109:110]
	v_add_f64_e32 v[2:3], v[2:3], v[97:98]
	v_add_f64_e32 v[10:11], v[10:11], v[93:94]
	s_wait_loadcnt_dscnt 0x200
	v_mul_f64_e32 v[91:92], v[83:84], v[8:9]
	v_mul_f64_e32 v[93:94], v[85:86], v[8:9]
	v_fma_f64 v[81:82], v[81:82], v[107:108], v[99:100]
	v_fma_f64 v[79:80], v[79:80], v[107:108], -v[101:102]
	v_add_f64_e32 v[87:88], v[2:3], v[87:88]
	v_add_f64_e32 v[89:90], v[10:11], v[89:90]
	ds_load_b128 v[8:11], v1 offset:1024
	ds_load_b128 v[1:4], v1 offset:1040
	v_fma_f64 v[85:86], v[85:86], v[6:7], v[91:92]
	v_fma_f64 v[6:7], v[83:84], v[6:7], -v[93:94]
	s_wait_loadcnt_dscnt 0x101
	v_mul_f64_e32 v[95:96], v[8:9], v[117:118]
	v_mul_f64_e32 v[97:98], v[10:11], v[117:118]
	s_wait_loadcnt_dscnt 0x0
	v_mul_f64_e32 v[83:84], v[1:2], v[129:130]
	v_add_f64_e32 v[79:80], v[87:88], v[79:80]
	v_add_f64_e32 v[81:82], v[89:90], v[81:82]
	v_mul_f64_e32 v[87:88], v[3:4], v[129:130]
	v_fma_f64 v[10:11], v[10:11], v[115:116], v[95:96]
	v_fma_f64 v[8:9], v[8:9], v[115:116], -v[97:98]
	v_fma_f64 v[3:4], v[3:4], v[127:128], v[83:84]
	v_add_f64_e32 v[6:7], v[79:80], v[6:7]
	v_add_f64_e32 v[79:80], v[81:82], v[85:86]
	v_fma_f64 v[1:2], v[1:2], v[127:128], -v[87:88]
	s_delay_alu instid0(VALU_DEP_3) | instskip(NEXT) | instid1(VALU_DEP_3)
	v_add_f64_e32 v[6:7], v[6:7], v[8:9]
	v_add_f64_e32 v[8:9], v[79:80], v[10:11]
	s_delay_alu instid0(VALU_DEP_2) | instskip(NEXT) | instid1(VALU_DEP_2)
	v_add_f64_e32 v[1:2], v[6:7], v[1:2]
	v_add_f64_e32 v[3:4], v[8:9], v[3:4]
	s_delay_alu instid0(VALU_DEP_2) | instskip(NEXT) | instid1(VALU_DEP_2)
	v_add_f64_e64 v[1:2], v[119:120], -v[1:2]
	v_add_f64_e64 v[3:4], v[121:122], -v[3:4]
	scratch_store_b128 off, v[1:4], off offset:176
	v_cmpx_lt_u32_e32 9, v0
	s_cbranch_execz .LBB96_193
; %bb.192:
	scratch_load_b128 v[1:4], off, s27
	v_mov_b32_e32 v6, 0
	s_delay_alu instid0(VALU_DEP_1)
	v_dual_mov_b32 v7, v6 :: v_dual_mov_b32 v8, v6
	v_mov_b32_e32 v9, v6
	scratch_store_b128 off, v[6:9], off offset:160
	s_wait_loadcnt 0x0
	ds_store_b128 v5, v[1:4]
.LBB96_193:
	s_wait_alu 0xfffe
	s_or_b32 exec_lo, exec_lo, s0
	s_wait_storecnt_dscnt 0x0
	s_barrier_signal -1
	s_barrier_wait -1
	global_inv scope:SCOPE_SE
	s_clause 0x7
	scratch_load_b128 v[6:9], off, off offset:176
	scratch_load_b128 v[79:82], off, off offset:192
	;; [unrolled: 1-line block ×8, first 2 shown]
	v_mov_b32_e32 v1, 0
	s_mov_b32 s0, exec_lo
	ds_load_b128 v[107:110], v1 offset:688
	s_clause 0x1
	scratch_load_b128 v[111:114], off, off offset:304
	scratch_load_b128 v[115:118], off, off offset:160
	ds_load_b128 v[119:122], v1 offset:704
	ds_load_b128 v[127:130], v1 offset:736
	s_wait_loadcnt_dscnt 0x902
	v_mul_f64_e32 v[2:3], v[109:110], v[8:9]
	v_mul_f64_e32 v[123:124], v[107:108], v[8:9]
	scratch_load_b128 v[8:11], off, off offset:320
	v_fma_f64 v[2:3], v[107:108], v[6:7], -v[2:3]
	v_fma_f64 v[6:7], v[109:110], v[6:7], v[123:124]
	ds_load_b128 v[107:110], v1 offset:720
	s_wait_loadcnt_dscnt 0x902
	v_mul_f64_e32 v[131:132], v[119:120], v[81:82]
	v_mul_f64_e32 v[81:82], v[121:122], v[81:82]
	scratch_load_b128 v[123:126], off, off offset:336
	s_wait_loadcnt_dscnt 0x900
	v_mul_f64_e32 v[133:134], v[107:108], v[85:86]
	v_mul_f64_e32 v[85:86], v[109:110], v[85:86]
	v_add_f64_e32 v[2:3], 0, v[2:3]
	v_add_f64_e32 v[6:7], 0, v[6:7]
	v_fma_f64 v[121:122], v[121:122], v[79:80], v[131:132]
	v_fma_f64 v[119:120], v[119:120], v[79:80], -v[81:82]
	scratch_load_b128 v[79:82], off, off offset:352
	v_fma_f64 v[133:134], v[109:110], v[83:84], v[133:134]
	v_fma_f64 v[135:136], v[107:108], v[83:84], -v[85:86]
	ds_load_b128 v[83:86], v1 offset:752
	s_wait_loadcnt 0x9
	v_mul_f64_e32 v[131:132], v[127:128], v[89:90]
	v_mul_f64_e32 v[89:90], v[129:130], v[89:90]
	scratch_load_b128 v[107:110], off, off offset:368
	v_add_f64_e32 v[6:7], v[6:7], v[121:122]
	v_add_f64_e32 v[2:3], v[2:3], v[119:120]
	ds_load_b128 v[119:122], v1 offset:768
	s_wait_loadcnt_dscnt 0x901
	v_mul_f64_e32 v[137:138], v[83:84], v[93:94]
	v_mul_f64_e32 v[93:94], v[85:86], v[93:94]
	v_fma_f64 v[129:130], v[129:130], v[87:88], v[131:132]
	v_fma_f64 v[127:128], v[127:128], v[87:88], -v[89:90]
	scratch_load_b128 v[87:90], off, off offset:384
	v_add_f64_e32 v[6:7], v[6:7], v[133:134]
	v_add_f64_e32 v[2:3], v[2:3], v[135:136]
	v_fma_f64 v[133:134], v[85:86], v[91:92], v[137:138]
	v_fma_f64 v[135:136], v[83:84], v[91:92], -v[93:94]
	ds_load_b128 v[83:86], v1 offset:784
	s_wait_loadcnt_dscnt 0x901
	v_mul_f64_e32 v[131:132], v[119:120], v[97:98]
	v_mul_f64_e32 v[97:98], v[121:122], v[97:98]
	scratch_load_b128 v[91:94], off, off offset:400
	s_wait_loadcnt_dscnt 0x900
	v_mul_f64_e32 v[137:138], v[83:84], v[101:102]
	v_mul_f64_e32 v[101:102], v[85:86], v[101:102]
	v_add_f64_e32 v[6:7], v[6:7], v[129:130]
	v_add_f64_e32 v[2:3], v[2:3], v[127:128]
	ds_load_b128 v[127:130], v1 offset:800
	v_fma_f64 v[121:122], v[121:122], v[95:96], v[131:132]
	v_fma_f64 v[119:120], v[119:120], v[95:96], -v[97:98]
	scratch_load_b128 v[95:98], off, off offset:416
	v_add_f64_e32 v[6:7], v[6:7], v[133:134]
	v_add_f64_e32 v[2:3], v[2:3], v[135:136]
	v_fma_f64 v[133:134], v[85:86], v[99:100], v[137:138]
	v_fma_f64 v[135:136], v[83:84], v[99:100], -v[101:102]
	ds_load_b128 v[83:86], v1 offset:816
	s_wait_loadcnt_dscnt 0x901
	v_mul_f64_e32 v[131:132], v[127:128], v[105:106]
	v_mul_f64_e32 v[105:106], v[129:130], v[105:106]
	scratch_load_b128 v[99:102], off, off offset:432
	s_wait_loadcnt_dscnt 0x900
	v_mul_f64_e32 v[137:138], v[83:84], v[113:114]
	v_mul_f64_e32 v[113:114], v[85:86], v[113:114]
	v_add_f64_e32 v[6:7], v[6:7], v[121:122]
	v_add_f64_e32 v[2:3], v[2:3], v[119:120]
	ds_load_b128 v[119:122], v1 offset:832
	v_fma_f64 v[129:130], v[129:130], v[103:104], v[131:132]
	v_fma_f64 v[127:128], v[127:128], v[103:104], -v[105:106]
	scratch_load_b128 v[103:106], off, off offset:448
	v_add_f64_e32 v[6:7], v[6:7], v[133:134]
	v_add_f64_e32 v[2:3], v[2:3], v[135:136]
	v_fma_f64 v[133:134], v[85:86], v[111:112], v[137:138]
	v_fma_f64 v[135:136], v[83:84], v[111:112], -v[113:114]
	ds_load_b128 v[83:86], v1 offset:848
	scratch_load_b128 v[111:114], off, off offset:464
	s_wait_loadcnt_dscnt 0x901
	v_mul_f64_e32 v[131:132], v[119:120], v[10:11]
	v_mul_f64_e32 v[10:11], v[121:122], v[10:11]
	v_add_f64_e32 v[6:7], v[6:7], v[129:130]
	v_add_f64_e32 v[2:3], v[2:3], v[127:128]
	ds_load_b128 v[127:130], v1 offset:864
	v_fma_f64 v[121:122], v[121:122], v[8:9], v[131:132]
	v_fma_f64 v[10:11], v[119:120], v[8:9], -v[10:11]
	s_wait_loadcnt_dscnt 0x801
	v_mul_f64_e32 v[137:138], v[83:84], v[125:126]
	v_mul_f64_e32 v[125:126], v[85:86], v[125:126]
	v_add_f64_e32 v[119:120], v[6:7], v[133:134]
	v_add_f64_e32 v[2:3], v[2:3], v[135:136]
	scratch_load_b128 v[6:9], off, off offset:480
	v_fma_f64 v[85:86], v[85:86], v[123:124], v[137:138]
	v_fma_f64 v[135:136], v[83:84], v[123:124], -v[125:126]
	ds_load_b128 v[123:126], v1 offset:896
	s_wait_loadcnt_dscnt 0x801
	v_mul_f64_e32 v[131:132], v[127:128], v[81:82]
	v_mul_f64_e32 v[133:134], v[129:130], v[81:82]
	ds_load_b128 v[81:84], v1 offset:880
	v_add_f64_e32 v[2:3], v[2:3], v[10:11]
	v_add_f64_e32 v[10:11], v[119:120], v[121:122]
	scratch_load_b128 v[119:122], off, off offset:496
	s_wait_loadcnt_dscnt 0x800
	v_mul_f64_e32 v[137:138], v[81:82], v[109:110]
	v_mul_f64_e32 v[109:110], v[83:84], v[109:110]
	v_fma_f64 v[131:132], v[129:130], v[79:80], v[131:132]
	v_fma_f64 v[79:80], v[127:128], v[79:80], -v[133:134]
	scratch_load_b128 v[127:130], off, off offset:512
	v_add_f64_e32 v[2:3], v[2:3], v[135:136]
	v_add_f64_e32 v[10:11], v[10:11], v[85:86]
	s_wait_loadcnt 0x8
	v_mul_f64_e32 v[133:134], v[123:124], v[89:90]
	v_mul_f64_e32 v[89:90], v[125:126], v[89:90]
	v_fma_f64 v[135:136], v[83:84], v[107:108], v[137:138]
	v_fma_f64 v[137:138], v[81:82], v[107:108], -v[109:110]
	scratch_load_b128 v[83:86], off, off offset:528
	ds_load_b128 v[107:110], v1 offset:928
	v_add_f64_e32 v[2:3], v[2:3], v[79:80]
	v_add_f64_e32 v[10:11], v[10:11], v[131:132]
	ds_load_b128 v[79:82], v1 offset:912
	v_fma_f64 v[125:126], v[125:126], v[87:88], v[133:134]
	v_fma_f64 v[87:88], v[123:124], v[87:88], -v[89:90]
	s_wait_loadcnt_dscnt 0x800
	v_mul_f64_e32 v[131:132], v[79:80], v[93:94]
	v_mul_f64_e32 v[93:94], v[81:82], v[93:94]
	s_wait_loadcnt 0x7
	v_mul_f64_e32 v[123:124], v[107:108], v[97:98]
	v_mul_f64_e32 v[97:98], v[109:110], v[97:98]
	v_add_f64_e32 v[2:3], v[2:3], v[137:138]
	v_add_f64_e32 v[10:11], v[10:11], v[135:136]
	v_fma_f64 v[131:132], v[81:82], v[91:92], v[131:132]
	v_fma_f64 v[91:92], v[79:80], v[91:92], -v[93:94]
	v_fma_f64 v[109:110], v[109:110], v[95:96], v[123:124]
	v_fma_f64 v[95:96], v[107:108], v[95:96], -v[97:98]
	v_add_f64_e32 v[2:3], v[2:3], v[87:88]
	v_add_f64_e32 v[10:11], v[10:11], v[125:126]
	ds_load_b128 v[79:82], v1 offset:944
	ds_load_b128 v[87:90], v1 offset:960
	s_wait_loadcnt_dscnt 0x601
	v_mul_f64_e32 v[93:94], v[79:80], v[101:102]
	v_mul_f64_e32 v[101:102], v[81:82], v[101:102]
	s_wait_loadcnt_dscnt 0x500
	v_mul_f64_e32 v[97:98], v[87:88], v[105:106]
	v_mul_f64_e32 v[105:106], v[89:90], v[105:106]
	v_add_f64_e32 v[2:3], v[2:3], v[91:92]
	v_add_f64_e32 v[10:11], v[10:11], v[131:132]
	v_fma_f64 v[107:108], v[81:82], v[99:100], v[93:94]
	v_fma_f64 v[99:100], v[79:80], v[99:100], -v[101:102]
	ds_load_b128 v[79:82], v1 offset:976
	ds_load_b128 v[91:94], v1 offset:992
	v_fma_f64 v[89:90], v[89:90], v[103:104], v[97:98]
	v_fma_f64 v[87:88], v[87:88], v[103:104], -v[105:106]
	v_add_f64_e32 v[2:3], v[2:3], v[95:96]
	v_add_f64_e32 v[10:11], v[10:11], v[109:110]
	s_wait_loadcnt_dscnt 0x401
	v_mul_f64_e32 v[95:96], v[79:80], v[113:114]
	v_mul_f64_e32 v[101:102], v[81:82], v[113:114]
	s_delay_alu instid0(VALU_DEP_4) | instskip(NEXT) | instid1(VALU_DEP_4)
	v_add_f64_e32 v[2:3], v[2:3], v[99:100]
	v_add_f64_e32 v[10:11], v[10:11], v[107:108]
	s_delay_alu instid0(VALU_DEP_4) | instskip(NEXT) | instid1(VALU_DEP_4)
	v_fma_f64 v[95:96], v[81:82], v[111:112], v[95:96]
	v_fma_f64 v[101:102], v[79:80], v[111:112], -v[101:102]
	s_wait_loadcnt_dscnt 0x300
	v_mul_f64_e32 v[97:98], v[91:92], v[8:9]
	v_mul_f64_e32 v[99:100], v[93:94], v[8:9]
	v_add_f64_e32 v[2:3], v[2:3], v[87:88]
	v_add_f64_e32 v[87:88], v[10:11], v[89:90]
	ds_load_b128 v[8:11], v1 offset:1008
	ds_load_b128 v[79:82], v1 offset:1024
	v_fma_f64 v[93:94], v[93:94], v[6:7], v[97:98]
	v_fma_f64 v[6:7], v[91:92], v[6:7], -v[99:100]
	s_wait_loadcnt_dscnt 0x201
	v_mul_f64_e32 v[89:90], v[8:9], v[121:122]
	v_mul_f64_e32 v[103:104], v[10:11], v[121:122]
	s_wait_loadcnt_dscnt 0x100
	v_mul_f64_e32 v[91:92], v[79:80], v[129:130]
	v_add_f64_e32 v[2:3], v[2:3], v[101:102]
	v_add_f64_e32 v[87:88], v[87:88], v[95:96]
	v_mul_f64_e32 v[95:96], v[81:82], v[129:130]
	v_fma_f64 v[10:11], v[10:11], v[119:120], v[89:90]
	v_fma_f64 v[89:90], v[8:9], v[119:120], -v[103:104]
	v_fma_f64 v[81:82], v[81:82], v[127:128], v[91:92]
	v_add_f64_e32 v[2:3], v[2:3], v[6:7]
	v_add_f64_e32 v[87:88], v[87:88], v[93:94]
	ds_load_b128 v[6:9], v1 offset:1040
	v_fma_f64 v[79:80], v[79:80], v[127:128], -v[95:96]
	s_wait_loadcnt_dscnt 0x0
	v_mul_f64_e32 v[93:94], v[6:7], v[85:86]
	v_mul_f64_e32 v[85:86], v[8:9], v[85:86]
	v_add_f64_e32 v[2:3], v[2:3], v[89:90]
	v_add_f64_e32 v[10:11], v[87:88], v[10:11]
	s_delay_alu instid0(VALU_DEP_4) | instskip(NEXT) | instid1(VALU_DEP_4)
	v_fma_f64 v[8:9], v[8:9], v[83:84], v[93:94]
	v_fma_f64 v[6:7], v[6:7], v[83:84], -v[85:86]
	s_delay_alu instid0(VALU_DEP_4) | instskip(NEXT) | instid1(VALU_DEP_4)
	v_add_f64_e32 v[2:3], v[2:3], v[79:80]
	v_add_f64_e32 v[10:11], v[10:11], v[81:82]
	s_delay_alu instid0(VALU_DEP_2) | instskip(NEXT) | instid1(VALU_DEP_2)
	v_add_f64_e32 v[2:3], v[2:3], v[6:7]
	v_add_f64_e32 v[8:9], v[10:11], v[8:9]
	s_delay_alu instid0(VALU_DEP_2) | instskip(NEXT) | instid1(VALU_DEP_2)
	v_add_f64_e64 v[6:7], v[115:116], -v[2:3]
	v_add_f64_e64 v[8:9], v[117:118], -v[8:9]
	scratch_store_b128 off, v[6:9], off offset:160
	v_cmpx_lt_u32_e32 8, v0
	s_cbranch_execz .LBB96_195
; %bb.194:
	scratch_load_b128 v[6:9], off, s10
	v_dual_mov_b32 v2, v1 :: v_dual_mov_b32 v3, v1
	v_mov_b32_e32 v4, v1
	scratch_store_b128 off, v[1:4], off offset:144
	s_wait_loadcnt 0x0
	ds_store_b128 v5, v[6:9]
.LBB96_195:
	s_wait_alu 0xfffe
	s_or_b32 exec_lo, exec_lo, s0
	s_wait_storecnt_dscnt 0x0
	s_barrier_signal -1
	s_barrier_wait -1
	global_inv scope:SCOPE_SE
	s_clause 0x8
	scratch_load_b128 v[6:9], off, off offset:160
	scratch_load_b128 v[79:82], off, off offset:176
	;; [unrolled: 1-line block ×9, first 2 shown]
	ds_load_b128 v[111:114], v1 offset:672
	ds_load_b128 v[115:118], v1 offset:688
	scratch_load_b128 v[119:122], off, off offset:144
	s_mov_b32 s0, exec_lo
	ds_load_b128 v[127:130], v1 offset:720
	s_wait_loadcnt_dscnt 0x902
	v_mul_f64_e32 v[2:3], v[113:114], v[8:9]
	v_mul_f64_e32 v[123:124], v[111:112], v[8:9]
	scratch_load_b128 v[8:11], off, off offset:304
	s_wait_loadcnt_dscnt 0x901
	v_mul_f64_e32 v[131:132], v[115:116], v[81:82]
	v_mul_f64_e32 v[81:82], v[117:118], v[81:82]
	v_fma_f64 v[2:3], v[111:112], v[6:7], -v[2:3]
	v_fma_f64 v[6:7], v[113:114], v[6:7], v[123:124]
	ds_load_b128 v[111:114], v1 offset:704
	scratch_load_b128 v[123:126], off, off offset:320
	v_fma_f64 v[117:118], v[117:118], v[79:80], v[131:132]
	v_fma_f64 v[115:116], v[115:116], v[79:80], -v[81:82]
	scratch_load_b128 v[79:82], off, off offset:336
	s_wait_loadcnt_dscnt 0x901
	v_mul_f64_e32 v[131:132], v[127:128], v[89:90]
	v_mul_f64_e32 v[89:90], v[129:130], v[89:90]
	s_wait_dscnt 0x0
	v_mul_f64_e32 v[133:134], v[111:112], v[85:86]
	v_mul_f64_e32 v[85:86], v[113:114], v[85:86]
	v_add_f64_e32 v[2:3], 0, v[2:3]
	v_add_f64_e32 v[6:7], 0, v[6:7]
	v_fma_f64 v[129:130], v[129:130], v[87:88], v[131:132]
	v_fma_f64 v[127:128], v[127:128], v[87:88], -v[89:90]
	scratch_load_b128 v[87:90], off, off offset:368
	v_fma_f64 v[133:134], v[113:114], v[83:84], v[133:134]
	v_fma_f64 v[135:136], v[111:112], v[83:84], -v[85:86]
	ds_load_b128 v[83:86], v1 offset:736
	scratch_load_b128 v[111:114], off, off offset:352
	v_add_f64_e32 v[2:3], v[2:3], v[115:116]
	v_add_f64_e32 v[6:7], v[6:7], v[117:118]
	ds_load_b128 v[115:118], v1 offset:752
	s_wait_loadcnt_dscnt 0xa01
	v_mul_f64_e32 v[137:138], v[83:84], v[93:94]
	v_mul_f64_e32 v[93:94], v[85:86], v[93:94]
	s_wait_loadcnt_dscnt 0x900
	v_mul_f64_e32 v[131:132], v[115:116], v[97:98]
	v_mul_f64_e32 v[97:98], v[117:118], v[97:98]
	v_add_f64_e32 v[2:3], v[2:3], v[135:136]
	v_add_f64_e32 v[6:7], v[6:7], v[133:134]
	v_fma_f64 v[133:134], v[85:86], v[91:92], v[137:138]
	v_fma_f64 v[135:136], v[83:84], v[91:92], -v[93:94]
	ds_load_b128 v[83:86], v1 offset:768
	scratch_load_b128 v[91:94], off, off offset:384
	v_fma_f64 v[117:118], v[117:118], v[95:96], v[131:132]
	v_fma_f64 v[115:116], v[115:116], v[95:96], -v[97:98]
	scratch_load_b128 v[95:98], off, off offset:400
	v_add_f64_e32 v[2:3], v[2:3], v[127:128]
	v_add_f64_e32 v[6:7], v[6:7], v[129:130]
	ds_load_b128 v[127:130], v1 offset:784
	s_wait_loadcnt_dscnt 0xa01
	v_mul_f64_e32 v[137:138], v[83:84], v[101:102]
	v_mul_f64_e32 v[101:102], v[85:86], v[101:102]
	s_wait_loadcnt_dscnt 0x900
	v_mul_f64_e32 v[131:132], v[127:128], v[105:106]
	v_mul_f64_e32 v[105:106], v[129:130], v[105:106]
	v_add_f64_e32 v[2:3], v[2:3], v[135:136]
	v_add_f64_e32 v[6:7], v[6:7], v[133:134]
	v_fma_f64 v[133:134], v[85:86], v[99:100], v[137:138]
	v_fma_f64 v[135:136], v[83:84], v[99:100], -v[101:102]
	ds_load_b128 v[83:86], v1 offset:800
	scratch_load_b128 v[99:102], off, off offset:416
	v_fma_f64 v[129:130], v[129:130], v[103:104], v[131:132]
	v_fma_f64 v[127:128], v[127:128], v[103:104], -v[105:106]
	scratch_load_b128 v[103:106], off, off offset:432
	v_add_f64_e32 v[2:3], v[2:3], v[115:116]
	v_add_f64_e32 v[6:7], v[6:7], v[117:118]
	ds_load_b128 v[115:118], v1 offset:816
	s_wait_loadcnt_dscnt 0xa01
	v_mul_f64_e32 v[137:138], v[83:84], v[109:110]
	v_mul_f64_e32 v[109:110], v[85:86], v[109:110]
	v_add_f64_e32 v[2:3], v[2:3], v[135:136]
	v_add_f64_e32 v[6:7], v[6:7], v[133:134]
	s_delay_alu instid0(VALU_DEP_4) | instskip(NEXT) | instid1(VALU_DEP_4)
	v_fma_f64 v[133:134], v[85:86], v[107:108], v[137:138]
	v_fma_f64 v[135:136], v[83:84], v[107:108], -v[109:110]
	ds_load_b128 v[83:86], v1 offset:832
	scratch_load_b128 v[107:110], off, off offset:448
	s_wait_loadcnt_dscnt 0x901
	v_mul_f64_e32 v[131:132], v[115:116], v[10:11]
	v_mul_f64_e32 v[10:11], v[117:118], v[10:11]
	v_add_f64_e32 v[2:3], v[2:3], v[127:128]
	v_add_f64_e32 v[6:7], v[6:7], v[129:130]
	ds_load_b128 v[127:130], v1 offset:848
	v_fma_f64 v[117:118], v[117:118], v[8:9], v[131:132]
	s_wait_loadcnt_dscnt 0x801
	v_mul_f64_e32 v[137:138], v[83:84], v[125:126]
	v_mul_f64_e32 v[125:126], v[85:86], v[125:126]
	v_fma_f64 v[10:11], v[115:116], v[8:9], -v[10:11]
	s_wait_loadcnt_dscnt 0x700
	v_mul_f64_e32 v[131:132], v[127:128], v[81:82]
	v_add_f64_e32 v[2:3], v[2:3], v[135:136]
	v_add_f64_e32 v[115:116], v[6:7], v[133:134]
	scratch_load_b128 v[6:9], off, off offset:464
	v_mul_f64_e32 v[133:134], v[129:130], v[81:82]
	v_fma_f64 v[85:86], v[85:86], v[123:124], v[137:138]
	v_fma_f64 v[135:136], v[83:84], v[123:124], -v[125:126]
	ds_load_b128 v[81:84], v1 offset:864
	ds_load_b128 v[123:126], v1 offset:880
	v_fma_f64 v[131:132], v[129:130], v[79:80], v[131:132]
	v_add_f64_e32 v[2:3], v[2:3], v[10:11]
	v_add_f64_e32 v[10:11], v[115:116], v[117:118]
	scratch_load_b128 v[115:118], off, off offset:480
	s_wait_loadcnt_dscnt 0x701
	v_mul_f64_e32 v[137:138], v[81:82], v[113:114]
	v_mul_f64_e32 v[113:114], v[83:84], v[113:114]
	v_fma_f64 v[79:80], v[127:128], v[79:80], -v[133:134]
	scratch_load_b128 v[127:130], off, off offset:496
	s_wait_dscnt 0x0
	v_mul_f64_e32 v[133:134], v[123:124], v[89:90]
	v_mul_f64_e32 v[89:90], v[125:126], v[89:90]
	v_add_f64_e32 v[2:3], v[2:3], v[135:136]
	v_add_f64_e32 v[10:11], v[10:11], v[85:86]
	v_fma_f64 v[135:136], v[83:84], v[111:112], v[137:138]
	v_fma_f64 v[137:138], v[81:82], v[111:112], -v[113:114]
	scratch_load_b128 v[83:86], off, off offset:512
	ds_load_b128 v[111:114], v1 offset:912
	v_fma_f64 v[125:126], v[125:126], v[87:88], v[133:134]
	v_fma_f64 v[123:124], v[123:124], v[87:88], -v[89:90]
	scratch_load_b128 v[87:90], off, off offset:528
	v_add_f64_e32 v[2:3], v[2:3], v[79:80]
	v_add_f64_e32 v[10:11], v[10:11], v[131:132]
	ds_load_b128 v[79:82], v1 offset:896
	s_wait_loadcnt_dscnt 0x801
	v_mul_f64_e32 v[133:134], v[111:112], v[97:98]
	v_mul_f64_e32 v[97:98], v[113:114], v[97:98]
	s_wait_dscnt 0x0
	v_mul_f64_e32 v[131:132], v[79:80], v[93:94]
	v_mul_f64_e32 v[93:94], v[81:82], v[93:94]
	v_add_f64_e32 v[2:3], v[2:3], v[137:138]
	v_add_f64_e32 v[10:11], v[10:11], v[135:136]
	v_fma_f64 v[113:114], v[113:114], v[95:96], v[133:134]
	v_fma_f64 v[95:96], v[111:112], v[95:96], -v[97:98]
	v_fma_f64 v[131:132], v[81:82], v[91:92], v[131:132]
	v_fma_f64 v[135:136], v[79:80], v[91:92], -v[93:94]
	ds_load_b128 v[79:82], v1 offset:928
	ds_load_b128 v[91:94], v1 offset:944
	v_add_f64_e32 v[2:3], v[2:3], v[123:124]
	v_add_f64_e32 v[10:11], v[10:11], v[125:126]
	s_wait_loadcnt_dscnt 0x701
	v_mul_f64_e32 v[123:124], v[79:80], v[101:102]
	v_mul_f64_e32 v[101:102], v[81:82], v[101:102]
	s_wait_loadcnt_dscnt 0x600
	v_mul_f64_e32 v[111:112], v[91:92], v[105:106]
	v_mul_f64_e32 v[105:106], v[93:94], v[105:106]
	v_add_f64_e32 v[2:3], v[2:3], v[135:136]
	v_add_f64_e32 v[10:11], v[10:11], v[131:132]
	v_fma_f64 v[123:124], v[81:82], v[99:100], v[123:124]
	v_fma_f64 v[99:100], v[79:80], v[99:100], -v[101:102]
	v_fma_f64 v[93:94], v[93:94], v[103:104], v[111:112]
	v_fma_f64 v[91:92], v[91:92], v[103:104], -v[105:106]
	v_add_f64_e32 v[2:3], v[2:3], v[95:96]
	v_add_f64_e32 v[10:11], v[10:11], v[113:114]
	ds_load_b128 v[79:82], v1 offset:960
	ds_load_b128 v[95:98], v1 offset:976
	s_wait_loadcnt_dscnt 0x501
	v_mul_f64_e32 v[101:102], v[79:80], v[109:110]
	v_mul_f64_e32 v[109:110], v[81:82], v[109:110]
	v_add_f64_e32 v[2:3], v[2:3], v[99:100]
	v_add_f64_e32 v[10:11], v[10:11], v[123:124]
	s_wait_loadcnt_dscnt 0x400
	v_mul_f64_e32 v[99:100], v[95:96], v[8:9]
	v_mul_f64_e32 v[103:104], v[97:98], v[8:9]
	v_fma_f64 v[101:102], v[81:82], v[107:108], v[101:102]
	v_fma_f64 v[105:106], v[79:80], v[107:108], -v[109:110]
	v_add_f64_e32 v[2:3], v[2:3], v[91:92]
	v_add_f64_e32 v[91:92], v[10:11], v[93:94]
	ds_load_b128 v[8:11], v1 offset:992
	ds_load_b128 v[79:82], v1 offset:1008
	v_fma_f64 v[97:98], v[97:98], v[6:7], v[99:100]
	v_fma_f64 v[6:7], v[95:96], v[6:7], -v[103:104]
	s_wait_loadcnt_dscnt 0x301
	v_mul_f64_e32 v[93:94], v[8:9], v[117:118]
	v_mul_f64_e32 v[107:108], v[10:11], v[117:118]
	s_wait_loadcnt_dscnt 0x200
	v_mul_f64_e32 v[95:96], v[79:80], v[129:130]
	v_mul_f64_e32 v[99:100], v[81:82], v[129:130]
	v_add_f64_e32 v[2:3], v[2:3], v[105:106]
	v_add_f64_e32 v[91:92], v[91:92], v[101:102]
	v_fma_f64 v[10:11], v[10:11], v[115:116], v[93:94]
	v_fma_f64 v[93:94], v[8:9], v[115:116], -v[107:108]
	v_fma_f64 v[81:82], v[81:82], v[127:128], v[95:96]
	v_fma_f64 v[79:80], v[79:80], v[127:128], -v[99:100]
	v_add_f64_e32 v[101:102], v[2:3], v[6:7]
	v_add_f64_e32 v[91:92], v[91:92], v[97:98]
	ds_load_b128 v[6:9], v1 offset:1024
	ds_load_b128 v[1:4], v1 offset:1040
	s_wait_loadcnt_dscnt 0x101
	v_mul_f64_e32 v[97:98], v[6:7], v[85:86]
	v_mul_f64_e32 v[85:86], v[8:9], v[85:86]
	v_add_f64_e32 v[93:94], v[101:102], v[93:94]
	v_add_f64_e32 v[10:11], v[91:92], v[10:11]
	s_wait_loadcnt_dscnt 0x0
	v_mul_f64_e32 v[91:92], v[1:2], v[89:90]
	v_mul_f64_e32 v[89:90], v[3:4], v[89:90]
	v_fma_f64 v[8:9], v[8:9], v[83:84], v[97:98]
	v_fma_f64 v[6:7], v[6:7], v[83:84], -v[85:86]
	v_add_f64_e32 v[79:80], v[93:94], v[79:80]
	v_add_f64_e32 v[10:11], v[10:11], v[81:82]
	v_fma_f64 v[3:4], v[3:4], v[87:88], v[91:92]
	v_fma_f64 v[1:2], v[1:2], v[87:88], -v[89:90]
	s_delay_alu instid0(VALU_DEP_4) | instskip(NEXT) | instid1(VALU_DEP_4)
	v_add_f64_e32 v[6:7], v[79:80], v[6:7]
	v_add_f64_e32 v[8:9], v[10:11], v[8:9]
	s_delay_alu instid0(VALU_DEP_2) | instskip(NEXT) | instid1(VALU_DEP_2)
	v_add_f64_e32 v[1:2], v[6:7], v[1:2]
	v_add_f64_e32 v[3:4], v[8:9], v[3:4]
	s_delay_alu instid0(VALU_DEP_2) | instskip(NEXT) | instid1(VALU_DEP_2)
	v_add_f64_e64 v[1:2], v[119:120], -v[1:2]
	v_add_f64_e64 v[3:4], v[121:122], -v[3:4]
	scratch_store_b128 off, v[1:4], off offset:144
	v_cmpx_lt_u32_e32 7, v0
	s_cbranch_execz .LBB96_197
; %bb.196:
	scratch_load_b128 v[1:4], off, s26
	v_mov_b32_e32 v6, 0
	s_delay_alu instid0(VALU_DEP_1)
	v_dual_mov_b32 v7, v6 :: v_dual_mov_b32 v8, v6
	v_mov_b32_e32 v9, v6
	scratch_store_b128 off, v[6:9], off offset:128
	s_wait_loadcnt 0x0
	ds_store_b128 v5, v[1:4]
.LBB96_197:
	s_wait_alu 0xfffe
	s_or_b32 exec_lo, exec_lo, s0
	s_wait_storecnt_dscnt 0x0
	s_barrier_signal -1
	s_barrier_wait -1
	global_inv scope:SCOPE_SE
	s_clause 0x7
	scratch_load_b128 v[6:9], off, off offset:144
	scratch_load_b128 v[79:82], off, off offset:160
	;; [unrolled: 1-line block ×8, first 2 shown]
	v_mov_b32_e32 v1, 0
	s_mov_b32 s0, exec_lo
	ds_load_b128 v[107:110], v1 offset:656
	s_clause 0x1
	scratch_load_b128 v[111:114], off, off offset:272
	scratch_load_b128 v[115:118], off, off offset:128
	ds_load_b128 v[119:122], v1 offset:672
	ds_load_b128 v[127:130], v1 offset:704
	s_wait_loadcnt_dscnt 0x902
	v_mul_f64_e32 v[2:3], v[109:110], v[8:9]
	v_mul_f64_e32 v[123:124], v[107:108], v[8:9]
	scratch_load_b128 v[8:11], off, off offset:288
	v_fma_f64 v[2:3], v[107:108], v[6:7], -v[2:3]
	v_fma_f64 v[6:7], v[109:110], v[6:7], v[123:124]
	ds_load_b128 v[107:110], v1 offset:688
	s_wait_loadcnt_dscnt 0x902
	v_mul_f64_e32 v[131:132], v[119:120], v[81:82]
	v_mul_f64_e32 v[81:82], v[121:122], v[81:82]
	scratch_load_b128 v[123:126], off, off offset:304
	s_wait_loadcnt_dscnt 0x900
	v_mul_f64_e32 v[133:134], v[107:108], v[85:86]
	v_mul_f64_e32 v[85:86], v[109:110], v[85:86]
	v_add_f64_e32 v[2:3], 0, v[2:3]
	v_add_f64_e32 v[6:7], 0, v[6:7]
	v_fma_f64 v[121:122], v[121:122], v[79:80], v[131:132]
	v_fma_f64 v[119:120], v[119:120], v[79:80], -v[81:82]
	scratch_load_b128 v[79:82], off, off offset:320
	v_fma_f64 v[133:134], v[109:110], v[83:84], v[133:134]
	v_fma_f64 v[135:136], v[107:108], v[83:84], -v[85:86]
	ds_load_b128 v[83:86], v1 offset:720
	s_wait_loadcnt 0x9
	v_mul_f64_e32 v[131:132], v[127:128], v[89:90]
	v_mul_f64_e32 v[89:90], v[129:130], v[89:90]
	scratch_load_b128 v[107:110], off, off offset:336
	v_add_f64_e32 v[6:7], v[6:7], v[121:122]
	v_add_f64_e32 v[2:3], v[2:3], v[119:120]
	ds_load_b128 v[119:122], v1 offset:736
	s_wait_loadcnt_dscnt 0x901
	v_mul_f64_e32 v[137:138], v[83:84], v[93:94]
	v_mul_f64_e32 v[93:94], v[85:86], v[93:94]
	v_fma_f64 v[129:130], v[129:130], v[87:88], v[131:132]
	v_fma_f64 v[127:128], v[127:128], v[87:88], -v[89:90]
	scratch_load_b128 v[87:90], off, off offset:352
	v_add_f64_e32 v[6:7], v[6:7], v[133:134]
	v_add_f64_e32 v[2:3], v[2:3], v[135:136]
	v_fma_f64 v[133:134], v[85:86], v[91:92], v[137:138]
	v_fma_f64 v[135:136], v[83:84], v[91:92], -v[93:94]
	ds_load_b128 v[83:86], v1 offset:752
	s_wait_loadcnt_dscnt 0x901
	v_mul_f64_e32 v[131:132], v[119:120], v[97:98]
	v_mul_f64_e32 v[97:98], v[121:122], v[97:98]
	scratch_load_b128 v[91:94], off, off offset:368
	s_wait_loadcnt_dscnt 0x900
	v_mul_f64_e32 v[137:138], v[83:84], v[101:102]
	v_mul_f64_e32 v[101:102], v[85:86], v[101:102]
	v_add_f64_e32 v[6:7], v[6:7], v[129:130]
	v_add_f64_e32 v[2:3], v[2:3], v[127:128]
	ds_load_b128 v[127:130], v1 offset:768
	v_fma_f64 v[121:122], v[121:122], v[95:96], v[131:132]
	v_fma_f64 v[119:120], v[119:120], v[95:96], -v[97:98]
	scratch_load_b128 v[95:98], off, off offset:384
	v_add_f64_e32 v[6:7], v[6:7], v[133:134]
	v_add_f64_e32 v[2:3], v[2:3], v[135:136]
	v_fma_f64 v[133:134], v[85:86], v[99:100], v[137:138]
	v_fma_f64 v[135:136], v[83:84], v[99:100], -v[101:102]
	ds_load_b128 v[83:86], v1 offset:784
	s_wait_loadcnt_dscnt 0x901
	v_mul_f64_e32 v[131:132], v[127:128], v[105:106]
	v_mul_f64_e32 v[105:106], v[129:130], v[105:106]
	scratch_load_b128 v[99:102], off, off offset:400
	s_wait_loadcnt_dscnt 0x900
	v_mul_f64_e32 v[137:138], v[83:84], v[113:114]
	v_mul_f64_e32 v[113:114], v[85:86], v[113:114]
	v_add_f64_e32 v[6:7], v[6:7], v[121:122]
	v_add_f64_e32 v[2:3], v[2:3], v[119:120]
	ds_load_b128 v[119:122], v1 offset:800
	v_fma_f64 v[129:130], v[129:130], v[103:104], v[131:132]
	v_fma_f64 v[127:128], v[127:128], v[103:104], -v[105:106]
	scratch_load_b128 v[103:106], off, off offset:416
	v_add_f64_e32 v[6:7], v[6:7], v[133:134]
	v_add_f64_e32 v[2:3], v[2:3], v[135:136]
	v_fma_f64 v[133:134], v[85:86], v[111:112], v[137:138]
	v_fma_f64 v[135:136], v[83:84], v[111:112], -v[113:114]
	ds_load_b128 v[83:86], v1 offset:816
	scratch_load_b128 v[111:114], off, off offset:432
	s_wait_loadcnt_dscnt 0x901
	v_mul_f64_e32 v[131:132], v[119:120], v[10:11]
	v_mul_f64_e32 v[10:11], v[121:122], v[10:11]
	v_add_f64_e32 v[6:7], v[6:7], v[129:130]
	v_add_f64_e32 v[2:3], v[2:3], v[127:128]
	ds_load_b128 v[127:130], v1 offset:832
	v_fma_f64 v[121:122], v[121:122], v[8:9], v[131:132]
	v_fma_f64 v[10:11], v[119:120], v[8:9], -v[10:11]
	s_wait_loadcnt_dscnt 0x801
	v_mul_f64_e32 v[137:138], v[83:84], v[125:126]
	v_mul_f64_e32 v[125:126], v[85:86], v[125:126]
	v_add_f64_e32 v[119:120], v[6:7], v[133:134]
	v_add_f64_e32 v[2:3], v[2:3], v[135:136]
	scratch_load_b128 v[6:9], off, off offset:448
	v_fma_f64 v[85:86], v[85:86], v[123:124], v[137:138]
	v_fma_f64 v[135:136], v[83:84], v[123:124], -v[125:126]
	ds_load_b128 v[123:126], v1 offset:864
	s_wait_loadcnt_dscnt 0x801
	v_mul_f64_e32 v[131:132], v[127:128], v[81:82]
	v_mul_f64_e32 v[133:134], v[129:130], v[81:82]
	ds_load_b128 v[81:84], v1 offset:848
	v_add_f64_e32 v[2:3], v[2:3], v[10:11]
	v_add_f64_e32 v[10:11], v[119:120], v[121:122]
	scratch_load_b128 v[119:122], off, off offset:464
	s_wait_loadcnt_dscnt 0x800
	v_mul_f64_e32 v[137:138], v[81:82], v[109:110]
	v_mul_f64_e32 v[109:110], v[83:84], v[109:110]
	v_fma_f64 v[131:132], v[129:130], v[79:80], v[131:132]
	v_fma_f64 v[79:80], v[127:128], v[79:80], -v[133:134]
	scratch_load_b128 v[127:130], off, off offset:480
	v_add_f64_e32 v[2:3], v[2:3], v[135:136]
	v_add_f64_e32 v[10:11], v[10:11], v[85:86]
	s_wait_loadcnt 0x8
	v_mul_f64_e32 v[133:134], v[123:124], v[89:90]
	v_mul_f64_e32 v[89:90], v[125:126], v[89:90]
	v_fma_f64 v[135:136], v[83:84], v[107:108], v[137:138]
	v_fma_f64 v[137:138], v[81:82], v[107:108], -v[109:110]
	scratch_load_b128 v[83:86], off, off offset:496
	ds_load_b128 v[107:110], v1 offset:896
	v_add_f64_e32 v[2:3], v[2:3], v[79:80]
	v_add_f64_e32 v[10:11], v[10:11], v[131:132]
	ds_load_b128 v[79:82], v1 offset:880
	v_fma_f64 v[125:126], v[125:126], v[87:88], v[133:134]
	v_fma_f64 v[123:124], v[123:124], v[87:88], -v[89:90]
	scratch_load_b128 v[87:90], off, off offset:512
	s_wait_loadcnt_dscnt 0x900
	v_mul_f64_e32 v[131:132], v[79:80], v[93:94]
	v_mul_f64_e32 v[93:94], v[81:82], v[93:94]
	s_wait_loadcnt 0x8
	v_mul_f64_e32 v[133:134], v[107:108], v[97:98]
	v_mul_f64_e32 v[97:98], v[109:110], v[97:98]
	v_add_f64_e32 v[2:3], v[2:3], v[137:138]
	v_add_f64_e32 v[10:11], v[10:11], v[135:136]
	v_fma_f64 v[131:132], v[81:82], v[91:92], v[131:132]
	v_fma_f64 v[135:136], v[79:80], v[91:92], -v[93:94]
	ds_load_b128 v[79:82], v1 offset:912
	scratch_load_b128 v[91:94], off, off offset:528
	v_fma_f64 v[109:110], v[109:110], v[95:96], v[133:134]
	v_fma_f64 v[95:96], v[107:108], v[95:96], -v[97:98]
	v_add_f64_e32 v[2:3], v[2:3], v[123:124]
	v_add_f64_e32 v[10:11], v[10:11], v[125:126]
	ds_load_b128 v[123:126], v1 offset:928
	s_wait_loadcnt_dscnt 0x801
	v_mul_f64_e32 v[137:138], v[79:80], v[101:102]
	v_mul_f64_e32 v[101:102], v[81:82], v[101:102]
	s_wait_loadcnt_dscnt 0x700
	v_mul_f64_e32 v[107:108], v[123:124], v[105:106]
	v_mul_f64_e32 v[105:106], v[125:126], v[105:106]
	v_add_f64_e32 v[2:3], v[2:3], v[135:136]
	v_add_f64_e32 v[10:11], v[10:11], v[131:132]
	v_fma_f64 v[131:132], v[81:82], v[99:100], v[137:138]
	v_fma_f64 v[99:100], v[79:80], v[99:100], -v[101:102]
	v_fma_f64 v[107:108], v[125:126], v[103:104], v[107:108]
	v_fma_f64 v[103:104], v[123:124], v[103:104], -v[105:106]
	v_add_f64_e32 v[2:3], v[2:3], v[95:96]
	v_add_f64_e32 v[10:11], v[10:11], v[109:110]
	ds_load_b128 v[79:82], v1 offset:944
	ds_load_b128 v[95:98], v1 offset:960
	s_wait_loadcnt_dscnt 0x601
	v_mul_f64_e32 v[101:102], v[79:80], v[113:114]
	v_mul_f64_e32 v[109:110], v[81:82], v[113:114]
	v_add_f64_e32 v[2:3], v[2:3], v[99:100]
	v_add_f64_e32 v[10:11], v[10:11], v[131:132]
	s_wait_loadcnt_dscnt 0x500
	v_mul_f64_e32 v[99:100], v[95:96], v[8:9]
	v_mul_f64_e32 v[105:106], v[97:98], v[8:9]
	v_fma_f64 v[101:102], v[81:82], v[111:112], v[101:102]
	v_fma_f64 v[109:110], v[79:80], v[111:112], -v[109:110]
	v_add_f64_e32 v[2:3], v[2:3], v[103:104]
	v_add_f64_e32 v[103:104], v[10:11], v[107:108]
	ds_load_b128 v[8:11], v1 offset:976
	ds_load_b128 v[79:82], v1 offset:992
	v_fma_f64 v[97:98], v[97:98], v[6:7], v[99:100]
	v_fma_f64 v[6:7], v[95:96], v[6:7], -v[105:106]
	s_wait_loadcnt_dscnt 0x401
	v_mul_f64_e32 v[107:108], v[8:9], v[121:122]
	v_mul_f64_e32 v[111:112], v[10:11], v[121:122]
	s_wait_loadcnt_dscnt 0x300
	v_mul_f64_e32 v[99:100], v[79:80], v[129:130]
	v_add_f64_e32 v[2:3], v[2:3], v[109:110]
	v_add_f64_e32 v[95:96], v[103:104], v[101:102]
	v_mul_f64_e32 v[101:102], v[81:82], v[129:130]
	v_fma_f64 v[10:11], v[10:11], v[119:120], v[107:108]
	v_fma_f64 v[103:104], v[8:9], v[119:120], -v[111:112]
	v_fma_f64 v[81:82], v[81:82], v[127:128], v[99:100]
	v_add_f64_e32 v[2:3], v[2:3], v[6:7]
	v_add_f64_e32 v[105:106], v[95:96], v[97:98]
	ds_load_b128 v[6:9], v1 offset:1008
	ds_load_b128 v[95:98], v1 offset:1024
	v_fma_f64 v[79:80], v[79:80], v[127:128], -v[101:102]
	s_wait_loadcnt_dscnt 0x201
	v_mul_f64_e32 v[107:108], v[6:7], v[85:86]
	v_mul_f64_e32 v[85:86], v[8:9], v[85:86]
	s_wait_loadcnt_dscnt 0x100
	v_mul_f64_e32 v[99:100], v[95:96], v[89:90]
	v_mul_f64_e32 v[89:90], v[97:98], v[89:90]
	v_add_f64_e32 v[2:3], v[2:3], v[103:104]
	v_add_f64_e32 v[10:11], v[105:106], v[10:11]
	v_fma_f64 v[101:102], v[8:9], v[83:84], v[107:108]
	v_fma_f64 v[83:84], v[6:7], v[83:84], -v[85:86]
	ds_load_b128 v[6:9], v1 offset:1040
	v_fma_f64 v[85:86], v[97:98], v[87:88], v[99:100]
	v_fma_f64 v[87:88], v[95:96], v[87:88], -v[89:90]
	v_add_f64_e32 v[2:3], v[2:3], v[79:80]
	v_add_f64_e32 v[10:11], v[10:11], v[81:82]
	s_wait_loadcnt_dscnt 0x0
	v_mul_f64_e32 v[79:80], v[6:7], v[93:94]
	v_mul_f64_e32 v[81:82], v[8:9], v[93:94]
	s_delay_alu instid0(VALU_DEP_4) | instskip(NEXT) | instid1(VALU_DEP_4)
	v_add_f64_e32 v[2:3], v[2:3], v[83:84]
	v_add_f64_e32 v[10:11], v[10:11], v[101:102]
	s_delay_alu instid0(VALU_DEP_4) | instskip(NEXT) | instid1(VALU_DEP_4)
	v_fma_f64 v[8:9], v[8:9], v[91:92], v[79:80]
	v_fma_f64 v[6:7], v[6:7], v[91:92], -v[81:82]
	s_delay_alu instid0(VALU_DEP_4) | instskip(NEXT) | instid1(VALU_DEP_4)
	v_add_f64_e32 v[2:3], v[2:3], v[87:88]
	v_add_f64_e32 v[10:11], v[10:11], v[85:86]
	s_delay_alu instid0(VALU_DEP_2) | instskip(NEXT) | instid1(VALU_DEP_2)
	v_add_f64_e32 v[2:3], v[2:3], v[6:7]
	v_add_f64_e32 v[8:9], v[10:11], v[8:9]
	s_delay_alu instid0(VALU_DEP_2) | instskip(NEXT) | instid1(VALU_DEP_2)
	v_add_f64_e64 v[6:7], v[115:116], -v[2:3]
	v_add_f64_e64 v[8:9], v[117:118], -v[8:9]
	scratch_store_b128 off, v[6:9], off offset:128
	v_cmpx_lt_u32_e32 6, v0
	s_cbranch_execz .LBB96_199
; %bb.198:
	scratch_load_b128 v[6:9], off, s5
	v_dual_mov_b32 v2, v1 :: v_dual_mov_b32 v3, v1
	v_mov_b32_e32 v4, v1
	scratch_store_b128 off, v[1:4], off offset:112
	s_wait_loadcnt 0x0
	ds_store_b128 v5, v[6:9]
.LBB96_199:
	s_wait_alu 0xfffe
	s_or_b32 exec_lo, exec_lo, s0
	s_wait_storecnt_dscnt 0x0
	s_barrier_signal -1
	s_barrier_wait -1
	global_inv scope:SCOPE_SE
	s_clause 0x8
	scratch_load_b128 v[6:9], off, off offset:128
	scratch_load_b128 v[79:82], off, off offset:144
	;; [unrolled: 1-line block ×9, first 2 shown]
	ds_load_b128 v[111:114], v1 offset:640
	ds_load_b128 v[115:118], v1 offset:656
	scratch_load_b128 v[119:122], off, off offset:112
	s_mov_b32 s0, exec_lo
	ds_load_b128 v[127:130], v1 offset:688
	s_wait_loadcnt_dscnt 0x902
	v_mul_f64_e32 v[2:3], v[113:114], v[8:9]
	v_mul_f64_e32 v[123:124], v[111:112], v[8:9]
	scratch_load_b128 v[8:11], off, off offset:272
	s_wait_loadcnt_dscnt 0x901
	v_mul_f64_e32 v[131:132], v[115:116], v[81:82]
	v_mul_f64_e32 v[81:82], v[117:118], v[81:82]
	v_fma_f64 v[2:3], v[111:112], v[6:7], -v[2:3]
	v_fma_f64 v[6:7], v[113:114], v[6:7], v[123:124]
	ds_load_b128 v[111:114], v1 offset:672
	scratch_load_b128 v[123:126], off, off offset:288
	v_fma_f64 v[117:118], v[117:118], v[79:80], v[131:132]
	v_fma_f64 v[115:116], v[115:116], v[79:80], -v[81:82]
	scratch_load_b128 v[79:82], off, off offset:304
	s_wait_loadcnt_dscnt 0x901
	v_mul_f64_e32 v[131:132], v[127:128], v[89:90]
	v_mul_f64_e32 v[89:90], v[129:130], v[89:90]
	s_wait_dscnt 0x0
	v_mul_f64_e32 v[133:134], v[111:112], v[85:86]
	v_mul_f64_e32 v[85:86], v[113:114], v[85:86]
	v_add_f64_e32 v[2:3], 0, v[2:3]
	v_add_f64_e32 v[6:7], 0, v[6:7]
	v_fma_f64 v[129:130], v[129:130], v[87:88], v[131:132]
	v_fma_f64 v[127:128], v[127:128], v[87:88], -v[89:90]
	scratch_load_b128 v[87:90], off, off offset:336
	v_fma_f64 v[133:134], v[113:114], v[83:84], v[133:134]
	v_fma_f64 v[135:136], v[111:112], v[83:84], -v[85:86]
	ds_load_b128 v[83:86], v1 offset:704
	scratch_load_b128 v[111:114], off, off offset:320
	v_add_f64_e32 v[2:3], v[2:3], v[115:116]
	v_add_f64_e32 v[6:7], v[6:7], v[117:118]
	ds_load_b128 v[115:118], v1 offset:720
	s_wait_loadcnt_dscnt 0xa01
	v_mul_f64_e32 v[137:138], v[83:84], v[93:94]
	v_mul_f64_e32 v[93:94], v[85:86], v[93:94]
	s_wait_loadcnt_dscnt 0x900
	v_mul_f64_e32 v[131:132], v[115:116], v[97:98]
	v_mul_f64_e32 v[97:98], v[117:118], v[97:98]
	v_add_f64_e32 v[2:3], v[2:3], v[135:136]
	v_add_f64_e32 v[6:7], v[6:7], v[133:134]
	v_fma_f64 v[133:134], v[85:86], v[91:92], v[137:138]
	v_fma_f64 v[135:136], v[83:84], v[91:92], -v[93:94]
	ds_load_b128 v[83:86], v1 offset:736
	scratch_load_b128 v[91:94], off, off offset:352
	v_fma_f64 v[117:118], v[117:118], v[95:96], v[131:132]
	v_fma_f64 v[115:116], v[115:116], v[95:96], -v[97:98]
	scratch_load_b128 v[95:98], off, off offset:368
	v_add_f64_e32 v[2:3], v[2:3], v[127:128]
	v_add_f64_e32 v[6:7], v[6:7], v[129:130]
	ds_load_b128 v[127:130], v1 offset:752
	s_wait_loadcnt_dscnt 0xa01
	v_mul_f64_e32 v[137:138], v[83:84], v[101:102]
	v_mul_f64_e32 v[101:102], v[85:86], v[101:102]
	s_wait_loadcnt_dscnt 0x900
	v_mul_f64_e32 v[131:132], v[127:128], v[105:106]
	v_mul_f64_e32 v[105:106], v[129:130], v[105:106]
	v_add_f64_e32 v[2:3], v[2:3], v[135:136]
	v_add_f64_e32 v[6:7], v[6:7], v[133:134]
	v_fma_f64 v[133:134], v[85:86], v[99:100], v[137:138]
	v_fma_f64 v[135:136], v[83:84], v[99:100], -v[101:102]
	ds_load_b128 v[83:86], v1 offset:768
	scratch_load_b128 v[99:102], off, off offset:384
	v_fma_f64 v[129:130], v[129:130], v[103:104], v[131:132]
	v_fma_f64 v[127:128], v[127:128], v[103:104], -v[105:106]
	scratch_load_b128 v[103:106], off, off offset:400
	v_add_f64_e32 v[2:3], v[2:3], v[115:116]
	v_add_f64_e32 v[6:7], v[6:7], v[117:118]
	ds_load_b128 v[115:118], v1 offset:784
	s_wait_loadcnt_dscnt 0xa01
	v_mul_f64_e32 v[137:138], v[83:84], v[109:110]
	v_mul_f64_e32 v[109:110], v[85:86], v[109:110]
	v_add_f64_e32 v[2:3], v[2:3], v[135:136]
	v_add_f64_e32 v[6:7], v[6:7], v[133:134]
	s_delay_alu instid0(VALU_DEP_4) | instskip(NEXT) | instid1(VALU_DEP_4)
	v_fma_f64 v[133:134], v[85:86], v[107:108], v[137:138]
	v_fma_f64 v[135:136], v[83:84], v[107:108], -v[109:110]
	ds_load_b128 v[83:86], v1 offset:800
	scratch_load_b128 v[107:110], off, off offset:416
	s_wait_loadcnt_dscnt 0x901
	v_mul_f64_e32 v[131:132], v[115:116], v[10:11]
	v_mul_f64_e32 v[10:11], v[117:118], v[10:11]
	v_add_f64_e32 v[2:3], v[2:3], v[127:128]
	v_add_f64_e32 v[6:7], v[6:7], v[129:130]
	ds_load_b128 v[127:130], v1 offset:816
	v_fma_f64 v[117:118], v[117:118], v[8:9], v[131:132]
	s_wait_loadcnt_dscnt 0x801
	v_mul_f64_e32 v[137:138], v[83:84], v[125:126]
	v_mul_f64_e32 v[125:126], v[85:86], v[125:126]
	v_fma_f64 v[10:11], v[115:116], v[8:9], -v[10:11]
	s_wait_loadcnt_dscnt 0x700
	v_mul_f64_e32 v[131:132], v[127:128], v[81:82]
	v_add_f64_e32 v[2:3], v[2:3], v[135:136]
	v_add_f64_e32 v[115:116], v[6:7], v[133:134]
	scratch_load_b128 v[6:9], off, off offset:432
	v_mul_f64_e32 v[133:134], v[129:130], v[81:82]
	v_fma_f64 v[85:86], v[85:86], v[123:124], v[137:138]
	v_fma_f64 v[135:136], v[83:84], v[123:124], -v[125:126]
	ds_load_b128 v[81:84], v1 offset:832
	ds_load_b128 v[123:126], v1 offset:848
	v_fma_f64 v[131:132], v[129:130], v[79:80], v[131:132]
	v_add_f64_e32 v[2:3], v[2:3], v[10:11]
	v_add_f64_e32 v[10:11], v[115:116], v[117:118]
	scratch_load_b128 v[115:118], off, off offset:448
	s_wait_loadcnt_dscnt 0x701
	v_mul_f64_e32 v[137:138], v[81:82], v[113:114]
	v_mul_f64_e32 v[113:114], v[83:84], v[113:114]
	v_fma_f64 v[79:80], v[127:128], v[79:80], -v[133:134]
	scratch_load_b128 v[127:130], off, off offset:464
	s_wait_dscnt 0x0
	v_mul_f64_e32 v[133:134], v[123:124], v[89:90]
	v_mul_f64_e32 v[89:90], v[125:126], v[89:90]
	v_add_f64_e32 v[2:3], v[2:3], v[135:136]
	v_add_f64_e32 v[10:11], v[10:11], v[85:86]
	v_fma_f64 v[135:136], v[83:84], v[111:112], v[137:138]
	v_fma_f64 v[137:138], v[81:82], v[111:112], -v[113:114]
	scratch_load_b128 v[83:86], off, off offset:480
	ds_load_b128 v[111:114], v1 offset:880
	v_fma_f64 v[125:126], v[125:126], v[87:88], v[133:134]
	v_fma_f64 v[123:124], v[123:124], v[87:88], -v[89:90]
	scratch_load_b128 v[87:90], off, off offset:496
	v_add_f64_e32 v[2:3], v[2:3], v[79:80]
	v_add_f64_e32 v[10:11], v[10:11], v[131:132]
	ds_load_b128 v[79:82], v1 offset:864
	s_wait_loadcnt_dscnt 0x801
	v_mul_f64_e32 v[133:134], v[111:112], v[97:98]
	v_mul_f64_e32 v[97:98], v[113:114], v[97:98]
	s_wait_dscnt 0x0
	v_mul_f64_e32 v[131:132], v[79:80], v[93:94]
	v_mul_f64_e32 v[93:94], v[81:82], v[93:94]
	v_add_f64_e32 v[2:3], v[2:3], v[137:138]
	v_add_f64_e32 v[10:11], v[10:11], v[135:136]
	v_fma_f64 v[113:114], v[113:114], v[95:96], v[133:134]
	v_fma_f64 v[111:112], v[111:112], v[95:96], -v[97:98]
	scratch_load_b128 v[95:98], off, off offset:528
	v_fma_f64 v[131:132], v[81:82], v[91:92], v[131:132]
	v_fma_f64 v[135:136], v[79:80], v[91:92], -v[93:94]
	ds_load_b128 v[79:82], v1 offset:896
	scratch_load_b128 v[91:94], off, off offset:512
	v_add_f64_e32 v[2:3], v[2:3], v[123:124]
	v_add_f64_e32 v[10:11], v[10:11], v[125:126]
	ds_load_b128 v[123:126], v1 offset:912
	s_wait_loadcnt_dscnt 0x901
	v_mul_f64_e32 v[137:138], v[79:80], v[101:102]
	v_mul_f64_e32 v[101:102], v[81:82], v[101:102]
	v_add_f64_e32 v[2:3], v[2:3], v[135:136]
	v_add_f64_e32 v[10:11], v[10:11], v[131:132]
	s_wait_loadcnt_dscnt 0x800
	v_mul_f64_e32 v[131:132], v[123:124], v[105:106]
	v_mul_f64_e32 v[105:106], v[125:126], v[105:106]
	v_fma_f64 v[133:134], v[81:82], v[99:100], v[137:138]
	v_fma_f64 v[135:136], v[79:80], v[99:100], -v[101:102]
	ds_load_b128 v[79:82], v1 offset:928
	ds_load_b128 v[99:102], v1 offset:944
	v_add_f64_e32 v[2:3], v[2:3], v[111:112]
	v_add_f64_e32 v[10:11], v[10:11], v[113:114]
	s_wait_loadcnt_dscnt 0x701
	v_mul_f64_e32 v[111:112], v[79:80], v[109:110]
	v_mul_f64_e32 v[109:110], v[81:82], v[109:110]
	v_fma_f64 v[113:114], v[125:126], v[103:104], v[131:132]
	v_fma_f64 v[103:104], v[123:124], v[103:104], -v[105:106]
	v_add_f64_e32 v[2:3], v[2:3], v[135:136]
	v_add_f64_e32 v[10:11], v[10:11], v[133:134]
	v_fma_f64 v[111:112], v[81:82], v[107:108], v[111:112]
	v_fma_f64 v[107:108], v[79:80], v[107:108], -v[109:110]
	s_wait_loadcnt_dscnt 0x600
	v_mul_f64_e32 v[105:106], v[99:100], v[8:9]
	v_mul_f64_e32 v[123:124], v[101:102], v[8:9]
	v_add_f64_e32 v[2:3], v[2:3], v[103:104]
	v_add_f64_e32 v[103:104], v[10:11], v[113:114]
	ds_load_b128 v[8:11], v1 offset:960
	ds_load_b128 v[79:82], v1 offset:976
	v_fma_f64 v[101:102], v[101:102], v[6:7], v[105:106]
	v_fma_f64 v[6:7], v[99:100], v[6:7], -v[123:124]
	s_wait_loadcnt_dscnt 0x501
	v_mul_f64_e32 v[109:110], v[8:9], v[117:118]
	v_mul_f64_e32 v[113:114], v[10:11], v[117:118]
	s_wait_loadcnt_dscnt 0x400
	v_mul_f64_e32 v[105:106], v[81:82], v[129:130]
	v_add_f64_e32 v[2:3], v[2:3], v[107:108]
	v_add_f64_e32 v[99:100], v[103:104], v[111:112]
	v_mul_f64_e32 v[103:104], v[79:80], v[129:130]
	v_fma_f64 v[10:11], v[10:11], v[115:116], v[109:110]
	v_fma_f64 v[107:108], v[8:9], v[115:116], -v[113:114]
	v_fma_f64 v[79:80], v[79:80], v[127:128], -v[105:106]
	v_add_f64_e32 v[2:3], v[2:3], v[6:7]
	v_add_f64_e32 v[109:110], v[99:100], v[101:102]
	ds_load_b128 v[6:9], v1 offset:992
	ds_load_b128 v[99:102], v1 offset:1008
	v_fma_f64 v[81:82], v[81:82], v[127:128], v[103:104]
	s_wait_loadcnt_dscnt 0x301
	v_mul_f64_e32 v[111:112], v[6:7], v[85:86]
	v_mul_f64_e32 v[85:86], v[8:9], v[85:86]
	s_wait_loadcnt_dscnt 0x200
	v_mul_f64_e32 v[103:104], v[99:100], v[89:90]
	v_mul_f64_e32 v[89:90], v[101:102], v[89:90]
	v_add_f64_e32 v[2:3], v[2:3], v[107:108]
	v_add_f64_e32 v[10:11], v[109:110], v[10:11]
	v_fma_f64 v[105:106], v[8:9], v[83:84], v[111:112]
	v_fma_f64 v[83:84], v[6:7], v[83:84], -v[85:86]
	s_delay_alu instid0(VALU_DEP_4) | instskip(NEXT) | instid1(VALU_DEP_4)
	v_add_f64_e32 v[79:80], v[2:3], v[79:80]
	v_add_f64_e32 v[10:11], v[10:11], v[81:82]
	ds_load_b128 v[6:9], v1 offset:1024
	ds_load_b128 v[1:4], v1 offset:1040
	s_wait_loadcnt_dscnt 0x1
	v_mul_f64_e32 v[81:82], v[6:7], v[93:94]
	v_mul_f64_e32 v[85:86], v[8:9], v[93:94]
	v_fma_f64 v[93:94], v[101:102], v[87:88], v[103:104]
	v_fma_f64 v[87:88], v[99:100], v[87:88], -v[89:90]
	s_wait_dscnt 0x0
	v_mul_f64_e32 v[89:90], v[3:4], v[97:98]
	v_add_f64_e32 v[79:80], v[79:80], v[83:84]
	v_add_f64_e32 v[10:11], v[10:11], v[105:106]
	v_mul_f64_e32 v[83:84], v[1:2], v[97:98]
	v_fma_f64 v[8:9], v[8:9], v[91:92], v[81:82]
	v_fma_f64 v[6:7], v[6:7], v[91:92], -v[85:86]
	v_fma_f64 v[1:2], v[1:2], v[95:96], -v[89:90]
	v_add_f64_e32 v[79:80], v[79:80], v[87:88]
	v_add_f64_e32 v[10:11], v[10:11], v[93:94]
	v_fma_f64 v[3:4], v[3:4], v[95:96], v[83:84]
	s_delay_alu instid0(VALU_DEP_3) | instskip(NEXT) | instid1(VALU_DEP_3)
	v_add_f64_e32 v[6:7], v[79:80], v[6:7]
	v_add_f64_e32 v[8:9], v[10:11], v[8:9]
	s_delay_alu instid0(VALU_DEP_2) | instskip(NEXT) | instid1(VALU_DEP_2)
	v_add_f64_e32 v[1:2], v[6:7], v[1:2]
	v_add_f64_e32 v[3:4], v[8:9], v[3:4]
	s_delay_alu instid0(VALU_DEP_2) | instskip(NEXT) | instid1(VALU_DEP_2)
	v_add_f64_e64 v[1:2], v[119:120], -v[1:2]
	v_add_f64_e64 v[3:4], v[121:122], -v[3:4]
	scratch_store_b128 off, v[1:4], off offset:112
	v_cmpx_lt_u32_e32 5, v0
	s_cbranch_execz .LBB96_201
; %bb.200:
	scratch_load_b128 v[1:4], off, s25
	v_mov_b32_e32 v6, 0
	s_delay_alu instid0(VALU_DEP_1)
	v_dual_mov_b32 v7, v6 :: v_dual_mov_b32 v8, v6
	v_mov_b32_e32 v9, v6
	scratch_store_b128 off, v[6:9], off offset:96
	s_wait_loadcnt 0x0
	ds_store_b128 v5, v[1:4]
.LBB96_201:
	s_wait_alu 0xfffe
	s_or_b32 exec_lo, exec_lo, s0
	s_wait_storecnt_dscnt 0x0
	s_barrier_signal -1
	s_barrier_wait -1
	global_inv scope:SCOPE_SE
	s_clause 0x7
	scratch_load_b128 v[6:9], off, off offset:112
	scratch_load_b128 v[79:82], off, off offset:128
	;; [unrolled: 1-line block ×8, first 2 shown]
	v_mov_b32_e32 v1, 0
	s_mov_b32 s0, exec_lo
	ds_load_b128 v[107:110], v1 offset:624
	s_clause 0x1
	scratch_load_b128 v[111:114], off, off offset:240
	scratch_load_b128 v[115:118], off, off offset:96
	ds_load_b128 v[119:122], v1 offset:640
	ds_load_b128 v[127:130], v1 offset:672
	s_wait_loadcnt_dscnt 0x902
	v_mul_f64_e32 v[2:3], v[109:110], v[8:9]
	v_mul_f64_e32 v[123:124], v[107:108], v[8:9]
	scratch_load_b128 v[8:11], off, off offset:256
	v_fma_f64 v[2:3], v[107:108], v[6:7], -v[2:3]
	v_fma_f64 v[6:7], v[109:110], v[6:7], v[123:124]
	ds_load_b128 v[107:110], v1 offset:656
	s_wait_loadcnt_dscnt 0x902
	v_mul_f64_e32 v[131:132], v[119:120], v[81:82]
	v_mul_f64_e32 v[81:82], v[121:122], v[81:82]
	scratch_load_b128 v[123:126], off, off offset:272
	s_wait_loadcnt_dscnt 0x900
	v_mul_f64_e32 v[133:134], v[107:108], v[85:86]
	v_mul_f64_e32 v[85:86], v[109:110], v[85:86]
	v_add_f64_e32 v[2:3], 0, v[2:3]
	v_add_f64_e32 v[6:7], 0, v[6:7]
	v_fma_f64 v[121:122], v[121:122], v[79:80], v[131:132]
	v_fma_f64 v[119:120], v[119:120], v[79:80], -v[81:82]
	scratch_load_b128 v[79:82], off, off offset:288
	v_fma_f64 v[133:134], v[109:110], v[83:84], v[133:134]
	v_fma_f64 v[135:136], v[107:108], v[83:84], -v[85:86]
	ds_load_b128 v[83:86], v1 offset:688
	s_wait_loadcnt 0x9
	v_mul_f64_e32 v[131:132], v[127:128], v[89:90]
	v_mul_f64_e32 v[89:90], v[129:130], v[89:90]
	scratch_load_b128 v[107:110], off, off offset:304
	v_add_f64_e32 v[6:7], v[6:7], v[121:122]
	v_add_f64_e32 v[2:3], v[2:3], v[119:120]
	ds_load_b128 v[119:122], v1 offset:704
	s_wait_loadcnt_dscnt 0x901
	v_mul_f64_e32 v[137:138], v[83:84], v[93:94]
	v_mul_f64_e32 v[93:94], v[85:86], v[93:94]
	v_fma_f64 v[129:130], v[129:130], v[87:88], v[131:132]
	v_fma_f64 v[127:128], v[127:128], v[87:88], -v[89:90]
	scratch_load_b128 v[87:90], off, off offset:320
	v_add_f64_e32 v[6:7], v[6:7], v[133:134]
	v_add_f64_e32 v[2:3], v[2:3], v[135:136]
	v_fma_f64 v[133:134], v[85:86], v[91:92], v[137:138]
	v_fma_f64 v[135:136], v[83:84], v[91:92], -v[93:94]
	ds_load_b128 v[83:86], v1 offset:720
	s_wait_loadcnt_dscnt 0x901
	v_mul_f64_e32 v[131:132], v[119:120], v[97:98]
	v_mul_f64_e32 v[97:98], v[121:122], v[97:98]
	scratch_load_b128 v[91:94], off, off offset:336
	s_wait_loadcnt_dscnt 0x900
	v_mul_f64_e32 v[137:138], v[83:84], v[101:102]
	v_mul_f64_e32 v[101:102], v[85:86], v[101:102]
	v_add_f64_e32 v[6:7], v[6:7], v[129:130]
	v_add_f64_e32 v[2:3], v[2:3], v[127:128]
	ds_load_b128 v[127:130], v1 offset:736
	v_fma_f64 v[121:122], v[121:122], v[95:96], v[131:132]
	v_fma_f64 v[119:120], v[119:120], v[95:96], -v[97:98]
	scratch_load_b128 v[95:98], off, off offset:352
	v_add_f64_e32 v[6:7], v[6:7], v[133:134]
	v_add_f64_e32 v[2:3], v[2:3], v[135:136]
	v_fma_f64 v[133:134], v[85:86], v[99:100], v[137:138]
	v_fma_f64 v[135:136], v[83:84], v[99:100], -v[101:102]
	ds_load_b128 v[83:86], v1 offset:752
	s_wait_loadcnt_dscnt 0x901
	v_mul_f64_e32 v[131:132], v[127:128], v[105:106]
	v_mul_f64_e32 v[105:106], v[129:130], v[105:106]
	scratch_load_b128 v[99:102], off, off offset:368
	s_wait_loadcnt_dscnt 0x900
	v_mul_f64_e32 v[137:138], v[83:84], v[113:114]
	v_mul_f64_e32 v[113:114], v[85:86], v[113:114]
	v_add_f64_e32 v[6:7], v[6:7], v[121:122]
	v_add_f64_e32 v[2:3], v[2:3], v[119:120]
	ds_load_b128 v[119:122], v1 offset:768
	v_fma_f64 v[129:130], v[129:130], v[103:104], v[131:132]
	v_fma_f64 v[127:128], v[127:128], v[103:104], -v[105:106]
	scratch_load_b128 v[103:106], off, off offset:384
	v_add_f64_e32 v[6:7], v[6:7], v[133:134]
	v_add_f64_e32 v[2:3], v[2:3], v[135:136]
	v_fma_f64 v[133:134], v[85:86], v[111:112], v[137:138]
	v_fma_f64 v[135:136], v[83:84], v[111:112], -v[113:114]
	ds_load_b128 v[83:86], v1 offset:784
	scratch_load_b128 v[111:114], off, off offset:400
	s_wait_loadcnt_dscnt 0x901
	v_mul_f64_e32 v[131:132], v[119:120], v[10:11]
	v_mul_f64_e32 v[10:11], v[121:122], v[10:11]
	v_add_f64_e32 v[6:7], v[6:7], v[129:130]
	v_add_f64_e32 v[2:3], v[2:3], v[127:128]
	ds_load_b128 v[127:130], v1 offset:800
	v_fma_f64 v[121:122], v[121:122], v[8:9], v[131:132]
	v_fma_f64 v[10:11], v[119:120], v[8:9], -v[10:11]
	s_wait_loadcnt_dscnt 0x801
	v_mul_f64_e32 v[137:138], v[83:84], v[125:126]
	v_mul_f64_e32 v[125:126], v[85:86], v[125:126]
	v_add_f64_e32 v[119:120], v[6:7], v[133:134]
	v_add_f64_e32 v[2:3], v[2:3], v[135:136]
	scratch_load_b128 v[6:9], off, off offset:416
	v_fma_f64 v[85:86], v[85:86], v[123:124], v[137:138]
	v_fma_f64 v[135:136], v[83:84], v[123:124], -v[125:126]
	ds_load_b128 v[123:126], v1 offset:832
	s_wait_loadcnt_dscnt 0x801
	v_mul_f64_e32 v[131:132], v[127:128], v[81:82]
	v_mul_f64_e32 v[133:134], v[129:130], v[81:82]
	ds_load_b128 v[81:84], v1 offset:816
	v_add_f64_e32 v[2:3], v[2:3], v[10:11]
	v_add_f64_e32 v[10:11], v[119:120], v[121:122]
	scratch_load_b128 v[119:122], off, off offset:432
	s_wait_loadcnt_dscnt 0x800
	v_mul_f64_e32 v[137:138], v[81:82], v[109:110]
	v_mul_f64_e32 v[109:110], v[83:84], v[109:110]
	v_fma_f64 v[131:132], v[129:130], v[79:80], v[131:132]
	v_fma_f64 v[79:80], v[127:128], v[79:80], -v[133:134]
	scratch_load_b128 v[127:130], off, off offset:448
	v_add_f64_e32 v[2:3], v[2:3], v[135:136]
	v_add_f64_e32 v[10:11], v[10:11], v[85:86]
	s_wait_loadcnt 0x8
	v_mul_f64_e32 v[133:134], v[123:124], v[89:90]
	v_mul_f64_e32 v[89:90], v[125:126], v[89:90]
	v_fma_f64 v[135:136], v[83:84], v[107:108], v[137:138]
	v_fma_f64 v[137:138], v[81:82], v[107:108], -v[109:110]
	scratch_load_b128 v[83:86], off, off offset:464
	ds_load_b128 v[107:110], v1 offset:864
	v_add_f64_e32 v[2:3], v[2:3], v[79:80]
	v_add_f64_e32 v[10:11], v[10:11], v[131:132]
	ds_load_b128 v[79:82], v1 offset:848
	v_fma_f64 v[125:126], v[125:126], v[87:88], v[133:134]
	v_fma_f64 v[123:124], v[123:124], v[87:88], -v[89:90]
	scratch_load_b128 v[87:90], off, off offset:480
	s_wait_loadcnt_dscnt 0x900
	v_mul_f64_e32 v[131:132], v[79:80], v[93:94]
	v_mul_f64_e32 v[93:94], v[81:82], v[93:94]
	s_wait_loadcnt 0x8
	v_mul_f64_e32 v[133:134], v[107:108], v[97:98]
	v_mul_f64_e32 v[97:98], v[109:110], v[97:98]
	v_add_f64_e32 v[2:3], v[2:3], v[137:138]
	v_add_f64_e32 v[10:11], v[10:11], v[135:136]
	v_fma_f64 v[131:132], v[81:82], v[91:92], v[131:132]
	v_fma_f64 v[135:136], v[79:80], v[91:92], -v[93:94]
	ds_load_b128 v[79:82], v1 offset:880
	scratch_load_b128 v[91:94], off, off offset:496
	v_fma_f64 v[109:110], v[109:110], v[95:96], v[133:134]
	v_fma_f64 v[107:108], v[107:108], v[95:96], -v[97:98]
	scratch_load_b128 v[95:98], off, off offset:512
	v_add_f64_e32 v[2:3], v[2:3], v[123:124]
	v_add_f64_e32 v[10:11], v[10:11], v[125:126]
	ds_load_b128 v[123:126], v1 offset:896
	s_wait_loadcnt_dscnt 0x901
	v_mul_f64_e32 v[137:138], v[79:80], v[101:102]
	v_mul_f64_e32 v[101:102], v[81:82], v[101:102]
	s_wait_loadcnt_dscnt 0x800
	v_mul_f64_e32 v[133:134], v[125:126], v[105:106]
	v_add_f64_e32 v[2:3], v[2:3], v[135:136]
	v_add_f64_e32 v[10:11], v[10:11], v[131:132]
	v_mul_f64_e32 v[131:132], v[123:124], v[105:106]
	v_fma_f64 v[135:136], v[81:82], v[99:100], v[137:138]
	v_fma_f64 v[137:138], v[79:80], v[99:100], -v[101:102]
	ds_load_b128 v[79:82], v1 offset:912
	scratch_load_b128 v[99:102], off, off offset:528
	v_add_f64_e32 v[2:3], v[2:3], v[107:108]
	v_add_f64_e32 v[10:11], v[10:11], v[109:110]
	ds_load_b128 v[105:108], v1 offset:928
	s_wait_loadcnt_dscnt 0x801
	v_mul_f64_e32 v[109:110], v[79:80], v[113:114]
	v_mul_f64_e32 v[113:114], v[81:82], v[113:114]
	v_fma_f64 v[125:126], v[125:126], v[103:104], v[131:132]
	v_fma_f64 v[103:104], v[123:124], v[103:104], -v[133:134]
	v_add_f64_e32 v[2:3], v[2:3], v[137:138]
	v_add_f64_e32 v[10:11], v[10:11], v[135:136]
	v_fma_f64 v[109:110], v[81:82], v[111:112], v[109:110]
	v_fma_f64 v[111:112], v[79:80], v[111:112], -v[113:114]
	s_wait_loadcnt_dscnt 0x700
	v_mul_f64_e32 v[123:124], v[105:106], v[8:9]
	v_mul_f64_e32 v[131:132], v[107:108], v[8:9]
	v_add_f64_e32 v[2:3], v[2:3], v[103:104]
	v_add_f64_e32 v[103:104], v[10:11], v[125:126]
	ds_load_b128 v[8:11], v1 offset:944
	ds_load_b128 v[79:82], v1 offset:960
	v_fma_f64 v[107:108], v[107:108], v[6:7], v[123:124]
	v_fma_f64 v[6:7], v[105:106], v[6:7], -v[131:132]
	s_wait_loadcnt_dscnt 0x601
	v_mul_f64_e32 v[113:114], v[8:9], v[121:122]
	v_mul_f64_e32 v[121:122], v[10:11], v[121:122]
	v_add_f64_e32 v[2:3], v[2:3], v[111:112]
	v_add_f64_e32 v[103:104], v[103:104], v[109:110]
	s_wait_loadcnt_dscnt 0x500
	v_mul_f64_e32 v[109:110], v[79:80], v[129:130]
	v_mul_f64_e32 v[111:112], v[81:82], v[129:130]
	v_fma_f64 v[10:11], v[10:11], v[119:120], v[113:114]
	v_fma_f64 v[113:114], v[8:9], v[119:120], -v[121:122]
	v_add_f64_e32 v[2:3], v[2:3], v[6:7]
	v_add_f64_e32 v[107:108], v[103:104], v[107:108]
	ds_load_b128 v[6:9], v1 offset:976
	ds_load_b128 v[103:106], v1 offset:992
	v_fma_f64 v[81:82], v[81:82], v[127:128], v[109:110]
	v_fma_f64 v[79:80], v[79:80], v[127:128], -v[111:112]
	s_wait_loadcnt_dscnt 0x401
	v_mul_f64_e32 v[119:120], v[6:7], v[85:86]
	v_mul_f64_e32 v[85:86], v[8:9], v[85:86]
	v_add_f64_e32 v[2:3], v[2:3], v[113:114]
	v_add_f64_e32 v[10:11], v[107:108], v[10:11]
	s_wait_loadcnt_dscnt 0x300
	v_mul_f64_e32 v[107:108], v[103:104], v[89:90]
	v_mul_f64_e32 v[89:90], v[105:106], v[89:90]
	v_fma_f64 v[109:110], v[8:9], v[83:84], v[119:120]
	v_fma_f64 v[83:84], v[6:7], v[83:84], -v[85:86]
	v_add_f64_e32 v[2:3], v[2:3], v[79:80]
	v_add_f64_e32 v[10:11], v[10:11], v[81:82]
	ds_load_b128 v[6:9], v1 offset:1008
	ds_load_b128 v[79:82], v1 offset:1024
	v_fma_f64 v[105:106], v[105:106], v[87:88], v[107:108]
	v_fma_f64 v[87:88], v[103:104], v[87:88], -v[89:90]
	s_wait_loadcnt_dscnt 0x201
	v_mul_f64_e32 v[85:86], v[6:7], v[93:94]
	v_mul_f64_e32 v[93:94], v[8:9], v[93:94]
	s_wait_loadcnt_dscnt 0x100
	v_mul_f64_e32 v[89:90], v[81:82], v[97:98]
	v_add_f64_e32 v[2:3], v[2:3], v[83:84]
	v_add_f64_e32 v[10:11], v[10:11], v[109:110]
	v_mul_f64_e32 v[83:84], v[79:80], v[97:98]
	v_fma_f64 v[85:86], v[8:9], v[91:92], v[85:86]
	v_fma_f64 v[91:92], v[6:7], v[91:92], -v[93:94]
	ds_load_b128 v[6:9], v1 offset:1040
	v_fma_f64 v[79:80], v[79:80], v[95:96], -v[89:90]
	v_add_f64_e32 v[2:3], v[2:3], v[87:88]
	v_add_f64_e32 v[10:11], v[10:11], v[105:106]
	v_fma_f64 v[81:82], v[81:82], v[95:96], v[83:84]
	s_wait_loadcnt_dscnt 0x0
	v_mul_f64_e32 v[87:88], v[6:7], v[101:102]
	v_mul_f64_e32 v[93:94], v[8:9], v[101:102]
	v_add_f64_e32 v[2:3], v[2:3], v[91:92]
	v_add_f64_e32 v[10:11], v[10:11], v[85:86]
	s_delay_alu instid0(VALU_DEP_4) | instskip(NEXT) | instid1(VALU_DEP_4)
	v_fma_f64 v[8:9], v[8:9], v[99:100], v[87:88]
	v_fma_f64 v[6:7], v[6:7], v[99:100], -v[93:94]
	s_delay_alu instid0(VALU_DEP_4) | instskip(NEXT) | instid1(VALU_DEP_4)
	v_add_f64_e32 v[2:3], v[2:3], v[79:80]
	v_add_f64_e32 v[10:11], v[10:11], v[81:82]
	s_delay_alu instid0(VALU_DEP_2) | instskip(NEXT) | instid1(VALU_DEP_2)
	v_add_f64_e32 v[2:3], v[2:3], v[6:7]
	v_add_f64_e32 v[8:9], v[10:11], v[8:9]
	s_delay_alu instid0(VALU_DEP_2) | instskip(NEXT) | instid1(VALU_DEP_2)
	v_add_f64_e64 v[6:7], v[115:116], -v[2:3]
	v_add_f64_e64 v[8:9], v[117:118], -v[8:9]
	scratch_store_b128 off, v[6:9], off offset:96
	v_cmpx_lt_u32_e32 4, v0
	s_cbranch_execz .LBB96_203
; %bb.202:
	scratch_load_b128 v[6:9], off, s4
	v_dual_mov_b32 v2, v1 :: v_dual_mov_b32 v3, v1
	v_mov_b32_e32 v4, v1
	scratch_store_b128 off, v[1:4], off offset:80
	s_wait_loadcnt 0x0
	ds_store_b128 v5, v[6:9]
.LBB96_203:
	s_wait_alu 0xfffe
	s_or_b32 exec_lo, exec_lo, s0
	s_wait_storecnt_dscnt 0x0
	s_barrier_signal -1
	s_barrier_wait -1
	global_inv scope:SCOPE_SE
	s_clause 0x8
	scratch_load_b128 v[6:9], off, off offset:96
	scratch_load_b128 v[79:82], off, off offset:112
	;; [unrolled: 1-line block ×9, first 2 shown]
	ds_load_b128 v[111:114], v1 offset:608
	ds_load_b128 v[115:118], v1 offset:624
	scratch_load_b128 v[119:122], off, off offset:80
	s_mov_b32 s0, exec_lo
	ds_load_b128 v[127:130], v1 offset:656
	s_wait_loadcnt_dscnt 0x902
	v_mul_f64_e32 v[2:3], v[113:114], v[8:9]
	v_mul_f64_e32 v[123:124], v[111:112], v[8:9]
	scratch_load_b128 v[8:11], off, off offset:240
	s_wait_loadcnt_dscnt 0x901
	v_mul_f64_e32 v[131:132], v[115:116], v[81:82]
	v_mul_f64_e32 v[81:82], v[117:118], v[81:82]
	v_fma_f64 v[2:3], v[111:112], v[6:7], -v[2:3]
	v_fma_f64 v[6:7], v[113:114], v[6:7], v[123:124]
	ds_load_b128 v[111:114], v1 offset:640
	scratch_load_b128 v[123:126], off, off offset:256
	v_fma_f64 v[117:118], v[117:118], v[79:80], v[131:132]
	v_fma_f64 v[115:116], v[115:116], v[79:80], -v[81:82]
	scratch_load_b128 v[79:82], off, off offset:272
	s_wait_loadcnt_dscnt 0x901
	v_mul_f64_e32 v[131:132], v[127:128], v[89:90]
	v_mul_f64_e32 v[89:90], v[129:130], v[89:90]
	s_wait_dscnt 0x0
	v_mul_f64_e32 v[133:134], v[111:112], v[85:86]
	v_mul_f64_e32 v[85:86], v[113:114], v[85:86]
	v_add_f64_e32 v[2:3], 0, v[2:3]
	v_add_f64_e32 v[6:7], 0, v[6:7]
	v_fma_f64 v[129:130], v[129:130], v[87:88], v[131:132]
	v_fma_f64 v[127:128], v[127:128], v[87:88], -v[89:90]
	scratch_load_b128 v[87:90], off, off offset:304
	v_fma_f64 v[133:134], v[113:114], v[83:84], v[133:134]
	v_fma_f64 v[135:136], v[111:112], v[83:84], -v[85:86]
	ds_load_b128 v[83:86], v1 offset:672
	scratch_load_b128 v[111:114], off, off offset:288
	v_add_f64_e32 v[2:3], v[2:3], v[115:116]
	v_add_f64_e32 v[6:7], v[6:7], v[117:118]
	ds_load_b128 v[115:118], v1 offset:688
	s_wait_loadcnt_dscnt 0xa01
	v_mul_f64_e32 v[137:138], v[83:84], v[93:94]
	v_mul_f64_e32 v[93:94], v[85:86], v[93:94]
	s_wait_loadcnt_dscnt 0x900
	v_mul_f64_e32 v[131:132], v[115:116], v[97:98]
	v_mul_f64_e32 v[97:98], v[117:118], v[97:98]
	v_add_f64_e32 v[2:3], v[2:3], v[135:136]
	v_add_f64_e32 v[6:7], v[6:7], v[133:134]
	v_fma_f64 v[133:134], v[85:86], v[91:92], v[137:138]
	v_fma_f64 v[135:136], v[83:84], v[91:92], -v[93:94]
	ds_load_b128 v[83:86], v1 offset:704
	scratch_load_b128 v[91:94], off, off offset:320
	v_fma_f64 v[117:118], v[117:118], v[95:96], v[131:132]
	v_fma_f64 v[115:116], v[115:116], v[95:96], -v[97:98]
	scratch_load_b128 v[95:98], off, off offset:336
	v_add_f64_e32 v[2:3], v[2:3], v[127:128]
	v_add_f64_e32 v[6:7], v[6:7], v[129:130]
	ds_load_b128 v[127:130], v1 offset:720
	s_wait_loadcnt_dscnt 0xa01
	v_mul_f64_e32 v[137:138], v[83:84], v[101:102]
	v_mul_f64_e32 v[101:102], v[85:86], v[101:102]
	s_wait_loadcnt_dscnt 0x900
	v_mul_f64_e32 v[131:132], v[127:128], v[105:106]
	v_mul_f64_e32 v[105:106], v[129:130], v[105:106]
	v_add_f64_e32 v[2:3], v[2:3], v[135:136]
	v_add_f64_e32 v[6:7], v[6:7], v[133:134]
	v_fma_f64 v[133:134], v[85:86], v[99:100], v[137:138]
	v_fma_f64 v[135:136], v[83:84], v[99:100], -v[101:102]
	ds_load_b128 v[83:86], v1 offset:736
	scratch_load_b128 v[99:102], off, off offset:352
	v_fma_f64 v[129:130], v[129:130], v[103:104], v[131:132]
	v_fma_f64 v[127:128], v[127:128], v[103:104], -v[105:106]
	scratch_load_b128 v[103:106], off, off offset:368
	v_add_f64_e32 v[2:3], v[2:3], v[115:116]
	v_add_f64_e32 v[6:7], v[6:7], v[117:118]
	ds_load_b128 v[115:118], v1 offset:752
	s_wait_loadcnt_dscnt 0xa01
	v_mul_f64_e32 v[137:138], v[83:84], v[109:110]
	v_mul_f64_e32 v[109:110], v[85:86], v[109:110]
	v_add_f64_e32 v[2:3], v[2:3], v[135:136]
	v_add_f64_e32 v[6:7], v[6:7], v[133:134]
	s_delay_alu instid0(VALU_DEP_4) | instskip(NEXT) | instid1(VALU_DEP_4)
	v_fma_f64 v[133:134], v[85:86], v[107:108], v[137:138]
	v_fma_f64 v[135:136], v[83:84], v[107:108], -v[109:110]
	ds_load_b128 v[83:86], v1 offset:768
	scratch_load_b128 v[107:110], off, off offset:384
	s_wait_loadcnt_dscnt 0x901
	v_mul_f64_e32 v[131:132], v[115:116], v[10:11]
	v_mul_f64_e32 v[10:11], v[117:118], v[10:11]
	v_add_f64_e32 v[2:3], v[2:3], v[127:128]
	v_add_f64_e32 v[6:7], v[6:7], v[129:130]
	ds_load_b128 v[127:130], v1 offset:784
	v_fma_f64 v[117:118], v[117:118], v[8:9], v[131:132]
	s_wait_loadcnt_dscnt 0x801
	v_mul_f64_e32 v[137:138], v[83:84], v[125:126]
	v_mul_f64_e32 v[125:126], v[85:86], v[125:126]
	v_fma_f64 v[10:11], v[115:116], v[8:9], -v[10:11]
	s_wait_loadcnt_dscnt 0x700
	v_mul_f64_e32 v[131:132], v[127:128], v[81:82]
	v_add_f64_e32 v[2:3], v[2:3], v[135:136]
	v_add_f64_e32 v[115:116], v[6:7], v[133:134]
	scratch_load_b128 v[6:9], off, off offset:400
	v_mul_f64_e32 v[133:134], v[129:130], v[81:82]
	v_fma_f64 v[85:86], v[85:86], v[123:124], v[137:138]
	v_fma_f64 v[135:136], v[83:84], v[123:124], -v[125:126]
	ds_load_b128 v[81:84], v1 offset:800
	ds_load_b128 v[123:126], v1 offset:816
	v_fma_f64 v[131:132], v[129:130], v[79:80], v[131:132]
	v_add_f64_e32 v[2:3], v[2:3], v[10:11]
	v_add_f64_e32 v[10:11], v[115:116], v[117:118]
	scratch_load_b128 v[115:118], off, off offset:416
	s_wait_loadcnt_dscnt 0x701
	v_mul_f64_e32 v[137:138], v[81:82], v[113:114]
	v_mul_f64_e32 v[113:114], v[83:84], v[113:114]
	v_fma_f64 v[79:80], v[127:128], v[79:80], -v[133:134]
	scratch_load_b128 v[127:130], off, off offset:432
	s_wait_dscnt 0x0
	v_mul_f64_e32 v[133:134], v[123:124], v[89:90]
	v_mul_f64_e32 v[89:90], v[125:126], v[89:90]
	v_add_f64_e32 v[2:3], v[2:3], v[135:136]
	v_add_f64_e32 v[10:11], v[10:11], v[85:86]
	v_fma_f64 v[135:136], v[83:84], v[111:112], v[137:138]
	v_fma_f64 v[137:138], v[81:82], v[111:112], -v[113:114]
	scratch_load_b128 v[83:86], off, off offset:448
	ds_load_b128 v[111:114], v1 offset:848
	v_fma_f64 v[125:126], v[125:126], v[87:88], v[133:134]
	v_fma_f64 v[123:124], v[123:124], v[87:88], -v[89:90]
	scratch_load_b128 v[87:90], off, off offset:464
	v_add_f64_e32 v[2:3], v[2:3], v[79:80]
	v_add_f64_e32 v[10:11], v[10:11], v[131:132]
	ds_load_b128 v[79:82], v1 offset:832
	s_wait_loadcnt_dscnt 0x801
	v_mul_f64_e32 v[133:134], v[111:112], v[97:98]
	v_mul_f64_e32 v[97:98], v[113:114], v[97:98]
	s_wait_dscnt 0x0
	v_mul_f64_e32 v[131:132], v[79:80], v[93:94]
	v_mul_f64_e32 v[93:94], v[81:82], v[93:94]
	v_add_f64_e32 v[2:3], v[2:3], v[137:138]
	v_add_f64_e32 v[10:11], v[10:11], v[135:136]
	v_fma_f64 v[113:114], v[113:114], v[95:96], v[133:134]
	v_fma_f64 v[111:112], v[111:112], v[95:96], -v[97:98]
	scratch_load_b128 v[95:98], off, off offset:496
	v_fma_f64 v[131:132], v[81:82], v[91:92], v[131:132]
	v_fma_f64 v[135:136], v[79:80], v[91:92], -v[93:94]
	ds_load_b128 v[79:82], v1 offset:864
	scratch_load_b128 v[91:94], off, off offset:480
	v_add_f64_e32 v[2:3], v[2:3], v[123:124]
	v_add_f64_e32 v[10:11], v[10:11], v[125:126]
	ds_load_b128 v[123:126], v1 offset:880
	s_wait_loadcnt_dscnt 0x901
	v_mul_f64_e32 v[137:138], v[79:80], v[101:102]
	v_mul_f64_e32 v[101:102], v[81:82], v[101:102]
	v_add_f64_e32 v[2:3], v[2:3], v[135:136]
	v_add_f64_e32 v[10:11], v[10:11], v[131:132]
	s_wait_loadcnt_dscnt 0x800
	v_mul_f64_e32 v[131:132], v[123:124], v[105:106]
	v_mul_f64_e32 v[105:106], v[125:126], v[105:106]
	v_fma_f64 v[133:134], v[81:82], v[99:100], v[137:138]
	v_fma_f64 v[135:136], v[79:80], v[99:100], -v[101:102]
	ds_load_b128 v[79:82], v1 offset:896
	scratch_load_b128 v[99:102], off, off offset:512
	v_add_f64_e32 v[2:3], v[2:3], v[111:112]
	v_add_f64_e32 v[10:11], v[10:11], v[113:114]
	ds_load_b128 v[111:114], v1 offset:912
	s_wait_loadcnt_dscnt 0x801
	v_mul_f64_e32 v[137:138], v[79:80], v[109:110]
	v_mul_f64_e32 v[109:110], v[81:82], v[109:110]
	v_fma_f64 v[125:126], v[125:126], v[103:104], v[131:132]
	v_fma_f64 v[123:124], v[123:124], v[103:104], -v[105:106]
	scratch_load_b128 v[103:106], off, off offset:528
	v_add_f64_e32 v[2:3], v[2:3], v[135:136]
	v_add_f64_e32 v[10:11], v[10:11], v[133:134]
	v_fma_f64 v[135:136], v[81:82], v[107:108], v[137:138]
	v_fma_f64 v[107:108], v[79:80], v[107:108], -v[109:110]
	s_wait_loadcnt_dscnt 0x800
	v_mul_f64_e32 v[131:132], v[111:112], v[8:9]
	v_mul_f64_e32 v[133:134], v[113:114], v[8:9]
	v_add_f64_e32 v[2:3], v[2:3], v[123:124]
	v_add_f64_e32 v[109:110], v[10:11], v[125:126]
	ds_load_b128 v[8:11], v1 offset:928
	ds_load_b128 v[79:82], v1 offset:944
	v_fma_f64 v[113:114], v[113:114], v[6:7], v[131:132]
	v_fma_f64 v[6:7], v[111:112], v[6:7], -v[133:134]
	s_wait_loadcnt_dscnt 0x701
	v_mul_f64_e32 v[123:124], v[8:9], v[117:118]
	v_mul_f64_e32 v[117:118], v[10:11], v[117:118]
	s_wait_loadcnt_dscnt 0x600
	v_mul_f64_e32 v[111:112], v[79:80], v[129:130]
	v_mul_f64_e32 v[125:126], v[81:82], v[129:130]
	v_add_f64_e32 v[2:3], v[2:3], v[107:108]
	v_add_f64_e32 v[107:108], v[109:110], v[135:136]
	v_fma_f64 v[10:11], v[10:11], v[115:116], v[123:124]
	v_fma_f64 v[115:116], v[8:9], v[115:116], -v[117:118]
	v_fma_f64 v[81:82], v[81:82], v[127:128], v[111:112]
	v_fma_f64 v[79:80], v[79:80], v[127:128], -v[125:126]
	v_add_f64_e32 v[2:3], v[2:3], v[6:7]
	v_add_f64_e32 v[113:114], v[107:108], v[113:114]
	ds_load_b128 v[6:9], v1 offset:960
	ds_load_b128 v[107:110], v1 offset:976
	s_wait_loadcnt_dscnt 0x501
	v_mul_f64_e32 v[117:118], v[6:7], v[85:86]
	v_mul_f64_e32 v[85:86], v[8:9], v[85:86]
	s_wait_loadcnt_dscnt 0x400
	v_mul_f64_e32 v[111:112], v[107:108], v[89:90]
	v_mul_f64_e32 v[89:90], v[109:110], v[89:90]
	v_add_f64_e32 v[2:3], v[2:3], v[115:116]
	v_add_f64_e32 v[10:11], v[113:114], v[10:11]
	v_fma_f64 v[113:114], v[8:9], v[83:84], v[117:118]
	v_fma_f64 v[83:84], v[6:7], v[83:84], -v[85:86]
	v_fma_f64 v[109:110], v[109:110], v[87:88], v[111:112]
	v_fma_f64 v[87:88], v[107:108], v[87:88], -v[89:90]
	v_add_f64_e32 v[2:3], v[2:3], v[79:80]
	v_add_f64_e32 v[10:11], v[10:11], v[81:82]
	ds_load_b128 v[6:9], v1 offset:992
	ds_load_b128 v[79:82], v1 offset:1008
	s_wait_loadcnt_dscnt 0x201
	v_mul_f64_e32 v[85:86], v[6:7], v[93:94]
	v_mul_f64_e32 v[93:94], v[8:9], v[93:94]
	s_wait_dscnt 0x0
	v_mul_f64_e32 v[89:90], v[81:82], v[97:98]
	v_add_f64_e32 v[2:3], v[2:3], v[83:84]
	v_add_f64_e32 v[10:11], v[10:11], v[113:114]
	v_mul_f64_e32 v[83:84], v[79:80], v[97:98]
	v_fma_f64 v[85:86], v[8:9], v[91:92], v[85:86]
	v_fma_f64 v[91:92], v[6:7], v[91:92], -v[93:94]
	v_fma_f64 v[79:80], v[79:80], v[95:96], -v[89:90]
	v_add_f64_e32 v[87:88], v[2:3], v[87:88]
	v_add_f64_e32 v[10:11], v[10:11], v[109:110]
	ds_load_b128 v[6:9], v1 offset:1024
	ds_load_b128 v[1:4], v1 offset:1040
	v_fma_f64 v[81:82], v[81:82], v[95:96], v[83:84]
	s_wait_loadcnt_dscnt 0x101
	v_mul_f64_e32 v[93:94], v[6:7], v[101:102]
	v_mul_f64_e32 v[97:98], v[8:9], v[101:102]
	v_add_f64_e32 v[83:84], v[87:88], v[91:92]
	v_add_f64_e32 v[10:11], v[10:11], v[85:86]
	s_wait_loadcnt_dscnt 0x0
	v_mul_f64_e32 v[85:86], v[1:2], v[105:106]
	v_mul_f64_e32 v[87:88], v[3:4], v[105:106]
	v_fma_f64 v[8:9], v[8:9], v[99:100], v[93:94]
	v_fma_f64 v[6:7], v[6:7], v[99:100], -v[97:98]
	v_add_f64_e32 v[79:80], v[83:84], v[79:80]
	v_add_f64_e32 v[10:11], v[10:11], v[81:82]
	v_fma_f64 v[3:4], v[3:4], v[103:104], v[85:86]
	v_fma_f64 v[1:2], v[1:2], v[103:104], -v[87:88]
	s_delay_alu instid0(VALU_DEP_4) | instskip(NEXT) | instid1(VALU_DEP_4)
	v_add_f64_e32 v[6:7], v[79:80], v[6:7]
	v_add_f64_e32 v[8:9], v[10:11], v[8:9]
	s_delay_alu instid0(VALU_DEP_2) | instskip(NEXT) | instid1(VALU_DEP_2)
	v_add_f64_e32 v[1:2], v[6:7], v[1:2]
	v_add_f64_e32 v[3:4], v[8:9], v[3:4]
	s_delay_alu instid0(VALU_DEP_2) | instskip(NEXT) | instid1(VALU_DEP_2)
	v_add_f64_e64 v[1:2], v[119:120], -v[1:2]
	v_add_f64_e64 v[3:4], v[121:122], -v[3:4]
	scratch_store_b128 off, v[1:4], off offset:80
	v_cmpx_lt_u32_e32 3, v0
	s_cbranch_execz .LBB96_205
; %bb.204:
	scratch_load_b128 v[1:4], off, s24
	v_mov_b32_e32 v6, 0
	s_delay_alu instid0(VALU_DEP_1)
	v_dual_mov_b32 v7, v6 :: v_dual_mov_b32 v8, v6
	v_mov_b32_e32 v9, v6
	scratch_store_b128 off, v[6:9], off offset:64
	s_wait_loadcnt 0x0
	ds_store_b128 v5, v[1:4]
.LBB96_205:
	s_wait_alu 0xfffe
	s_or_b32 exec_lo, exec_lo, s0
	s_wait_storecnt_dscnt 0x0
	s_barrier_signal -1
	s_barrier_wait -1
	global_inv scope:SCOPE_SE
	s_clause 0x7
	scratch_load_b128 v[6:9], off, off offset:80
	scratch_load_b128 v[79:82], off, off offset:96
	;; [unrolled: 1-line block ×8, first 2 shown]
	v_mov_b32_e32 v1, 0
	s_mov_b32 s0, exec_lo
	ds_load_b128 v[107:110], v1 offset:592
	s_clause 0x1
	scratch_load_b128 v[111:114], off, off offset:208
	scratch_load_b128 v[115:118], off, off offset:64
	ds_load_b128 v[119:122], v1 offset:608
	ds_load_b128 v[127:130], v1 offset:640
	s_wait_loadcnt_dscnt 0x902
	v_mul_f64_e32 v[2:3], v[109:110], v[8:9]
	v_mul_f64_e32 v[123:124], v[107:108], v[8:9]
	scratch_load_b128 v[8:11], off, off offset:224
	v_fma_f64 v[2:3], v[107:108], v[6:7], -v[2:3]
	v_fma_f64 v[6:7], v[109:110], v[6:7], v[123:124]
	ds_load_b128 v[107:110], v1 offset:624
	s_wait_loadcnt_dscnt 0x902
	v_mul_f64_e32 v[131:132], v[119:120], v[81:82]
	v_mul_f64_e32 v[81:82], v[121:122], v[81:82]
	scratch_load_b128 v[123:126], off, off offset:240
	s_wait_loadcnt_dscnt 0x900
	v_mul_f64_e32 v[133:134], v[107:108], v[85:86]
	v_mul_f64_e32 v[85:86], v[109:110], v[85:86]
	v_add_f64_e32 v[2:3], 0, v[2:3]
	v_add_f64_e32 v[6:7], 0, v[6:7]
	v_fma_f64 v[121:122], v[121:122], v[79:80], v[131:132]
	v_fma_f64 v[119:120], v[119:120], v[79:80], -v[81:82]
	scratch_load_b128 v[79:82], off, off offset:256
	v_fma_f64 v[133:134], v[109:110], v[83:84], v[133:134]
	v_fma_f64 v[135:136], v[107:108], v[83:84], -v[85:86]
	ds_load_b128 v[83:86], v1 offset:656
	s_wait_loadcnt 0x9
	v_mul_f64_e32 v[131:132], v[127:128], v[89:90]
	v_mul_f64_e32 v[89:90], v[129:130], v[89:90]
	scratch_load_b128 v[107:110], off, off offset:272
	v_add_f64_e32 v[6:7], v[6:7], v[121:122]
	v_add_f64_e32 v[2:3], v[2:3], v[119:120]
	ds_load_b128 v[119:122], v1 offset:672
	s_wait_loadcnt_dscnt 0x901
	v_mul_f64_e32 v[137:138], v[83:84], v[93:94]
	v_mul_f64_e32 v[93:94], v[85:86], v[93:94]
	v_fma_f64 v[129:130], v[129:130], v[87:88], v[131:132]
	v_fma_f64 v[127:128], v[127:128], v[87:88], -v[89:90]
	scratch_load_b128 v[87:90], off, off offset:288
	v_add_f64_e32 v[6:7], v[6:7], v[133:134]
	v_add_f64_e32 v[2:3], v[2:3], v[135:136]
	v_fma_f64 v[133:134], v[85:86], v[91:92], v[137:138]
	v_fma_f64 v[135:136], v[83:84], v[91:92], -v[93:94]
	ds_load_b128 v[83:86], v1 offset:688
	s_wait_loadcnt_dscnt 0x901
	v_mul_f64_e32 v[131:132], v[119:120], v[97:98]
	v_mul_f64_e32 v[97:98], v[121:122], v[97:98]
	scratch_load_b128 v[91:94], off, off offset:304
	s_wait_loadcnt_dscnt 0x900
	v_mul_f64_e32 v[137:138], v[83:84], v[101:102]
	v_mul_f64_e32 v[101:102], v[85:86], v[101:102]
	v_add_f64_e32 v[6:7], v[6:7], v[129:130]
	v_add_f64_e32 v[2:3], v[2:3], v[127:128]
	ds_load_b128 v[127:130], v1 offset:704
	v_fma_f64 v[121:122], v[121:122], v[95:96], v[131:132]
	v_fma_f64 v[119:120], v[119:120], v[95:96], -v[97:98]
	scratch_load_b128 v[95:98], off, off offset:320
	v_add_f64_e32 v[6:7], v[6:7], v[133:134]
	v_add_f64_e32 v[2:3], v[2:3], v[135:136]
	v_fma_f64 v[133:134], v[85:86], v[99:100], v[137:138]
	v_fma_f64 v[135:136], v[83:84], v[99:100], -v[101:102]
	ds_load_b128 v[83:86], v1 offset:720
	s_wait_loadcnt_dscnt 0x901
	v_mul_f64_e32 v[131:132], v[127:128], v[105:106]
	v_mul_f64_e32 v[105:106], v[129:130], v[105:106]
	scratch_load_b128 v[99:102], off, off offset:336
	s_wait_loadcnt_dscnt 0x900
	v_mul_f64_e32 v[137:138], v[83:84], v[113:114]
	v_mul_f64_e32 v[113:114], v[85:86], v[113:114]
	v_add_f64_e32 v[6:7], v[6:7], v[121:122]
	v_add_f64_e32 v[2:3], v[2:3], v[119:120]
	ds_load_b128 v[119:122], v1 offset:736
	v_fma_f64 v[129:130], v[129:130], v[103:104], v[131:132]
	v_fma_f64 v[127:128], v[127:128], v[103:104], -v[105:106]
	scratch_load_b128 v[103:106], off, off offset:352
	v_add_f64_e32 v[6:7], v[6:7], v[133:134]
	v_add_f64_e32 v[2:3], v[2:3], v[135:136]
	v_fma_f64 v[133:134], v[85:86], v[111:112], v[137:138]
	v_fma_f64 v[135:136], v[83:84], v[111:112], -v[113:114]
	ds_load_b128 v[83:86], v1 offset:752
	scratch_load_b128 v[111:114], off, off offset:368
	s_wait_loadcnt_dscnt 0x901
	v_mul_f64_e32 v[131:132], v[119:120], v[10:11]
	v_mul_f64_e32 v[10:11], v[121:122], v[10:11]
	v_add_f64_e32 v[6:7], v[6:7], v[129:130]
	v_add_f64_e32 v[2:3], v[2:3], v[127:128]
	ds_load_b128 v[127:130], v1 offset:768
	v_fma_f64 v[121:122], v[121:122], v[8:9], v[131:132]
	v_fma_f64 v[10:11], v[119:120], v[8:9], -v[10:11]
	s_wait_loadcnt_dscnt 0x801
	v_mul_f64_e32 v[137:138], v[83:84], v[125:126]
	v_mul_f64_e32 v[125:126], v[85:86], v[125:126]
	v_add_f64_e32 v[119:120], v[6:7], v[133:134]
	v_add_f64_e32 v[2:3], v[2:3], v[135:136]
	scratch_load_b128 v[6:9], off, off offset:384
	v_fma_f64 v[85:86], v[85:86], v[123:124], v[137:138]
	v_fma_f64 v[135:136], v[83:84], v[123:124], -v[125:126]
	ds_load_b128 v[123:126], v1 offset:800
	s_wait_loadcnt_dscnt 0x801
	v_mul_f64_e32 v[131:132], v[127:128], v[81:82]
	v_mul_f64_e32 v[133:134], v[129:130], v[81:82]
	ds_load_b128 v[81:84], v1 offset:784
	v_add_f64_e32 v[2:3], v[2:3], v[10:11]
	v_add_f64_e32 v[10:11], v[119:120], v[121:122]
	scratch_load_b128 v[119:122], off, off offset:400
	s_wait_loadcnt_dscnt 0x800
	v_mul_f64_e32 v[137:138], v[81:82], v[109:110]
	v_mul_f64_e32 v[109:110], v[83:84], v[109:110]
	v_fma_f64 v[131:132], v[129:130], v[79:80], v[131:132]
	v_fma_f64 v[79:80], v[127:128], v[79:80], -v[133:134]
	scratch_load_b128 v[127:130], off, off offset:416
	v_add_f64_e32 v[2:3], v[2:3], v[135:136]
	v_add_f64_e32 v[10:11], v[10:11], v[85:86]
	s_wait_loadcnt 0x8
	v_mul_f64_e32 v[133:134], v[123:124], v[89:90]
	v_mul_f64_e32 v[89:90], v[125:126], v[89:90]
	v_fma_f64 v[135:136], v[83:84], v[107:108], v[137:138]
	v_fma_f64 v[137:138], v[81:82], v[107:108], -v[109:110]
	scratch_load_b128 v[83:86], off, off offset:432
	ds_load_b128 v[107:110], v1 offset:832
	v_add_f64_e32 v[2:3], v[2:3], v[79:80]
	v_add_f64_e32 v[10:11], v[10:11], v[131:132]
	ds_load_b128 v[79:82], v1 offset:816
	v_fma_f64 v[125:126], v[125:126], v[87:88], v[133:134]
	v_fma_f64 v[123:124], v[123:124], v[87:88], -v[89:90]
	scratch_load_b128 v[87:90], off, off offset:448
	s_wait_loadcnt_dscnt 0x900
	v_mul_f64_e32 v[131:132], v[79:80], v[93:94]
	v_mul_f64_e32 v[93:94], v[81:82], v[93:94]
	s_wait_loadcnt 0x8
	v_mul_f64_e32 v[133:134], v[107:108], v[97:98]
	v_mul_f64_e32 v[97:98], v[109:110], v[97:98]
	v_add_f64_e32 v[2:3], v[2:3], v[137:138]
	v_add_f64_e32 v[10:11], v[10:11], v[135:136]
	v_fma_f64 v[131:132], v[81:82], v[91:92], v[131:132]
	v_fma_f64 v[135:136], v[79:80], v[91:92], -v[93:94]
	ds_load_b128 v[79:82], v1 offset:848
	scratch_load_b128 v[91:94], off, off offset:464
	v_fma_f64 v[109:110], v[109:110], v[95:96], v[133:134]
	v_fma_f64 v[107:108], v[107:108], v[95:96], -v[97:98]
	scratch_load_b128 v[95:98], off, off offset:480
	v_add_f64_e32 v[2:3], v[2:3], v[123:124]
	v_add_f64_e32 v[10:11], v[10:11], v[125:126]
	ds_load_b128 v[123:126], v1 offset:864
	s_wait_loadcnt_dscnt 0x901
	v_mul_f64_e32 v[137:138], v[79:80], v[101:102]
	v_mul_f64_e32 v[101:102], v[81:82], v[101:102]
	s_wait_loadcnt_dscnt 0x800
	v_mul_f64_e32 v[133:134], v[125:126], v[105:106]
	v_add_f64_e32 v[2:3], v[2:3], v[135:136]
	v_add_f64_e32 v[10:11], v[10:11], v[131:132]
	v_mul_f64_e32 v[131:132], v[123:124], v[105:106]
	v_fma_f64 v[135:136], v[81:82], v[99:100], v[137:138]
	v_fma_f64 v[137:138], v[79:80], v[99:100], -v[101:102]
	ds_load_b128 v[79:82], v1 offset:880
	scratch_load_b128 v[99:102], off, off offset:496
	v_add_f64_e32 v[2:3], v[2:3], v[107:108]
	v_add_f64_e32 v[10:11], v[10:11], v[109:110]
	ds_load_b128 v[105:108], v1 offset:896
	s_wait_loadcnt_dscnt 0x801
	v_mul_f64_e32 v[109:110], v[79:80], v[113:114]
	v_mul_f64_e32 v[113:114], v[81:82], v[113:114]
	v_fma_f64 v[131:132], v[125:126], v[103:104], v[131:132]
	v_fma_f64 v[103:104], v[123:124], v[103:104], -v[133:134]
	scratch_load_b128 v[123:126], off, off offset:512
	v_add_f64_e32 v[2:3], v[2:3], v[137:138]
	v_add_f64_e32 v[10:11], v[10:11], v[135:136]
	v_fma_f64 v[137:138], v[81:82], v[111:112], v[109:110]
	v_fma_f64 v[113:114], v[79:80], v[111:112], -v[113:114]
	scratch_load_b128 v[79:82], off, off offset:528
	ds_load_b128 v[109:112], v1 offset:928
	s_wait_loadcnt_dscnt 0x901
	v_mul_f64_e32 v[133:134], v[105:106], v[8:9]
	v_mul_f64_e32 v[135:136], v[107:108], v[8:9]
	v_add_f64_e32 v[2:3], v[2:3], v[103:104]
	v_add_f64_e32 v[103:104], v[10:11], v[131:132]
	ds_load_b128 v[8:11], v1 offset:912
	v_fma_f64 v[107:108], v[107:108], v[6:7], v[133:134]
	v_fma_f64 v[6:7], v[105:106], v[6:7], -v[135:136]
	s_wait_loadcnt_dscnt 0x800
	v_mul_f64_e32 v[131:132], v[8:9], v[121:122]
	v_mul_f64_e32 v[121:122], v[10:11], v[121:122]
	v_add_f64_e32 v[2:3], v[2:3], v[113:114]
	v_add_f64_e32 v[103:104], v[103:104], v[137:138]
	s_wait_loadcnt 0x7
	v_mul_f64_e32 v[113:114], v[109:110], v[129:130]
	v_mul_f64_e32 v[129:130], v[111:112], v[129:130]
	v_fma_f64 v[10:11], v[10:11], v[119:120], v[131:132]
	v_fma_f64 v[119:120], v[8:9], v[119:120], -v[121:122]
	v_add_f64_e32 v[2:3], v[2:3], v[6:7]
	v_add_f64_e32 v[107:108], v[103:104], v[107:108]
	ds_load_b128 v[6:9], v1 offset:944
	ds_load_b128 v[103:106], v1 offset:960
	v_fma_f64 v[111:112], v[111:112], v[127:128], v[113:114]
	v_fma_f64 v[109:110], v[109:110], v[127:128], -v[129:130]
	s_wait_loadcnt_dscnt 0x601
	v_mul_f64_e32 v[121:122], v[6:7], v[85:86]
	v_mul_f64_e32 v[85:86], v[8:9], v[85:86]
	v_add_f64_e32 v[2:3], v[2:3], v[119:120]
	v_add_f64_e32 v[10:11], v[107:108], v[10:11]
	s_wait_loadcnt_dscnt 0x500
	v_mul_f64_e32 v[107:108], v[103:104], v[89:90]
	v_mul_f64_e32 v[89:90], v[105:106], v[89:90]
	v_fma_f64 v[113:114], v[8:9], v[83:84], v[121:122]
	v_fma_f64 v[119:120], v[6:7], v[83:84], -v[85:86]
	ds_load_b128 v[6:9], v1 offset:976
	ds_load_b128 v[83:86], v1 offset:992
	v_add_f64_e32 v[2:3], v[2:3], v[109:110]
	v_add_f64_e32 v[10:11], v[10:11], v[111:112]
	v_fma_f64 v[105:106], v[105:106], v[87:88], v[107:108]
	v_fma_f64 v[87:88], v[103:104], v[87:88], -v[89:90]
	s_wait_loadcnt_dscnt 0x401
	v_mul_f64_e32 v[109:110], v[6:7], v[93:94]
	v_mul_f64_e32 v[93:94], v[8:9], v[93:94]
	s_wait_loadcnt_dscnt 0x300
	v_mul_f64_e32 v[103:104], v[83:84], v[97:98]
	v_mul_f64_e32 v[97:98], v[85:86], v[97:98]
	v_add_f64_e32 v[2:3], v[2:3], v[119:120]
	v_add_f64_e32 v[10:11], v[10:11], v[113:114]
	v_fma_f64 v[107:108], v[8:9], v[91:92], v[109:110]
	v_fma_f64 v[91:92], v[6:7], v[91:92], -v[93:94]
	v_fma_f64 v[85:86], v[85:86], v[95:96], v[103:104]
	v_fma_f64 v[83:84], v[83:84], v[95:96], -v[97:98]
	v_add_f64_e32 v[2:3], v[2:3], v[87:88]
	v_add_f64_e32 v[10:11], v[10:11], v[105:106]
	ds_load_b128 v[6:9], v1 offset:1008
	ds_load_b128 v[87:90], v1 offset:1024
	s_wait_loadcnt_dscnt 0x201
	v_mul_f64_e32 v[93:94], v[6:7], v[101:102]
	v_mul_f64_e32 v[101:102], v[8:9], v[101:102]
	s_wait_loadcnt_dscnt 0x100
	v_mul_f64_e32 v[95:96], v[89:90], v[125:126]
	v_add_f64_e32 v[2:3], v[2:3], v[91:92]
	v_add_f64_e32 v[10:11], v[10:11], v[107:108]
	v_mul_f64_e32 v[91:92], v[87:88], v[125:126]
	v_fma_f64 v[93:94], v[8:9], v[99:100], v[93:94]
	v_fma_f64 v[97:98], v[6:7], v[99:100], -v[101:102]
	ds_load_b128 v[6:9], v1 offset:1040
	v_fma_f64 v[87:88], v[87:88], v[123:124], -v[95:96]
	v_add_f64_e32 v[2:3], v[2:3], v[83:84]
	v_add_f64_e32 v[10:11], v[10:11], v[85:86]
	v_fma_f64 v[85:86], v[89:90], v[123:124], v[91:92]
	s_wait_loadcnt_dscnt 0x0
	v_mul_f64_e32 v[83:84], v[6:7], v[81:82]
	v_mul_f64_e32 v[81:82], v[8:9], v[81:82]
	v_add_f64_e32 v[2:3], v[2:3], v[97:98]
	v_add_f64_e32 v[10:11], v[10:11], v[93:94]
	s_delay_alu instid0(VALU_DEP_4) | instskip(NEXT) | instid1(VALU_DEP_4)
	v_fma_f64 v[8:9], v[8:9], v[79:80], v[83:84]
	v_fma_f64 v[6:7], v[6:7], v[79:80], -v[81:82]
	s_delay_alu instid0(VALU_DEP_4) | instskip(NEXT) | instid1(VALU_DEP_4)
	v_add_f64_e32 v[2:3], v[2:3], v[87:88]
	v_add_f64_e32 v[10:11], v[10:11], v[85:86]
	s_delay_alu instid0(VALU_DEP_2) | instskip(NEXT) | instid1(VALU_DEP_2)
	v_add_f64_e32 v[2:3], v[2:3], v[6:7]
	v_add_f64_e32 v[8:9], v[10:11], v[8:9]
	s_delay_alu instid0(VALU_DEP_2) | instskip(NEXT) | instid1(VALU_DEP_2)
	v_add_f64_e64 v[6:7], v[115:116], -v[2:3]
	v_add_f64_e64 v[8:9], v[117:118], -v[8:9]
	scratch_store_b128 off, v[6:9], off offset:64
	v_cmpx_lt_u32_e32 2, v0
	s_cbranch_execz .LBB96_207
; %bb.206:
	scratch_load_b128 v[6:9], off, s40
	v_dual_mov_b32 v2, v1 :: v_dual_mov_b32 v3, v1
	v_mov_b32_e32 v4, v1
	scratch_store_b128 off, v[1:4], off offset:48
	s_wait_loadcnt 0x0
	ds_store_b128 v5, v[6:9]
.LBB96_207:
	s_wait_alu 0xfffe
	s_or_b32 exec_lo, exec_lo, s0
	s_wait_storecnt_dscnt 0x0
	s_barrier_signal -1
	s_barrier_wait -1
	global_inv scope:SCOPE_SE
	s_clause 0x8
	scratch_load_b128 v[6:9], off, off offset:64
	scratch_load_b128 v[79:82], off, off offset:80
	;; [unrolled: 1-line block ×9, first 2 shown]
	ds_load_b128 v[111:114], v1 offset:576
	ds_load_b128 v[115:118], v1 offset:592
	scratch_load_b128 v[119:122], off, off offset:48
	s_mov_b32 s0, exec_lo
	ds_load_b128 v[127:130], v1 offset:624
	s_wait_loadcnt_dscnt 0x902
	v_mul_f64_e32 v[2:3], v[113:114], v[8:9]
	v_mul_f64_e32 v[123:124], v[111:112], v[8:9]
	scratch_load_b128 v[8:11], off, off offset:208
	s_wait_loadcnt_dscnt 0x901
	v_mul_f64_e32 v[131:132], v[115:116], v[81:82]
	v_mul_f64_e32 v[81:82], v[117:118], v[81:82]
	v_fma_f64 v[2:3], v[111:112], v[6:7], -v[2:3]
	v_fma_f64 v[6:7], v[113:114], v[6:7], v[123:124]
	ds_load_b128 v[111:114], v1 offset:608
	scratch_load_b128 v[123:126], off, off offset:224
	v_fma_f64 v[117:118], v[117:118], v[79:80], v[131:132]
	v_fma_f64 v[115:116], v[115:116], v[79:80], -v[81:82]
	scratch_load_b128 v[79:82], off, off offset:240
	s_wait_loadcnt_dscnt 0x901
	v_mul_f64_e32 v[131:132], v[127:128], v[89:90]
	v_mul_f64_e32 v[89:90], v[129:130], v[89:90]
	s_wait_dscnt 0x0
	v_mul_f64_e32 v[133:134], v[111:112], v[85:86]
	v_mul_f64_e32 v[85:86], v[113:114], v[85:86]
	v_add_f64_e32 v[2:3], 0, v[2:3]
	v_add_f64_e32 v[6:7], 0, v[6:7]
	v_fma_f64 v[129:130], v[129:130], v[87:88], v[131:132]
	v_fma_f64 v[127:128], v[127:128], v[87:88], -v[89:90]
	scratch_load_b128 v[87:90], off, off offset:272
	v_fma_f64 v[133:134], v[113:114], v[83:84], v[133:134]
	v_fma_f64 v[135:136], v[111:112], v[83:84], -v[85:86]
	ds_load_b128 v[83:86], v1 offset:640
	scratch_load_b128 v[111:114], off, off offset:256
	v_add_f64_e32 v[2:3], v[2:3], v[115:116]
	v_add_f64_e32 v[6:7], v[6:7], v[117:118]
	ds_load_b128 v[115:118], v1 offset:656
	s_wait_loadcnt_dscnt 0xa01
	v_mul_f64_e32 v[137:138], v[83:84], v[93:94]
	v_mul_f64_e32 v[93:94], v[85:86], v[93:94]
	s_wait_loadcnt_dscnt 0x900
	v_mul_f64_e32 v[131:132], v[115:116], v[97:98]
	v_mul_f64_e32 v[97:98], v[117:118], v[97:98]
	v_add_f64_e32 v[2:3], v[2:3], v[135:136]
	v_add_f64_e32 v[6:7], v[6:7], v[133:134]
	v_fma_f64 v[133:134], v[85:86], v[91:92], v[137:138]
	v_fma_f64 v[135:136], v[83:84], v[91:92], -v[93:94]
	ds_load_b128 v[83:86], v1 offset:672
	scratch_load_b128 v[91:94], off, off offset:288
	v_fma_f64 v[117:118], v[117:118], v[95:96], v[131:132]
	v_fma_f64 v[115:116], v[115:116], v[95:96], -v[97:98]
	scratch_load_b128 v[95:98], off, off offset:304
	v_add_f64_e32 v[2:3], v[2:3], v[127:128]
	v_add_f64_e32 v[6:7], v[6:7], v[129:130]
	ds_load_b128 v[127:130], v1 offset:688
	s_wait_loadcnt_dscnt 0xa01
	v_mul_f64_e32 v[137:138], v[83:84], v[101:102]
	v_mul_f64_e32 v[101:102], v[85:86], v[101:102]
	s_wait_loadcnt_dscnt 0x900
	v_mul_f64_e32 v[131:132], v[127:128], v[105:106]
	v_mul_f64_e32 v[105:106], v[129:130], v[105:106]
	v_add_f64_e32 v[2:3], v[2:3], v[135:136]
	v_add_f64_e32 v[6:7], v[6:7], v[133:134]
	v_fma_f64 v[133:134], v[85:86], v[99:100], v[137:138]
	v_fma_f64 v[135:136], v[83:84], v[99:100], -v[101:102]
	ds_load_b128 v[83:86], v1 offset:704
	scratch_load_b128 v[99:102], off, off offset:320
	v_fma_f64 v[129:130], v[129:130], v[103:104], v[131:132]
	v_fma_f64 v[127:128], v[127:128], v[103:104], -v[105:106]
	scratch_load_b128 v[103:106], off, off offset:336
	v_add_f64_e32 v[2:3], v[2:3], v[115:116]
	v_add_f64_e32 v[6:7], v[6:7], v[117:118]
	ds_load_b128 v[115:118], v1 offset:720
	s_wait_loadcnt_dscnt 0xa01
	v_mul_f64_e32 v[137:138], v[83:84], v[109:110]
	v_mul_f64_e32 v[109:110], v[85:86], v[109:110]
	v_add_f64_e32 v[2:3], v[2:3], v[135:136]
	v_add_f64_e32 v[6:7], v[6:7], v[133:134]
	s_delay_alu instid0(VALU_DEP_4) | instskip(NEXT) | instid1(VALU_DEP_4)
	v_fma_f64 v[133:134], v[85:86], v[107:108], v[137:138]
	v_fma_f64 v[135:136], v[83:84], v[107:108], -v[109:110]
	ds_load_b128 v[83:86], v1 offset:736
	scratch_load_b128 v[107:110], off, off offset:352
	s_wait_loadcnt_dscnt 0x901
	v_mul_f64_e32 v[131:132], v[115:116], v[10:11]
	v_mul_f64_e32 v[10:11], v[117:118], v[10:11]
	v_add_f64_e32 v[2:3], v[2:3], v[127:128]
	v_add_f64_e32 v[6:7], v[6:7], v[129:130]
	ds_load_b128 v[127:130], v1 offset:752
	v_fma_f64 v[117:118], v[117:118], v[8:9], v[131:132]
	s_wait_loadcnt_dscnt 0x801
	v_mul_f64_e32 v[137:138], v[83:84], v[125:126]
	v_mul_f64_e32 v[125:126], v[85:86], v[125:126]
	v_fma_f64 v[10:11], v[115:116], v[8:9], -v[10:11]
	s_wait_loadcnt_dscnt 0x700
	v_mul_f64_e32 v[131:132], v[127:128], v[81:82]
	v_add_f64_e32 v[2:3], v[2:3], v[135:136]
	v_add_f64_e32 v[115:116], v[6:7], v[133:134]
	scratch_load_b128 v[6:9], off, off offset:368
	v_mul_f64_e32 v[133:134], v[129:130], v[81:82]
	v_fma_f64 v[85:86], v[85:86], v[123:124], v[137:138]
	v_fma_f64 v[135:136], v[83:84], v[123:124], -v[125:126]
	ds_load_b128 v[81:84], v1 offset:768
	ds_load_b128 v[123:126], v1 offset:784
	v_fma_f64 v[131:132], v[129:130], v[79:80], v[131:132]
	v_add_f64_e32 v[2:3], v[2:3], v[10:11]
	v_add_f64_e32 v[10:11], v[115:116], v[117:118]
	scratch_load_b128 v[115:118], off, off offset:384
	s_wait_loadcnt_dscnt 0x701
	v_mul_f64_e32 v[137:138], v[81:82], v[113:114]
	v_mul_f64_e32 v[113:114], v[83:84], v[113:114]
	v_fma_f64 v[79:80], v[127:128], v[79:80], -v[133:134]
	scratch_load_b128 v[127:130], off, off offset:400
	s_wait_dscnt 0x0
	v_mul_f64_e32 v[133:134], v[123:124], v[89:90]
	v_mul_f64_e32 v[89:90], v[125:126], v[89:90]
	v_add_f64_e32 v[2:3], v[2:3], v[135:136]
	v_add_f64_e32 v[10:11], v[10:11], v[85:86]
	v_fma_f64 v[135:136], v[83:84], v[111:112], v[137:138]
	v_fma_f64 v[137:138], v[81:82], v[111:112], -v[113:114]
	scratch_load_b128 v[83:86], off, off offset:416
	ds_load_b128 v[111:114], v1 offset:816
	v_fma_f64 v[125:126], v[125:126], v[87:88], v[133:134]
	v_fma_f64 v[123:124], v[123:124], v[87:88], -v[89:90]
	scratch_load_b128 v[87:90], off, off offset:432
	v_add_f64_e32 v[2:3], v[2:3], v[79:80]
	v_add_f64_e32 v[10:11], v[10:11], v[131:132]
	ds_load_b128 v[79:82], v1 offset:800
	s_wait_loadcnt_dscnt 0x801
	v_mul_f64_e32 v[133:134], v[111:112], v[97:98]
	v_mul_f64_e32 v[97:98], v[113:114], v[97:98]
	s_wait_dscnt 0x0
	v_mul_f64_e32 v[131:132], v[79:80], v[93:94]
	v_mul_f64_e32 v[93:94], v[81:82], v[93:94]
	v_add_f64_e32 v[2:3], v[2:3], v[137:138]
	v_add_f64_e32 v[10:11], v[10:11], v[135:136]
	v_fma_f64 v[113:114], v[113:114], v[95:96], v[133:134]
	v_fma_f64 v[111:112], v[111:112], v[95:96], -v[97:98]
	scratch_load_b128 v[95:98], off, off offset:464
	v_fma_f64 v[131:132], v[81:82], v[91:92], v[131:132]
	v_fma_f64 v[135:136], v[79:80], v[91:92], -v[93:94]
	ds_load_b128 v[79:82], v1 offset:832
	scratch_load_b128 v[91:94], off, off offset:448
	v_add_f64_e32 v[2:3], v[2:3], v[123:124]
	v_add_f64_e32 v[10:11], v[10:11], v[125:126]
	ds_load_b128 v[123:126], v1 offset:848
	s_wait_loadcnt_dscnt 0x901
	v_mul_f64_e32 v[137:138], v[79:80], v[101:102]
	v_mul_f64_e32 v[101:102], v[81:82], v[101:102]
	v_add_f64_e32 v[2:3], v[2:3], v[135:136]
	v_add_f64_e32 v[10:11], v[10:11], v[131:132]
	s_wait_loadcnt_dscnt 0x800
	v_mul_f64_e32 v[131:132], v[123:124], v[105:106]
	v_mul_f64_e32 v[105:106], v[125:126], v[105:106]
	v_fma_f64 v[133:134], v[81:82], v[99:100], v[137:138]
	v_fma_f64 v[135:136], v[79:80], v[99:100], -v[101:102]
	ds_load_b128 v[79:82], v1 offset:864
	scratch_load_b128 v[99:102], off, off offset:480
	v_add_f64_e32 v[2:3], v[2:3], v[111:112]
	v_add_f64_e32 v[10:11], v[10:11], v[113:114]
	ds_load_b128 v[111:114], v1 offset:880
	s_wait_loadcnt_dscnt 0x801
	v_mul_f64_e32 v[137:138], v[79:80], v[109:110]
	v_mul_f64_e32 v[109:110], v[81:82], v[109:110]
	v_fma_f64 v[125:126], v[125:126], v[103:104], v[131:132]
	v_fma_f64 v[123:124], v[123:124], v[103:104], -v[105:106]
	scratch_load_b128 v[103:106], off, off offset:496
	v_add_f64_e32 v[2:3], v[2:3], v[135:136]
	v_add_f64_e32 v[10:11], v[10:11], v[133:134]
	v_fma_f64 v[135:136], v[81:82], v[107:108], v[137:138]
	v_fma_f64 v[137:138], v[79:80], v[107:108], -v[109:110]
	scratch_load_b128 v[79:82], off, off offset:512
	ds_load_b128 v[107:110], v1 offset:912
	s_wait_loadcnt_dscnt 0x901
	v_mul_f64_e32 v[131:132], v[111:112], v[8:9]
	v_mul_f64_e32 v[133:134], v[113:114], v[8:9]
	v_add_f64_e32 v[2:3], v[2:3], v[123:124]
	v_add_f64_e32 v[123:124], v[10:11], v[125:126]
	ds_load_b128 v[8:11], v1 offset:896
	v_fma_f64 v[131:132], v[113:114], v[6:7], v[131:132]
	v_fma_f64 v[6:7], v[111:112], v[6:7], -v[133:134]
	scratch_load_b128 v[111:114], off, off offset:528
	s_wait_loadcnt_dscnt 0x900
	v_mul_f64_e32 v[125:126], v[8:9], v[117:118]
	v_mul_f64_e32 v[117:118], v[10:11], v[117:118]
	s_wait_loadcnt 0x8
	v_mul_f64_e32 v[133:134], v[107:108], v[129:130]
	v_mul_f64_e32 v[129:130], v[109:110], v[129:130]
	v_add_f64_e32 v[2:3], v[2:3], v[137:138]
	v_add_f64_e32 v[123:124], v[123:124], v[135:136]
	v_fma_f64 v[10:11], v[10:11], v[115:116], v[125:126]
	v_fma_f64 v[125:126], v[8:9], v[115:116], -v[117:118]
	v_fma_f64 v[109:110], v[109:110], v[127:128], v[133:134]
	v_fma_f64 v[107:108], v[107:108], v[127:128], -v[129:130]
	v_add_f64_e32 v[2:3], v[2:3], v[6:7]
	v_add_f64_e32 v[123:124], v[123:124], v[131:132]
	ds_load_b128 v[6:9], v1 offset:928
	ds_load_b128 v[115:118], v1 offset:944
	s_wait_loadcnt_dscnt 0x701
	v_mul_f64_e32 v[131:132], v[6:7], v[85:86]
	v_mul_f64_e32 v[85:86], v[8:9], v[85:86]
	v_add_f64_e32 v[2:3], v[2:3], v[125:126]
	v_add_f64_e32 v[10:11], v[123:124], v[10:11]
	s_wait_loadcnt_dscnt 0x600
	v_mul_f64_e32 v[123:124], v[115:116], v[89:90]
	v_mul_f64_e32 v[89:90], v[117:118], v[89:90]
	v_fma_f64 v[125:126], v[8:9], v[83:84], v[131:132]
	v_fma_f64 v[127:128], v[6:7], v[83:84], -v[85:86]
	ds_load_b128 v[6:9], v1 offset:960
	ds_load_b128 v[83:86], v1 offset:976
	v_add_f64_e32 v[2:3], v[2:3], v[107:108]
	v_add_f64_e32 v[10:11], v[10:11], v[109:110]
	v_fma_f64 v[109:110], v[117:118], v[87:88], v[123:124]
	v_fma_f64 v[87:88], v[115:116], v[87:88], -v[89:90]
	s_wait_loadcnt_dscnt 0x401
	v_mul_f64_e32 v[107:108], v[6:7], v[93:94]
	v_mul_f64_e32 v[93:94], v[8:9], v[93:94]
	s_wait_dscnt 0x0
	v_mul_f64_e32 v[115:116], v[83:84], v[97:98]
	v_mul_f64_e32 v[97:98], v[85:86], v[97:98]
	v_add_f64_e32 v[2:3], v[2:3], v[127:128]
	v_add_f64_e32 v[10:11], v[10:11], v[125:126]
	v_fma_f64 v[107:108], v[8:9], v[91:92], v[107:108]
	v_fma_f64 v[91:92], v[6:7], v[91:92], -v[93:94]
	v_fma_f64 v[85:86], v[85:86], v[95:96], v[115:116]
	v_fma_f64 v[83:84], v[83:84], v[95:96], -v[97:98]
	v_add_f64_e32 v[2:3], v[2:3], v[87:88]
	v_add_f64_e32 v[10:11], v[10:11], v[109:110]
	ds_load_b128 v[6:9], v1 offset:992
	ds_load_b128 v[87:90], v1 offset:1008
	s_wait_loadcnt_dscnt 0x301
	v_mul_f64_e32 v[93:94], v[6:7], v[101:102]
	v_mul_f64_e32 v[101:102], v[8:9], v[101:102]
	s_wait_loadcnt_dscnt 0x200
	v_mul_f64_e32 v[95:96], v[89:90], v[105:106]
	v_add_f64_e32 v[2:3], v[2:3], v[91:92]
	v_add_f64_e32 v[10:11], v[10:11], v[107:108]
	v_mul_f64_e32 v[91:92], v[87:88], v[105:106]
	v_fma_f64 v[93:94], v[8:9], v[99:100], v[93:94]
	v_fma_f64 v[97:98], v[6:7], v[99:100], -v[101:102]
	v_fma_f64 v[87:88], v[87:88], v[103:104], -v[95:96]
	v_add_f64_e32 v[83:84], v[2:3], v[83:84]
	v_add_f64_e32 v[10:11], v[10:11], v[85:86]
	ds_load_b128 v[6:9], v1 offset:1024
	ds_load_b128 v[1:4], v1 offset:1040
	v_fma_f64 v[89:90], v[89:90], v[103:104], v[91:92]
	s_wait_loadcnt_dscnt 0x101
	v_mul_f64_e32 v[85:86], v[6:7], v[81:82]
	v_mul_f64_e32 v[81:82], v[8:9], v[81:82]
	s_wait_loadcnt_dscnt 0x0
	v_mul_f64_e32 v[91:92], v[1:2], v[113:114]
	v_add_f64_e32 v[83:84], v[83:84], v[97:98]
	v_add_f64_e32 v[10:11], v[10:11], v[93:94]
	v_mul_f64_e32 v[93:94], v[3:4], v[113:114]
	v_fma_f64 v[8:9], v[8:9], v[79:80], v[85:86]
	v_fma_f64 v[6:7], v[6:7], v[79:80], -v[81:82]
	v_fma_f64 v[3:4], v[3:4], v[111:112], v[91:92]
	v_add_f64_e32 v[79:80], v[83:84], v[87:88]
	v_add_f64_e32 v[10:11], v[10:11], v[89:90]
	v_fma_f64 v[1:2], v[1:2], v[111:112], -v[93:94]
	s_delay_alu instid0(VALU_DEP_3) | instskip(NEXT) | instid1(VALU_DEP_3)
	v_add_f64_e32 v[6:7], v[79:80], v[6:7]
	v_add_f64_e32 v[8:9], v[10:11], v[8:9]
	s_delay_alu instid0(VALU_DEP_2) | instskip(NEXT) | instid1(VALU_DEP_2)
	v_add_f64_e32 v[1:2], v[6:7], v[1:2]
	v_add_f64_e32 v[3:4], v[8:9], v[3:4]
	s_delay_alu instid0(VALU_DEP_2) | instskip(NEXT) | instid1(VALU_DEP_2)
	v_add_f64_e64 v[1:2], v[119:120], -v[1:2]
	v_add_f64_e64 v[3:4], v[121:122], -v[3:4]
	scratch_store_b128 off, v[1:4], off offset:48
	v_cmpx_lt_u32_e32 1, v0
	s_cbranch_execz .LBB96_209
; %bb.208:
	scratch_load_b128 v[1:4], off, s41
	v_mov_b32_e32 v6, 0
	s_delay_alu instid0(VALU_DEP_1)
	v_dual_mov_b32 v7, v6 :: v_dual_mov_b32 v8, v6
	v_mov_b32_e32 v9, v6
	scratch_store_b128 off, v[6:9], off offset:32
	s_wait_loadcnt 0x0
	ds_store_b128 v5, v[1:4]
.LBB96_209:
	s_wait_alu 0xfffe
	s_or_b32 exec_lo, exec_lo, s0
	s_wait_storecnt_dscnt 0x0
	s_barrier_signal -1
	s_barrier_wait -1
	global_inv scope:SCOPE_SE
	s_clause 0x7
	scratch_load_b128 v[6:9], off, off offset:48
	scratch_load_b128 v[79:82], off, off offset:64
	;; [unrolled: 1-line block ×8, first 2 shown]
	v_mov_b32_e32 v1, 0
	s_mov_b32 s0, exec_lo
	ds_load_b128 v[107:110], v1 offset:560
	s_clause 0x1
	scratch_load_b128 v[111:114], off, off offset:176
	scratch_load_b128 v[115:118], off, off offset:32
	ds_load_b128 v[119:122], v1 offset:576
	ds_load_b128 v[127:130], v1 offset:608
	s_wait_loadcnt_dscnt 0x902
	v_mul_f64_e32 v[2:3], v[109:110], v[8:9]
	v_mul_f64_e32 v[123:124], v[107:108], v[8:9]
	scratch_load_b128 v[8:11], off, off offset:192
	v_fma_f64 v[2:3], v[107:108], v[6:7], -v[2:3]
	v_fma_f64 v[6:7], v[109:110], v[6:7], v[123:124]
	ds_load_b128 v[107:110], v1 offset:592
	s_wait_loadcnt_dscnt 0x902
	v_mul_f64_e32 v[131:132], v[119:120], v[81:82]
	v_mul_f64_e32 v[81:82], v[121:122], v[81:82]
	scratch_load_b128 v[123:126], off, off offset:208
	s_wait_loadcnt_dscnt 0x900
	v_mul_f64_e32 v[133:134], v[107:108], v[85:86]
	v_mul_f64_e32 v[85:86], v[109:110], v[85:86]
	v_add_f64_e32 v[2:3], 0, v[2:3]
	v_add_f64_e32 v[6:7], 0, v[6:7]
	v_fma_f64 v[121:122], v[121:122], v[79:80], v[131:132]
	v_fma_f64 v[119:120], v[119:120], v[79:80], -v[81:82]
	scratch_load_b128 v[79:82], off, off offset:224
	v_fma_f64 v[133:134], v[109:110], v[83:84], v[133:134]
	v_fma_f64 v[135:136], v[107:108], v[83:84], -v[85:86]
	ds_load_b128 v[83:86], v1 offset:624
	s_wait_loadcnt 0x9
	v_mul_f64_e32 v[131:132], v[127:128], v[89:90]
	v_mul_f64_e32 v[89:90], v[129:130], v[89:90]
	scratch_load_b128 v[107:110], off, off offset:240
	v_add_f64_e32 v[6:7], v[6:7], v[121:122]
	v_add_f64_e32 v[2:3], v[2:3], v[119:120]
	ds_load_b128 v[119:122], v1 offset:640
	s_wait_loadcnt_dscnt 0x901
	v_mul_f64_e32 v[137:138], v[83:84], v[93:94]
	v_mul_f64_e32 v[93:94], v[85:86], v[93:94]
	v_fma_f64 v[129:130], v[129:130], v[87:88], v[131:132]
	v_fma_f64 v[127:128], v[127:128], v[87:88], -v[89:90]
	scratch_load_b128 v[87:90], off, off offset:256
	v_add_f64_e32 v[6:7], v[6:7], v[133:134]
	v_add_f64_e32 v[2:3], v[2:3], v[135:136]
	v_fma_f64 v[133:134], v[85:86], v[91:92], v[137:138]
	v_fma_f64 v[135:136], v[83:84], v[91:92], -v[93:94]
	ds_load_b128 v[83:86], v1 offset:656
	s_wait_loadcnt_dscnt 0x901
	v_mul_f64_e32 v[131:132], v[119:120], v[97:98]
	v_mul_f64_e32 v[97:98], v[121:122], v[97:98]
	scratch_load_b128 v[91:94], off, off offset:272
	s_wait_loadcnt_dscnt 0x900
	v_mul_f64_e32 v[137:138], v[83:84], v[101:102]
	v_mul_f64_e32 v[101:102], v[85:86], v[101:102]
	v_add_f64_e32 v[6:7], v[6:7], v[129:130]
	v_add_f64_e32 v[2:3], v[2:3], v[127:128]
	ds_load_b128 v[127:130], v1 offset:672
	v_fma_f64 v[121:122], v[121:122], v[95:96], v[131:132]
	v_fma_f64 v[119:120], v[119:120], v[95:96], -v[97:98]
	scratch_load_b128 v[95:98], off, off offset:288
	v_add_f64_e32 v[6:7], v[6:7], v[133:134]
	v_add_f64_e32 v[2:3], v[2:3], v[135:136]
	v_fma_f64 v[133:134], v[85:86], v[99:100], v[137:138]
	v_fma_f64 v[135:136], v[83:84], v[99:100], -v[101:102]
	ds_load_b128 v[83:86], v1 offset:688
	s_wait_loadcnt_dscnt 0x901
	v_mul_f64_e32 v[131:132], v[127:128], v[105:106]
	v_mul_f64_e32 v[105:106], v[129:130], v[105:106]
	scratch_load_b128 v[99:102], off, off offset:304
	s_wait_loadcnt_dscnt 0x900
	v_mul_f64_e32 v[137:138], v[83:84], v[113:114]
	v_mul_f64_e32 v[113:114], v[85:86], v[113:114]
	v_add_f64_e32 v[6:7], v[6:7], v[121:122]
	v_add_f64_e32 v[2:3], v[2:3], v[119:120]
	ds_load_b128 v[119:122], v1 offset:704
	v_fma_f64 v[129:130], v[129:130], v[103:104], v[131:132]
	v_fma_f64 v[127:128], v[127:128], v[103:104], -v[105:106]
	scratch_load_b128 v[103:106], off, off offset:320
	v_add_f64_e32 v[6:7], v[6:7], v[133:134]
	v_add_f64_e32 v[2:3], v[2:3], v[135:136]
	v_fma_f64 v[133:134], v[85:86], v[111:112], v[137:138]
	v_fma_f64 v[135:136], v[83:84], v[111:112], -v[113:114]
	ds_load_b128 v[83:86], v1 offset:720
	scratch_load_b128 v[111:114], off, off offset:336
	s_wait_loadcnt_dscnt 0x901
	v_mul_f64_e32 v[131:132], v[119:120], v[10:11]
	v_mul_f64_e32 v[10:11], v[121:122], v[10:11]
	v_add_f64_e32 v[6:7], v[6:7], v[129:130]
	v_add_f64_e32 v[2:3], v[2:3], v[127:128]
	ds_load_b128 v[127:130], v1 offset:736
	v_fma_f64 v[121:122], v[121:122], v[8:9], v[131:132]
	v_fma_f64 v[10:11], v[119:120], v[8:9], -v[10:11]
	s_wait_loadcnt_dscnt 0x801
	v_mul_f64_e32 v[137:138], v[83:84], v[125:126]
	v_mul_f64_e32 v[125:126], v[85:86], v[125:126]
	v_add_f64_e32 v[119:120], v[6:7], v[133:134]
	v_add_f64_e32 v[2:3], v[2:3], v[135:136]
	scratch_load_b128 v[6:9], off, off offset:352
	v_fma_f64 v[85:86], v[85:86], v[123:124], v[137:138]
	v_fma_f64 v[135:136], v[83:84], v[123:124], -v[125:126]
	ds_load_b128 v[123:126], v1 offset:768
	s_wait_loadcnt_dscnt 0x801
	v_mul_f64_e32 v[131:132], v[127:128], v[81:82]
	v_mul_f64_e32 v[133:134], v[129:130], v[81:82]
	ds_load_b128 v[81:84], v1 offset:752
	v_add_f64_e32 v[2:3], v[2:3], v[10:11]
	v_add_f64_e32 v[10:11], v[119:120], v[121:122]
	scratch_load_b128 v[119:122], off, off offset:368
	s_wait_loadcnt_dscnt 0x800
	v_mul_f64_e32 v[137:138], v[81:82], v[109:110]
	v_mul_f64_e32 v[109:110], v[83:84], v[109:110]
	v_fma_f64 v[131:132], v[129:130], v[79:80], v[131:132]
	v_fma_f64 v[79:80], v[127:128], v[79:80], -v[133:134]
	scratch_load_b128 v[127:130], off, off offset:384
	v_add_f64_e32 v[2:3], v[2:3], v[135:136]
	v_add_f64_e32 v[10:11], v[10:11], v[85:86]
	s_wait_loadcnt 0x8
	v_mul_f64_e32 v[133:134], v[123:124], v[89:90]
	v_mul_f64_e32 v[89:90], v[125:126], v[89:90]
	v_fma_f64 v[135:136], v[83:84], v[107:108], v[137:138]
	v_fma_f64 v[137:138], v[81:82], v[107:108], -v[109:110]
	scratch_load_b128 v[83:86], off, off offset:400
	ds_load_b128 v[107:110], v1 offset:800
	v_add_f64_e32 v[2:3], v[2:3], v[79:80]
	v_add_f64_e32 v[10:11], v[10:11], v[131:132]
	ds_load_b128 v[79:82], v1 offset:784
	v_fma_f64 v[125:126], v[125:126], v[87:88], v[133:134]
	v_fma_f64 v[123:124], v[123:124], v[87:88], -v[89:90]
	scratch_load_b128 v[87:90], off, off offset:416
	s_wait_loadcnt_dscnt 0x900
	v_mul_f64_e32 v[131:132], v[79:80], v[93:94]
	v_mul_f64_e32 v[93:94], v[81:82], v[93:94]
	s_wait_loadcnt 0x8
	v_mul_f64_e32 v[133:134], v[107:108], v[97:98]
	v_mul_f64_e32 v[97:98], v[109:110], v[97:98]
	v_add_f64_e32 v[2:3], v[2:3], v[137:138]
	v_add_f64_e32 v[10:11], v[10:11], v[135:136]
	v_fma_f64 v[131:132], v[81:82], v[91:92], v[131:132]
	v_fma_f64 v[135:136], v[79:80], v[91:92], -v[93:94]
	ds_load_b128 v[79:82], v1 offset:816
	scratch_load_b128 v[91:94], off, off offset:432
	v_fma_f64 v[109:110], v[109:110], v[95:96], v[133:134]
	v_fma_f64 v[107:108], v[107:108], v[95:96], -v[97:98]
	scratch_load_b128 v[95:98], off, off offset:448
	v_add_f64_e32 v[2:3], v[2:3], v[123:124]
	v_add_f64_e32 v[10:11], v[10:11], v[125:126]
	ds_load_b128 v[123:126], v1 offset:832
	s_wait_loadcnt_dscnt 0x901
	v_mul_f64_e32 v[137:138], v[79:80], v[101:102]
	v_mul_f64_e32 v[101:102], v[81:82], v[101:102]
	s_wait_loadcnt_dscnt 0x800
	v_mul_f64_e32 v[133:134], v[125:126], v[105:106]
	v_add_f64_e32 v[2:3], v[2:3], v[135:136]
	v_add_f64_e32 v[10:11], v[10:11], v[131:132]
	v_mul_f64_e32 v[131:132], v[123:124], v[105:106]
	v_fma_f64 v[135:136], v[81:82], v[99:100], v[137:138]
	v_fma_f64 v[137:138], v[79:80], v[99:100], -v[101:102]
	ds_load_b128 v[79:82], v1 offset:848
	scratch_load_b128 v[99:102], off, off offset:464
	v_add_f64_e32 v[2:3], v[2:3], v[107:108]
	v_add_f64_e32 v[10:11], v[10:11], v[109:110]
	ds_load_b128 v[105:108], v1 offset:864
	s_wait_loadcnt_dscnt 0x801
	v_mul_f64_e32 v[109:110], v[79:80], v[113:114]
	v_mul_f64_e32 v[113:114], v[81:82], v[113:114]
	v_fma_f64 v[131:132], v[125:126], v[103:104], v[131:132]
	v_fma_f64 v[103:104], v[123:124], v[103:104], -v[133:134]
	scratch_load_b128 v[123:126], off, off offset:480
	v_add_f64_e32 v[2:3], v[2:3], v[137:138]
	v_add_f64_e32 v[10:11], v[10:11], v[135:136]
	v_fma_f64 v[137:138], v[81:82], v[111:112], v[109:110]
	v_fma_f64 v[113:114], v[79:80], v[111:112], -v[113:114]
	scratch_load_b128 v[79:82], off, off offset:496
	ds_load_b128 v[109:112], v1 offset:896
	s_wait_loadcnt_dscnt 0x901
	v_mul_f64_e32 v[133:134], v[105:106], v[8:9]
	v_mul_f64_e32 v[135:136], v[107:108], v[8:9]
	v_add_f64_e32 v[2:3], v[2:3], v[103:104]
	v_add_f64_e32 v[103:104], v[10:11], v[131:132]
	ds_load_b128 v[8:11], v1 offset:880
	v_fma_f64 v[107:108], v[107:108], v[6:7], v[133:134]
	v_fma_f64 v[6:7], v[105:106], v[6:7], -v[135:136]
	s_wait_loadcnt_dscnt 0x800
	v_mul_f64_e32 v[131:132], v[8:9], v[121:122]
	v_mul_f64_e32 v[121:122], v[10:11], v[121:122]
	s_wait_loadcnt 0x7
	v_mul_f64_e32 v[133:134], v[109:110], v[129:130]
	v_add_f64_e32 v[2:3], v[2:3], v[113:114]
	v_add_f64_e32 v[113:114], v[103:104], v[137:138]
	scratch_load_b128 v[103:106], off, off offset:512
	v_mul_f64_e32 v[135:136], v[111:112], v[129:130]
	v_fma_f64 v[10:11], v[10:11], v[119:120], v[131:132]
	v_fma_f64 v[137:138], v[8:9], v[119:120], -v[121:122]
	scratch_load_b128 v[119:122], off, off offset:528
	ds_load_b128 v[129:132], v1 offset:928
	v_fma_f64 v[111:112], v[111:112], v[127:128], v[133:134]
	v_add_f64_e32 v[2:3], v[2:3], v[6:7]
	v_add_f64_e32 v[107:108], v[113:114], v[107:108]
	ds_load_b128 v[6:9], v1 offset:912
	v_fma_f64 v[109:110], v[109:110], v[127:128], -v[135:136]
	s_wait_loadcnt_dscnt 0x800
	v_mul_f64_e32 v[113:114], v[6:7], v[85:86]
	v_mul_f64_e32 v[85:86], v[8:9], v[85:86]
	v_add_f64_e32 v[2:3], v[2:3], v[137:138]
	v_add_f64_e32 v[10:11], v[107:108], v[10:11]
	s_wait_loadcnt 0x7
	v_mul_f64_e32 v[107:108], v[129:130], v[89:90]
	v_mul_f64_e32 v[89:90], v[131:132], v[89:90]
	v_fma_f64 v[113:114], v[8:9], v[83:84], v[113:114]
	v_fma_f64 v[127:128], v[6:7], v[83:84], -v[85:86]
	ds_load_b128 v[6:9], v1 offset:944
	ds_load_b128 v[83:86], v1 offset:960
	v_add_f64_e32 v[2:3], v[2:3], v[109:110]
	v_add_f64_e32 v[10:11], v[10:11], v[111:112]
	v_fma_f64 v[107:108], v[131:132], v[87:88], v[107:108]
	v_fma_f64 v[87:88], v[129:130], v[87:88], -v[89:90]
	s_wait_loadcnt_dscnt 0x601
	v_mul_f64_e32 v[109:110], v[6:7], v[93:94]
	v_mul_f64_e32 v[93:94], v[8:9], v[93:94]
	s_wait_loadcnt_dscnt 0x500
	v_mul_f64_e32 v[111:112], v[83:84], v[97:98]
	v_mul_f64_e32 v[97:98], v[85:86], v[97:98]
	v_add_f64_e32 v[2:3], v[2:3], v[127:128]
	v_add_f64_e32 v[10:11], v[10:11], v[113:114]
	v_fma_f64 v[109:110], v[8:9], v[91:92], v[109:110]
	v_fma_f64 v[91:92], v[6:7], v[91:92], -v[93:94]
	v_fma_f64 v[85:86], v[85:86], v[95:96], v[111:112]
	v_fma_f64 v[83:84], v[83:84], v[95:96], -v[97:98]
	v_add_f64_e32 v[2:3], v[2:3], v[87:88]
	v_add_f64_e32 v[10:11], v[10:11], v[107:108]
	ds_load_b128 v[6:9], v1 offset:976
	ds_load_b128 v[87:90], v1 offset:992
	s_wait_loadcnt_dscnt 0x401
	v_mul_f64_e32 v[93:94], v[6:7], v[101:102]
	v_mul_f64_e32 v[101:102], v[8:9], v[101:102]
	s_wait_loadcnt_dscnt 0x300
	v_mul_f64_e32 v[95:96], v[89:90], v[125:126]
	v_add_f64_e32 v[2:3], v[2:3], v[91:92]
	v_add_f64_e32 v[10:11], v[10:11], v[109:110]
	v_mul_f64_e32 v[91:92], v[87:88], v[125:126]
	v_fma_f64 v[93:94], v[8:9], v[99:100], v[93:94]
	v_fma_f64 v[97:98], v[6:7], v[99:100], -v[101:102]
	v_fma_f64 v[87:88], v[87:88], v[123:124], -v[95:96]
	v_add_f64_e32 v[2:3], v[2:3], v[83:84]
	v_add_f64_e32 v[10:11], v[10:11], v[85:86]
	ds_load_b128 v[6:9], v1 offset:1008
	ds_load_b128 v[83:86], v1 offset:1024
	v_fma_f64 v[89:90], v[89:90], v[123:124], v[91:92]
	s_wait_loadcnt_dscnt 0x201
	v_mul_f64_e32 v[99:100], v[6:7], v[81:82]
	v_mul_f64_e32 v[81:82], v[8:9], v[81:82]
	v_add_f64_e32 v[2:3], v[2:3], v[97:98]
	v_add_f64_e32 v[10:11], v[10:11], v[93:94]
	s_wait_loadcnt_dscnt 0x100
	v_mul_f64_e32 v[91:92], v[83:84], v[105:106]
	v_mul_f64_e32 v[93:94], v[85:86], v[105:106]
	v_fma_f64 v[95:96], v[8:9], v[79:80], v[99:100]
	v_fma_f64 v[79:80], v[6:7], v[79:80], -v[81:82]
	ds_load_b128 v[6:9], v1 offset:1040
	v_add_f64_e32 v[2:3], v[2:3], v[87:88]
	v_add_f64_e32 v[10:11], v[10:11], v[89:90]
	s_wait_loadcnt_dscnt 0x0
	v_mul_f64_e32 v[81:82], v[6:7], v[121:122]
	v_mul_f64_e32 v[87:88], v[8:9], v[121:122]
	v_fma_f64 v[85:86], v[85:86], v[103:104], v[91:92]
	v_fma_f64 v[83:84], v[83:84], v[103:104], -v[93:94]
	v_add_f64_e32 v[2:3], v[2:3], v[79:80]
	v_add_f64_e32 v[10:11], v[10:11], v[95:96]
	v_fma_f64 v[8:9], v[8:9], v[119:120], v[81:82]
	v_fma_f64 v[6:7], v[6:7], v[119:120], -v[87:88]
	s_delay_alu instid0(VALU_DEP_4) | instskip(NEXT) | instid1(VALU_DEP_4)
	v_add_f64_e32 v[2:3], v[2:3], v[83:84]
	v_add_f64_e32 v[10:11], v[10:11], v[85:86]
	s_delay_alu instid0(VALU_DEP_2) | instskip(NEXT) | instid1(VALU_DEP_2)
	v_add_f64_e32 v[2:3], v[2:3], v[6:7]
	v_add_f64_e32 v[8:9], v[10:11], v[8:9]
	s_delay_alu instid0(VALU_DEP_2) | instskip(NEXT) | instid1(VALU_DEP_2)
	v_add_f64_e64 v[6:7], v[115:116], -v[2:3]
	v_add_f64_e64 v[8:9], v[117:118], -v[8:9]
	scratch_store_b128 off, v[6:9], off offset:32
	v_cmpx_ne_u32_e32 0, v0
	s_cbranch_execz .LBB96_211
; %bb.210:
	scratch_load_b128 v[6:9], off, off offset:16
	v_dual_mov_b32 v2, v1 :: v_dual_mov_b32 v3, v1
	v_mov_b32_e32 v4, v1
	scratch_store_b128 off, v[1:4], off offset:16
	s_wait_loadcnt 0x0
	ds_store_b128 v5, v[6:9]
.LBB96_211:
	s_wait_alu 0xfffe
	s_or_b32 exec_lo, exec_lo, s0
	s_wait_storecnt_dscnt 0x0
	s_barrier_signal -1
	s_barrier_wait -1
	global_inv scope:SCOPE_SE
	s_clause 0x8
	scratch_load_b128 v[2:5], off, off offset:32
	scratch_load_b128 v[6:9], off, off offset:48
	;; [unrolled: 1-line block ×9, first 2 shown]
	ds_load_b128 v[107:110], v1 offset:544
	ds_load_b128 v[111:114], v1 offset:560
	s_clause 0x1
	scratch_load_b128 v[115:118], off, off offset:16
	scratch_load_b128 v[119:122], off, off offset:176
	s_and_b32 vcc_lo, exec_lo, s12
	s_wait_loadcnt_dscnt 0xa01
	v_mul_f64_e32 v[10:11], v[109:110], v[4:5]
	v_mul_f64_e32 v[4:5], v[107:108], v[4:5]
	s_wait_loadcnt_dscnt 0x900
	v_mul_f64_e32 v[123:124], v[111:112], v[8:9]
	v_mul_f64_e32 v[125:126], v[113:114], v[8:9]
	s_delay_alu instid0(VALU_DEP_4) | instskip(NEXT) | instid1(VALU_DEP_4)
	v_fma_f64 v[127:128], v[107:108], v[2:3], -v[10:11]
	v_fma_f64 v[129:130], v[109:110], v[2:3], v[4:5]
	ds_load_b128 v[2:5], v1 offset:576
	ds_load_b128 v[107:110], v1 offset:592
	scratch_load_b128 v[8:11], off, off offset:192
	v_fma_f64 v[123:124], v[113:114], v[6:7], v[123:124]
	v_fma_f64 v[6:7], v[111:112], v[6:7], -v[125:126]
	scratch_load_b128 v[111:114], off, off offset:208
	s_wait_loadcnt_dscnt 0xa01
	v_mul_f64_e32 v[131:132], v[2:3], v[81:82]
	v_mul_f64_e32 v[81:82], v[4:5], v[81:82]
	v_add_f64_e32 v[125:126], 0, v[127:128]
	v_add_f64_e32 v[127:128], 0, v[129:130]
	s_wait_loadcnt_dscnt 0x900
	v_mul_f64_e32 v[129:130], v[107:108], v[85:86]
	v_mul_f64_e32 v[85:86], v[109:110], v[85:86]
	v_fma_f64 v[131:132], v[4:5], v[79:80], v[131:132]
	v_fma_f64 v[133:134], v[2:3], v[79:80], -v[81:82]
	ds_load_b128 v[2:5], v1 offset:608
	scratch_load_b128 v[79:82], off, off offset:224
	v_add_f64_e32 v[6:7], v[125:126], v[6:7]
	v_add_f64_e32 v[127:128], v[127:128], v[123:124]
	ds_load_b128 v[123:126], v1 offset:624
	v_fma_f64 v[109:110], v[109:110], v[83:84], v[129:130]
	v_fma_f64 v[107:108], v[107:108], v[83:84], -v[85:86]
	scratch_load_b128 v[83:86], off, off offset:240
	s_wait_loadcnt_dscnt 0xa01
	v_mul_f64_e32 v[135:136], v[2:3], v[89:90]
	v_mul_f64_e32 v[89:90], v[4:5], v[89:90]
	s_wait_loadcnt_dscnt 0x900
	v_mul_f64_e32 v[129:130], v[123:124], v[93:94]
	v_mul_f64_e32 v[93:94], v[125:126], v[93:94]
	v_add_f64_e32 v[6:7], v[6:7], v[133:134]
	v_add_f64_e32 v[127:128], v[127:128], v[131:132]
	v_fma_f64 v[131:132], v[4:5], v[87:88], v[135:136]
	v_fma_f64 v[133:134], v[2:3], v[87:88], -v[89:90]
	ds_load_b128 v[2:5], v1 offset:640
	scratch_load_b128 v[87:90], off, off offset:256
	v_fma_f64 v[125:126], v[125:126], v[91:92], v[129:130]
	v_fma_f64 v[123:124], v[123:124], v[91:92], -v[93:94]
	scratch_load_b128 v[91:94], off, off offset:272
	v_add_f64_e32 v[6:7], v[6:7], v[107:108]
	v_add_f64_e32 v[127:128], v[127:128], v[109:110]
	ds_load_b128 v[107:110], v1 offset:656
	s_wait_loadcnt_dscnt 0xa01
	v_mul_f64_e32 v[135:136], v[2:3], v[97:98]
	v_mul_f64_e32 v[97:98], v[4:5], v[97:98]
	s_wait_loadcnt_dscnt 0x900
	v_mul_f64_e32 v[129:130], v[107:108], v[101:102]
	v_mul_f64_e32 v[101:102], v[109:110], v[101:102]
	v_add_f64_e32 v[6:7], v[6:7], v[133:134]
	v_add_f64_e32 v[127:128], v[127:128], v[131:132]
	v_fma_f64 v[131:132], v[4:5], v[95:96], v[135:136]
	v_fma_f64 v[133:134], v[2:3], v[95:96], -v[97:98]
	ds_load_b128 v[2:5], v1 offset:672
	scratch_load_b128 v[95:98], off, off offset:288
	v_fma_f64 v[109:110], v[109:110], v[99:100], v[129:130]
	v_fma_f64 v[107:108], v[107:108], v[99:100], -v[101:102]
	scratch_load_b128 v[99:102], off, off offset:304
	v_add_f64_e32 v[6:7], v[6:7], v[123:124]
	v_add_f64_e32 v[127:128], v[127:128], v[125:126]
	ds_load_b128 v[123:126], v1 offset:688
	;; [unrolled: 18-line block ×3, first 2 shown]
	s_wait_loadcnt_dscnt 0x901
	v_mul_f64_e32 v[135:136], v[2:3], v[10:11]
	v_mul_f64_e32 v[10:11], v[4:5], v[10:11]
	s_wait_loadcnt_dscnt 0x800
	v_mul_f64_e32 v[129:130], v[107:108], v[113:114]
	v_mul_f64_e32 v[113:114], v[109:110], v[113:114]
	v_add_f64_e32 v[6:7], v[6:7], v[133:134]
	v_add_f64_e32 v[127:128], v[127:128], v[131:132]
	v_fma_f64 v[131:132], v[4:5], v[8:9], v[135:136]
	v_fma_f64 v[10:11], v[2:3], v[8:9], -v[10:11]
	ds_load_b128 v[2:5], v1 offset:736
	v_fma_f64 v[129:130], v[109:110], v[111:112], v[129:130]
	v_fma_f64 v[111:112], v[107:108], v[111:112], -v[113:114]
	scratch_load_b128 v[107:110], off, off offset:368
	v_add_f64_e32 v[133:134], v[6:7], v[123:124]
	v_add_f64_e32 v[127:128], v[127:128], v[125:126]
	scratch_load_b128 v[6:9], off, off offset:352
	ds_load_b128 v[123:126], v1 offset:752
	s_wait_loadcnt_dscnt 0x901
	v_mul_f64_e32 v[135:136], v[2:3], v[81:82]
	v_mul_f64_e32 v[81:82], v[4:5], v[81:82]
	v_add_f64_e32 v[10:11], v[133:134], v[10:11]
	v_add_f64_e32 v[113:114], v[127:128], v[131:132]
	s_wait_loadcnt_dscnt 0x800
	v_mul_f64_e32 v[127:128], v[123:124], v[85:86]
	v_mul_f64_e32 v[85:86], v[125:126], v[85:86]
	v_fma_f64 v[131:132], v[4:5], v[79:80], v[135:136]
	v_fma_f64 v[133:134], v[2:3], v[79:80], -v[81:82]
	ds_load_b128 v[2:5], v1 offset:768
	scratch_load_b128 v[79:82], off, off offset:384
	v_add_f64_e32 v[10:11], v[10:11], v[111:112]
	v_add_f64_e32 v[129:130], v[113:114], v[129:130]
	ds_load_b128 v[111:114], v1 offset:784
	s_wait_loadcnt_dscnt 0x801
	v_mul_f64_e32 v[135:136], v[2:3], v[89:90]
	v_mul_f64_e32 v[89:90], v[4:5], v[89:90]
	v_fma_f64 v[125:126], v[125:126], v[83:84], v[127:128]
	v_fma_f64 v[123:124], v[123:124], v[83:84], -v[85:86]
	scratch_load_b128 v[83:86], off, off offset:400
	v_add_f64_e32 v[10:11], v[10:11], v[133:134]
	v_add_f64_e32 v[127:128], v[129:130], v[131:132]
	s_wait_loadcnt_dscnt 0x800
	v_mul_f64_e32 v[129:130], v[111:112], v[93:94]
	v_mul_f64_e32 v[93:94], v[113:114], v[93:94]
	v_fma_f64 v[131:132], v[4:5], v[87:88], v[135:136]
	v_fma_f64 v[133:134], v[2:3], v[87:88], -v[89:90]
	ds_load_b128 v[2:5], v1 offset:800
	scratch_load_b128 v[87:90], off, off offset:416
	v_add_f64_e32 v[10:11], v[10:11], v[123:124]
	v_add_f64_e32 v[127:128], v[127:128], v[125:126]
	ds_load_b128 v[123:126], v1 offset:816
	s_wait_loadcnt_dscnt 0x801
	v_mul_f64_e32 v[135:136], v[2:3], v[97:98]
	v_mul_f64_e32 v[97:98], v[4:5], v[97:98]
	v_fma_f64 v[113:114], v[113:114], v[91:92], v[129:130]
	v_fma_f64 v[111:112], v[111:112], v[91:92], -v[93:94]
	scratch_load_b128 v[91:94], off, off offset:432
	s_wait_loadcnt_dscnt 0x800
	v_mul_f64_e32 v[129:130], v[123:124], v[101:102]
	v_mul_f64_e32 v[101:102], v[125:126], v[101:102]
	v_add_f64_e32 v[10:11], v[10:11], v[133:134]
	v_add_f64_e32 v[127:128], v[127:128], v[131:132]
	v_fma_f64 v[131:132], v[4:5], v[95:96], v[135:136]
	v_fma_f64 v[133:134], v[2:3], v[95:96], -v[97:98]
	ds_load_b128 v[2:5], v1 offset:832
	scratch_load_b128 v[95:98], off, off offset:448
	v_fma_f64 v[125:126], v[125:126], v[99:100], v[129:130]
	v_fma_f64 v[123:124], v[123:124], v[99:100], -v[101:102]
	scratch_load_b128 v[99:102], off, off offset:464
	v_add_f64_e32 v[10:11], v[10:11], v[111:112]
	v_add_f64_e32 v[127:128], v[127:128], v[113:114]
	ds_load_b128 v[111:114], v1 offset:848
	s_wait_loadcnt_dscnt 0x901
	v_mul_f64_e32 v[135:136], v[2:3], v[105:106]
	v_mul_f64_e32 v[105:106], v[4:5], v[105:106]
	s_wait_loadcnt_dscnt 0x800
	v_mul_f64_e32 v[129:130], v[111:112], v[121:122]
	v_add_f64_e32 v[10:11], v[10:11], v[133:134]
	v_add_f64_e32 v[127:128], v[127:128], v[131:132]
	v_mul_f64_e32 v[131:132], v[113:114], v[121:122]
	v_fma_f64 v[133:134], v[4:5], v[103:104], v[135:136]
	v_fma_f64 v[135:136], v[2:3], v[103:104], -v[105:106]
	ds_load_b128 v[2:5], v1 offset:864
	scratch_load_b128 v[103:106], off, off offset:480
	v_fma_f64 v[113:114], v[113:114], v[119:120], v[129:130]
	v_add_f64_e32 v[10:11], v[10:11], v[123:124]
	v_add_f64_e32 v[125:126], v[127:128], v[125:126]
	ds_load_b128 v[121:124], v1 offset:880
	v_fma_f64 v[111:112], v[111:112], v[119:120], -v[131:132]
	s_wait_loadcnt_dscnt 0x701
	v_mul_f64_e32 v[127:128], v[2:3], v[8:9]
	v_mul_f64_e32 v[137:138], v[4:5], v[8:9]
	s_wait_dscnt 0x0
	v_mul_f64_e32 v[129:130], v[121:122], v[109:110]
	v_mul_f64_e32 v[131:132], v[123:124], v[109:110]
	v_add_f64_e32 v[119:120], v[10:11], v[135:136]
	v_add_f64_e32 v[125:126], v[125:126], v[133:134]
	scratch_load_b128 v[8:11], off, off offset:496
	v_fma_f64 v[133:134], v[4:5], v[6:7], v[127:128]
	v_fma_f64 v[6:7], v[2:3], v[6:7], -v[137:138]
	ds_load_b128 v[2:5], v1 offset:896
	v_fma_f64 v[123:124], v[123:124], v[107:108], v[129:130]
	v_fma_f64 v[107:108], v[121:122], v[107:108], -v[131:132]
	v_add_f64_e32 v[119:120], v[119:120], v[111:112]
	v_add_f64_e32 v[113:114], v[125:126], v[113:114]
	scratch_load_b128 v[109:112], off, off offset:512
	ds_load_b128 v[125:128], v1 offset:912
	s_wait_loadcnt_dscnt 0x801
	v_mul_f64_e32 v[135:136], v[2:3], v[81:82]
	v_mul_f64_e32 v[81:82], v[4:5], v[81:82]
	s_wait_loadcnt_dscnt 0x700
	v_mul_f64_e32 v[129:130], v[125:126], v[85:86]
	v_mul_f64_e32 v[85:86], v[127:128], v[85:86]
	v_add_f64_e32 v[6:7], v[119:120], v[6:7]
	v_add_f64_e32 v[113:114], v[113:114], v[133:134]
	scratch_load_b128 v[119:122], off, off offset:528
	v_fma_f64 v[131:132], v[4:5], v[79:80], v[135:136]
	v_fma_f64 v[133:134], v[2:3], v[79:80], -v[81:82]
	ds_load_b128 v[2:5], v1 offset:928
	ds_load_b128 v[79:82], v1 offset:944
	v_add_f64_e32 v[6:7], v[6:7], v[107:108]
	v_add_f64_e32 v[107:108], v[113:114], v[123:124]
	s_wait_loadcnt_dscnt 0x701
	v_mul_f64_e32 v[113:114], v[2:3], v[89:90]
	v_mul_f64_e32 v[89:90], v[4:5], v[89:90]
	v_fma_f64 v[123:124], v[127:128], v[83:84], v[129:130]
	v_fma_f64 v[83:84], v[125:126], v[83:84], -v[85:86]
	v_add_f64_e32 v[6:7], v[6:7], v[133:134]
	v_add_f64_e32 v[85:86], v[107:108], v[131:132]
	s_wait_loadcnt_dscnt 0x600
	v_mul_f64_e32 v[107:108], v[79:80], v[93:94]
	v_mul_f64_e32 v[93:94], v[81:82], v[93:94]
	v_fma_f64 v[113:114], v[4:5], v[87:88], v[113:114]
	v_fma_f64 v[87:88], v[2:3], v[87:88], -v[89:90]
	v_add_f64_e32 v[6:7], v[6:7], v[83:84]
	v_add_f64_e32 v[89:90], v[85:86], v[123:124]
	ds_load_b128 v[2:5], v1 offset:960
	ds_load_b128 v[83:86], v1 offset:976
	v_fma_f64 v[81:82], v[81:82], v[91:92], v[107:108]
	v_fma_f64 v[79:80], v[79:80], v[91:92], -v[93:94]
	s_wait_loadcnt_dscnt 0x501
	v_mul_f64_e32 v[123:124], v[2:3], v[97:98]
	v_mul_f64_e32 v[97:98], v[4:5], v[97:98]
	s_wait_loadcnt_dscnt 0x400
	v_mul_f64_e32 v[91:92], v[85:86], v[101:102]
	v_add_f64_e32 v[6:7], v[6:7], v[87:88]
	v_add_f64_e32 v[87:88], v[89:90], v[113:114]
	v_mul_f64_e32 v[89:90], v[83:84], v[101:102]
	v_fma_f64 v[93:94], v[4:5], v[95:96], v[123:124]
	v_fma_f64 v[95:96], v[2:3], v[95:96], -v[97:98]
	v_fma_f64 v[83:84], v[83:84], v[99:100], -v[91:92]
	v_add_f64_e32 v[6:7], v[6:7], v[79:80]
	v_add_f64_e32 v[87:88], v[87:88], v[81:82]
	ds_load_b128 v[2:5], v1 offset:992
	ds_load_b128 v[79:82], v1 offset:1008
	v_fma_f64 v[85:86], v[85:86], v[99:100], v[89:90]
	s_wait_loadcnt_dscnt 0x301
	v_mul_f64_e32 v[97:98], v[2:3], v[105:106]
	v_mul_f64_e32 v[101:102], v[4:5], v[105:106]
	v_add_f64_e32 v[6:7], v[6:7], v[95:96]
	v_add_f64_e32 v[87:88], v[87:88], v[93:94]
	s_wait_loadcnt_dscnt 0x200
	v_mul_f64_e32 v[89:90], v[79:80], v[10:11]
	v_mul_f64_e32 v[10:11], v[81:82], v[10:11]
	v_fma_f64 v[91:92], v[4:5], v[103:104], v[97:98]
	v_fma_f64 v[93:94], v[2:3], v[103:104], -v[101:102]
	v_add_f64_e32 v[6:7], v[6:7], v[83:84]
	v_add_f64_e32 v[87:88], v[87:88], v[85:86]
	ds_load_b128 v[2:5], v1 offset:1024
	ds_load_b128 v[83:86], v1 offset:1040
	v_fma_f64 v[81:82], v[81:82], v[8:9], v[89:90]
	v_fma_f64 v[8:9], v[79:80], v[8:9], -v[10:11]
	s_wait_loadcnt_dscnt 0x101
	v_mul_f64_e32 v[0:1], v[2:3], v[111:112]
	v_mul_f64_e32 v[95:96], v[4:5], v[111:112]
	v_add_f64_e32 v[6:7], v[6:7], v[93:94]
	v_add_f64_e32 v[10:11], v[87:88], v[91:92]
	s_wait_loadcnt_dscnt 0x0
	v_mul_f64_e32 v[79:80], v[83:84], v[121:122]
	v_mul_f64_e32 v[87:88], v[85:86], v[121:122]
	v_fma_f64 v[0:1], v[4:5], v[109:110], v[0:1]
	v_fma_f64 v[2:3], v[2:3], v[109:110], -v[95:96]
	v_add_f64_e32 v[4:5], v[6:7], v[8:9]
	v_add_f64_e32 v[6:7], v[10:11], v[81:82]
	v_fma_f64 v[8:9], v[85:86], v[119:120], v[79:80]
	v_fma_f64 v[10:11], v[83:84], v[119:120], -v[87:88]
	s_delay_alu instid0(VALU_DEP_4) | instskip(NEXT) | instid1(VALU_DEP_4)
	v_add_f64_e32 v[2:3], v[4:5], v[2:3]
	v_add_f64_e32 v[0:1], v[6:7], v[0:1]
	s_delay_alu instid0(VALU_DEP_2) | instskip(NEXT) | instid1(VALU_DEP_2)
	v_add_f64_e32 v[2:3], v[2:3], v[10:11]
	v_add_f64_e32 v[4:5], v[0:1], v[8:9]
	s_delay_alu instid0(VALU_DEP_2) | instskip(NEXT) | instid1(VALU_DEP_2)
	v_add_f64_e64 v[0:1], v[115:116], -v[2:3]
	v_add_f64_e64 v[2:3], v[117:118], -v[4:5]
	scratch_store_b128 off, v[0:3], off offset:16
	s_wait_alu 0xfffe
	s_cbranch_vccz .LBB96_276
; %bb.212:
	v_mov_b32_e32 v0, 0
	global_load_b32 v1, v0, s[2:3] offset:124
	s_wait_loadcnt 0x0
	v_cmp_ne_u32_e32 vcc_lo, 32, v1
	s_cbranch_vccz .LBB96_214
; %bb.213:
	v_lshlrev_b32_e32 v1, 4, v1
	s_delay_alu instid0(VALU_DEP_1)
	v_add_nc_u32_e32 v9, 16, v1
	s_clause 0x1
	scratch_load_b128 v[1:4], v9, off offset:-16
	scratch_load_b128 v[5:8], off, s39
	s_wait_loadcnt 0x1
	scratch_store_b128 off, v[1:4], s39
	s_wait_loadcnt 0x0
	scratch_store_b128 v9, v[5:8], off offset:-16
.LBB96_214:
	global_load_b32 v0, v0, s[2:3] offset:120
	s_wait_loadcnt 0x0
	v_cmp_eq_u32_e32 vcc_lo, 31, v0
	s_cbranch_vccnz .LBB96_216
; %bb.215:
	v_lshlrev_b32_e32 v0, 4, v0
	s_delay_alu instid0(VALU_DEP_1)
	v_add_nc_u32_e32 v8, 16, v0
	s_clause 0x1
	scratch_load_b128 v[0:3], v8, off offset:-16
	scratch_load_b128 v[4:7], off, s22
	s_wait_loadcnt 0x1
	scratch_store_b128 off, v[0:3], s22
	s_wait_loadcnt 0x0
	scratch_store_b128 v8, v[4:7], off offset:-16
.LBB96_216:
	v_mov_b32_e32 v0, 0
	global_load_b32 v1, v0, s[2:3] offset:116
	s_wait_loadcnt 0x0
	v_cmp_eq_u32_e32 vcc_lo, 30, v1
	s_cbranch_vccnz .LBB96_218
; %bb.217:
	v_lshlrev_b32_e32 v1, 4, v1
	s_delay_alu instid0(VALU_DEP_1)
	v_add_nc_u32_e32 v9, 16, v1
	s_clause 0x1
	scratch_load_b128 v[1:4], v9, off offset:-16
	scratch_load_b128 v[5:8], off, s38
	s_wait_loadcnt 0x1
	scratch_store_b128 off, v[1:4], s38
	s_wait_loadcnt 0x0
	scratch_store_b128 v9, v[5:8], off offset:-16
.LBB96_218:
	global_load_b32 v0, v0, s[2:3] offset:112
	s_wait_loadcnt 0x0
	v_cmp_eq_u32_e32 vcc_lo, 29, v0
	s_cbranch_vccnz .LBB96_220
; %bb.219:
	v_lshlrev_b32_e32 v0, 4, v0
	s_delay_alu instid0(VALU_DEP_1)
	v_add_nc_u32_e32 v8, 16, v0
	s_clause 0x1
	scratch_load_b128 v[0:3], v8, off offset:-16
	scratch_load_b128 v[4:7], off, s21
	s_wait_loadcnt 0x1
	scratch_store_b128 off, v[0:3], s21
	s_wait_loadcnt 0x0
	scratch_store_b128 v8, v[4:7], off offset:-16
.LBB96_220:
	v_mov_b32_e32 v0, 0
	global_load_b32 v1, v0, s[2:3] offset:108
	s_wait_loadcnt 0x0
	v_cmp_eq_u32_e32 vcc_lo, 28, v1
	s_cbranch_vccnz .LBB96_222
; %bb.221:
	v_lshlrev_b32_e32 v1, 4, v1
	s_delay_alu instid0(VALU_DEP_1)
	v_add_nc_u32_e32 v9, 16, v1
	s_clause 0x1
	scratch_load_b128 v[1:4], v9, off offset:-16
	scratch_load_b128 v[5:8], off, s37
	s_wait_loadcnt 0x1
	scratch_store_b128 off, v[1:4], s37
	s_wait_loadcnt 0x0
	scratch_store_b128 v9, v[5:8], off offset:-16
.LBB96_222:
	global_load_b32 v0, v0, s[2:3] offset:104
	s_wait_loadcnt 0x0
	v_cmp_eq_u32_e32 vcc_lo, 27, v0
	s_cbranch_vccnz .LBB96_224
; %bb.223:
	v_lshlrev_b32_e32 v0, 4, v0
	s_delay_alu instid0(VALU_DEP_1)
	v_add_nc_u32_e32 v8, 16, v0
	s_clause 0x1
	scratch_load_b128 v[0:3], v8, off offset:-16
	scratch_load_b128 v[4:7], off, s20
	s_wait_loadcnt 0x1
	scratch_store_b128 off, v[0:3], s20
	s_wait_loadcnt 0x0
	scratch_store_b128 v8, v[4:7], off offset:-16
.LBB96_224:
	v_mov_b32_e32 v0, 0
	global_load_b32 v1, v0, s[2:3] offset:100
	s_wait_loadcnt 0x0
	v_cmp_eq_u32_e32 vcc_lo, 26, v1
	s_cbranch_vccnz .LBB96_226
; %bb.225:
	v_lshlrev_b32_e32 v1, 4, v1
	s_delay_alu instid0(VALU_DEP_1)
	v_add_nc_u32_e32 v9, 16, v1
	s_clause 0x1
	scratch_load_b128 v[1:4], v9, off offset:-16
	scratch_load_b128 v[5:8], off, s36
	s_wait_loadcnt 0x1
	scratch_store_b128 off, v[1:4], s36
	s_wait_loadcnt 0x0
	scratch_store_b128 v9, v[5:8], off offset:-16
.LBB96_226:
	global_load_b32 v0, v0, s[2:3] offset:96
	s_wait_loadcnt 0x0
	v_cmp_eq_u32_e32 vcc_lo, 25, v0
	s_cbranch_vccnz .LBB96_228
; %bb.227:
	v_lshlrev_b32_e32 v0, 4, v0
	s_delay_alu instid0(VALU_DEP_1)
	v_add_nc_u32_e32 v8, 16, v0
	s_clause 0x1
	scratch_load_b128 v[0:3], v8, off offset:-16
	scratch_load_b128 v[4:7], off, s19
	s_wait_loadcnt 0x1
	scratch_store_b128 off, v[0:3], s19
	s_wait_loadcnt 0x0
	scratch_store_b128 v8, v[4:7], off offset:-16
.LBB96_228:
	v_mov_b32_e32 v0, 0
	global_load_b32 v1, v0, s[2:3] offset:92
	s_wait_loadcnt 0x0
	v_cmp_eq_u32_e32 vcc_lo, 24, v1
	s_cbranch_vccnz .LBB96_230
; %bb.229:
	v_lshlrev_b32_e32 v1, 4, v1
	s_delay_alu instid0(VALU_DEP_1)
	v_add_nc_u32_e32 v9, 16, v1
	s_clause 0x1
	scratch_load_b128 v[1:4], v9, off offset:-16
	scratch_load_b128 v[5:8], off, s35
	s_wait_loadcnt 0x1
	scratch_store_b128 off, v[1:4], s35
	s_wait_loadcnt 0x0
	scratch_store_b128 v9, v[5:8], off offset:-16
.LBB96_230:
	global_load_b32 v0, v0, s[2:3] offset:88
	s_wait_loadcnt 0x0
	v_cmp_eq_u32_e32 vcc_lo, 23, v0
	s_cbranch_vccnz .LBB96_232
; %bb.231:
	v_lshlrev_b32_e32 v0, 4, v0
	s_delay_alu instid0(VALU_DEP_1)
	v_add_nc_u32_e32 v8, 16, v0
	s_clause 0x1
	scratch_load_b128 v[0:3], v8, off offset:-16
	scratch_load_b128 v[4:7], off, s18
	s_wait_loadcnt 0x1
	scratch_store_b128 off, v[0:3], s18
	s_wait_loadcnt 0x0
	scratch_store_b128 v8, v[4:7], off offset:-16
.LBB96_232:
	v_mov_b32_e32 v0, 0
	global_load_b32 v1, v0, s[2:3] offset:84
	s_wait_loadcnt 0x0
	v_cmp_eq_u32_e32 vcc_lo, 22, v1
	s_cbranch_vccnz .LBB96_234
; %bb.233:
	v_lshlrev_b32_e32 v1, 4, v1
	s_delay_alu instid0(VALU_DEP_1)
	v_add_nc_u32_e32 v9, 16, v1
	s_clause 0x1
	scratch_load_b128 v[1:4], v9, off offset:-16
	scratch_load_b128 v[5:8], off, s34
	s_wait_loadcnt 0x1
	scratch_store_b128 off, v[1:4], s34
	s_wait_loadcnt 0x0
	scratch_store_b128 v9, v[5:8], off offset:-16
.LBB96_234:
	global_load_b32 v0, v0, s[2:3] offset:80
	s_wait_loadcnt 0x0
	v_cmp_eq_u32_e32 vcc_lo, 21, v0
	s_cbranch_vccnz .LBB96_236
; %bb.235:
	v_lshlrev_b32_e32 v0, 4, v0
	s_delay_alu instid0(VALU_DEP_1)
	v_add_nc_u32_e32 v8, 16, v0
	s_clause 0x1
	scratch_load_b128 v[0:3], v8, off offset:-16
	scratch_load_b128 v[4:7], off, s17
	s_wait_loadcnt 0x1
	scratch_store_b128 off, v[0:3], s17
	s_wait_loadcnt 0x0
	scratch_store_b128 v8, v[4:7], off offset:-16
.LBB96_236:
	v_mov_b32_e32 v0, 0
	global_load_b32 v1, v0, s[2:3] offset:76
	s_wait_loadcnt 0x0
	v_cmp_eq_u32_e32 vcc_lo, 20, v1
	s_cbranch_vccnz .LBB96_238
; %bb.237:
	v_lshlrev_b32_e32 v1, 4, v1
	s_delay_alu instid0(VALU_DEP_1)
	v_add_nc_u32_e32 v9, 16, v1
	s_clause 0x1
	scratch_load_b128 v[1:4], v9, off offset:-16
	scratch_load_b128 v[5:8], off, s33
	s_wait_loadcnt 0x1
	scratch_store_b128 off, v[1:4], s33
	s_wait_loadcnt 0x0
	scratch_store_b128 v9, v[5:8], off offset:-16
.LBB96_238:
	global_load_b32 v0, v0, s[2:3] offset:72
	s_wait_loadcnt 0x0
	v_cmp_eq_u32_e32 vcc_lo, 19, v0
	s_cbranch_vccnz .LBB96_240
; %bb.239:
	v_lshlrev_b32_e32 v0, 4, v0
	s_delay_alu instid0(VALU_DEP_1)
	v_add_nc_u32_e32 v8, 16, v0
	s_clause 0x1
	scratch_load_b128 v[0:3], v8, off offset:-16
	scratch_load_b128 v[4:7], off, s16
	s_wait_loadcnt 0x1
	scratch_store_b128 off, v[0:3], s16
	s_wait_loadcnt 0x0
	scratch_store_b128 v8, v[4:7], off offset:-16
.LBB96_240:
	v_mov_b32_e32 v0, 0
	global_load_b32 v1, v0, s[2:3] offset:68
	s_wait_loadcnt 0x0
	v_cmp_eq_u32_e32 vcc_lo, 18, v1
	s_cbranch_vccnz .LBB96_242
; %bb.241:
	v_lshlrev_b32_e32 v1, 4, v1
	s_delay_alu instid0(VALU_DEP_1)
	v_add_nc_u32_e32 v9, 16, v1
	s_clause 0x1
	scratch_load_b128 v[1:4], v9, off offset:-16
	scratch_load_b128 v[5:8], off, s31
	s_wait_loadcnt 0x1
	scratch_store_b128 off, v[1:4], s31
	s_wait_loadcnt 0x0
	scratch_store_b128 v9, v[5:8], off offset:-16
.LBB96_242:
	global_load_b32 v0, v0, s[2:3] offset:64
	s_wait_loadcnt 0x0
	v_cmp_eq_u32_e32 vcc_lo, 17, v0
	s_cbranch_vccnz .LBB96_244
; %bb.243:
	v_lshlrev_b32_e32 v0, 4, v0
	s_delay_alu instid0(VALU_DEP_1)
	v_add_nc_u32_e32 v8, 16, v0
	s_clause 0x1
	scratch_load_b128 v[0:3], v8, off offset:-16
	scratch_load_b128 v[4:7], off, s15
	s_wait_loadcnt 0x1
	scratch_store_b128 off, v[0:3], s15
	s_wait_loadcnt 0x0
	scratch_store_b128 v8, v[4:7], off offset:-16
.LBB96_244:
	v_mov_b32_e32 v0, 0
	global_load_b32 v1, v0, s[2:3] offset:60
	s_wait_loadcnt 0x0
	v_cmp_eq_u32_e32 vcc_lo, 16, v1
	s_cbranch_vccnz .LBB96_246
; %bb.245:
	v_lshlrev_b32_e32 v1, 4, v1
	s_delay_alu instid0(VALU_DEP_1)
	v_add_nc_u32_e32 v9, 16, v1
	s_clause 0x1
	scratch_load_b128 v[1:4], v9, off offset:-16
	scratch_load_b128 v[5:8], off, s30
	s_wait_loadcnt 0x1
	scratch_store_b128 off, v[1:4], s30
	s_wait_loadcnt 0x0
	scratch_store_b128 v9, v[5:8], off offset:-16
.LBB96_246:
	global_load_b32 v0, v0, s[2:3] offset:56
	s_wait_loadcnt 0x0
	v_cmp_eq_u32_e32 vcc_lo, 15, v0
	s_cbranch_vccnz .LBB96_248
; %bb.247:
	v_lshlrev_b32_e32 v0, 4, v0
	s_delay_alu instid0(VALU_DEP_1)
	v_add_nc_u32_e32 v8, 16, v0
	s_clause 0x1
	scratch_load_b128 v[0:3], v8, off offset:-16
	scratch_load_b128 v[4:7], off, s14
	s_wait_loadcnt 0x1
	scratch_store_b128 off, v[0:3], s14
	s_wait_loadcnt 0x0
	scratch_store_b128 v8, v[4:7], off offset:-16
.LBB96_248:
	v_mov_b32_e32 v0, 0
	global_load_b32 v1, v0, s[2:3] offset:52
	s_wait_loadcnt 0x0
	v_cmp_eq_u32_e32 vcc_lo, 14, v1
	s_cbranch_vccnz .LBB96_250
; %bb.249:
	v_lshlrev_b32_e32 v1, 4, v1
	s_delay_alu instid0(VALU_DEP_1)
	v_add_nc_u32_e32 v9, 16, v1
	s_clause 0x1
	scratch_load_b128 v[1:4], v9, off offset:-16
	scratch_load_b128 v[5:8], off, s29
	s_wait_loadcnt 0x1
	scratch_store_b128 off, v[1:4], s29
	s_wait_loadcnt 0x0
	scratch_store_b128 v9, v[5:8], off offset:-16
.LBB96_250:
	global_load_b32 v0, v0, s[2:3] offset:48
	s_wait_loadcnt 0x0
	v_cmp_eq_u32_e32 vcc_lo, 13, v0
	s_cbranch_vccnz .LBB96_252
; %bb.251:
	v_lshlrev_b32_e32 v0, 4, v0
	s_delay_alu instid0(VALU_DEP_1)
	v_add_nc_u32_e32 v8, 16, v0
	s_clause 0x1
	scratch_load_b128 v[0:3], v8, off offset:-16
	scratch_load_b128 v[4:7], off, s13
	s_wait_loadcnt 0x1
	scratch_store_b128 off, v[0:3], s13
	s_wait_loadcnt 0x0
	scratch_store_b128 v8, v[4:7], off offset:-16
.LBB96_252:
	v_mov_b32_e32 v0, 0
	global_load_b32 v1, v0, s[2:3] offset:44
	s_wait_loadcnt 0x0
	v_cmp_eq_u32_e32 vcc_lo, 12, v1
	s_cbranch_vccnz .LBB96_254
; %bb.253:
	v_lshlrev_b32_e32 v1, 4, v1
	s_delay_alu instid0(VALU_DEP_1)
	v_add_nc_u32_e32 v9, 16, v1
	s_clause 0x1
	scratch_load_b128 v[1:4], v9, off offset:-16
	scratch_load_b128 v[5:8], off, s28
	s_wait_loadcnt 0x1
	scratch_store_b128 off, v[1:4], s28
	s_wait_loadcnt 0x0
	scratch_store_b128 v9, v[5:8], off offset:-16
.LBB96_254:
	global_load_b32 v0, v0, s[2:3] offset:40
	s_wait_loadcnt 0x0
	v_cmp_eq_u32_e32 vcc_lo, 11, v0
	s_cbranch_vccnz .LBB96_256
; %bb.255:
	v_lshlrev_b32_e32 v0, 4, v0
	s_delay_alu instid0(VALU_DEP_1)
	v_add_nc_u32_e32 v8, 16, v0
	s_clause 0x1
	scratch_load_b128 v[0:3], v8, off offset:-16
	scratch_load_b128 v[4:7], off, s11
	s_wait_loadcnt 0x1
	scratch_store_b128 off, v[0:3], s11
	s_wait_loadcnt 0x0
	scratch_store_b128 v8, v[4:7], off offset:-16
.LBB96_256:
	v_mov_b32_e32 v0, 0
	global_load_b32 v1, v0, s[2:3] offset:36
	s_wait_loadcnt 0x0
	v_cmp_eq_u32_e32 vcc_lo, 10, v1
	s_cbranch_vccnz .LBB96_258
; %bb.257:
	v_lshlrev_b32_e32 v1, 4, v1
	s_delay_alu instid0(VALU_DEP_1)
	v_add_nc_u32_e32 v9, 16, v1
	s_clause 0x1
	scratch_load_b128 v[1:4], v9, off offset:-16
	scratch_load_b128 v[5:8], off, s27
	s_wait_loadcnt 0x1
	scratch_store_b128 off, v[1:4], s27
	s_wait_loadcnt 0x0
	scratch_store_b128 v9, v[5:8], off offset:-16
.LBB96_258:
	global_load_b32 v0, v0, s[2:3] offset:32
	s_wait_loadcnt 0x0
	v_cmp_eq_u32_e32 vcc_lo, 9, v0
	s_cbranch_vccnz .LBB96_260
; %bb.259:
	v_lshlrev_b32_e32 v0, 4, v0
	s_delay_alu instid0(VALU_DEP_1)
	v_add_nc_u32_e32 v8, 16, v0
	s_clause 0x1
	scratch_load_b128 v[0:3], v8, off offset:-16
	scratch_load_b128 v[4:7], off, s10
	s_wait_loadcnt 0x1
	scratch_store_b128 off, v[0:3], s10
	s_wait_loadcnt 0x0
	scratch_store_b128 v8, v[4:7], off offset:-16
.LBB96_260:
	v_mov_b32_e32 v0, 0
	global_load_b32 v1, v0, s[2:3] offset:28
	s_wait_loadcnt 0x0
	v_cmp_eq_u32_e32 vcc_lo, 8, v1
	s_cbranch_vccnz .LBB96_262
; %bb.261:
	v_lshlrev_b32_e32 v1, 4, v1
	s_delay_alu instid0(VALU_DEP_1)
	v_add_nc_u32_e32 v9, 16, v1
	s_clause 0x1
	scratch_load_b128 v[1:4], v9, off offset:-16
	scratch_load_b128 v[5:8], off, s26
	s_wait_loadcnt 0x1
	scratch_store_b128 off, v[1:4], s26
	s_wait_loadcnt 0x0
	scratch_store_b128 v9, v[5:8], off offset:-16
.LBB96_262:
	global_load_b32 v0, v0, s[2:3] offset:24
	s_wait_loadcnt 0x0
	v_cmp_eq_u32_e32 vcc_lo, 7, v0
	s_cbranch_vccnz .LBB96_264
; %bb.263:
	v_lshlrev_b32_e32 v0, 4, v0
	s_delay_alu instid0(VALU_DEP_1)
	v_add_nc_u32_e32 v8, 16, v0
	s_clause 0x1
	scratch_load_b128 v[0:3], v8, off offset:-16
	scratch_load_b128 v[4:7], off, s5
	s_wait_loadcnt 0x1
	scratch_store_b128 off, v[0:3], s5
	s_wait_loadcnt 0x0
	scratch_store_b128 v8, v[4:7], off offset:-16
.LBB96_264:
	v_mov_b32_e32 v0, 0
	global_load_b32 v1, v0, s[2:3] offset:20
	s_wait_loadcnt 0x0
	v_cmp_eq_u32_e32 vcc_lo, 6, v1
	s_cbranch_vccnz .LBB96_266
; %bb.265:
	v_lshlrev_b32_e32 v1, 4, v1
	s_delay_alu instid0(VALU_DEP_1)
	v_add_nc_u32_e32 v9, 16, v1
	s_clause 0x1
	scratch_load_b128 v[1:4], v9, off offset:-16
	scratch_load_b128 v[5:8], off, s25
	s_wait_loadcnt 0x1
	scratch_store_b128 off, v[1:4], s25
	s_wait_loadcnt 0x0
	scratch_store_b128 v9, v[5:8], off offset:-16
.LBB96_266:
	global_load_b32 v0, v0, s[2:3] offset:16
	s_wait_loadcnt 0x0
	v_cmp_eq_u32_e32 vcc_lo, 5, v0
	s_cbranch_vccnz .LBB96_268
; %bb.267:
	v_lshlrev_b32_e32 v0, 4, v0
	s_delay_alu instid0(VALU_DEP_1)
	v_add_nc_u32_e32 v8, 16, v0
	s_clause 0x1
	scratch_load_b128 v[0:3], v8, off offset:-16
	scratch_load_b128 v[4:7], off, s4
	s_wait_loadcnt 0x1
	scratch_store_b128 off, v[0:3], s4
	s_wait_loadcnt 0x0
	scratch_store_b128 v8, v[4:7], off offset:-16
.LBB96_268:
	v_mov_b32_e32 v0, 0
	global_load_b32 v1, v0, s[2:3] offset:12
	s_wait_loadcnt 0x0
	v_cmp_eq_u32_e32 vcc_lo, 4, v1
	s_cbranch_vccnz .LBB96_270
; %bb.269:
	v_lshlrev_b32_e32 v1, 4, v1
	s_delay_alu instid0(VALU_DEP_1)
	v_add_nc_u32_e32 v9, 16, v1
	s_clause 0x1
	scratch_load_b128 v[1:4], v9, off offset:-16
	scratch_load_b128 v[5:8], off, s24
	s_wait_loadcnt 0x1
	scratch_store_b128 off, v[1:4], s24
	s_wait_loadcnt 0x0
	scratch_store_b128 v9, v[5:8], off offset:-16
.LBB96_270:
	global_load_b32 v0, v0, s[2:3] offset:8
	s_wait_loadcnt 0x0
	v_cmp_eq_u32_e32 vcc_lo, 3, v0
	s_cbranch_vccnz .LBB96_272
; %bb.271:
	v_lshlrev_b32_e32 v0, 4, v0
	s_delay_alu instid0(VALU_DEP_1)
	v_add_nc_u32_e32 v8, 16, v0
	s_clause 0x1
	scratch_load_b128 v[0:3], v8, off offset:-16
	scratch_load_b128 v[4:7], off, s40
	s_wait_loadcnt 0x1
	scratch_store_b128 off, v[0:3], s40
	s_wait_loadcnt 0x0
	scratch_store_b128 v8, v[4:7], off offset:-16
.LBB96_272:
	v_mov_b32_e32 v0, 0
	global_load_b32 v1, v0, s[2:3] offset:4
	s_wait_loadcnt 0x0
	v_cmp_eq_u32_e32 vcc_lo, 2, v1
	s_cbranch_vccnz .LBB96_274
; %bb.273:
	v_lshlrev_b32_e32 v1, 4, v1
	s_delay_alu instid0(VALU_DEP_1)
	v_add_nc_u32_e32 v9, 16, v1
	s_clause 0x1
	scratch_load_b128 v[1:4], v9, off offset:-16
	scratch_load_b128 v[5:8], off, s41
	s_wait_loadcnt 0x1
	scratch_store_b128 off, v[1:4], s41
	s_wait_loadcnt 0x0
	scratch_store_b128 v9, v[5:8], off offset:-16
.LBB96_274:
	global_load_b32 v0, v0, s[2:3]
	s_wait_loadcnt 0x0
	v_cmp_eq_u32_e32 vcc_lo, 1, v0
	s_cbranch_vccnz .LBB96_276
; %bb.275:
	v_lshlrev_b32_e32 v0, 4, v0
	s_delay_alu instid0(VALU_DEP_1)
	v_add_nc_u32_e32 v8, 16, v0
	scratch_load_b128 v[0:3], v8, off offset:-16
	scratch_load_b128 v[4:7], off, off offset:16
	s_wait_loadcnt 0x1
	scratch_store_b128 off, v[0:3], off offset:16
	s_wait_loadcnt 0x0
	scratch_store_b128 v8, v[4:7], off offset:-16
.LBB96_276:
	scratch_load_b128 v[0:3], off, off offset:16
	s_wait_loadcnt 0x0
	flat_store_b128 v[13:14], v[0:3]
	scratch_load_b128 v[0:3], off, s41
	s_wait_loadcnt 0x0
	flat_store_b128 v[15:16], v[0:3]
	scratch_load_b128 v[0:3], off, s40
	;; [unrolled: 3-line block ×32, first 2 shown]
	s_wait_loadcnt 0x0
	flat_store_b128 v[77:78], v[0:3]
	s_nop 0
	s_sendmsg sendmsg(MSG_DEALLOC_VGPRS)
	s_endpgm
	.section	.rodata,"a",@progbits
	.p2align	6, 0x0
	.amdhsa_kernel _ZN9rocsolver6v33100L18getri_kernel_smallILi33E19rocblas_complex_numIdEPKPS3_EEvT1_iilPiilS8_bb
		.amdhsa_group_segment_fixed_size 1064
		.amdhsa_private_segment_fixed_size 560
		.amdhsa_kernarg_size 60
		.amdhsa_user_sgpr_count 2
		.amdhsa_user_sgpr_dispatch_ptr 0
		.amdhsa_user_sgpr_queue_ptr 0
		.amdhsa_user_sgpr_kernarg_segment_ptr 1
		.amdhsa_user_sgpr_dispatch_id 0
		.amdhsa_user_sgpr_private_segment_size 0
		.amdhsa_wavefront_size32 1
		.amdhsa_uses_dynamic_stack 0
		.amdhsa_enable_private_segment 1
		.amdhsa_system_sgpr_workgroup_id_x 1
		.amdhsa_system_sgpr_workgroup_id_y 0
		.amdhsa_system_sgpr_workgroup_id_z 0
		.amdhsa_system_sgpr_workgroup_info 0
		.amdhsa_system_vgpr_workitem_id 0
		.amdhsa_next_free_vgpr 139
		.amdhsa_next_free_sgpr 45
		.amdhsa_reserve_vcc 1
		.amdhsa_float_round_mode_32 0
		.amdhsa_float_round_mode_16_64 0
		.amdhsa_float_denorm_mode_32 3
		.amdhsa_float_denorm_mode_16_64 3
		.amdhsa_fp16_overflow 0
		.amdhsa_workgroup_processor_mode 1
		.amdhsa_memory_ordered 1
		.amdhsa_forward_progress 1
		.amdhsa_inst_pref_size 255
		.amdhsa_round_robin_scheduling 0
		.amdhsa_exception_fp_ieee_invalid_op 0
		.amdhsa_exception_fp_denorm_src 0
		.amdhsa_exception_fp_ieee_div_zero 0
		.amdhsa_exception_fp_ieee_overflow 0
		.amdhsa_exception_fp_ieee_underflow 0
		.amdhsa_exception_fp_ieee_inexact 0
		.amdhsa_exception_int_div_zero 0
	.end_amdhsa_kernel
	.section	.text._ZN9rocsolver6v33100L18getri_kernel_smallILi33E19rocblas_complex_numIdEPKPS3_EEvT1_iilPiilS8_bb,"axG",@progbits,_ZN9rocsolver6v33100L18getri_kernel_smallILi33E19rocblas_complex_numIdEPKPS3_EEvT1_iilPiilS8_bb,comdat
.Lfunc_end96:
	.size	_ZN9rocsolver6v33100L18getri_kernel_smallILi33E19rocblas_complex_numIdEPKPS3_EEvT1_iilPiilS8_bb, .Lfunc_end96-_ZN9rocsolver6v33100L18getri_kernel_smallILi33E19rocblas_complex_numIdEPKPS3_EEvT1_iilPiilS8_bb
                                        ; -- End function
	.set _ZN9rocsolver6v33100L18getri_kernel_smallILi33E19rocblas_complex_numIdEPKPS3_EEvT1_iilPiilS8_bb.num_vgpr, 139
	.set _ZN9rocsolver6v33100L18getri_kernel_smallILi33E19rocblas_complex_numIdEPKPS3_EEvT1_iilPiilS8_bb.num_agpr, 0
	.set _ZN9rocsolver6v33100L18getri_kernel_smallILi33E19rocblas_complex_numIdEPKPS3_EEvT1_iilPiilS8_bb.numbered_sgpr, 45
	.set _ZN9rocsolver6v33100L18getri_kernel_smallILi33E19rocblas_complex_numIdEPKPS3_EEvT1_iilPiilS8_bb.num_named_barrier, 0
	.set _ZN9rocsolver6v33100L18getri_kernel_smallILi33E19rocblas_complex_numIdEPKPS3_EEvT1_iilPiilS8_bb.private_seg_size, 560
	.set _ZN9rocsolver6v33100L18getri_kernel_smallILi33E19rocblas_complex_numIdEPKPS3_EEvT1_iilPiilS8_bb.uses_vcc, 1
	.set _ZN9rocsolver6v33100L18getri_kernel_smallILi33E19rocblas_complex_numIdEPKPS3_EEvT1_iilPiilS8_bb.uses_flat_scratch, 1
	.set _ZN9rocsolver6v33100L18getri_kernel_smallILi33E19rocblas_complex_numIdEPKPS3_EEvT1_iilPiilS8_bb.has_dyn_sized_stack, 0
	.set _ZN9rocsolver6v33100L18getri_kernel_smallILi33E19rocblas_complex_numIdEPKPS3_EEvT1_iilPiilS8_bb.has_recursion, 0
	.set _ZN9rocsolver6v33100L18getri_kernel_smallILi33E19rocblas_complex_numIdEPKPS3_EEvT1_iilPiilS8_bb.has_indirect_call, 0
	.section	.AMDGPU.csdata,"",@progbits
; Kernel info:
; codeLenInByte = 51936
; TotalNumSgprs: 47
; NumVgprs: 139
; ScratchSize: 560
; MemoryBound: 0
; FloatMode: 240
; IeeeMode: 1
; LDSByteSize: 1064 bytes/workgroup (compile time only)
; SGPRBlocks: 0
; VGPRBlocks: 17
; NumSGPRsForWavesPerEU: 47
; NumVGPRsForWavesPerEU: 139
; Occupancy: 10
; WaveLimiterHint : 1
; COMPUTE_PGM_RSRC2:SCRATCH_EN: 1
; COMPUTE_PGM_RSRC2:USER_SGPR: 2
; COMPUTE_PGM_RSRC2:TRAP_HANDLER: 0
; COMPUTE_PGM_RSRC2:TGID_X_EN: 1
; COMPUTE_PGM_RSRC2:TGID_Y_EN: 0
; COMPUTE_PGM_RSRC2:TGID_Z_EN: 0
; COMPUTE_PGM_RSRC2:TIDIG_COMP_CNT: 0
	.section	.text._ZN9rocsolver6v33100L18getri_kernel_smallILi34E19rocblas_complex_numIdEPKPS3_EEvT1_iilPiilS8_bb,"axG",@progbits,_ZN9rocsolver6v33100L18getri_kernel_smallILi34E19rocblas_complex_numIdEPKPS3_EEvT1_iilPiilS8_bb,comdat
	.globl	_ZN9rocsolver6v33100L18getri_kernel_smallILi34E19rocblas_complex_numIdEPKPS3_EEvT1_iilPiilS8_bb ; -- Begin function _ZN9rocsolver6v33100L18getri_kernel_smallILi34E19rocblas_complex_numIdEPKPS3_EEvT1_iilPiilS8_bb
	.p2align	8
	.type	_ZN9rocsolver6v33100L18getri_kernel_smallILi34E19rocblas_complex_numIdEPKPS3_EEvT1_iilPiilS8_bb,@function
_ZN9rocsolver6v33100L18getri_kernel_smallILi34E19rocblas_complex_numIdEPKPS3_EEvT1_iilPiilS8_bb: ; @_ZN9rocsolver6v33100L18getri_kernel_smallILi34E19rocblas_complex_numIdEPKPS3_EEvT1_iilPiilS8_bb
; %bb.0:
	s_mov_b32 s2, exec_lo
	v_cmpx_gt_u32_e32 34, v0
	s_cbranch_execz .LBB97_150
; %bb.1:
	s_clause 0x1
	s_load_b32 s13, s[0:1], 0x38
	s_load_b64 s[2:3], s[0:1], 0x0
	s_mov_b32 s8, ttmp9
	s_load_b128 s[4:7], s[0:1], 0x28
	s_wait_kmcnt 0x0
	s_bitcmp1_b32 s13, 8
	s_cselect_b32 s12, -1, 0
	s_ashr_i32 s9, ttmp9, 31
	s_delay_alu instid0(SALU_CYCLE_1) | instskip(NEXT) | instid1(SALU_CYCLE_1)
	s_lshl_b64 s[10:11], s[8:9], 3
	s_add_nc_u64 s[2:3], s[2:3], s[10:11]
	s_load_b64 s[10:11], s[2:3], 0x0
	s_bfe_u32 s2, s13, 0x10008
	s_delay_alu instid0(SALU_CYCLE_1)
	s_cmp_eq_u32 s2, 0
                                        ; implicit-def: $sgpr2_sgpr3
	s_cbranch_scc1 .LBB97_3
; %bb.2:
	s_load_b96 s[16:18], s[0:1], 0x18
	s_mul_u64 s[2:3], s[4:5], s[8:9]
	s_delay_alu instid0(SALU_CYCLE_1)
	s_lshl_b64 s[2:3], s[2:3], 2
	s_wait_kmcnt 0x0
	s_ashr_i32 s5, s18, 31
	s_mov_b32 s4, s18
	s_add_nc_u64 s[2:3], s[16:17], s[2:3]
	s_lshl_b64 s[4:5], s[4:5], 2
	s_delay_alu instid0(SALU_CYCLE_1)
	s_add_nc_u64 s[2:3], s[2:3], s[4:5]
.LBB97_3:
	s_clause 0x1
	s_load_b64 s[4:5], s[0:1], 0x8
	s_load_b32 s43, s[0:1], 0x38
	v_lshlrev_b32_e32 v13, 4, v0
	s_mov_b32 s42, 32
	s_mov_b32 s41, 48
	;; [unrolled: 1-line block ×3, first 2 shown]
	s_movk_i32 s25, 0x50
	s_wait_kmcnt 0x0
	s_ashr_i32 s1, s4, 31
	s_mov_b32 s0, s4
	v_add3_u32 v5, s5, s5, v0
	s_lshl_b64 s[0:1], s[0:1], 4
	s_delay_alu instid0(SALU_CYCLE_1)
	s_add_nc_u64 s[0:1], s[10:11], s[0:1]
	s_ashr_i32 s11, s5, 31
	v_add_co_u32 v24, s4, s0, v13
	s_wait_alu 0xf1ff
	v_add_co_ci_u32_e64 v25, null, s1, 0, s4
	s_mov_b32 s10, s5
	v_ashrrev_i32_e32 v6, 31, v5
	s_lshl_b64 s[10:11], s[10:11], 4
	flat_load_b128 v[1:4], v[24:25]
	v_add_co_u32 v26, vcc_lo, v24, s10
	s_delay_alu instid0(VALU_DEP_1) | instskip(SKIP_2) | instid1(VALU_DEP_2)
	v_add_co_ci_u32_e64 v27, null, s11, v25, vcc_lo
	v_lshlrev_b64_e32 v[6:7], 4, v[5:6]
	v_add_nc_u32_e32 v5, s5, v5
	v_add_co_u32 v28, vcc_lo, s0, v6
	s_wait_alu 0xfffd
	s_delay_alu instid0(VALU_DEP_3) | instskip(NEXT) | instid1(VALU_DEP_3)
	v_add_co_ci_u32_e64 v29, null, s1, v7, vcc_lo
	v_ashrrev_i32_e32 v6, 31, v5
	s_delay_alu instid0(VALU_DEP_1) | instskip(SKIP_1) | instid1(VALU_DEP_2)
	v_lshlrev_b64_e32 v[6:7], 4, v[5:6]
	v_add_nc_u32_e32 v5, s5, v5
	v_add_co_u32 v30, vcc_lo, s0, v6
	s_wait_alu 0xfffd
	s_delay_alu instid0(VALU_DEP_3) | instskip(NEXT) | instid1(VALU_DEP_3)
	v_add_co_ci_u32_e64 v31, null, s1, v7, vcc_lo
	v_ashrrev_i32_e32 v6, 31, v5
	s_delay_alu instid0(VALU_DEP_1) | instskip(SKIP_1) | instid1(VALU_DEP_2)
	;; [unrolled: 8-line block ×20, first 2 shown]
	v_lshlrev_b64_e32 v[6:7], 4, v[5:6]
	v_add_nc_u32_e32 v5, s5, v5
	v_add_co_u32 v68, vcc_lo, s0, v6
	s_wait_alu 0xfffd
	s_delay_alu instid0(VALU_DEP_3) | instskip(NEXT) | instid1(VALU_DEP_3)
	v_add_co_ci_u32_e64 v69, null, s1, v7, vcc_lo
	v_ashrrev_i32_e32 v6, 31, v5
	s_delay_alu instid0(VALU_DEP_1)
	v_lshlrev_b64_e32 v[6:7], 4, v[5:6]
	s_wait_loadcnt_dscnt 0x0
	scratch_store_b128 off, v[1:4], off offset:16
	flat_load_b128 v[1:4], v[26:27]
	v_add_nc_u32_e32 v5, s5, v5
	v_add_co_u32 v70, vcc_lo, s0, v6
	s_wait_alu 0xfffd
	v_add_co_ci_u32_e64 v71, null, s1, v7, vcc_lo
	s_delay_alu instid0(VALU_DEP_3) | instskip(NEXT) | instid1(VALU_DEP_1)
	v_ashrrev_i32_e32 v6, 31, v5
	v_lshlrev_b64_e32 v[6:7], 4, v[5:6]
	v_add_nc_u32_e32 v5, s5, v5
	s_delay_alu instid0(VALU_DEP_2) | instskip(SKIP_1) | instid1(VALU_DEP_3)
	v_add_co_u32 v72, vcc_lo, s0, v6
	s_wait_alu 0xfffd
	v_add_co_ci_u32_e64 v73, null, s1, v7, vcc_lo
	s_delay_alu instid0(VALU_DEP_3) | instskip(NEXT) | instid1(VALU_DEP_1)
	v_ashrrev_i32_e32 v6, 31, v5
	v_lshlrev_b64_e32 v[6:7], 4, v[5:6]
	v_add_nc_u32_e32 v5, s5, v5
	s_delay_alu instid0(VALU_DEP_2) | instskip(SKIP_1) | instid1(VALU_DEP_3)
	;; [unrolled: 8-line block ×9, first 2 shown]
	v_add_co_u32 v88, vcc_lo, s0, v6
	s_wait_alu 0xfffd
	v_add_co_ci_u32_e64 v89, null, s1, v7, vcc_lo
	s_delay_alu instid0(VALU_DEP_3) | instskip(NEXT) | instid1(VALU_DEP_1)
	v_ashrrev_i32_e32 v6, 31, v5
	v_lshlrev_b64_e32 v[5:6], 4, v[5:6]
	s_delay_alu instid0(VALU_DEP_1) | instskip(SKIP_1) | instid1(VALU_DEP_2)
	v_add_co_u32 v90, vcc_lo, s0, v5
	s_wait_alu 0xfffd
	v_add_co_ci_u32_e64 v91, null, s1, v6, vcc_lo
	s_movk_i32 s0, 0x50
	s_movk_i32 s1, 0x70
	s_wait_alu 0xfffe
	s_add_co_i32 s4, s0, 16
	s_movk_i32 s0, 0x60
	s_add_co_i32 s5, s1, 16
	s_wait_alu 0xfffe
	s_add_co_i32 s26, s0, 16
	s_movk_i32 s0, 0x80
	s_movk_i32 s1, 0x90
	s_wait_alu 0xfffe
	s_add_co_i32 s27, s0, 16
	s_add_co_i32 s10, s1, 16
	s_movk_i32 s0, 0xa0
	s_movk_i32 s1, 0xb0
	s_wait_alu 0xfffe
	s_add_co_i32 s28, s0, 16
	;; [unrolled: 5-line block ×13, first 2 shown]
	s_add_co_i32 s23, s1, 16
	s_bitcmp0_b32 s43, 0
	s_mov_b32 s1, -1
	s_wait_loadcnt_dscnt 0x0
	scratch_store_b128 off, v[1:4], off offset:32
	flat_load_b128 v[1:4], v[28:29]
	s_wait_loadcnt_dscnt 0x0
	scratch_store_b128 off, v[1:4], off offset:48
	flat_load_b128 v[1:4], v[30:31]
	;; [unrolled: 3-line block ×32, first 2 shown]
	s_wait_loadcnt_dscnt 0x0
	scratch_store_b128 off, v[1:4], off offset:544
	s_cbranch_scc1 .LBB97_148
; %bb.4:
	v_cmp_eq_u32_e64 s0, 0, v0
	s_and_saveexec_b32 s1, s0
; %bb.5:
	v_mov_b32_e32 v1, 0
	ds_store_b32 v1, v1 offset:1088
; %bb.6:
	s_wait_alu 0xfffe
	s_or_b32 exec_lo, exec_lo, s1
	s_wait_storecnt_dscnt 0x0
	s_barrier_signal -1
	s_barrier_wait -1
	global_inv scope:SCOPE_SE
	scratch_load_b128 v[1:4], v13, off offset:16
	s_wait_loadcnt 0x0
	v_cmp_eq_f64_e32 vcc_lo, 0, v[1:2]
	v_cmp_eq_f64_e64 s1, 0, v[3:4]
	s_and_b32 s1, vcc_lo, s1
	s_wait_alu 0xfffe
	s_and_saveexec_b32 s43, s1
	s_cbranch_execz .LBB97_10
; %bb.7:
	v_mov_b32_e32 v1, 0
	s_mov_b32 s44, 0
	ds_load_b32 v2, v1 offset:1088
	s_wait_dscnt 0x0
	v_readfirstlane_b32 s1, v2
	v_add_nc_u32_e32 v2, 1, v0
	s_cmp_eq_u32 s1, 0
	s_delay_alu instid0(VALU_DEP_1) | instskip(SKIP_1) | instid1(SALU_CYCLE_1)
	v_cmp_gt_i32_e32 vcc_lo, s1, v2
	s_cselect_b32 s45, -1, 0
	s_or_b32 s45, s45, vcc_lo
	s_delay_alu instid0(SALU_CYCLE_1)
	s_and_b32 exec_lo, exec_lo, s45
	s_cbranch_execz .LBB97_10
; %bb.8:
	v_mov_b32_e32 v3, s1
.LBB97_9:                               ; =>This Inner Loop Header: Depth=1
	ds_cmpstore_rtn_b32 v3, v1, v2, v3 offset:1088
	s_wait_dscnt 0x0
	v_cmp_ne_u32_e32 vcc_lo, 0, v3
	v_cmp_le_i32_e64 s1, v3, v2
	s_and_b32 s1, vcc_lo, s1
	s_wait_alu 0xfffe
	s_and_b32 s1, exec_lo, s1
	s_wait_alu 0xfffe
	s_or_b32 s44, s1, s44
	s_delay_alu instid0(SALU_CYCLE_1)
	s_and_not1_b32 exec_lo, exec_lo, s44
	s_cbranch_execnz .LBB97_9
.LBB97_10:
	s_or_b32 exec_lo, exec_lo, s43
	v_mov_b32_e32 v1, 0
	s_barrier_signal -1
	s_barrier_wait -1
	global_inv scope:SCOPE_SE
	ds_load_b32 v2, v1 offset:1088
	s_and_saveexec_b32 s1, s0
	s_cbranch_execz .LBB97_12
; %bb.11:
	s_lshl_b64 s[44:45], s[8:9], 2
	s_delay_alu instid0(SALU_CYCLE_1)
	s_add_nc_u64 s[44:45], s[6:7], s[44:45]
	s_wait_dscnt 0x0
	global_store_b32 v1, v2, s[44:45]
.LBB97_12:
	s_wait_alu 0xfffe
	s_or_b32 exec_lo, exec_lo, s1
	s_wait_dscnt 0x0
	v_cmp_ne_u32_e32 vcc_lo, 0, v2
	s_mov_b32 s1, 0
	s_cbranch_vccnz .LBB97_148
; %bb.13:
	v_add_nc_u32_e32 v14, 16, v13
                                        ; implicit-def: $vgpr1_vgpr2
                                        ; implicit-def: $vgpr9_vgpr10
	scratch_load_b128 v[5:8], v14, off
	s_wait_loadcnt 0x0
	v_cmp_ngt_f64_e64 s1, |v[5:6]|, |v[7:8]|
	s_wait_alu 0xfffe
	s_and_saveexec_b32 s43, s1
	s_delay_alu instid0(SALU_CYCLE_1)
	s_xor_b32 s1, exec_lo, s43
	s_cbranch_execz .LBB97_15
; %bb.14:
	v_div_scale_f64 v[1:2], null, v[7:8], v[7:8], v[5:6]
	v_div_scale_f64 v[11:12], vcc_lo, v[5:6], v[7:8], v[5:6]
	s_delay_alu instid0(VALU_DEP_2) | instskip(NEXT) | instid1(TRANS32_DEP_1)
	v_rcp_f64_e32 v[3:4], v[1:2]
	v_fma_f64 v[9:10], -v[1:2], v[3:4], 1.0
	s_delay_alu instid0(VALU_DEP_1) | instskip(NEXT) | instid1(VALU_DEP_1)
	v_fma_f64 v[3:4], v[3:4], v[9:10], v[3:4]
	v_fma_f64 v[9:10], -v[1:2], v[3:4], 1.0
	s_delay_alu instid0(VALU_DEP_1) | instskip(NEXT) | instid1(VALU_DEP_1)
	v_fma_f64 v[3:4], v[3:4], v[9:10], v[3:4]
	v_mul_f64_e32 v[9:10], v[11:12], v[3:4]
	s_delay_alu instid0(VALU_DEP_1) | instskip(SKIP_1) | instid1(VALU_DEP_1)
	v_fma_f64 v[1:2], -v[1:2], v[9:10], v[11:12]
	s_wait_alu 0xfffd
	v_div_fmas_f64 v[1:2], v[1:2], v[3:4], v[9:10]
	s_delay_alu instid0(VALU_DEP_1) | instskip(NEXT) | instid1(VALU_DEP_1)
	v_div_fixup_f64 v[1:2], v[1:2], v[7:8], v[5:6]
	v_fma_f64 v[3:4], v[5:6], v[1:2], v[7:8]
	s_delay_alu instid0(VALU_DEP_1) | instskip(SKIP_1) | instid1(VALU_DEP_2)
	v_div_scale_f64 v[5:6], null, v[3:4], v[3:4], 1.0
	v_div_scale_f64 v[11:12], vcc_lo, 1.0, v[3:4], 1.0
	v_rcp_f64_e32 v[7:8], v[5:6]
	s_delay_alu instid0(TRANS32_DEP_1) | instskip(NEXT) | instid1(VALU_DEP_1)
	v_fma_f64 v[9:10], -v[5:6], v[7:8], 1.0
	v_fma_f64 v[7:8], v[7:8], v[9:10], v[7:8]
	s_delay_alu instid0(VALU_DEP_1) | instskip(NEXT) | instid1(VALU_DEP_1)
	v_fma_f64 v[9:10], -v[5:6], v[7:8], 1.0
	v_fma_f64 v[7:8], v[7:8], v[9:10], v[7:8]
	s_delay_alu instid0(VALU_DEP_1) | instskip(NEXT) | instid1(VALU_DEP_1)
	v_mul_f64_e32 v[9:10], v[11:12], v[7:8]
	v_fma_f64 v[5:6], -v[5:6], v[9:10], v[11:12]
	s_wait_alu 0xfffd
	s_delay_alu instid0(VALU_DEP_1) | instskip(NEXT) | instid1(VALU_DEP_1)
	v_div_fmas_f64 v[5:6], v[5:6], v[7:8], v[9:10]
	v_div_fixup_f64 v[3:4], v[5:6], v[3:4], 1.0
                                        ; implicit-def: $vgpr5_vgpr6
	s_delay_alu instid0(VALU_DEP_1) | instskip(SKIP_1) | instid1(VALU_DEP_2)
	v_mul_f64_e32 v[1:2], v[1:2], v[3:4]
	v_xor_b32_e32 v4, 0x80000000, v4
	v_xor_b32_e32 v10, 0x80000000, v2
	s_delay_alu instid0(VALU_DEP_3)
	v_mov_b32_e32 v9, v1
.LBB97_15:
	s_wait_alu 0xfffe
	s_and_not1_saveexec_b32 s1, s1
	s_cbranch_execz .LBB97_17
; %bb.16:
	v_div_scale_f64 v[1:2], null, v[5:6], v[5:6], v[7:8]
	v_div_scale_f64 v[11:12], vcc_lo, v[7:8], v[5:6], v[7:8]
	s_delay_alu instid0(VALU_DEP_2) | instskip(NEXT) | instid1(TRANS32_DEP_1)
	v_rcp_f64_e32 v[3:4], v[1:2]
	v_fma_f64 v[9:10], -v[1:2], v[3:4], 1.0
	s_delay_alu instid0(VALU_DEP_1) | instskip(NEXT) | instid1(VALU_DEP_1)
	v_fma_f64 v[3:4], v[3:4], v[9:10], v[3:4]
	v_fma_f64 v[9:10], -v[1:2], v[3:4], 1.0
	s_delay_alu instid0(VALU_DEP_1) | instskip(NEXT) | instid1(VALU_DEP_1)
	v_fma_f64 v[3:4], v[3:4], v[9:10], v[3:4]
	v_mul_f64_e32 v[9:10], v[11:12], v[3:4]
	s_delay_alu instid0(VALU_DEP_1) | instskip(SKIP_1) | instid1(VALU_DEP_1)
	v_fma_f64 v[1:2], -v[1:2], v[9:10], v[11:12]
	s_wait_alu 0xfffd
	v_div_fmas_f64 v[1:2], v[1:2], v[3:4], v[9:10]
	s_delay_alu instid0(VALU_DEP_1) | instskip(NEXT) | instid1(VALU_DEP_1)
	v_div_fixup_f64 v[3:4], v[1:2], v[5:6], v[7:8]
	v_fma_f64 v[1:2], v[7:8], v[3:4], v[5:6]
	s_delay_alu instid0(VALU_DEP_1) | instskip(NEXT) | instid1(VALU_DEP_1)
	v_div_scale_f64 v[5:6], null, v[1:2], v[1:2], 1.0
	v_rcp_f64_e32 v[7:8], v[5:6]
	s_delay_alu instid0(TRANS32_DEP_1) | instskip(NEXT) | instid1(VALU_DEP_1)
	v_fma_f64 v[9:10], -v[5:6], v[7:8], 1.0
	v_fma_f64 v[7:8], v[7:8], v[9:10], v[7:8]
	s_delay_alu instid0(VALU_DEP_1) | instskip(NEXT) | instid1(VALU_DEP_1)
	v_fma_f64 v[9:10], -v[5:6], v[7:8], 1.0
	v_fma_f64 v[7:8], v[7:8], v[9:10], v[7:8]
	v_div_scale_f64 v[9:10], vcc_lo, 1.0, v[1:2], 1.0
	s_delay_alu instid0(VALU_DEP_1) | instskip(NEXT) | instid1(VALU_DEP_1)
	v_mul_f64_e32 v[11:12], v[9:10], v[7:8]
	v_fma_f64 v[5:6], -v[5:6], v[11:12], v[9:10]
	s_wait_alu 0xfffd
	s_delay_alu instid0(VALU_DEP_1) | instskip(NEXT) | instid1(VALU_DEP_1)
	v_div_fmas_f64 v[5:6], v[5:6], v[7:8], v[11:12]
	v_div_fixup_f64 v[1:2], v[5:6], v[1:2], 1.0
	s_delay_alu instid0(VALU_DEP_1)
	v_mul_f64_e64 v[3:4], v[3:4], -v[1:2]
	v_xor_b32_e32 v10, 0x80000000, v2
	v_mov_b32_e32 v9, v1
.LBB97_17:
	s_wait_alu 0xfffe
	s_or_b32 exec_lo, exec_lo, s1
	scratch_store_b128 v14, v[1:4], off
	scratch_load_b128 v[15:18], off, s42
	v_xor_b32_e32 v12, 0x80000000, v4
	v_mov_b32_e32 v11, v3
	v_add_nc_u32_e32 v5, 0x220, v13
	ds_store_b128 v13, v[9:12]
	s_wait_loadcnt 0x0
	ds_store_b128 v13, v[15:18] offset:544
	s_wait_storecnt_dscnt 0x0
	s_barrier_signal -1
	s_barrier_wait -1
	global_inv scope:SCOPE_SE
	s_and_saveexec_b32 s1, s0
	s_cbranch_execz .LBB97_19
; %bb.18:
	scratch_load_b128 v[1:4], v14, off
	ds_load_b128 v[6:9], v5
	v_mov_b32_e32 v10, 0
	ds_load_b128 v[15:18], v10 offset:16
	s_wait_loadcnt_dscnt 0x1
	v_mul_f64_e32 v[10:11], v[6:7], v[3:4]
	v_mul_f64_e32 v[3:4], v[8:9], v[3:4]
	s_delay_alu instid0(VALU_DEP_2) | instskip(NEXT) | instid1(VALU_DEP_2)
	v_fma_f64 v[8:9], v[8:9], v[1:2], v[10:11]
	v_fma_f64 v[1:2], v[6:7], v[1:2], -v[3:4]
	s_delay_alu instid0(VALU_DEP_2) | instskip(NEXT) | instid1(VALU_DEP_2)
	v_add_f64_e32 v[3:4], 0, v[8:9]
	v_add_f64_e32 v[1:2], 0, v[1:2]
	s_wait_dscnt 0x0
	s_delay_alu instid0(VALU_DEP_2) | instskip(NEXT) | instid1(VALU_DEP_2)
	v_mul_f64_e32 v[6:7], v[3:4], v[17:18]
	v_mul_f64_e32 v[8:9], v[1:2], v[17:18]
	s_delay_alu instid0(VALU_DEP_2) | instskip(NEXT) | instid1(VALU_DEP_2)
	v_fma_f64 v[1:2], v[1:2], v[15:16], -v[6:7]
	v_fma_f64 v[3:4], v[3:4], v[15:16], v[8:9]
	scratch_store_b128 off, v[1:4], off offset:32
.LBB97_19:
	s_wait_alu 0xfffe
	s_or_b32 exec_lo, exec_lo, s1
	s_wait_loadcnt 0x0
	s_wait_storecnt 0x0
	s_barrier_signal -1
	s_barrier_wait -1
	global_inv scope:SCOPE_SE
	scratch_load_b128 v[1:4], off, s41
	s_mov_b32 s1, exec_lo
	s_wait_loadcnt 0x0
	ds_store_b128 v5, v[1:4]
	s_wait_dscnt 0x0
	s_barrier_signal -1
	s_barrier_wait -1
	global_inv scope:SCOPE_SE
	v_cmpx_gt_u32_e32 2, v0
	s_cbranch_execz .LBB97_23
; %bb.20:
	scratch_load_b128 v[1:4], v14, off
	ds_load_b128 v[6:9], v5
	s_wait_loadcnt_dscnt 0x0
	v_mul_f64_e32 v[10:11], v[8:9], v[3:4]
	v_mul_f64_e32 v[3:4], v[6:7], v[3:4]
	s_delay_alu instid0(VALU_DEP_2) | instskip(NEXT) | instid1(VALU_DEP_2)
	v_fma_f64 v[6:7], v[6:7], v[1:2], -v[10:11]
	v_fma_f64 v[3:4], v[8:9], v[1:2], v[3:4]
	s_delay_alu instid0(VALU_DEP_2) | instskip(NEXT) | instid1(VALU_DEP_2)
	v_add_f64_e32 v[1:2], 0, v[6:7]
	v_add_f64_e32 v[3:4], 0, v[3:4]
	s_and_saveexec_b32 s43, s0
	s_cbranch_execz .LBB97_22
; %bb.21:
	scratch_load_b128 v[6:9], off, off offset:32
	v_mov_b32_e32 v10, 0
	ds_load_b128 v[15:18], v10 offset:560
	s_wait_loadcnt_dscnt 0x0
	v_mul_f64_e32 v[10:11], v[15:16], v[8:9]
	v_mul_f64_e32 v[8:9], v[17:18], v[8:9]
	s_delay_alu instid0(VALU_DEP_2) | instskip(NEXT) | instid1(VALU_DEP_2)
	v_fma_f64 v[10:11], v[17:18], v[6:7], v[10:11]
	v_fma_f64 v[6:7], v[15:16], v[6:7], -v[8:9]
	s_delay_alu instid0(VALU_DEP_2) | instskip(NEXT) | instid1(VALU_DEP_2)
	v_add_f64_e32 v[3:4], v[3:4], v[10:11]
	v_add_f64_e32 v[1:2], v[1:2], v[6:7]
.LBB97_22:
	s_or_b32 exec_lo, exec_lo, s43
	v_mov_b32_e32 v6, 0
	ds_load_b128 v[6:9], v6 offset:32
	s_wait_dscnt 0x0
	v_mul_f64_e32 v[10:11], v[3:4], v[8:9]
	v_mul_f64_e32 v[8:9], v[1:2], v[8:9]
	s_delay_alu instid0(VALU_DEP_2) | instskip(NEXT) | instid1(VALU_DEP_2)
	v_fma_f64 v[1:2], v[1:2], v[6:7], -v[10:11]
	v_fma_f64 v[3:4], v[3:4], v[6:7], v[8:9]
	scratch_store_b128 off, v[1:4], off offset:48
.LBB97_23:
	s_wait_alu 0xfffe
	s_or_b32 exec_lo, exec_lo, s1
	s_wait_loadcnt 0x0
	s_wait_storecnt 0x0
	s_barrier_signal -1
	s_barrier_wait -1
	global_inv scope:SCOPE_SE
	scratch_load_b128 v[1:4], off, s24
	v_add_nc_u32_e32 v6, -1, v0
	s_mov_b32 s0, exec_lo
	s_wait_loadcnt 0x0
	ds_store_b128 v5, v[1:4]
	s_wait_dscnt 0x0
	s_barrier_signal -1
	s_barrier_wait -1
	global_inv scope:SCOPE_SE
	v_cmpx_gt_u32_e32 3, v0
	s_cbranch_execz .LBB97_27
; %bb.24:
	v_dual_mov_b32 v1, 0 :: v_dual_add_nc_u32 v8, 0x220, v13
	v_mov_b32_e32 v3, 0
	v_dual_mov_b32 v2, 0 :: v_dual_add_nc_u32 v7, -1, v0
	v_mov_b32_e32 v4, 0
	v_or_b32_e32 v9, 8, v14
	s_mov_b32 s1, 0
.LBB97_25:                              ; =>This Inner Loop Header: Depth=1
	scratch_load_b128 v[15:18], v9, off offset:-8
	ds_load_b128 v[19:22], v8
	v_add_nc_u32_e32 v7, 1, v7
	v_add_nc_u32_e32 v8, 16, v8
	v_add_nc_u32_e32 v9, 16, v9
	s_delay_alu instid0(VALU_DEP_3)
	v_cmp_lt_u32_e32 vcc_lo, 1, v7
	s_wait_alu 0xfffe
	s_or_b32 s1, vcc_lo, s1
	s_wait_loadcnt_dscnt 0x0
	v_mul_f64_e32 v[10:11], v[21:22], v[17:18]
	v_mul_f64_e32 v[17:18], v[19:20], v[17:18]
	s_delay_alu instid0(VALU_DEP_2) | instskip(NEXT) | instid1(VALU_DEP_2)
	v_fma_f64 v[10:11], v[19:20], v[15:16], -v[10:11]
	v_fma_f64 v[15:16], v[21:22], v[15:16], v[17:18]
	s_delay_alu instid0(VALU_DEP_2) | instskip(NEXT) | instid1(VALU_DEP_2)
	v_add_f64_e32 v[3:4], v[3:4], v[10:11]
	v_add_f64_e32 v[1:2], v[1:2], v[15:16]
	s_wait_alu 0xfffe
	s_and_not1_b32 exec_lo, exec_lo, s1
	s_cbranch_execnz .LBB97_25
; %bb.26:
	s_or_b32 exec_lo, exec_lo, s1
	v_mov_b32_e32 v7, 0
	ds_load_b128 v[7:10], v7 offset:48
	s_wait_dscnt 0x0
	v_mul_f64_e32 v[11:12], v[1:2], v[9:10]
	v_mul_f64_e32 v[15:16], v[3:4], v[9:10]
	s_delay_alu instid0(VALU_DEP_2) | instskip(NEXT) | instid1(VALU_DEP_2)
	v_fma_f64 v[9:10], v[3:4], v[7:8], -v[11:12]
	v_fma_f64 v[11:12], v[1:2], v[7:8], v[15:16]
	scratch_store_b128 off, v[9:12], off offset:64
.LBB97_27:
	s_wait_alu 0xfffe
	s_or_b32 exec_lo, exec_lo, s0
	s_wait_loadcnt 0x0
	s_wait_storecnt 0x0
	s_barrier_signal -1
	s_barrier_wait -1
	global_inv scope:SCOPE_SE
	scratch_load_b128 v[1:4], off, s25
	s_mov_b32 s0, exec_lo
	s_wait_loadcnt 0x0
	ds_store_b128 v5, v[1:4]
	s_wait_dscnt 0x0
	s_barrier_signal -1
	s_barrier_wait -1
	global_inv scope:SCOPE_SE
	v_cmpx_gt_u32_e32 4, v0
	s_cbranch_execz .LBB97_31
; %bb.28:
	v_dual_mov_b32 v1, 0 :: v_dual_add_nc_u32 v8, 0x220, v13
	v_mov_b32_e32 v3, 0
	v_dual_mov_b32 v2, 0 :: v_dual_add_nc_u32 v7, -1, v0
	v_mov_b32_e32 v4, 0
	v_or_b32_e32 v9, 8, v14
	s_mov_b32 s1, 0
.LBB97_29:                              ; =>This Inner Loop Header: Depth=1
	scratch_load_b128 v[15:18], v9, off offset:-8
	ds_load_b128 v[19:22], v8
	v_add_nc_u32_e32 v7, 1, v7
	v_add_nc_u32_e32 v8, 16, v8
	v_add_nc_u32_e32 v9, 16, v9
	s_delay_alu instid0(VALU_DEP_3)
	v_cmp_lt_u32_e32 vcc_lo, 2, v7
	s_wait_alu 0xfffe
	s_or_b32 s1, vcc_lo, s1
	s_wait_loadcnt_dscnt 0x0
	v_mul_f64_e32 v[10:11], v[21:22], v[17:18]
	v_mul_f64_e32 v[17:18], v[19:20], v[17:18]
	s_delay_alu instid0(VALU_DEP_2) | instskip(NEXT) | instid1(VALU_DEP_2)
	v_fma_f64 v[10:11], v[19:20], v[15:16], -v[10:11]
	v_fma_f64 v[15:16], v[21:22], v[15:16], v[17:18]
	s_delay_alu instid0(VALU_DEP_2) | instskip(NEXT) | instid1(VALU_DEP_2)
	v_add_f64_e32 v[3:4], v[3:4], v[10:11]
	v_add_f64_e32 v[1:2], v[1:2], v[15:16]
	s_wait_alu 0xfffe
	s_and_not1_b32 exec_lo, exec_lo, s1
	s_cbranch_execnz .LBB97_29
; %bb.30:
	s_or_b32 exec_lo, exec_lo, s1
	v_mov_b32_e32 v7, 0
	ds_load_b128 v[7:10], v7 offset:64
	s_wait_dscnt 0x0
	v_mul_f64_e32 v[11:12], v[1:2], v[9:10]
	v_mul_f64_e32 v[15:16], v[3:4], v[9:10]
	s_delay_alu instid0(VALU_DEP_2) | instskip(NEXT) | instid1(VALU_DEP_2)
	v_fma_f64 v[9:10], v[3:4], v[7:8], -v[11:12]
	v_fma_f64 v[11:12], v[1:2], v[7:8], v[15:16]
	scratch_store_b128 off, v[9:12], off offset:80
.LBB97_31:
	s_wait_alu 0xfffe
	s_or_b32 exec_lo, exec_lo, s0
	s_wait_loadcnt 0x0
	s_wait_storecnt 0x0
	s_barrier_signal -1
	s_barrier_wait -1
	global_inv scope:SCOPE_SE
	scratch_load_b128 v[1:4], off, s4
	;; [unrolled: 58-line block ×19, first 2 shown]
	s_mov_b32 s0, exec_lo
	s_wait_loadcnt 0x0
	ds_store_b128 v5, v[1:4]
	s_wait_dscnt 0x0
	s_barrier_signal -1
	s_barrier_wait -1
	global_inv scope:SCOPE_SE
	v_cmpx_gt_u32_e32 22, v0
	s_cbranch_execz .LBB97_103
; %bb.100:
	v_dual_mov_b32 v1, 0 :: v_dual_add_nc_u32 v8, 0x220, v13
	v_mov_b32_e32 v3, 0
	v_dual_mov_b32 v2, 0 :: v_dual_add_nc_u32 v7, -1, v0
	v_mov_b32_e32 v4, 0
	v_or_b32_e32 v9, 8, v14
	s_mov_b32 s1, 0
.LBB97_101:                             ; =>This Inner Loop Header: Depth=1
	scratch_load_b128 v[15:18], v9, off offset:-8
	ds_load_b128 v[19:22], v8
	v_add_nc_u32_e32 v7, 1, v7
	v_add_nc_u32_e32 v8, 16, v8
	v_add_nc_u32_e32 v9, 16, v9
	s_delay_alu instid0(VALU_DEP_3)
	v_cmp_lt_u32_e32 vcc_lo, 20, v7
	s_wait_alu 0xfffe
	s_or_b32 s1, vcc_lo, s1
	s_wait_loadcnt_dscnt 0x0
	v_mul_f64_e32 v[10:11], v[21:22], v[17:18]
	v_mul_f64_e32 v[17:18], v[19:20], v[17:18]
	s_delay_alu instid0(VALU_DEP_2) | instskip(NEXT) | instid1(VALU_DEP_2)
	v_fma_f64 v[10:11], v[19:20], v[15:16], -v[10:11]
	v_fma_f64 v[15:16], v[21:22], v[15:16], v[17:18]
	s_delay_alu instid0(VALU_DEP_2) | instskip(NEXT) | instid1(VALU_DEP_2)
	v_add_f64_e32 v[3:4], v[3:4], v[10:11]
	v_add_f64_e32 v[1:2], v[1:2], v[15:16]
	s_wait_alu 0xfffe
	s_and_not1_b32 exec_lo, exec_lo, s1
	s_cbranch_execnz .LBB97_101
; %bb.102:
	s_or_b32 exec_lo, exec_lo, s1
	v_mov_b32_e32 v7, 0
	ds_load_b128 v[7:10], v7 offset:352
	s_wait_dscnt 0x0
	v_mul_f64_e32 v[11:12], v[1:2], v[9:10]
	v_mul_f64_e32 v[15:16], v[3:4], v[9:10]
	s_delay_alu instid0(VALU_DEP_2) | instskip(NEXT) | instid1(VALU_DEP_2)
	v_fma_f64 v[9:10], v[3:4], v[7:8], -v[11:12]
	v_fma_f64 v[11:12], v[1:2], v[7:8], v[15:16]
	scratch_store_b128 off, v[9:12], off offset:368
.LBB97_103:
	s_wait_alu 0xfffe
	s_or_b32 exec_lo, exec_lo, s0
	s_wait_loadcnt 0x0
	s_wait_storecnt 0x0
	s_barrier_signal -1
	s_barrier_wait -1
	global_inv scope:SCOPE_SE
	scratch_load_b128 v[1:4], off, s18
	s_mov_b32 s0, exec_lo
	s_wait_loadcnt 0x0
	ds_store_b128 v5, v[1:4]
	s_wait_dscnt 0x0
	s_barrier_signal -1
	s_barrier_wait -1
	global_inv scope:SCOPE_SE
	v_cmpx_gt_u32_e32 23, v0
	s_cbranch_execz .LBB97_107
; %bb.104:
	v_dual_mov_b32 v1, 0 :: v_dual_add_nc_u32 v8, 0x220, v13
	v_mov_b32_e32 v3, 0
	v_dual_mov_b32 v2, 0 :: v_dual_add_nc_u32 v7, -1, v0
	v_mov_b32_e32 v4, 0
	v_or_b32_e32 v9, 8, v14
	s_mov_b32 s1, 0
.LBB97_105:                             ; =>This Inner Loop Header: Depth=1
	scratch_load_b128 v[15:18], v9, off offset:-8
	ds_load_b128 v[19:22], v8
	v_add_nc_u32_e32 v7, 1, v7
	v_add_nc_u32_e32 v8, 16, v8
	v_add_nc_u32_e32 v9, 16, v9
	s_delay_alu instid0(VALU_DEP_3)
	v_cmp_lt_u32_e32 vcc_lo, 21, v7
	s_wait_alu 0xfffe
	s_or_b32 s1, vcc_lo, s1
	s_wait_loadcnt_dscnt 0x0
	v_mul_f64_e32 v[10:11], v[21:22], v[17:18]
	v_mul_f64_e32 v[17:18], v[19:20], v[17:18]
	s_delay_alu instid0(VALU_DEP_2) | instskip(NEXT) | instid1(VALU_DEP_2)
	v_fma_f64 v[10:11], v[19:20], v[15:16], -v[10:11]
	v_fma_f64 v[15:16], v[21:22], v[15:16], v[17:18]
	s_delay_alu instid0(VALU_DEP_2) | instskip(NEXT) | instid1(VALU_DEP_2)
	v_add_f64_e32 v[3:4], v[3:4], v[10:11]
	v_add_f64_e32 v[1:2], v[1:2], v[15:16]
	s_wait_alu 0xfffe
	s_and_not1_b32 exec_lo, exec_lo, s1
	s_cbranch_execnz .LBB97_105
; %bb.106:
	s_or_b32 exec_lo, exec_lo, s1
	v_mov_b32_e32 v7, 0
	ds_load_b128 v[7:10], v7 offset:368
	s_wait_dscnt 0x0
	v_mul_f64_e32 v[11:12], v[1:2], v[9:10]
	v_mul_f64_e32 v[15:16], v[3:4], v[9:10]
	s_delay_alu instid0(VALU_DEP_2) | instskip(NEXT) | instid1(VALU_DEP_2)
	v_fma_f64 v[9:10], v[3:4], v[7:8], -v[11:12]
	v_fma_f64 v[11:12], v[1:2], v[7:8], v[15:16]
	scratch_store_b128 off, v[9:12], off offset:384
.LBB97_107:
	s_wait_alu 0xfffe
	s_or_b32 exec_lo, exec_lo, s0
	s_wait_loadcnt 0x0
	s_wait_storecnt 0x0
	s_barrier_signal -1
	s_barrier_wait -1
	global_inv scope:SCOPE_SE
	scratch_load_b128 v[1:4], off, s36
	;; [unrolled: 58-line block ×11, first 2 shown]
	s_mov_b32 s0, exec_lo
	s_wait_loadcnt 0x0
	ds_store_b128 v5, v[1:4]
	s_wait_dscnt 0x0
	s_barrier_signal -1
	s_barrier_wait -1
	global_inv scope:SCOPE_SE
	v_cmpx_ne_u32_e32 33, v0
	s_cbranch_execz .LBB97_147
; %bb.144:
	v_mov_b32_e32 v1, 0
	v_dual_mov_b32 v2, 0 :: v_dual_mov_b32 v3, 0
	v_mov_b32_e32 v4, 0
	v_or_b32_e32 v7, 8, v14
	s_mov_b32 s1, 0
.LBB97_145:                             ; =>This Inner Loop Header: Depth=1
	scratch_load_b128 v[8:11], v7, off offset:-8
	ds_load_b128 v[12:15], v5
	v_add_nc_u32_e32 v6, 1, v6
	v_add_nc_u32_e32 v5, 16, v5
	v_add_nc_u32_e32 v7, 16, v7
	s_delay_alu instid0(VALU_DEP_3)
	v_cmp_lt_u32_e32 vcc_lo, 31, v6
	s_wait_alu 0xfffe
	s_or_b32 s1, vcc_lo, s1
	s_wait_loadcnt_dscnt 0x0
	v_mul_f64_e32 v[16:17], v[14:15], v[10:11]
	v_mul_f64_e32 v[10:11], v[12:13], v[10:11]
	s_delay_alu instid0(VALU_DEP_2) | instskip(NEXT) | instid1(VALU_DEP_2)
	v_fma_f64 v[12:13], v[12:13], v[8:9], -v[16:17]
	v_fma_f64 v[8:9], v[14:15], v[8:9], v[10:11]
	s_delay_alu instid0(VALU_DEP_2) | instskip(NEXT) | instid1(VALU_DEP_2)
	v_add_f64_e32 v[3:4], v[3:4], v[12:13]
	v_add_f64_e32 v[1:2], v[1:2], v[8:9]
	s_wait_alu 0xfffe
	s_and_not1_b32 exec_lo, exec_lo, s1
	s_cbranch_execnz .LBB97_145
; %bb.146:
	s_or_b32 exec_lo, exec_lo, s1
	v_mov_b32_e32 v5, 0
	ds_load_b128 v[5:8], v5 offset:528
	s_wait_dscnt 0x0
	v_mul_f64_e32 v[9:10], v[1:2], v[7:8]
	v_mul_f64_e32 v[7:8], v[3:4], v[7:8]
	s_delay_alu instid0(VALU_DEP_2) | instskip(NEXT) | instid1(VALU_DEP_2)
	v_fma_f64 v[3:4], v[3:4], v[5:6], -v[9:10]
	v_fma_f64 v[5:6], v[1:2], v[5:6], v[7:8]
	scratch_store_b128 off, v[3:6], off offset:544
.LBB97_147:
	s_wait_alu 0xfffe
	s_or_b32 exec_lo, exec_lo, s0
	s_mov_b32 s1, -1
	s_wait_loadcnt 0x0
	s_wait_storecnt 0x0
	s_barrier_signal -1
	s_barrier_wait -1
	global_inv scope:SCOPE_SE
.LBB97_148:
	s_wait_alu 0xfffe
	s_and_b32 vcc_lo, exec_lo, s1
	s_wait_alu 0xfffe
	s_cbranch_vccz .LBB97_150
; %bb.149:
	v_mov_b32_e32 v1, 0
	s_lshl_b64 s[0:1], s[8:9], 2
	s_wait_alu 0xfffe
	s_add_nc_u64 s[0:1], s[6:7], s[0:1]
	global_load_b32 v1, v1, s[0:1]
	s_wait_loadcnt 0x0
	v_cmp_ne_u32_e32 vcc_lo, 0, v1
	s_cbranch_vccz .LBB97_151
.LBB97_150:
	s_nop 0
	s_sendmsg sendmsg(MSG_DEALLOC_VGPRS)
	s_endpgm
.LBB97_151:
	v_lshl_add_u32 v10, v0, 4, 0x220
	s_mov_b32 s0, exec_lo
	v_cmpx_eq_u32_e32 33, v0
	s_cbranch_execz .LBB97_153
; %bb.152:
	scratch_load_b128 v[1:4], off, s40
	v_mov_b32_e32 v5, 0
	s_delay_alu instid0(VALU_DEP_1)
	v_dual_mov_b32 v6, v5 :: v_dual_mov_b32 v7, v5
	v_mov_b32_e32 v8, v5
	scratch_store_b128 off, v[5:8], off offset:528
	s_wait_loadcnt 0x0
	ds_store_b128 v10, v[1:4]
.LBB97_153:
	s_wait_alu 0xfffe
	s_or_b32 exec_lo, exec_lo, s0
	s_wait_storecnt_dscnt 0x0
	s_barrier_signal -1
	s_barrier_wait -1
	global_inv scope:SCOPE_SE
	s_clause 0x1
	scratch_load_b128 v[2:5], off, off offset:544
	scratch_load_b128 v[6:9], off, off offset:528
	v_mov_b32_e32 v1, 0
	s_mov_b32 s0, exec_lo
	ds_load_b128 v[11:14], v1 offset:1072
	s_wait_loadcnt_dscnt 0x100
	v_mul_f64_e32 v[15:16], v[13:14], v[4:5]
	v_mul_f64_e32 v[4:5], v[11:12], v[4:5]
	s_delay_alu instid0(VALU_DEP_2) | instskip(NEXT) | instid1(VALU_DEP_2)
	v_fma_f64 v[11:12], v[11:12], v[2:3], -v[15:16]
	v_fma_f64 v[2:3], v[13:14], v[2:3], v[4:5]
	s_delay_alu instid0(VALU_DEP_2) | instskip(NEXT) | instid1(VALU_DEP_2)
	v_add_f64_e32 v[4:5], 0, v[11:12]
	v_add_f64_e32 v[11:12], 0, v[2:3]
	s_wait_loadcnt 0x0
	s_delay_alu instid0(VALU_DEP_2) | instskip(NEXT) | instid1(VALU_DEP_2)
	v_add_f64_e64 v[2:3], v[6:7], -v[4:5]
	v_add_f64_e64 v[4:5], v[8:9], -v[11:12]
	scratch_store_b128 off, v[2:5], off offset:528
	v_cmpx_lt_u32_e32 31, v0
	s_cbranch_execz .LBB97_155
; %bb.154:
	scratch_load_b128 v[5:8], off, s22
	v_dual_mov_b32 v2, v1 :: v_dual_mov_b32 v3, v1
	v_mov_b32_e32 v4, v1
	scratch_store_b128 off, v[1:4], off offset:512
	s_wait_loadcnt 0x0
	ds_store_b128 v10, v[5:8]
.LBB97_155:
	s_wait_alu 0xfffe
	s_or_b32 exec_lo, exec_lo, s0
	s_wait_storecnt_dscnt 0x0
	s_barrier_signal -1
	s_barrier_wait -1
	global_inv scope:SCOPE_SE
	s_clause 0x2
	scratch_load_b128 v[2:5], off, off offset:528
	scratch_load_b128 v[6:9], off, off offset:544
	;; [unrolled: 1-line block ×3, first 2 shown]
	ds_load_b128 v[15:18], v1 offset:1056
	ds_load_b128 v[19:22], v1 offset:1072
	s_mov_b32 s0, exec_lo
	s_wait_loadcnt_dscnt 0x201
	v_mul_f64_e32 v[92:93], v[17:18], v[4:5]
	v_mul_f64_e32 v[4:5], v[15:16], v[4:5]
	s_wait_loadcnt_dscnt 0x100
	v_mul_f64_e32 v[94:95], v[19:20], v[8:9]
	v_mul_f64_e32 v[8:9], v[21:22], v[8:9]
	s_delay_alu instid0(VALU_DEP_4) | instskip(NEXT) | instid1(VALU_DEP_4)
	v_fma_f64 v[15:16], v[15:16], v[2:3], -v[92:93]
	v_fma_f64 v[1:2], v[17:18], v[2:3], v[4:5]
	s_delay_alu instid0(VALU_DEP_4) | instskip(NEXT) | instid1(VALU_DEP_4)
	v_fma_f64 v[3:4], v[21:22], v[6:7], v[94:95]
	v_fma_f64 v[5:6], v[19:20], v[6:7], -v[8:9]
	s_delay_alu instid0(VALU_DEP_4) | instskip(NEXT) | instid1(VALU_DEP_4)
	v_add_f64_e32 v[7:8], 0, v[15:16]
	v_add_f64_e32 v[1:2], 0, v[1:2]
	s_delay_alu instid0(VALU_DEP_2) | instskip(NEXT) | instid1(VALU_DEP_2)
	v_add_f64_e32 v[5:6], v[7:8], v[5:6]
	v_add_f64_e32 v[3:4], v[1:2], v[3:4]
	s_wait_loadcnt 0x0
	s_delay_alu instid0(VALU_DEP_2) | instskip(NEXT) | instid1(VALU_DEP_2)
	v_add_f64_e64 v[1:2], v[11:12], -v[5:6]
	v_add_f64_e64 v[3:4], v[13:14], -v[3:4]
	scratch_store_b128 off, v[1:4], off offset:512
	v_cmpx_lt_u32_e32 30, v0
	s_cbranch_execz .LBB97_157
; %bb.156:
	scratch_load_b128 v[1:4], off, s39
	v_mov_b32_e32 v5, 0
	s_delay_alu instid0(VALU_DEP_1)
	v_dual_mov_b32 v6, v5 :: v_dual_mov_b32 v7, v5
	v_mov_b32_e32 v8, v5
	scratch_store_b128 off, v[5:8], off offset:496
	s_wait_loadcnt 0x0
	ds_store_b128 v10, v[1:4]
.LBB97_157:
	s_wait_alu 0xfffe
	s_or_b32 exec_lo, exec_lo, s0
	s_wait_storecnt_dscnt 0x0
	s_barrier_signal -1
	s_barrier_wait -1
	global_inv scope:SCOPE_SE
	s_clause 0x3
	scratch_load_b128 v[2:5], off, off offset:512
	scratch_load_b128 v[6:9], off, off offset:528
	;; [unrolled: 1-line block ×4, first 2 shown]
	v_mov_b32_e32 v1, 0
	ds_load_b128 v[19:22], v1 offset:1040
	ds_load_b128 v[92:95], v1 offset:1056
	s_mov_b32 s0, exec_lo
	s_wait_loadcnt_dscnt 0x301
	v_mul_f64_e32 v[96:97], v[21:22], v[4:5]
	v_mul_f64_e32 v[4:5], v[19:20], v[4:5]
	s_wait_loadcnt_dscnt 0x200
	v_mul_f64_e32 v[98:99], v[92:93], v[8:9]
	v_mul_f64_e32 v[8:9], v[94:95], v[8:9]
	s_delay_alu instid0(VALU_DEP_4) | instskip(NEXT) | instid1(VALU_DEP_4)
	v_fma_f64 v[19:20], v[19:20], v[2:3], -v[96:97]
	v_fma_f64 v[21:22], v[21:22], v[2:3], v[4:5]
	ds_load_b128 v[2:5], v1 offset:1072
	v_fma_f64 v[94:95], v[94:95], v[6:7], v[98:99]
	v_fma_f64 v[6:7], v[92:93], v[6:7], -v[8:9]
	s_wait_loadcnt_dscnt 0x100
	v_mul_f64_e32 v[96:97], v[2:3], v[13:14]
	v_mul_f64_e32 v[13:14], v[4:5], v[13:14]
	v_add_f64_e32 v[8:9], 0, v[19:20]
	v_add_f64_e32 v[19:20], 0, v[21:22]
	s_delay_alu instid0(VALU_DEP_4) | instskip(NEXT) | instid1(VALU_DEP_4)
	v_fma_f64 v[4:5], v[4:5], v[11:12], v[96:97]
	v_fma_f64 v[2:3], v[2:3], v[11:12], -v[13:14]
	s_delay_alu instid0(VALU_DEP_4) | instskip(NEXT) | instid1(VALU_DEP_4)
	v_add_f64_e32 v[6:7], v[8:9], v[6:7]
	v_add_f64_e32 v[8:9], v[19:20], v[94:95]
	s_delay_alu instid0(VALU_DEP_2) | instskip(NEXT) | instid1(VALU_DEP_2)
	v_add_f64_e32 v[2:3], v[6:7], v[2:3]
	v_add_f64_e32 v[4:5], v[8:9], v[4:5]
	s_wait_loadcnt 0x0
	s_delay_alu instid0(VALU_DEP_2) | instskip(NEXT) | instid1(VALU_DEP_2)
	v_add_f64_e64 v[2:3], v[15:16], -v[2:3]
	v_add_f64_e64 v[4:5], v[17:18], -v[4:5]
	scratch_store_b128 off, v[2:5], off offset:496
	v_cmpx_lt_u32_e32 29, v0
	s_cbranch_execz .LBB97_159
; %bb.158:
	scratch_load_b128 v[5:8], off, s21
	v_dual_mov_b32 v2, v1 :: v_dual_mov_b32 v3, v1
	v_mov_b32_e32 v4, v1
	scratch_store_b128 off, v[1:4], off offset:480
	s_wait_loadcnt 0x0
	ds_store_b128 v10, v[5:8]
.LBB97_159:
	s_wait_alu 0xfffe
	s_or_b32 exec_lo, exec_lo, s0
	s_wait_storecnt_dscnt 0x0
	s_barrier_signal -1
	s_barrier_wait -1
	global_inv scope:SCOPE_SE
	s_clause 0x4
	scratch_load_b128 v[2:5], off, off offset:496
	scratch_load_b128 v[6:9], off, off offset:512
	;; [unrolled: 1-line block ×5, first 2 shown]
	ds_load_b128 v[92:95], v1 offset:1024
	ds_load_b128 v[96:99], v1 offset:1040
	s_mov_b32 s0, exec_lo
	s_wait_loadcnt_dscnt 0x401
	v_mul_f64_e32 v[100:101], v[94:95], v[4:5]
	v_mul_f64_e32 v[4:5], v[92:93], v[4:5]
	s_wait_loadcnt_dscnt 0x300
	v_mul_f64_e32 v[102:103], v[96:97], v[8:9]
	v_mul_f64_e32 v[8:9], v[98:99], v[8:9]
	s_delay_alu instid0(VALU_DEP_4) | instskip(NEXT) | instid1(VALU_DEP_4)
	v_fma_f64 v[100:101], v[92:93], v[2:3], -v[100:101]
	v_fma_f64 v[104:105], v[94:95], v[2:3], v[4:5]
	ds_load_b128 v[2:5], v1 offset:1056
	ds_load_b128 v[92:95], v1 offset:1072
	v_fma_f64 v[98:99], v[98:99], v[6:7], v[102:103]
	v_fma_f64 v[6:7], v[96:97], v[6:7], -v[8:9]
	s_wait_loadcnt_dscnt 0x201
	v_mul_f64_e32 v[106:107], v[2:3], v[13:14]
	v_mul_f64_e32 v[13:14], v[4:5], v[13:14]
	v_add_f64_e32 v[8:9], 0, v[100:101]
	v_add_f64_e32 v[96:97], 0, v[104:105]
	s_wait_loadcnt_dscnt 0x100
	v_mul_f64_e32 v[100:101], v[92:93], v[17:18]
	v_mul_f64_e32 v[17:18], v[94:95], v[17:18]
	v_fma_f64 v[4:5], v[4:5], v[11:12], v[106:107]
	v_fma_f64 v[1:2], v[2:3], v[11:12], -v[13:14]
	v_add_f64_e32 v[6:7], v[8:9], v[6:7]
	v_add_f64_e32 v[8:9], v[96:97], v[98:99]
	v_fma_f64 v[11:12], v[94:95], v[15:16], v[100:101]
	v_fma_f64 v[13:14], v[92:93], v[15:16], -v[17:18]
	s_delay_alu instid0(VALU_DEP_4) | instskip(NEXT) | instid1(VALU_DEP_4)
	v_add_f64_e32 v[1:2], v[6:7], v[1:2]
	v_add_f64_e32 v[3:4], v[8:9], v[4:5]
	s_delay_alu instid0(VALU_DEP_2) | instskip(NEXT) | instid1(VALU_DEP_2)
	v_add_f64_e32 v[1:2], v[1:2], v[13:14]
	v_add_f64_e32 v[3:4], v[3:4], v[11:12]
	s_wait_loadcnt 0x0
	s_delay_alu instid0(VALU_DEP_2) | instskip(NEXT) | instid1(VALU_DEP_2)
	v_add_f64_e64 v[1:2], v[19:20], -v[1:2]
	v_add_f64_e64 v[3:4], v[21:22], -v[3:4]
	scratch_store_b128 off, v[1:4], off offset:480
	v_cmpx_lt_u32_e32 28, v0
	s_cbranch_execz .LBB97_161
; %bb.160:
	scratch_load_b128 v[1:4], off, s38
	v_mov_b32_e32 v5, 0
	s_delay_alu instid0(VALU_DEP_1)
	v_dual_mov_b32 v6, v5 :: v_dual_mov_b32 v7, v5
	v_mov_b32_e32 v8, v5
	scratch_store_b128 off, v[5:8], off offset:464
	s_wait_loadcnt 0x0
	ds_store_b128 v10, v[1:4]
.LBB97_161:
	s_wait_alu 0xfffe
	s_or_b32 exec_lo, exec_lo, s0
	s_wait_storecnt_dscnt 0x0
	s_barrier_signal -1
	s_barrier_wait -1
	global_inv scope:SCOPE_SE
	s_clause 0x5
	scratch_load_b128 v[2:5], off, off offset:480
	scratch_load_b128 v[6:9], off, off offset:496
	;; [unrolled: 1-line block ×6, first 2 shown]
	v_mov_b32_e32 v1, 0
	ds_load_b128 v[96:99], v1 offset:1008
	ds_load_b128 v[100:103], v1 offset:1024
	s_mov_b32 s0, exec_lo
	s_wait_loadcnt_dscnt 0x501
	v_mul_f64_e32 v[104:105], v[98:99], v[4:5]
	v_mul_f64_e32 v[4:5], v[96:97], v[4:5]
	s_wait_loadcnt_dscnt 0x400
	v_mul_f64_e32 v[106:107], v[100:101], v[8:9]
	v_mul_f64_e32 v[8:9], v[102:103], v[8:9]
	s_delay_alu instid0(VALU_DEP_4) | instskip(NEXT) | instid1(VALU_DEP_4)
	v_fma_f64 v[104:105], v[96:97], v[2:3], -v[104:105]
	v_fma_f64 v[108:109], v[98:99], v[2:3], v[4:5]
	ds_load_b128 v[2:5], v1 offset:1040
	ds_load_b128 v[96:99], v1 offset:1056
	v_fma_f64 v[102:103], v[102:103], v[6:7], v[106:107]
	v_fma_f64 v[6:7], v[100:101], v[6:7], -v[8:9]
	s_wait_loadcnt_dscnt 0x301
	v_mul_f64_e32 v[110:111], v[2:3], v[13:14]
	v_mul_f64_e32 v[13:14], v[4:5], v[13:14]
	v_add_f64_e32 v[8:9], 0, v[104:105]
	v_add_f64_e32 v[100:101], 0, v[108:109]
	s_wait_loadcnt_dscnt 0x200
	v_mul_f64_e32 v[104:105], v[96:97], v[17:18]
	v_mul_f64_e32 v[17:18], v[98:99], v[17:18]
	v_fma_f64 v[106:107], v[4:5], v[11:12], v[110:111]
	v_fma_f64 v[11:12], v[2:3], v[11:12], -v[13:14]
	ds_load_b128 v[2:5], v1 offset:1072
	v_add_f64_e32 v[6:7], v[8:9], v[6:7]
	v_add_f64_e32 v[8:9], v[100:101], v[102:103]
	v_fma_f64 v[98:99], v[98:99], v[15:16], v[104:105]
	v_fma_f64 v[15:16], v[96:97], v[15:16], -v[17:18]
	s_wait_loadcnt_dscnt 0x100
	v_mul_f64_e32 v[13:14], v[2:3], v[21:22]
	v_mul_f64_e32 v[21:22], v[4:5], v[21:22]
	v_add_f64_e32 v[6:7], v[6:7], v[11:12]
	v_add_f64_e32 v[8:9], v[8:9], v[106:107]
	s_delay_alu instid0(VALU_DEP_4) | instskip(NEXT) | instid1(VALU_DEP_4)
	v_fma_f64 v[4:5], v[4:5], v[19:20], v[13:14]
	v_fma_f64 v[2:3], v[2:3], v[19:20], -v[21:22]
	s_delay_alu instid0(VALU_DEP_4) | instskip(NEXT) | instid1(VALU_DEP_4)
	v_add_f64_e32 v[6:7], v[6:7], v[15:16]
	v_add_f64_e32 v[8:9], v[8:9], v[98:99]
	s_delay_alu instid0(VALU_DEP_2) | instskip(NEXT) | instid1(VALU_DEP_2)
	v_add_f64_e32 v[2:3], v[6:7], v[2:3]
	v_add_f64_e32 v[4:5], v[8:9], v[4:5]
	s_wait_loadcnt 0x0
	s_delay_alu instid0(VALU_DEP_2) | instskip(NEXT) | instid1(VALU_DEP_2)
	v_add_f64_e64 v[2:3], v[92:93], -v[2:3]
	v_add_f64_e64 v[4:5], v[94:95], -v[4:5]
	scratch_store_b128 off, v[2:5], off offset:464
	v_cmpx_lt_u32_e32 27, v0
	s_cbranch_execz .LBB97_163
; %bb.162:
	scratch_load_b128 v[5:8], off, s20
	v_dual_mov_b32 v2, v1 :: v_dual_mov_b32 v3, v1
	v_mov_b32_e32 v4, v1
	scratch_store_b128 off, v[1:4], off offset:448
	s_wait_loadcnt 0x0
	ds_store_b128 v10, v[5:8]
.LBB97_163:
	s_wait_alu 0xfffe
	s_or_b32 exec_lo, exec_lo, s0
	s_wait_storecnt_dscnt 0x0
	s_barrier_signal -1
	s_barrier_wait -1
	global_inv scope:SCOPE_SE
	s_clause 0x5
	scratch_load_b128 v[2:5], off, off offset:464
	scratch_load_b128 v[6:9], off, off offset:480
	;; [unrolled: 1-line block ×6, first 2 shown]
	ds_load_b128 v[96:99], v1 offset:992
	ds_load_b128 v[104:107], v1 offset:1008
	scratch_load_b128 v[100:103], off, off offset:448
	s_mov_b32 s0, exec_lo
	s_wait_loadcnt_dscnt 0x601
	v_mul_f64_e32 v[108:109], v[98:99], v[4:5]
	v_mul_f64_e32 v[4:5], v[96:97], v[4:5]
	s_wait_loadcnt_dscnt 0x500
	v_mul_f64_e32 v[110:111], v[104:105], v[8:9]
	v_mul_f64_e32 v[8:9], v[106:107], v[8:9]
	s_delay_alu instid0(VALU_DEP_4) | instskip(NEXT) | instid1(VALU_DEP_4)
	v_fma_f64 v[108:109], v[96:97], v[2:3], -v[108:109]
	v_fma_f64 v[112:113], v[98:99], v[2:3], v[4:5]
	ds_load_b128 v[2:5], v1 offset:1024
	ds_load_b128 v[96:99], v1 offset:1040
	v_fma_f64 v[106:107], v[106:107], v[6:7], v[110:111]
	v_fma_f64 v[6:7], v[104:105], v[6:7], -v[8:9]
	s_wait_loadcnt_dscnt 0x401
	v_mul_f64_e32 v[114:115], v[2:3], v[13:14]
	v_mul_f64_e32 v[13:14], v[4:5], v[13:14]
	v_add_f64_e32 v[8:9], 0, v[108:109]
	v_add_f64_e32 v[104:105], 0, v[112:113]
	s_wait_loadcnt_dscnt 0x300
	v_mul_f64_e32 v[108:109], v[96:97], v[17:18]
	v_mul_f64_e32 v[17:18], v[98:99], v[17:18]
	v_fma_f64 v[110:111], v[4:5], v[11:12], v[114:115]
	v_fma_f64 v[11:12], v[2:3], v[11:12], -v[13:14]
	v_add_f64_e32 v[13:14], v[8:9], v[6:7]
	v_add_f64_e32 v[104:105], v[104:105], v[106:107]
	ds_load_b128 v[2:5], v1 offset:1056
	ds_load_b128 v[6:9], v1 offset:1072
	v_fma_f64 v[98:99], v[98:99], v[15:16], v[108:109]
	v_fma_f64 v[15:16], v[96:97], v[15:16], -v[17:18]
	s_wait_loadcnt_dscnt 0x201
	v_mul_f64_e32 v[106:107], v[2:3], v[21:22]
	v_mul_f64_e32 v[21:22], v[4:5], v[21:22]
	s_wait_loadcnt_dscnt 0x100
	v_mul_f64_e32 v[17:18], v[6:7], v[94:95]
	v_mul_f64_e32 v[94:95], v[8:9], v[94:95]
	v_add_f64_e32 v[11:12], v[13:14], v[11:12]
	v_add_f64_e32 v[13:14], v[104:105], v[110:111]
	v_fma_f64 v[4:5], v[4:5], v[19:20], v[106:107]
	v_fma_f64 v[1:2], v[2:3], v[19:20], -v[21:22]
	v_fma_f64 v[8:9], v[8:9], v[92:93], v[17:18]
	v_fma_f64 v[6:7], v[6:7], v[92:93], -v[94:95]
	v_add_f64_e32 v[11:12], v[11:12], v[15:16]
	v_add_f64_e32 v[13:14], v[13:14], v[98:99]
	s_delay_alu instid0(VALU_DEP_2) | instskip(NEXT) | instid1(VALU_DEP_2)
	v_add_f64_e32 v[1:2], v[11:12], v[1:2]
	v_add_f64_e32 v[3:4], v[13:14], v[4:5]
	s_delay_alu instid0(VALU_DEP_2) | instskip(NEXT) | instid1(VALU_DEP_2)
	v_add_f64_e32 v[1:2], v[1:2], v[6:7]
	v_add_f64_e32 v[3:4], v[3:4], v[8:9]
	s_wait_loadcnt 0x0
	s_delay_alu instid0(VALU_DEP_2) | instskip(NEXT) | instid1(VALU_DEP_2)
	v_add_f64_e64 v[1:2], v[100:101], -v[1:2]
	v_add_f64_e64 v[3:4], v[102:103], -v[3:4]
	scratch_store_b128 off, v[1:4], off offset:448
	v_cmpx_lt_u32_e32 26, v0
	s_cbranch_execz .LBB97_165
; %bb.164:
	scratch_load_b128 v[1:4], off, s37
	v_mov_b32_e32 v5, 0
	s_delay_alu instid0(VALU_DEP_1)
	v_dual_mov_b32 v6, v5 :: v_dual_mov_b32 v7, v5
	v_mov_b32_e32 v8, v5
	scratch_store_b128 off, v[5:8], off offset:432
	s_wait_loadcnt 0x0
	ds_store_b128 v10, v[1:4]
.LBB97_165:
	s_wait_alu 0xfffe
	s_or_b32 exec_lo, exec_lo, s0
	s_wait_storecnt_dscnt 0x0
	s_barrier_signal -1
	s_barrier_wait -1
	global_inv scope:SCOPE_SE
	s_clause 0x6
	scratch_load_b128 v[2:5], off, off offset:448
	scratch_load_b128 v[6:9], off, off offset:464
	;; [unrolled: 1-line block ×7, first 2 shown]
	v_mov_b32_e32 v1, 0
	scratch_load_b128 v[104:107], off, off offset:432
	s_mov_b32 s0, exec_lo
	ds_load_b128 v[100:103], v1 offset:976
	ds_load_b128 v[108:111], v1 offset:992
	s_wait_loadcnt_dscnt 0x701
	v_mul_f64_e32 v[112:113], v[102:103], v[4:5]
	v_mul_f64_e32 v[4:5], v[100:101], v[4:5]
	s_wait_loadcnt_dscnt 0x600
	v_mul_f64_e32 v[114:115], v[108:109], v[8:9]
	v_mul_f64_e32 v[8:9], v[110:111], v[8:9]
	s_delay_alu instid0(VALU_DEP_4) | instskip(NEXT) | instid1(VALU_DEP_4)
	v_fma_f64 v[112:113], v[100:101], v[2:3], -v[112:113]
	v_fma_f64 v[116:117], v[102:103], v[2:3], v[4:5]
	ds_load_b128 v[2:5], v1 offset:1008
	ds_load_b128 v[100:103], v1 offset:1024
	v_fma_f64 v[110:111], v[110:111], v[6:7], v[114:115]
	v_fma_f64 v[6:7], v[108:109], v[6:7], -v[8:9]
	s_wait_loadcnt_dscnt 0x501
	v_mul_f64_e32 v[118:119], v[2:3], v[13:14]
	v_mul_f64_e32 v[13:14], v[4:5], v[13:14]
	v_add_f64_e32 v[8:9], 0, v[112:113]
	v_add_f64_e32 v[108:109], 0, v[116:117]
	s_wait_loadcnt_dscnt 0x400
	v_mul_f64_e32 v[112:113], v[100:101], v[17:18]
	v_mul_f64_e32 v[17:18], v[102:103], v[17:18]
	v_fma_f64 v[114:115], v[4:5], v[11:12], v[118:119]
	v_fma_f64 v[11:12], v[2:3], v[11:12], -v[13:14]
	v_add_f64_e32 v[13:14], v[8:9], v[6:7]
	v_add_f64_e32 v[108:109], v[108:109], v[110:111]
	ds_load_b128 v[2:5], v1 offset:1040
	ds_load_b128 v[6:9], v1 offset:1056
	v_fma_f64 v[102:103], v[102:103], v[15:16], v[112:113]
	v_fma_f64 v[15:16], v[100:101], v[15:16], -v[17:18]
	s_wait_loadcnt_dscnt 0x301
	v_mul_f64_e32 v[110:111], v[2:3], v[21:22]
	v_mul_f64_e32 v[21:22], v[4:5], v[21:22]
	s_wait_loadcnt_dscnt 0x200
	v_mul_f64_e32 v[17:18], v[6:7], v[94:95]
	v_mul_f64_e32 v[94:95], v[8:9], v[94:95]
	v_add_f64_e32 v[11:12], v[13:14], v[11:12]
	v_add_f64_e32 v[13:14], v[108:109], v[114:115]
	v_fma_f64 v[100:101], v[4:5], v[19:20], v[110:111]
	v_fma_f64 v[19:20], v[2:3], v[19:20], -v[21:22]
	ds_load_b128 v[2:5], v1 offset:1072
	v_fma_f64 v[8:9], v[8:9], v[92:93], v[17:18]
	v_fma_f64 v[6:7], v[6:7], v[92:93], -v[94:95]
	v_add_f64_e32 v[11:12], v[11:12], v[15:16]
	v_add_f64_e32 v[13:14], v[13:14], v[102:103]
	s_wait_loadcnt_dscnt 0x100
	v_mul_f64_e32 v[15:16], v[2:3], v[98:99]
	v_mul_f64_e32 v[21:22], v[4:5], v[98:99]
	s_delay_alu instid0(VALU_DEP_4) | instskip(NEXT) | instid1(VALU_DEP_4)
	v_add_f64_e32 v[11:12], v[11:12], v[19:20]
	v_add_f64_e32 v[13:14], v[13:14], v[100:101]
	s_delay_alu instid0(VALU_DEP_4) | instskip(NEXT) | instid1(VALU_DEP_4)
	v_fma_f64 v[4:5], v[4:5], v[96:97], v[15:16]
	v_fma_f64 v[2:3], v[2:3], v[96:97], -v[21:22]
	s_delay_alu instid0(VALU_DEP_4) | instskip(NEXT) | instid1(VALU_DEP_4)
	v_add_f64_e32 v[6:7], v[11:12], v[6:7]
	v_add_f64_e32 v[8:9], v[13:14], v[8:9]
	s_delay_alu instid0(VALU_DEP_2) | instskip(NEXT) | instid1(VALU_DEP_2)
	v_add_f64_e32 v[2:3], v[6:7], v[2:3]
	v_add_f64_e32 v[4:5], v[8:9], v[4:5]
	s_wait_loadcnt 0x0
	s_delay_alu instid0(VALU_DEP_2) | instskip(NEXT) | instid1(VALU_DEP_2)
	v_add_f64_e64 v[2:3], v[104:105], -v[2:3]
	v_add_f64_e64 v[4:5], v[106:107], -v[4:5]
	scratch_store_b128 off, v[2:5], off offset:432
	v_cmpx_lt_u32_e32 25, v0
	s_cbranch_execz .LBB97_167
; %bb.166:
	scratch_load_b128 v[5:8], off, s19
	v_dual_mov_b32 v2, v1 :: v_dual_mov_b32 v3, v1
	v_mov_b32_e32 v4, v1
	scratch_store_b128 off, v[1:4], off offset:416
	s_wait_loadcnt 0x0
	ds_store_b128 v10, v[5:8]
.LBB97_167:
	s_wait_alu 0xfffe
	s_or_b32 exec_lo, exec_lo, s0
	s_wait_storecnt_dscnt 0x0
	s_barrier_signal -1
	s_barrier_wait -1
	global_inv scope:SCOPE_SE
	s_clause 0x7
	scratch_load_b128 v[2:5], off, off offset:432
	scratch_load_b128 v[6:9], off, off offset:448
	;; [unrolled: 1-line block ×8, first 2 shown]
	ds_load_b128 v[104:107], v1 offset:960
	ds_load_b128 v[108:111], v1 offset:976
	scratch_load_b128 v[112:115], off, off offset:416
	s_mov_b32 s0, exec_lo
	s_wait_loadcnt_dscnt 0x801
	v_mul_f64_e32 v[116:117], v[106:107], v[4:5]
	v_mul_f64_e32 v[4:5], v[104:105], v[4:5]
	s_wait_loadcnt_dscnt 0x700
	v_mul_f64_e32 v[118:119], v[108:109], v[8:9]
	v_mul_f64_e32 v[8:9], v[110:111], v[8:9]
	s_delay_alu instid0(VALU_DEP_4) | instskip(NEXT) | instid1(VALU_DEP_4)
	v_fma_f64 v[116:117], v[104:105], v[2:3], -v[116:117]
	v_fma_f64 v[120:121], v[106:107], v[2:3], v[4:5]
	ds_load_b128 v[2:5], v1 offset:992
	ds_load_b128 v[104:107], v1 offset:1008
	v_fma_f64 v[110:111], v[110:111], v[6:7], v[118:119]
	v_fma_f64 v[6:7], v[108:109], v[6:7], -v[8:9]
	s_wait_loadcnt_dscnt 0x601
	v_mul_f64_e32 v[122:123], v[2:3], v[13:14]
	v_mul_f64_e32 v[13:14], v[4:5], v[13:14]
	v_add_f64_e32 v[8:9], 0, v[116:117]
	v_add_f64_e32 v[108:109], 0, v[120:121]
	s_wait_loadcnt_dscnt 0x500
	v_mul_f64_e32 v[116:117], v[104:105], v[17:18]
	v_mul_f64_e32 v[17:18], v[106:107], v[17:18]
	v_fma_f64 v[118:119], v[4:5], v[11:12], v[122:123]
	v_fma_f64 v[11:12], v[2:3], v[11:12], -v[13:14]
	v_add_f64_e32 v[13:14], v[8:9], v[6:7]
	v_add_f64_e32 v[108:109], v[108:109], v[110:111]
	ds_load_b128 v[2:5], v1 offset:1024
	ds_load_b128 v[6:9], v1 offset:1040
	v_fma_f64 v[106:107], v[106:107], v[15:16], v[116:117]
	v_fma_f64 v[15:16], v[104:105], v[15:16], -v[17:18]
	s_wait_loadcnt_dscnt 0x401
	v_mul_f64_e32 v[110:111], v[2:3], v[21:22]
	v_mul_f64_e32 v[21:22], v[4:5], v[21:22]
	s_wait_loadcnt_dscnt 0x300
	v_mul_f64_e32 v[17:18], v[6:7], v[94:95]
	v_mul_f64_e32 v[94:95], v[8:9], v[94:95]
	v_add_f64_e32 v[11:12], v[13:14], v[11:12]
	v_add_f64_e32 v[13:14], v[108:109], v[118:119]
	v_fma_f64 v[104:105], v[4:5], v[19:20], v[110:111]
	v_fma_f64 v[19:20], v[2:3], v[19:20], -v[21:22]
	v_fma_f64 v[8:9], v[8:9], v[92:93], v[17:18]
	v_fma_f64 v[6:7], v[6:7], v[92:93], -v[94:95]
	v_add_f64_e32 v[15:16], v[11:12], v[15:16]
	v_add_f64_e32 v[21:22], v[13:14], v[106:107]
	ds_load_b128 v[2:5], v1 offset:1056
	ds_load_b128 v[11:14], v1 offset:1072
	s_wait_loadcnt_dscnt 0x201
	v_mul_f64_e32 v[106:107], v[2:3], v[98:99]
	v_mul_f64_e32 v[98:99], v[4:5], v[98:99]
	v_add_f64_e32 v[15:16], v[15:16], v[19:20]
	v_add_f64_e32 v[17:18], v[21:22], v[104:105]
	s_wait_loadcnt_dscnt 0x100
	v_mul_f64_e32 v[19:20], v[11:12], v[102:103]
	v_mul_f64_e32 v[21:22], v[13:14], v[102:103]
	v_fma_f64 v[4:5], v[4:5], v[96:97], v[106:107]
	v_fma_f64 v[1:2], v[2:3], v[96:97], -v[98:99]
	v_add_f64_e32 v[6:7], v[15:16], v[6:7]
	v_add_f64_e32 v[8:9], v[17:18], v[8:9]
	v_fma_f64 v[13:14], v[13:14], v[100:101], v[19:20]
	v_fma_f64 v[11:12], v[11:12], v[100:101], -v[21:22]
	s_delay_alu instid0(VALU_DEP_4) | instskip(NEXT) | instid1(VALU_DEP_4)
	v_add_f64_e32 v[1:2], v[6:7], v[1:2]
	v_add_f64_e32 v[3:4], v[8:9], v[4:5]
	s_delay_alu instid0(VALU_DEP_2) | instskip(NEXT) | instid1(VALU_DEP_2)
	v_add_f64_e32 v[1:2], v[1:2], v[11:12]
	v_add_f64_e32 v[3:4], v[3:4], v[13:14]
	s_wait_loadcnt 0x0
	s_delay_alu instid0(VALU_DEP_2) | instskip(NEXT) | instid1(VALU_DEP_2)
	v_add_f64_e64 v[1:2], v[112:113], -v[1:2]
	v_add_f64_e64 v[3:4], v[114:115], -v[3:4]
	scratch_store_b128 off, v[1:4], off offset:416
	v_cmpx_lt_u32_e32 24, v0
	s_cbranch_execz .LBB97_169
; %bb.168:
	scratch_load_b128 v[1:4], off, s36
	v_mov_b32_e32 v5, 0
	s_delay_alu instid0(VALU_DEP_1)
	v_dual_mov_b32 v6, v5 :: v_dual_mov_b32 v7, v5
	v_mov_b32_e32 v8, v5
	scratch_store_b128 off, v[5:8], off offset:400
	s_wait_loadcnt 0x0
	ds_store_b128 v10, v[1:4]
.LBB97_169:
	s_wait_alu 0xfffe
	s_or_b32 exec_lo, exec_lo, s0
	s_wait_storecnt_dscnt 0x0
	s_barrier_signal -1
	s_barrier_wait -1
	global_inv scope:SCOPE_SE
	s_clause 0x7
	scratch_load_b128 v[2:5], off, off offset:416
	scratch_load_b128 v[6:9], off, off offset:432
	;; [unrolled: 1-line block ×8, first 2 shown]
	v_mov_b32_e32 v1, 0
	s_mov_b32 s0, exec_lo
	ds_load_b128 v[104:107], v1 offset:944
	s_clause 0x1
	scratch_load_b128 v[108:111], off, off offset:544
	scratch_load_b128 v[112:115], off, off offset:400
	ds_load_b128 v[116:119], v1 offset:960
	s_wait_loadcnt_dscnt 0x901
	v_mul_f64_e32 v[120:121], v[106:107], v[4:5]
	v_mul_f64_e32 v[4:5], v[104:105], v[4:5]
	s_wait_loadcnt_dscnt 0x800
	v_mul_f64_e32 v[122:123], v[116:117], v[8:9]
	v_mul_f64_e32 v[8:9], v[118:119], v[8:9]
	s_delay_alu instid0(VALU_DEP_4) | instskip(NEXT) | instid1(VALU_DEP_4)
	v_fma_f64 v[120:121], v[104:105], v[2:3], -v[120:121]
	v_fma_f64 v[124:125], v[106:107], v[2:3], v[4:5]
	ds_load_b128 v[2:5], v1 offset:976
	ds_load_b128 v[104:107], v1 offset:992
	v_fma_f64 v[118:119], v[118:119], v[6:7], v[122:123]
	v_fma_f64 v[6:7], v[116:117], v[6:7], -v[8:9]
	s_wait_loadcnt_dscnt 0x701
	v_mul_f64_e32 v[126:127], v[2:3], v[13:14]
	v_mul_f64_e32 v[13:14], v[4:5], v[13:14]
	v_add_f64_e32 v[8:9], 0, v[120:121]
	v_add_f64_e32 v[116:117], 0, v[124:125]
	s_wait_loadcnt_dscnt 0x600
	v_mul_f64_e32 v[120:121], v[104:105], v[17:18]
	v_mul_f64_e32 v[17:18], v[106:107], v[17:18]
	v_fma_f64 v[122:123], v[4:5], v[11:12], v[126:127]
	v_fma_f64 v[11:12], v[2:3], v[11:12], -v[13:14]
	v_add_f64_e32 v[13:14], v[8:9], v[6:7]
	v_add_f64_e32 v[116:117], v[116:117], v[118:119]
	ds_load_b128 v[2:5], v1 offset:1008
	ds_load_b128 v[6:9], v1 offset:1024
	v_fma_f64 v[106:107], v[106:107], v[15:16], v[120:121]
	v_fma_f64 v[15:16], v[104:105], v[15:16], -v[17:18]
	s_wait_loadcnt_dscnt 0x501
	v_mul_f64_e32 v[118:119], v[2:3], v[21:22]
	v_mul_f64_e32 v[21:22], v[4:5], v[21:22]
	s_wait_loadcnt_dscnt 0x400
	v_mul_f64_e32 v[17:18], v[6:7], v[94:95]
	v_mul_f64_e32 v[94:95], v[8:9], v[94:95]
	v_add_f64_e32 v[11:12], v[13:14], v[11:12]
	v_add_f64_e32 v[13:14], v[116:117], v[122:123]
	v_fma_f64 v[104:105], v[4:5], v[19:20], v[118:119]
	v_fma_f64 v[19:20], v[2:3], v[19:20], -v[21:22]
	v_fma_f64 v[8:9], v[8:9], v[92:93], v[17:18]
	v_fma_f64 v[6:7], v[6:7], v[92:93], -v[94:95]
	v_add_f64_e32 v[15:16], v[11:12], v[15:16]
	v_add_f64_e32 v[21:22], v[13:14], v[106:107]
	ds_load_b128 v[2:5], v1 offset:1040
	ds_load_b128 v[11:14], v1 offset:1056
	s_wait_loadcnt_dscnt 0x301
	v_mul_f64_e32 v[106:107], v[2:3], v[98:99]
	v_mul_f64_e32 v[98:99], v[4:5], v[98:99]
	v_add_f64_e32 v[15:16], v[15:16], v[19:20]
	v_add_f64_e32 v[17:18], v[21:22], v[104:105]
	s_wait_loadcnt_dscnt 0x200
	v_mul_f64_e32 v[19:20], v[11:12], v[102:103]
	v_mul_f64_e32 v[21:22], v[13:14], v[102:103]
	v_fma_f64 v[92:93], v[4:5], v[96:97], v[106:107]
	v_fma_f64 v[94:95], v[2:3], v[96:97], -v[98:99]
	ds_load_b128 v[2:5], v1 offset:1072
	v_add_f64_e32 v[6:7], v[15:16], v[6:7]
	v_add_f64_e32 v[8:9], v[17:18], v[8:9]
	v_fma_f64 v[13:14], v[13:14], v[100:101], v[19:20]
	v_fma_f64 v[11:12], v[11:12], v[100:101], -v[21:22]
	s_wait_loadcnt_dscnt 0x100
	v_mul_f64_e32 v[15:16], v[2:3], v[110:111]
	v_mul_f64_e32 v[17:18], v[4:5], v[110:111]
	v_add_f64_e32 v[6:7], v[6:7], v[94:95]
	v_add_f64_e32 v[8:9], v[8:9], v[92:93]
	s_delay_alu instid0(VALU_DEP_4) | instskip(NEXT) | instid1(VALU_DEP_4)
	v_fma_f64 v[4:5], v[4:5], v[108:109], v[15:16]
	v_fma_f64 v[2:3], v[2:3], v[108:109], -v[17:18]
	s_delay_alu instid0(VALU_DEP_4) | instskip(NEXT) | instid1(VALU_DEP_4)
	v_add_f64_e32 v[6:7], v[6:7], v[11:12]
	v_add_f64_e32 v[8:9], v[8:9], v[13:14]
	s_delay_alu instid0(VALU_DEP_2) | instskip(NEXT) | instid1(VALU_DEP_2)
	v_add_f64_e32 v[2:3], v[6:7], v[2:3]
	v_add_f64_e32 v[4:5], v[8:9], v[4:5]
	s_wait_loadcnt 0x0
	s_delay_alu instid0(VALU_DEP_2) | instskip(NEXT) | instid1(VALU_DEP_2)
	v_add_f64_e64 v[2:3], v[112:113], -v[2:3]
	v_add_f64_e64 v[4:5], v[114:115], -v[4:5]
	scratch_store_b128 off, v[2:5], off offset:400
	v_cmpx_lt_u32_e32 23, v0
	s_cbranch_execz .LBB97_171
; %bb.170:
	scratch_load_b128 v[5:8], off, s18
	v_dual_mov_b32 v2, v1 :: v_dual_mov_b32 v3, v1
	v_mov_b32_e32 v4, v1
	scratch_store_b128 off, v[1:4], off offset:384
	s_wait_loadcnt 0x0
	ds_store_b128 v10, v[5:8]
.LBB97_171:
	s_wait_alu 0xfffe
	s_or_b32 exec_lo, exec_lo, s0
	s_wait_storecnt_dscnt 0x0
	s_barrier_signal -1
	s_barrier_wait -1
	global_inv scope:SCOPE_SE
	s_clause 0x8
	scratch_load_b128 v[2:5], off, off offset:400
	scratch_load_b128 v[6:9], off, off offset:416
	scratch_load_b128 v[11:14], off, off offset:432
	scratch_load_b128 v[15:18], off, off offset:448
	scratch_load_b128 v[19:22], off, off offset:464
	scratch_load_b128 v[92:95], off, off offset:480
	scratch_load_b128 v[96:99], off, off offset:496
	scratch_load_b128 v[100:103], off, off offset:512
	scratch_load_b128 v[104:107], off, off offset:528
	ds_load_b128 v[108:111], v1 offset:928
	ds_load_b128 v[112:115], v1 offset:944
	s_clause 0x1
	scratch_load_b128 v[116:119], off, off offset:384
	scratch_load_b128 v[120:123], off, off offset:544
	s_mov_b32 s0, exec_lo
	s_wait_loadcnt_dscnt 0xa01
	v_mul_f64_e32 v[124:125], v[110:111], v[4:5]
	v_mul_f64_e32 v[4:5], v[108:109], v[4:5]
	s_wait_loadcnt_dscnt 0x900
	v_mul_f64_e32 v[126:127], v[112:113], v[8:9]
	v_mul_f64_e32 v[8:9], v[114:115], v[8:9]
	s_delay_alu instid0(VALU_DEP_4) | instskip(NEXT) | instid1(VALU_DEP_4)
	v_fma_f64 v[124:125], v[108:109], v[2:3], -v[124:125]
	v_fma_f64 v[128:129], v[110:111], v[2:3], v[4:5]
	ds_load_b128 v[2:5], v1 offset:960
	ds_load_b128 v[108:111], v1 offset:976
	v_fma_f64 v[114:115], v[114:115], v[6:7], v[126:127]
	v_fma_f64 v[6:7], v[112:113], v[6:7], -v[8:9]
	s_wait_loadcnt_dscnt 0x801
	v_mul_f64_e32 v[130:131], v[2:3], v[13:14]
	v_mul_f64_e32 v[13:14], v[4:5], v[13:14]
	v_add_f64_e32 v[8:9], 0, v[124:125]
	v_add_f64_e32 v[112:113], 0, v[128:129]
	s_wait_loadcnt_dscnt 0x700
	v_mul_f64_e32 v[124:125], v[108:109], v[17:18]
	v_mul_f64_e32 v[17:18], v[110:111], v[17:18]
	v_fma_f64 v[126:127], v[4:5], v[11:12], v[130:131]
	v_fma_f64 v[11:12], v[2:3], v[11:12], -v[13:14]
	v_add_f64_e32 v[13:14], v[8:9], v[6:7]
	v_add_f64_e32 v[112:113], v[112:113], v[114:115]
	ds_load_b128 v[2:5], v1 offset:992
	ds_load_b128 v[6:9], v1 offset:1008
	v_fma_f64 v[110:111], v[110:111], v[15:16], v[124:125]
	v_fma_f64 v[15:16], v[108:109], v[15:16], -v[17:18]
	s_wait_loadcnt_dscnt 0x601
	v_mul_f64_e32 v[114:115], v[2:3], v[21:22]
	v_mul_f64_e32 v[21:22], v[4:5], v[21:22]
	s_wait_loadcnt_dscnt 0x500
	v_mul_f64_e32 v[17:18], v[6:7], v[94:95]
	v_mul_f64_e32 v[94:95], v[8:9], v[94:95]
	v_add_f64_e32 v[11:12], v[13:14], v[11:12]
	v_add_f64_e32 v[13:14], v[112:113], v[126:127]
	v_fma_f64 v[108:109], v[4:5], v[19:20], v[114:115]
	v_fma_f64 v[19:20], v[2:3], v[19:20], -v[21:22]
	v_fma_f64 v[8:9], v[8:9], v[92:93], v[17:18]
	v_fma_f64 v[6:7], v[6:7], v[92:93], -v[94:95]
	v_add_f64_e32 v[15:16], v[11:12], v[15:16]
	v_add_f64_e32 v[21:22], v[13:14], v[110:111]
	ds_load_b128 v[2:5], v1 offset:1024
	ds_load_b128 v[11:14], v1 offset:1040
	s_wait_loadcnt_dscnt 0x401
	v_mul_f64_e32 v[110:111], v[2:3], v[98:99]
	v_mul_f64_e32 v[98:99], v[4:5], v[98:99]
	v_add_f64_e32 v[15:16], v[15:16], v[19:20]
	v_add_f64_e32 v[17:18], v[21:22], v[108:109]
	s_wait_loadcnt_dscnt 0x300
	v_mul_f64_e32 v[19:20], v[11:12], v[102:103]
	v_mul_f64_e32 v[21:22], v[13:14], v[102:103]
	v_fma_f64 v[92:93], v[4:5], v[96:97], v[110:111]
	v_fma_f64 v[94:95], v[2:3], v[96:97], -v[98:99]
	v_add_f64_e32 v[15:16], v[15:16], v[6:7]
	v_add_f64_e32 v[17:18], v[17:18], v[8:9]
	ds_load_b128 v[2:5], v1 offset:1056
	ds_load_b128 v[6:9], v1 offset:1072
	v_fma_f64 v[13:14], v[13:14], v[100:101], v[19:20]
	v_fma_f64 v[11:12], v[11:12], v[100:101], -v[21:22]
	s_wait_loadcnt_dscnt 0x201
	v_mul_f64_e32 v[96:97], v[2:3], v[106:107]
	v_mul_f64_e32 v[98:99], v[4:5], v[106:107]
	s_wait_loadcnt_dscnt 0x0
	v_mul_f64_e32 v[19:20], v[6:7], v[122:123]
	v_mul_f64_e32 v[21:22], v[8:9], v[122:123]
	v_add_f64_e32 v[15:16], v[15:16], v[94:95]
	v_add_f64_e32 v[17:18], v[17:18], v[92:93]
	v_fma_f64 v[4:5], v[4:5], v[104:105], v[96:97]
	v_fma_f64 v[1:2], v[2:3], v[104:105], -v[98:99]
	v_fma_f64 v[8:9], v[8:9], v[120:121], v[19:20]
	v_fma_f64 v[6:7], v[6:7], v[120:121], -v[21:22]
	v_add_f64_e32 v[11:12], v[15:16], v[11:12]
	v_add_f64_e32 v[13:14], v[17:18], v[13:14]
	s_delay_alu instid0(VALU_DEP_2) | instskip(NEXT) | instid1(VALU_DEP_2)
	v_add_f64_e32 v[1:2], v[11:12], v[1:2]
	v_add_f64_e32 v[3:4], v[13:14], v[4:5]
	s_delay_alu instid0(VALU_DEP_2) | instskip(NEXT) | instid1(VALU_DEP_2)
	;; [unrolled: 3-line block ×3, first 2 shown]
	v_add_f64_e64 v[1:2], v[116:117], -v[1:2]
	v_add_f64_e64 v[3:4], v[118:119], -v[3:4]
	scratch_store_b128 off, v[1:4], off offset:384
	v_cmpx_lt_u32_e32 22, v0
	s_cbranch_execz .LBB97_173
; %bb.172:
	scratch_load_b128 v[1:4], off, s35
	v_mov_b32_e32 v5, 0
	s_delay_alu instid0(VALU_DEP_1)
	v_dual_mov_b32 v6, v5 :: v_dual_mov_b32 v7, v5
	v_mov_b32_e32 v8, v5
	scratch_store_b128 off, v[5:8], off offset:368
	s_wait_loadcnt 0x0
	ds_store_b128 v10, v[1:4]
.LBB97_173:
	s_wait_alu 0xfffe
	s_or_b32 exec_lo, exec_lo, s0
	s_wait_storecnt_dscnt 0x0
	s_barrier_signal -1
	s_barrier_wait -1
	global_inv scope:SCOPE_SE
	s_clause 0x7
	scratch_load_b128 v[2:5], off, off offset:384
	scratch_load_b128 v[6:9], off, off offset:400
	;; [unrolled: 1-line block ×8, first 2 shown]
	v_mov_b32_e32 v1, 0
	s_mov_b32 s0, exec_lo
	ds_load_b128 v[104:107], v1 offset:912
	s_clause 0x1
	scratch_load_b128 v[108:111], off, off offset:512
	scratch_load_b128 v[112:115], off, off offset:368
	ds_load_b128 v[116:119], v1 offset:928
	scratch_load_b128 v[120:123], off, off offset:528
	s_wait_loadcnt_dscnt 0xa01
	v_mul_f64_e32 v[124:125], v[106:107], v[4:5]
	v_mul_f64_e32 v[4:5], v[104:105], v[4:5]
	s_delay_alu instid0(VALU_DEP_2) | instskip(NEXT) | instid1(VALU_DEP_2)
	v_fma_f64 v[130:131], v[104:105], v[2:3], -v[124:125]
	v_fma_f64 v[132:133], v[106:107], v[2:3], v[4:5]
	ds_load_b128 v[2:5], v1 offset:944
	s_wait_loadcnt_dscnt 0x901
	v_mul_f64_e32 v[128:129], v[116:117], v[8:9]
	v_mul_f64_e32 v[8:9], v[118:119], v[8:9]
	scratch_load_b128 v[104:107], off, off offset:544
	ds_load_b128 v[124:127], v1 offset:960
	s_wait_loadcnt_dscnt 0x901
	v_mul_f64_e32 v[134:135], v[2:3], v[13:14]
	v_mul_f64_e32 v[13:14], v[4:5], v[13:14]
	v_fma_f64 v[118:119], v[118:119], v[6:7], v[128:129]
	v_fma_f64 v[6:7], v[116:117], v[6:7], -v[8:9]
	v_add_f64_e32 v[8:9], 0, v[130:131]
	v_add_f64_e32 v[116:117], 0, v[132:133]
	s_wait_loadcnt_dscnt 0x800
	v_mul_f64_e32 v[128:129], v[124:125], v[17:18]
	v_mul_f64_e32 v[17:18], v[126:127], v[17:18]
	v_fma_f64 v[130:131], v[4:5], v[11:12], v[134:135]
	v_fma_f64 v[11:12], v[2:3], v[11:12], -v[13:14]
	v_add_f64_e32 v[13:14], v[8:9], v[6:7]
	v_add_f64_e32 v[116:117], v[116:117], v[118:119]
	ds_load_b128 v[2:5], v1 offset:976
	ds_load_b128 v[6:9], v1 offset:992
	v_fma_f64 v[126:127], v[126:127], v[15:16], v[128:129]
	v_fma_f64 v[15:16], v[124:125], v[15:16], -v[17:18]
	s_wait_loadcnt_dscnt 0x701
	v_mul_f64_e32 v[118:119], v[2:3], v[21:22]
	v_mul_f64_e32 v[21:22], v[4:5], v[21:22]
	s_wait_loadcnt_dscnt 0x600
	v_mul_f64_e32 v[17:18], v[6:7], v[94:95]
	v_mul_f64_e32 v[94:95], v[8:9], v[94:95]
	v_add_f64_e32 v[11:12], v[13:14], v[11:12]
	v_add_f64_e32 v[13:14], v[116:117], v[130:131]
	v_fma_f64 v[116:117], v[4:5], v[19:20], v[118:119]
	v_fma_f64 v[19:20], v[2:3], v[19:20], -v[21:22]
	v_fma_f64 v[8:9], v[8:9], v[92:93], v[17:18]
	v_fma_f64 v[6:7], v[6:7], v[92:93], -v[94:95]
	v_add_f64_e32 v[15:16], v[11:12], v[15:16]
	v_add_f64_e32 v[21:22], v[13:14], v[126:127]
	ds_load_b128 v[2:5], v1 offset:1008
	ds_load_b128 v[11:14], v1 offset:1024
	s_wait_loadcnt_dscnt 0x501
	v_mul_f64_e32 v[118:119], v[2:3], v[98:99]
	v_mul_f64_e32 v[98:99], v[4:5], v[98:99]
	v_add_f64_e32 v[15:16], v[15:16], v[19:20]
	v_add_f64_e32 v[17:18], v[21:22], v[116:117]
	s_wait_loadcnt_dscnt 0x400
	v_mul_f64_e32 v[19:20], v[11:12], v[102:103]
	v_mul_f64_e32 v[21:22], v[13:14], v[102:103]
	v_fma_f64 v[92:93], v[4:5], v[96:97], v[118:119]
	v_fma_f64 v[94:95], v[2:3], v[96:97], -v[98:99]
	v_add_f64_e32 v[15:16], v[15:16], v[6:7]
	v_add_f64_e32 v[17:18], v[17:18], v[8:9]
	ds_load_b128 v[2:5], v1 offset:1040
	ds_load_b128 v[6:9], v1 offset:1056
	v_fma_f64 v[13:14], v[13:14], v[100:101], v[19:20]
	v_fma_f64 v[11:12], v[11:12], v[100:101], -v[21:22]
	s_wait_loadcnt_dscnt 0x301
	v_mul_f64_e32 v[96:97], v[2:3], v[110:111]
	v_mul_f64_e32 v[98:99], v[4:5], v[110:111]
	s_wait_loadcnt_dscnt 0x100
	v_mul_f64_e32 v[19:20], v[6:7], v[122:123]
	v_mul_f64_e32 v[21:22], v[8:9], v[122:123]
	v_add_f64_e32 v[15:16], v[15:16], v[94:95]
	v_add_f64_e32 v[17:18], v[17:18], v[92:93]
	v_fma_f64 v[92:93], v[4:5], v[108:109], v[96:97]
	v_fma_f64 v[94:95], v[2:3], v[108:109], -v[98:99]
	ds_load_b128 v[2:5], v1 offset:1072
	v_fma_f64 v[8:9], v[8:9], v[120:121], v[19:20]
	v_fma_f64 v[6:7], v[6:7], v[120:121], -v[21:22]
	v_add_f64_e32 v[11:12], v[15:16], v[11:12]
	v_add_f64_e32 v[13:14], v[17:18], v[13:14]
	s_wait_loadcnt_dscnt 0x0
	v_mul_f64_e32 v[15:16], v[2:3], v[106:107]
	v_mul_f64_e32 v[17:18], v[4:5], v[106:107]
	s_delay_alu instid0(VALU_DEP_4) | instskip(NEXT) | instid1(VALU_DEP_4)
	v_add_f64_e32 v[11:12], v[11:12], v[94:95]
	v_add_f64_e32 v[13:14], v[13:14], v[92:93]
	s_delay_alu instid0(VALU_DEP_4) | instskip(NEXT) | instid1(VALU_DEP_4)
	v_fma_f64 v[4:5], v[4:5], v[104:105], v[15:16]
	v_fma_f64 v[2:3], v[2:3], v[104:105], -v[17:18]
	s_delay_alu instid0(VALU_DEP_4) | instskip(NEXT) | instid1(VALU_DEP_4)
	v_add_f64_e32 v[6:7], v[11:12], v[6:7]
	v_add_f64_e32 v[8:9], v[13:14], v[8:9]
	s_delay_alu instid0(VALU_DEP_2) | instskip(NEXT) | instid1(VALU_DEP_2)
	v_add_f64_e32 v[2:3], v[6:7], v[2:3]
	v_add_f64_e32 v[4:5], v[8:9], v[4:5]
	s_delay_alu instid0(VALU_DEP_2) | instskip(NEXT) | instid1(VALU_DEP_2)
	v_add_f64_e64 v[2:3], v[112:113], -v[2:3]
	v_add_f64_e64 v[4:5], v[114:115], -v[4:5]
	scratch_store_b128 off, v[2:5], off offset:368
	v_cmpx_lt_u32_e32 21, v0
	s_cbranch_execz .LBB97_175
; %bb.174:
	scratch_load_b128 v[5:8], off, s17
	v_dual_mov_b32 v2, v1 :: v_dual_mov_b32 v3, v1
	v_mov_b32_e32 v4, v1
	scratch_store_b128 off, v[1:4], off offset:352
	s_wait_loadcnt 0x0
	ds_store_b128 v10, v[5:8]
.LBB97_175:
	s_wait_alu 0xfffe
	s_or_b32 exec_lo, exec_lo, s0
	s_wait_storecnt_dscnt 0x0
	s_barrier_signal -1
	s_barrier_wait -1
	global_inv scope:SCOPE_SE
	s_clause 0x8
	scratch_load_b128 v[2:5], off, off offset:368
	scratch_load_b128 v[6:9], off, off offset:384
	;; [unrolled: 1-line block ×9, first 2 shown]
	ds_load_b128 v[108:111], v1 offset:896
	ds_load_b128 v[112:115], v1 offset:912
	s_clause 0x1
	scratch_load_b128 v[116:119], off, off offset:352
	scratch_load_b128 v[120:123], off, off offset:512
	s_mov_b32 s0, exec_lo
	s_wait_loadcnt_dscnt 0xa01
	v_mul_f64_e32 v[124:125], v[110:111], v[4:5]
	v_mul_f64_e32 v[4:5], v[108:109], v[4:5]
	s_wait_loadcnt_dscnt 0x900
	v_mul_f64_e32 v[128:129], v[112:113], v[8:9]
	v_mul_f64_e32 v[8:9], v[114:115], v[8:9]
	s_delay_alu instid0(VALU_DEP_4) | instskip(NEXT) | instid1(VALU_DEP_4)
	v_fma_f64 v[130:131], v[108:109], v[2:3], -v[124:125]
	v_fma_f64 v[132:133], v[110:111], v[2:3], v[4:5]
	ds_load_b128 v[2:5], v1 offset:928
	ds_load_b128 v[124:127], v1 offset:944
	scratch_load_b128 v[108:111], off, off offset:528
	v_fma_f64 v[114:115], v[114:115], v[6:7], v[128:129]
	v_fma_f64 v[112:113], v[112:113], v[6:7], -v[8:9]
	scratch_load_b128 v[6:9], off, off offset:544
	s_wait_loadcnt_dscnt 0xa01
	v_mul_f64_e32 v[134:135], v[2:3], v[13:14]
	v_mul_f64_e32 v[13:14], v[4:5], v[13:14]
	v_add_f64_e32 v[128:129], 0, v[130:131]
	v_add_f64_e32 v[130:131], 0, v[132:133]
	s_wait_loadcnt_dscnt 0x900
	v_mul_f64_e32 v[132:133], v[124:125], v[17:18]
	v_mul_f64_e32 v[17:18], v[126:127], v[17:18]
	v_fma_f64 v[134:135], v[4:5], v[11:12], v[134:135]
	v_fma_f64 v[136:137], v[2:3], v[11:12], -v[13:14]
	ds_load_b128 v[2:5], v1 offset:960
	ds_load_b128 v[11:14], v1 offset:976
	v_add_f64_e32 v[112:113], v[128:129], v[112:113]
	v_add_f64_e32 v[114:115], v[130:131], v[114:115]
	v_fma_f64 v[126:127], v[126:127], v[15:16], v[132:133]
	v_fma_f64 v[15:16], v[124:125], v[15:16], -v[17:18]
	s_wait_loadcnt_dscnt 0x801
	v_mul_f64_e32 v[128:129], v[2:3], v[21:22]
	v_mul_f64_e32 v[21:22], v[4:5], v[21:22]
	v_add_f64_e32 v[17:18], v[112:113], v[136:137]
	v_add_f64_e32 v[112:113], v[114:115], v[134:135]
	s_wait_loadcnt_dscnt 0x700
	v_mul_f64_e32 v[114:115], v[11:12], v[94:95]
	v_mul_f64_e32 v[94:95], v[13:14], v[94:95]
	v_fma_f64 v[124:125], v[4:5], v[19:20], v[128:129]
	v_fma_f64 v[19:20], v[2:3], v[19:20], -v[21:22]
	v_add_f64_e32 v[21:22], v[17:18], v[15:16]
	v_add_f64_e32 v[112:113], v[112:113], v[126:127]
	ds_load_b128 v[2:5], v1 offset:992
	ds_load_b128 v[15:18], v1 offset:1008
	v_fma_f64 v[13:14], v[13:14], v[92:93], v[114:115]
	v_fma_f64 v[11:12], v[11:12], v[92:93], -v[94:95]
	s_wait_loadcnt_dscnt 0x601
	v_mul_f64_e32 v[126:127], v[2:3], v[98:99]
	v_mul_f64_e32 v[98:99], v[4:5], v[98:99]
	s_wait_loadcnt_dscnt 0x500
	v_mul_f64_e32 v[92:93], v[15:16], v[102:103]
	v_mul_f64_e32 v[94:95], v[17:18], v[102:103]
	v_add_f64_e32 v[19:20], v[21:22], v[19:20]
	v_add_f64_e32 v[21:22], v[112:113], v[124:125]
	v_fma_f64 v[102:103], v[4:5], v[96:97], v[126:127]
	v_fma_f64 v[96:97], v[2:3], v[96:97], -v[98:99]
	v_fma_f64 v[17:18], v[17:18], v[100:101], v[92:93]
	v_fma_f64 v[15:16], v[15:16], v[100:101], -v[94:95]
	v_add_f64_e32 v[19:20], v[19:20], v[11:12]
	v_add_f64_e32 v[21:22], v[21:22], v[13:14]
	ds_load_b128 v[2:5], v1 offset:1024
	ds_load_b128 v[11:14], v1 offset:1040
	s_wait_loadcnt_dscnt 0x401
	v_mul_f64_e32 v[98:99], v[2:3], v[106:107]
	v_mul_f64_e32 v[106:107], v[4:5], v[106:107]
	s_wait_loadcnt_dscnt 0x200
	v_mul_f64_e32 v[92:93], v[11:12], v[122:123]
	v_mul_f64_e32 v[94:95], v[13:14], v[122:123]
	v_add_f64_e32 v[19:20], v[19:20], v[96:97]
	v_add_f64_e32 v[21:22], v[21:22], v[102:103]
	v_fma_f64 v[96:97], v[4:5], v[104:105], v[98:99]
	v_fma_f64 v[98:99], v[2:3], v[104:105], -v[106:107]
	v_fma_f64 v[13:14], v[13:14], v[120:121], v[92:93]
	v_fma_f64 v[11:12], v[11:12], v[120:121], -v[94:95]
	v_add_f64_e32 v[19:20], v[19:20], v[15:16]
	v_add_f64_e32 v[21:22], v[21:22], v[17:18]
	ds_load_b128 v[2:5], v1 offset:1056
	ds_load_b128 v[15:18], v1 offset:1072
	s_wait_loadcnt_dscnt 0x101
	v_mul_f64_e32 v[100:101], v[2:3], v[110:111]
	v_mul_f64_e32 v[102:103], v[4:5], v[110:111]
	s_wait_loadcnt_dscnt 0x0
	v_mul_f64_e32 v[92:93], v[15:16], v[8:9]
	v_mul_f64_e32 v[8:9], v[17:18], v[8:9]
	v_add_f64_e32 v[19:20], v[19:20], v[98:99]
	v_add_f64_e32 v[21:22], v[21:22], v[96:97]
	v_fma_f64 v[4:5], v[4:5], v[108:109], v[100:101]
	v_fma_f64 v[1:2], v[2:3], v[108:109], -v[102:103]
	v_fma_f64 v[17:18], v[17:18], v[6:7], v[92:93]
	v_fma_f64 v[6:7], v[15:16], v[6:7], -v[8:9]
	v_add_f64_e32 v[11:12], v[19:20], v[11:12]
	v_add_f64_e32 v[13:14], v[21:22], v[13:14]
	s_delay_alu instid0(VALU_DEP_2) | instskip(NEXT) | instid1(VALU_DEP_2)
	v_add_f64_e32 v[1:2], v[11:12], v[1:2]
	v_add_f64_e32 v[3:4], v[13:14], v[4:5]
	s_delay_alu instid0(VALU_DEP_2) | instskip(NEXT) | instid1(VALU_DEP_2)
	;; [unrolled: 3-line block ×3, first 2 shown]
	v_add_f64_e64 v[1:2], v[116:117], -v[1:2]
	v_add_f64_e64 v[3:4], v[118:119], -v[3:4]
	scratch_store_b128 off, v[1:4], off offset:352
	v_cmpx_lt_u32_e32 20, v0
	s_cbranch_execz .LBB97_177
; %bb.176:
	scratch_load_b128 v[1:4], off, s34
	v_mov_b32_e32 v5, 0
	s_delay_alu instid0(VALU_DEP_1)
	v_dual_mov_b32 v6, v5 :: v_dual_mov_b32 v7, v5
	v_mov_b32_e32 v8, v5
	scratch_store_b128 off, v[5:8], off offset:336
	s_wait_loadcnt 0x0
	ds_store_b128 v10, v[1:4]
.LBB97_177:
	s_wait_alu 0xfffe
	s_or_b32 exec_lo, exec_lo, s0
	s_wait_storecnt_dscnt 0x0
	s_barrier_signal -1
	s_barrier_wait -1
	global_inv scope:SCOPE_SE
	s_clause 0x7
	scratch_load_b128 v[2:5], off, off offset:352
	scratch_load_b128 v[6:9], off, off offset:368
	;; [unrolled: 1-line block ×8, first 2 shown]
	v_mov_b32_e32 v1, 0
	s_mov_b32 s0, exec_lo
	ds_load_b128 v[104:107], v1 offset:880
	s_clause 0x1
	scratch_load_b128 v[108:111], off, off offset:480
	scratch_load_b128 v[112:115], off, off offset:336
	ds_load_b128 v[116:119], v1 offset:896
	scratch_load_b128 v[120:123], off, off offset:496
	s_wait_loadcnt_dscnt 0xa01
	v_mul_f64_e32 v[124:125], v[106:107], v[4:5]
	v_mul_f64_e32 v[4:5], v[104:105], v[4:5]
	s_delay_alu instid0(VALU_DEP_2) | instskip(NEXT) | instid1(VALU_DEP_2)
	v_fma_f64 v[130:131], v[104:105], v[2:3], -v[124:125]
	v_fma_f64 v[132:133], v[106:107], v[2:3], v[4:5]
	ds_load_b128 v[2:5], v1 offset:912
	s_wait_loadcnt_dscnt 0x901
	v_mul_f64_e32 v[128:129], v[116:117], v[8:9]
	v_mul_f64_e32 v[8:9], v[118:119], v[8:9]
	scratch_load_b128 v[104:107], off, off offset:512
	ds_load_b128 v[124:127], v1 offset:928
	s_wait_loadcnt_dscnt 0x901
	v_mul_f64_e32 v[134:135], v[2:3], v[13:14]
	v_mul_f64_e32 v[13:14], v[4:5], v[13:14]
	v_fma_f64 v[118:119], v[118:119], v[6:7], v[128:129]
	v_fma_f64 v[116:117], v[116:117], v[6:7], -v[8:9]
	v_add_f64_e32 v[128:129], 0, v[130:131]
	v_add_f64_e32 v[130:131], 0, v[132:133]
	scratch_load_b128 v[6:9], off, off offset:528
	v_fma_f64 v[134:135], v[4:5], v[11:12], v[134:135]
	v_fma_f64 v[136:137], v[2:3], v[11:12], -v[13:14]
	ds_load_b128 v[2:5], v1 offset:944
	s_wait_loadcnt_dscnt 0x901
	v_mul_f64_e32 v[132:133], v[124:125], v[17:18]
	v_mul_f64_e32 v[17:18], v[126:127], v[17:18]
	scratch_load_b128 v[11:14], off, off offset:544
	v_add_f64_e32 v[128:129], v[128:129], v[116:117]
	v_add_f64_e32 v[130:131], v[130:131], v[118:119]
	s_wait_loadcnt_dscnt 0x900
	v_mul_f64_e32 v[138:139], v[2:3], v[21:22]
	v_mul_f64_e32 v[21:22], v[4:5], v[21:22]
	ds_load_b128 v[116:119], v1 offset:960
	v_fma_f64 v[126:127], v[126:127], v[15:16], v[132:133]
	v_fma_f64 v[15:16], v[124:125], v[15:16], -v[17:18]
	v_add_f64_e32 v[17:18], v[128:129], v[136:137]
	v_add_f64_e32 v[124:125], v[130:131], v[134:135]
	s_wait_loadcnt_dscnt 0x800
	v_mul_f64_e32 v[128:129], v[116:117], v[94:95]
	v_mul_f64_e32 v[94:95], v[118:119], v[94:95]
	v_fma_f64 v[130:131], v[4:5], v[19:20], v[138:139]
	v_fma_f64 v[19:20], v[2:3], v[19:20], -v[21:22]
	v_add_f64_e32 v[21:22], v[17:18], v[15:16]
	v_add_f64_e32 v[124:125], v[124:125], v[126:127]
	ds_load_b128 v[2:5], v1 offset:976
	ds_load_b128 v[15:18], v1 offset:992
	v_fma_f64 v[118:119], v[118:119], v[92:93], v[128:129]
	v_fma_f64 v[92:93], v[116:117], v[92:93], -v[94:95]
	s_wait_loadcnt_dscnt 0x701
	v_mul_f64_e32 v[126:127], v[2:3], v[98:99]
	v_mul_f64_e32 v[98:99], v[4:5], v[98:99]
	s_wait_loadcnt_dscnt 0x600
	v_mul_f64_e32 v[94:95], v[15:16], v[102:103]
	v_mul_f64_e32 v[102:103], v[17:18], v[102:103]
	v_add_f64_e32 v[19:20], v[21:22], v[19:20]
	v_add_f64_e32 v[21:22], v[124:125], v[130:131]
	v_fma_f64 v[116:117], v[4:5], v[96:97], v[126:127]
	v_fma_f64 v[96:97], v[2:3], v[96:97], -v[98:99]
	v_fma_f64 v[17:18], v[17:18], v[100:101], v[94:95]
	v_fma_f64 v[15:16], v[15:16], v[100:101], -v[102:103]
	v_add_f64_e32 v[92:93], v[19:20], v[92:93]
	v_add_f64_e32 v[98:99], v[21:22], v[118:119]
	ds_load_b128 v[2:5], v1 offset:1008
	ds_load_b128 v[19:22], v1 offset:1024
	s_wait_loadcnt_dscnt 0x501
	v_mul_f64_e32 v[118:119], v[2:3], v[110:111]
	v_mul_f64_e32 v[110:111], v[4:5], v[110:111]
	v_add_f64_e32 v[92:93], v[92:93], v[96:97]
	v_add_f64_e32 v[94:95], v[98:99], v[116:117]
	s_wait_loadcnt_dscnt 0x300
	v_mul_f64_e32 v[96:97], v[19:20], v[122:123]
	v_mul_f64_e32 v[98:99], v[21:22], v[122:123]
	v_fma_f64 v[100:101], v[4:5], v[108:109], v[118:119]
	v_fma_f64 v[102:103], v[2:3], v[108:109], -v[110:111]
	v_add_f64_e32 v[92:93], v[92:93], v[15:16]
	v_add_f64_e32 v[94:95], v[94:95], v[17:18]
	ds_load_b128 v[2:5], v1 offset:1040
	ds_load_b128 v[15:18], v1 offset:1056
	v_fma_f64 v[21:22], v[21:22], v[120:121], v[96:97]
	v_fma_f64 v[19:20], v[19:20], v[120:121], -v[98:99]
	s_wait_loadcnt_dscnt 0x201
	v_mul_f64_e32 v[108:109], v[2:3], v[106:107]
	v_mul_f64_e32 v[106:107], v[4:5], v[106:107]
	v_add_f64_e32 v[92:93], v[92:93], v[102:103]
	v_add_f64_e32 v[94:95], v[94:95], v[100:101]
	s_wait_loadcnt_dscnt 0x100
	v_mul_f64_e32 v[96:97], v[15:16], v[8:9]
	v_mul_f64_e32 v[8:9], v[17:18], v[8:9]
	v_fma_f64 v[98:99], v[4:5], v[104:105], v[108:109]
	v_fma_f64 v[100:101], v[2:3], v[104:105], -v[106:107]
	ds_load_b128 v[2:5], v1 offset:1072
	v_add_f64_e32 v[19:20], v[92:93], v[19:20]
	v_add_f64_e32 v[21:22], v[94:95], v[21:22]
	s_wait_loadcnt_dscnt 0x0
	v_mul_f64_e32 v[92:93], v[2:3], v[13:14]
	v_mul_f64_e32 v[13:14], v[4:5], v[13:14]
	v_fma_f64 v[17:18], v[17:18], v[6:7], v[96:97]
	v_fma_f64 v[6:7], v[15:16], v[6:7], -v[8:9]
	v_add_f64_e32 v[8:9], v[19:20], v[100:101]
	v_add_f64_e32 v[15:16], v[21:22], v[98:99]
	v_fma_f64 v[4:5], v[4:5], v[11:12], v[92:93]
	v_fma_f64 v[2:3], v[2:3], v[11:12], -v[13:14]
	s_delay_alu instid0(VALU_DEP_4) | instskip(NEXT) | instid1(VALU_DEP_4)
	v_add_f64_e32 v[6:7], v[8:9], v[6:7]
	v_add_f64_e32 v[8:9], v[15:16], v[17:18]
	s_delay_alu instid0(VALU_DEP_2) | instskip(NEXT) | instid1(VALU_DEP_2)
	v_add_f64_e32 v[2:3], v[6:7], v[2:3]
	v_add_f64_e32 v[4:5], v[8:9], v[4:5]
	s_delay_alu instid0(VALU_DEP_2) | instskip(NEXT) | instid1(VALU_DEP_2)
	v_add_f64_e64 v[2:3], v[112:113], -v[2:3]
	v_add_f64_e64 v[4:5], v[114:115], -v[4:5]
	scratch_store_b128 off, v[2:5], off offset:336
	v_cmpx_lt_u32_e32 19, v0
	s_cbranch_execz .LBB97_179
; %bb.178:
	scratch_load_b128 v[5:8], off, s16
	v_dual_mov_b32 v2, v1 :: v_dual_mov_b32 v3, v1
	v_mov_b32_e32 v4, v1
	scratch_store_b128 off, v[1:4], off offset:320
	s_wait_loadcnt 0x0
	ds_store_b128 v10, v[5:8]
.LBB97_179:
	s_wait_alu 0xfffe
	s_or_b32 exec_lo, exec_lo, s0
	s_wait_storecnt_dscnt 0x0
	s_barrier_signal -1
	s_barrier_wait -1
	global_inv scope:SCOPE_SE
	s_clause 0x8
	scratch_load_b128 v[2:5], off, off offset:336
	scratch_load_b128 v[6:9], off, off offset:352
	;; [unrolled: 1-line block ×9, first 2 shown]
	ds_load_b128 v[108:111], v1 offset:864
	ds_load_b128 v[112:115], v1 offset:880
	s_clause 0x1
	scratch_load_b128 v[116:119], off, off offset:320
	scratch_load_b128 v[120:123], off, off offset:480
	s_mov_b32 s0, exec_lo
	s_wait_loadcnt_dscnt 0xa01
	v_mul_f64_e32 v[124:125], v[110:111], v[4:5]
	v_mul_f64_e32 v[4:5], v[108:109], v[4:5]
	s_wait_loadcnt_dscnt 0x900
	v_mul_f64_e32 v[128:129], v[112:113], v[8:9]
	v_mul_f64_e32 v[8:9], v[114:115], v[8:9]
	s_delay_alu instid0(VALU_DEP_4) | instskip(NEXT) | instid1(VALU_DEP_4)
	v_fma_f64 v[130:131], v[108:109], v[2:3], -v[124:125]
	v_fma_f64 v[132:133], v[110:111], v[2:3], v[4:5]
	ds_load_b128 v[2:5], v1 offset:896
	ds_load_b128 v[124:127], v1 offset:912
	scratch_load_b128 v[108:111], off, off offset:496
	v_fma_f64 v[114:115], v[114:115], v[6:7], v[128:129]
	v_fma_f64 v[112:113], v[112:113], v[6:7], -v[8:9]
	scratch_load_b128 v[6:9], off, off offset:512
	s_wait_loadcnt_dscnt 0xa01
	v_mul_f64_e32 v[134:135], v[2:3], v[13:14]
	v_mul_f64_e32 v[13:14], v[4:5], v[13:14]
	v_add_f64_e32 v[128:129], 0, v[130:131]
	v_add_f64_e32 v[130:131], 0, v[132:133]
	s_wait_loadcnt_dscnt 0x900
	v_mul_f64_e32 v[132:133], v[124:125], v[17:18]
	v_mul_f64_e32 v[17:18], v[126:127], v[17:18]
	v_fma_f64 v[134:135], v[4:5], v[11:12], v[134:135]
	v_fma_f64 v[136:137], v[2:3], v[11:12], -v[13:14]
	ds_load_b128 v[2:5], v1 offset:928
	scratch_load_b128 v[11:14], off, off offset:528
	v_add_f64_e32 v[128:129], v[128:129], v[112:113]
	v_add_f64_e32 v[130:131], v[130:131], v[114:115]
	ds_load_b128 v[112:115], v1 offset:944
	v_fma_f64 v[126:127], v[126:127], v[15:16], v[132:133]
	v_fma_f64 v[124:125], v[124:125], v[15:16], -v[17:18]
	scratch_load_b128 v[15:18], off, off offset:544
	s_wait_loadcnt_dscnt 0xa01
	v_mul_f64_e32 v[138:139], v[2:3], v[21:22]
	v_mul_f64_e32 v[21:22], v[4:5], v[21:22]
	s_wait_loadcnt_dscnt 0x900
	v_mul_f64_e32 v[132:133], v[112:113], v[94:95]
	v_mul_f64_e32 v[94:95], v[114:115], v[94:95]
	v_add_f64_e32 v[128:129], v[128:129], v[136:137]
	v_add_f64_e32 v[130:131], v[130:131], v[134:135]
	v_fma_f64 v[134:135], v[4:5], v[19:20], v[138:139]
	v_fma_f64 v[136:137], v[2:3], v[19:20], -v[21:22]
	ds_load_b128 v[2:5], v1 offset:960
	ds_load_b128 v[19:22], v1 offset:976
	v_fma_f64 v[114:115], v[114:115], v[92:93], v[132:133]
	v_fma_f64 v[92:93], v[112:113], v[92:93], -v[94:95]
	v_add_f64_e32 v[124:125], v[128:129], v[124:125]
	v_add_f64_e32 v[126:127], v[130:131], v[126:127]
	s_wait_loadcnt_dscnt 0x801
	v_mul_f64_e32 v[128:129], v[2:3], v[98:99]
	v_mul_f64_e32 v[98:99], v[4:5], v[98:99]
	s_delay_alu instid0(VALU_DEP_4) | instskip(NEXT) | instid1(VALU_DEP_4)
	v_add_f64_e32 v[94:95], v[124:125], v[136:137]
	v_add_f64_e32 v[112:113], v[126:127], v[134:135]
	s_wait_loadcnt_dscnt 0x700
	v_mul_f64_e32 v[124:125], v[19:20], v[102:103]
	v_mul_f64_e32 v[102:103], v[21:22], v[102:103]
	v_fma_f64 v[126:127], v[4:5], v[96:97], v[128:129]
	v_fma_f64 v[96:97], v[2:3], v[96:97], -v[98:99]
	v_add_f64_e32 v[98:99], v[94:95], v[92:93]
	v_add_f64_e32 v[112:113], v[112:113], v[114:115]
	ds_load_b128 v[2:5], v1 offset:992
	ds_load_b128 v[92:95], v1 offset:1008
	v_fma_f64 v[21:22], v[21:22], v[100:101], v[124:125]
	v_fma_f64 v[19:20], v[19:20], v[100:101], -v[102:103]
	s_wait_loadcnt_dscnt 0x601
	v_mul_f64_e32 v[114:115], v[2:3], v[106:107]
	v_mul_f64_e32 v[106:107], v[4:5], v[106:107]
	s_wait_loadcnt_dscnt 0x400
	v_mul_f64_e32 v[100:101], v[92:93], v[122:123]
	v_mul_f64_e32 v[102:103], v[94:95], v[122:123]
	v_add_f64_e32 v[96:97], v[98:99], v[96:97]
	v_add_f64_e32 v[98:99], v[112:113], v[126:127]
	v_fma_f64 v[112:113], v[4:5], v[104:105], v[114:115]
	v_fma_f64 v[104:105], v[2:3], v[104:105], -v[106:107]
	v_fma_f64 v[94:95], v[94:95], v[120:121], v[100:101]
	v_fma_f64 v[92:93], v[92:93], v[120:121], -v[102:103]
	v_add_f64_e32 v[96:97], v[96:97], v[19:20]
	v_add_f64_e32 v[98:99], v[98:99], v[21:22]
	ds_load_b128 v[2:5], v1 offset:1024
	ds_load_b128 v[19:22], v1 offset:1040
	s_wait_loadcnt_dscnt 0x301
	v_mul_f64_e32 v[106:107], v[2:3], v[110:111]
	v_mul_f64_e32 v[110:111], v[4:5], v[110:111]
	s_wait_loadcnt_dscnt 0x200
	v_mul_f64_e32 v[100:101], v[19:20], v[8:9]
	v_mul_f64_e32 v[8:9], v[21:22], v[8:9]
	v_add_f64_e32 v[96:97], v[96:97], v[104:105]
	v_add_f64_e32 v[98:99], v[98:99], v[112:113]
	v_fma_f64 v[102:103], v[4:5], v[108:109], v[106:107]
	v_fma_f64 v[104:105], v[2:3], v[108:109], -v[110:111]
	v_fma_f64 v[21:22], v[21:22], v[6:7], v[100:101]
	v_fma_f64 v[6:7], v[19:20], v[6:7], -v[8:9]
	v_add_f64_e32 v[96:97], v[96:97], v[92:93]
	v_add_f64_e32 v[98:99], v[98:99], v[94:95]
	ds_load_b128 v[2:5], v1 offset:1056
	ds_load_b128 v[92:95], v1 offset:1072
	s_wait_loadcnt_dscnt 0x101
	v_mul_f64_e32 v[106:107], v[2:3], v[13:14]
	v_mul_f64_e32 v[13:14], v[4:5], v[13:14]
	v_add_f64_e32 v[8:9], v[96:97], v[104:105]
	v_add_f64_e32 v[19:20], v[98:99], v[102:103]
	s_wait_loadcnt_dscnt 0x0
	v_mul_f64_e32 v[96:97], v[92:93], v[17:18]
	v_mul_f64_e32 v[17:18], v[94:95], v[17:18]
	v_fma_f64 v[4:5], v[4:5], v[11:12], v[106:107]
	v_fma_f64 v[1:2], v[2:3], v[11:12], -v[13:14]
	v_add_f64_e32 v[6:7], v[8:9], v[6:7]
	v_add_f64_e32 v[8:9], v[19:20], v[21:22]
	v_fma_f64 v[11:12], v[94:95], v[15:16], v[96:97]
	v_fma_f64 v[13:14], v[92:93], v[15:16], -v[17:18]
	s_delay_alu instid0(VALU_DEP_4) | instskip(NEXT) | instid1(VALU_DEP_4)
	v_add_f64_e32 v[1:2], v[6:7], v[1:2]
	v_add_f64_e32 v[3:4], v[8:9], v[4:5]
	s_delay_alu instid0(VALU_DEP_2) | instskip(NEXT) | instid1(VALU_DEP_2)
	v_add_f64_e32 v[1:2], v[1:2], v[13:14]
	v_add_f64_e32 v[3:4], v[3:4], v[11:12]
	s_delay_alu instid0(VALU_DEP_2) | instskip(NEXT) | instid1(VALU_DEP_2)
	v_add_f64_e64 v[1:2], v[116:117], -v[1:2]
	v_add_f64_e64 v[3:4], v[118:119], -v[3:4]
	scratch_store_b128 off, v[1:4], off offset:320
	v_cmpx_lt_u32_e32 18, v0
	s_cbranch_execz .LBB97_181
; %bb.180:
	scratch_load_b128 v[1:4], off, s33
	v_mov_b32_e32 v5, 0
	s_delay_alu instid0(VALU_DEP_1)
	v_dual_mov_b32 v6, v5 :: v_dual_mov_b32 v7, v5
	v_mov_b32_e32 v8, v5
	scratch_store_b128 off, v[5:8], off offset:304
	s_wait_loadcnt 0x0
	ds_store_b128 v10, v[1:4]
.LBB97_181:
	s_wait_alu 0xfffe
	s_or_b32 exec_lo, exec_lo, s0
	s_wait_storecnt_dscnt 0x0
	s_barrier_signal -1
	s_barrier_wait -1
	global_inv scope:SCOPE_SE
	s_clause 0x7
	scratch_load_b128 v[2:5], off, off offset:320
	scratch_load_b128 v[6:9], off, off offset:336
	;; [unrolled: 1-line block ×8, first 2 shown]
	v_mov_b32_e32 v1, 0
	s_mov_b32 s0, exec_lo
	ds_load_b128 v[104:107], v1 offset:848
	s_clause 0x1
	scratch_load_b128 v[108:111], off, off offset:448
	scratch_load_b128 v[112:115], off, off offset:304
	ds_load_b128 v[116:119], v1 offset:864
	scratch_load_b128 v[120:123], off, off offset:464
	s_wait_loadcnt_dscnt 0xa01
	v_mul_f64_e32 v[124:125], v[106:107], v[4:5]
	v_mul_f64_e32 v[4:5], v[104:105], v[4:5]
	s_delay_alu instid0(VALU_DEP_2) | instskip(NEXT) | instid1(VALU_DEP_2)
	v_fma_f64 v[130:131], v[104:105], v[2:3], -v[124:125]
	v_fma_f64 v[132:133], v[106:107], v[2:3], v[4:5]
	ds_load_b128 v[2:5], v1 offset:880
	s_wait_loadcnt_dscnt 0x901
	v_mul_f64_e32 v[128:129], v[116:117], v[8:9]
	v_mul_f64_e32 v[8:9], v[118:119], v[8:9]
	scratch_load_b128 v[104:107], off, off offset:480
	ds_load_b128 v[124:127], v1 offset:896
	s_wait_loadcnt_dscnt 0x901
	v_mul_f64_e32 v[134:135], v[2:3], v[13:14]
	v_mul_f64_e32 v[13:14], v[4:5], v[13:14]
	v_fma_f64 v[118:119], v[118:119], v[6:7], v[128:129]
	v_fma_f64 v[116:117], v[116:117], v[6:7], -v[8:9]
	v_add_f64_e32 v[128:129], 0, v[130:131]
	v_add_f64_e32 v[130:131], 0, v[132:133]
	scratch_load_b128 v[6:9], off, off offset:496
	v_fma_f64 v[134:135], v[4:5], v[11:12], v[134:135]
	v_fma_f64 v[136:137], v[2:3], v[11:12], -v[13:14]
	ds_load_b128 v[2:5], v1 offset:912
	s_wait_loadcnt_dscnt 0x901
	v_mul_f64_e32 v[132:133], v[124:125], v[17:18]
	v_mul_f64_e32 v[17:18], v[126:127], v[17:18]
	scratch_load_b128 v[11:14], off, off offset:512
	v_add_f64_e32 v[128:129], v[128:129], v[116:117]
	v_add_f64_e32 v[130:131], v[130:131], v[118:119]
	s_wait_loadcnt_dscnt 0x900
	v_mul_f64_e32 v[138:139], v[2:3], v[21:22]
	v_mul_f64_e32 v[21:22], v[4:5], v[21:22]
	ds_load_b128 v[116:119], v1 offset:928
	v_fma_f64 v[126:127], v[126:127], v[15:16], v[132:133]
	v_fma_f64 v[124:125], v[124:125], v[15:16], -v[17:18]
	scratch_load_b128 v[15:18], off, off offset:528
	v_add_f64_e32 v[128:129], v[128:129], v[136:137]
	v_add_f64_e32 v[130:131], v[130:131], v[134:135]
	v_fma_f64 v[134:135], v[4:5], v[19:20], v[138:139]
	v_fma_f64 v[136:137], v[2:3], v[19:20], -v[21:22]
	ds_load_b128 v[2:5], v1 offset:944
	s_wait_loadcnt_dscnt 0x901
	v_mul_f64_e32 v[132:133], v[116:117], v[94:95]
	v_mul_f64_e32 v[94:95], v[118:119], v[94:95]
	scratch_load_b128 v[19:22], off, off offset:544
	s_wait_loadcnt_dscnt 0x900
	v_mul_f64_e32 v[138:139], v[2:3], v[98:99]
	v_mul_f64_e32 v[98:99], v[4:5], v[98:99]
	v_add_f64_e32 v[128:129], v[128:129], v[124:125]
	v_add_f64_e32 v[130:131], v[130:131], v[126:127]
	ds_load_b128 v[124:127], v1 offset:960
	v_fma_f64 v[118:119], v[118:119], v[92:93], v[132:133]
	v_fma_f64 v[92:93], v[116:117], v[92:93], -v[94:95]
	v_add_f64_e32 v[94:95], v[128:129], v[136:137]
	v_add_f64_e32 v[116:117], v[130:131], v[134:135]
	s_wait_loadcnt_dscnt 0x800
	v_mul_f64_e32 v[128:129], v[124:125], v[102:103]
	v_mul_f64_e32 v[102:103], v[126:127], v[102:103]
	v_fma_f64 v[130:131], v[4:5], v[96:97], v[138:139]
	v_fma_f64 v[96:97], v[2:3], v[96:97], -v[98:99]
	v_add_f64_e32 v[98:99], v[94:95], v[92:93]
	v_add_f64_e32 v[116:117], v[116:117], v[118:119]
	ds_load_b128 v[2:5], v1 offset:976
	ds_load_b128 v[92:95], v1 offset:992
	v_fma_f64 v[126:127], v[126:127], v[100:101], v[128:129]
	v_fma_f64 v[100:101], v[124:125], v[100:101], -v[102:103]
	s_wait_loadcnt_dscnt 0x701
	v_mul_f64_e32 v[118:119], v[2:3], v[110:111]
	v_mul_f64_e32 v[110:111], v[4:5], v[110:111]
	s_wait_loadcnt_dscnt 0x500
	v_mul_f64_e32 v[102:103], v[92:93], v[122:123]
	v_add_f64_e32 v[96:97], v[98:99], v[96:97]
	v_add_f64_e32 v[98:99], v[116:117], v[130:131]
	v_mul_f64_e32 v[116:117], v[94:95], v[122:123]
	v_fma_f64 v[118:119], v[4:5], v[108:109], v[118:119]
	v_fma_f64 v[108:109], v[2:3], v[108:109], -v[110:111]
	v_fma_f64 v[94:95], v[94:95], v[120:121], v[102:103]
	v_add_f64_e32 v[100:101], v[96:97], v[100:101]
	v_add_f64_e32 v[110:111], v[98:99], v[126:127]
	ds_load_b128 v[2:5], v1 offset:1008
	ds_load_b128 v[96:99], v1 offset:1024
	v_fma_f64 v[92:93], v[92:93], v[120:121], -v[116:117]
	s_wait_loadcnt_dscnt 0x401
	v_mul_f64_e32 v[122:123], v[2:3], v[106:107]
	v_mul_f64_e32 v[106:107], v[4:5], v[106:107]
	v_add_f64_e32 v[100:101], v[100:101], v[108:109]
	v_add_f64_e32 v[102:103], v[110:111], v[118:119]
	s_wait_loadcnt_dscnt 0x300
	v_mul_f64_e32 v[108:109], v[96:97], v[8:9]
	v_mul_f64_e32 v[8:9], v[98:99], v[8:9]
	v_fma_f64 v[110:111], v[4:5], v[104:105], v[122:123]
	v_fma_f64 v[104:105], v[2:3], v[104:105], -v[106:107]
	v_add_f64_e32 v[100:101], v[100:101], v[92:93]
	v_add_f64_e32 v[102:103], v[102:103], v[94:95]
	ds_load_b128 v[2:5], v1 offset:1040
	ds_load_b128 v[92:95], v1 offset:1056
	v_fma_f64 v[98:99], v[98:99], v[6:7], v[108:109]
	v_fma_f64 v[6:7], v[96:97], v[6:7], -v[8:9]
	s_wait_loadcnt_dscnt 0x201
	v_mul_f64_e32 v[106:107], v[2:3], v[13:14]
	v_mul_f64_e32 v[13:14], v[4:5], v[13:14]
	v_add_f64_e32 v[8:9], v[100:101], v[104:105]
	v_add_f64_e32 v[96:97], v[102:103], v[110:111]
	s_wait_loadcnt_dscnt 0x100
	v_mul_f64_e32 v[100:101], v[92:93], v[17:18]
	v_mul_f64_e32 v[17:18], v[94:95], v[17:18]
	v_fma_f64 v[102:103], v[4:5], v[11:12], v[106:107]
	v_fma_f64 v[11:12], v[2:3], v[11:12], -v[13:14]
	ds_load_b128 v[2:5], v1 offset:1072
	v_add_f64_e32 v[6:7], v[8:9], v[6:7]
	v_add_f64_e32 v[8:9], v[96:97], v[98:99]
	v_fma_f64 v[94:95], v[94:95], v[15:16], v[100:101]
	v_fma_f64 v[15:16], v[92:93], v[15:16], -v[17:18]
	s_wait_loadcnt_dscnt 0x0
	v_mul_f64_e32 v[13:14], v[2:3], v[21:22]
	v_mul_f64_e32 v[21:22], v[4:5], v[21:22]
	v_add_f64_e32 v[6:7], v[6:7], v[11:12]
	v_add_f64_e32 v[8:9], v[8:9], v[102:103]
	s_delay_alu instid0(VALU_DEP_4) | instskip(NEXT) | instid1(VALU_DEP_4)
	v_fma_f64 v[4:5], v[4:5], v[19:20], v[13:14]
	v_fma_f64 v[2:3], v[2:3], v[19:20], -v[21:22]
	s_delay_alu instid0(VALU_DEP_4) | instskip(NEXT) | instid1(VALU_DEP_4)
	v_add_f64_e32 v[6:7], v[6:7], v[15:16]
	v_add_f64_e32 v[8:9], v[8:9], v[94:95]
	s_delay_alu instid0(VALU_DEP_2) | instskip(NEXT) | instid1(VALU_DEP_2)
	v_add_f64_e32 v[2:3], v[6:7], v[2:3]
	v_add_f64_e32 v[4:5], v[8:9], v[4:5]
	s_delay_alu instid0(VALU_DEP_2) | instskip(NEXT) | instid1(VALU_DEP_2)
	v_add_f64_e64 v[2:3], v[112:113], -v[2:3]
	v_add_f64_e64 v[4:5], v[114:115], -v[4:5]
	scratch_store_b128 off, v[2:5], off offset:304
	v_cmpx_lt_u32_e32 17, v0
	s_cbranch_execz .LBB97_183
; %bb.182:
	scratch_load_b128 v[5:8], off, s15
	v_dual_mov_b32 v2, v1 :: v_dual_mov_b32 v3, v1
	v_mov_b32_e32 v4, v1
	scratch_store_b128 off, v[1:4], off offset:288
	s_wait_loadcnt 0x0
	ds_store_b128 v10, v[5:8]
.LBB97_183:
	s_wait_alu 0xfffe
	s_or_b32 exec_lo, exec_lo, s0
	s_wait_storecnt_dscnt 0x0
	s_barrier_signal -1
	s_barrier_wait -1
	global_inv scope:SCOPE_SE
	s_clause 0x8
	scratch_load_b128 v[2:5], off, off offset:304
	scratch_load_b128 v[6:9], off, off offset:320
	;; [unrolled: 1-line block ×9, first 2 shown]
	ds_load_b128 v[108:111], v1 offset:832
	ds_load_b128 v[112:115], v1 offset:848
	s_clause 0x1
	scratch_load_b128 v[116:119], off, off offset:288
	scratch_load_b128 v[120:123], off, off offset:448
	s_mov_b32 s0, exec_lo
	s_wait_loadcnt_dscnt 0xa01
	v_mul_f64_e32 v[124:125], v[110:111], v[4:5]
	v_mul_f64_e32 v[4:5], v[108:109], v[4:5]
	s_wait_loadcnt_dscnt 0x900
	v_mul_f64_e32 v[128:129], v[112:113], v[8:9]
	v_mul_f64_e32 v[8:9], v[114:115], v[8:9]
	s_delay_alu instid0(VALU_DEP_4) | instskip(NEXT) | instid1(VALU_DEP_4)
	v_fma_f64 v[130:131], v[108:109], v[2:3], -v[124:125]
	v_fma_f64 v[132:133], v[110:111], v[2:3], v[4:5]
	ds_load_b128 v[2:5], v1 offset:864
	ds_load_b128 v[124:127], v1 offset:880
	scratch_load_b128 v[108:111], off, off offset:464
	v_fma_f64 v[114:115], v[114:115], v[6:7], v[128:129]
	v_fma_f64 v[112:113], v[112:113], v[6:7], -v[8:9]
	scratch_load_b128 v[6:9], off, off offset:480
	s_wait_loadcnt_dscnt 0xa01
	v_mul_f64_e32 v[134:135], v[2:3], v[13:14]
	v_mul_f64_e32 v[13:14], v[4:5], v[13:14]
	v_add_f64_e32 v[128:129], 0, v[130:131]
	v_add_f64_e32 v[130:131], 0, v[132:133]
	s_wait_loadcnt_dscnt 0x900
	v_mul_f64_e32 v[132:133], v[124:125], v[17:18]
	v_mul_f64_e32 v[17:18], v[126:127], v[17:18]
	v_fma_f64 v[134:135], v[4:5], v[11:12], v[134:135]
	v_fma_f64 v[136:137], v[2:3], v[11:12], -v[13:14]
	ds_load_b128 v[2:5], v1 offset:896
	scratch_load_b128 v[11:14], off, off offset:496
	v_add_f64_e32 v[128:129], v[128:129], v[112:113]
	v_add_f64_e32 v[130:131], v[130:131], v[114:115]
	ds_load_b128 v[112:115], v1 offset:912
	v_fma_f64 v[126:127], v[126:127], v[15:16], v[132:133]
	v_fma_f64 v[124:125], v[124:125], v[15:16], -v[17:18]
	scratch_load_b128 v[15:18], off, off offset:512
	s_wait_loadcnt_dscnt 0xa01
	v_mul_f64_e32 v[138:139], v[2:3], v[21:22]
	v_mul_f64_e32 v[21:22], v[4:5], v[21:22]
	s_wait_loadcnt_dscnt 0x900
	v_mul_f64_e32 v[132:133], v[112:113], v[94:95]
	v_mul_f64_e32 v[94:95], v[114:115], v[94:95]
	v_add_f64_e32 v[128:129], v[128:129], v[136:137]
	v_add_f64_e32 v[130:131], v[130:131], v[134:135]
	v_fma_f64 v[134:135], v[4:5], v[19:20], v[138:139]
	v_fma_f64 v[136:137], v[2:3], v[19:20], -v[21:22]
	ds_load_b128 v[2:5], v1 offset:928
	scratch_load_b128 v[19:22], off, off offset:528
	v_fma_f64 v[114:115], v[114:115], v[92:93], v[132:133]
	v_fma_f64 v[112:113], v[112:113], v[92:93], -v[94:95]
	scratch_load_b128 v[92:95], off, off offset:544
	v_add_f64_e32 v[128:129], v[128:129], v[124:125]
	v_add_f64_e32 v[130:131], v[130:131], v[126:127]
	ds_load_b128 v[124:127], v1 offset:944
	s_wait_loadcnt_dscnt 0xa01
	v_mul_f64_e32 v[138:139], v[2:3], v[98:99]
	v_mul_f64_e32 v[98:99], v[4:5], v[98:99]
	s_wait_loadcnt_dscnt 0x900
	v_mul_f64_e32 v[132:133], v[124:125], v[102:103]
	v_mul_f64_e32 v[102:103], v[126:127], v[102:103]
	v_add_f64_e32 v[128:129], v[128:129], v[136:137]
	v_add_f64_e32 v[130:131], v[130:131], v[134:135]
	v_fma_f64 v[134:135], v[4:5], v[96:97], v[138:139]
	v_fma_f64 v[136:137], v[2:3], v[96:97], -v[98:99]
	ds_load_b128 v[2:5], v1 offset:960
	ds_load_b128 v[96:99], v1 offset:976
	v_fma_f64 v[126:127], v[126:127], v[100:101], v[132:133]
	v_fma_f64 v[100:101], v[124:125], v[100:101], -v[102:103]
	v_add_f64_e32 v[112:113], v[128:129], v[112:113]
	v_add_f64_e32 v[114:115], v[130:131], v[114:115]
	s_wait_loadcnt_dscnt 0x801
	v_mul_f64_e32 v[128:129], v[2:3], v[106:107]
	v_mul_f64_e32 v[106:107], v[4:5], v[106:107]
	s_delay_alu instid0(VALU_DEP_4) | instskip(NEXT) | instid1(VALU_DEP_4)
	v_add_f64_e32 v[102:103], v[112:113], v[136:137]
	v_add_f64_e32 v[112:113], v[114:115], v[134:135]
	s_wait_loadcnt_dscnt 0x600
	v_mul_f64_e32 v[114:115], v[96:97], v[122:123]
	v_mul_f64_e32 v[122:123], v[98:99], v[122:123]
	v_fma_f64 v[124:125], v[4:5], v[104:105], v[128:129]
	v_fma_f64 v[104:105], v[2:3], v[104:105], -v[106:107]
	v_add_f64_e32 v[106:107], v[102:103], v[100:101]
	v_add_f64_e32 v[112:113], v[112:113], v[126:127]
	ds_load_b128 v[2:5], v1 offset:992
	ds_load_b128 v[100:103], v1 offset:1008
	v_fma_f64 v[98:99], v[98:99], v[120:121], v[114:115]
	v_fma_f64 v[96:97], v[96:97], v[120:121], -v[122:123]
	s_wait_loadcnt_dscnt 0x501
	v_mul_f64_e32 v[126:127], v[2:3], v[110:111]
	v_mul_f64_e32 v[110:111], v[4:5], v[110:111]
	v_add_f64_e32 v[104:105], v[106:107], v[104:105]
	v_add_f64_e32 v[106:107], v[112:113], v[124:125]
	s_wait_loadcnt_dscnt 0x400
	v_mul_f64_e32 v[112:113], v[100:101], v[8:9]
	v_mul_f64_e32 v[8:9], v[102:103], v[8:9]
	v_fma_f64 v[114:115], v[4:5], v[108:109], v[126:127]
	v_fma_f64 v[108:109], v[2:3], v[108:109], -v[110:111]
	v_add_f64_e32 v[104:105], v[104:105], v[96:97]
	v_add_f64_e32 v[106:107], v[106:107], v[98:99]
	ds_load_b128 v[2:5], v1 offset:1024
	ds_load_b128 v[96:99], v1 offset:1040
	v_fma_f64 v[102:103], v[102:103], v[6:7], v[112:113]
	v_fma_f64 v[6:7], v[100:101], v[6:7], -v[8:9]
	s_wait_loadcnt_dscnt 0x301
	v_mul_f64_e32 v[110:111], v[2:3], v[13:14]
	v_mul_f64_e32 v[13:14], v[4:5], v[13:14]
	;; [unrolled: 16-line block ×3, first 2 shown]
	s_wait_loadcnt_dscnt 0x0
	v_mul_f64_e32 v[17:18], v[6:7], v[94:95]
	v_mul_f64_e32 v[94:95], v[8:9], v[94:95]
	v_add_f64_e32 v[11:12], v[13:14], v[11:12]
	v_add_f64_e32 v[13:14], v[100:101], v[106:107]
	v_fma_f64 v[4:5], v[4:5], v[19:20], v[102:103]
	v_fma_f64 v[1:2], v[2:3], v[19:20], -v[21:22]
	v_fma_f64 v[8:9], v[8:9], v[92:93], v[17:18]
	v_fma_f64 v[6:7], v[6:7], v[92:93], -v[94:95]
	v_add_f64_e32 v[11:12], v[11:12], v[15:16]
	v_add_f64_e32 v[13:14], v[13:14], v[98:99]
	s_delay_alu instid0(VALU_DEP_2) | instskip(NEXT) | instid1(VALU_DEP_2)
	v_add_f64_e32 v[1:2], v[11:12], v[1:2]
	v_add_f64_e32 v[3:4], v[13:14], v[4:5]
	s_delay_alu instid0(VALU_DEP_2) | instskip(NEXT) | instid1(VALU_DEP_2)
	;; [unrolled: 3-line block ×3, first 2 shown]
	v_add_f64_e64 v[1:2], v[116:117], -v[1:2]
	v_add_f64_e64 v[3:4], v[118:119], -v[3:4]
	scratch_store_b128 off, v[1:4], off offset:288
	v_cmpx_lt_u32_e32 16, v0
	s_cbranch_execz .LBB97_185
; %bb.184:
	scratch_load_b128 v[1:4], off, s31
	v_mov_b32_e32 v5, 0
	s_delay_alu instid0(VALU_DEP_1)
	v_dual_mov_b32 v6, v5 :: v_dual_mov_b32 v7, v5
	v_mov_b32_e32 v8, v5
	scratch_store_b128 off, v[5:8], off offset:272
	s_wait_loadcnt 0x0
	ds_store_b128 v10, v[1:4]
.LBB97_185:
	s_wait_alu 0xfffe
	s_or_b32 exec_lo, exec_lo, s0
	s_wait_storecnt_dscnt 0x0
	s_barrier_signal -1
	s_barrier_wait -1
	global_inv scope:SCOPE_SE
	s_clause 0x7
	scratch_load_b128 v[2:5], off, off offset:288
	scratch_load_b128 v[6:9], off, off offset:304
	;; [unrolled: 1-line block ×8, first 2 shown]
	v_mov_b32_e32 v1, 0
	s_mov_b32 s0, exec_lo
	ds_load_b128 v[104:107], v1 offset:816
	s_clause 0x1
	scratch_load_b128 v[108:111], off, off offset:416
	scratch_load_b128 v[112:115], off, off offset:272
	ds_load_b128 v[116:119], v1 offset:832
	scratch_load_b128 v[120:123], off, off offset:432
	s_wait_loadcnt_dscnt 0xa01
	v_mul_f64_e32 v[124:125], v[106:107], v[4:5]
	v_mul_f64_e32 v[4:5], v[104:105], v[4:5]
	s_delay_alu instid0(VALU_DEP_2) | instskip(NEXT) | instid1(VALU_DEP_2)
	v_fma_f64 v[130:131], v[104:105], v[2:3], -v[124:125]
	v_fma_f64 v[132:133], v[106:107], v[2:3], v[4:5]
	ds_load_b128 v[2:5], v1 offset:848
	s_wait_loadcnt_dscnt 0x901
	v_mul_f64_e32 v[128:129], v[116:117], v[8:9]
	v_mul_f64_e32 v[8:9], v[118:119], v[8:9]
	scratch_load_b128 v[104:107], off, off offset:448
	ds_load_b128 v[124:127], v1 offset:864
	s_wait_loadcnt_dscnt 0x901
	v_mul_f64_e32 v[134:135], v[2:3], v[13:14]
	v_mul_f64_e32 v[13:14], v[4:5], v[13:14]
	v_fma_f64 v[118:119], v[118:119], v[6:7], v[128:129]
	v_fma_f64 v[116:117], v[116:117], v[6:7], -v[8:9]
	v_add_f64_e32 v[128:129], 0, v[130:131]
	v_add_f64_e32 v[130:131], 0, v[132:133]
	scratch_load_b128 v[6:9], off, off offset:464
	v_fma_f64 v[134:135], v[4:5], v[11:12], v[134:135]
	v_fma_f64 v[136:137], v[2:3], v[11:12], -v[13:14]
	ds_load_b128 v[2:5], v1 offset:880
	s_wait_loadcnt_dscnt 0x901
	v_mul_f64_e32 v[132:133], v[124:125], v[17:18]
	v_mul_f64_e32 v[17:18], v[126:127], v[17:18]
	scratch_load_b128 v[11:14], off, off offset:480
	v_add_f64_e32 v[128:129], v[128:129], v[116:117]
	v_add_f64_e32 v[130:131], v[130:131], v[118:119]
	s_wait_loadcnt_dscnt 0x900
	v_mul_f64_e32 v[138:139], v[2:3], v[21:22]
	v_mul_f64_e32 v[21:22], v[4:5], v[21:22]
	ds_load_b128 v[116:119], v1 offset:896
	v_fma_f64 v[126:127], v[126:127], v[15:16], v[132:133]
	v_fma_f64 v[124:125], v[124:125], v[15:16], -v[17:18]
	scratch_load_b128 v[15:18], off, off offset:496
	v_add_f64_e32 v[128:129], v[128:129], v[136:137]
	v_add_f64_e32 v[130:131], v[130:131], v[134:135]
	v_fma_f64 v[134:135], v[4:5], v[19:20], v[138:139]
	v_fma_f64 v[136:137], v[2:3], v[19:20], -v[21:22]
	ds_load_b128 v[2:5], v1 offset:912
	s_wait_loadcnt_dscnt 0x901
	v_mul_f64_e32 v[132:133], v[116:117], v[94:95]
	v_mul_f64_e32 v[94:95], v[118:119], v[94:95]
	scratch_load_b128 v[19:22], off, off offset:512
	s_wait_loadcnt_dscnt 0x900
	v_mul_f64_e32 v[138:139], v[2:3], v[98:99]
	v_mul_f64_e32 v[98:99], v[4:5], v[98:99]
	v_add_f64_e32 v[128:129], v[128:129], v[124:125]
	v_add_f64_e32 v[130:131], v[130:131], v[126:127]
	ds_load_b128 v[124:127], v1 offset:928
	v_fma_f64 v[118:119], v[118:119], v[92:93], v[132:133]
	v_fma_f64 v[116:117], v[116:117], v[92:93], -v[94:95]
	scratch_load_b128 v[92:95], off, off offset:528
	v_add_f64_e32 v[128:129], v[128:129], v[136:137]
	v_add_f64_e32 v[130:131], v[130:131], v[134:135]
	v_fma_f64 v[134:135], v[4:5], v[96:97], v[138:139]
	v_fma_f64 v[136:137], v[2:3], v[96:97], -v[98:99]
	ds_load_b128 v[2:5], v1 offset:944
	s_wait_loadcnt_dscnt 0x901
	v_mul_f64_e32 v[132:133], v[124:125], v[102:103]
	v_mul_f64_e32 v[102:103], v[126:127], v[102:103]
	scratch_load_b128 v[96:99], off, off offset:544
	s_wait_loadcnt_dscnt 0x900
	v_mul_f64_e32 v[138:139], v[2:3], v[110:111]
	v_mul_f64_e32 v[110:111], v[4:5], v[110:111]
	v_add_f64_e32 v[128:129], v[128:129], v[116:117]
	v_add_f64_e32 v[130:131], v[130:131], v[118:119]
	ds_load_b128 v[116:119], v1 offset:960
	v_fma_f64 v[126:127], v[126:127], v[100:101], v[132:133]
	v_fma_f64 v[100:101], v[124:125], v[100:101], -v[102:103]
	v_add_f64_e32 v[102:103], v[128:129], v[136:137]
	v_add_f64_e32 v[124:125], v[130:131], v[134:135]
	s_wait_loadcnt_dscnt 0x700
	v_mul_f64_e32 v[128:129], v[116:117], v[122:123]
	v_mul_f64_e32 v[122:123], v[118:119], v[122:123]
	v_fma_f64 v[130:131], v[4:5], v[108:109], v[138:139]
	v_fma_f64 v[108:109], v[2:3], v[108:109], -v[110:111]
	v_add_f64_e32 v[110:111], v[102:103], v[100:101]
	v_add_f64_e32 v[124:125], v[124:125], v[126:127]
	ds_load_b128 v[2:5], v1 offset:976
	ds_load_b128 v[100:103], v1 offset:992
	v_fma_f64 v[118:119], v[118:119], v[120:121], v[128:129]
	v_fma_f64 v[116:117], v[116:117], v[120:121], -v[122:123]
	s_wait_loadcnt_dscnt 0x601
	v_mul_f64_e32 v[126:127], v[2:3], v[106:107]
	v_mul_f64_e32 v[106:107], v[4:5], v[106:107]
	v_add_f64_e32 v[108:109], v[110:111], v[108:109]
	v_add_f64_e32 v[110:111], v[124:125], v[130:131]
	s_wait_loadcnt_dscnt 0x500
	v_mul_f64_e32 v[120:121], v[100:101], v[8:9]
	v_mul_f64_e32 v[8:9], v[102:103], v[8:9]
	v_fma_f64 v[122:123], v[4:5], v[104:105], v[126:127]
	v_fma_f64 v[124:125], v[2:3], v[104:105], -v[106:107]
	ds_load_b128 v[2:5], v1 offset:1008
	ds_load_b128 v[104:107], v1 offset:1024
	v_add_f64_e32 v[108:109], v[108:109], v[116:117]
	v_add_f64_e32 v[110:111], v[110:111], v[118:119]
	s_wait_loadcnt_dscnt 0x401
	v_mul_f64_e32 v[116:117], v[2:3], v[13:14]
	v_mul_f64_e32 v[13:14], v[4:5], v[13:14]
	v_fma_f64 v[102:103], v[102:103], v[6:7], v[120:121]
	v_fma_f64 v[6:7], v[100:101], v[6:7], -v[8:9]
	v_add_f64_e32 v[8:9], v[108:109], v[124:125]
	v_add_f64_e32 v[100:101], v[110:111], v[122:123]
	s_wait_loadcnt_dscnt 0x300
	v_mul_f64_e32 v[108:109], v[104:105], v[17:18]
	v_mul_f64_e32 v[17:18], v[106:107], v[17:18]
	v_fma_f64 v[110:111], v[4:5], v[11:12], v[116:117]
	v_fma_f64 v[11:12], v[2:3], v[11:12], -v[13:14]
	v_add_f64_e32 v[13:14], v[8:9], v[6:7]
	v_add_f64_e32 v[100:101], v[100:101], v[102:103]
	ds_load_b128 v[2:5], v1 offset:1040
	ds_load_b128 v[6:9], v1 offset:1056
	v_fma_f64 v[106:107], v[106:107], v[15:16], v[108:109]
	v_fma_f64 v[15:16], v[104:105], v[15:16], -v[17:18]
	s_wait_loadcnt_dscnt 0x201
	v_mul_f64_e32 v[102:103], v[2:3], v[21:22]
	v_mul_f64_e32 v[21:22], v[4:5], v[21:22]
	s_wait_loadcnt_dscnt 0x100
	v_mul_f64_e32 v[17:18], v[6:7], v[94:95]
	v_mul_f64_e32 v[94:95], v[8:9], v[94:95]
	v_add_f64_e32 v[11:12], v[13:14], v[11:12]
	v_add_f64_e32 v[13:14], v[100:101], v[110:111]
	v_fma_f64 v[100:101], v[4:5], v[19:20], v[102:103]
	v_fma_f64 v[19:20], v[2:3], v[19:20], -v[21:22]
	ds_load_b128 v[2:5], v1 offset:1072
	v_fma_f64 v[8:9], v[8:9], v[92:93], v[17:18]
	v_fma_f64 v[6:7], v[6:7], v[92:93], -v[94:95]
	v_add_f64_e32 v[11:12], v[11:12], v[15:16]
	v_add_f64_e32 v[13:14], v[13:14], v[106:107]
	s_wait_loadcnt_dscnt 0x0
	v_mul_f64_e32 v[15:16], v[2:3], v[98:99]
	v_mul_f64_e32 v[21:22], v[4:5], v[98:99]
	s_delay_alu instid0(VALU_DEP_4) | instskip(NEXT) | instid1(VALU_DEP_4)
	v_add_f64_e32 v[11:12], v[11:12], v[19:20]
	v_add_f64_e32 v[13:14], v[13:14], v[100:101]
	s_delay_alu instid0(VALU_DEP_4) | instskip(NEXT) | instid1(VALU_DEP_4)
	v_fma_f64 v[4:5], v[4:5], v[96:97], v[15:16]
	v_fma_f64 v[2:3], v[2:3], v[96:97], -v[21:22]
	s_delay_alu instid0(VALU_DEP_4) | instskip(NEXT) | instid1(VALU_DEP_4)
	v_add_f64_e32 v[6:7], v[11:12], v[6:7]
	v_add_f64_e32 v[8:9], v[13:14], v[8:9]
	s_delay_alu instid0(VALU_DEP_2) | instskip(NEXT) | instid1(VALU_DEP_2)
	v_add_f64_e32 v[2:3], v[6:7], v[2:3]
	v_add_f64_e32 v[4:5], v[8:9], v[4:5]
	s_delay_alu instid0(VALU_DEP_2) | instskip(NEXT) | instid1(VALU_DEP_2)
	v_add_f64_e64 v[2:3], v[112:113], -v[2:3]
	v_add_f64_e64 v[4:5], v[114:115], -v[4:5]
	scratch_store_b128 off, v[2:5], off offset:272
	v_cmpx_lt_u32_e32 15, v0
	s_cbranch_execz .LBB97_187
; %bb.186:
	scratch_load_b128 v[5:8], off, s14
	v_dual_mov_b32 v2, v1 :: v_dual_mov_b32 v3, v1
	v_mov_b32_e32 v4, v1
	scratch_store_b128 off, v[1:4], off offset:256
	s_wait_loadcnt 0x0
	ds_store_b128 v10, v[5:8]
.LBB97_187:
	s_wait_alu 0xfffe
	s_or_b32 exec_lo, exec_lo, s0
	s_wait_storecnt_dscnt 0x0
	s_barrier_signal -1
	s_barrier_wait -1
	global_inv scope:SCOPE_SE
	s_clause 0x8
	scratch_load_b128 v[2:5], off, off offset:272
	scratch_load_b128 v[6:9], off, off offset:288
	;; [unrolled: 1-line block ×9, first 2 shown]
	ds_load_b128 v[108:111], v1 offset:800
	ds_load_b128 v[112:115], v1 offset:816
	s_clause 0x1
	scratch_load_b128 v[116:119], off, off offset:256
	scratch_load_b128 v[120:123], off, off offset:416
	s_mov_b32 s0, exec_lo
	s_wait_loadcnt_dscnt 0xa01
	v_mul_f64_e32 v[124:125], v[110:111], v[4:5]
	v_mul_f64_e32 v[4:5], v[108:109], v[4:5]
	s_wait_loadcnt_dscnt 0x900
	v_mul_f64_e32 v[128:129], v[112:113], v[8:9]
	v_mul_f64_e32 v[8:9], v[114:115], v[8:9]
	s_delay_alu instid0(VALU_DEP_4) | instskip(NEXT) | instid1(VALU_DEP_4)
	v_fma_f64 v[130:131], v[108:109], v[2:3], -v[124:125]
	v_fma_f64 v[132:133], v[110:111], v[2:3], v[4:5]
	ds_load_b128 v[2:5], v1 offset:832
	ds_load_b128 v[124:127], v1 offset:848
	scratch_load_b128 v[108:111], off, off offset:432
	v_fma_f64 v[114:115], v[114:115], v[6:7], v[128:129]
	v_fma_f64 v[112:113], v[112:113], v[6:7], -v[8:9]
	scratch_load_b128 v[6:9], off, off offset:448
	s_wait_loadcnt_dscnt 0xa01
	v_mul_f64_e32 v[134:135], v[2:3], v[13:14]
	v_mul_f64_e32 v[13:14], v[4:5], v[13:14]
	v_add_f64_e32 v[128:129], 0, v[130:131]
	v_add_f64_e32 v[130:131], 0, v[132:133]
	s_wait_loadcnt_dscnt 0x900
	v_mul_f64_e32 v[132:133], v[124:125], v[17:18]
	v_mul_f64_e32 v[17:18], v[126:127], v[17:18]
	v_fma_f64 v[134:135], v[4:5], v[11:12], v[134:135]
	v_fma_f64 v[136:137], v[2:3], v[11:12], -v[13:14]
	ds_load_b128 v[2:5], v1 offset:864
	scratch_load_b128 v[11:14], off, off offset:464
	v_add_f64_e32 v[128:129], v[128:129], v[112:113]
	v_add_f64_e32 v[130:131], v[130:131], v[114:115]
	ds_load_b128 v[112:115], v1 offset:880
	v_fma_f64 v[126:127], v[126:127], v[15:16], v[132:133]
	v_fma_f64 v[124:125], v[124:125], v[15:16], -v[17:18]
	scratch_load_b128 v[15:18], off, off offset:480
	s_wait_loadcnt_dscnt 0xa01
	v_mul_f64_e32 v[138:139], v[2:3], v[21:22]
	v_mul_f64_e32 v[21:22], v[4:5], v[21:22]
	s_wait_loadcnt_dscnt 0x900
	v_mul_f64_e32 v[132:133], v[112:113], v[94:95]
	v_mul_f64_e32 v[94:95], v[114:115], v[94:95]
	v_add_f64_e32 v[128:129], v[128:129], v[136:137]
	v_add_f64_e32 v[130:131], v[130:131], v[134:135]
	v_fma_f64 v[134:135], v[4:5], v[19:20], v[138:139]
	v_fma_f64 v[136:137], v[2:3], v[19:20], -v[21:22]
	ds_load_b128 v[2:5], v1 offset:896
	scratch_load_b128 v[19:22], off, off offset:496
	v_fma_f64 v[114:115], v[114:115], v[92:93], v[132:133]
	v_fma_f64 v[112:113], v[112:113], v[92:93], -v[94:95]
	scratch_load_b128 v[92:95], off, off offset:512
	v_add_f64_e32 v[128:129], v[128:129], v[124:125]
	v_add_f64_e32 v[130:131], v[130:131], v[126:127]
	ds_load_b128 v[124:127], v1 offset:912
	s_wait_loadcnt_dscnt 0xa01
	v_mul_f64_e32 v[138:139], v[2:3], v[98:99]
	v_mul_f64_e32 v[98:99], v[4:5], v[98:99]
	s_wait_loadcnt_dscnt 0x900
	v_mul_f64_e32 v[132:133], v[124:125], v[102:103]
	v_mul_f64_e32 v[102:103], v[126:127], v[102:103]
	v_add_f64_e32 v[128:129], v[128:129], v[136:137]
	v_add_f64_e32 v[130:131], v[130:131], v[134:135]
	v_fma_f64 v[134:135], v[4:5], v[96:97], v[138:139]
	v_fma_f64 v[136:137], v[2:3], v[96:97], -v[98:99]
	ds_load_b128 v[2:5], v1 offset:928
	scratch_load_b128 v[96:99], off, off offset:528
	v_fma_f64 v[126:127], v[126:127], v[100:101], v[132:133]
	v_fma_f64 v[124:125], v[124:125], v[100:101], -v[102:103]
	scratch_load_b128 v[100:103], off, off offset:544
	v_add_f64_e32 v[128:129], v[128:129], v[112:113]
	v_add_f64_e32 v[130:131], v[130:131], v[114:115]
	ds_load_b128 v[112:115], v1 offset:944
	s_wait_loadcnt_dscnt 0xa01
	v_mul_f64_e32 v[138:139], v[2:3], v[106:107]
	v_mul_f64_e32 v[106:107], v[4:5], v[106:107]
	s_wait_loadcnt_dscnt 0x800
	v_mul_f64_e32 v[132:133], v[112:113], v[122:123]
	v_mul_f64_e32 v[122:123], v[114:115], v[122:123]
	v_add_f64_e32 v[128:129], v[128:129], v[136:137]
	v_add_f64_e32 v[130:131], v[130:131], v[134:135]
	v_fma_f64 v[134:135], v[4:5], v[104:105], v[138:139]
	v_fma_f64 v[136:137], v[2:3], v[104:105], -v[106:107]
	ds_load_b128 v[2:5], v1 offset:960
	ds_load_b128 v[104:107], v1 offset:976
	v_fma_f64 v[114:115], v[114:115], v[120:121], v[132:133]
	v_fma_f64 v[112:113], v[112:113], v[120:121], -v[122:123]
	v_add_f64_e32 v[124:125], v[128:129], v[124:125]
	v_add_f64_e32 v[126:127], v[130:131], v[126:127]
	s_wait_loadcnt_dscnt 0x701
	v_mul_f64_e32 v[128:129], v[2:3], v[110:111]
	v_mul_f64_e32 v[110:111], v[4:5], v[110:111]
	s_delay_alu instid0(VALU_DEP_4) | instskip(NEXT) | instid1(VALU_DEP_4)
	v_add_f64_e32 v[120:121], v[124:125], v[136:137]
	v_add_f64_e32 v[122:123], v[126:127], v[134:135]
	s_wait_loadcnt_dscnt 0x600
	v_mul_f64_e32 v[124:125], v[104:105], v[8:9]
	v_mul_f64_e32 v[8:9], v[106:107], v[8:9]
	v_fma_f64 v[126:127], v[4:5], v[108:109], v[128:129]
	v_fma_f64 v[128:129], v[2:3], v[108:109], -v[110:111]
	ds_load_b128 v[2:5], v1 offset:992
	ds_load_b128 v[108:111], v1 offset:1008
	v_add_f64_e32 v[112:113], v[120:121], v[112:113]
	v_add_f64_e32 v[114:115], v[122:123], v[114:115]
	v_fma_f64 v[106:107], v[106:107], v[6:7], v[124:125]
	s_wait_loadcnt_dscnt 0x501
	v_mul_f64_e32 v[120:121], v[2:3], v[13:14]
	v_mul_f64_e32 v[13:14], v[4:5], v[13:14]
	v_fma_f64 v[6:7], v[104:105], v[6:7], -v[8:9]
	v_add_f64_e32 v[8:9], v[112:113], v[128:129]
	v_add_f64_e32 v[104:105], v[114:115], v[126:127]
	s_wait_loadcnt_dscnt 0x400
	v_mul_f64_e32 v[112:113], v[108:109], v[17:18]
	v_mul_f64_e32 v[17:18], v[110:111], v[17:18]
	v_fma_f64 v[114:115], v[4:5], v[11:12], v[120:121]
	v_fma_f64 v[11:12], v[2:3], v[11:12], -v[13:14]
	v_add_f64_e32 v[13:14], v[8:9], v[6:7]
	v_add_f64_e32 v[104:105], v[104:105], v[106:107]
	ds_load_b128 v[2:5], v1 offset:1024
	ds_load_b128 v[6:9], v1 offset:1040
	v_fma_f64 v[110:111], v[110:111], v[15:16], v[112:113]
	v_fma_f64 v[15:16], v[108:109], v[15:16], -v[17:18]
	s_wait_loadcnt_dscnt 0x301
	v_mul_f64_e32 v[106:107], v[2:3], v[21:22]
	v_mul_f64_e32 v[21:22], v[4:5], v[21:22]
	s_wait_loadcnt_dscnt 0x200
	v_mul_f64_e32 v[17:18], v[6:7], v[94:95]
	v_mul_f64_e32 v[94:95], v[8:9], v[94:95]
	v_add_f64_e32 v[11:12], v[13:14], v[11:12]
	v_add_f64_e32 v[13:14], v[104:105], v[114:115]
	v_fma_f64 v[104:105], v[4:5], v[19:20], v[106:107]
	v_fma_f64 v[19:20], v[2:3], v[19:20], -v[21:22]
	v_fma_f64 v[8:9], v[8:9], v[92:93], v[17:18]
	v_fma_f64 v[6:7], v[6:7], v[92:93], -v[94:95]
	v_add_f64_e32 v[15:16], v[11:12], v[15:16]
	v_add_f64_e32 v[21:22], v[13:14], v[110:111]
	ds_load_b128 v[2:5], v1 offset:1056
	ds_load_b128 v[11:14], v1 offset:1072
	s_wait_loadcnt_dscnt 0x101
	v_mul_f64_e32 v[106:107], v[2:3], v[98:99]
	v_mul_f64_e32 v[98:99], v[4:5], v[98:99]
	v_add_f64_e32 v[15:16], v[15:16], v[19:20]
	v_add_f64_e32 v[17:18], v[21:22], v[104:105]
	s_wait_loadcnt_dscnt 0x0
	v_mul_f64_e32 v[19:20], v[11:12], v[102:103]
	v_mul_f64_e32 v[21:22], v[13:14], v[102:103]
	v_fma_f64 v[4:5], v[4:5], v[96:97], v[106:107]
	v_fma_f64 v[1:2], v[2:3], v[96:97], -v[98:99]
	v_add_f64_e32 v[6:7], v[15:16], v[6:7]
	v_add_f64_e32 v[8:9], v[17:18], v[8:9]
	v_fma_f64 v[13:14], v[13:14], v[100:101], v[19:20]
	v_fma_f64 v[11:12], v[11:12], v[100:101], -v[21:22]
	s_delay_alu instid0(VALU_DEP_4) | instskip(NEXT) | instid1(VALU_DEP_4)
	v_add_f64_e32 v[1:2], v[6:7], v[1:2]
	v_add_f64_e32 v[3:4], v[8:9], v[4:5]
	s_delay_alu instid0(VALU_DEP_2) | instskip(NEXT) | instid1(VALU_DEP_2)
	v_add_f64_e32 v[1:2], v[1:2], v[11:12]
	v_add_f64_e32 v[3:4], v[3:4], v[13:14]
	s_delay_alu instid0(VALU_DEP_2) | instskip(NEXT) | instid1(VALU_DEP_2)
	v_add_f64_e64 v[1:2], v[116:117], -v[1:2]
	v_add_f64_e64 v[3:4], v[118:119], -v[3:4]
	scratch_store_b128 off, v[1:4], off offset:256
	v_cmpx_lt_u32_e32 14, v0
	s_cbranch_execz .LBB97_189
; %bb.188:
	scratch_load_b128 v[1:4], off, s30
	v_mov_b32_e32 v5, 0
	s_delay_alu instid0(VALU_DEP_1)
	v_dual_mov_b32 v6, v5 :: v_dual_mov_b32 v7, v5
	v_mov_b32_e32 v8, v5
	scratch_store_b128 off, v[5:8], off offset:240
	s_wait_loadcnt 0x0
	ds_store_b128 v10, v[1:4]
.LBB97_189:
	s_wait_alu 0xfffe
	s_or_b32 exec_lo, exec_lo, s0
	s_wait_storecnt_dscnt 0x0
	s_barrier_signal -1
	s_barrier_wait -1
	global_inv scope:SCOPE_SE
	s_clause 0x7
	scratch_load_b128 v[2:5], off, off offset:256
	scratch_load_b128 v[6:9], off, off offset:272
	;; [unrolled: 1-line block ×8, first 2 shown]
	v_mov_b32_e32 v1, 0
	s_mov_b32 s0, exec_lo
	ds_load_b128 v[104:107], v1 offset:784
	s_clause 0x1
	scratch_load_b128 v[108:111], off, off offset:384
	scratch_load_b128 v[112:115], off, off offset:240
	ds_load_b128 v[116:119], v1 offset:800
	scratch_load_b128 v[120:123], off, off offset:400
	s_wait_loadcnt_dscnt 0xa01
	v_mul_f64_e32 v[124:125], v[106:107], v[4:5]
	v_mul_f64_e32 v[4:5], v[104:105], v[4:5]
	s_delay_alu instid0(VALU_DEP_2) | instskip(NEXT) | instid1(VALU_DEP_2)
	v_fma_f64 v[130:131], v[104:105], v[2:3], -v[124:125]
	v_fma_f64 v[132:133], v[106:107], v[2:3], v[4:5]
	ds_load_b128 v[2:5], v1 offset:816
	s_wait_loadcnt_dscnt 0x901
	v_mul_f64_e32 v[128:129], v[116:117], v[8:9]
	v_mul_f64_e32 v[8:9], v[118:119], v[8:9]
	scratch_load_b128 v[104:107], off, off offset:416
	ds_load_b128 v[124:127], v1 offset:832
	s_wait_loadcnt_dscnt 0x901
	v_mul_f64_e32 v[134:135], v[2:3], v[13:14]
	v_mul_f64_e32 v[13:14], v[4:5], v[13:14]
	v_fma_f64 v[118:119], v[118:119], v[6:7], v[128:129]
	v_fma_f64 v[116:117], v[116:117], v[6:7], -v[8:9]
	v_add_f64_e32 v[128:129], 0, v[130:131]
	v_add_f64_e32 v[130:131], 0, v[132:133]
	scratch_load_b128 v[6:9], off, off offset:432
	v_fma_f64 v[134:135], v[4:5], v[11:12], v[134:135]
	v_fma_f64 v[136:137], v[2:3], v[11:12], -v[13:14]
	ds_load_b128 v[2:5], v1 offset:848
	s_wait_loadcnt_dscnt 0x901
	v_mul_f64_e32 v[132:133], v[124:125], v[17:18]
	v_mul_f64_e32 v[17:18], v[126:127], v[17:18]
	scratch_load_b128 v[11:14], off, off offset:448
	v_add_f64_e32 v[128:129], v[128:129], v[116:117]
	v_add_f64_e32 v[130:131], v[130:131], v[118:119]
	s_wait_loadcnt_dscnt 0x900
	v_mul_f64_e32 v[138:139], v[2:3], v[21:22]
	v_mul_f64_e32 v[21:22], v[4:5], v[21:22]
	ds_load_b128 v[116:119], v1 offset:864
	v_fma_f64 v[126:127], v[126:127], v[15:16], v[132:133]
	v_fma_f64 v[124:125], v[124:125], v[15:16], -v[17:18]
	scratch_load_b128 v[15:18], off, off offset:464
	v_add_f64_e32 v[128:129], v[128:129], v[136:137]
	v_add_f64_e32 v[130:131], v[130:131], v[134:135]
	v_fma_f64 v[134:135], v[4:5], v[19:20], v[138:139]
	v_fma_f64 v[136:137], v[2:3], v[19:20], -v[21:22]
	ds_load_b128 v[2:5], v1 offset:880
	s_wait_loadcnt_dscnt 0x901
	v_mul_f64_e32 v[132:133], v[116:117], v[94:95]
	v_mul_f64_e32 v[94:95], v[118:119], v[94:95]
	scratch_load_b128 v[19:22], off, off offset:480
	s_wait_loadcnt_dscnt 0x900
	v_mul_f64_e32 v[138:139], v[2:3], v[98:99]
	v_mul_f64_e32 v[98:99], v[4:5], v[98:99]
	v_add_f64_e32 v[128:129], v[128:129], v[124:125]
	v_add_f64_e32 v[130:131], v[130:131], v[126:127]
	ds_load_b128 v[124:127], v1 offset:896
	v_fma_f64 v[118:119], v[118:119], v[92:93], v[132:133]
	v_fma_f64 v[116:117], v[116:117], v[92:93], -v[94:95]
	scratch_load_b128 v[92:95], off, off offset:496
	v_add_f64_e32 v[128:129], v[128:129], v[136:137]
	v_add_f64_e32 v[130:131], v[130:131], v[134:135]
	v_fma_f64 v[134:135], v[4:5], v[96:97], v[138:139]
	v_fma_f64 v[136:137], v[2:3], v[96:97], -v[98:99]
	ds_load_b128 v[2:5], v1 offset:912
	s_wait_loadcnt_dscnt 0x901
	v_mul_f64_e32 v[132:133], v[124:125], v[102:103]
	v_mul_f64_e32 v[102:103], v[126:127], v[102:103]
	scratch_load_b128 v[96:99], off, off offset:512
	s_wait_loadcnt_dscnt 0x900
	v_mul_f64_e32 v[138:139], v[2:3], v[110:111]
	v_mul_f64_e32 v[110:111], v[4:5], v[110:111]
	v_add_f64_e32 v[128:129], v[128:129], v[116:117]
	v_add_f64_e32 v[130:131], v[130:131], v[118:119]
	ds_load_b128 v[116:119], v1 offset:928
	v_fma_f64 v[126:127], v[126:127], v[100:101], v[132:133]
	v_fma_f64 v[124:125], v[124:125], v[100:101], -v[102:103]
	scratch_load_b128 v[100:103], off, off offset:528
	v_add_f64_e32 v[128:129], v[128:129], v[136:137]
	v_add_f64_e32 v[130:131], v[130:131], v[134:135]
	v_fma_f64 v[136:137], v[4:5], v[108:109], v[138:139]
	v_fma_f64 v[138:139], v[2:3], v[108:109], -v[110:111]
	ds_load_b128 v[2:5], v1 offset:944
	s_wait_loadcnt_dscnt 0x801
	v_mul_f64_e32 v[132:133], v[116:117], v[122:123]
	v_mul_f64_e32 v[134:135], v[118:119], v[122:123]
	scratch_load_b128 v[108:111], off, off offset:544
	v_add_f64_e32 v[128:129], v[128:129], v[124:125]
	v_add_f64_e32 v[126:127], v[130:131], v[126:127]
	ds_load_b128 v[122:125], v1 offset:960
	v_fma_f64 v[118:119], v[118:119], v[120:121], v[132:133]
	v_fma_f64 v[116:117], v[116:117], v[120:121], -v[134:135]
	s_wait_loadcnt_dscnt 0x801
	v_mul_f64_e32 v[130:131], v[2:3], v[106:107]
	v_mul_f64_e32 v[106:107], v[4:5], v[106:107]
	v_add_f64_e32 v[120:121], v[128:129], v[138:139]
	v_add_f64_e32 v[126:127], v[126:127], v[136:137]
	s_delay_alu instid0(VALU_DEP_4) | instskip(NEXT) | instid1(VALU_DEP_4)
	v_fma_f64 v[130:131], v[4:5], v[104:105], v[130:131]
	v_fma_f64 v[132:133], v[2:3], v[104:105], -v[106:107]
	s_wait_loadcnt_dscnt 0x700
	v_mul_f64_e32 v[128:129], v[122:123], v[8:9]
	v_mul_f64_e32 v[8:9], v[124:125], v[8:9]
	ds_load_b128 v[2:5], v1 offset:976
	ds_load_b128 v[104:107], v1 offset:992
	v_add_f64_e32 v[116:117], v[120:121], v[116:117]
	v_add_f64_e32 v[118:119], v[126:127], v[118:119]
	s_wait_loadcnt_dscnt 0x601
	v_mul_f64_e32 v[120:121], v[2:3], v[13:14]
	v_mul_f64_e32 v[13:14], v[4:5], v[13:14]
	v_fma_f64 v[124:125], v[124:125], v[6:7], v[128:129]
	v_fma_f64 v[6:7], v[122:123], v[6:7], -v[8:9]
	v_add_f64_e32 v[8:9], v[116:117], v[132:133]
	v_add_f64_e32 v[116:117], v[118:119], v[130:131]
	s_wait_loadcnt_dscnt 0x500
	v_mul_f64_e32 v[118:119], v[104:105], v[17:18]
	v_mul_f64_e32 v[17:18], v[106:107], v[17:18]
	v_fma_f64 v[120:121], v[4:5], v[11:12], v[120:121]
	v_fma_f64 v[11:12], v[2:3], v[11:12], -v[13:14]
	v_add_f64_e32 v[13:14], v[8:9], v[6:7]
	v_add_f64_e32 v[116:117], v[116:117], v[124:125]
	ds_load_b128 v[2:5], v1 offset:1008
	ds_load_b128 v[6:9], v1 offset:1024
	v_fma_f64 v[106:107], v[106:107], v[15:16], v[118:119]
	v_fma_f64 v[15:16], v[104:105], v[15:16], -v[17:18]
	s_wait_loadcnt_dscnt 0x401
	v_mul_f64_e32 v[122:123], v[2:3], v[21:22]
	v_mul_f64_e32 v[21:22], v[4:5], v[21:22]
	s_wait_loadcnt_dscnt 0x300
	v_mul_f64_e32 v[17:18], v[6:7], v[94:95]
	v_mul_f64_e32 v[94:95], v[8:9], v[94:95]
	v_add_f64_e32 v[11:12], v[13:14], v[11:12]
	v_add_f64_e32 v[13:14], v[116:117], v[120:121]
	v_fma_f64 v[104:105], v[4:5], v[19:20], v[122:123]
	v_fma_f64 v[19:20], v[2:3], v[19:20], -v[21:22]
	v_fma_f64 v[8:9], v[8:9], v[92:93], v[17:18]
	v_fma_f64 v[6:7], v[6:7], v[92:93], -v[94:95]
	v_add_f64_e32 v[15:16], v[11:12], v[15:16]
	v_add_f64_e32 v[21:22], v[13:14], v[106:107]
	ds_load_b128 v[2:5], v1 offset:1040
	ds_load_b128 v[11:14], v1 offset:1056
	s_wait_loadcnt_dscnt 0x201
	v_mul_f64_e32 v[106:107], v[2:3], v[98:99]
	v_mul_f64_e32 v[98:99], v[4:5], v[98:99]
	v_add_f64_e32 v[15:16], v[15:16], v[19:20]
	v_add_f64_e32 v[17:18], v[21:22], v[104:105]
	s_wait_loadcnt_dscnt 0x100
	v_mul_f64_e32 v[19:20], v[11:12], v[102:103]
	v_mul_f64_e32 v[21:22], v[13:14], v[102:103]
	v_fma_f64 v[92:93], v[4:5], v[96:97], v[106:107]
	v_fma_f64 v[94:95], v[2:3], v[96:97], -v[98:99]
	ds_load_b128 v[2:5], v1 offset:1072
	v_add_f64_e32 v[6:7], v[15:16], v[6:7]
	v_add_f64_e32 v[8:9], v[17:18], v[8:9]
	v_fma_f64 v[13:14], v[13:14], v[100:101], v[19:20]
	v_fma_f64 v[11:12], v[11:12], v[100:101], -v[21:22]
	s_wait_loadcnt_dscnt 0x0
	v_mul_f64_e32 v[15:16], v[2:3], v[110:111]
	v_mul_f64_e32 v[17:18], v[4:5], v[110:111]
	v_add_f64_e32 v[6:7], v[6:7], v[94:95]
	v_add_f64_e32 v[8:9], v[8:9], v[92:93]
	s_delay_alu instid0(VALU_DEP_4) | instskip(NEXT) | instid1(VALU_DEP_4)
	v_fma_f64 v[4:5], v[4:5], v[108:109], v[15:16]
	v_fma_f64 v[2:3], v[2:3], v[108:109], -v[17:18]
	s_delay_alu instid0(VALU_DEP_4) | instskip(NEXT) | instid1(VALU_DEP_4)
	v_add_f64_e32 v[6:7], v[6:7], v[11:12]
	v_add_f64_e32 v[8:9], v[8:9], v[13:14]
	s_delay_alu instid0(VALU_DEP_2) | instskip(NEXT) | instid1(VALU_DEP_2)
	v_add_f64_e32 v[2:3], v[6:7], v[2:3]
	v_add_f64_e32 v[4:5], v[8:9], v[4:5]
	s_delay_alu instid0(VALU_DEP_2) | instskip(NEXT) | instid1(VALU_DEP_2)
	v_add_f64_e64 v[2:3], v[112:113], -v[2:3]
	v_add_f64_e64 v[4:5], v[114:115], -v[4:5]
	scratch_store_b128 off, v[2:5], off offset:240
	v_cmpx_lt_u32_e32 13, v0
	s_cbranch_execz .LBB97_191
; %bb.190:
	scratch_load_b128 v[5:8], off, s13
	v_dual_mov_b32 v2, v1 :: v_dual_mov_b32 v3, v1
	v_mov_b32_e32 v4, v1
	scratch_store_b128 off, v[1:4], off offset:224
	s_wait_loadcnt 0x0
	ds_store_b128 v10, v[5:8]
.LBB97_191:
	s_wait_alu 0xfffe
	s_or_b32 exec_lo, exec_lo, s0
	s_wait_storecnt_dscnt 0x0
	s_barrier_signal -1
	s_barrier_wait -1
	global_inv scope:SCOPE_SE
	s_clause 0x8
	scratch_load_b128 v[2:5], off, off offset:240
	scratch_load_b128 v[6:9], off, off offset:256
	;; [unrolled: 1-line block ×9, first 2 shown]
	ds_load_b128 v[108:111], v1 offset:768
	ds_load_b128 v[112:115], v1 offset:784
	s_clause 0x1
	scratch_load_b128 v[116:119], off, off offset:224
	scratch_load_b128 v[120:123], off, off offset:384
	s_mov_b32 s0, exec_lo
	s_wait_loadcnt_dscnt 0xa01
	v_mul_f64_e32 v[124:125], v[110:111], v[4:5]
	v_mul_f64_e32 v[4:5], v[108:109], v[4:5]
	s_wait_loadcnt_dscnt 0x900
	v_mul_f64_e32 v[128:129], v[112:113], v[8:9]
	v_mul_f64_e32 v[8:9], v[114:115], v[8:9]
	s_delay_alu instid0(VALU_DEP_4) | instskip(NEXT) | instid1(VALU_DEP_4)
	v_fma_f64 v[130:131], v[108:109], v[2:3], -v[124:125]
	v_fma_f64 v[132:133], v[110:111], v[2:3], v[4:5]
	ds_load_b128 v[2:5], v1 offset:800
	ds_load_b128 v[124:127], v1 offset:816
	scratch_load_b128 v[108:111], off, off offset:400
	v_fma_f64 v[114:115], v[114:115], v[6:7], v[128:129]
	v_fma_f64 v[112:113], v[112:113], v[6:7], -v[8:9]
	scratch_load_b128 v[6:9], off, off offset:416
	s_wait_loadcnt_dscnt 0xa01
	v_mul_f64_e32 v[134:135], v[2:3], v[13:14]
	v_mul_f64_e32 v[13:14], v[4:5], v[13:14]
	v_add_f64_e32 v[128:129], 0, v[130:131]
	v_add_f64_e32 v[130:131], 0, v[132:133]
	s_wait_loadcnt_dscnt 0x900
	v_mul_f64_e32 v[132:133], v[124:125], v[17:18]
	v_mul_f64_e32 v[17:18], v[126:127], v[17:18]
	v_fma_f64 v[134:135], v[4:5], v[11:12], v[134:135]
	v_fma_f64 v[136:137], v[2:3], v[11:12], -v[13:14]
	ds_load_b128 v[2:5], v1 offset:832
	scratch_load_b128 v[11:14], off, off offset:432
	v_add_f64_e32 v[128:129], v[128:129], v[112:113]
	v_add_f64_e32 v[130:131], v[130:131], v[114:115]
	ds_load_b128 v[112:115], v1 offset:848
	v_fma_f64 v[126:127], v[126:127], v[15:16], v[132:133]
	v_fma_f64 v[124:125], v[124:125], v[15:16], -v[17:18]
	scratch_load_b128 v[15:18], off, off offset:448
	s_wait_loadcnt_dscnt 0xa01
	v_mul_f64_e32 v[138:139], v[2:3], v[21:22]
	v_mul_f64_e32 v[21:22], v[4:5], v[21:22]
	s_wait_loadcnt_dscnt 0x900
	v_mul_f64_e32 v[132:133], v[112:113], v[94:95]
	v_mul_f64_e32 v[94:95], v[114:115], v[94:95]
	v_add_f64_e32 v[128:129], v[128:129], v[136:137]
	v_add_f64_e32 v[130:131], v[130:131], v[134:135]
	v_fma_f64 v[134:135], v[4:5], v[19:20], v[138:139]
	v_fma_f64 v[136:137], v[2:3], v[19:20], -v[21:22]
	ds_load_b128 v[2:5], v1 offset:864
	scratch_load_b128 v[19:22], off, off offset:464
	v_fma_f64 v[114:115], v[114:115], v[92:93], v[132:133]
	v_fma_f64 v[112:113], v[112:113], v[92:93], -v[94:95]
	scratch_load_b128 v[92:95], off, off offset:480
	v_add_f64_e32 v[128:129], v[128:129], v[124:125]
	v_add_f64_e32 v[130:131], v[130:131], v[126:127]
	ds_load_b128 v[124:127], v1 offset:880
	s_wait_loadcnt_dscnt 0xa01
	v_mul_f64_e32 v[138:139], v[2:3], v[98:99]
	v_mul_f64_e32 v[98:99], v[4:5], v[98:99]
	s_wait_loadcnt_dscnt 0x900
	v_mul_f64_e32 v[132:133], v[124:125], v[102:103]
	v_mul_f64_e32 v[102:103], v[126:127], v[102:103]
	v_add_f64_e32 v[128:129], v[128:129], v[136:137]
	v_add_f64_e32 v[130:131], v[130:131], v[134:135]
	v_fma_f64 v[134:135], v[4:5], v[96:97], v[138:139]
	v_fma_f64 v[136:137], v[2:3], v[96:97], -v[98:99]
	ds_load_b128 v[2:5], v1 offset:896
	scratch_load_b128 v[96:99], off, off offset:496
	v_fma_f64 v[126:127], v[126:127], v[100:101], v[132:133]
	v_fma_f64 v[124:125], v[124:125], v[100:101], -v[102:103]
	scratch_load_b128 v[100:103], off, off offset:512
	v_add_f64_e32 v[128:129], v[128:129], v[112:113]
	v_add_f64_e32 v[130:131], v[130:131], v[114:115]
	ds_load_b128 v[112:115], v1 offset:912
	s_wait_loadcnt_dscnt 0xa01
	v_mul_f64_e32 v[138:139], v[2:3], v[106:107]
	v_mul_f64_e32 v[106:107], v[4:5], v[106:107]
	s_wait_loadcnt_dscnt 0x800
	v_mul_f64_e32 v[132:133], v[112:113], v[122:123]
	v_add_f64_e32 v[128:129], v[128:129], v[136:137]
	v_add_f64_e32 v[130:131], v[130:131], v[134:135]
	v_mul_f64_e32 v[134:135], v[114:115], v[122:123]
	v_fma_f64 v[136:137], v[4:5], v[104:105], v[138:139]
	v_fma_f64 v[138:139], v[2:3], v[104:105], -v[106:107]
	ds_load_b128 v[2:5], v1 offset:928
	scratch_load_b128 v[104:107], off, off offset:528
	v_fma_f64 v[114:115], v[114:115], v[120:121], v[132:133]
	v_add_f64_e32 v[128:129], v[128:129], v[124:125]
	v_add_f64_e32 v[126:127], v[130:131], v[126:127]
	ds_load_b128 v[122:125], v1 offset:944
	v_fma_f64 v[120:121], v[112:113], v[120:121], -v[134:135]
	s_wait_loadcnt_dscnt 0x801
	v_mul_f64_e32 v[130:131], v[2:3], v[110:111]
	v_mul_f64_e32 v[140:141], v[4:5], v[110:111]
	scratch_load_b128 v[110:113], off, off offset:544
	s_wait_loadcnt_dscnt 0x800
	v_mul_f64_e32 v[132:133], v[122:123], v[8:9]
	v_mul_f64_e32 v[8:9], v[124:125], v[8:9]
	v_add_f64_e32 v[128:129], v[128:129], v[138:139]
	v_add_f64_e32 v[126:127], v[126:127], v[136:137]
	v_fma_f64 v[130:131], v[4:5], v[108:109], v[130:131]
	v_fma_f64 v[108:109], v[2:3], v[108:109], -v[140:141]
	v_fma_f64 v[124:125], v[124:125], v[6:7], v[132:133]
	v_fma_f64 v[6:7], v[122:123], v[6:7], -v[8:9]
	v_add_f64_e32 v[120:121], v[128:129], v[120:121]
	v_add_f64_e32 v[114:115], v[126:127], v[114:115]
	ds_load_b128 v[2:5], v1 offset:960
	ds_load_b128 v[126:129], v1 offset:976
	s_wait_loadcnt_dscnt 0x701
	v_mul_f64_e32 v[134:135], v[2:3], v[13:14]
	v_mul_f64_e32 v[13:14], v[4:5], v[13:14]
	v_add_f64_e32 v[8:9], v[120:121], v[108:109]
	v_add_f64_e32 v[108:109], v[114:115], v[130:131]
	s_wait_loadcnt_dscnt 0x600
	v_mul_f64_e32 v[114:115], v[126:127], v[17:18]
	v_mul_f64_e32 v[17:18], v[128:129], v[17:18]
	v_fma_f64 v[120:121], v[4:5], v[11:12], v[134:135]
	v_fma_f64 v[11:12], v[2:3], v[11:12], -v[13:14]
	v_add_f64_e32 v[13:14], v[8:9], v[6:7]
	v_add_f64_e32 v[108:109], v[108:109], v[124:125]
	ds_load_b128 v[2:5], v1 offset:992
	ds_load_b128 v[6:9], v1 offset:1008
	v_fma_f64 v[114:115], v[128:129], v[15:16], v[114:115]
	v_fma_f64 v[15:16], v[126:127], v[15:16], -v[17:18]
	s_wait_loadcnt_dscnt 0x501
	v_mul_f64_e32 v[122:123], v[2:3], v[21:22]
	v_mul_f64_e32 v[21:22], v[4:5], v[21:22]
	s_wait_loadcnt_dscnt 0x400
	v_mul_f64_e32 v[17:18], v[6:7], v[94:95]
	v_mul_f64_e32 v[94:95], v[8:9], v[94:95]
	v_add_f64_e32 v[11:12], v[13:14], v[11:12]
	v_add_f64_e32 v[13:14], v[108:109], v[120:121]
	v_fma_f64 v[108:109], v[4:5], v[19:20], v[122:123]
	v_fma_f64 v[19:20], v[2:3], v[19:20], -v[21:22]
	v_fma_f64 v[8:9], v[8:9], v[92:93], v[17:18]
	v_fma_f64 v[6:7], v[6:7], v[92:93], -v[94:95]
	v_add_f64_e32 v[15:16], v[11:12], v[15:16]
	v_add_f64_e32 v[21:22], v[13:14], v[114:115]
	ds_load_b128 v[2:5], v1 offset:1024
	ds_load_b128 v[11:14], v1 offset:1040
	s_wait_loadcnt_dscnt 0x301
	v_mul_f64_e32 v[114:115], v[2:3], v[98:99]
	v_mul_f64_e32 v[98:99], v[4:5], v[98:99]
	v_add_f64_e32 v[15:16], v[15:16], v[19:20]
	v_add_f64_e32 v[17:18], v[21:22], v[108:109]
	s_wait_loadcnt_dscnt 0x200
	v_mul_f64_e32 v[19:20], v[11:12], v[102:103]
	v_mul_f64_e32 v[21:22], v[13:14], v[102:103]
	v_fma_f64 v[92:93], v[4:5], v[96:97], v[114:115]
	v_fma_f64 v[94:95], v[2:3], v[96:97], -v[98:99]
	v_add_f64_e32 v[15:16], v[15:16], v[6:7]
	v_add_f64_e32 v[17:18], v[17:18], v[8:9]
	ds_load_b128 v[2:5], v1 offset:1056
	ds_load_b128 v[6:9], v1 offset:1072
	v_fma_f64 v[13:14], v[13:14], v[100:101], v[19:20]
	v_fma_f64 v[11:12], v[11:12], v[100:101], -v[21:22]
	s_wait_loadcnt_dscnt 0x101
	v_mul_f64_e32 v[96:97], v[2:3], v[106:107]
	v_mul_f64_e32 v[98:99], v[4:5], v[106:107]
	s_wait_loadcnt_dscnt 0x0
	v_mul_f64_e32 v[19:20], v[6:7], v[112:113]
	v_add_f64_e32 v[15:16], v[15:16], v[94:95]
	v_add_f64_e32 v[17:18], v[17:18], v[92:93]
	v_mul_f64_e32 v[21:22], v[8:9], v[112:113]
	v_fma_f64 v[4:5], v[4:5], v[104:105], v[96:97]
	v_fma_f64 v[1:2], v[2:3], v[104:105], -v[98:99]
	v_fma_f64 v[8:9], v[8:9], v[110:111], v[19:20]
	v_add_f64_e32 v[11:12], v[15:16], v[11:12]
	v_add_f64_e32 v[13:14], v[17:18], v[13:14]
	v_fma_f64 v[6:7], v[6:7], v[110:111], -v[21:22]
	s_delay_alu instid0(VALU_DEP_3) | instskip(NEXT) | instid1(VALU_DEP_3)
	v_add_f64_e32 v[1:2], v[11:12], v[1:2]
	v_add_f64_e32 v[3:4], v[13:14], v[4:5]
	s_delay_alu instid0(VALU_DEP_2) | instskip(NEXT) | instid1(VALU_DEP_2)
	v_add_f64_e32 v[1:2], v[1:2], v[6:7]
	v_add_f64_e32 v[3:4], v[3:4], v[8:9]
	s_delay_alu instid0(VALU_DEP_2) | instskip(NEXT) | instid1(VALU_DEP_2)
	v_add_f64_e64 v[1:2], v[116:117], -v[1:2]
	v_add_f64_e64 v[3:4], v[118:119], -v[3:4]
	scratch_store_b128 off, v[1:4], off offset:224
	v_cmpx_lt_u32_e32 12, v0
	s_cbranch_execz .LBB97_193
; %bb.192:
	scratch_load_b128 v[1:4], off, s29
	v_mov_b32_e32 v5, 0
	s_delay_alu instid0(VALU_DEP_1)
	v_dual_mov_b32 v6, v5 :: v_dual_mov_b32 v7, v5
	v_mov_b32_e32 v8, v5
	scratch_store_b128 off, v[5:8], off offset:208
	s_wait_loadcnt 0x0
	ds_store_b128 v10, v[1:4]
.LBB97_193:
	s_wait_alu 0xfffe
	s_or_b32 exec_lo, exec_lo, s0
	s_wait_storecnt_dscnt 0x0
	s_barrier_signal -1
	s_barrier_wait -1
	global_inv scope:SCOPE_SE
	s_clause 0x7
	scratch_load_b128 v[2:5], off, off offset:224
	scratch_load_b128 v[6:9], off, off offset:240
	scratch_load_b128 v[11:14], off, off offset:256
	scratch_load_b128 v[15:18], off, off offset:272
	scratch_load_b128 v[19:22], off, off offset:288
	scratch_load_b128 v[92:95], off, off offset:304
	scratch_load_b128 v[96:99], off, off offset:320
	scratch_load_b128 v[100:103], off, off offset:336
	v_mov_b32_e32 v1, 0
	s_mov_b32 s0, exec_lo
	ds_load_b128 v[104:107], v1 offset:752
	s_clause 0x1
	scratch_load_b128 v[108:111], off, off offset:352
	scratch_load_b128 v[112:115], off, off offset:208
	ds_load_b128 v[116:119], v1 offset:768
	scratch_load_b128 v[120:123], off, off offset:368
	s_wait_loadcnt_dscnt 0xa01
	v_mul_f64_e32 v[124:125], v[106:107], v[4:5]
	v_mul_f64_e32 v[4:5], v[104:105], v[4:5]
	s_delay_alu instid0(VALU_DEP_2) | instskip(NEXT) | instid1(VALU_DEP_2)
	v_fma_f64 v[130:131], v[104:105], v[2:3], -v[124:125]
	v_fma_f64 v[132:133], v[106:107], v[2:3], v[4:5]
	ds_load_b128 v[2:5], v1 offset:784
	s_wait_loadcnt_dscnt 0x901
	v_mul_f64_e32 v[128:129], v[116:117], v[8:9]
	v_mul_f64_e32 v[8:9], v[118:119], v[8:9]
	scratch_load_b128 v[104:107], off, off offset:384
	ds_load_b128 v[124:127], v1 offset:800
	s_wait_loadcnt_dscnt 0x901
	v_mul_f64_e32 v[134:135], v[2:3], v[13:14]
	v_mul_f64_e32 v[13:14], v[4:5], v[13:14]
	v_fma_f64 v[118:119], v[118:119], v[6:7], v[128:129]
	v_fma_f64 v[116:117], v[116:117], v[6:7], -v[8:9]
	v_add_f64_e32 v[128:129], 0, v[130:131]
	v_add_f64_e32 v[130:131], 0, v[132:133]
	scratch_load_b128 v[6:9], off, off offset:400
	v_fma_f64 v[134:135], v[4:5], v[11:12], v[134:135]
	v_fma_f64 v[136:137], v[2:3], v[11:12], -v[13:14]
	ds_load_b128 v[2:5], v1 offset:816
	s_wait_loadcnt_dscnt 0x901
	v_mul_f64_e32 v[132:133], v[124:125], v[17:18]
	v_mul_f64_e32 v[17:18], v[126:127], v[17:18]
	scratch_load_b128 v[11:14], off, off offset:416
	v_add_f64_e32 v[128:129], v[128:129], v[116:117]
	v_add_f64_e32 v[130:131], v[130:131], v[118:119]
	s_wait_loadcnt_dscnt 0x900
	v_mul_f64_e32 v[138:139], v[2:3], v[21:22]
	v_mul_f64_e32 v[21:22], v[4:5], v[21:22]
	ds_load_b128 v[116:119], v1 offset:832
	v_fma_f64 v[126:127], v[126:127], v[15:16], v[132:133]
	v_fma_f64 v[124:125], v[124:125], v[15:16], -v[17:18]
	scratch_load_b128 v[15:18], off, off offset:432
	v_add_f64_e32 v[128:129], v[128:129], v[136:137]
	v_add_f64_e32 v[130:131], v[130:131], v[134:135]
	v_fma_f64 v[134:135], v[4:5], v[19:20], v[138:139]
	v_fma_f64 v[136:137], v[2:3], v[19:20], -v[21:22]
	ds_load_b128 v[2:5], v1 offset:848
	s_wait_loadcnt_dscnt 0x901
	v_mul_f64_e32 v[132:133], v[116:117], v[94:95]
	v_mul_f64_e32 v[94:95], v[118:119], v[94:95]
	scratch_load_b128 v[19:22], off, off offset:448
	s_wait_loadcnt_dscnt 0x900
	v_mul_f64_e32 v[138:139], v[2:3], v[98:99]
	v_mul_f64_e32 v[98:99], v[4:5], v[98:99]
	v_add_f64_e32 v[128:129], v[128:129], v[124:125]
	v_add_f64_e32 v[130:131], v[130:131], v[126:127]
	ds_load_b128 v[124:127], v1 offset:864
	v_fma_f64 v[118:119], v[118:119], v[92:93], v[132:133]
	v_fma_f64 v[116:117], v[116:117], v[92:93], -v[94:95]
	scratch_load_b128 v[92:95], off, off offset:464
	v_add_f64_e32 v[128:129], v[128:129], v[136:137]
	v_add_f64_e32 v[130:131], v[130:131], v[134:135]
	v_fma_f64 v[134:135], v[4:5], v[96:97], v[138:139]
	v_fma_f64 v[136:137], v[2:3], v[96:97], -v[98:99]
	ds_load_b128 v[2:5], v1 offset:880
	s_wait_loadcnt_dscnt 0x901
	v_mul_f64_e32 v[132:133], v[124:125], v[102:103]
	v_mul_f64_e32 v[102:103], v[126:127], v[102:103]
	scratch_load_b128 v[96:99], off, off offset:480
	s_wait_loadcnt_dscnt 0x900
	v_mul_f64_e32 v[138:139], v[2:3], v[110:111]
	v_mul_f64_e32 v[110:111], v[4:5], v[110:111]
	v_add_f64_e32 v[128:129], v[128:129], v[116:117]
	v_add_f64_e32 v[130:131], v[130:131], v[118:119]
	ds_load_b128 v[116:119], v1 offset:896
	v_fma_f64 v[126:127], v[126:127], v[100:101], v[132:133]
	v_fma_f64 v[124:125], v[124:125], v[100:101], -v[102:103]
	scratch_load_b128 v[100:103], off, off offset:496
	v_add_f64_e32 v[128:129], v[128:129], v[136:137]
	v_add_f64_e32 v[130:131], v[130:131], v[134:135]
	v_fma_f64 v[136:137], v[4:5], v[108:109], v[138:139]
	v_fma_f64 v[138:139], v[2:3], v[108:109], -v[110:111]
	ds_load_b128 v[2:5], v1 offset:912
	s_wait_loadcnt_dscnt 0x801
	v_mul_f64_e32 v[132:133], v[116:117], v[122:123]
	v_mul_f64_e32 v[134:135], v[118:119], v[122:123]
	scratch_load_b128 v[108:111], off, off offset:512
	v_add_f64_e32 v[128:129], v[128:129], v[124:125]
	v_add_f64_e32 v[126:127], v[130:131], v[126:127]
	ds_load_b128 v[122:125], v1 offset:928
	v_fma_f64 v[132:133], v[118:119], v[120:121], v[132:133]
	v_fma_f64 v[120:121], v[116:117], v[120:121], -v[134:135]
	scratch_load_b128 v[116:119], off, off offset:528
	s_wait_loadcnt_dscnt 0x901
	v_mul_f64_e32 v[130:131], v[2:3], v[106:107]
	v_mul_f64_e32 v[106:107], v[4:5], v[106:107]
	v_add_f64_e32 v[128:129], v[128:129], v[138:139]
	v_add_f64_e32 v[126:127], v[126:127], v[136:137]
	s_delay_alu instid0(VALU_DEP_4) | instskip(NEXT) | instid1(VALU_DEP_4)
	v_fma_f64 v[130:131], v[4:5], v[104:105], v[130:131]
	v_fma_f64 v[136:137], v[2:3], v[104:105], -v[106:107]
	ds_load_b128 v[2:5], v1 offset:944
	s_wait_loadcnt_dscnt 0x801
	v_mul_f64_e32 v[134:135], v[122:123], v[8:9]
	v_mul_f64_e32 v[8:9], v[124:125], v[8:9]
	scratch_load_b128 v[104:107], off, off offset:544
	s_wait_loadcnt_dscnt 0x800
	v_mul_f64_e32 v[138:139], v[2:3], v[13:14]
	v_add_f64_e32 v[120:121], v[128:129], v[120:121]
	v_add_f64_e32 v[132:133], v[126:127], v[132:133]
	v_mul_f64_e32 v[13:14], v[4:5], v[13:14]
	ds_load_b128 v[126:129], v1 offset:960
	v_fma_f64 v[124:125], v[124:125], v[6:7], v[134:135]
	v_fma_f64 v[6:7], v[122:123], v[6:7], -v[8:9]
	s_wait_loadcnt_dscnt 0x700
	v_mul_f64_e32 v[122:123], v[126:127], v[17:18]
	v_add_f64_e32 v[8:9], v[120:121], v[136:137]
	v_add_f64_e32 v[120:121], v[132:133], v[130:131]
	v_mul_f64_e32 v[17:18], v[128:129], v[17:18]
	v_fma_f64 v[130:131], v[4:5], v[11:12], v[138:139]
	v_fma_f64 v[11:12], v[2:3], v[11:12], -v[13:14]
	v_fma_f64 v[122:123], v[128:129], v[15:16], v[122:123]
	v_add_f64_e32 v[13:14], v[8:9], v[6:7]
	v_add_f64_e32 v[120:121], v[120:121], v[124:125]
	ds_load_b128 v[2:5], v1 offset:976
	ds_load_b128 v[6:9], v1 offset:992
	v_fma_f64 v[15:16], v[126:127], v[15:16], -v[17:18]
	s_wait_loadcnt_dscnt 0x601
	v_mul_f64_e32 v[124:125], v[2:3], v[21:22]
	v_mul_f64_e32 v[21:22], v[4:5], v[21:22]
	s_wait_loadcnt_dscnt 0x500
	v_mul_f64_e32 v[17:18], v[6:7], v[94:95]
	v_mul_f64_e32 v[94:95], v[8:9], v[94:95]
	v_add_f64_e32 v[11:12], v[13:14], v[11:12]
	v_add_f64_e32 v[13:14], v[120:121], v[130:131]
	v_fma_f64 v[120:121], v[4:5], v[19:20], v[124:125]
	v_fma_f64 v[19:20], v[2:3], v[19:20], -v[21:22]
	v_fma_f64 v[8:9], v[8:9], v[92:93], v[17:18]
	v_fma_f64 v[6:7], v[6:7], v[92:93], -v[94:95]
	v_add_f64_e32 v[15:16], v[11:12], v[15:16]
	v_add_f64_e32 v[21:22], v[13:14], v[122:123]
	ds_load_b128 v[2:5], v1 offset:1008
	ds_load_b128 v[11:14], v1 offset:1024
	s_wait_loadcnt_dscnt 0x401
	v_mul_f64_e32 v[122:123], v[2:3], v[98:99]
	v_mul_f64_e32 v[98:99], v[4:5], v[98:99]
	v_add_f64_e32 v[15:16], v[15:16], v[19:20]
	v_add_f64_e32 v[17:18], v[21:22], v[120:121]
	s_wait_loadcnt_dscnt 0x300
	v_mul_f64_e32 v[19:20], v[11:12], v[102:103]
	v_mul_f64_e32 v[21:22], v[13:14], v[102:103]
	v_fma_f64 v[92:93], v[4:5], v[96:97], v[122:123]
	v_fma_f64 v[94:95], v[2:3], v[96:97], -v[98:99]
	v_add_f64_e32 v[15:16], v[15:16], v[6:7]
	v_add_f64_e32 v[17:18], v[17:18], v[8:9]
	ds_load_b128 v[2:5], v1 offset:1040
	ds_load_b128 v[6:9], v1 offset:1056
	v_fma_f64 v[13:14], v[13:14], v[100:101], v[19:20]
	v_fma_f64 v[11:12], v[11:12], v[100:101], -v[21:22]
	s_wait_loadcnt_dscnt 0x201
	v_mul_f64_e32 v[96:97], v[2:3], v[110:111]
	v_mul_f64_e32 v[98:99], v[4:5], v[110:111]
	s_wait_loadcnt_dscnt 0x100
	v_mul_f64_e32 v[19:20], v[6:7], v[118:119]
	v_mul_f64_e32 v[21:22], v[8:9], v[118:119]
	v_add_f64_e32 v[15:16], v[15:16], v[94:95]
	v_add_f64_e32 v[17:18], v[17:18], v[92:93]
	v_fma_f64 v[92:93], v[4:5], v[108:109], v[96:97]
	v_fma_f64 v[94:95], v[2:3], v[108:109], -v[98:99]
	ds_load_b128 v[2:5], v1 offset:1072
	v_fma_f64 v[8:9], v[8:9], v[116:117], v[19:20]
	v_fma_f64 v[6:7], v[6:7], v[116:117], -v[21:22]
	v_add_f64_e32 v[11:12], v[15:16], v[11:12]
	v_add_f64_e32 v[13:14], v[17:18], v[13:14]
	s_wait_loadcnt_dscnt 0x0
	v_mul_f64_e32 v[15:16], v[2:3], v[106:107]
	v_mul_f64_e32 v[17:18], v[4:5], v[106:107]
	s_delay_alu instid0(VALU_DEP_4) | instskip(NEXT) | instid1(VALU_DEP_4)
	v_add_f64_e32 v[11:12], v[11:12], v[94:95]
	v_add_f64_e32 v[13:14], v[13:14], v[92:93]
	s_delay_alu instid0(VALU_DEP_4) | instskip(NEXT) | instid1(VALU_DEP_4)
	v_fma_f64 v[4:5], v[4:5], v[104:105], v[15:16]
	v_fma_f64 v[2:3], v[2:3], v[104:105], -v[17:18]
	s_delay_alu instid0(VALU_DEP_4) | instskip(NEXT) | instid1(VALU_DEP_4)
	v_add_f64_e32 v[6:7], v[11:12], v[6:7]
	v_add_f64_e32 v[8:9], v[13:14], v[8:9]
	s_delay_alu instid0(VALU_DEP_2) | instskip(NEXT) | instid1(VALU_DEP_2)
	v_add_f64_e32 v[2:3], v[6:7], v[2:3]
	v_add_f64_e32 v[4:5], v[8:9], v[4:5]
	s_delay_alu instid0(VALU_DEP_2) | instskip(NEXT) | instid1(VALU_DEP_2)
	v_add_f64_e64 v[2:3], v[112:113], -v[2:3]
	v_add_f64_e64 v[4:5], v[114:115], -v[4:5]
	scratch_store_b128 off, v[2:5], off offset:208
	v_cmpx_lt_u32_e32 11, v0
	s_cbranch_execz .LBB97_195
; %bb.194:
	scratch_load_b128 v[5:8], off, s11
	v_dual_mov_b32 v2, v1 :: v_dual_mov_b32 v3, v1
	v_mov_b32_e32 v4, v1
	scratch_store_b128 off, v[1:4], off offset:192
	s_wait_loadcnt 0x0
	ds_store_b128 v10, v[5:8]
.LBB97_195:
	s_wait_alu 0xfffe
	s_or_b32 exec_lo, exec_lo, s0
	s_wait_storecnt_dscnt 0x0
	s_barrier_signal -1
	s_barrier_wait -1
	global_inv scope:SCOPE_SE
	s_clause 0x8
	scratch_load_b128 v[2:5], off, off offset:208
	scratch_load_b128 v[6:9], off, off offset:224
	;; [unrolled: 1-line block ×9, first 2 shown]
	ds_load_b128 v[108:111], v1 offset:736
	ds_load_b128 v[112:115], v1 offset:752
	s_clause 0x1
	scratch_load_b128 v[116:119], off, off offset:192
	scratch_load_b128 v[120:123], off, off offset:352
	s_mov_b32 s0, exec_lo
	s_wait_loadcnt_dscnt 0xa01
	v_mul_f64_e32 v[124:125], v[110:111], v[4:5]
	v_mul_f64_e32 v[4:5], v[108:109], v[4:5]
	s_wait_loadcnt_dscnt 0x900
	v_mul_f64_e32 v[128:129], v[112:113], v[8:9]
	v_mul_f64_e32 v[8:9], v[114:115], v[8:9]
	s_delay_alu instid0(VALU_DEP_4) | instskip(NEXT) | instid1(VALU_DEP_4)
	v_fma_f64 v[130:131], v[108:109], v[2:3], -v[124:125]
	v_fma_f64 v[132:133], v[110:111], v[2:3], v[4:5]
	ds_load_b128 v[2:5], v1 offset:768
	ds_load_b128 v[124:127], v1 offset:784
	scratch_load_b128 v[108:111], off, off offset:368
	v_fma_f64 v[114:115], v[114:115], v[6:7], v[128:129]
	v_fma_f64 v[112:113], v[112:113], v[6:7], -v[8:9]
	scratch_load_b128 v[6:9], off, off offset:384
	s_wait_loadcnt_dscnt 0xa01
	v_mul_f64_e32 v[134:135], v[2:3], v[13:14]
	v_mul_f64_e32 v[13:14], v[4:5], v[13:14]
	v_add_f64_e32 v[128:129], 0, v[130:131]
	v_add_f64_e32 v[130:131], 0, v[132:133]
	s_wait_loadcnt_dscnt 0x900
	v_mul_f64_e32 v[132:133], v[124:125], v[17:18]
	v_mul_f64_e32 v[17:18], v[126:127], v[17:18]
	v_fma_f64 v[134:135], v[4:5], v[11:12], v[134:135]
	v_fma_f64 v[136:137], v[2:3], v[11:12], -v[13:14]
	ds_load_b128 v[2:5], v1 offset:800
	scratch_load_b128 v[11:14], off, off offset:400
	v_add_f64_e32 v[128:129], v[128:129], v[112:113]
	v_add_f64_e32 v[130:131], v[130:131], v[114:115]
	ds_load_b128 v[112:115], v1 offset:816
	v_fma_f64 v[126:127], v[126:127], v[15:16], v[132:133]
	v_fma_f64 v[124:125], v[124:125], v[15:16], -v[17:18]
	scratch_load_b128 v[15:18], off, off offset:416
	s_wait_loadcnt_dscnt 0xa01
	v_mul_f64_e32 v[138:139], v[2:3], v[21:22]
	v_mul_f64_e32 v[21:22], v[4:5], v[21:22]
	s_wait_loadcnt_dscnt 0x900
	v_mul_f64_e32 v[132:133], v[112:113], v[94:95]
	v_mul_f64_e32 v[94:95], v[114:115], v[94:95]
	v_add_f64_e32 v[128:129], v[128:129], v[136:137]
	v_add_f64_e32 v[130:131], v[130:131], v[134:135]
	v_fma_f64 v[134:135], v[4:5], v[19:20], v[138:139]
	v_fma_f64 v[136:137], v[2:3], v[19:20], -v[21:22]
	ds_load_b128 v[2:5], v1 offset:832
	scratch_load_b128 v[19:22], off, off offset:432
	v_fma_f64 v[114:115], v[114:115], v[92:93], v[132:133]
	v_fma_f64 v[112:113], v[112:113], v[92:93], -v[94:95]
	scratch_load_b128 v[92:95], off, off offset:448
	v_add_f64_e32 v[128:129], v[128:129], v[124:125]
	v_add_f64_e32 v[130:131], v[130:131], v[126:127]
	ds_load_b128 v[124:127], v1 offset:848
	s_wait_loadcnt_dscnt 0xa01
	v_mul_f64_e32 v[138:139], v[2:3], v[98:99]
	v_mul_f64_e32 v[98:99], v[4:5], v[98:99]
	s_wait_loadcnt_dscnt 0x900
	v_mul_f64_e32 v[132:133], v[124:125], v[102:103]
	v_mul_f64_e32 v[102:103], v[126:127], v[102:103]
	v_add_f64_e32 v[128:129], v[128:129], v[136:137]
	v_add_f64_e32 v[130:131], v[130:131], v[134:135]
	v_fma_f64 v[134:135], v[4:5], v[96:97], v[138:139]
	v_fma_f64 v[136:137], v[2:3], v[96:97], -v[98:99]
	ds_load_b128 v[2:5], v1 offset:864
	scratch_load_b128 v[96:99], off, off offset:464
	v_fma_f64 v[126:127], v[126:127], v[100:101], v[132:133]
	v_fma_f64 v[124:125], v[124:125], v[100:101], -v[102:103]
	scratch_load_b128 v[100:103], off, off offset:480
	v_add_f64_e32 v[128:129], v[128:129], v[112:113]
	v_add_f64_e32 v[130:131], v[130:131], v[114:115]
	ds_load_b128 v[112:115], v1 offset:880
	s_wait_loadcnt_dscnt 0xa01
	v_mul_f64_e32 v[138:139], v[2:3], v[106:107]
	v_mul_f64_e32 v[106:107], v[4:5], v[106:107]
	s_wait_loadcnt_dscnt 0x800
	v_mul_f64_e32 v[132:133], v[112:113], v[122:123]
	v_add_f64_e32 v[128:129], v[128:129], v[136:137]
	v_add_f64_e32 v[130:131], v[130:131], v[134:135]
	v_mul_f64_e32 v[134:135], v[114:115], v[122:123]
	v_fma_f64 v[136:137], v[4:5], v[104:105], v[138:139]
	v_fma_f64 v[138:139], v[2:3], v[104:105], -v[106:107]
	ds_load_b128 v[2:5], v1 offset:896
	scratch_load_b128 v[104:107], off, off offset:496
	v_fma_f64 v[114:115], v[114:115], v[120:121], v[132:133]
	v_add_f64_e32 v[128:129], v[128:129], v[124:125]
	v_add_f64_e32 v[126:127], v[130:131], v[126:127]
	ds_load_b128 v[122:125], v1 offset:912
	v_fma_f64 v[120:121], v[112:113], v[120:121], -v[134:135]
	s_wait_loadcnt_dscnt 0x801
	v_mul_f64_e32 v[130:131], v[2:3], v[110:111]
	v_mul_f64_e32 v[140:141], v[4:5], v[110:111]
	scratch_load_b128 v[110:113], off, off offset:512
	s_wait_loadcnt_dscnt 0x800
	v_mul_f64_e32 v[134:135], v[122:123], v[8:9]
	v_mul_f64_e32 v[8:9], v[124:125], v[8:9]
	v_add_f64_e32 v[128:129], v[128:129], v[138:139]
	v_add_f64_e32 v[126:127], v[126:127], v[136:137]
	v_fma_f64 v[136:137], v[4:5], v[108:109], v[130:131]
	v_fma_f64 v[108:109], v[2:3], v[108:109], -v[140:141]
	ds_load_b128 v[2:5], v1 offset:928
	ds_load_b128 v[130:133], v1 offset:944
	v_fma_f64 v[124:125], v[124:125], v[6:7], v[134:135]
	v_fma_f64 v[122:123], v[122:123], v[6:7], -v[8:9]
	scratch_load_b128 v[6:9], off, off offset:544
	v_add_f64_e32 v[120:121], v[128:129], v[120:121]
	v_add_f64_e32 v[114:115], v[126:127], v[114:115]
	scratch_load_b128 v[126:129], off, off offset:528
	s_wait_loadcnt_dscnt 0x901
	v_mul_f64_e32 v[138:139], v[2:3], v[13:14]
	v_mul_f64_e32 v[13:14], v[4:5], v[13:14]
	v_add_f64_e32 v[108:109], v[120:121], v[108:109]
	v_add_f64_e32 v[114:115], v[114:115], v[136:137]
	s_wait_loadcnt_dscnt 0x800
	v_mul_f64_e32 v[120:121], v[130:131], v[17:18]
	v_mul_f64_e32 v[17:18], v[132:133], v[17:18]
	v_fma_f64 v[134:135], v[4:5], v[11:12], v[138:139]
	v_fma_f64 v[136:137], v[2:3], v[11:12], -v[13:14]
	ds_load_b128 v[2:5], v1 offset:960
	ds_load_b128 v[11:14], v1 offset:976
	v_add_f64_e32 v[108:109], v[108:109], v[122:123]
	v_add_f64_e32 v[114:115], v[114:115], v[124:125]
	s_wait_loadcnt_dscnt 0x701
	v_mul_f64_e32 v[122:123], v[2:3], v[21:22]
	v_mul_f64_e32 v[21:22], v[4:5], v[21:22]
	v_fma_f64 v[120:121], v[132:133], v[15:16], v[120:121]
	v_fma_f64 v[15:16], v[130:131], v[15:16], -v[17:18]
	v_add_f64_e32 v[17:18], v[108:109], v[136:137]
	v_add_f64_e32 v[108:109], v[114:115], v[134:135]
	s_wait_loadcnt_dscnt 0x600
	v_mul_f64_e32 v[114:115], v[11:12], v[94:95]
	v_mul_f64_e32 v[94:95], v[13:14], v[94:95]
	v_fma_f64 v[122:123], v[4:5], v[19:20], v[122:123]
	v_fma_f64 v[19:20], v[2:3], v[19:20], -v[21:22]
	v_add_f64_e32 v[21:22], v[17:18], v[15:16]
	v_add_f64_e32 v[108:109], v[108:109], v[120:121]
	ds_load_b128 v[2:5], v1 offset:992
	ds_load_b128 v[15:18], v1 offset:1008
	v_fma_f64 v[13:14], v[13:14], v[92:93], v[114:115]
	v_fma_f64 v[11:12], v[11:12], v[92:93], -v[94:95]
	s_wait_loadcnt_dscnt 0x501
	v_mul_f64_e32 v[120:121], v[2:3], v[98:99]
	v_mul_f64_e32 v[98:99], v[4:5], v[98:99]
	s_wait_loadcnt_dscnt 0x400
	v_mul_f64_e32 v[92:93], v[15:16], v[102:103]
	v_mul_f64_e32 v[94:95], v[17:18], v[102:103]
	v_add_f64_e32 v[19:20], v[21:22], v[19:20]
	v_add_f64_e32 v[21:22], v[108:109], v[122:123]
	v_fma_f64 v[102:103], v[4:5], v[96:97], v[120:121]
	v_fma_f64 v[96:97], v[2:3], v[96:97], -v[98:99]
	v_fma_f64 v[17:18], v[17:18], v[100:101], v[92:93]
	v_fma_f64 v[15:16], v[15:16], v[100:101], -v[94:95]
	v_add_f64_e32 v[19:20], v[19:20], v[11:12]
	v_add_f64_e32 v[21:22], v[21:22], v[13:14]
	ds_load_b128 v[2:5], v1 offset:1024
	ds_load_b128 v[11:14], v1 offset:1040
	s_wait_loadcnt_dscnt 0x301
	v_mul_f64_e32 v[98:99], v[2:3], v[106:107]
	v_mul_f64_e32 v[106:107], v[4:5], v[106:107]
	s_wait_loadcnt_dscnt 0x200
	v_mul_f64_e32 v[92:93], v[11:12], v[112:113]
	v_add_f64_e32 v[19:20], v[19:20], v[96:97]
	v_add_f64_e32 v[21:22], v[21:22], v[102:103]
	v_mul_f64_e32 v[94:95], v[13:14], v[112:113]
	v_fma_f64 v[96:97], v[4:5], v[104:105], v[98:99]
	v_fma_f64 v[98:99], v[2:3], v[104:105], -v[106:107]
	v_fma_f64 v[13:14], v[13:14], v[110:111], v[92:93]
	v_add_f64_e32 v[19:20], v[19:20], v[15:16]
	v_add_f64_e32 v[21:22], v[21:22], v[17:18]
	ds_load_b128 v[2:5], v1 offset:1056
	ds_load_b128 v[15:18], v1 offset:1072
	v_fma_f64 v[11:12], v[11:12], v[110:111], -v[94:95]
	s_wait_loadcnt_dscnt 0x1
	v_mul_f64_e32 v[100:101], v[2:3], v[128:129]
	v_mul_f64_e32 v[102:103], v[4:5], v[128:129]
	s_wait_dscnt 0x0
	v_mul_f64_e32 v[92:93], v[15:16], v[8:9]
	v_mul_f64_e32 v[8:9], v[17:18], v[8:9]
	v_add_f64_e32 v[19:20], v[19:20], v[98:99]
	v_add_f64_e32 v[21:22], v[21:22], v[96:97]
	v_fma_f64 v[4:5], v[4:5], v[126:127], v[100:101]
	v_fma_f64 v[1:2], v[2:3], v[126:127], -v[102:103]
	v_fma_f64 v[17:18], v[17:18], v[6:7], v[92:93]
	v_fma_f64 v[6:7], v[15:16], v[6:7], -v[8:9]
	v_add_f64_e32 v[11:12], v[19:20], v[11:12]
	v_add_f64_e32 v[13:14], v[21:22], v[13:14]
	s_delay_alu instid0(VALU_DEP_2) | instskip(NEXT) | instid1(VALU_DEP_2)
	v_add_f64_e32 v[1:2], v[11:12], v[1:2]
	v_add_f64_e32 v[3:4], v[13:14], v[4:5]
	s_delay_alu instid0(VALU_DEP_2) | instskip(NEXT) | instid1(VALU_DEP_2)
	;; [unrolled: 3-line block ×3, first 2 shown]
	v_add_f64_e64 v[1:2], v[116:117], -v[1:2]
	v_add_f64_e64 v[3:4], v[118:119], -v[3:4]
	scratch_store_b128 off, v[1:4], off offset:192
	v_cmpx_lt_u32_e32 10, v0
	s_cbranch_execz .LBB97_197
; %bb.196:
	scratch_load_b128 v[1:4], off, s28
	v_mov_b32_e32 v5, 0
	s_delay_alu instid0(VALU_DEP_1)
	v_dual_mov_b32 v6, v5 :: v_dual_mov_b32 v7, v5
	v_mov_b32_e32 v8, v5
	scratch_store_b128 off, v[5:8], off offset:176
	s_wait_loadcnt 0x0
	ds_store_b128 v10, v[1:4]
.LBB97_197:
	s_wait_alu 0xfffe
	s_or_b32 exec_lo, exec_lo, s0
	s_wait_storecnt_dscnt 0x0
	s_barrier_signal -1
	s_barrier_wait -1
	global_inv scope:SCOPE_SE
	s_clause 0x7
	scratch_load_b128 v[2:5], off, off offset:192
	scratch_load_b128 v[6:9], off, off offset:208
	;; [unrolled: 1-line block ×8, first 2 shown]
	v_mov_b32_e32 v1, 0
	s_mov_b32 s0, exec_lo
	ds_load_b128 v[104:107], v1 offset:720
	s_clause 0x1
	scratch_load_b128 v[108:111], off, off offset:320
	scratch_load_b128 v[112:115], off, off offset:176
	ds_load_b128 v[116:119], v1 offset:736
	scratch_load_b128 v[120:123], off, off offset:336
	s_wait_loadcnt_dscnt 0xa01
	v_mul_f64_e32 v[124:125], v[106:107], v[4:5]
	v_mul_f64_e32 v[4:5], v[104:105], v[4:5]
	s_delay_alu instid0(VALU_DEP_2) | instskip(NEXT) | instid1(VALU_DEP_2)
	v_fma_f64 v[130:131], v[104:105], v[2:3], -v[124:125]
	v_fma_f64 v[132:133], v[106:107], v[2:3], v[4:5]
	ds_load_b128 v[2:5], v1 offset:752
	s_wait_loadcnt_dscnt 0x901
	v_mul_f64_e32 v[128:129], v[116:117], v[8:9]
	v_mul_f64_e32 v[8:9], v[118:119], v[8:9]
	scratch_load_b128 v[104:107], off, off offset:352
	ds_load_b128 v[124:127], v1 offset:768
	s_wait_loadcnt_dscnt 0x901
	v_mul_f64_e32 v[134:135], v[2:3], v[13:14]
	v_mul_f64_e32 v[13:14], v[4:5], v[13:14]
	v_fma_f64 v[118:119], v[118:119], v[6:7], v[128:129]
	v_fma_f64 v[116:117], v[116:117], v[6:7], -v[8:9]
	v_add_f64_e32 v[128:129], 0, v[130:131]
	v_add_f64_e32 v[130:131], 0, v[132:133]
	scratch_load_b128 v[6:9], off, off offset:368
	v_fma_f64 v[134:135], v[4:5], v[11:12], v[134:135]
	v_fma_f64 v[136:137], v[2:3], v[11:12], -v[13:14]
	ds_load_b128 v[2:5], v1 offset:784
	s_wait_loadcnt_dscnt 0x901
	v_mul_f64_e32 v[132:133], v[124:125], v[17:18]
	v_mul_f64_e32 v[17:18], v[126:127], v[17:18]
	scratch_load_b128 v[11:14], off, off offset:384
	v_add_f64_e32 v[128:129], v[128:129], v[116:117]
	v_add_f64_e32 v[130:131], v[130:131], v[118:119]
	s_wait_loadcnt_dscnt 0x900
	v_mul_f64_e32 v[138:139], v[2:3], v[21:22]
	v_mul_f64_e32 v[21:22], v[4:5], v[21:22]
	ds_load_b128 v[116:119], v1 offset:800
	v_fma_f64 v[126:127], v[126:127], v[15:16], v[132:133]
	v_fma_f64 v[124:125], v[124:125], v[15:16], -v[17:18]
	scratch_load_b128 v[15:18], off, off offset:400
	v_add_f64_e32 v[128:129], v[128:129], v[136:137]
	v_add_f64_e32 v[130:131], v[130:131], v[134:135]
	v_fma_f64 v[134:135], v[4:5], v[19:20], v[138:139]
	v_fma_f64 v[136:137], v[2:3], v[19:20], -v[21:22]
	ds_load_b128 v[2:5], v1 offset:816
	s_wait_loadcnt_dscnt 0x901
	v_mul_f64_e32 v[132:133], v[116:117], v[94:95]
	v_mul_f64_e32 v[94:95], v[118:119], v[94:95]
	scratch_load_b128 v[19:22], off, off offset:416
	s_wait_loadcnt_dscnt 0x900
	v_mul_f64_e32 v[138:139], v[2:3], v[98:99]
	v_mul_f64_e32 v[98:99], v[4:5], v[98:99]
	v_add_f64_e32 v[128:129], v[128:129], v[124:125]
	v_add_f64_e32 v[130:131], v[130:131], v[126:127]
	ds_load_b128 v[124:127], v1 offset:832
	v_fma_f64 v[118:119], v[118:119], v[92:93], v[132:133]
	v_fma_f64 v[116:117], v[116:117], v[92:93], -v[94:95]
	scratch_load_b128 v[92:95], off, off offset:432
	v_add_f64_e32 v[128:129], v[128:129], v[136:137]
	v_add_f64_e32 v[130:131], v[130:131], v[134:135]
	v_fma_f64 v[134:135], v[4:5], v[96:97], v[138:139]
	v_fma_f64 v[136:137], v[2:3], v[96:97], -v[98:99]
	ds_load_b128 v[2:5], v1 offset:848
	s_wait_loadcnt_dscnt 0x901
	v_mul_f64_e32 v[132:133], v[124:125], v[102:103]
	v_mul_f64_e32 v[102:103], v[126:127], v[102:103]
	scratch_load_b128 v[96:99], off, off offset:448
	s_wait_loadcnt_dscnt 0x900
	v_mul_f64_e32 v[138:139], v[2:3], v[110:111]
	v_mul_f64_e32 v[110:111], v[4:5], v[110:111]
	v_add_f64_e32 v[128:129], v[128:129], v[116:117]
	v_add_f64_e32 v[130:131], v[130:131], v[118:119]
	ds_load_b128 v[116:119], v1 offset:864
	v_fma_f64 v[126:127], v[126:127], v[100:101], v[132:133]
	v_fma_f64 v[124:125], v[124:125], v[100:101], -v[102:103]
	scratch_load_b128 v[100:103], off, off offset:464
	v_add_f64_e32 v[128:129], v[128:129], v[136:137]
	v_add_f64_e32 v[130:131], v[130:131], v[134:135]
	v_fma_f64 v[136:137], v[4:5], v[108:109], v[138:139]
	v_fma_f64 v[138:139], v[2:3], v[108:109], -v[110:111]
	ds_load_b128 v[2:5], v1 offset:880
	s_wait_loadcnt_dscnt 0x801
	v_mul_f64_e32 v[132:133], v[116:117], v[122:123]
	v_mul_f64_e32 v[134:135], v[118:119], v[122:123]
	scratch_load_b128 v[108:111], off, off offset:480
	v_add_f64_e32 v[128:129], v[128:129], v[124:125]
	v_add_f64_e32 v[126:127], v[130:131], v[126:127]
	ds_load_b128 v[122:125], v1 offset:896
	v_fma_f64 v[132:133], v[118:119], v[120:121], v[132:133]
	v_fma_f64 v[120:121], v[116:117], v[120:121], -v[134:135]
	scratch_load_b128 v[116:119], off, off offset:496
	s_wait_loadcnt_dscnt 0x901
	v_mul_f64_e32 v[130:131], v[2:3], v[106:107]
	v_mul_f64_e32 v[106:107], v[4:5], v[106:107]
	v_add_f64_e32 v[128:129], v[128:129], v[138:139]
	v_add_f64_e32 v[126:127], v[126:127], v[136:137]
	s_delay_alu instid0(VALU_DEP_4) | instskip(NEXT) | instid1(VALU_DEP_4)
	v_fma_f64 v[130:131], v[4:5], v[104:105], v[130:131]
	v_fma_f64 v[136:137], v[2:3], v[104:105], -v[106:107]
	ds_load_b128 v[2:5], v1 offset:912
	s_wait_loadcnt_dscnt 0x801
	v_mul_f64_e32 v[134:135], v[122:123], v[8:9]
	v_mul_f64_e32 v[8:9], v[124:125], v[8:9]
	scratch_load_b128 v[104:107], off, off offset:512
	s_wait_loadcnt_dscnt 0x800
	v_mul_f64_e32 v[138:139], v[2:3], v[13:14]
	v_add_f64_e32 v[120:121], v[128:129], v[120:121]
	v_add_f64_e32 v[132:133], v[126:127], v[132:133]
	v_mul_f64_e32 v[13:14], v[4:5], v[13:14]
	ds_load_b128 v[126:129], v1 offset:928
	v_fma_f64 v[124:125], v[124:125], v[6:7], v[134:135]
	v_fma_f64 v[122:123], v[122:123], v[6:7], -v[8:9]
	scratch_load_b128 v[6:9], off, off offset:528
	v_fma_f64 v[134:135], v[4:5], v[11:12], v[138:139]
	v_add_f64_e32 v[120:121], v[120:121], v[136:137]
	v_add_f64_e32 v[130:131], v[132:133], v[130:131]
	v_fma_f64 v[136:137], v[2:3], v[11:12], -v[13:14]
	ds_load_b128 v[2:5], v1 offset:944
	s_wait_loadcnt_dscnt 0x801
	v_mul_f64_e32 v[132:133], v[126:127], v[17:18]
	v_mul_f64_e32 v[17:18], v[128:129], v[17:18]
	scratch_load_b128 v[11:14], off, off offset:544
	v_add_f64_e32 v[138:139], v[120:121], v[122:123]
	v_add_f64_e32 v[124:125], v[130:131], v[124:125]
	s_wait_loadcnt_dscnt 0x800
	v_mul_f64_e32 v[130:131], v[2:3], v[21:22]
	v_mul_f64_e32 v[21:22], v[4:5], v[21:22]
	v_fma_f64 v[128:129], v[128:129], v[15:16], v[132:133]
	v_fma_f64 v[15:16], v[126:127], v[15:16], -v[17:18]
	ds_load_b128 v[120:123], v1 offset:960
	s_wait_loadcnt_dscnt 0x700
	v_mul_f64_e32 v[126:127], v[120:121], v[94:95]
	v_mul_f64_e32 v[94:95], v[122:123], v[94:95]
	v_add_f64_e32 v[17:18], v[138:139], v[136:137]
	v_add_f64_e32 v[124:125], v[124:125], v[134:135]
	v_fma_f64 v[130:131], v[4:5], v[19:20], v[130:131]
	v_fma_f64 v[19:20], v[2:3], v[19:20], -v[21:22]
	v_fma_f64 v[122:123], v[122:123], v[92:93], v[126:127]
	v_fma_f64 v[92:93], v[120:121], v[92:93], -v[94:95]
	v_add_f64_e32 v[21:22], v[17:18], v[15:16]
	v_add_f64_e32 v[124:125], v[124:125], v[128:129]
	ds_load_b128 v[2:5], v1 offset:976
	ds_load_b128 v[15:18], v1 offset:992
	s_wait_loadcnt_dscnt 0x601
	v_mul_f64_e32 v[128:129], v[2:3], v[98:99]
	v_mul_f64_e32 v[98:99], v[4:5], v[98:99]
	s_wait_loadcnt_dscnt 0x500
	v_mul_f64_e32 v[94:95], v[15:16], v[102:103]
	v_mul_f64_e32 v[102:103], v[17:18], v[102:103]
	v_add_f64_e32 v[19:20], v[21:22], v[19:20]
	v_add_f64_e32 v[21:22], v[124:125], v[130:131]
	v_fma_f64 v[120:121], v[4:5], v[96:97], v[128:129]
	v_fma_f64 v[96:97], v[2:3], v[96:97], -v[98:99]
	v_fma_f64 v[17:18], v[17:18], v[100:101], v[94:95]
	v_fma_f64 v[15:16], v[15:16], v[100:101], -v[102:103]
	v_add_f64_e32 v[92:93], v[19:20], v[92:93]
	v_add_f64_e32 v[98:99], v[21:22], v[122:123]
	ds_load_b128 v[2:5], v1 offset:1008
	ds_load_b128 v[19:22], v1 offset:1024
	s_wait_loadcnt_dscnt 0x401
	v_mul_f64_e32 v[122:123], v[2:3], v[110:111]
	v_mul_f64_e32 v[110:111], v[4:5], v[110:111]
	v_add_f64_e32 v[92:93], v[92:93], v[96:97]
	v_add_f64_e32 v[94:95], v[98:99], v[120:121]
	s_wait_loadcnt_dscnt 0x300
	v_mul_f64_e32 v[96:97], v[19:20], v[118:119]
	v_mul_f64_e32 v[98:99], v[21:22], v[118:119]
	v_fma_f64 v[100:101], v[4:5], v[108:109], v[122:123]
	v_fma_f64 v[102:103], v[2:3], v[108:109], -v[110:111]
	v_add_f64_e32 v[92:93], v[92:93], v[15:16]
	v_add_f64_e32 v[94:95], v[94:95], v[17:18]
	ds_load_b128 v[2:5], v1 offset:1040
	ds_load_b128 v[15:18], v1 offset:1056
	v_fma_f64 v[21:22], v[21:22], v[116:117], v[96:97]
	v_fma_f64 v[19:20], v[19:20], v[116:117], -v[98:99]
	s_wait_loadcnt_dscnt 0x201
	v_mul_f64_e32 v[108:109], v[2:3], v[106:107]
	v_mul_f64_e32 v[106:107], v[4:5], v[106:107]
	s_wait_loadcnt_dscnt 0x100
	v_mul_f64_e32 v[96:97], v[15:16], v[8:9]
	v_mul_f64_e32 v[8:9], v[17:18], v[8:9]
	v_add_f64_e32 v[92:93], v[92:93], v[102:103]
	v_add_f64_e32 v[94:95], v[94:95], v[100:101]
	v_fma_f64 v[98:99], v[4:5], v[104:105], v[108:109]
	v_fma_f64 v[100:101], v[2:3], v[104:105], -v[106:107]
	ds_load_b128 v[2:5], v1 offset:1072
	v_fma_f64 v[17:18], v[17:18], v[6:7], v[96:97]
	v_fma_f64 v[6:7], v[15:16], v[6:7], -v[8:9]
	v_add_f64_e32 v[19:20], v[92:93], v[19:20]
	v_add_f64_e32 v[21:22], v[94:95], v[21:22]
	s_wait_loadcnt_dscnt 0x0
	v_mul_f64_e32 v[92:93], v[2:3], v[13:14]
	v_mul_f64_e32 v[13:14], v[4:5], v[13:14]
	s_delay_alu instid0(VALU_DEP_4) | instskip(NEXT) | instid1(VALU_DEP_4)
	v_add_f64_e32 v[8:9], v[19:20], v[100:101]
	v_add_f64_e32 v[15:16], v[21:22], v[98:99]
	s_delay_alu instid0(VALU_DEP_4) | instskip(NEXT) | instid1(VALU_DEP_4)
	v_fma_f64 v[4:5], v[4:5], v[11:12], v[92:93]
	v_fma_f64 v[2:3], v[2:3], v[11:12], -v[13:14]
	s_delay_alu instid0(VALU_DEP_4) | instskip(NEXT) | instid1(VALU_DEP_4)
	v_add_f64_e32 v[6:7], v[8:9], v[6:7]
	v_add_f64_e32 v[8:9], v[15:16], v[17:18]
	s_delay_alu instid0(VALU_DEP_2) | instskip(NEXT) | instid1(VALU_DEP_2)
	v_add_f64_e32 v[2:3], v[6:7], v[2:3]
	v_add_f64_e32 v[4:5], v[8:9], v[4:5]
	s_delay_alu instid0(VALU_DEP_2) | instskip(NEXT) | instid1(VALU_DEP_2)
	v_add_f64_e64 v[2:3], v[112:113], -v[2:3]
	v_add_f64_e64 v[4:5], v[114:115], -v[4:5]
	scratch_store_b128 off, v[2:5], off offset:176
	v_cmpx_lt_u32_e32 9, v0
	s_cbranch_execz .LBB97_199
; %bb.198:
	scratch_load_b128 v[5:8], off, s10
	v_dual_mov_b32 v2, v1 :: v_dual_mov_b32 v3, v1
	v_mov_b32_e32 v4, v1
	scratch_store_b128 off, v[1:4], off offset:160
	s_wait_loadcnt 0x0
	ds_store_b128 v10, v[5:8]
.LBB97_199:
	s_wait_alu 0xfffe
	s_or_b32 exec_lo, exec_lo, s0
	s_wait_storecnt_dscnt 0x0
	s_barrier_signal -1
	s_barrier_wait -1
	global_inv scope:SCOPE_SE
	s_clause 0x8
	scratch_load_b128 v[2:5], off, off offset:176
	scratch_load_b128 v[6:9], off, off offset:192
	;; [unrolled: 1-line block ×9, first 2 shown]
	ds_load_b128 v[108:111], v1 offset:704
	ds_load_b128 v[112:115], v1 offset:720
	s_clause 0x1
	scratch_load_b128 v[116:119], off, off offset:160
	scratch_load_b128 v[120:123], off, off offset:320
	s_mov_b32 s0, exec_lo
	s_wait_loadcnt_dscnt 0xa01
	v_mul_f64_e32 v[124:125], v[110:111], v[4:5]
	v_mul_f64_e32 v[4:5], v[108:109], v[4:5]
	s_wait_loadcnt_dscnt 0x900
	v_mul_f64_e32 v[128:129], v[112:113], v[8:9]
	v_mul_f64_e32 v[8:9], v[114:115], v[8:9]
	s_delay_alu instid0(VALU_DEP_4) | instskip(NEXT) | instid1(VALU_DEP_4)
	v_fma_f64 v[130:131], v[108:109], v[2:3], -v[124:125]
	v_fma_f64 v[132:133], v[110:111], v[2:3], v[4:5]
	ds_load_b128 v[2:5], v1 offset:736
	ds_load_b128 v[124:127], v1 offset:752
	scratch_load_b128 v[108:111], off, off offset:336
	v_fma_f64 v[114:115], v[114:115], v[6:7], v[128:129]
	v_fma_f64 v[112:113], v[112:113], v[6:7], -v[8:9]
	scratch_load_b128 v[6:9], off, off offset:352
	s_wait_loadcnt_dscnt 0xa01
	v_mul_f64_e32 v[134:135], v[2:3], v[13:14]
	v_mul_f64_e32 v[13:14], v[4:5], v[13:14]
	v_add_f64_e32 v[128:129], 0, v[130:131]
	v_add_f64_e32 v[130:131], 0, v[132:133]
	s_wait_loadcnt_dscnt 0x900
	v_mul_f64_e32 v[132:133], v[124:125], v[17:18]
	v_mul_f64_e32 v[17:18], v[126:127], v[17:18]
	v_fma_f64 v[134:135], v[4:5], v[11:12], v[134:135]
	v_fma_f64 v[136:137], v[2:3], v[11:12], -v[13:14]
	ds_load_b128 v[2:5], v1 offset:768
	scratch_load_b128 v[11:14], off, off offset:368
	v_add_f64_e32 v[128:129], v[128:129], v[112:113]
	v_add_f64_e32 v[130:131], v[130:131], v[114:115]
	ds_load_b128 v[112:115], v1 offset:784
	v_fma_f64 v[126:127], v[126:127], v[15:16], v[132:133]
	v_fma_f64 v[124:125], v[124:125], v[15:16], -v[17:18]
	scratch_load_b128 v[15:18], off, off offset:384
	s_wait_loadcnt_dscnt 0xa01
	v_mul_f64_e32 v[138:139], v[2:3], v[21:22]
	v_mul_f64_e32 v[21:22], v[4:5], v[21:22]
	s_wait_loadcnt_dscnt 0x900
	v_mul_f64_e32 v[132:133], v[112:113], v[94:95]
	v_mul_f64_e32 v[94:95], v[114:115], v[94:95]
	v_add_f64_e32 v[128:129], v[128:129], v[136:137]
	v_add_f64_e32 v[130:131], v[130:131], v[134:135]
	v_fma_f64 v[134:135], v[4:5], v[19:20], v[138:139]
	v_fma_f64 v[136:137], v[2:3], v[19:20], -v[21:22]
	ds_load_b128 v[2:5], v1 offset:800
	scratch_load_b128 v[19:22], off, off offset:400
	v_fma_f64 v[114:115], v[114:115], v[92:93], v[132:133]
	v_fma_f64 v[112:113], v[112:113], v[92:93], -v[94:95]
	scratch_load_b128 v[92:95], off, off offset:416
	v_add_f64_e32 v[128:129], v[128:129], v[124:125]
	v_add_f64_e32 v[130:131], v[130:131], v[126:127]
	ds_load_b128 v[124:127], v1 offset:816
	s_wait_loadcnt_dscnt 0xa01
	v_mul_f64_e32 v[138:139], v[2:3], v[98:99]
	v_mul_f64_e32 v[98:99], v[4:5], v[98:99]
	s_wait_loadcnt_dscnt 0x900
	v_mul_f64_e32 v[132:133], v[124:125], v[102:103]
	v_mul_f64_e32 v[102:103], v[126:127], v[102:103]
	v_add_f64_e32 v[128:129], v[128:129], v[136:137]
	v_add_f64_e32 v[130:131], v[130:131], v[134:135]
	v_fma_f64 v[134:135], v[4:5], v[96:97], v[138:139]
	v_fma_f64 v[136:137], v[2:3], v[96:97], -v[98:99]
	ds_load_b128 v[2:5], v1 offset:832
	scratch_load_b128 v[96:99], off, off offset:432
	v_fma_f64 v[126:127], v[126:127], v[100:101], v[132:133]
	v_fma_f64 v[124:125], v[124:125], v[100:101], -v[102:103]
	scratch_load_b128 v[100:103], off, off offset:448
	v_add_f64_e32 v[128:129], v[128:129], v[112:113]
	v_add_f64_e32 v[130:131], v[130:131], v[114:115]
	ds_load_b128 v[112:115], v1 offset:848
	s_wait_loadcnt_dscnt 0xa01
	v_mul_f64_e32 v[138:139], v[2:3], v[106:107]
	v_mul_f64_e32 v[106:107], v[4:5], v[106:107]
	s_wait_loadcnt_dscnt 0x800
	v_mul_f64_e32 v[132:133], v[112:113], v[122:123]
	v_add_f64_e32 v[128:129], v[128:129], v[136:137]
	v_add_f64_e32 v[130:131], v[130:131], v[134:135]
	v_mul_f64_e32 v[134:135], v[114:115], v[122:123]
	v_fma_f64 v[136:137], v[4:5], v[104:105], v[138:139]
	v_fma_f64 v[138:139], v[2:3], v[104:105], -v[106:107]
	ds_load_b128 v[2:5], v1 offset:864
	scratch_load_b128 v[104:107], off, off offset:464
	v_fma_f64 v[114:115], v[114:115], v[120:121], v[132:133]
	v_add_f64_e32 v[128:129], v[128:129], v[124:125]
	v_add_f64_e32 v[126:127], v[130:131], v[126:127]
	ds_load_b128 v[122:125], v1 offset:880
	v_fma_f64 v[120:121], v[112:113], v[120:121], -v[134:135]
	s_wait_loadcnt_dscnt 0x801
	v_mul_f64_e32 v[130:131], v[2:3], v[110:111]
	v_mul_f64_e32 v[140:141], v[4:5], v[110:111]
	scratch_load_b128 v[110:113], off, off offset:480
	s_wait_loadcnt_dscnt 0x800
	v_mul_f64_e32 v[134:135], v[122:123], v[8:9]
	v_mul_f64_e32 v[8:9], v[124:125], v[8:9]
	v_add_f64_e32 v[128:129], v[128:129], v[138:139]
	v_add_f64_e32 v[126:127], v[126:127], v[136:137]
	v_fma_f64 v[136:137], v[4:5], v[108:109], v[130:131]
	v_fma_f64 v[108:109], v[2:3], v[108:109], -v[140:141]
	ds_load_b128 v[2:5], v1 offset:896
	ds_load_b128 v[130:133], v1 offset:912
	v_fma_f64 v[124:125], v[124:125], v[6:7], v[134:135]
	v_fma_f64 v[122:123], v[122:123], v[6:7], -v[8:9]
	scratch_load_b128 v[6:9], off, off offset:512
	v_add_f64_e32 v[120:121], v[128:129], v[120:121]
	v_add_f64_e32 v[114:115], v[126:127], v[114:115]
	scratch_load_b128 v[126:129], off, off offset:496
	s_wait_loadcnt_dscnt 0x901
	v_mul_f64_e32 v[138:139], v[2:3], v[13:14]
	v_mul_f64_e32 v[13:14], v[4:5], v[13:14]
	s_wait_loadcnt_dscnt 0x800
	v_mul_f64_e32 v[134:135], v[130:131], v[17:18]
	v_mul_f64_e32 v[17:18], v[132:133], v[17:18]
	v_add_f64_e32 v[108:109], v[120:121], v[108:109]
	v_add_f64_e32 v[114:115], v[114:115], v[136:137]
	v_fma_f64 v[136:137], v[4:5], v[11:12], v[138:139]
	v_fma_f64 v[138:139], v[2:3], v[11:12], -v[13:14]
	ds_load_b128 v[2:5], v1 offset:928
	scratch_load_b128 v[11:14], off, off offset:528
	v_fma_f64 v[132:133], v[132:133], v[15:16], v[134:135]
	v_fma_f64 v[130:131], v[130:131], v[15:16], -v[17:18]
	scratch_load_b128 v[15:18], off, off offset:544
	v_add_f64_e32 v[108:109], v[108:109], v[122:123]
	v_add_f64_e32 v[114:115], v[114:115], v[124:125]
	ds_load_b128 v[120:123], v1 offset:944
	s_wait_loadcnt_dscnt 0x901
	v_mul_f64_e32 v[124:125], v[2:3], v[21:22]
	v_mul_f64_e32 v[21:22], v[4:5], v[21:22]
	s_wait_loadcnt_dscnt 0x800
	v_mul_f64_e32 v[134:135], v[120:121], v[94:95]
	v_mul_f64_e32 v[94:95], v[122:123], v[94:95]
	v_add_f64_e32 v[108:109], v[108:109], v[138:139]
	v_add_f64_e32 v[114:115], v[114:115], v[136:137]
	v_fma_f64 v[124:125], v[4:5], v[19:20], v[124:125]
	v_fma_f64 v[136:137], v[2:3], v[19:20], -v[21:22]
	ds_load_b128 v[2:5], v1 offset:960
	ds_load_b128 v[19:22], v1 offset:976
	v_fma_f64 v[122:123], v[122:123], v[92:93], v[134:135]
	v_fma_f64 v[92:93], v[120:121], v[92:93], -v[94:95]
	v_add_f64_e32 v[108:109], v[108:109], v[130:131]
	v_add_f64_e32 v[114:115], v[114:115], v[132:133]
	s_wait_loadcnt_dscnt 0x701
	v_mul_f64_e32 v[130:131], v[2:3], v[98:99]
	v_mul_f64_e32 v[98:99], v[4:5], v[98:99]
	s_delay_alu instid0(VALU_DEP_4) | instskip(NEXT) | instid1(VALU_DEP_4)
	v_add_f64_e32 v[94:95], v[108:109], v[136:137]
	v_add_f64_e32 v[108:109], v[114:115], v[124:125]
	s_wait_loadcnt_dscnt 0x600
	v_mul_f64_e32 v[114:115], v[19:20], v[102:103]
	v_mul_f64_e32 v[102:103], v[21:22], v[102:103]
	v_fma_f64 v[120:121], v[4:5], v[96:97], v[130:131]
	v_fma_f64 v[96:97], v[2:3], v[96:97], -v[98:99]
	v_add_f64_e32 v[98:99], v[94:95], v[92:93]
	v_add_f64_e32 v[108:109], v[108:109], v[122:123]
	ds_load_b128 v[2:5], v1 offset:992
	ds_load_b128 v[92:95], v1 offset:1008
	v_fma_f64 v[21:22], v[21:22], v[100:101], v[114:115]
	v_fma_f64 v[19:20], v[19:20], v[100:101], -v[102:103]
	s_wait_loadcnt_dscnt 0x501
	v_mul_f64_e32 v[122:123], v[2:3], v[106:107]
	v_mul_f64_e32 v[106:107], v[4:5], v[106:107]
	s_wait_loadcnt_dscnt 0x400
	v_mul_f64_e32 v[100:101], v[92:93], v[112:113]
	v_add_f64_e32 v[96:97], v[98:99], v[96:97]
	v_add_f64_e32 v[98:99], v[108:109], v[120:121]
	v_mul_f64_e32 v[102:103], v[94:95], v[112:113]
	v_fma_f64 v[108:109], v[4:5], v[104:105], v[122:123]
	v_fma_f64 v[104:105], v[2:3], v[104:105], -v[106:107]
	v_fma_f64 v[94:95], v[94:95], v[110:111], v[100:101]
	v_add_f64_e32 v[96:97], v[96:97], v[19:20]
	v_add_f64_e32 v[98:99], v[98:99], v[21:22]
	ds_load_b128 v[2:5], v1 offset:1024
	ds_load_b128 v[19:22], v1 offset:1040
	v_fma_f64 v[92:93], v[92:93], v[110:111], -v[102:103]
	s_wait_loadcnt_dscnt 0x201
	v_mul_f64_e32 v[106:107], v[2:3], v[128:129]
	v_mul_f64_e32 v[112:113], v[4:5], v[128:129]
	s_wait_dscnt 0x0
	v_mul_f64_e32 v[100:101], v[19:20], v[8:9]
	v_mul_f64_e32 v[8:9], v[21:22], v[8:9]
	v_add_f64_e32 v[96:97], v[96:97], v[104:105]
	v_add_f64_e32 v[98:99], v[98:99], v[108:109]
	v_fma_f64 v[102:103], v[4:5], v[126:127], v[106:107]
	v_fma_f64 v[104:105], v[2:3], v[126:127], -v[112:113]
	v_fma_f64 v[21:22], v[21:22], v[6:7], v[100:101]
	v_fma_f64 v[6:7], v[19:20], v[6:7], -v[8:9]
	v_add_f64_e32 v[96:97], v[96:97], v[92:93]
	v_add_f64_e32 v[98:99], v[98:99], v[94:95]
	ds_load_b128 v[2:5], v1 offset:1056
	ds_load_b128 v[92:95], v1 offset:1072
	s_wait_loadcnt_dscnt 0x101
	v_mul_f64_e32 v[106:107], v[2:3], v[13:14]
	v_mul_f64_e32 v[13:14], v[4:5], v[13:14]
	v_add_f64_e32 v[8:9], v[96:97], v[104:105]
	v_add_f64_e32 v[19:20], v[98:99], v[102:103]
	s_wait_loadcnt_dscnt 0x0
	v_mul_f64_e32 v[96:97], v[92:93], v[17:18]
	v_mul_f64_e32 v[17:18], v[94:95], v[17:18]
	v_fma_f64 v[4:5], v[4:5], v[11:12], v[106:107]
	v_fma_f64 v[1:2], v[2:3], v[11:12], -v[13:14]
	v_add_f64_e32 v[6:7], v[8:9], v[6:7]
	v_add_f64_e32 v[8:9], v[19:20], v[21:22]
	v_fma_f64 v[11:12], v[94:95], v[15:16], v[96:97]
	v_fma_f64 v[13:14], v[92:93], v[15:16], -v[17:18]
	s_delay_alu instid0(VALU_DEP_4) | instskip(NEXT) | instid1(VALU_DEP_4)
	v_add_f64_e32 v[1:2], v[6:7], v[1:2]
	v_add_f64_e32 v[3:4], v[8:9], v[4:5]
	s_delay_alu instid0(VALU_DEP_2) | instskip(NEXT) | instid1(VALU_DEP_2)
	v_add_f64_e32 v[1:2], v[1:2], v[13:14]
	v_add_f64_e32 v[3:4], v[3:4], v[11:12]
	s_delay_alu instid0(VALU_DEP_2) | instskip(NEXT) | instid1(VALU_DEP_2)
	v_add_f64_e64 v[1:2], v[116:117], -v[1:2]
	v_add_f64_e64 v[3:4], v[118:119], -v[3:4]
	scratch_store_b128 off, v[1:4], off offset:160
	v_cmpx_lt_u32_e32 8, v0
	s_cbranch_execz .LBB97_201
; %bb.200:
	scratch_load_b128 v[1:4], off, s27
	v_mov_b32_e32 v5, 0
	s_delay_alu instid0(VALU_DEP_1)
	v_dual_mov_b32 v6, v5 :: v_dual_mov_b32 v7, v5
	v_mov_b32_e32 v8, v5
	scratch_store_b128 off, v[5:8], off offset:144
	s_wait_loadcnt 0x0
	ds_store_b128 v10, v[1:4]
.LBB97_201:
	s_wait_alu 0xfffe
	s_or_b32 exec_lo, exec_lo, s0
	s_wait_storecnt_dscnt 0x0
	s_barrier_signal -1
	s_barrier_wait -1
	global_inv scope:SCOPE_SE
	s_clause 0x7
	scratch_load_b128 v[2:5], off, off offset:160
	scratch_load_b128 v[6:9], off, off offset:176
	;; [unrolled: 1-line block ×8, first 2 shown]
	v_mov_b32_e32 v1, 0
	s_mov_b32 s0, exec_lo
	ds_load_b128 v[104:107], v1 offset:688
	s_clause 0x1
	scratch_load_b128 v[108:111], off, off offset:288
	scratch_load_b128 v[112:115], off, off offset:144
	ds_load_b128 v[116:119], v1 offset:704
	scratch_load_b128 v[120:123], off, off offset:304
	s_wait_loadcnt_dscnt 0xa01
	v_mul_f64_e32 v[124:125], v[106:107], v[4:5]
	v_mul_f64_e32 v[4:5], v[104:105], v[4:5]
	s_delay_alu instid0(VALU_DEP_2) | instskip(NEXT) | instid1(VALU_DEP_2)
	v_fma_f64 v[130:131], v[104:105], v[2:3], -v[124:125]
	v_fma_f64 v[132:133], v[106:107], v[2:3], v[4:5]
	ds_load_b128 v[2:5], v1 offset:720
	s_wait_loadcnt_dscnt 0x901
	v_mul_f64_e32 v[128:129], v[116:117], v[8:9]
	v_mul_f64_e32 v[8:9], v[118:119], v[8:9]
	scratch_load_b128 v[104:107], off, off offset:320
	ds_load_b128 v[124:127], v1 offset:736
	s_wait_loadcnt_dscnt 0x901
	v_mul_f64_e32 v[134:135], v[2:3], v[13:14]
	v_mul_f64_e32 v[13:14], v[4:5], v[13:14]
	v_fma_f64 v[118:119], v[118:119], v[6:7], v[128:129]
	v_fma_f64 v[116:117], v[116:117], v[6:7], -v[8:9]
	v_add_f64_e32 v[128:129], 0, v[130:131]
	v_add_f64_e32 v[130:131], 0, v[132:133]
	scratch_load_b128 v[6:9], off, off offset:336
	v_fma_f64 v[134:135], v[4:5], v[11:12], v[134:135]
	v_fma_f64 v[136:137], v[2:3], v[11:12], -v[13:14]
	ds_load_b128 v[2:5], v1 offset:752
	s_wait_loadcnt_dscnt 0x901
	v_mul_f64_e32 v[132:133], v[124:125], v[17:18]
	v_mul_f64_e32 v[17:18], v[126:127], v[17:18]
	scratch_load_b128 v[11:14], off, off offset:352
	v_add_f64_e32 v[128:129], v[128:129], v[116:117]
	v_add_f64_e32 v[130:131], v[130:131], v[118:119]
	s_wait_loadcnt_dscnt 0x900
	v_mul_f64_e32 v[138:139], v[2:3], v[21:22]
	v_mul_f64_e32 v[21:22], v[4:5], v[21:22]
	ds_load_b128 v[116:119], v1 offset:768
	v_fma_f64 v[126:127], v[126:127], v[15:16], v[132:133]
	v_fma_f64 v[124:125], v[124:125], v[15:16], -v[17:18]
	scratch_load_b128 v[15:18], off, off offset:368
	v_add_f64_e32 v[128:129], v[128:129], v[136:137]
	v_add_f64_e32 v[130:131], v[130:131], v[134:135]
	v_fma_f64 v[134:135], v[4:5], v[19:20], v[138:139]
	v_fma_f64 v[136:137], v[2:3], v[19:20], -v[21:22]
	ds_load_b128 v[2:5], v1 offset:784
	s_wait_loadcnt_dscnt 0x901
	v_mul_f64_e32 v[132:133], v[116:117], v[94:95]
	v_mul_f64_e32 v[94:95], v[118:119], v[94:95]
	scratch_load_b128 v[19:22], off, off offset:384
	s_wait_loadcnt_dscnt 0x900
	v_mul_f64_e32 v[138:139], v[2:3], v[98:99]
	v_mul_f64_e32 v[98:99], v[4:5], v[98:99]
	v_add_f64_e32 v[128:129], v[128:129], v[124:125]
	v_add_f64_e32 v[130:131], v[130:131], v[126:127]
	ds_load_b128 v[124:127], v1 offset:800
	v_fma_f64 v[118:119], v[118:119], v[92:93], v[132:133]
	v_fma_f64 v[116:117], v[116:117], v[92:93], -v[94:95]
	scratch_load_b128 v[92:95], off, off offset:400
	v_add_f64_e32 v[128:129], v[128:129], v[136:137]
	v_add_f64_e32 v[130:131], v[130:131], v[134:135]
	v_fma_f64 v[134:135], v[4:5], v[96:97], v[138:139]
	v_fma_f64 v[136:137], v[2:3], v[96:97], -v[98:99]
	ds_load_b128 v[2:5], v1 offset:816
	s_wait_loadcnt_dscnt 0x901
	v_mul_f64_e32 v[132:133], v[124:125], v[102:103]
	v_mul_f64_e32 v[102:103], v[126:127], v[102:103]
	scratch_load_b128 v[96:99], off, off offset:416
	s_wait_loadcnt_dscnt 0x900
	v_mul_f64_e32 v[138:139], v[2:3], v[110:111]
	v_mul_f64_e32 v[110:111], v[4:5], v[110:111]
	v_add_f64_e32 v[128:129], v[128:129], v[116:117]
	v_add_f64_e32 v[130:131], v[130:131], v[118:119]
	ds_load_b128 v[116:119], v1 offset:832
	v_fma_f64 v[126:127], v[126:127], v[100:101], v[132:133]
	v_fma_f64 v[124:125], v[124:125], v[100:101], -v[102:103]
	scratch_load_b128 v[100:103], off, off offset:432
	v_add_f64_e32 v[128:129], v[128:129], v[136:137]
	v_add_f64_e32 v[130:131], v[130:131], v[134:135]
	v_fma_f64 v[136:137], v[4:5], v[108:109], v[138:139]
	v_fma_f64 v[138:139], v[2:3], v[108:109], -v[110:111]
	ds_load_b128 v[2:5], v1 offset:848
	s_wait_loadcnt_dscnt 0x801
	v_mul_f64_e32 v[132:133], v[116:117], v[122:123]
	v_mul_f64_e32 v[134:135], v[118:119], v[122:123]
	scratch_load_b128 v[108:111], off, off offset:448
	v_add_f64_e32 v[128:129], v[128:129], v[124:125]
	v_add_f64_e32 v[126:127], v[130:131], v[126:127]
	ds_load_b128 v[122:125], v1 offset:864
	v_fma_f64 v[132:133], v[118:119], v[120:121], v[132:133]
	v_fma_f64 v[120:121], v[116:117], v[120:121], -v[134:135]
	scratch_load_b128 v[116:119], off, off offset:464
	s_wait_loadcnt_dscnt 0x901
	v_mul_f64_e32 v[130:131], v[2:3], v[106:107]
	v_mul_f64_e32 v[106:107], v[4:5], v[106:107]
	v_add_f64_e32 v[128:129], v[128:129], v[138:139]
	v_add_f64_e32 v[126:127], v[126:127], v[136:137]
	s_delay_alu instid0(VALU_DEP_4) | instskip(NEXT) | instid1(VALU_DEP_4)
	v_fma_f64 v[130:131], v[4:5], v[104:105], v[130:131]
	v_fma_f64 v[136:137], v[2:3], v[104:105], -v[106:107]
	ds_load_b128 v[2:5], v1 offset:880
	s_wait_loadcnt_dscnt 0x801
	v_mul_f64_e32 v[134:135], v[122:123], v[8:9]
	v_mul_f64_e32 v[8:9], v[124:125], v[8:9]
	scratch_load_b128 v[104:107], off, off offset:480
	s_wait_loadcnt_dscnt 0x800
	v_mul_f64_e32 v[138:139], v[2:3], v[13:14]
	v_add_f64_e32 v[120:121], v[128:129], v[120:121]
	v_add_f64_e32 v[132:133], v[126:127], v[132:133]
	v_mul_f64_e32 v[13:14], v[4:5], v[13:14]
	ds_load_b128 v[126:129], v1 offset:896
	v_fma_f64 v[124:125], v[124:125], v[6:7], v[134:135]
	v_fma_f64 v[122:123], v[122:123], v[6:7], -v[8:9]
	scratch_load_b128 v[6:9], off, off offset:496
	v_fma_f64 v[134:135], v[4:5], v[11:12], v[138:139]
	v_add_f64_e32 v[120:121], v[120:121], v[136:137]
	v_add_f64_e32 v[130:131], v[132:133], v[130:131]
	v_fma_f64 v[136:137], v[2:3], v[11:12], -v[13:14]
	ds_load_b128 v[2:5], v1 offset:912
	s_wait_loadcnt_dscnt 0x801
	v_mul_f64_e32 v[132:133], v[126:127], v[17:18]
	v_mul_f64_e32 v[17:18], v[128:129], v[17:18]
	scratch_load_b128 v[11:14], off, off offset:512
	v_add_f64_e32 v[138:139], v[120:121], v[122:123]
	v_add_f64_e32 v[124:125], v[130:131], v[124:125]
	s_wait_loadcnt_dscnt 0x800
	v_mul_f64_e32 v[130:131], v[2:3], v[21:22]
	v_mul_f64_e32 v[21:22], v[4:5], v[21:22]
	v_fma_f64 v[128:129], v[128:129], v[15:16], v[132:133]
	v_fma_f64 v[126:127], v[126:127], v[15:16], -v[17:18]
	ds_load_b128 v[120:123], v1 offset:928
	scratch_load_b128 v[15:18], off, off offset:528
	v_add_f64_e32 v[132:133], v[138:139], v[136:137]
	v_add_f64_e32 v[124:125], v[124:125], v[134:135]
	v_fma_f64 v[130:131], v[4:5], v[19:20], v[130:131]
	v_fma_f64 v[136:137], v[2:3], v[19:20], -v[21:22]
	ds_load_b128 v[2:5], v1 offset:944
	s_wait_loadcnt_dscnt 0x801
	v_mul_f64_e32 v[134:135], v[120:121], v[94:95]
	v_mul_f64_e32 v[94:95], v[122:123], v[94:95]
	scratch_load_b128 v[19:22], off, off offset:544
	s_wait_loadcnt_dscnt 0x800
	v_mul_f64_e32 v[138:139], v[2:3], v[98:99]
	v_mul_f64_e32 v[98:99], v[4:5], v[98:99]
	v_add_f64_e32 v[132:133], v[132:133], v[126:127]
	v_add_f64_e32 v[128:129], v[124:125], v[128:129]
	ds_load_b128 v[124:127], v1 offset:960
	v_fma_f64 v[122:123], v[122:123], v[92:93], v[134:135]
	v_fma_f64 v[92:93], v[120:121], v[92:93], -v[94:95]
	v_add_f64_e32 v[94:95], v[132:133], v[136:137]
	v_add_f64_e32 v[120:121], v[128:129], v[130:131]
	s_wait_loadcnt_dscnt 0x700
	v_mul_f64_e32 v[128:129], v[124:125], v[102:103]
	v_mul_f64_e32 v[102:103], v[126:127], v[102:103]
	v_fma_f64 v[130:131], v[4:5], v[96:97], v[138:139]
	v_fma_f64 v[96:97], v[2:3], v[96:97], -v[98:99]
	v_add_f64_e32 v[98:99], v[94:95], v[92:93]
	v_add_f64_e32 v[120:121], v[120:121], v[122:123]
	ds_load_b128 v[2:5], v1 offset:976
	ds_load_b128 v[92:95], v1 offset:992
	v_fma_f64 v[126:127], v[126:127], v[100:101], v[128:129]
	v_fma_f64 v[100:101], v[124:125], v[100:101], -v[102:103]
	s_wait_loadcnt_dscnt 0x601
	v_mul_f64_e32 v[122:123], v[2:3], v[110:111]
	v_mul_f64_e32 v[110:111], v[4:5], v[110:111]
	s_wait_loadcnt_dscnt 0x500
	v_mul_f64_e32 v[102:103], v[92:93], v[118:119]
	v_mul_f64_e32 v[118:119], v[94:95], v[118:119]
	v_add_f64_e32 v[96:97], v[98:99], v[96:97]
	v_add_f64_e32 v[98:99], v[120:121], v[130:131]
	v_fma_f64 v[120:121], v[4:5], v[108:109], v[122:123]
	v_fma_f64 v[108:109], v[2:3], v[108:109], -v[110:111]
	v_fma_f64 v[94:95], v[94:95], v[116:117], v[102:103]
	v_fma_f64 v[92:93], v[92:93], v[116:117], -v[118:119]
	v_add_f64_e32 v[100:101], v[96:97], v[100:101]
	v_add_f64_e32 v[110:111], v[98:99], v[126:127]
	ds_load_b128 v[2:5], v1 offset:1008
	ds_load_b128 v[96:99], v1 offset:1024
	s_wait_loadcnt_dscnt 0x401
	v_mul_f64_e32 v[122:123], v[2:3], v[106:107]
	v_mul_f64_e32 v[106:107], v[4:5], v[106:107]
	v_add_f64_e32 v[100:101], v[100:101], v[108:109]
	v_add_f64_e32 v[102:103], v[110:111], v[120:121]
	s_wait_loadcnt_dscnt 0x300
	v_mul_f64_e32 v[108:109], v[96:97], v[8:9]
	v_mul_f64_e32 v[8:9], v[98:99], v[8:9]
	v_fma_f64 v[110:111], v[4:5], v[104:105], v[122:123]
	v_fma_f64 v[104:105], v[2:3], v[104:105], -v[106:107]
	v_add_f64_e32 v[100:101], v[100:101], v[92:93]
	v_add_f64_e32 v[102:103], v[102:103], v[94:95]
	ds_load_b128 v[2:5], v1 offset:1040
	ds_load_b128 v[92:95], v1 offset:1056
	v_fma_f64 v[98:99], v[98:99], v[6:7], v[108:109]
	v_fma_f64 v[6:7], v[96:97], v[6:7], -v[8:9]
	s_wait_loadcnt_dscnt 0x201
	v_mul_f64_e32 v[106:107], v[2:3], v[13:14]
	v_mul_f64_e32 v[13:14], v[4:5], v[13:14]
	v_add_f64_e32 v[8:9], v[100:101], v[104:105]
	v_add_f64_e32 v[96:97], v[102:103], v[110:111]
	s_wait_loadcnt_dscnt 0x100
	v_mul_f64_e32 v[100:101], v[92:93], v[17:18]
	v_mul_f64_e32 v[17:18], v[94:95], v[17:18]
	v_fma_f64 v[102:103], v[4:5], v[11:12], v[106:107]
	v_fma_f64 v[11:12], v[2:3], v[11:12], -v[13:14]
	ds_load_b128 v[2:5], v1 offset:1072
	v_add_f64_e32 v[6:7], v[8:9], v[6:7]
	v_add_f64_e32 v[8:9], v[96:97], v[98:99]
	v_fma_f64 v[94:95], v[94:95], v[15:16], v[100:101]
	v_fma_f64 v[15:16], v[92:93], v[15:16], -v[17:18]
	s_wait_loadcnt_dscnt 0x0
	v_mul_f64_e32 v[13:14], v[2:3], v[21:22]
	v_mul_f64_e32 v[21:22], v[4:5], v[21:22]
	v_add_f64_e32 v[6:7], v[6:7], v[11:12]
	v_add_f64_e32 v[8:9], v[8:9], v[102:103]
	s_delay_alu instid0(VALU_DEP_4) | instskip(NEXT) | instid1(VALU_DEP_4)
	v_fma_f64 v[4:5], v[4:5], v[19:20], v[13:14]
	v_fma_f64 v[2:3], v[2:3], v[19:20], -v[21:22]
	s_delay_alu instid0(VALU_DEP_4) | instskip(NEXT) | instid1(VALU_DEP_4)
	v_add_f64_e32 v[6:7], v[6:7], v[15:16]
	v_add_f64_e32 v[8:9], v[8:9], v[94:95]
	s_delay_alu instid0(VALU_DEP_2) | instskip(NEXT) | instid1(VALU_DEP_2)
	v_add_f64_e32 v[2:3], v[6:7], v[2:3]
	v_add_f64_e32 v[4:5], v[8:9], v[4:5]
	s_delay_alu instid0(VALU_DEP_2) | instskip(NEXT) | instid1(VALU_DEP_2)
	v_add_f64_e64 v[2:3], v[112:113], -v[2:3]
	v_add_f64_e64 v[4:5], v[114:115], -v[4:5]
	scratch_store_b128 off, v[2:5], off offset:144
	v_cmpx_lt_u32_e32 7, v0
	s_cbranch_execz .LBB97_203
; %bb.202:
	scratch_load_b128 v[5:8], off, s5
	v_dual_mov_b32 v2, v1 :: v_dual_mov_b32 v3, v1
	v_mov_b32_e32 v4, v1
	scratch_store_b128 off, v[1:4], off offset:128
	s_wait_loadcnt 0x0
	ds_store_b128 v10, v[5:8]
.LBB97_203:
	s_wait_alu 0xfffe
	s_or_b32 exec_lo, exec_lo, s0
	s_wait_storecnt_dscnt 0x0
	s_barrier_signal -1
	s_barrier_wait -1
	global_inv scope:SCOPE_SE
	s_clause 0x8
	scratch_load_b128 v[2:5], off, off offset:144
	scratch_load_b128 v[6:9], off, off offset:160
	;; [unrolled: 1-line block ×9, first 2 shown]
	ds_load_b128 v[108:111], v1 offset:672
	ds_load_b128 v[112:115], v1 offset:688
	s_clause 0x1
	scratch_load_b128 v[116:119], off, off offset:128
	scratch_load_b128 v[120:123], off, off offset:288
	s_mov_b32 s0, exec_lo
	s_wait_loadcnt_dscnt 0xa01
	v_mul_f64_e32 v[124:125], v[110:111], v[4:5]
	v_mul_f64_e32 v[4:5], v[108:109], v[4:5]
	s_wait_loadcnt_dscnt 0x900
	v_mul_f64_e32 v[128:129], v[112:113], v[8:9]
	v_mul_f64_e32 v[8:9], v[114:115], v[8:9]
	s_delay_alu instid0(VALU_DEP_4) | instskip(NEXT) | instid1(VALU_DEP_4)
	v_fma_f64 v[130:131], v[108:109], v[2:3], -v[124:125]
	v_fma_f64 v[132:133], v[110:111], v[2:3], v[4:5]
	ds_load_b128 v[2:5], v1 offset:704
	ds_load_b128 v[124:127], v1 offset:720
	scratch_load_b128 v[108:111], off, off offset:304
	v_fma_f64 v[114:115], v[114:115], v[6:7], v[128:129]
	v_fma_f64 v[112:113], v[112:113], v[6:7], -v[8:9]
	scratch_load_b128 v[6:9], off, off offset:320
	s_wait_loadcnt_dscnt 0xa01
	v_mul_f64_e32 v[134:135], v[2:3], v[13:14]
	v_mul_f64_e32 v[13:14], v[4:5], v[13:14]
	v_add_f64_e32 v[128:129], 0, v[130:131]
	v_add_f64_e32 v[130:131], 0, v[132:133]
	s_wait_loadcnt_dscnt 0x900
	v_mul_f64_e32 v[132:133], v[124:125], v[17:18]
	v_mul_f64_e32 v[17:18], v[126:127], v[17:18]
	v_fma_f64 v[134:135], v[4:5], v[11:12], v[134:135]
	v_fma_f64 v[136:137], v[2:3], v[11:12], -v[13:14]
	ds_load_b128 v[2:5], v1 offset:736
	scratch_load_b128 v[11:14], off, off offset:336
	v_add_f64_e32 v[128:129], v[128:129], v[112:113]
	v_add_f64_e32 v[130:131], v[130:131], v[114:115]
	ds_load_b128 v[112:115], v1 offset:752
	v_fma_f64 v[126:127], v[126:127], v[15:16], v[132:133]
	v_fma_f64 v[124:125], v[124:125], v[15:16], -v[17:18]
	scratch_load_b128 v[15:18], off, off offset:352
	s_wait_loadcnt_dscnt 0xa01
	v_mul_f64_e32 v[138:139], v[2:3], v[21:22]
	v_mul_f64_e32 v[21:22], v[4:5], v[21:22]
	s_wait_loadcnt_dscnt 0x900
	v_mul_f64_e32 v[132:133], v[112:113], v[94:95]
	v_mul_f64_e32 v[94:95], v[114:115], v[94:95]
	v_add_f64_e32 v[128:129], v[128:129], v[136:137]
	v_add_f64_e32 v[130:131], v[130:131], v[134:135]
	v_fma_f64 v[134:135], v[4:5], v[19:20], v[138:139]
	v_fma_f64 v[136:137], v[2:3], v[19:20], -v[21:22]
	ds_load_b128 v[2:5], v1 offset:768
	scratch_load_b128 v[19:22], off, off offset:368
	v_fma_f64 v[114:115], v[114:115], v[92:93], v[132:133]
	v_fma_f64 v[112:113], v[112:113], v[92:93], -v[94:95]
	scratch_load_b128 v[92:95], off, off offset:384
	v_add_f64_e32 v[128:129], v[128:129], v[124:125]
	v_add_f64_e32 v[130:131], v[130:131], v[126:127]
	ds_load_b128 v[124:127], v1 offset:784
	s_wait_loadcnt_dscnt 0xa01
	v_mul_f64_e32 v[138:139], v[2:3], v[98:99]
	v_mul_f64_e32 v[98:99], v[4:5], v[98:99]
	s_wait_loadcnt_dscnt 0x900
	v_mul_f64_e32 v[132:133], v[124:125], v[102:103]
	v_mul_f64_e32 v[102:103], v[126:127], v[102:103]
	v_add_f64_e32 v[128:129], v[128:129], v[136:137]
	v_add_f64_e32 v[130:131], v[130:131], v[134:135]
	v_fma_f64 v[134:135], v[4:5], v[96:97], v[138:139]
	v_fma_f64 v[136:137], v[2:3], v[96:97], -v[98:99]
	ds_load_b128 v[2:5], v1 offset:800
	scratch_load_b128 v[96:99], off, off offset:400
	v_fma_f64 v[126:127], v[126:127], v[100:101], v[132:133]
	v_fma_f64 v[124:125], v[124:125], v[100:101], -v[102:103]
	scratch_load_b128 v[100:103], off, off offset:416
	v_add_f64_e32 v[128:129], v[128:129], v[112:113]
	v_add_f64_e32 v[130:131], v[130:131], v[114:115]
	ds_load_b128 v[112:115], v1 offset:816
	s_wait_loadcnt_dscnt 0xa01
	v_mul_f64_e32 v[138:139], v[2:3], v[106:107]
	v_mul_f64_e32 v[106:107], v[4:5], v[106:107]
	s_wait_loadcnt_dscnt 0x800
	v_mul_f64_e32 v[132:133], v[112:113], v[122:123]
	v_add_f64_e32 v[128:129], v[128:129], v[136:137]
	v_add_f64_e32 v[130:131], v[130:131], v[134:135]
	v_mul_f64_e32 v[134:135], v[114:115], v[122:123]
	v_fma_f64 v[136:137], v[4:5], v[104:105], v[138:139]
	v_fma_f64 v[138:139], v[2:3], v[104:105], -v[106:107]
	ds_load_b128 v[2:5], v1 offset:832
	scratch_load_b128 v[104:107], off, off offset:432
	v_fma_f64 v[114:115], v[114:115], v[120:121], v[132:133]
	v_add_f64_e32 v[128:129], v[128:129], v[124:125]
	v_add_f64_e32 v[126:127], v[130:131], v[126:127]
	ds_load_b128 v[122:125], v1 offset:848
	v_fma_f64 v[120:121], v[112:113], v[120:121], -v[134:135]
	s_wait_loadcnt_dscnt 0x801
	v_mul_f64_e32 v[130:131], v[2:3], v[110:111]
	v_mul_f64_e32 v[140:141], v[4:5], v[110:111]
	scratch_load_b128 v[110:113], off, off offset:448
	s_wait_loadcnt_dscnt 0x800
	v_mul_f64_e32 v[134:135], v[122:123], v[8:9]
	v_mul_f64_e32 v[8:9], v[124:125], v[8:9]
	v_add_f64_e32 v[128:129], v[128:129], v[138:139]
	v_add_f64_e32 v[126:127], v[126:127], v[136:137]
	v_fma_f64 v[136:137], v[4:5], v[108:109], v[130:131]
	v_fma_f64 v[108:109], v[2:3], v[108:109], -v[140:141]
	ds_load_b128 v[2:5], v1 offset:864
	ds_load_b128 v[130:133], v1 offset:880
	v_fma_f64 v[124:125], v[124:125], v[6:7], v[134:135]
	v_fma_f64 v[122:123], v[122:123], v[6:7], -v[8:9]
	scratch_load_b128 v[6:9], off, off offset:480
	v_add_f64_e32 v[120:121], v[128:129], v[120:121]
	v_add_f64_e32 v[114:115], v[126:127], v[114:115]
	scratch_load_b128 v[126:129], off, off offset:464
	s_wait_loadcnt_dscnt 0x901
	v_mul_f64_e32 v[138:139], v[2:3], v[13:14]
	v_mul_f64_e32 v[13:14], v[4:5], v[13:14]
	s_wait_loadcnt_dscnt 0x800
	v_mul_f64_e32 v[134:135], v[130:131], v[17:18]
	v_mul_f64_e32 v[17:18], v[132:133], v[17:18]
	v_add_f64_e32 v[108:109], v[120:121], v[108:109]
	v_add_f64_e32 v[114:115], v[114:115], v[136:137]
	v_fma_f64 v[136:137], v[4:5], v[11:12], v[138:139]
	v_fma_f64 v[138:139], v[2:3], v[11:12], -v[13:14]
	ds_load_b128 v[2:5], v1 offset:896
	scratch_load_b128 v[11:14], off, off offset:496
	v_fma_f64 v[132:133], v[132:133], v[15:16], v[134:135]
	v_fma_f64 v[130:131], v[130:131], v[15:16], -v[17:18]
	scratch_load_b128 v[15:18], off, off offset:512
	v_add_f64_e32 v[108:109], v[108:109], v[122:123]
	v_add_f64_e32 v[114:115], v[114:115], v[124:125]
	ds_load_b128 v[120:123], v1 offset:912
	s_wait_loadcnt_dscnt 0x901
	v_mul_f64_e32 v[124:125], v[2:3], v[21:22]
	v_mul_f64_e32 v[21:22], v[4:5], v[21:22]
	s_wait_loadcnt_dscnt 0x800
	v_mul_f64_e32 v[134:135], v[120:121], v[94:95]
	v_mul_f64_e32 v[94:95], v[122:123], v[94:95]
	v_add_f64_e32 v[108:109], v[108:109], v[138:139]
	v_add_f64_e32 v[114:115], v[114:115], v[136:137]
	v_fma_f64 v[124:125], v[4:5], v[19:20], v[124:125]
	v_fma_f64 v[136:137], v[2:3], v[19:20], -v[21:22]
	ds_load_b128 v[2:5], v1 offset:928
	scratch_load_b128 v[19:22], off, off offset:528
	v_fma_f64 v[122:123], v[122:123], v[92:93], v[134:135]
	v_fma_f64 v[120:121], v[120:121], v[92:93], -v[94:95]
	scratch_load_b128 v[92:95], off, off offset:544
	v_add_f64_e32 v[108:109], v[108:109], v[130:131]
	v_add_f64_e32 v[114:115], v[114:115], v[132:133]
	ds_load_b128 v[130:133], v1 offset:944
	s_wait_loadcnt_dscnt 0x901
	v_mul_f64_e32 v[138:139], v[2:3], v[98:99]
	v_mul_f64_e32 v[98:99], v[4:5], v[98:99]
	v_add_f64_e32 v[108:109], v[108:109], v[136:137]
	v_add_f64_e32 v[114:115], v[114:115], v[124:125]
	s_wait_loadcnt_dscnt 0x800
	v_mul_f64_e32 v[124:125], v[130:131], v[102:103]
	v_mul_f64_e32 v[102:103], v[132:133], v[102:103]
	v_fma_f64 v[134:135], v[4:5], v[96:97], v[138:139]
	v_fma_f64 v[136:137], v[2:3], v[96:97], -v[98:99]
	ds_load_b128 v[2:5], v1 offset:960
	ds_load_b128 v[96:99], v1 offset:976
	v_add_f64_e32 v[108:109], v[108:109], v[120:121]
	v_add_f64_e32 v[114:115], v[114:115], v[122:123]
	s_wait_loadcnt_dscnt 0x701
	v_mul_f64_e32 v[120:121], v[2:3], v[106:107]
	v_mul_f64_e32 v[106:107], v[4:5], v[106:107]
	v_fma_f64 v[122:123], v[132:133], v[100:101], v[124:125]
	v_fma_f64 v[100:101], v[130:131], v[100:101], -v[102:103]
	v_add_f64_e32 v[102:103], v[108:109], v[136:137]
	v_add_f64_e32 v[108:109], v[114:115], v[134:135]
	s_wait_loadcnt_dscnt 0x600
	v_mul_f64_e32 v[114:115], v[96:97], v[112:113]
	v_mul_f64_e32 v[112:113], v[98:99], v[112:113]
	v_fma_f64 v[120:121], v[4:5], v[104:105], v[120:121]
	v_fma_f64 v[104:105], v[2:3], v[104:105], -v[106:107]
	v_add_f64_e32 v[106:107], v[102:103], v[100:101]
	v_add_f64_e32 v[108:109], v[108:109], v[122:123]
	ds_load_b128 v[2:5], v1 offset:992
	ds_load_b128 v[100:103], v1 offset:1008
	v_fma_f64 v[98:99], v[98:99], v[110:111], v[114:115]
	v_fma_f64 v[96:97], v[96:97], v[110:111], -v[112:113]
	s_wait_loadcnt_dscnt 0x401
	v_mul_f64_e32 v[122:123], v[2:3], v[128:129]
	v_mul_f64_e32 v[124:125], v[4:5], v[128:129]
	v_add_f64_e32 v[104:105], v[106:107], v[104:105]
	v_add_f64_e32 v[106:107], v[108:109], v[120:121]
	s_wait_dscnt 0x0
	v_mul_f64_e32 v[108:109], v[100:101], v[8:9]
	v_mul_f64_e32 v[8:9], v[102:103], v[8:9]
	v_fma_f64 v[110:111], v[4:5], v[126:127], v[122:123]
	v_fma_f64 v[112:113], v[2:3], v[126:127], -v[124:125]
	v_add_f64_e32 v[104:105], v[104:105], v[96:97]
	v_add_f64_e32 v[106:107], v[106:107], v[98:99]
	ds_load_b128 v[2:5], v1 offset:1024
	ds_load_b128 v[96:99], v1 offset:1040
	v_fma_f64 v[102:103], v[102:103], v[6:7], v[108:109]
	v_fma_f64 v[6:7], v[100:101], v[6:7], -v[8:9]
	s_wait_loadcnt_dscnt 0x301
	v_mul_f64_e32 v[114:115], v[2:3], v[13:14]
	v_mul_f64_e32 v[13:14], v[4:5], v[13:14]
	v_add_f64_e32 v[8:9], v[104:105], v[112:113]
	v_add_f64_e32 v[100:101], v[106:107], v[110:111]
	s_wait_loadcnt_dscnt 0x200
	v_mul_f64_e32 v[104:105], v[96:97], v[17:18]
	v_mul_f64_e32 v[17:18], v[98:99], v[17:18]
	v_fma_f64 v[106:107], v[4:5], v[11:12], v[114:115]
	v_fma_f64 v[11:12], v[2:3], v[11:12], -v[13:14]
	v_add_f64_e32 v[13:14], v[8:9], v[6:7]
	v_add_f64_e32 v[100:101], v[100:101], v[102:103]
	ds_load_b128 v[2:5], v1 offset:1056
	ds_load_b128 v[6:9], v1 offset:1072
	v_fma_f64 v[98:99], v[98:99], v[15:16], v[104:105]
	v_fma_f64 v[15:16], v[96:97], v[15:16], -v[17:18]
	s_wait_loadcnt_dscnt 0x101
	v_mul_f64_e32 v[102:103], v[2:3], v[21:22]
	v_mul_f64_e32 v[21:22], v[4:5], v[21:22]
	s_wait_loadcnt_dscnt 0x0
	v_mul_f64_e32 v[17:18], v[6:7], v[94:95]
	v_mul_f64_e32 v[94:95], v[8:9], v[94:95]
	v_add_f64_e32 v[11:12], v[13:14], v[11:12]
	v_add_f64_e32 v[13:14], v[100:101], v[106:107]
	v_fma_f64 v[4:5], v[4:5], v[19:20], v[102:103]
	v_fma_f64 v[1:2], v[2:3], v[19:20], -v[21:22]
	v_fma_f64 v[8:9], v[8:9], v[92:93], v[17:18]
	v_fma_f64 v[6:7], v[6:7], v[92:93], -v[94:95]
	v_add_f64_e32 v[11:12], v[11:12], v[15:16]
	v_add_f64_e32 v[13:14], v[13:14], v[98:99]
	s_delay_alu instid0(VALU_DEP_2) | instskip(NEXT) | instid1(VALU_DEP_2)
	v_add_f64_e32 v[1:2], v[11:12], v[1:2]
	v_add_f64_e32 v[3:4], v[13:14], v[4:5]
	s_delay_alu instid0(VALU_DEP_2) | instskip(NEXT) | instid1(VALU_DEP_2)
	;; [unrolled: 3-line block ×3, first 2 shown]
	v_add_f64_e64 v[1:2], v[116:117], -v[1:2]
	v_add_f64_e64 v[3:4], v[118:119], -v[3:4]
	scratch_store_b128 off, v[1:4], off offset:128
	v_cmpx_lt_u32_e32 6, v0
	s_cbranch_execz .LBB97_205
; %bb.204:
	scratch_load_b128 v[1:4], off, s26
	v_mov_b32_e32 v5, 0
	s_delay_alu instid0(VALU_DEP_1)
	v_dual_mov_b32 v6, v5 :: v_dual_mov_b32 v7, v5
	v_mov_b32_e32 v8, v5
	scratch_store_b128 off, v[5:8], off offset:112
	s_wait_loadcnt 0x0
	ds_store_b128 v10, v[1:4]
.LBB97_205:
	s_wait_alu 0xfffe
	s_or_b32 exec_lo, exec_lo, s0
	s_wait_storecnt_dscnt 0x0
	s_barrier_signal -1
	s_barrier_wait -1
	global_inv scope:SCOPE_SE
	s_clause 0x7
	scratch_load_b128 v[2:5], off, off offset:128
	scratch_load_b128 v[6:9], off, off offset:144
	;; [unrolled: 1-line block ×8, first 2 shown]
	v_mov_b32_e32 v1, 0
	s_mov_b32 s0, exec_lo
	ds_load_b128 v[104:107], v1 offset:656
	s_clause 0x1
	scratch_load_b128 v[108:111], off, off offset:256
	scratch_load_b128 v[112:115], off, off offset:112
	ds_load_b128 v[116:119], v1 offset:672
	scratch_load_b128 v[120:123], off, off offset:272
	s_wait_loadcnt_dscnt 0xa01
	v_mul_f64_e32 v[124:125], v[106:107], v[4:5]
	v_mul_f64_e32 v[4:5], v[104:105], v[4:5]
	s_delay_alu instid0(VALU_DEP_2) | instskip(NEXT) | instid1(VALU_DEP_2)
	v_fma_f64 v[130:131], v[104:105], v[2:3], -v[124:125]
	v_fma_f64 v[132:133], v[106:107], v[2:3], v[4:5]
	ds_load_b128 v[2:5], v1 offset:688
	s_wait_loadcnt_dscnt 0x901
	v_mul_f64_e32 v[128:129], v[116:117], v[8:9]
	v_mul_f64_e32 v[8:9], v[118:119], v[8:9]
	scratch_load_b128 v[104:107], off, off offset:288
	ds_load_b128 v[124:127], v1 offset:704
	s_wait_loadcnt_dscnt 0x901
	v_mul_f64_e32 v[134:135], v[2:3], v[13:14]
	v_mul_f64_e32 v[13:14], v[4:5], v[13:14]
	v_fma_f64 v[118:119], v[118:119], v[6:7], v[128:129]
	v_fma_f64 v[116:117], v[116:117], v[6:7], -v[8:9]
	v_add_f64_e32 v[128:129], 0, v[130:131]
	v_add_f64_e32 v[130:131], 0, v[132:133]
	scratch_load_b128 v[6:9], off, off offset:304
	v_fma_f64 v[134:135], v[4:5], v[11:12], v[134:135]
	v_fma_f64 v[136:137], v[2:3], v[11:12], -v[13:14]
	ds_load_b128 v[2:5], v1 offset:720
	s_wait_loadcnt_dscnt 0x901
	v_mul_f64_e32 v[132:133], v[124:125], v[17:18]
	v_mul_f64_e32 v[17:18], v[126:127], v[17:18]
	scratch_load_b128 v[11:14], off, off offset:320
	v_add_f64_e32 v[128:129], v[128:129], v[116:117]
	v_add_f64_e32 v[130:131], v[130:131], v[118:119]
	s_wait_loadcnt_dscnt 0x900
	v_mul_f64_e32 v[138:139], v[2:3], v[21:22]
	v_mul_f64_e32 v[21:22], v[4:5], v[21:22]
	ds_load_b128 v[116:119], v1 offset:736
	v_fma_f64 v[126:127], v[126:127], v[15:16], v[132:133]
	v_fma_f64 v[124:125], v[124:125], v[15:16], -v[17:18]
	scratch_load_b128 v[15:18], off, off offset:336
	v_add_f64_e32 v[128:129], v[128:129], v[136:137]
	v_add_f64_e32 v[130:131], v[130:131], v[134:135]
	v_fma_f64 v[134:135], v[4:5], v[19:20], v[138:139]
	v_fma_f64 v[136:137], v[2:3], v[19:20], -v[21:22]
	ds_load_b128 v[2:5], v1 offset:752
	s_wait_loadcnt_dscnt 0x901
	v_mul_f64_e32 v[132:133], v[116:117], v[94:95]
	v_mul_f64_e32 v[94:95], v[118:119], v[94:95]
	scratch_load_b128 v[19:22], off, off offset:352
	s_wait_loadcnt_dscnt 0x900
	v_mul_f64_e32 v[138:139], v[2:3], v[98:99]
	v_mul_f64_e32 v[98:99], v[4:5], v[98:99]
	v_add_f64_e32 v[128:129], v[128:129], v[124:125]
	v_add_f64_e32 v[130:131], v[130:131], v[126:127]
	ds_load_b128 v[124:127], v1 offset:768
	v_fma_f64 v[118:119], v[118:119], v[92:93], v[132:133]
	v_fma_f64 v[116:117], v[116:117], v[92:93], -v[94:95]
	scratch_load_b128 v[92:95], off, off offset:368
	v_add_f64_e32 v[128:129], v[128:129], v[136:137]
	v_add_f64_e32 v[130:131], v[130:131], v[134:135]
	v_fma_f64 v[134:135], v[4:5], v[96:97], v[138:139]
	v_fma_f64 v[136:137], v[2:3], v[96:97], -v[98:99]
	ds_load_b128 v[2:5], v1 offset:784
	s_wait_loadcnt_dscnt 0x901
	v_mul_f64_e32 v[132:133], v[124:125], v[102:103]
	v_mul_f64_e32 v[102:103], v[126:127], v[102:103]
	scratch_load_b128 v[96:99], off, off offset:384
	s_wait_loadcnt_dscnt 0x900
	v_mul_f64_e32 v[138:139], v[2:3], v[110:111]
	v_mul_f64_e32 v[110:111], v[4:5], v[110:111]
	v_add_f64_e32 v[128:129], v[128:129], v[116:117]
	v_add_f64_e32 v[130:131], v[130:131], v[118:119]
	ds_load_b128 v[116:119], v1 offset:800
	v_fma_f64 v[126:127], v[126:127], v[100:101], v[132:133]
	v_fma_f64 v[124:125], v[124:125], v[100:101], -v[102:103]
	scratch_load_b128 v[100:103], off, off offset:400
	v_add_f64_e32 v[128:129], v[128:129], v[136:137]
	v_add_f64_e32 v[130:131], v[130:131], v[134:135]
	v_fma_f64 v[136:137], v[4:5], v[108:109], v[138:139]
	v_fma_f64 v[138:139], v[2:3], v[108:109], -v[110:111]
	ds_load_b128 v[2:5], v1 offset:816
	s_wait_loadcnt_dscnt 0x801
	v_mul_f64_e32 v[132:133], v[116:117], v[122:123]
	v_mul_f64_e32 v[134:135], v[118:119], v[122:123]
	scratch_load_b128 v[108:111], off, off offset:416
	v_add_f64_e32 v[128:129], v[128:129], v[124:125]
	v_add_f64_e32 v[126:127], v[130:131], v[126:127]
	ds_load_b128 v[122:125], v1 offset:832
	v_fma_f64 v[132:133], v[118:119], v[120:121], v[132:133]
	v_fma_f64 v[120:121], v[116:117], v[120:121], -v[134:135]
	scratch_load_b128 v[116:119], off, off offset:432
	s_wait_loadcnt_dscnt 0x901
	v_mul_f64_e32 v[130:131], v[2:3], v[106:107]
	v_mul_f64_e32 v[106:107], v[4:5], v[106:107]
	v_add_f64_e32 v[128:129], v[128:129], v[138:139]
	v_add_f64_e32 v[126:127], v[126:127], v[136:137]
	s_delay_alu instid0(VALU_DEP_4) | instskip(NEXT) | instid1(VALU_DEP_4)
	v_fma_f64 v[130:131], v[4:5], v[104:105], v[130:131]
	v_fma_f64 v[136:137], v[2:3], v[104:105], -v[106:107]
	ds_load_b128 v[2:5], v1 offset:848
	s_wait_loadcnt_dscnt 0x801
	v_mul_f64_e32 v[134:135], v[122:123], v[8:9]
	v_mul_f64_e32 v[8:9], v[124:125], v[8:9]
	scratch_load_b128 v[104:107], off, off offset:448
	s_wait_loadcnt_dscnt 0x800
	v_mul_f64_e32 v[138:139], v[2:3], v[13:14]
	v_add_f64_e32 v[120:121], v[128:129], v[120:121]
	v_add_f64_e32 v[132:133], v[126:127], v[132:133]
	v_mul_f64_e32 v[13:14], v[4:5], v[13:14]
	ds_load_b128 v[126:129], v1 offset:864
	v_fma_f64 v[124:125], v[124:125], v[6:7], v[134:135]
	v_fma_f64 v[122:123], v[122:123], v[6:7], -v[8:9]
	scratch_load_b128 v[6:9], off, off offset:464
	v_fma_f64 v[134:135], v[4:5], v[11:12], v[138:139]
	v_add_f64_e32 v[120:121], v[120:121], v[136:137]
	v_add_f64_e32 v[130:131], v[132:133], v[130:131]
	v_fma_f64 v[136:137], v[2:3], v[11:12], -v[13:14]
	ds_load_b128 v[2:5], v1 offset:880
	s_wait_loadcnt_dscnt 0x801
	v_mul_f64_e32 v[132:133], v[126:127], v[17:18]
	v_mul_f64_e32 v[17:18], v[128:129], v[17:18]
	scratch_load_b128 v[11:14], off, off offset:480
	v_add_f64_e32 v[138:139], v[120:121], v[122:123]
	v_add_f64_e32 v[124:125], v[130:131], v[124:125]
	s_wait_loadcnt_dscnt 0x800
	v_mul_f64_e32 v[130:131], v[2:3], v[21:22]
	v_mul_f64_e32 v[21:22], v[4:5], v[21:22]
	v_fma_f64 v[128:129], v[128:129], v[15:16], v[132:133]
	v_fma_f64 v[126:127], v[126:127], v[15:16], -v[17:18]
	ds_load_b128 v[120:123], v1 offset:896
	scratch_load_b128 v[15:18], off, off offset:496
	v_add_f64_e32 v[132:133], v[138:139], v[136:137]
	v_add_f64_e32 v[124:125], v[124:125], v[134:135]
	v_fma_f64 v[130:131], v[4:5], v[19:20], v[130:131]
	v_fma_f64 v[136:137], v[2:3], v[19:20], -v[21:22]
	ds_load_b128 v[2:5], v1 offset:912
	s_wait_loadcnt_dscnt 0x801
	v_mul_f64_e32 v[134:135], v[120:121], v[94:95]
	v_mul_f64_e32 v[94:95], v[122:123], v[94:95]
	scratch_load_b128 v[19:22], off, off offset:512
	s_wait_loadcnt_dscnt 0x800
	v_mul_f64_e32 v[138:139], v[2:3], v[98:99]
	v_mul_f64_e32 v[98:99], v[4:5], v[98:99]
	v_add_f64_e32 v[132:133], v[132:133], v[126:127]
	v_add_f64_e32 v[128:129], v[124:125], v[128:129]
	ds_load_b128 v[124:127], v1 offset:928
	v_fma_f64 v[122:123], v[122:123], v[92:93], v[134:135]
	v_fma_f64 v[120:121], v[120:121], v[92:93], -v[94:95]
	scratch_load_b128 v[92:95], off, off offset:528
	v_fma_f64 v[134:135], v[4:5], v[96:97], v[138:139]
	v_add_f64_e32 v[132:133], v[132:133], v[136:137]
	v_add_f64_e32 v[128:129], v[128:129], v[130:131]
	v_fma_f64 v[136:137], v[2:3], v[96:97], -v[98:99]
	ds_load_b128 v[2:5], v1 offset:944
	s_wait_loadcnt_dscnt 0x801
	v_mul_f64_e32 v[130:131], v[124:125], v[102:103]
	v_mul_f64_e32 v[102:103], v[126:127], v[102:103]
	scratch_load_b128 v[96:99], off, off offset:544
	s_wait_loadcnt_dscnt 0x800
	v_mul_f64_e32 v[138:139], v[2:3], v[110:111]
	v_mul_f64_e32 v[110:111], v[4:5], v[110:111]
	v_add_f64_e32 v[132:133], v[132:133], v[120:121]
	v_add_f64_e32 v[128:129], v[128:129], v[122:123]
	ds_load_b128 v[120:123], v1 offset:960
	v_fma_f64 v[126:127], v[126:127], v[100:101], v[130:131]
	v_fma_f64 v[100:101], v[124:125], v[100:101], -v[102:103]
	v_fma_f64 v[130:131], v[4:5], v[108:109], v[138:139]
	v_fma_f64 v[108:109], v[2:3], v[108:109], -v[110:111]
	v_add_f64_e32 v[102:103], v[132:133], v[136:137]
	v_add_f64_e32 v[124:125], v[128:129], v[134:135]
	s_wait_loadcnt_dscnt 0x700
	v_mul_f64_e32 v[128:129], v[120:121], v[118:119]
	v_mul_f64_e32 v[118:119], v[122:123], v[118:119]
	s_delay_alu instid0(VALU_DEP_4) | instskip(NEXT) | instid1(VALU_DEP_4)
	v_add_f64_e32 v[110:111], v[102:103], v[100:101]
	v_add_f64_e32 v[124:125], v[124:125], v[126:127]
	ds_load_b128 v[2:5], v1 offset:976
	ds_load_b128 v[100:103], v1 offset:992
	v_fma_f64 v[122:123], v[122:123], v[116:117], v[128:129]
	v_fma_f64 v[116:117], v[120:121], v[116:117], -v[118:119]
	s_wait_loadcnt_dscnt 0x601
	v_mul_f64_e32 v[126:127], v[2:3], v[106:107]
	v_mul_f64_e32 v[106:107], v[4:5], v[106:107]
	s_wait_loadcnt_dscnt 0x500
	v_mul_f64_e32 v[118:119], v[100:101], v[8:9]
	v_mul_f64_e32 v[8:9], v[102:103], v[8:9]
	v_add_f64_e32 v[108:109], v[110:111], v[108:109]
	v_add_f64_e32 v[110:111], v[124:125], v[130:131]
	v_fma_f64 v[120:121], v[4:5], v[104:105], v[126:127]
	v_fma_f64 v[124:125], v[2:3], v[104:105], -v[106:107]
	ds_load_b128 v[2:5], v1 offset:1008
	ds_load_b128 v[104:107], v1 offset:1024
	v_fma_f64 v[102:103], v[102:103], v[6:7], v[118:119]
	v_fma_f64 v[6:7], v[100:101], v[6:7], -v[8:9]
	v_add_f64_e32 v[108:109], v[108:109], v[116:117]
	v_add_f64_e32 v[110:111], v[110:111], v[122:123]
	s_wait_loadcnt_dscnt 0x401
	v_mul_f64_e32 v[116:117], v[2:3], v[13:14]
	v_mul_f64_e32 v[13:14], v[4:5], v[13:14]
	s_delay_alu instid0(VALU_DEP_4) | instskip(NEXT) | instid1(VALU_DEP_4)
	v_add_f64_e32 v[8:9], v[108:109], v[124:125]
	v_add_f64_e32 v[100:101], v[110:111], v[120:121]
	s_wait_loadcnt_dscnt 0x300
	v_mul_f64_e32 v[108:109], v[104:105], v[17:18]
	v_mul_f64_e32 v[17:18], v[106:107], v[17:18]
	v_fma_f64 v[110:111], v[4:5], v[11:12], v[116:117]
	v_fma_f64 v[11:12], v[2:3], v[11:12], -v[13:14]
	v_add_f64_e32 v[13:14], v[8:9], v[6:7]
	v_add_f64_e32 v[100:101], v[100:101], v[102:103]
	ds_load_b128 v[2:5], v1 offset:1040
	ds_load_b128 v[6:9], v1 offset:1056
	v_fma_f64 v[106:107], v[106:107], v[15:16], v[108:109]
	v_fma_f64 v[15:16], v[104:105], v[15:16], -v[17:18]
	s_wait_loadcnt_dscnt 0x201
	v_mul_f64_e32 v[102:103], v[2:3], v[21:22]
	v_mul_f64_e32 v[21:22], v[4:5], v[21:22]
	s_wait_loadcnt_dscnt 0x100
	v_mul_f64_e32 v[17:18], v[6:7], v[94:95]
	v_mul_f64_e32 v[94:95], v[8:9], v[94:95]
	v_add_f64_e32 v[11:12], v[13:14], v[11:12]
	v_add_f64_e32 v[13:14], v[100:101], v[110:111]
	v_fma_f64 v[100:101], v[4:5], v[19:20], v[102:103]
	v_fma_f64 v[19:20], v[2:3], v[19:20], -v[21:22]
	ds_load_b128 v[2:5], v1 offset:1072
	v_fma_f64 v[8:9], v[8:9], v[92:93], v[17:18]
	v_fma_f64 v[6:7], v[6:7], v[92:93], -v[94:95]
	v_add_f64_e32 v[11:12], v[11:12], v[15:16]
	v_add_f64_e32 v[13:14], v[13:14], v[106:107]
	s_wait_loadcnt_dscnt 0x0
	v_mul_f64_e32 v[15:16], v[2:3], v[98:99]
	v_mul_f64_e32 v[21:22], v[4:5], v[98:99]
	s_delay_alu instid0(VALU_DEP_4) | instskip(NEXT) | instid1(VALU_DEP_4)
	v_add_f64_e32 v[11:12], v[11:12], v[19:20]
	v_add_f64_e32 v[13:14], v[13:14], v[100:101]
	s_delay_alu instid0(VALU_DEP_4) | instskip(NEXT) | instid1(VALU_DEP_4)
	v_fma_f64 v[4:5], v[4:5], v[96:97], v[15:16]
	v_fma_f64 v[2:3], v[2:3], v[96:97], -v[21:22]
	s_delay_alu instid0(VALU_DEP_4) | instskip(NEXT) | instid1(VALU_DEP_4)
	v_add_f64_e32 v[6:7], v[11:12], v[6:7]
	v_add_f64_e32 v[8:9], v[13:14], v[8:9]
	s_delay_alu instid0(VALU_DEP_2) | instskip(NEXT) | instid1(VALU_DEP_2)
	v_add_f64_e32 v[2:3], v[6:7], v[2:3]
	v_add_f64_e32 v[4:5], v[8:9], v[4:5]
	s_delay_alu instid0(VALU_DEP_2) | instskip(NEXT) | instid1(VALU_DEP_2)
	v_add_f64_e64 v[2:3], v[112:113], -v[2:3]
	v_add_f64_e64 v[4:5], v[114:115], -v[4:5]
	scratch_store_b128 off, v[2:5], off offset:112
	v_cmpx_lt_u32_e32 5, v0
	s_cbranch_execz .LBB97_207
; %bb.206:
	scratch_load_b128 v[5:8], off, s4
	v_dual_mov_b32 v2, v1 :: v_dual_mov_b32 v3, v1
	v_mov_b32_e32 v4, v1
	scratch_store_b128 off, v[1:4], off offset:96
	s_wait_loadcnt 0x0
	ds_store_b128 v10, v[5:8]
.LBB97_207:
	s_wait_alu 0xfffe
	s_or_b32 exec_lo, exec_lo, s0
	s_wait_storecnt_dscnt 0x0
	s_barrier_signal -1
	s_barrier_wait -1
	global_inv scope:SCOPE_SE
	s_clause 0x8
	scratch_load_b128 v[2:5], off, off offset:112
	scratch_load_b128 v[6:9], off, off offset:128
	;; [unrolled: 1-line block ×9, first 2 shown]
	ds_load_b128 v[108:111], v1 offset:640
	ds_load_b128 v[112:115], v1 offset:656
	s_clause 0x1
	scratch_load_b128 v[116:119], off, off offset:96
	scratch_load_b128 v[120:123], off, off offset:256
	s_mov_b32 s0, exec_lo
	s_wait_loadcnt_dscnt 0xa01
	v_mul_f64_e32 v[124:125], v[110:111], v[4:5]
	v_mul_f64_e32 v[4:5], v[108:109], v[4:5]
	s_wait_loadcnt_dscnt 0x900
	v_mul_f64_e32 v[128:129], v[112:113], v[8:9]
	v_mul_f64_e32 v[8:9], v[114:115], v[8:9]
	s_delay_alu instid0(VALU_DEP_4) | instskip(NEXT) | instid1(VALU_DEP_4)
	v_fma_f64 v[130:131], v[108:109], v[2:3], -v[124:125]
	v_fma_f64 v[132:133], v[110:111], v[2:3], v[4:5]
	ds_load_b128 v[2:5], v1 offset:672
	ds_load_b128 v[124:127], v1 offset:688
	scratch_load_b128 v[108:111], off, off offset:272
	v_fma_f64 v[114:115], v[114:115], v[6:7], v[128:129]
	v_fma_f64 v[112:113], v[112:113], v[6:7], -v[8:9]
	scratch_load_b128 v[6:9], off, off offset:288
	s_wait_loadcnt_dscnt 0xa01
	v_mul_f64_e32 v[134:135], v[2:3], v[13:14]
	v_mul_f64_e32 v[13:14], v[4:5], v[13:14]
	v_add_f64_e32 v[128:129], 0, v[130:131]
	v_add_f64_e32 v[130:131], 0, v[132:133]
	s_wait_loadcnt_dscnt 0x900
	v_mul_f64_e32 v[132:133], v[124:125], v[17:18]
	v_mul_f64_e32 v[17:18], v[126:127], v[17:18]
	v_fma_f64 v[134:135], v[4:5], v[11:12], v[134:135]
	v_fma_f64 v[136:137], v[2:3], v[11:12], -v[13:14]
	ds_load_b128 v[2:5], v1 offset:704
	scratch_load_b128 v[11:14], off, off offset:304
	v_add_f64_e32 v[128:129], v[128:129], v[112:113]
	v_add_f64_e32 v[130:131], v[130:131], v[114:115]
	ds_load_b128 v[112:115], v1 offset:720
	v_fma_f64 v[126:127], v[126:127], v[15:16], v[132:133]
	v_fma_f64 v[124:125], v[124:125], v[15:16], -v[17:18]
	scratch_load_b128 v[15:18], off, off offset:320
	s_wait_loadcnt_dscnt 0xa01
	v_mul_f64_e32 v[138:139], v[2:3], v[21:22]
	v_mul_f64_e32 v[21:22], v[4:5], v[21:22]
	s_wait_loadcnt_dscnt 0x900
	v_mul_f64_e32 v[132:133], v[112:113], v[94:95]
	v_mul_f64_e32 v[94:95], v[114:115], v[94:95]
	v_add_f64_e32 v[128:129], v[128:129], v[136:137]
	v_add_f64_e32 v[130:131], v[130:131], v[134:135]
	v_fma_f64 v[134:135], v[4:5], v[19:20], v[138:139]
	v_fma_f64 v[136:137], v[2:3], v[19:20], -v[21:22]
	ds_load_b128 v[2:5], v1 offset:736
	scratch_load_b128 v[19:22], off, off offset:336
	v_fma_f64 v[114:115], v[114:115], v[92:93], v[132:133]
	v_fma_f64 v[112:113], v[112:113], v[92:93], -v[94:95]
	scratch_load_b128 v[92:95], off, off offset:352
	v_add_f64_e32 v[128:129], v[128:129], v[124:125]
	v_add_f64_e32 v[130:131], v[130:131], v[126:127]
	ds_load_b128 v[124:127], v1 offset:752
	s_wait_loadcnt_dscnt 0xa01
	v_mul_f64_e32 v[138:139], v[2:3], v[98:99]
	v_mul_f64_e32 v[98:99], v[4:5], v[98:99]
	s_wait_loadcnt_dscnt 0x900
	v_mul_f64_e32 v[132:133], v[124:125], v[102:103]
	v_mul_f64_e32 v[102:103], v[126:127], v[102:103]
	v_add_f64_e32 v[128:129], v[128:129], v[136:137]
	v_add_f64_e32 v[130:131], v[130:131], v[134:135]
	v_fma_f64 v[134:135], v[4:5], v[96:97], v[138:139]
	v_fma_f64 v[136:137], v[2:3], v[96:97], -v[98:99]
	ds_load_b128 v[2:5], v1 offset:768
	scratch_load_b128 v[96:99], off, off offset:368
	v_fma_f64 v[126:127], v[126:127], v[100:101], v[132:133]
	v_fma_f64 v[124:125], v[124:125], v[100:101], -v[102:103]
	scratch_load_b128 v[100:103], off, off offset:384
	v_add_f64_e32 v[128:129], v[128:129], v[112:113]
	v_add_f64_e32 v[130:131], v[130:131], v[114:115]
	ds_load_b128 v[112:115], v1 offset:784
	s_wait_loadcnt_dscnt 0xa01
	v_mul_f64_e32 v[138:139], v[2:3], v[106:107]
	v_mul_f64_e32 v[106:107], v[4:5], v[106:107]
	s_wait_loadcnt_dscnt 0x800
	v_mul_f64_e32 v[132:133], v[112:113], v[122:123]
	v_add_f64_e32 v[128:129], v[128:129], v[136:137]
	v_add_f64_e32 v[130:131], v[130:131], v[134:135]
	v_mul_f64_e32 v[134:135], v[114:115], v[122:123]
	v_fma_f64 v[136:137], v[4:5], v[104:105], v[138:139]
	v_fma_f64 v[138:139], v[2:3], v[104:105], -v[106:107]
	ds_load_b128 v[2:5], v1 offset:800
	scratch_load_b128 v[104:107], off, off offset:400
	v_fma_f64 v[114:115], v[114:115], v[120:121], v[132:133]
	v_add_f64_e32 v[128:129], v[128:129], v[124:125]
	v_add_f64_e32 v[126:127], v[130:131], v[126:127]
	ds_load_b128 v[122:125], v1 offset:816
	v_fma_f64 v[120:121], v[112:113], v[120:121], -v[134:135]
	s_wait_loadcnt_dscnt 0x801
	v_mul_f64_e32 v[130:131], v[2:3], v[110:111]
	v_mul_f64_e32 v[140:141], v[4:5], v[110:111]
	scratch_load_b128 v[110:113], off, off offset:416
	s_wait_loadcnt_dscnt 0x800
	v_mul_f64_e32 v[134:135], v[122:123], v[8:9]
	v_mul_f64_e32 v[8:9], v[124:125], v[8:9]
	v_add_f64_e32 v[128:129], v[128:129], v[138:139]
	v_add_f64_e32 v[126:127], v[126:127], v[136:137]
	v_fma_f64 v[136:137], v[4:5], v[108:109], v[130:131]
	v_fma_f64 v[108:109], v[2:3], v[108:109], -v[140:141]
	ds_load_b128 v[2:5], v1 offset:832
	ds_load_b128 v[130:133], v1 offset:848
	v_fma_f64 v[124:125], v[124:125], v[6:7], v[134:135]
	v_fma_f64 v[122:123], v[122:123], v[6:7], -v[8:9]
	scratch_load_b128 v[6:9], off, off offset:448
	v_add_f64_e32 v[120:121], v[128:129], v[120:121]
	v_add_f64_e32 v[114:115], v[126:127], v[114:115]
	scratch_load_b128 v[126:129], off, off offset:432
	s_wait_loadcnt_dscnt 0x901
	v_mul_f64_e32 v[138:139], v[2:3], v[13:14]
	v_mul_f64_e32 v[13:14], v[4:5], v[13:14]
	s_wait_loadcnt_dscnt 0x800
	v_mul_f64_e32 v[134:135], v[130:131], v[17:18]
	v_mul_f64_e32 v[17:18], v[132:133], v[17:18]
	v_add_f64_e32 v[108:109], v[120:121], v[108:109]
	v_add_f64_e32 v[114:115], v[114:115], v[136:137]
	v_fma_f64 v[136:137], v[4:5], v[11:12], v[138:139]
	v_fma_f64 v[138:139], v[2:3], v[11:12], -v[13:14]
	ds_load_b128 v[2:5], v1 offset:864
	scratch_load_b128 v[11:14], off, off offset:464
	v_fma_f64 v[132:133], v[132:133], v[15:16], v[134:135]
	v_fma_f64 v[130:131], v[130:131], v[15:16], -v[17:18]
	scratch_load_b128 v[15:18], off, off offset:480
	v_add_f64_e32 v[108:109], v[108:109], v[122:123]
	v_add_f64_e32 v[114:115], v[114:115], v[124:125]
	ds_load_b128 v[120:123], v1 offset:880
	s_wait_loadcnt_dscnt 0x901
	v_mul_f64_e32 v[124:125], v[2:3], v[21:22]
	v_mul_f64_e32 v[21:22], v[4:5], v[21:22]
	s_wait_loadcnt_dscnt 0x800
	v_mul_f64_e32 v[134:135], v[120:121], v[94:95]
	v_mul_f64_e32 v[94:95], v[122:123], v[94:95]
	v_add_f64_e32 v[108:109], v[108:109], v[138:139]
	v_add_f64_e32 v[114:115], v[114:115], v[136:137]
	v_fma_f64 v[124:125], v[4:5], v[19:20], v[124:125]
	v_fma_f64 v[136:137], v[2:3], v[19:20], -v[21:22]
	ds_load_b128 v[2:5], v1 offset:896
	scratch_load_b128 v[19:22], off, off offset:496
	v_fma_f64 v[122:123], v[122:123], v[92:93], v[134:135]
	v_fma_f64 v[120:121], v[120:121], v[92:93], -v[94:95]
	scratch_load_b128 v[92:95], off, off offset:512
	v_add_f64_e32 v[108:109], v[108:109], v[130:131]
	v_add_f64_e32 v[114:115], v[114:115], v[132:133]
	ds_load_b128 v[130:133], v1 offset:912
	s_wait_loadcnt_dscnt 0x901
	v_mul_f64_e32 v[138:139], v[2:3], v[98:99]
	v_mul_f64_e32 v[98:99], v[4:5], v[98:99]
	v_add_f64_e32 v[108:109], v[108:109], v[136:137]
	v_add_f64_e32 v[114:115], v[114:115], v[124:125]
	s_wait_loadcnt_dscnt 0x800
	v_mul_f64_e32 v[124:125], v[130:131], v[102:103]
	v_mul_f64_e32 v[102:103], v[132:133], v[102:103]
	v_fma_f64 v[134:135], v[4:5], v[96:97], v[138:139]
	v_fma_f64 v[136:137], v[2:3], v[96:97], -v[98:99]
	ds_load_b128 v[2:5], v1 offset:928
	scratch_load_b128 v[96:99], off, off offset:528
	v_add_f64_e32 v[108:109], v[108:109], v[120:121]
	v_add_f64_e32 v[114:115], v[114:115], v[122:123]
	ds_load_b128 v[120:123], v1 offset:944
	s_wait_loadcnt_dscnt 0x801
	v_mul_f64_e32 v[138:139], v[2:3], v[106:107]
	v_mul_f64_e32 v[106:107], v[4:5], v[106:107]
	v_fma_f64 v[124:125], v[132:133], v[100:101], v[124:125]
	v_fma_f64 v[130:131], v[130:131], v[100:101], -v[102:103]
	scratch_load_b128 v[100:103], off, off offset:544
	s_wait_loadcnt_dscnt 0x800
	v_mul_f64_e32 v[132:133], v[120:121], v[112:113]
	v_add_f64_e32 v[108:109], v[108:109], v[136:137]
	v_add_f64_e32 v[114:115], v[114:115], v[134:135]
	v_mul_f64_e32 v[112:113], v[122:123], v[112:113]
	v_fma_f64 v[134:135], v[4:5], v[104:105], v[138:139]
	v_fma_f64 v[136:137], v[2:3], v[104:105], -v[106:107]
	ds_load_b128 v[2:5], v1 offset:960
	ds_load_b128 v[104:107], v1 offset:976
	v_fma_f64 v[122:123], v[122:123], v[110:111], v[132:133]
	v_add_f64_e32 v[108:109], v[108:109], v[130:131]
	v_add_f64_e32 v[114:115], v[114:115], v[124:125]
	v_fma_f64 v[110:111], v[120:121], v[110:111], -v[112:113]
	s_wait_loadcnt_dscnt 0x601
	v_mul_f64_e32 v[124:125], v[2:3], v[128:129]
	v_mul_f64_e32 v[128:129], v[4:5], v[128:129]
	v_add_f64_e32 v[108:109], v[108:109], v[136:137]
	v_add_f64_e32 v[112:113], v[114:115], v[134:135]
	s_wait_dscnt 0x0
	v_mul_f64_e32 v[114:115], v[104:105], v[8:9]
	v_mul_f64_e32 v[8:9], v[106:107], v[8:9]
	v_fma_f64 v[120:121], v[4:5], v[126:127], v[124:125]
	v_fma_f64 v[124:125], v[2:3], v[126:127], -v[128:129]
	v_add_f64_e32 v[126:127], v[108:109], v[110:111]
	v_add_f64_e32 v[112:113], v[112:113], v[122:123]
	ds_load_b128 v[2:5], v1 offset:992
	ds_load_b128 v[108:111], v1 offset:1008
	v_fma_f64 v[106:107], v[106:107], v[6:7], v[114:115]
	v_fma_f64 v[6:7], v[104:105], v[6:7], -v[8:9]
	s_wait_loadcnt_dscnt 0x501
	v_mul_f64_e32 v[122:123], v[2:3], v[13:14]
	v_mul_f64_e32 v[13:14], v[4:5], v[13:14]
	v_add_f64_e32 v[8:9], v[126:127], v[124:125]
	v_add_f64_e32 v[104:105], v[112:113], v[120:121]
	s_wait_loadcnt_dscnt 0x400
	v_mul_f64_e32 v[112:113], v[108:109], v[17:18]
	v_mul_f64_e32 v[17:18], v[110:111], v[17:18]
	v_fma_f64 v[114:115], v[4:5], v[11:12], v[122:123]
	v_fma_f64 v[11:12], v[2:3], v[11:12], -v[13:14]
	v_add_f64_e32 v[13:14], v[8:9], v[6:7]
	v_add_f64_e32 v[104:105], v[104:105], v[106:107]
	ds_load_b128 v[2:5], v1 offset:1024
	ds_load_b128 v[6:9], v1 offset:1040
	v_fma_f64 v[110:111], v[110:111], v[15:16], v[112:113]
	v_fma_f64 v[15:16], v[108:109], v[15:16], -v[17:18]
	s_wait_loadcnt_dscnt 0x301
	v_mul_f64_e32 v[106:107], v[2:3], v[21:22]
	v_mul_f64_e32 v[21:22], v[4:5], v[21:22]
	s_wait_loadcnt_dscnt 0x200
	v_mul_f64_e32 v[17:18], v[6:7], v[94:95]
	v_mul_f64_e32 v[94:95], v[8:9], v[94:95]
	v_add_f64_e32 v[11:12], v[13:14], v[11:12]
	v_add_f64_e32 v[13:14], v[104:105], v[114:115]
	v_fma_f64 v[104:105], v[4:5], v[19:20], v[106:107]
	v_fma_f64 v[19:20], v[2:3], v[19:20], -v[21:22]
	v_fma_f64 v[8:9], v[8:9], v[92:93], v[17:18]
	v_fma_f64 v[6:7], v[6:7], v[92:93], -v[94:95]
	v_add_f64_e32 v[15:16], v[11:12], v[15:16]
	v_add_f64_e32 v[21:22], v[13:14], v[110:111]
	ds_load_b128 v[2:5], v1 offset:1056
	ds_load_b128 v[11:14], v1 offset:1072
	s_wait_loadcnt_dscnt 0x101
	v_mul_f64_e32 v[106:107], v[2:3], v[98:99]
	v_mul_f64_e32 v[98:99], v[4:5], v[98:99]
	v_add_f64_e32 v[15:16], v[15:16], v[19:20]
	v_add_f64_e32 v[17:18], v[21:22], v[104:105]
	s_wait_loadcnt_dscnt 0x0
	v_mul_f64_e32 v[19:20], v[11:12], v[102:103]
	v_mul_f64_e32 v[21:22], v[13:14], v[102:103]
	v_fma_f64 v[4:5], v[4:5], v[96:97], v[106:107]
	v_fma_f64 v[1:2], v[2:3], v[96:97], -v[98:99]
	v_add_f64_e32 v[6:7], v[15:16], v[6:7]
	v_add_f64_e32 v[8:9], v[17:18], v[8:9]
	v_fma_f64 v[13:14], v[13:14], v[100:101], v[19:20]
	v_fma_f64 v[11:12], v[11:12], v[100:101], -v[21:22]
	s_delay_alu instid0(VALU_DEP_4) | instskip(NEXT) | instid1(VALU_DEP_4)
	v_add_f64_e32 v[1:2], v[6:7], v[1:2]
	v_add_f64_e32 v[3:4], v[8:9], v[4:5]
	s_delay_alu instid0(VALU_DEP_2) | instskip(NEXT) | instid1(VALU_DEP_2)
	v_add_f64_e32 v[1:2], v[1:2], v[11:12]
	v_add_f64_e32 v[3:4], v[3:4], v[13:14]
	s_delay_alu instid0(VALU_DEP_2) | instskip(NEXT) | instid1(VALU_DEP_2)
	v_add_f64_e64 v[1:2], v[116:117], -v[1:2]
	v_add_f64_e64 v[3:4], v[118:119], -v[3:4]
	scratch_store_b128 off, v[1:4], off offset:96
	v_cmpx_lt_u32_e32 4, v0
	s_cbranch_execz .LBB97_209
; %bb.208:
	scratch_load_b128 v[1:4], off, s25
	v_mov_b32_e32 v5, 0
	s_delay_alu instid0(VALU_DEP_1)
	v_dual_mov_b32 v6, v5 :: v_dual_mov_b32 v7, v5
	v_mov_b32_e32 v8, v5
	scratch_store_b128 off, v[5:8], off offset:80
	s_wait_loadcnt 0x0
	ds_store_b128 v10, v[1:4]
.LBB97_209:
	s_wait_alu 0xfffe
	s_or_b32 exec_lo, exec_lo, s0
	s_wait_storecnt_dscnt 0x0
	s_barrier_signal -1
	s_barrier_wait -1
	global_inv scope:SCOPE_SE
	s_clause 0x7
	scratch_load_b128 v[2:5], off, off offset:96
	scratch_load_b128 v[6:9], off, off offset:112
	;; [unrolled: 1-line block ×8, first 2 shown]
	v_mov_b32_e32 v1, 0
	s_mov_b32 s0, exec_lo
	ds_load_b128 v[104:107], v1 offset:624
	s_clause 0x1
	scratch_load_b128 v[108:111], off, off offset:224
	scratch_load_b128 v[112:115], off, off offset:80
	ds_load_b128 v[116:119], v1 offset:640
	scratch_load_b128 v[120:123], off, off offset:240
	s_wait_loadcnt_dscnt 0xa01
	v_mul_f64_e32 v[124:125], v[106:107], v[4:5]
	v_mul_f64_e32 v[4:5], v[104:105], v[4:5]
	s_delay_alu instid0(VALU_DEP_2) | instskip(NEXT) | instid1(VALU_DEP_2)
	v_fma_f64 v[130:131], v[104:105], v[2:3], -v[124:125]
	v_fma_f64 v[132:133], v[106:107], v[2:3], v[4:5]
	ds_load_b128 v[2:5], v1 offset:656
	s_wait_loadcnt_dscnt 0x901
	v_mul_f64_e32 v[128:129], v[116:117], v[8:9]
	v_mul_f64_e32 v[8:9], v[118:119], v[8:9]
	scratch_load_b128 v[104:107], off, off offset:256
	ds_load_b128 v[124:127], v1 offset:672
	s_wait_loadcnt_dscnt 0x901
	v_mul_f64_e32 v[134:135], v[2:3], v[13:14]
	v_mul_f64_e32 v[13:14], v[4:5], v[13:14]
	v_fma_f64 v[118:119], v[118:119], v[6:7], v[128:129]
	v_fma_f64 v[116:117], v[116:117], v[6:7], -v[8:9]
	v_add_f64_e32 v[128:129], 0, v[130:131]
	v_add_f64_e32 v[130:131], 0, v[132:133]
	scratch_load_b128 v[6:9], off, off offset:272
	v_fma_f64 v[134:135], v[4:5], v[11:12], v[134:135]
	v_fma_f64 v[136:137], v[2:3], v[11:12], -v[13:14]
	ds_load_b128 v[2:5], v1 offset:688
	s_wait_loadcnt_dscnt 0x901
	v_mul_f64_e32 v[132:133], v[124:125], v[17:18]
	v_mul_f64_e32 v[17:18], v[126:127], v[17:18]
	scratch_load_b128 v[11:14], off, off offset:288
	v_add_f64_e32 v[128:129], v[128:129], v[116:117]
	v_add_f64_e32 v[130:131], v[130:131], v[118:119]
	s_wait_loadcnt_dscnt 0x900
	v_mul_f64_e32 v[138:139], v[2:3], v[21:22]
	v_mul_f64_e32 v[21:22], v[4:5], v[21:22]
	ds_load_b128 v[116:119], v1 offset:704
	v_fma_f64 v[126:127], v[126:127], v[15:16], v[132:133]
	v_fma_f64 v[124:125], v[124:125], v[15:16], -v[17:18]
	scratch_load_b128 v[15:18], off, off offset:304
	v_add_f64_e32 v[128:129], v[128:129], v[136:137]
	v_add_f64_e32 v[130:131], v[130:131], v[134:135]
	v_fma_f64 v[134:135], v[4:5], v[19:20], v[138:139]
	v_fma_f64 v[136:137], v[2:3], v[19:20], -v[21:22]
	ds_load_b128 v[2:5], v1 offset:720
	s_wait_loadcnt_dscnt 0x901
	v_mul_f64_e32 v[132:133], v[116:117], v[94:95]
	v_mul_f64_e32 v[94:95], v[118:119], v[94:95]
	scratch_load_b128 v[19:22], off, off offset:320
	s_wait_loadcnt_dscnt 0x900
	v_mul_f64_e32 v[138:139], v[2:3], v[98:99]
	v_mul_f64_e32 v[98:99], v[4:5], v[98:99]
	v_add_f64_e32 v[128:129], v[128:129], v[124:125]
	v_add_f64_e32 v[130:131], v[130:131], v[126:127]
	ds_load_b128 v[124:127], v1 offset:736
	v_fma_f64 v[118:119], v[118:119], v[92:93], v[132:133]
	v_fma_f64 v[116:117], v[116:117], v[92:93], -v[94:95]
	scratch_load_b128 v[92:95], off, off offset:336
	v_add_f64_e32 v[128:129], v[128:129], v[136:137]
	v_add_f64_e32 v[130:131], v[130:131], v[134:135]
	v_fma_f64 v[134:135], v[4:5], v[96:97], v[138:139]
	v_fma_f64 v[136:137], v[2:3], v[96:97], -v[98:99]
	ds_load_b128 v[2:5], v1 offset:752
	s_wait_loadcnt_dscnt 0x901
	v_mul_f64_e32 v[132:133], v[124:125], v[102:103]
	v_mul_f64_e32 v[102:103], v[126:127], v[102:103]
	scratch_load_b128 v[96:99], off, off offset:352
	s_wait_loadcnt_dscnt 0x900
	v_mul_f64_e32 v[138:139], v[2:3], v[110:111]
	v_mul_f64_e32 v[110:111], v[4:5], v[110:111]
	v_add_f64_e32 v[128:129], v[128:129], v[116:117]
	v_add_f64_e32 v[130:131], v[130:131], v[118:119]
	ds_load_b128 v[116:119], v1 offset:768
	v_fma_f64 v[126:127], v[126:127], v[100:101], v[132:133]
	v_fma_f64 v[124:125], v[124:125], v[100:101], -v[102:103]
	scratch_load_b128 v[100:103], off, off offset:368
	v_add_f64_e32 v[128:129], v[128:129], v[136:137]
	v_add_f64_e32 v[130:131], v[130:131], v[134:135]
	v_fma_f64 v[136:137], v[4:5], v[108:109], v[138:139]
	v_fma_f64 v[138:139], v[2:3], v[108:109], -v[110:111]
	ds_load_b128 v[2:5], v1 offset:784
	s_wait_loadcnt_dscnt 0x801
	v_mul_f64_e32 v[132:133], v[116:117], v[122:123]
	v_mul_f64_e32 v[134:135], v[118:119], v[122:123]
	scratch_load_b128 v[108:111], off, off offset:384
	v_add_f64_e32 v[128:129], v[128:129], v[124:125]
	v_add_f64_e32 v[126:127], v[130:131], v[126:127]
	ds_load_b128 v[122:125], v1 offset:800
	v_fma_f64 v[132:133], v[118:119], v[120:121], v[132:133]
	v_fma_f64 v[120:121], v[116:117], v[120:121], -v[134:135]
	scratch_load_b128 v[116:119], off, off offset:400
	s_wait_loadcnt_dscnt 0x901
	v_mul_f64_e32 v[130:131], v[2:3], v[106:107]
	v_mul_f64_e32 v[106:107], v[4:5], v[106:107]
	v_add_f64_e32 v[128:129], v[128:129], v[138:139]
	v_add_f64_e32 v[126:127], v[126:127], v[136:137]
	s_delay_alu instid0(VALU_DEP_4) | instskip(NEXT) | instid1(VALU_DEP_4)
	v_fma_f64 v[130:131], v[4:5], v[104:105], v[130:131]
	v_fma_f64 v[136:137], v[2:3], v[104:105], -v[106:107]
	ds_load_b128 v[2:5], v1 offset:816
	s_wait_loadcnt_dscnt 0x801
	v_mul_f64_e32 v[134:135], v[122:123], v[8:9]
	v_mul_f64_e32 v[8:9], v[124:125], v[8:9]
	scratch_load_b128 v[104:107], off, off offset:416
	s_wait_loadcnt_dscnt 0x800
	v_mul_f64_e32 v[138:139], v[2:3], v[13:14]
	v_add_f64_e32 v[120:121], v[128:129], v[120:121]
	v_add_f64_e32 v[132:133], v[126:127], v[132:133]
	v_mul_f64_e32 v[13:14], v[4:5], v[13:14]
	ds_load_b128 v[126:129], v1 offset:832
	v_fma_f64 v[124:125], v[124:125], v[6:7], v[134:135]
	v_fma_f64 v[122:123], v[122:123], v[6:7], -v[8:9]
	scratch_load_b128 v[6:9], off, off offset:432
	v_fma_f64 v[134:135], v[4:5], v[11:12], v[138:139]
	v_add_f64_e32 v[120:121], v[120:121], v[136:137]
	v_add_f64_e32 v[130:131], v[132:133], v[130:131]
	v_fma_f64 v[136:137], v[2:3], v[11:12], -v[13:14]
	ds_load_b128 v[2:5], v1 offset:848
	s_wait_loadcnt_dscnt 0x801
	v_mul_f64_e32 v[132:133], v[126:127], v[17:18]
	v_mul_f64_e32 v[17:18], v[128:129], v[17:18]
	scratch_load_b128 v[11:14], off, off offset:448
	v_add_f64_e32 v[138:139], v[120:121], v[122:123]
	v_add_f64_e32 v[124:125], v[130:131], v[124:125]
	s_wait_loadcnt_dscnt 0x800
	v_mul_f64_e32 v[130:131], v[2:3], v[21:22]
	v_mul_f64_e32 v[21:22], v[4:5], v[21:22]
	v_fma_f64 v[128:129], v[128:129], v[15:16], v[132:133]
	v_fma_f64 v[126:127], v[126:127], v[15:16], -v[17:18]
	ds_load_b128 v[120:123], v1 offset:864
	scratch_load_b128 v[15:18], off, off offset:464
	v_add_f64_e32 v[132:133], v[138:139], v[136:137]
	v_add_f64_e32 v[124:125], v[124:125], v[134:135]
	v_fma_f64 v[130:131], v[4:5], v[19:20], v[130:131]
	v_fma_f64 v[136:137], v[2:3], v[19:20], -v[21:22]
	ds_load_b128 v[2:5], v1 offset:880
	s_wait_loadcnt_dscnt 0x801
	v_mul_f64_e32 v[134:135], v[120:121], v[94:95]
	v_mul_f64_e32 v[94:95], v[122:123], v[94:95]
	scratch_load_b128 v[19:22], off, off offset:480
	s_wait_loadcnt_dscnt 0x800
	v_mul_f64_e32 v[138:139], v[2:3], v[98:99]
	v_mul_f64_e32 v[98:99], v[4:5], v[98:99]
	v_add_f64_e32 v[132:133], v[132:133], v[126:127]
	v_add_f64_e32 v[128:129], v[124:125], v[128:129]
	ds_load_b128 v[124:127], v1 offset:896
	v_fma_f64 v[122:123], v[122:123], v[92:93], v[134:135]
	v_fma_f64 v[120:121], v[120:121], v[92:93], -v[94:95]
	scratch_load_b128 v[92:95], off, off offset:496
	v_fma_f64 v[134:135], v[4:5], v[96:97], v[138:139]
	v_add_f64_e32 v[132:133], v[132:133], v[136:137]
	v_add_f64_e32 v[128:129], v[128:129], v[130:131]
	v_fma_f64 v[136:137], v[2:3], v[96:97], -v[98:99]
	ds_load_b128 v[2:5], v1 offset:912
	s_wait_loadcnt_dscnt 0x801
	v_mul_f64_e32 v[130:131], v[124:125], v[102:103]
	v_mul_f64_e32 v[102:103], v[126:127], v[102:103]
	scratch_load_b128 v[96:99], off, off offset:512
	s_wait_loadcnt_dscnt 0x800
	v_mul_f64_e32 v[138:139], v[2:3], v[110:111]
	v_mul_f64_e32 v[110:111], v[4:5], v[110:111]
	v_add_f64_e32 v[132:133], v[132:133], v[120:121]
	v_add_f64_e32 v[128:129], v[128:129], v[122:123]
	ds_load_b128 v[120:123], v1 offset:928
	v_fma_f64 v[126:127], v[126:127], v[100:101], v[130:131]
	v_fma_f64 v[124:125], v[124:125], v[100:101], -v[102:103]
	scratch_load_b128 v[100:103], off, off offset:528
	v_add_f64_e32 v[130:131], v[132:133], v[136:137]
	v_add_f64_e32 v[128:129], v[128:129], v[134:135]
	v_fma_f64 v[134:135], v[4:5], v[108:109], v[138:139]
	v_fma_f64 v[136:137], v[2:3], v[108:109], -v[110:111]
	ds_load_b128 v[2:5], v1 offset:944
	s_wait_loadcnt_dscnt 0x801
	v_mul_f64_e32 v[132:133], v[120:121], v[118:119]
	v_mul_f64_e32 v[118:119], v[122:123], v[118:119]
	scratch_load_b128 v[108:111], off, off offset:544
	s_wait_loadcnt_dscnt 0x800
	v_mul_f64_e32 v[138:139], v[2:3], v[106:107]
	v_mul_f64_e32 v[106:107], v[4:5], v[106:107]
	v_add_f64_e32 v[130:131], v[130:131], v[124:125]
	v_add_f64_e32 v[128:129], v[128:129], v[126:127]
	ds_load_b128 v[124:127], v1 offset:960
	v_fma_f64 v[122:123], v[122:123], v[116:117], v[132:133]
	v_fma_f64 v[116:117], v[120:121], v[116:117], -v[118:119]
	v_fma_f64 v[132:133], v[2:3], v[104:105], -v[106:107]
	v_add_f64_e32 v[118:119], v[130:131], v[136:137]
	v_add_f64_e32 v[120:121], v[128:129], v[134:135]
	s_wait_loadcnt_dscnt 0x700
	v_mul_f64_e32 v[128:129], v[124:125], v[8:9]
	v_mul_f64_e32 v[8:9], v[126:127], v[8:9]
	v_fma_f64 v[130:131], v[4:5], v[104:105], v[138:139]
	ds_load_b128 v[2:5], v1 offset:976
	ds_load_b128 v[104:107], v1 offset:992
	v_add_f64_e32 v[116:117], v[118:119], v[116:117]
	v_add_f64_e32 v[118:119], v[120:121], v[122:123]
	s_wait_loadcnt_dscnt 0x601
	v_mul_f64_e32 v[120:121], v[2:3], v[13:14]
	v_mul_f64_e32 v[13:14], v[4:5], v[13:14]
	v_fma_f64 v[122:123], v[126:127], v[6:7], v[128:129]
	v_fma_f64 v[6:7], v[124:125], v[6:7], -v[8:9]
	v_add_f64_e32 v[8:9], v[116:117], v[132:133]
	v_add_f64_e32 v[116:117], v[118:119], v[130:131]
	s_wait_loadcnt_dscnt 0x500
	v_mul_f64_e32 v[118:119], v[104:105], v[17:18]
	v_mul_f64_e32 v[17:18], v[106:107], v[17:18]
	v_fma_f64 v[120:121], v[4:5], v[11:12], v[120:121]
	v_fma_f64 v[11:12], v[2:3], v[11:12], -v[13:14]
	v_add_f64_e32 v[13:14], v[8:9], v[6:7]
	v_add_f64_e32 v[116:117], v[116:117], v[122:123]
	ds_load_b128 v[2:5], v1 offset:1008
	ds_load_b128 v[6:9], v1 offset:1024
	v_fma_f64 v[106:107], v[106:107], v[15:16], v[118:119]
	v_fma_f64 v[15:16], v[104:105], v[15:16], -v[17:18]
	s_wait_loadcnt_dscnt 0x401
	v_mul_f64_e32 v[122:123], v[2:3], v[21:22]
	v_mul_f64_e32 v[21:22], v[4:5], v[21:22]
	s_wait_loadcnt_dscnt 0x300
	v_mul_f64_e32 v[17:18], v[6:7], v[94:95]
	v_mul_f64_e32 v[94:95], v[8:9], v[94:95]
	v_add_f64_e32 v[11:12], v[13:14], v[11:12]
	v_add_f64_e32 v[13:14], v[116:117], v[120:121]
	v_fma_f64 v[104:105], v[4:5], v[19:20], v[122:123]
	v_fma_f64 v[19:20], v[2:3], v[19:20], -v[21:22]
	v_fma_f64 v[8:9], v[8:9], v[92:93], v[17:18]
	v_fma_f64 v[6:7], v[6:7], v[92:93], -v[94:95]
	v_add_f64_e32 v[15:16], v[11:12], v[15:16]
	v_add_f64_e32 v[21:22], v[13:14], v[106:107]
	ds_load_b128 v[2:5], v1 offset:1040
	ds_load_b128 v[11:14], v1 offset:1056
	s_wait_loadcnt_dscnt 0x201
	v_mul_f64_e32 v[106:107], v[2:3], v[98:99]
	v_mul_f64_e32 v[98:99], v[4:5], v[98:99]
	v_add_f64_e32 v[15:16], v[15:16], v[19:20]
	v_add_f64_e32 v[17:18], v[21:22], v[104:105]
	s_wait_loadcnt_dscnt 0x100
	v_mul_f64_e32 v[19:20], v[11:12], v[102:103]
	v_mul_f64_e32 v[21:22], v[13:14], v[102:103]
	v_fma_f64 v[92:93], v[4:5], v[96:97], v[106:107]
	v_fma_f64 v[94:95], v[2:3], v[96:97], -v[98:99]
	ds_load_b128 v[2:5], v1 offset:1072
	v_add_f64_e32 v[6:7], v[15:16], v[6:7]
	v_add_f64_e32 v[8:9], v[17:18], v[8:9]
	v_fma_f64 v[13:14], v[13:14], v[100:101], v[19:20]
	v_fma_f64 v[11:12], v[11:12], v[100:101], -v[21:22]
	s_wait_loadcnt_dscnt 0x0
	v_mul_f64_e32 v[15:16], v[2:3], v[110:111]
	v_mul_f64_e32 v[17:18], v[4:5], v[110:111]
	v_add_f64_e32 v[6:7], v[6:7], v[94:95]
	v_add_f64_e32 v[8:9], v[8:9], v[92:93]
	s_delay_alu instid0(VALU_DEP_4) | instskip(NEXT) | instid1(VALU_DEP_4)
	v_fma_f64 v[4:5], v[4:5], v[108:109], v[15:16]
	v_fma_f64 v[2:3], v[2:3], v[108:109], -v[17:18]
	s_delay_alu instid0(VALU_DEP_4) | instskip(NEXT) | instid1(VALU_DEP_4)
	v_add_f64_e32 v[6:7], v[6:7], v[11:12]
	v_add_f64_e32 v[8:9], v[8:9], v[13:14]
	s_delay_alu instid0(VALU_DEP_2) | instskip(NEXT) | instid1(VALU_DEP_2)
	v_add_f64_e32 v[2:3], v[6:7], v[2:3]
	v_add_f64_e32 v[4:5], v[8:9], v[4:5]
	s_delay_alu instid0(VALU_DEP_2) | instskip(NEXT) | instid1(VALU_DEP_2)
	v_add_f64_e64 v[2:3], v[112:113], -v[2:3]
	v_add_f64_e64 v[4:5], v[114:115], -v[4:5]
	scratch_store_b128 off, v[2:5], off offset:80
	v_cmpx_lt_u32_e32 3, v0
	s_cbranch_execz .LBB97_211
; %bb.210:
	scratch_load_b128 v[5:8], off, s24
	v_dual_mov_b32 v2, v1 :: v_dual_mov_b32 v3, v1
	v_mov_b32_e32 v4, v1
	scratch_store_b128 off, v[1:4], off offset:64
	s_wait_loadcnt 0x0
	ds_store_b128 v10, v[5:8]
.LBB97_211:
	s_wait_alu 0xfffe
	s_or_b32 exec_lo, exec_lo, s0
	s_wait_storecnt_dscnt 0x0
	s_barrier_signal -1
	s_barrier_wait -1
	global_inv scope:SCOPE_SE
	s_clause 0x8
	scratch_load_b128 v[2:5], off, off offset:80
	scratch_load_b128 v[6:9], off, off offset:96
	;; [unrolled: 1-line block ×9, first 2 shown]
	ds_load_b128 v[108:111], v1 offset:608
	ds_load_b128 v[112:115], v1 offset:624
	s_clause 0x1
	scratch_load_b128 v[116:119], off, off offset:64
	scratch_load_b128 v[120:123], off, off offset:224
	s_mov_b32 s0, exec_lo
	s_wait_loadcnt_dscnt 0xa01
	v_mul_f64_e32 v[124:125], v[110:111], v[4:5]
	v_mul_f64_e32 v[4:5], v[108:109], v[4:5]
	s_wait_loadcnt_dscnt 0x900
	v_mul_f64_e32 v[128:129], v[112:113], v[8:9]
	v_mul_f64_e32 v[8:9], v[114:115], v[8:9]
	s_delay_alu instid0(VALU_DEP_4) | instskip(NEXT) | instid1(VALU_DEP_4)
	v_fma_f64 v[130:131], v[108:109], v[2:3], -v[124:125]
	v_fma_f64 v[132:133], v[110:111], v[2:3], v[4:5]
	ds_load_b128 v[2:5], v1 offset:640
	ds_load_b128 v[124:127], v1 offset:656
	scratch_load_b128 v[108:111], off, off offset:240
	v_fma_f64 v[114:115], v[114:115], v[6:7], v[128:129]
	v_fma_f64 v[112:113], v[112:113], v[6:7], -v[8:9]
	scratch_load_b128 v[6:9], off, off offset:256
	s_wait_loadcnt_dscnt 0xa01
	v_mul_f64_e32 v[134:135], v[2:3], v[13:14]
	v_mul_f64_e32 v[13:14], v[4:5], v[13:14]
	v_add_f64_e32 v[128:129], 0, v[130:131]
	v_add_f64_e32 v[130:131], 0, v[132:133]
	s_wait_loadcnt_dscnt 0x900
	v_mul_f64_e32 v[132:133], v[124:125], v[17:18]
	v_mul_f64_e32 v[17:18], v[126:127], v[17:18]
	v_fma_f64 v[134:135], v[4:5], v[11:12], v[134:135]
	v_fma_f64 v[136:137], v[2:3], v[11:12], -v[13:14]
	ds_load_b128 v[2:5], v1 offset:672
	scratch_load_b128 v[11:14], off, off offset:272
	v_add_f64_e32 v[128:129], v[128:129], v[112:113]
	v_add_f64_e32 v[130:131], v[130:131], v[114:115]
	ds_load_b128 v[112:115], v1 offset:688
	v_fma_f64 v[126:127], v[126:127], v[15:16], v[132:133]
	v_fma_f64 v[124:125], v[124:125], v[15:16], -v[17:18]
	scratch_load_b128 v[15:18], off, off offset:288
	s_wait_loadcnt_dscnt 0xa01
	v_mul_f64_e32 v[138:139], v[2:3], v[21:22]
	v_mul_f64_e32 v[21:22], v[4:5], v[21:22]
	s_wait_loadcnt_dscnt 0x900
	v_mul_f64_e32 v[132:133], v[112:113], v[94:95]
	v_mul_f64_e32 v[94:95], v[114:115], v[94:95]
	v_add_f64_e32 v[128:129], v[128:129], v[136:137]
	v_add_f64_e32 v[130:131], v[130:131], v[134:135]
	v_fma_f64 v[134:135], v[4:5], v[19:20], v[138:139]
	v_fma_f64 v[136:137], v[2:3], v[19:20], -v[21:22]
	ds_load_b128 v[2:5], v1 offset:704
	scratch_load_b128 v[19:22], off, off offset:304
	v_fma_f64 v[114:115], v[114:115], v[92:93], v[132:133]
	v_fma_f64 v[112:113], v[112:113], v[92:93], -v[94:95]
	scratch_load_b128 v[92:95], off, off offset:320
	v_add_f64_e32 v[128:129], v[128:129], v[124:125]
	v_add_f64_e32 v[130:131], v[130:131], v[126:127]
	ds_load_b128 v[124:127], v1 offset:720
	s_wait_loadcnt_dscnt 0xa01
	v_mul_f64_e32 v[138:139], v[2:3], v[98:99]
	v_mul_f64_e32 v[98:99], v[4:5], v[98:99]
	s_wait_loadcnt_dscnt 0x900
	v_mul_f64_e32 v[132:133], v[124:125], v[102:103]
	v_mul_f64_e32 v[102:103], v[126:127], v[102:103]
	v_add_f64_e32 v[128:129], v[128:129], v[136:137]
	v_add_f64_e32 v[130:131], v[130:131], v[134:135]
	v_fma_f64 v[134:135], v[4:5], v[96:97], v[138:139]
	v_fma_f64 v[136:137], v[2:3], v[96:97], -v[98:99]
	ds_load_b128 v[2:5], v1 offset:736
	scratch_load_b128 v[96:99], off, off offset:336
	v_fma_f64 v[126:127], v[126:127], v[100:101], v[132:133]
	v_fma_f64 v[124:125], v[124:125], v[100:101], -v[102:103]
	scratch_load_b128 v[100:103], off, off offset:352
	v_add_f64_e32 v[128:129], v[128:129], v[112:113]
	v_add_f64_e32 v[130:131], v[130:131], v[114:115]
	ds_load_b128 v[112:115], v1 offset:752
	s_wait_loadcnt_dscnt 0xa01
	v_mul_f64_e32 v[138:139], v[2:3], v[106:107]
	v_mul_f64_e32 v[106:107], v[4:5], v[106:107]
	s_wait_loadcnt_dscnt 0x800
	v_mul_f64_e32 v[132:133], v[112:113], v[122:123]
	v_add_f64_e32 v[128:129], v[128:129], v[136:137]
	v_add_f64_e32 v[130:131], v[130:131], v[134:135]
	v_mul_f64_e32 v[134:135], v[114:115], v[122:123]
	v_fma_f64 v[136:137], v[4:5], v[104:105], v[138:139]
	v_fma_f64 v[138:139], v[2:3], v[104:105], -v[106:107]
	ds_load_b128 v[2:5], v1 offset:768
	scratch_load_b128 v[104:107], off, off offset:368
	v_fma_f64 v[114:115], v[114:115], v[120:121], v[132:133]
	v_add_f64_e32 v[128:129], v[128:129], v[124:125]
	v_add_f64_e32 v[126:127], v[130:131], v[126:127]
	ds_load_b128 v[122:125], v1 offset:784
	v_fma_f64 v[120:121], v[112:113], v[120:121], -v[134:135]
	s_wait_loadcnt_dscnt 0x801
	v_mul_f64_e32 v[130:131], v[2:3], v[110:111]
	v_mul_f64_e32 v[140:141], v[4:5], v[110:111]
	scratch_load_b128 v[110:113], off, off offset:384
	s_wait_loadcnt_dscnt 0x800
	v_mul_f64_e32 v[134:135], v[122:123], v[8:9]
	v_mul_f64_e32 v[8:9], v[124:125], v[8:9]
	v_add_f64_e32 v[128:129], v[128:129], v[138:139]
	v_add_f64_e32 v[126:127], v[126:127], v[136:137]
	v_fma_f64 v[136:137], v[4:5], v[108:109], v[130:131]
	v_fma_f64 v[108:109], v[2:3], v[108:109], -v[140:141]
	ds_load_b128 v[2:5], v1 offset:800
	ds_load_b128 v[130:133], v1 offset:816
	v_fma_f64 v[124:125], v[124:125], v[6:7], v[134:135]
	v_fma_f64 v[122:123], v[122:123], v[6:7], -v[8:9]
	scratch_load_b128 v[6:9], off, off offset:416
	v_add_f64_e32 v[120:121], v[128:129], v[120:121]
	v_add_f64_e32 v[114:115], v[126:127], v[114:115]
	scratch_load_b128 v[126:129], off, off offset:400
	s_wait_loadcnt_dscnt 0x901
	v_mul_f64_e32 v[138:139], v[2:3], v[13:14]
	v_mul_f64_e32 v[13:14], v[4:5], v[13:14]
	s_wait_loadcnt_dscnt 0x800
	v_mul_f64_e32 v[134:135], v[130:131], v[17:18]
	v_mul_f64_e32 v[17:18], v[132:133], v[17:18]
	v_add_f64_e32 v[108:109], v[120:121], v[108:109]
	v_add_f64_e32 v[114:115], v[114:115], v[136:137]
	v_fma_f64 v[136:137], v[4:5], v[11:12], v[138:139]
	v_fma_f64 v[138:139], v[2:3], v[11:12], -v[13:14]
	ds_load_b128 v[2:5], v1 offset:832
	scratch_load_b128 v[11:14], off, off offset:432
	v_fma_f64 v[132:133], v[132:133], v[15:16], v[134:135]
	v_fma_f64 v[130:131], v[130:131], v[15:16], -v[17:18]
	scratch_load_b128 v[15:18], off, off offset:448
	v_add_f64_e32 v[108:109], v[108:109], v[122:123]
	v_add_f64_e32 v[114:115], v[114:115], v[124:125]
	ds_load_b128 v[120:123], v1 offset:848
	s_wait_loadcnt_dscnt 0x901
	v_mul_f64_e32 v[124:125], v[2:3], v[21:22]
	v_mul_f64_e32 v[21:22], v[4:5], v[21:22]
	s_wait_loadcnt_dscnt 0x800
	v_mul_f64_e32 v[134:135], v[120:121], v[94:95]
	v_mul_f64_e32 v[94:95], v[122:123], v[94:95]
	v_add_f64_e32 v[108:109], v[108:109], v[138:139]
	v_add_f64_e32 v[114:115], v[114:115], v[136:137]
	v_fma_f64 v[124:125], v[4:5], v[19:20], v[124:125]
	v_fma_f64 v[136:137], v[2:3], v[19:20], -v[21:22]
	ds_load_b128 v[2:5], v1 offset:864
	scratch_load_b128 v[19:22], off, off offset:464
	v_fma_f64 v[122:123], v[122:123], v[92:93], v[134:135]
	v_fma_f64 v[120:121], v[120:121], v[92:93], -v[94:95]
	scratch_load_b128 v[92:95], off, off offset:480
	v_add_f64_e32 v[108:109], v[108:109], v[130:131]
	v_add_f64_e32 v[114:115], v[114:115], v[132:133]
	ds_load_b128 v[130:133], v1 offset:880
	s_wait_loadcnt_dscnt 0x901
	v_mul_f64_e32 v[138:139], v[2:3], v[98:99]
	v_mul_f64_e32 v[98:99], v[4:5], v[98:99]
	v_add_f64_e32 v[108:109], v[108:109], v[136:137]
	v_add_f64_e32 v[114:115], v[114:115], v[124:125]
	s_wait_loadcnt_dscnt 0x800
	v_mul_f64_e32 v[124:125], v[130:131], v[102:103]
	v_mul_f64_e32 v[102:103], v[132:133], v[102:103]
	v_fma_f64 v[134:135], v[4:5], v[96:97], v[138:139]
	v_fma_f64 v[136:137], v[2:3], v[96:97], -v[98:99]
	ds_load_b128 v[2:5], v1 offset:896
	scratch_load_b128 v[96:99], off, off offset:496
	v_add_f64_e32 v[108:109], v[108:109], v[120:121]
	v_add_f64_e32 v[114:115], v[114:115], v[122:123]
	ds_load_b128 v[120:123], v1 offset:912
	s_wait_loadcnt_dscnt 0x801
	v_mul_f64_e32 v[138:139], v[2:3], v[106:107]
	v_mul_f64_e32 v[106:107], v[4:5], v[106:107]
	v_fma_f64 v[124:125], v[132:133], v[100:101], v[124:125]
	v_fma_f64 v[130:131], v[130:131], v[100:101], -v[102:103]
	scratch_load_b128 v[100:103], off, off offset:512
	s_wait_loadcnt_dscnt 0x800
	v_mul_f64_e32 v[132:133], v[120:121], v[112:113]
	v_add_f64_e32 v[108:109], v[108:109], v[136:137]
	v_add_f64_e32 v[114:115], v[114:115], v[134:135]
	v_mul_f64_e32 v[134:135], v[122:123], v[112:113]
	v_fma_f64 v[136:137], v[4:5], v[104:105], v[138:139]
	v_fma_f64 v[138:139], v[2:3], v[104:105], -v[106:107]
	ds_load_b128 v[2:5], v1 offset:928
	scratch_load_b128 v[104:107], off, off offset:528
	v_fma_f64 v[122:123], v[122:123], v[110:111], v[132:133]
	v_add_f64_e32 v[108:109], v[108:109], v[130:131]
	v_add_f64_e32 v[124:125], v[114:115], v[124:125]
	ds_load_b128 v[112:115], v1 offset:944
	v_fma_f64 v[120:121], v[120:121], v[110:111], -v[134:135]
	s_wait_loadcnt_dscnt 0x701
	v_mul_f64_e32 v[130:131], v[2:3], v[128:129]
	v_mul_f64_e32 v[128:129], v[4:5], v[128:129]
	s_wait_dscnt 0x0
	v_mul_f64_e32 v[134:135], v[112:113], v[8:9]
	v_mul_f64_e32 v[8:9], v[114:115], v[8:9]
	v_add_f64_e32 v[132:133], v[108:109], v[138:139]
	v_add_f64_e32 v[124:125], v[124:125], v[136:137]
	scratch_load_b128 v[108:111], off, off offset:544
	v_fma_f64 v[130:131], v[4:5], v[126:127], v[130:131]
	v_fma_f64 v[126:127], v[2:3], v[126:127], -v[128:129]
	v_fma_f64 v[114:115], v[114:115], v[6:7], v[134:135]
	v_fma_f64 v[6:7], v[112:113], v[6:7], -v[8:9]
	v_add_f64_e32 v[128:129], v[132:133], v[120:121]
	v_add_f64_e32 v[124:125], v[124:125], v[122:123]
	ds_load_b128 v[2:5], v1 offset:960
	ds_load_b128 v[120:123], v1 offset:976
	s_wait_loadcnt_dscnt 0x701
	v_mul_f64_e32 v[132:133], v[2:3], v[13:14]
	v_mul_f64_e32 v[13:14], v[4:5], v[13:14]
	v_add_f64_e32 v[8:9], v[128:129], v[126:127]
	v_add_f64_e32 v[112:113], v[124:125], v[130:131]
	s_wait_loadcnt_dscnt 0x600
	v_mul_f64_e32 v[124:125], v[120:121], v[17:18]
	v_mul_f64_e32 v[17:18], v[122:123], v[17:18]
	v_fma_f64 v[126:127], v[4:5], v[11:12], v[132:133]
	v_fma_f64 v[11:12], v[2:3], v[11:12], -v[13:14]
	v_add_f64_e32 v[13:14], v[8:9], v[6:7]
	v_add_f64_e32 v[112:113], v[112:113], v[114:115]
	ds_load_b128 v[2:5], v1 offset:992
	ds_load_b128 v[6:9], v1 offset:1008
	v_fma_f64 v[122:123], v[122:123], v[15:16], v[124:125]
	v_fma_f64 v[15:16], v[120:121], v[15:16], -v[17:18]
	s_wait_loadcnt_dscnt 0x501
	v_mul_f64_e32 v[114:115], v[2:3], v[21:22]
	v_mul_f64_e32 v[21:22], v[4:5], v[21:22]
	s_wait_loadcnt_dscnt 0x400
	v_mul_f64_e32 v[17:18], v[6:7], v[94:95]
	v_mul_f64_e32 v[94:95], v[8:9], v[94:95]
	v_add_f64_e32 v[11:12], v[13:14], v[11:12]
	v_add_f64_e32 v[13:14], v[112:113], v[126:127]
	v_fma_f64 v[112:113], v[4:5], v[19:20], v[114:115]
	v_fma_f64 v[19:20], v[2:3], v[19:20], -v[21:22]
	v_fma_f64 v[8:9], v[8:9], v[92:93], v[17:18]
	v_fma_f64 v[6:7], v[6:7], v[92:93], -v[94:95]
	v_add_f64_e32 v[15:16], v[11:12], v[15:16]
	v_add_f64_e32 v[21:22], v[13:14], v[122:123]
	ds_load_b128 v[2:5], v1 offset:1024
	ds_load_b128 v[11:14], v1 offset:1040
	s_wait_loadcnt_dscnt 0x301
	v_mul_f64_e32 v[114:115], v[2:3], v[98:99]
	v_mul_f64_e32 v[98:99], v[4:5], v[98:99]
	v_add_f64_e32 v[15:16], v[15:16], v[19:20]
	v_add_f64_e32 v[17:18], v[21:22], v[112:113]
	s_wait_loadcnt_dscnt 0x200
	v_mul_f64_e32 v[19:20], v[11:12], v[102:103]
	v_mul_f64_e32 v[21:22], v[13:14], v[102:103]
	v_fma_f64 v[92:93], v[4:5], v[96:97], v[114:115]
	v_fma_f64 v[94:95], v[2:3], v[96:97], -v[98:99]
	v_add_f64_e32 v[15:16], v[15:16], v[6:7]
	v_add_f64_e32 v[17:18], v[17:18], v[8:9]
	ds_load_b128 v[2:5], v1 offset:1056
	ds_load_b128 v[6:9], v1 offset:1072
	v_fma_f64 v[13:14], v[13:14], v[100:101], v[19:20]
	v_fma_f64 v[11:12], v[11:12], v[100:101], -v[21:22]
	s_wait_loadcnt_dscnt 0x101
	v_mul_f64_e32 v[96:97], v[2:3], v[106:107]
	v_mul_f64_e32 v[98:99], v[4:5], v[106:107]
	v_add_f64_e32 v[15:16], v[15:16], v[94:95]
	v_add_f64_e32 v[17:18], v[17:18], v[92:93]
	s_wait_loadcnt_dscnt 0x0
	v_mul_f64_e32 v[19:20], v[6:7], v[110:111]
	v_mul_f64_e32 v[21:22], v[8:9], v[110:111]
	v_fma_f64 v[4:5], v[4:5], v[104:105], v[96:97]
	v_fma_f64 v[1:2], v[2:3], v[104:105], -v[98:99]
	v_add_f64_e32 v[11:12], v[15:16], v[11:12]
	v_add_f64_e32 v[13:14], v[17:18], v[13:14]
	v_fma_f64 v[8:9], v[8:9], v[108:109], v[19:20]
	v_fma_f64 v[6:7], v[6:7], v[108:109], -v[21:22]
	s_delay_alu instid0(VALU_DEP_4) | instskip(NEXT) | instid1(VALU_DEP_4)
	v_add_f64_e32 v[1:2], v[11:12], v[1:2]
	v_add_f64_e32 v[3:4], v[13:14], v[4:5]
	s_delay_alu instid0(VALU_DEP_2) | instskip(NEXT) | instid1(VALU_DEP_2)
	v_add_f64_e32 v[1:2], v[1:2], v[6:7]
	v_add_f64_e32 v[3:4], v[3:4], v[8:9]
	s_delay_alu instid0(VALU_DEP_2) | instskip(NEXT) | instid1(VALU_DEP_2)
	v_add_f64_e64 v[1:2], v[116:117], -v[1:2]
	v_add_f64_e64 v[3:4], v[118:119], -v[3:4]
	scratch_store_b128 off, v[1:4], off offset:64
	v_cmpx_lt_u32_e32 2, v0
	s_cbranch_execz .LBB97_213
; %bb.212:
	scratch_load_b128 v[1:4], off, s41
	v_mov_b32_e32 v5, 0
	s_delay_alu instid0(VALU_DEP_1)
	v_dual_mov_b32 v6, v5 :: v_dual_mov_b32 v7, v5
	v_mov_b32_e32 v8, v5
	scratch_store_b128 off, v[5:8], off offset:48
	s_wait_loadcnt 0x0
	ds_store_b128 v10, v[1:4]
.LBB97_213:
	s_wait_alu 0xfffe
	s_or_b32 exec_lo, exec_lo, s0
	s_wait_storecnt_dscnt 0x0
	s_barrier_signal -1
	s_barrier_wait -1
	global_inv scope:SCOPE_SE
	s_clause 0x7
	scratch_load_b128 v[2:5], off, off offset:64
	scratch_load_b128 v[6:9], off, off offset:80
	;; [unrolled: 1-line block ×8, first 2 shown]
	v_mov_b32_e32 v1, 0
	s_mov_b32 s0, exec_lo
	ds_load_b128 v[104:107], v1 offset:592
	s_clause 0x1
	scratch_load_b128 v[108:111], off, off offset:192
	scratch_load_b128 v[112:115], off, off offset:48
	ds_load_b128 v[116:119], v1 offset:608
	scratch_load_b128 v[120:123], off, off offset:208
	s_wait_loadcnt_dscnt 0xa01
	v_mul_f64_e32 v[124:125], v[106:107], v[4:5]
	v_mul_f64_e32 v[4:5], v[104:105], v[4:5]
	s_delay_alu instid0(VALU_DEP_2) | instskip(NEXT) | instid1(VALU_DEP_2)
	v_fma_f64 v[130:131], v[104:105], v[2:3], -v[124:125]
	v_fma_f64 v[132:133], v[106:107], v[2:3], v[4:5]
	ds_load_b128 v[2:5], v1 offset:624
	s_wait_loadcnt_dscnt 0x901
	v_mul_f64_e32 v[128:129], v[116:117], v[8:9]
	v_mul_f64_e32 v[8:9], v[118:119], v[8:9]
	scratch_load_b128 v[104:107], off, off offset:224
	ds_load_b128 v[124:127], v1 offset:640
	s_wait_loadcnt_dscnt 0x901
	v_mul_f64_e32 v[134:135], v[2:3], v[13:14]
	v_mul_f64_e32 v[13:14], v[4:5], v[13:14]
	v_fma_f64 v[118:119], v[118:119], v[6:7], v[128:129]
	v_fma_f64 v[116:117], v[116:117], v[6:7], -v[8:9]
	v_add_f64_e32 v[128:129], 0, v[130:131]
	v_add_f64_e32 v[130:131], 0, v[132:133]
	scratch_load_b128 v[6:9], off, off offset:240
	v_fma_f64 v[134:135], v[4:5], v[11:12], v[134:135]
	v_fma_f64 v[136:137], v[2:3], v[11:12], -v[13:14]
	ds_load_b128 v[2:5], v1 offset:656
	s_wait_loadcnt_dscnt 0x901
	v_mul_f64_e32 v[132:133], v[124:125], v[17:18]
	v_mul_f64_e32 v[17:18], v[126:127], v[17:18]
	scratch_load_b128 v[11:14], off, off offset:256
	v_add_f64_e32 v[128:129], v[128:129], v[116:117]
	v_add_f64_e32 v[130:131], v[130:131], v[118:119]
	s_wait_loadcnt_dscnt 0x900
	v_mul_f64_e32 v[138:139], v[2:3], v[21:22]
	v_mul_f64_e32 v[21:22], v[4:5], v[21:22]
	ds_load_b128 v[116:119], v1 offset:672
	v_fma_f64 v[126:127], v[126:127], v[15:16], v[132:133]
	v_fma_f64 v[124:125], v[124:125], v[15:16], -v[17:18]
	scratch_load_b128 v[15:18], off, off offset:272
	v_add_f64_e32 v[128:129], v[128:129], v[136:137]
	v_add_f64_e32 v[130:131], v[130:131], v[134:135]
	v_fma_f64 v[134:135], v[4:5], v[19:20], v[138:139]
	v_fma_f64 v[136:137], v[2:3], v[19:20], -v[21:22]
	ds_load_b128 v[2:5], v1 offset:688
	s_wait_loadcnt_dscnt 0x901
	v_mul_f64_e32 v[132:133], v[116:117], v[94:95]
	v_mul_f64_e32 v[94:95], v[118:119], v[94:95]
	scratch_load_b128 v[19:22], off, off offset:288
	s_wait_loadcnt_dscnt 0x900
	v_mul_f64_e32 v[138:139], v[2:3], v[98:99]
	v_mul_f64_e32 v[98:99], v[4:5], v[98:99]
	v_add_f64_e32 v[128:129], v[128:129], v[124:125]
	v_add_f64_e32 v[130:131], v[130:131], v[126:127]
	ds_load_b128 v[124:127], v1 offset:704
	v_fma_f64 v[118:119], v[118:119], v[92:93], v[132:133]
	v_fma_f64 v[116:117], v[116:117], v[92:93], -v[94:95]
	scratch_load_b128 v[92:95], off, off offset:304
	v_add_f64_e32 v[128:129], v[128:129], v[136:137]
	v_add_f64_e32 v[130:131], v[130:131], v[134:135]
	v_fma_f64 v[134:135], v[4:5], v[96:97], v[138:139]
	v_fma_f64 v[136:137], v[2:3], v[96:97], -v[98:99]
	ds_load_b128 v[2:5], v1 offset:720
	s_wait_loadcnt_dscnt 0x901
	v_mul_f64_e32 v[132:133], v[124:125], v[102:103]
	v_mul_f64_e32 v[102:103], v[126:127], v[102:103]
	scratch_load_b128 v[96:99], off, off offset:320
	s_wait_loadcnt_dscnt 0x900
	v_mul_f64_e32 v[138:139], v[2:3], v[110:111]
	v_mul_f64_e32 v[110:111], v[4:5], v[110:111]
	v_add_f64_e32 v[128:129], v[128:129], v[116:117]
	v_add_f64_e32 v[130:131], v[130:131], v[118:119]
	ds_load_b128 v[116:119], v1 offset:736
	v_fma_f64 v[126:127], v[126:127], v[100:101], v[132:133]
	v_fma_f64 v[124:125], v[124:125], v[100:101], -v[102:103]
	scratch_load_b128 v[100:103], off, off offset:336
	v_add_f64_e32 v[128:129], v[128:129], v[136:137]
	v_add_f64_e32 v[130:131], v[130:131], v[134:135]
	v_fma_f64 v[136:137], v[4:5], v[108:109], v[138:139]
	v_fma_f64 v[138:139], v[2:3], v[108:109], -v[110:111]
	ds_load_b128 v[2:5], v1 offset:752
	s_wait_loadcnt_dscnt 0x801
	v_mul_f64_e32 v[132:133], v[116:117], v[122:123]
	v_mul_f64_e32 v[134:135], v[118:119], v[122:123]
	scratch_load_b128 v[108:111], off, off offset:352
	v_add_f64_e32 v[128:129], v[128:129], v[124:125]
	v_add_f64_e32 v[126:127], v[130:131], v[126:127]
	ds_load_b128 v[122:125], v1 offset:768
	v_fma_f64 v[132:133], v[118:119], v[120:121], v[132:133]
	v_fma_f64 v[120:121], v[116:117], v[120:121], -v[134:135]
	scratch_load_b128 v[116:119], off, off offset:368
	s_wait_loadcnt_dscnt 0x901
	v_mul_f64_e32 v[130:131], v[2:3], v[106:107]
	v_mul_f64_e32 v[106:107], v[4:5], v[106:107]
	v_add_f64_e32 v[128:129], v[128:129], v[138:139]
	v_add_f64_e32 v[126:127], v[126:127], v[136:137]
	s_delay_alu instid0(VALU_DEP_4) | instskip(NEXT) | instid1(VALU_DEP_4)
	v_fma_f64 v[130:131], v[4:5], v[104:105], v[130:131]
	v_fma_f64 v[136:137], v[2:3], v[104:105], -v[106:107]
	ds_load_b128 v[2:5], v1 offset:784
	s_wait_loadcnt_dscnt 0x801
	v_mul_f64_e32 v[134:135], v[122:123], v[8:9]
	v_mul_f64_e32 v[8:9], v[124:125], v[8:9]
	scratch_load_b128 v[104:107], off, off offset:384
	s_wait_loadcnt_dscnt 0x800
	v_mul_f64_e32 v[138:139], v[2:3], v[13:14]
	v_add_f64_e32 v[120:121], v[128:129], v[120:121]
	v_add_f64_e32 v[132:133], v[126:127], v[132:133]
	v_mul_f64_e32 v[13:14], v[4:5], v[13:14]
	ds_load_b128 v[126:129], v1 offset:800
	v_fma_f64 v[124:125], v[124:125], v[6:7], v[134:135]
	v_fma_f64 v[122:123], v[122:123], v[6:7], -v[8:9]
	scratch_load_b128 v[6:9], off, off offset:400
	v_fma_f64 v[134:135], v[4:5], v[11:12], v[138:139]
	v_add_f64_e32 v[120:121], v[120:121], v[136:137]
	v_add_f64_e32 v[130:131], v[132:133], v[130:131]
	v_fma_f64 v[136:137], v[2:3], v[11:12], -v[13:14]
	ds_load_b128 v[2:5], v1 offset:816
	s_wait_loadcnt_dscnt 0x801
	v_mul_f64_e32 v[132:133], v[126:127], v[17:18]
	v_mul_f64_e32 v[17:18], v[128:129], v[17:18]
	scratch_load_b128 v[11:14], off, off offset:416
	v_add_f64_e32 v[138:139], v[120:121], v[122:123]
	v_add_f64_e32 v[124:125], v[130:131], v[124:125]
	s_wait_loadcnt_dscnt 0x800
	v_mul_f64_e32 v[130:131], v[2:3], v[21:22]
	v_mul_f64_e32 v[21:22], v[4:5], v[21:22]
	v_fma_f64 v[128:129], v[128:129], v[15:16], v[132:133]
	v_fma_f64 v[126:127], v[126:127], v[15:16], -v[17:18]
	ds_load_b128 v[120:123], v1 offset:832
	scratch_load_b128 v[15:18], off, off offset:432
	v_add_f64_e32 v[132:133], v[138:139], v[136:137]
	v_add_f64_e32 v[124:125], v[124:125], v[134:135]
	v_fma_f64 v[130:131], v[4:5], v[19:20], v[130:131]
	v_fma_f64 v[136:137], v[2:3], v[19:20], -v[21:22]
	ds_load_b128 v[2:5], v1 offset:848
	s_wait_loadcnt_dscnt 0x801
	v_mul_f64_e32 v[134:135], v[120:121], v[94:95]
	v_mul_f64_e32 v[94:95], v[122:123], v[94:95]
	scratch_load_b128 v[19:22], off, off offset:448
	s_wait_loadcnt_dscnt 0x800
	v_mul_f64_e32 v[138:139], v[2:3], v[98:99]
	v_mul_f64_e32 v[98:99], v[4:5], v[98:99]
	v_add_f64_e32 v[132:133], v[132:133], v[126:127]
	v_add_f64_e32 v[128:129], v[124:125], v[128:129]
	ds_load_b128 v[124:127], v1 offset:864
	v_fma_f64 v[122:123], v[122:123], v[92:93], v[134:135]
	v_fma_f64 v[120:121], v[120:121], v[92:93], -v[94:95]
	scratch_load_b128 v[92:95], off, off offset:464
	v_fma_f64 v[134:135], v[4:5], v[96:97], v[138:139]
	v_add_f64_e32 v[132:133], v[132:133], v[136:137]
	v_add_f64_e32 v[128:129], v[128:129], v[130:131]
	v_fma_f64 v[136:137], v[2:3], v[96:97], -v[98:99]
	ds_load_b128 v[2:5], v1 offset:880
	s_wait_loadcnt_dscnt 0x801
	v_mul_f64_e32 v[130:131], v[124:125], v[102:103]
	v_mul_f64_e32 v[102:103], v[126:127], v[102:103]
	scratch_load_b128 v[96:99], off, off offset:480
	s_wait_loadcnt_dscnt 0x800
	v_mul_f64_e32 v[138:139], v[2:3], v[110:111]
	v_mul_f64_e32 v[110:111], v[4:5], v[110:111]
	v_add_f64_e32 v[132:133], v[132:133], v[120:121]
	v_add_f64_e32 v[128:129], v[128:129], v[122:123]
	ds_load_b128 v[120:123], v1 offset:896
	v_fma_f64 v[126:127], v[126:127], v[100:101], v[130:131]
	v_fma_f64 v[124:125], v[124:125], v[100:101], -v[102:103]
	scratch_load_b128 v[100:103], off, off offset:496
	v_add_f64_e32 v[130:131], v[132:133], v[136:137]
	v_add_f64_e32 v[128:129], v[128:129], v[134:135]
	v_fma_f64 v[134:135], v[4:5], v[108:109], v[138:139]
	v_fma_f64 v[136:137], v[2:3], v[108:109], -v[110:111]
	ds_load_b128 v[2:5], v1 offset:912
	s_wait_loadcnt_dscnt 0x801
	v_mul_f64_e32 v[132:133], v[120:121], v[118:119]
	v_mul_f64_e32 v[118:119], v[122:123], v[118:119]
	scratch_load_b128 v[108:111], off, off offset:512
	s_wait_loadcnt_dscnt 0x800
	v_mul_f64_e32 v[138:139], v[2:3], v[106:107]
	v_mul_f64_e32 v[106:107], v[4:5], v[106:107]
	v_add_f64_e32 v[130:131], v[130:131], v[124:125]
	v_add_f64_e32 v[128:129], v[128:129], v[126:127]
	ds_load_b128 v[124:127], v1 offset:928
	v_fma_f64 v[122:123], v[122:123], v[116:117], v[132:133]
	v_fma_f64 v[120:121], v[120:121], v[116:117], -v[118:119]
	scratch_load_b128 v[116:119], off, off offset:528
	v_add_f64_e32 v[130:131], v[130:131], v[136:137]
	v_add_f64_e32 v[128:129], v[128:129], v[134:135]
	v_fma_f64 v[134:135], v[4:5], v[104:105], v[138:139]
	v_fma_f64 v[136:137], v[2:3], v[104:105], -v[106:107]
	ds_load_b128 v[2:5], v1 offset:944
	s_wait_loadcnt_dscnt 0x801
	v_mul_f64_e32 v[132:133], v[124:125], v[8:9]
	v_mul_f64_e32 v[8:9], v[126:127], v[8:9]
	scratch_load_b128 v[104:107], off, off offset:544
	s_wait_loadcnt_dscnt 0x800
	v_mul_f64_e32 v[138:139], v[2:3], v[13:14]
	v_mul_f64_e32 v[13:14], v[4:5], v[13:14]
	v_add_f64_e32 v[130:131], v[130:131], v[120:121]
	v_add_f64_e32 v[128:129], v[128:129], v[122:123]
	ds_load_b128 v[120:123], v1 offset:960
	v_fma_f64 v[126:127], v[126:127], v[6:7], v[132:133]
	v_fma_f64 v[6:7], v[124:125], v[6:7], -v[8:9]
	v_add_f64_e32 v[8:9], v[130:131], v[136:137]
	v_add_f64_e32 v[124:125], v[128:129], v[134:135]
	s_wait_loadcnt_dscnt 0x700
	v_mul_f64_e32 v[128:129], v[120:121], v[17:18]
	v_mul_f64_e32 v[17:18], v[122:123], v[17:18]
	v_fma_f64 v[130:131], v[4:5], v[11:12], v[138:139]
	v_fma_f64 v[11:12], v[2:3], v[11:12], -v[13:14]
	v_add_f64_e32 v[13:14], v[8:9], v[6:7]
	v_add_f64_e32 v[124:125], v[124:125], v[126:127]
	ds_load_b128 v[2:5], v1 offset:976
	ds_load_b128 v[6:9], v1 offset:992
	v_fma_f64 v[122:123], v[122:123], v[15:16], v[128:129]
	v_fma_f64 v[15:16], v[120:121], v[15:16], -v[17:18]
	s_wait_loadcnt_dscnt 0x601
	v_mul_f64_e32 v[126:127], v[2:3], v[21:22]
	v_mul_f64_e32 v[21:22], v[4:5], v[21:22]
	s_wait_loadcnt_dscnt 0x500
	v_mul_f64_e32 v[17:18], v[6:7], v[94:95]
	v_mul_f64_e32 v[94:95], v[8:9], v[94:95]
	v_add_f64_e32 v[11:12], v[13:14], v[11:12]
	v_add_f64_e32 v[13:14], v[124:125], v[130:131]
	v_fma_f64 v[120:121], v[4:5], v[19:20], v[126:127]
	v_fma_f64 v[19:20], v[2:3], v[19:20], -v[21:22]
	v_fma_f64 v[8:9], v[8:9], v[92:93], v[17:18]
	v_fma_f64 v[6:7], v[6:7], v[92:93], -v[94:95]
	v_add_f64_e32 v[15:16], v[11:12], v[15:16]
	v_add_f64_e32 v[21:22], v[13:14], v[122:123]
	ds_load_b128 v[2:5], v1 offset:1008
	ds_load_b128 v[11:14], v1 offset:1024
	s_wait_loadcnt_dscnt 0x401
	v_mul_f64_e32 v[122:123], v[2:3], v[98:99]
	v_mul_f64_e32 v[98:99], v[4:5], v[98:99]
	v_add_f64_e32 v[15:16], v[15:16], v[19:20]
	v_add_f64_e32 v[17:18], v[21:22], v[120:121]
	s_wait_loadcnt_dscnt 0x300
	v_mul_f64_e32 v[19:20], v[11:12], v[102:103]
	v_mul_f64_e32 v[21:22], v[13:14], v[102:103]
	v_fma_f64 v[92:93], v[4:5], v[96:97], v[122:123]
	v_fma_f64 v[94:95], v[2:3], v[96:97], -v[98:99]
	v_add_f64_e32 v[15:16], v[15:16], v[6:7]
	v_add_f64_e32 v[17:18], v[17:18], v[8:9]
	ds_load_b128 v[2:5], v1 offset:1040
	ds_load_b128 v[6:9], v1 offset:1056
	v_fma_f64 v[13:14], v[13:14], v[100:101], v[19:20]
	v_fma_f64 v[11:12], v[11:12], v[100:101], -v[21:22]
	s_wait_loadcnt_dscnt 0x201
	v_mul_f64_e32 v[96:97], v[2:3], v[110:111]
	v_mul_f64_e32 v[98:99], v[4:5], v[110:111]
	s_wait_loadcnt_dscnt 0x100
	v_mul_f64_e32 v[19:20], v[6:7], v[118:119]
	v_mul_f64_e32 v[21:22], v[8:9], v[118:119]
	v_add_f64_e32 v[15:16], v[15:16], v[94:95]
	v_add_f64_e32 v[17:18], v[17:18], v[92:93]
	v_fma_f64 v[92:93], v[4:5], v[108:109], v[96:97]
	v_fma_f64 v[94:95], v[2:3], v[108:109], -v[98:99]
	ds_load_b128 v[2:5], v1 offset:1072
	v_fma_f64 v[8:9], v[8:9], v[116:117], v[19:20]
	v_fma_f64 v[6:7], v[6:7], v[116:117], -v[21:22]
	v_add_f64_e32 v[11:12], v[15:16], v[11:12]
	v_add_f64_e32 v[13:14], v[17:18], v[13:14]
	s_wait_loadcnt_dscnt 0x0
	v_mul_f64_e32 v[15:16], v[2:3], v[106:107]
	v_mul_f64_e32 v[17:18], v[4:5], v[106:107]
	s_delay_alu instid0(VALU_DEP_4) | instskip(NEXT) | instid1(VALU_DEP_4)
	v_add_f64_e32 v[11:12], v[11:12], v[94:95]
	v_add_f64_e32 v[13:14], v[13:14], v[92:93]
	s_delay_alu instid0(VALU_DEP_4) | instskip(NEXT) | instid1(VALU_DEP_4)
	v_fma_f64 v[4:5], v[4:5], v[104:105], v[15:16]
	v_fma_f64 v[2:3], v[2:3], v[104:105], -v[17:18]
	s_delay_alu instid0(VALU_DEP_4) | instskip(NEXT) | instid1(VALU_DEP_4)
	v_add_f64_e32 v[6:7], v[11:12], v[6:7]
	v_add_f64_e32 v[8:9], v[13:14], v[8:9]
	s_delay_alu instid0(VALU_DEP_2) | instskip(NEXT) | instid1(VALU_DEP_2)
	v_add_f64_e32 v[2:3], v[6:7], v[2:3]
	v_add_f64_e32 v[4:5], v[8:9], v[4:5]
	s_delay_alu instid0(VALU_DEP_2) | instskip(NEXT) | instid1(VALU_DEP_2)
	v_add_f64_e64 v[2:3], v[112:113], -v[2:3]
	v_add_f64_e64 v[4:5], v[114:115], -v[4:5]
	scratch_store_b128 off, v[2:5], off offset:48
	v_cmpx_lt_u32_e32 1, v0
	s_cbranch_execz .LBB97_215
; %bb.214:
	scratch_load_b128 v[5:8], off, s42
	v_dual_mov_b32 v2, v1 :: v_dual_mov_b32 v3, v1
	v_mov_b32_e32 v4, v1
	scratch_store_b128 off, v[1:4], off offset:32
	s_wait_loadcnt 0x0
	ds_store_b128 v10, v[5:8]
.LBB97_215:
	s_wait_alu 0xfffe
	s_or_b32 exec_lo, exec_lo, s0
	s_wait_storecnt_dscnt 0x0
	s_barrier_signal -1
	s_barrier_wait -1
	global_inv scope:SCOPE_SE
	s_clause 0x8
	scratch_load_b128 v[2:5], off, off offset:48
	scratch_load_b128 v[6:9], off, off offset:64
	;; [unrolled: 1-line block ×9, first 2 shown]
	ds_load_b128 v[108:111], v1 offset:576
	ds_load_b128 v[112:115], v1 offset:592
	s_clause 0x1
	scratch_load_b128 v[116:119], off, off offset:32
	scratch_load_b128 v[120:123], off, off offset:192
	s_mov_b32 s0, exec_lo
	s_wait_loadcnt_dscnt 0xa01
	v_mul_f64_e32 v[124:125], v[110:111], v[4:5]
	v_mul_f64_e32 v[4:5], v[108:109], v[4:5]
	s_wait_loadcnt_dscnt 0x900
	v_mul_f64_e32 v[128:129], v[112:113], v[8:9]
	v_mul_f64_e32 v[8:9], v[114:115], v[8:9]
	s_delay_alu instid0(VALU_DEP_4) | instskip(NEXT) | instid1(VALU_DEP_4)
	v_fma_f64 v[130:131], v[108:109], v[2:3], -v[124:125]
	v_fma_f64 v[132:133], v[110:111], v[2:3], v[4:5]
	ds_load_b128 v[2:5], v1 offset:608
	ds_load_b128 v[124:127], v1 offset:624
	scratch_load_b128 v[108:111], off, off offset:208
	v_fma_f64 v[114:115], v[114:115], v[6:7], v[128:129]
	v_fma_f64 v[112:113], v[112:113], v[6:7], -v[8:9]
	scratch_load_b128 v[6:9], off, off offset:224
	s_wait_loadcnt_dscnt 0xa01
	v_mul_f64_e32 v[134:135], v[2:3], v[13:14]
	v_mul_f64_e32 v[13:14], v[4:5], v[13:14]
	v_add_f64_e32 v[128:129], 0, v[130:131]
	v_add_f64_e32 v[130:131], 0, v[132:133]
	s_wait_loadcnt_dscnt 0x900
	v_mul_f64_e32 v[132:133], v[124:125], v[17:18]
	v_mul_f64_e32 v[17:18], v[126:127], v[17:18]
	v_fma_f64 v[134:135], v[4:5], v[11:12], v[134:135]
	v_fma_f64 v[136:137], v[2:3], v[11:12], -v[13:14]
	ds_load_b128 v[2:5], v1 offset:640
	scratch_load_b128 v[11:14], off, off offset:240
	v_add_f64_e32 v[128:129], v[128:129], v[112:113]
	v_add_f64_e32 v[130:131], v[130:131], v[114:115]
	ds_load_b128 v[112:115], v1 offset:656
	v_fma_f64 v[126:127], v[126:127], v[15:16], v[132:133]
	v_fma_f64 v[124:125], v[124:125], v[15:16], -v[17:18]
	scratch_load_b128 v[15:18], off, off offset:256
	s_wait_loadcnt_dscnt 0xa01
	v_mul_f64_e32 v[138:139], v[2:3], v[21:22]
	v_mul_f64_e32 v[21:22], v[4:5], v[21:22]
	s_wait_loadcnt_dscnt 0x900
	v_mul_f64_e32 v[132:133], v[112:113], v[94:95]
	v_mul_f64_e32 v[94:95], v[114:115], v[94:95]
	v_add_f64_e32 v[128:129], v[128:129], v[136:137]
	v_add_f64_e32 v[130:131], v[130:131], v[134:135]
	v_fma_f64 v[134:135], v[4:5], v[19:20], v[138:139]
	v_fma_f64 v[136:137], v[2:3], v[19:20], -v[21:22]
	ds_load_b128 v[2:5], v1 offset:672
	scratch_load_b128 v[19:22], off, off offset:272
	v_fma_f64 v[114:115], v[114:115], v[92:93], v[132:133]
	v_fma_f64 v[112:113], v[112:113], v[92:93], -v[94:95]
	scratch_load_b128 v[92:95], off, off offset:288
	v_add_f64_e32 v[128:129], v[128:129], v[124:125]
	v_add_f64_e32 v[130:131], v[130:131], v[126:127]
	ds_load_b128 v[124:127], v1 offset:688
	s_wait_loadcnt_dscnt 0xa01
	v_mul_f64_e32 v[138:139], v[2:3], v[98:99]
	v_mul_f64_e32 v[98:99], v[4:5], v[98:99]
	s_wait_loadcnt_dscnt 0x900
	v_mul_f64_e32 v[132:133], v[124:125], v[102:103]
	v_mul_f64_e32 v[102:103], v[126:127], v[102:103]
	v_add_f64_e32 v[128:129], v[128:129], v[136:137]
	v_add_f64_e32 v[130:131], v[130:131], v[134:135]
	v_fma_f64 v[134:135], v[4:5], v[96:97], v[138:139]
	v_fma_f64 v[136:137], v[2:3], v[96:97], -v[98:99]
	ds_load_b128 v[2:5], v1 offset:704
	scratch_load_b128 v[96:99], off, off offset:304
	v_fma_f64 v[126:127], v[126:127], v[100:101], v[132:133]
	v_fma_f64 v[124:125], v[124:125], v[100:101], -v[102:103]
	scratch_load_b128 v[100:103], off, off offset:320
	v_add_f64_e32 v[128:129], v[128:129], v[112:113]
	v_add_f64_e32 v[130:131], v[130:131], v[114:115]
	ds_load_b128 v[112:115], v1 offset:720
	s_wait_loadcnt_dscnt 0xa01
	v_mul_f64_e32 v[138:139], v[2:3], v[106:107]
	v_mul_f64_e32 v[106:107], v[4:5], v[106:107]
	s_wait_loadcnt_dscnt 0x800
	v_mul_f64_e32 v[132:133], v[112:113], v[122:123]
	v_add_f64_e32 v[128:129], v[128:129], v[136:137]
	v_add_f64_e32 v[130:131], v[130:131], v[134:135]
	v_mul_f64_e32 v[134:135], v[114:115], v[122:123]
	v_fma_f64 v[136:137], v[4:5], v[104:105], v[138:139]
	v_fma_f64 v[138:139], v[2:3], v[104:105], -v[106:107]
	ds_load_b128 v[2:5], v1 offset:736
	scratch_load_b128 v[104:107], off, off offset:336
	v_fma_f64 v[114:115], v[114:115], v[120:121], v[132:133]
	v_add_f64_e32 v[128:129], v[128:129], v[124:125]
	v_add_f64_e32 v[126:127], v[130:131], v[126:127]
	ds_load_b128 v[122:125], v1 offset:752
	v_fma_f64 v[120:121], v[112:113], v[120:121], -v[134:135]
	s_wait_loadcnt_dscnt 0x801
	v_mul_f64_e32 v[130:131], v[2:3], v[110:111]
	v_mul_f64_e32 v[140:141], v[4:5], v[110:111]
	scratch_load_b128 v[110:113], off, off offset:352
	s_wait_loadcnt_dscnt 0x800
	v_mul_f64_e32 v[134:135], v[122:123], v[8:9]
	v_mul_f64_e32 v[8:9], v[124:125], v[8:9]
	v_add_f64_e32 v[128:129], v[128:129], v[138:139]
	v_add_f64_e32 v[126:127], v[126:127], v[136:137]
	v_fma_f64 v[136:137], v[4:5], v[108:109], v[130:131]
	v_fma_f64 v[108:109], v[2:3], v[108:109], -v[140:141]
	ds_load_b128 v[2:5], v1 offset:768
	ds_load_b128 v[130:133], v1 offset:784
	v_fma_f64 v[124:125], v[124:125], v[6:7], v[134:135]
	v_fma_f64 v[122:123], v[122:123], v[6:7], -v[8:9]
	scratch_load_b128 v[6:9], off, off offset:384
	v_add_f64_e32 v[120:121], v[128:129], v[120:121]
	v_add_f64_e32 v[114:115], v[126:127], v[114:115]
	scratch_load_b128 v[126:129], off, off offset:368
	s_wait_loadcnt_dscnt 0x901
	v_mul_f64_e32 v[138:139], v[2:3], v[13:14]
	v_mul_f64_e32 v[13:14], v[4:5], v[13:14]
	s_wait_loadcnt_dscnt 0x800
	v_mul_f64_e32 v[134:135], v[130:131], v[17:18]
	v_mul_f64_e32 v[17:18], v[132:133], v[17:18]
	v_add_f64_e32 v[108:109], v[120:121], v[108:109]
	v_add_f64_e32 v[114:115], v[114:115], v[136:137]
	v_fma_f64 v[136:137], v[4:5], v[11:12], v[138:139]
	v_fma_f64 v[138:139], v[2:3], v[11:12], -v[13:14]
	ds_load_b128 v[2:5], v1 offset:800
	scratch_load_b128 v[11:14], off, off offset:400
	v_fma_f64 v[132:133], v[132:133], v[15:16], v[134:135]
	v_fma_f64 v[130:131], v[130:131], v[15:16], -v[17:18]
	scratch_load_b128 v[15:18], off, off offset:416
	v_add_f64_e32 v[108:109], v[108:109], v[122:123]
	v_add_f64_e32 v[114:115], v[114:115], v[124:125]
	ds_load_b128 v[120:123], v1 offset:816
	s_wait_loadcnt_dscnt 0x901
	v_mul_f64_e32 v[124:125], v[2:3], v[21:22]
	v_mul_f64_e32 v[21:22], v[4:5], v[21:22]
	s_wait_loadcnt_dscnt 0x800
	v_mul_f64_e32 v[134:135], v[120:121], v[94:95]
	v_mul_f64_e32 v[94:95], v[122:123], v[94:95]
	v_add_f64_e32 v[108:109], v[108:109], v[138:139]
	v_add_f64_e32 v[114:115], v[114:115], v[136:137]
	v_fma_f64 v[124:125], v[4:5], v[19:20], v[124:125]
	v_fma_f64 v[136:137], v[2:3], v[19:20], -v[21:22]
	ds_load_b128 v[2:5], v1 offset:832
	scratch_load_b128 v[19:22], off, off offset:432
	v_fma_f64 v[122:123], v[122:123], v[92:93], v[134:135]
	v_fma_f64 v[120:121], v[120:121], v[92:93], -v[94:95]
	scratch_load_b128 v[92:95], off, off offset:448
	v_add_f64_e32 v[108:109], v[108:109], v[130:131]
	v_add_f64_e32 v[114:115], v[114:115], v[132:133]
	ds_load_b128 v[130:133], v1 offset:848
	s_wait_loadcnt_dscnt 0x901
	v_mul_f64_e32 v[138:139], v[2:3], v[98:99]
	v_mul_f64_e32 v[98:99], v[4:5], v[98:99]
	v_add_f64_e32 v[108:109], v[108:109], v[136:137]
	v_add_f64_e32 v[114:115], v[114:115], v[124:125]
	s_wait_loadcnt_dscnt 0x800
	v_mul_f64_e32 v[124:125], v[130:131], v[102:103]
	v_mul_f64_e32 v[102:103], v[132:133], v[102:103]
	v_fma_f64 v[134:135], v[4:5], v[96:97], v[138:139]
	v_fma_f64 v[136:137], v[2:3], v[96:97], -v[98:99]
	ds_load_b128 v[2:5], v1 offset:864
	scratch_load_b128 v[96:99], off, off offset:464
	v_add_f64_e32 v[108:109], v[108:109], v[120:121]
	v_add_f64_e32 v[114:115], v[114:115], v[122:123]
	ds_load_b128 v[120:123], v1 offset:880
	s_wait_loadcnt_dscnt 0x801
	v_mul_f64_e32 v[138:139], v[2:3], v[106:107]
	v_mul_f64_e32 v[106:107], v[4:5], v[106:107]
	v_fma_f64 v[124:125], v[132:133], v[100:101], v[124:125]
	v_fma_f64 v[130:131], v[130:131], v[100:101], -v[102:103]
	scratch_load_b128 v[100:103], off, off offset:480
	s_wait_loadcnt_dscnt 0x800
	v_mul_f64_e32 v[132:133], v[120:121], v[112:113]
	v_add_f64_e32 v[108:109], v[108:109], v[136:137]
	v_add_f64_e32 v[114:115], v[114:115], v[134:135]
	v_mul_f64_e32 v[134:135], v[122:123], v[112:113]
	v_fma_f64 v[136:137], v[4:5], v[104:105], v[138:139]
	v_fma_f64 v[138:139], v[2:3], v[104:105], -v[106:107]
	ds_load_b128 v[2:5], v1 offset:896
	scratch_load_b128 v[104:107], off, off offset:496
	v_fma_f64 v[122:123], v[122:123], v[110:111], v[132:133]
	v_add_f64_e32 v[108:109], v[108:109], v[130:131]
	v_add_f64_e32 v[124:125], v[114:115], v[124:125]
	ds_load_b128 v[112:115], v1 offset:912
	v_fma_f64 v[120:121], v[120:121], v[110:111], -v[134:135]
	s_wait_loadcnt_dscnt 0x701
	v_mul_f64_e32 v[130:131], v[2:3], v[128:129]
	v_mul_f64_e32 v[128:129], v[4:5], v[128:129]
	s_wait_dscnt 0x0
	v_mul_f64_e32 v[134:135], v[112:113], v[8:9]
	v_mul_f64_e32 v[8:9], v[114:115], v[8:9]
	v_add_f64_e32 v[132:133], v[108:109], v[138:139]
	v_add_f64_e32 v[124:125], v[124:125], v[136:137]
	scratch_load_b128 v[108:111], off, off offset:512
	v_fma_f64 v[130:131], v[4:5], v[126:127], v[130:131]
	v_fma_f64 v[128:129], v[2:3], v[126:127], -v[128:129]
	ds_load_b128 v[2:5], v1 offset:928
	v_fma_f64 v[114:115], v[114:115], v[6:7], v[134:135]
	v_fma_f64 v[112:113], v[112:113], v[6:7], -v[8:9]
	scratch_load_b128 v[6:9], off, off offset:544
	v_add_f64_e32 v[132:133], v[132:133], v[120:121]
	v_add_f64_e32 v[136:137], v[124:125], v[122:123]
	scratch_load_b128 v[120:123], off, off offset:528
	ds_load_b128 v[124:127], v1 offset:944
	s_wait_loadcnt_dscnt 0x901
	v_mul_f64_e32 v[138:139], v[2:3], v[13:14]
	v_mul_f64_e32 v[13:14], v[4:5], v[13:14]
	v_add_f64_e32 v[128:129], v[132:133], v[128:129]
	v_add_f64_e32 v[130:131], v[136:137], v[130:131]
	s_wait_loadcnt_dscnt 0x800
	v_mul_f64_e32 v[132:133], v[124:125], v[17:18]
	v_mul_f64_e32 v[17:18], v[126:127], v[17:18]
	v_fma_f64 v[134:135], v[4:5], v[11:12], v[138:139]
	v_fma_f64 v[136:137], v[2:3], v[11:12], -v[13:14]
	ds_load_b128 v[2:5], v1 offset:960
	ds_load_b128 v[11:14], v1 offset:976
	v_add_f64_e32 v[112:113], v[128:129], v[112:113]
	v_add_f64_e32 v[114:115], v[130:131], v[114:115]
	s_wait_loadcnt_dscnt 0x701
	v_mul_f64_e32 v[128:129], v[2:3], v[21:22]
	v_mul_f64_e32 v[21:22], v[4:5], v[21:22]
	v_fma_f64 v[126:127], v[126:127], v[15:16], v[132:133]
	v_fma_f64 v[15:16], v[124:125], v[15:16], -v[17:18]
	v_add_f64_e32 v[17:18], v[112:113], v[136:137]
	v_add_f64_e32 v[112:113], v[114:115], v[134:135]
	s_wait_loadcnt_dscnt 0x600
	v_mul_f64_e32 v[114:115], v[11:12], v[94:95]
	v_mul_f64_e32 v[94:95], v[13:14], v[94:95]
	v_fma_f64 v[124:125], v[4:5], v[19:20], v[128:129]
	v_fma_f64 v[19:20], v[2:3], v[19:20], -v[21:22]
	v_add_f64_e32 v[21:22], v[17:18], v[15:16]
	v_add_f64_e32 v[112:113], v[112:113], v[126:127]
	ds_load_b128 v[2:5], v1 offset:992
	ds_load_b128 v[15:18], v1 offset:1008
	v_fma_f64 v[13:14], v[13:14], v[92:93], v[114:115]
	v_fma_f64 v[11:12], v[11:12], v[92:93], -v[94:95]
	s_wait_loadcnt_dscnt 0x501
	v_mul_f64_e32 v[126:127], v[2:3], v[98:99]
	v_mul_f64_e32 v[98:99], v[4:5], v[98:99]
	s_wait_loadcnt_dscnt 0x400
	v_mul_f64_e32 v[92:93], v[15:16], v[102:103]
	v_mul_f64_e32 v[94:95], v[17:18], v[102:103]
	v_add_f64_e32 v[19:20], v[21:22], v[19:20]
	v_add_f64_e32 v[21:22], v[112:113], v[124:125]
	v_fma_f64 v[102:103], v[4:5], v[96:97], v[126:127]
	v_fma_f64 v[96:97], v[2:3], v[96:97], -v[98:99]
	v_fma_f64 v[17:18], v[17:18], v[100:101], v[92:93]
	v_fma_f64 v[15:16], v[15:16], v[100:101], -v[94:95]
	v_add_f64_e32 v[19:20], v[19:20], v[11:12]
	v_add_f64_e32 v[21:22], v[21:22], v[13:14]
	ds_load_b128 v[2:5], v1 offset:1024
	ds_load_b128 v[11:14], v1 offset:1040
	s_wait_loadcnt_dscnt 0x301
	v_mul_f64_e32 v[98:99], v[2:3], v[106:107]
	v_mul_f64_e32 v[106:107], v[4:5], v[106:107]
	v_add_f64_e32 v[19:20], v[19:20], v[96:97]
	v_add_f64_e32 v[21:22], v[21:22], v[102:103]
	s_wait_loadcnt_dscnt 0x200
	v_mul_f64_e32 v[92:93], v[11:12], v[110:111]
	v_mul_f64_e32 v[94:95], v[13:14], v[110:111]
	v_fma_f64 v[96:97], v[4:5], v[104:105], v[98:99]
	v_fma_f64 v[98:99], v[2:3], v[104:105], -v[106:107]
	v_add_f64_e32 v[19:20], v[19:20], v[15:16]
	v_add_f64_e32 v[21:22], v[21:22], v[17:18]
	ds_load_b128 v[2:5], v1 offset:1056
	ds_load_b128 v[15:18], v1 offset:1072
	v_fma_f64 v[13:14], v[13:14], v[108:109], v[92:93]
	v_fma_f64 v[11:12], v[11:12], v[108:109], -v[94:95]
	s_wait_loadcnt_dscnt 0x1
	v_mul_f64_e32 v[100:101], v[2:3], v[122:123]
	v_mul_f64_e32 v[102:103], v[4:5], v[122:123]
	s_wait_dscnt 0x0
	v_mul_f64_e32 v[92:93], v[15:16], v[8:9]
	v_mul_f64_e32 v[8:9], v[17:18], v[8:9]
	v_add_f64_e32 v[19:20], v[19:20], v[98:99]
	v_add_f64_e32 v[21:22], v[21:22], v[96:97]
	v_fma_f64 v[4:5], v[4:5], v[120:121], v[100:101]
	v_fma_f64 v[1:2], v[2:3], v[120:121], -v[102:103]
	v_fma_f64 v[17:18], v[17:18], v[6:7], v[92:93]
	v_fma_f64 v[6:7], v[15:16], v[6:7], -v[8:9]
	v_add_f64_e32 v[11:12], v[19:20], v[11:12]
	v_add_f64_e32 v[13:14], v[21:22], v[13:14]
	s_delay_alu instid0(VALU_DEP_2) | instskip(NEXT) | instid1(VALU_DEP_2)
	v_add_f64_e32 v[1:2], v[11:12], v[1:2]
	v_add_f64_e32 v[3:4], v[13:14], v[4:5]
	s_delay_alu instid0(VALU_DEP_2) | instskip(NEXT) | instid1(VALU_DEP_2)
	;; [unrolled: 3-line block ×3, first 2 shown]
	v_add_f64_e64 v[1:2], v[116:117], -v[1:2]
	v_add_f64_e64 v[3:4], v[118:119], -v[3:4]
	scratch_store_b128 off, v[1:4], off offset:32
	v_cmpx_ne_u32_e32 0, v0
	s_cbranch_execz .LBB97_217
; %bb.216:
	scratch_load_b128 v[0:3], off, off offset:16
	v_mov_b32_e32 v4, 0
	s_delay_alu instid0(VALU_DEP_1)
	v_dual_mov_b32 v5, v4 :: v_dual_mov_b32 v6, v4
	v_mov_b32_e32 v7, v4
	scratch_store_b128 off, v[4:7], off offset:16
	s_wait_loadcnt 0x0
	ds_store_b128 v10, v[0:3]
.LBB97_217:
	s_wait_alu 0xfffe
	s_or_b32 exec_lo, exec_lo, s0
	s_wait_storecnt_dscnt 0x0
	s_barrier_signal -1
	s_barrier_wait -1
	global_inv scope:SCOPE_SE
	s_clause 0x7
	scratch_load_b128 v[0:3], off, off offset:32
	scratch_load_b128 v[4:7], off, off offset:48
	;; [unrolled: 1-line block ×8, first 2 shown]
	v_mov_b32_e32 v92, 0
	s_and_b32 vcc_lo, exec_lo, s12
	ds_load_b128 v[101:104], v92 offset:560
	s_clause 0x1
	scratch_load_b128 v[105:108], off, off offset:160
	scratch_load_b128 v[109:112], off, off offset:16
	ds_load_b128 v[113:116], v92 offset:576
	scratch_load_b128 v[117:120], off, off offset:176
	s_wait_loadcnt_dscnt 0xa01
	v_mul_f64_e32 v[121:122], v[103:104], v[2:3]
	v_mul_f64_e32 v[2:3], v[101:102], v[2:3]
	s_delay_alu instid0(VALU_DEP_2) | instskip(NEXT) | instid1(VALU_DEP_2)
	v_fma_f64 v[127:128], v[101:102], v[0:1], -v[121:122]
	v_fma_f64 v[129:130], v[103:104], v[0:1], v[2:3]
	ds_load_b128 v[0:3], v92 offset:592
	s_wait_loadcnt_dscnt 0x901
	v_mul_f64_e32 v[125:126], v[113:114], v[6:7]
	v_mul_f64_e32 v[6:7], v[115:116], v[6:7]
	scratch_load_b128 v[101:104], off, off offset:192
	ds_load_b128 v[121:124], v92 offset:608
	s_wait_loadcnt_dscnt 0x901
	v_mul_f64_e32 v[131:132], v[0:1], v[10:11]
	v_mul_f64_e32 v[10:11], v[2:3], v[10:11]
	v_fma_f64 v[115:116], v[115:116], v[4:5], v[125:126]
	v_fma_f64 v[113:114], v[113:114], v[4:5], -v[6:7]
	v_add_f64_e32 v[125:126], 0, v[127:128]
	v_add_f64_e32 v[127:128], 0, v[129:130]
	scratch_load_b128 v[4:7], off, off offset:208
	v_fma_f64 v[131:132], v[2:3], v[8:9], v[131:132]
	v_fma_f64 v[133:134], v[0:1], v[8:9], -v[10:11]
	ds_load_b128 v[0:3], v92 offset:624
	s_wait_loadcnt_dscnt 0x901
	v_mul_f64_e32 v[129:130], v[121:122], v[14:15]
	v_mul_f64_e32 v[14:15], v[123:124], v[14:15]
	scratch_load_b128 v[8:11], off, off offset:224
	v_add_f64_e32 v[125:126], v[125:126], v[113:114]
	v_add_f64_e32 v[127:128], v[127:128], v[115:116]
	s_wait_loadcnt_dscnt 0x900
	v_mul_f64_e32 v[135:136], v[0:1], v[18:19]
	v_mul_f64_e32 v[18:19], v[2:3], v[18:19]
	ds_load_b128 v[113:116], v92 offset:640
	v_fma_f64 v[123:124], v[123:124], v[12:13], v[129:130]
	v_fma_f64 v[121:122], v[121:122], v[12:13], -v[14:15]
	scratch_load_b128 v[12:15], off, off offset:240
	v_add_f64_e32 v[125:126], v[125:126], v[133:134]
	v_add_f64_e32 v[127:128], v[127:128], v[131:132]
	v_fma_f64 v[131:132], v[2:3], v[16:17], v[135:136]
	v_fma_f64 v[133:134], v[0:1], v[16:17], -v[18:19]
	ds_load_b128 v[0:3], v92 offset:656
	s_wait_loadcnt_dscnt 0x901
	v_mul_f64_e32 v[129:130], v[113:114], v[22:23]
	v_mul_f64_e32 v[22:23], v[115:116], v[22:23]
	scratch_load_b128 v[16:19], off, off offset:256
	s_wait_loadcnt_dscnt 0x900
	v_mul_f64_e32 v[135:136], v[0:1], v[95:96]
	v_mul_f64_e32 v[95:96], v[2:3], v[95:96]
	v_add_f64_e32 v[125:126], v[125:126], v[121:122]
	v_add_f64_e32 v[127:128], v[127:128], v[123:124]
	ds_load_b128 v[121:124], v92 offset:672
	v_fma_f64 v[115:116], v[115:116], v[20:21], v[129:130]
	v_fma_f64 v[113:114], v[113:114], v[20:21], -v[22:23]
	scratch_load_b128 v[20:23], off, off offset:272
	v_add_f64_e32 v[125:126], v[125:126], v[133:134]
	v_add_f64_e32 v[127:128], v[127:128], v[131:132]
	v_fma_f64 v[131:132], v[2:3], v[93:94], v[135:136]
	v_fma_f64 v[133:134], v[0:1], v[93:94], -v[95:96]
	ds_load_b128 v[0:3], v92 offset:688
	s_wait_loadcnt_dscnt 0x901
	v_mul_f64_e32 v[129:130], v[121:122], v[99:100]
	v_mul_f64_e32 v[99:100], v[123:124], v[99:100]
	scratch_load_b128 v[93:96], off, off offset:288
	s_wait_loadcnt_dscnt 0x900
	v_mul_f64_e32 v[135:136], v[0:1], v[107:108]
	v_mul_f64_e32 v[107:108], v[2:3], v[107:108]
	v_add_f64_e32 v[125:126], v[125:126], v[113:114]
	v_add_f64_e32 v[127:128], v[127:128], v[115:116]
	ds_load_b128 v[113:116], v92 offset:704
	v_fma_f64 v[123:124], v[123:124], v[97:98], v[129:130]
	v_fma_f64 v[121:122], v[121:122], v[97:98], -v[99:100]
	scratch_load_b128 v[97:100], off, off offset:304
	v_add_f64_e32 v[125:126], v[125:126], v[133:134]
	v_add_f64_e32 v[127:128], v[127:128], v[131:132]
	v_fma_f64 v[133:134], v[2:3], v[105:106], v[135:136]
	v_fma_f64 v[135:136], v[0:1], v[105:106], -v[107:108]
	ds_load_b128 v[0:3], v92 offset:720
	s_wait_loadcnt_dscnt 0x801
	v_mul_f64_e32 v[129:130], v[113:114], v[119:120]
	v_mul_f64_e32 v[131:132], v[115:116], v[119:120]
	scratch_load_b128 v[105:108], off, off offset:320
	v_add_f64_e32 v[125:126], v[125:126], v[121:122]
	v_add_f64_e32 v[123:124], v[127:128], v[123:124]
	ds_load_b128 v[119:122], v92 offset:736
	v_fma_f64 v[129:130], v[115:116], v[117:118], v[129:130]
	v_fma_f64 v[117:118], v[113:114], v[117:118], -v[131:132]
	scratch_load_b128 v[113:116], off, off offset:336
	s_wait_loadcnt_dscnt 0x901
	v_mul_f64_e32 v[127:128], v[0:1], v[103:104]
	v_mul_f64_e32 v[103:104], v[2:3], v[103:104]
	v_add_f64_e32 v[125:126], v[125:126], v[135:136]
	v_add_f64_e32 v[123:124], v[123:124], v[133:134]
	s_delay_alu instid0(VALU_DEP_4) | instskip(NEXT) | instid1(VALU_DEP_4)
	v_fma_f64 v[127:128], v[2:3], v[101:102], v[127:128]
	v_fma_f64 v[133:134], v[0:1], v[101:102], -v[103:104]
	ds_load_b128 v[0:3], v92 offset:752
	s_wait_loadcnt_dscnt 0x801
	v_mul_f64_e32 v[131:132], v[119:120], v[6:7]
	v_mul_f64_e32 v[6:7], v[121:122], v[6:7]
	scratch_load_b128 v[101:104], off, off offset:352
	s_wait_loadcnt_dscnt 0x800
	v_mul_f64_e32 v[135:136], v[0:1], v[10:11]
	v_add_f64_e32 v[117:118], v[125:126], v[117:118]
	v_add_f64_e32 v[129:130], v[123:124], v[129:130]
	v_mul_f64_e32 v[10:11], v[2:3], v[10:11]
	ds_load_b128 v[123:126], v92 offset:768
	v_fma_f64 v[121:122], v[121:122], v[4:5], v[131:132]
	v_fma_f64 v[119:120], v[119:120], v[4:5], -v[6:7]
	scratch_load_b128 v[4:7], off, off offset:368
	v_fma_f64 v[131:132], v[2:3], v[8:9], v[135:136]
	v_add_f64_e32 v[117:118], v[117:118], v[133:134]
	v_add_f64_e32 v[127:128], v[129:130], v[127:128]
	v_fma_f64 v[133:134], v[0:1], v[8:9], -v[10:11]
	ds_load_b128 v[0:3], v92 offset:784
	s_wait_loadcnt_dscnt 0x801
	v_mul_f64_e32 v[129:130], v[123:124], v[14:15]
	v_mul_f64_e32 v[14:15], v[125:126], v[14:15]
	scratch_load_b128 v[8:11], off, off offset:384
	v_add_f64_e32 v[135:136], v[117:118], v[119:120]
	v_add_f64_e32 v[121:122], v[127:128], v[121:122]
	s_wait_loadcnt_dscnt 0x800
	v_mul_f64_e32 v[127:128], v[0:1], v[18:19]
	v_mul_f64_e32 v[18:19], v[2:3], v[18:19]
	v_fma_f64 v[125:126], v[125:126], v[12:13], v[129:130]
	v_fma_f64 v[123:124], v[123:124], v[12:13], -v[14:15]
	ds_load_b128 v[117:120], v92 offset:800
	scratch_load_b128 v[12:15], off, off offset:400
	v_add_f64_e32 v[129:130], v[135:136], v[133:134]
	v_add_f64_e32 v[121:122], v[121:122], v[131:132]
	v_fma_f64 v[127:128], v[2:3], v[16:17], v[127:128]
	v_fma_f64 v[133:134], v[0:1], v[16:17], -v[18:19]
	ds_load_b128 v[0:3], v92 offset:816
	s_wait_loadcnt_dscnt 0x801
	v_mul_f64_e32 v[131:132], v[117:118], v[22:23]
	v_mul_f64_e32 v[22:23], v[119:120], v[22:23]
	scratch_load_b128 v[16:19], off, off offset:416
	s_wait_loadcnt_dscnt 0x800
	v_mul_f64_e32 v[135:136], v[0:1], v[95:96]
	v_mul_f64_e32 v[95:96], v[2:3], v[95:96]
	v_add_f64_e32 v[129:130], v[129:130], v[123:124]
	v_add_f64_e32 v[125:126], v[121:122], v[125:126]
	ds_load_b128 v[121:124], v92 offset:832
	v_fma_f64 v[119:120], v[119:120], v[20:21], v[131:132]
	v_fma_f64 v[117:118], v[117:118], v[20:21], -v[22:23]
	scratch_load_b128 v[20:23], off, off offset:432
	v_fma_f64 v[131:132], v[2:3], v[93:94], v[135:136]
	v_add_f64_e32 v[129:130], v[129:130], v[133:134]
	v_add_f64_e32 v[125:126], v[125:126], v[127:128]
	v_fma_f64 v[133:134], v[0:1], v[93:94], -v[95:96]
	ds_load_b128 v[0:3], v92 offset:848
	s_wait_loadcnt_dscnt 0x801
	v_mul_f64_e32 v[127:128], v[121:122], v[99:100]
	v_mul_f64_e32 v[99:100], v[123:124], v[99:100]
	scratch_load_b128 v[93:96], off, off offset:448
	s_wait_loadcnt_dscnt 0x800
	v_mul_f64_e32 v[135:136], v[0:1], v[107:108]
	v_mul_f64_e32 v[107:108], v[2:3], v[107:108]
	v_add_f64_e32 v[129:130], v[129:130], v[117:118]
	v_add_f64_e32 v[125:126], v[125:126], v[119:120]
	ds_load_b128 v[117:120], v92 offset:864
	v_fma_f64 v[123:124], v[123:124], v[97:98], v[127:128]
	v_fma_f64 v[121:122], v[121:122], v[97:98], -v[99:100]
	scratch_load_b128 v[97:100], off, off offset:464
	v_add_f64_e32 v[127:128], v[129:130], v[133:134]
	v_add_f64_e32 v[125:126], v[125:126], v[131:132]
	v_fma_f64 v[131:132], v[2:3], v[105:106], v[135:136]
	v_fma_f64 v[133:134], v[0:1], v[105:106], -v[107:108]
	ds_load_b128 v[0:3], v92 offset:880
	s_wait_loadcnt_dscnt 0x801
	v_mul_f64_e32 v[129:130], v[117:118], v[115:116]
	v_mul_f64_e32 v[115:116], v[119:120], v[115:116]
	scratch_load_b128 v[105:108], off, off offset:480
	s_wait_loadcnt_dscnt 0x800
	v_mul_f64_e32 v[135:136], v[0:1], v[103:104]
	v_mul_f64_e32 v[103:104], v[2:3], v[103:104]
	v_add_f64_e32 v[127:128], v[127:128], v[121:122]
	v_add_f64_e32 v[125:126], v[125:126], v[123:124]
	ds_load_b128 v[121:124], v92 offset:896
	v_fma_f64 v[119:120], v[119:120], v[113:114], v[129:130]
	v_fma_f64 v[117:118], v[117:118], v[113:114], -v[115:116]
	scratch_load_b128 v[113:116], off, off offset:496
	v_add_f64_e32 v[127:128], v[127:128], v[133:134]
	v_add_f64_e32 v[125:126], v[125:126], v[131:132]
	v_fma_f64 v[131:132], v[2:3], v[101:102], v[135:136]
	;; [unrolled: 18-line block ×3, first 2 shown]
	v_fma_f64 v[133:134], v[0:1], v[8:9], -v[10:11]
	ds_load_b128 v[0:3], v92 offset:944
	s_wait_loadcnt_dscnt 0x801
	v_mul_f64_e32 v[129:130], v[117:118], v[14:15]
	v_mul_f64_e32 v[14:15], v[119:120], v[14:15]
	scratch_load_b128 v[8:11], off, off offset:544
	s_wait_loadcnt_dscnt 0x800
	v_mul_f64_e32 v[135:136], v[0:1], v[18:19]
	v_mul_f64_e32 v[18:19], v[2:3], v[18:19]
	v_add_f64_e32 v[127:128], v[127:128], v[121:122]
	v_add_f64_e32 v[125:126], v[125:126], v[123:124]
	ds_load_b128 v[121:124], v92 offset:960
	v_fma_f64 v[119:120], v[119:120], v[12:13], v[129:130]
	v_fma_f64 v[12:13], v[117:118], v[12:13], -v[14:15]
	v_add_f64_e32 v[14:15], v[127:128], v[133:134]
	v_add_f64_e32 v[117:118], v[125:126], v[131:132]
	s_wait_loadcnt_dscnt 0x700
	v_mul_f64_e32 v[125:126], v[121:122], v[22:23]
	v_mul_f64_e32 v[22:23], v[123:124], v[22:23]
	v_fma_f64 v[127:128], v[2:3], v[16:17], v[135:136]
	v_fma_f64 v[16:17], v[0:1], v[16:17], -v[18:19]
	v_add_f64_e32 v[18:19], v[14:15], v[12:13]
	v_add_f64_e32 v[117:118], v[117:118], v[119:120]
	ds_load_b128 v[0:3], v92 offset:976
	ds_load_b128 v[12:15], v92 offset:992
	v_fma_f64 v[123:124], v[123:124], v[20:21], v[125:126]
	v_fma_f64 v[20:21], v[121:122], v[20:21], -v[22:23]
	s_wait_loadcnt_dscnt 0x601
	v_mul_f64_e32 v[119:120], v[0:1], v[95:96]
	v_mul_f64_e32 v[95:96], v[2:3], v[95:96]
	s_wait_loadcnt_dscnt 0x500
	v_mul_f64_e32 v[22:23], v[12:13], v[99:100]
	v_mul_f64_e32 v[99:100], v[14:15], v[99:100]
	v_add_f64_e32 v[16:17], v[18:19], v[16:17]
	v_add_f64_e32 v[18:19], v[117:118], v[127:128]
	v_fma_f64 v[117:118], v[2:3], v[93:94], v[119:120]
	v_fma_f64 v[93:94], v[0:1], v[93:94], -v[95:96]
	v_fma_f64 v[14:15], v[14:15], v[97:98], v[22:23]
	v_fma_f64 v[12:13], v[12:13], v[97:98], -v[99:100]
	v_add_f64_e32 v[20:21], v[16:17], v[20:21]
	v_add_f64_e32 v[95:96], v[18:19], v[123:124]
	ds_load_b128 v[0:3], v92 offset:1008
	ds_load_b128 v[16:19], v92 offset:1024
	s_wait_loadcnt_dscnt 0x401
	v_mul_f64_e32 v[119:120], v[0:1], v[107:108]
	v_mul_f64_e32 v[107:108], v[2:3], v[107:108]
	v_add_f64_e32 v[20:21], v[20:21], v[93:94]
	v_add_f64_e32 v[22:23], v[95:96], v[117:118]
	s_wait_loadcnt_dscnt 0x300
	v_mul_f64_e32 v[93:94], v[16:17], v[115:116]
	v_mul_f64_e32 v[95:96], v[18:19], v[115:116]
	v_fma_f64 v[97:98], v[2:3], v[105:106], v[119:120]
	v_fma_f64 v[99:100], v[0:1], v[105:106], -v[107:108]
	v_add_f64_e32 v[20:21], v[20:21], v[12:13]
	v_add_f64_e32 v[22:23], v[22:23], v[14:15]
	ds_load_b128 v[0:3], v92 offset:1040
	ds_load_b128 v[12:15], v92 offset:1056
	v_fma_f64 v[18:19], v[18:19], v[113:114], v[93:94]
	v_fma_f64 v[16:17], v[16:17], v[113:114], -v[95:96]
	s_wait_loadcnt_dscnt 0x201
	v_mul_f64_e32 v[105:106], v[0:1], v[103:104]
	v_mul_f64_e32 v[103:104], v[2:3], v[103:104]
	s_wait_loadcnt_dscnt 0x100
	v_mul_f64_e32 v[93:94], v[12:13], v[6:7]
	v_mul_f64_e32 v[6:7], v[14:15], v[6:7]
	v_add_f64_e32 v[20:21], v[20:21], v[99:100]
	v_add_f64_e32 v[22:23], v[22:23], v[97:98]
	v_fma_f64 v[95:96], v[2:3], v[101:102], v[105:106]
	v_fma_f64 v[97:98], v[0:1], v[101:102], -v[103:104]
	ds_load_b128 v[0:3], v92 offset:1072
	v_fma_f64 v[14:15], v[14:15], v[4:5], v[93:94]
	v_fma_f64 v[4:5], v[12:13], v[4:5], -v[6:7]
	v_add_f64_e32 v[16:17], v[20:21], v[16:17]
	v_add_f64_e32 v[18:19], v[22:23], v[18:19]
	s_wait_loadcnt_dscnt 0x0
	v_mul_f64_e32 v[20:21], v[0:1], v[10:11]
	v_mul_f64_e32 v[10:11], v[2:3], v[10:11]
	s_delay_alu instid0(VALU_DEP_4) | instskip(NEXT) | instid1(VALU_DEP_4)
	v_add_f64_e32 v[6:7], v[16:17], v[97:98]
	v_add_f64_e32 v[12:13], v[18:19], v[95:96]
	s_delay_alu instid0(VALU_DEP_4) | instskip(NEXT) | instid1(VALU_DEP_4)
	v_fma_f64 v[2:3], v[2:3], v[8:9], v[20:21]
	v_fma_f64 v[0:1], v[0:1], v[8:9], -v[10:11]
	s_delay_alu instid0(VALU_DEP_4) | instskip(NEXT) | instid1(VALU_DEP_4)
	v_add_f64_e32 v[4:5], v[6:7], v[4:5]
	v_add_f64_e32 v[6:7], v[12:13], v[14:15]
	s_delay_alu instid0(VALU_DEP_2) | instskip(NEXT) | instid1(VALU_DEP_2)
	v_add_f64_e32 v[0:1], v[4:5], v[0:1]
	v_add_f64_e32 v[2:3], v[6:7], v[2:3]
	s_delay_alu instid0(VALU_DEP_2) | instskip(NEXT) | instid1(VALU_DEP_2)
	v_add_f64_e64 v[0:1], v[109:110], -v[0:1]
	v_add_f64_e64 v[2:3], v[111:112], -v[2:3]
	scratch_store_b128 off, v[0:3], off offset:16
	s_wait_alu 0xfffe
	s_cbranch_vccz .LBB97_284
; %bb.218:
	global_load_b32 v0, v92, s[2:3] offset:128
	s_wait_loadcnt 0x0
	v_cmp_ne_u32_e32 vcc_lo, 33, v0
	s_cbranch_vccz .LBB97_220
; %bb.219:
	v_lshlrev_b32_e32 v0, 4, v0
	s_delay_alu instid0(VALU_DEP_1)
	v_add_nc_u32_e32 v8, 16, v0
	s_clause 0x1
	scratch_load_b128 v[0:3], v8, off offset:-16
	scratch_load_b128 v[4:7], off, s40
	s_wait_loadcnt 0x1
	scratch_store_b128 off, v[0:3], s40
	s_wait_loadcnt 0x0
	scratch_store_b128 v8, v[4:7], off offset:-16
.LBB97_220:
	v_mov_b32_e32 v0, 0
	global_load_b32 v1, v0, s[2:3] offset:124
	s_wait_loadcnt 0x0
	v_cmp_eq_u32_e32 vcc_lo, 32, v1
	s_cbranch_vccnz .LBB97_222
; %bb.221:
	v_lshlrev_b32_e32 v1, 4, v1
	s_delay_alu instid0(VALU_DEP_1)
	v_add_nc_u32_e32 v9, 16, v1
	s_clause 0x1
	scratch_load_b128 v[1:4], v9, off offset:-16
	scratch_load_b128 v[5:8], off, s22
	s_wait_loadcnt 0x1
	scratch_store_b128 off, v[1:4], s22
	s_wait_loadcnt 0x0
	scratch_store_b128 v9, v[5:8], off offset:-16
.LBB97_222:
	global_load_b32 v0, v0, s[2:3] offset:120
	s_wait_loadcnt 0x0
	v_cmp_eq_u32_e32 vcc_lo, 31, v0
	s_cbranch_vccnz .LBB97_224
; %bb.223:
	v_lshlrev_b32_e32 v0, 4, v0
	s_delay_alu instid0(VALU_DEP_1)
	v_add_nc_u32_e32 v8, 16, v0
	s_clause 0x1
	scratch_load_b128 v[0:3], v8, off offset:-16
	scratch_load_b128 v[4:7], off, s39
	s_wait_loadcnt 0x1
	scratch_store_b128 off, v[0:3], s39
	s_wait_loadcnt 0x0
	scratch_store_b128 v8, v[4:7], off offset:-16
.LBB97_224:
	v_mov_b32_e32 v0, 0
	global_load_b32 v1, v0, s[2:3] offset:116
	s_wait_loadcnt 0x0
	v_cmp_eq_u32_e32 vcc_lo, 30, v1
	s_cbranch_vccnz .LBB97_226
; %bb.225:
	v_lshlrev_b32_e32 v1, 4, v1
	s_delay_alu instid0(VALU_DEP_1)
	v_add_nc_u32_e32 v9, 16, v1
	s_clause 0x1
	scratch_load_b128 v[1:4], v9, off offset:-16
	scratch_load_b128 v[5:8], off, s21
	s_wait_loadcnt 0x1
	scratch_store_b128 off, v[1:4], s21
	s_wait_loadcnt 0x0
	scratch_store_b128 v9, v[5:8], off offset:-16
.LBB97_226:
	global_load_b32 v0, v0, s[2:3] offset:112
	s_wait_loadcnt 0x0
	v_cmp_eq_u32_e32 vcc_lo, 29, v0
	s_cbranch_vccnz .LBB97_228
; %bb.227:
	v_lshlrev_b32_e32 v0, 4, v0
	s_delay_alu instid0(VALU_DEP_1)
	v_add_nc_u32_e32 v8, 16, v0
	s_clause 0x1
	scratch_load_b128 v[0:3], v8, off offset:-16
	scratch_load_b128 v[4:7], off, s38
	s_wait_loadcnt 0x1
	scratch_store_b128 off, v[0:3], s38
	s_wait_loadcnt 0x0
	scratch_store_b128 v8, v[4:7], off offset:-16
.LBB97_228:
	;; [unrolled: 33-line block ×15, first 2 shown]
	v_mov_b32_e32 v0, 0
	global_load_b32 v1, v0, s[2:3] offset:4
	s_wait_loadcnt 0x0
	v_cmp_eq_u32_e32 vcc_lo, 2, v1
	s_cbranch_vccnz .LBB97_282
; %bb.281:
	v_lshlrev_b32_e32 v1, 4, v1
	s_delay_alu instid0(VALU_DEP_1)
	v_add_nc_u32_e32 v9, 16, v1
	s_clause 0x1
	scratch_load_b128 v[1:4], v9, off offset:-16
	scratch_load_b128 v[5:8], off, s42
	s_wait_loadcnt 0x1
	scratch_store_b128 off, v[1:4], s42
	s_wait_loadcnt 0x0
	scratch_store_b128 v9, v[5:8], off offset:-16
.LBB97_282:
	global_load_b32 v0, v0, s[2:3]
	s_wait_loadcnt 0x0
	v_cmp_eq_u32_e32 vcc_lo, 1, v0
	s_cbranch_vccnz .LBB97_284
; %bb.283:
	v_lshlrev_b32_e32 v0, 4, v0
	s_delay_alu instid0(VALU_DEP_1)
	v_add_nc_u32_e32 v8, 16, v0
	scratch_load_b128 v[0:3], v8, off offset:-16
	scratch_load_b128 v[4:7], off, off offset:16
	s_wait_loadcnt 0x1
	scratch_store_b128 off, v[0:3], off offset:16
	s_wait_loadcnt 0x0
	scratch_store_b128 v8, v[4:7], off offset:-16
.LBB97_284:
	scratch_load_b128 v[0:3], off, off offset:16
	s_wait_loadcnt 0x0
	flat_store_b128 v[24:25], v[0:3]
	scratch_load_b128 v[0:3], off, s42
	s_wait_loadcnt 0x0
	flat_store_b128 v[26:27], v[0:3]
	scratch_load_b128 v[0:3], off, s41
	s_wait_loadcnt 0x0
	flat_store_b128 v[28:29], v[0:3]
	scratch_load_b128 v[0:3], off, s24
	s_wait_loadcnt 0x0
	flat_store_b128 v[30:31], v[0:3]
	scratch_load_b128 v[0:3], off, s25
	s_wait_loadcnt 0x0
	flat_store_b128 v[32:33], v[0:3]
	scratch_load_b128 v[0:3], off, s4
	s_wait_loadcnt 0x0
	flat_store_b128 v[34:35], v[0:3]
	scratch_load_b128 v[0:3], off, s26
	s_wait_loadcnt 0x0
	flat_store_b128 v[36:37], v[0:3]
	scratch_load_b128 v[0:3], off, s5
	s_wait_loadcnt 0x0
	flat_store_b128 v[38:39], v[0:3]
	scratch_load_b128 v[0:3], off, s27
	s_wait_loadcnt 0x0
	flat_store_b128 v[40:41], v[0:3]
	scratch_load_b128 v[0:3], off, s10
	s_wait_loadcnt 0x0
	flat_store_b128 v[42:43], v[0:3]
	scratch_load_b128 v[0:3], off, s28
	s_wait_loadcnt 0x0
	flat_store_b128 v[44:45], v[0:3]
	scratch_load_b128 v[0:3], off, s11
	s_wait_loadcnt 0x0
	flat_store_b128 v[46:47], v[0:3]
	scratch_load_b128 v[0:3], off, s29
	s_wait_loadcnt 0x0
	flat_store_b128 v[48:49], v[0:3]
	scratch_load_b128 v[0:3], off, s13
	s_wait_loadcnt 0x0
	flat_store_b128 v[50:51], v[0:3]
	scratch_load_b128 v[0:3], off, s30
	s_wait_loadcnt 0x0
	flat_store_b128 v[52:53], v[0:3]
	scratch_load_b128 v[0:3], off, s14
	s_wait_loadcnt 0x0
	flat_store_b128 v[54:55], v[0:3]
	scratch_load_b128 v[0:3], off, s31
	s_wait_loadcnt 0x0
	flat_store_b128 v[56:57], v[0:3]
	scratch_load_b128 v[0:3], off, s15
	s_wait_loadcnt 0x0
	flat_store_b128 v[58:59], v[0:3]
	scratch_load_b128 v[0:3], off, s33
	s_wait_loadcnt 0x0
	flat_store_b128 v[60:61], v[0:3]
	scratch_load_b128 v[0:3], off, s16
	s_wait_loadcnt 0x0
	flat_store_b128 v[62:63], v[0:3]
	scratch_load_b128 v[0:3], off, s34
	s_wait_loadcnt 0x0
	flat_store_b128 v[64:65], v[0:3]
	scratch_load_b128 v[0:3], off, s17
	s_wait_loadcnt 0x0
	flat_store_b128 v[66:67], v[0:3]
	scratch_load_b128 v[0:3], off, s35
	s_wait_loadcnt 0x0
	flat_store_b128 v[68:69], v[0:3]
	scratch_load_b128 v[0:3], off, s18
	s_wait_loadcnt 0x0
	flat_store_b128 v[70:71], v[0:3]
	scratch_load_b128 v[0:3], off, s36
	s_wait_loadcnt 0x0
	flat_store_b128 v[72:73], v[0:3]
	scratch_load_b128 v[0:3], off, s19
	s_wait_loadcnt 0x0
	flat_store_b128 v[74:75], v[0:3]
	scratch_load_b128 v[0:3], off, s37
	s_wait_loadcnt 0x0
	flat_store_b128 v[76:77], v[0:3]
	scratch_load_b128 v[0:3], off, s20
	s_wait_loadcnt 0x0
	flat_store_b128 v[78:79], v[0:3]
	scratch_load_b128 v[0:3], off, s38
	s_wait_loadcnt 0x0
	flat_store_b128 v[80:81], v[0:3]
	scratch_load_b128 v[0:3], off, s21
	s_wait_loadcnt 0x0
	flat_store_b128 v[82:83], v[0:3]
	scratch_load_b128 v[0:3], off, s39
	s_wait_loadcnt 0x0
	flat_store_b128 v[84:85], v[0:3]
	scratch_load_b128 v[0:3], off, s22
	s_wait_loadcnt 0x0
	flat_store_b128 v[86:87], v[0:3]
	scratch_load_b128 v[0:3], off, s40
	s_wait_loadcnt 0x0
	flat_store_b128 v[88:89], v[0:3]
	scratch_load_b128 v[0:3], off, s23
	s_wait_loadcnt 0x0
	flat_store_b128 v[90:91], v[0:3]
	s_nop 0
	s_sendmsg sendmsg(MSG_DEALLOC_VGPRS)
	s_endpgm
	.section	.rodata,"a",@progbits
	.p2align	6, 0x0
	.amdhsa_kernel _ZN9rocsolver6v33100L18getri_kernel_smallILi34E19rocblas_complex_numIdEPKPS3_EEvT1_iilPiilS8_bb
		.amdhsa_group_segment_fixed_size 1096
		.amdhsa_private_segment_fixed_size 576
		.amdhsa_kernarg_size 60
		.amdhsa_user_sgpr_count 2
		.amdhsa_user_sgpr_dispatch_ptr 0
		.amdhsa_user_sgpr_queue_ptr 0
		.amdhsa_user_sgpr_kernarg_segment_ptr 1
		.amdhsa_user_sgpr_dispatch_id 0
		.amdhsa_user_sgpr_private_segment_size 0
		.amdhsa_wavefront_size32 1
		.amdhsa_uses_dynamic_stack 0
		.amdhsa_enable_private_segment 1
		.amdhsa_system_sgpr_workgroup_id_x 1
		.amdhsa_system_sgpr_workgroup_id_y 0
		.amdhsa_system_sgpr_workgroup_id_z 0
		.amdhsa_system_sgpr_workgroup_info 0
		.amdhsa_system_vgpr_workitem_id 0
		.amdhsa_next_free_vgpr 142
		.amdhsa_next_free_sgpr 46
		.amdhsa_reserve_vcc 1
		.amdhsa_float_round_mode_32 0
		.amdhsa_float_round_mode_16_64 0
		.amdhsa_float_denorm_mode_32 3
		.amdhsa_float_denorm_mode_16_64 3
		.amdhsa_fp16_overflow 0
		.amdhsa_workgroup_processor_mode 1
		.amdhsa_memory_ordered 1
		.amdhsa_forward_progress 1
		.amdhsa_inst_pref_size 255
		.amdhsa_round_robin_scheduling 0
		.amdhsa_exception_fp_ieee_invalid_op 0
		.amdhsa_exception_fp_denorm_src 0
		.amdhsa_exception_fp_ieee_div_zero 0
		.amdhsa_exception_fp_ieee_overflow 0
		.amdhsa_exception_fp_ieee_underflow 0
		.amdhsa_exception_fp_ieee_inexact 0
		.amdhsa_exception_int_div_zero 0
	.end_amdhsa_kernel
	.section	.text._ZN9rocsolver6v33100L18getri_kernel_smallILi34E19rocblas_complex_numIdEPKPS3_EEvT1_iilPiilS8_bb,"axG",@progbits,_ZN9rocsolver6v33100L18getri_kernel_smallILi34E19rocblas_complex_numIdEPKPS3_EEvT1_iilPiilS8_bb,comdat
.Lfunc_end97:
	.size	_ZN9rocsolver6v33100L18getri_kernel_smallILi34E19rocblas_complex_numIdEPKPS3_EEvT1_iilPiilS8_bb, .Lfunc_end97-_ZN9rocsolver6v33100L18getri_kernel_smallILi34E19rocblas_complex_numIdEPKPS3_EEvT1_iilPiilS8_bb
                                        ; -- End function
	.set _ZN9rocsolver6v33100L18getri_kernel_smallILi34E19rocblas_complex_numIdEPKPS3_EEvT1_iilPiilS8_bb.num_vgpr, 142
	.set _ZN9rocsolver6v33100L18getri_kernel_smallILi34E19rocblas_complex_numIdEPKPS3_EEvT1_iilPiilS8_bb.num_agpr, 0
	.set _ZN9rocsolver6v33100L18getri_kernel_smallILi34E19rocblas_complex_numIdEPKPS3_EEvT1_iilPiilS8_bb.numbered_sgpr, 46
	.set _ZN9rocsolver6v33100L18getri_kernel_smallILi34E19rocblas_complex_numIdEPKPS3_EEvT1_iilPiilS8_bb.num_named_barrier, 0
	.set _ZN9rocsolver6v33100L18getri_kernel_smallILi34E19rocblas_complex_numIdEPKPS3_EEvT1_iilPiilS8_bb.private_seg_size, 576
	.set _ZN9rocsolver6v33100L18getri_kernel_smallILi34E19rocblas_complex_numIdEPKPS3_EEvT1_iilPiilS8_bb.uses_vcc, 1
	.set _ZN9rocsolver6v33100L18getri_kernel_smallILi34E19rocblas_complex_numIdEPKPS3_EEvT1_iilPiilS8_bb.uses_flat_scratch, 1
	.set _ZN9rocsolver6v33100L18getri_kernel_smallILi34E19rocblas_complex_numIdEPKPS3_EEvT1_iilPiilS8_bb.has_dyn_sized_stack, 0
	.set _ZN9rocsolver6v33100L18getri_kernel_smallILi34E19rocblas_complex_numIdEPKPS3_EEvT1_iilPiilS8_bb.has_recursion, 0
	.set _ZN9rocsolver6v33100L18getri_kernel_smallILi34E19rocblas_complex_numIdEPKPS3_EEvT1_iilPiilS8_bb.has_indirect_call, 0
	.section	.AMDGPU.csdata,"",@progbits
; Kernel info:
; codeLenInByte = 54596
; TotalNumSgprs: 48
; NumVgprs: 142
; ScratchSize: 576
; MemoryBound: 0
; FloatMode: 240
; IeeeMode: 1
; LDSByteSize: 1096 bytes/workgroup (compile time only)
; SGPRBlocks: 0
; VGPRBlocks: 17
; NumSGPRsForWavesPerEU: 48
; NumVGPRsForWavesPerEU: 142
; Occupancy: 10
; WaveLimiterHint : 1
; COMPUTE_PGM_RSRC2:SCRATCH_EN: 1
; COMPUTE_PGM_RSRC2:USER_SGPR: 2
; COMPUTE_PGM_RSRC2:TRAP_HANDLER: 0
; COMPUTE_PGM_RSRC2:TGID_X_EN: 1
; COMPUTE_PGM_RSRC2:TGID_Y_EN: 0
; COMPUTE_PGM_RSRC2:TGID_Z_EN: 0
; COMPUTE_PGM_RSRC2:TIDIG_COMP_CNT: 0
	.section	.text._ZN9rocsolver6v33100L18getri_kernel_smallILi35E19rocblas_complex_numIdEPKPS3_EEvT1_iilPiilS8_bb,"axG",@progbits,_ZN9rocsolver6v33100L18getri_kernel_smallILi35E19rocblas_complex_numIdEPKPS3_EEvT1_iilPiilS8_bb,comdat
	.globl	_ZN9rocsolver6v33100L18getri_kernel_smallILi35E19rocblas_complex_numIdEPKPS3_EEvT1_iilPiilS8_bb ; -- Begin function _ZN9rocsolver6v33100L18getri_kernel_smallILi35E19rocblas_complex_numIdEPKPS3_EEvT1_iilPiilS8_bb
	.p2align	8
	.type	_ZN9rocsolver6v33100L18getri_kernel_smallILi35E19rocblas_complex_numIdEPKPS3_EEvT1_iilPiilS8_bb,@function
_ZN9rocsolver6v33100L18getri_kernel_smallILi35E19rocblas_complex_numIdEPKPS3_EEvT1_iilPiilS8_bb: ; @_ZN9rocsolver6v33100L18getri_kernel_smallILi35E19rocblas_complex_numIdEPKPS3_EEvT1_iilPiilS8_bb
; %bb.0:
	s_mov_b32 s2, exec_lo
	v_cmpx_gt_u32_e32 35, v0
	s_cbranch_execz .LBB98_154
; %bb.1:
	s_clause 0x1
	s_load_b32 s13, s[0:1], 0x38
	s_load_b64 s[2:3], s[0:1], 0x0
	s_mov_b32 s8, ttmp9
	s_load_b128 s[4:7], s[0:1], 0x28
	s_wait_kmcnt 0x0
	s_bitcmp1_b32 s13, 8
	s_cselect_b32 s12, -1, 0
	s_ashr_i32 s9, ttmp9, 31
	s_delay_alu instid0(SALU_CYCLE_1) | instskip(NEXT) | instid1(SALU_CYCLE_1)
	s_lshl_b64 s[10:11], s[8:9], 3
	s_add_nc_u64 s[2:3], s[2:3], s[10:11]
	s_load_b64 s[10:11], s[2:3], 0x0
	s_bfe_u32 s2, s13, 0x10008
	s_delay_alu instid0(SALU_CYCLE_1)
	s_cmp_eq_u32 s2, 0
                                        ; implicit-def: $sgpr2_sgpr3
	s_cbranch_scc1 .LBB98_3
; %bb.2:
	s_load_b96 s[16:18], s[0:1], 0x18
	s_mul_u64 s[2:3], s[4:5], s[8:9]
	s_delay_alu instid0(SALU_CYCLE_1)
	s_lshl_b64 s[2:3], s[2:3], 2
	s_wait_kmcnt 0x0
	s_ashr_i32 s5, s18, 31
	s_mov_b32 s4, s18
	s_add_nc_u64 s[2:3], s[16:17], s[2:3]
	s_lshl_b64 s[4:5], s[4:5], 2
	s_delay_alu instid0(SALU_CYCLE_1)
	s_add_nc_u64 s[2:3], s[2:3], s[4:5]
.LBB98_3:
	s_clause 0x1
	s_load_b64 s[4:5], s[0:1], 0x8
	s_load_b32 s44, s[0:1], 0x38
	v_lshlrev_b32_e32 v13, 4, v0
	s_mov_b32 s43, 32
	s_mov_b32 s42, 48
	;; [unrolled: 1-line block ×3, first 2 shown]
	s_wait_kmcnt 0x0
	s_ashr_i32 s1, s4, 31
	s_mov_b32 s0, s4
	v_add3_u32 v5, s5, s5, v0
	s_lshl_b64 s[0:1], s[0:1], 4
	s_delay_alu instid0(SALU_CYCLE_1)
	s_add_nc_u64 s[0:1], s[10:11], s[0:1]
	s_ashr_i32 s11, s5, 31
	v_add_co_u32 v34, s4, s0, v13
	s_wait_alu 0xf1ff
	v_add_co_ci_u32_e64 v35, null, s1, 0, s4
	s_mov_b32 s10, s5
	v_ashrrev_i32_e32 v6, 31, v5
	s_lshl_b64 s[10:11], s[10:11], 4
	flat_load_b128 v[1:4], v[34:35]
	v_add_co_u32 v36, vcc_lo, v34, s10
	s_delay_alu instid0(VALU_DEP_1) | instskip(SKIP_3) | instid1(VALU_DEP_2)
	v_add_co_ci_u32_e64 v37, null, s11, v35, vcc_lo
	v_lshlrev_b64_e32 v[6:7], 4, v[5:6]
	v_add_nc_u32_e32 v5, s5, v5
	s_movk_i32 s4, 0x50
	v_add_co_u32 v38, vcc_lo, s0, v6
	s_wait_alu 0xfffd
	s_delay_alu instid0(VALU_DEP_3) | instskip(SKIP_1) | instid1(VALU_DEP_1)
	v_add_co_ci_u32_e64 v39, null, s1, v7, vcc_lo
	v_ashrrev_i32_e32 v6, 31, v5
	v_lshlrev_b64_e32 v[6:7], 4, v[5:6]
	v_add_nc_u32_e32 v5, s5, v5
	s_delay_alu instid0(VALU_DEP_2) | instskip(SKIP_1) | instid1(VALU_DEP_3)
	v_add_co_u32 v40, vcc_lo, s0, v6
	s_wait_alu 0xfffd
	v_add_co_ci_u32_e64 v41, null, s1, v7, vcc_lo
	s_delay_alu instid0(VALU_DEP_3) | instskip(NEXT) | instid1(VALU_DEP_1)
	v_ashrrev_i32_e32 v6, 31, v5
	v_lshlrev_b64_e32 v[6:7], 4, v[5:6]
	v_add_nc_u32_e32 v5, s5, v5
	s_delay_alu instid0(VALU_DEP_2) | instskip(SKIP_1) | instid1(VALU_DEP_3)
	v_add_co_u32 v42, vcc_lo, s0, v6
	s_wait_alu 0xfffd
	v_add_co_ci_u32_e64 v43, null, s1, v7, vcc_lo
	s_delay_alu instid0(VALU_DEP_3) | instskip(NEXT) | instid1(VALU_DEP_1)
	;; [unrolled: 8-line block ×20, first 2 shown]
	v_ashrrev_i32_e32 v6, 31, v5
	v_lshlrev_b64_e32 v[6:7], 4, v[5:6]
	s_wait_loadcnt_dscnt 0x0
	scratch_store_b128 off, v[1:4], off offset:16
	flat_load_b128 v[1:4], v[36:37]
	v_add_nc_u32_e32 v5, s5, v5
	v_add_co_u32 v80, vcc_lo, s0, v6
	s_wait_alu 0xfffd
	v_add_co_ci_u32_e64 v81, null, s1, v7, vcc_lo
	s_delay_alu instid0(VALU_DEP_3) | instskip(NEXT) | instid1(VALU_DEP_1)
	v_ashrrev_i32_e32 v6, 31, v5
	v_lshlrev_b64_e32 v[6:7], 4, v[5:6]
	v_add_nc_u32_e32 v5, s5, v5
	s_delay_alu instid0(VALU_DEP_2) | instskip(SKIP_1) | instid1(VALU_DEP_3)
	v_add_co_u32 v82, vcc_lo, s0, v6
	s_wait_alu 0xfffd
	v_add_co_ci_u32_e64 v83, null, s1, v7, vcc_lo
	s_delay_alu instid0(VALU_DEP_3) | instskip(NEXT) | instid1(VALU_DEP_1)
	v_ashrrev_i32_e32 v6, 31, v5
	v_lshlrev_b64_e32 v[6:7], 4, v[5:6]
	v_add_nc_u32_e32 v5, s5, v5
	s_delay_alu instid0(VALU_DEP_2) | instskip(SKIP_1) | instid1(VALU_DEP_3)
	;; [unrolled: 8-line block ×10, first 2 shown]
	v_add_co_u32 v100, vcc_lo, s0, v6
	s_wait_alu 0xfffd
	v_add_co_ci_u32_e64 v101, null, s1, v7, vcc_lo
	s_delay_alu instid0(VALU_DEP_3) | instskip(NEXT) | instid1(VALU_DEP_1)
	v_ashrrev_i32_e32 v6, 31, v5
	v_lshlrev_b64_e32 v[5:6], 4, v[5:6]
	s_delay_alu instid0(VALU_DEP_1) | instskip(SKIP_1) | instid1(VALU_DEP_2)
	v_add_co_u32 v102, vcc_lo, s0, v5
	s_wait_alu 0xfffd
	v_add_co_ci_u32_e64 v103, null, s1, v6, vcc_lo
	s_movk_i32 s0, 0x50
	s_movk_i32 s1, 0x60
	s_wait_alu 0xfffe
	s_add_co_i32 s26, s0, 16
	s_add_co_i32 s5, s1, 16
	s_movk_i32 s0, 0x70
	s_movk_i32 s1, 0x80
	s_wait_alu 0xfffe
	s_add_co_i32 s27, s0, 16
	s_add_co_i32 s10, s1, 16
	;; [unrolled: 5-line block ×15, first 2 shown]
	s_bitcmp0_b32 s44, 0
	s_mov_b32 s1, -1
	s_wait_loadcnt_dscnt 0x0
	scratch_store_b128 off, v[1:4], off offset:32
	flat_load_b128 v[1:4], v[38:39]
	s_wait_loadcnt_dscnt 0x0
	scratch_store_b128 off, v[1:4], off offset:48
	flat_load_b128 v[1:4], v[40:41]
	;; [unrolled: 3-line block ×33, first 2 shown]
	s_wait_loadcnt_dscnt 0x0
	scratch_store_b128 off, v[1:4], off offset:560
	s_cbranch_scc1 .LBB98_152
; %bb.4:
	v_cmp_eq_u32_e64 s0, 0, v0
	s_and_saveexec_b32 s1, s0
; %bb.5:
	v_mov_b32_e32 v1, 0
	ds_store_b32 v1, v1 offset:1120
; %bb.6:
	s_wait_alu 0xfffe
	s_or_b32 exec_lo, exec_lo, s1
	s_wait_storecnt_dscnt 0x0
	s_barrier_signal -1
	s_barrier_wait -1
	global_inv scope:SCOPE_SE
	scratch_load_b128 v[1:4], v13, off offset:16
	s_wait_loadcnt 0x0
	v_cmp_eq_f64_e32 vcc_lo, 0, v[1:2]
	v_cmp_eq_f64_e64 s1, 0, v[3:4]
	s_and_b32 s1, vcc_lo, s1
	s_wait_alu 0xfffe
	s_and_saveexec_b32 s44, s1
	s_cbranch_execz .LBB98_10
; %bb.7:
	v_mov_b32_e32 v1, 0
	s_mov_b32 s45, 0
	ds_load_b32 v2, v1 offset:1120
	s_wait_dscnt 0x0
	v_readfirstlane_b32 s1, v2
	v_add_nc_u32_e32 v2, 1, v0
	s_cmp_eq_u32 s1, 0
	s_delay_alu instid0(VALU_DEP_1) | instskip(SKIP_1) | instid1(SALU_CYCLE_1)
	v_cmp_gt_i32_e32 vcc_lo, s1, v2
	s_cselect_b32 s46, -1, 0
	s_or_b32 s46, s46, vcc_lo
	s_delay_alu instid0(SALU_CYCLE_1)
	s_and_b32 exec_lo, exec_lo, s46
	s_cbranch_execz .LBB98_10
; %bb.8:
	v_mov_b32_e32 v3, s1
.LBB98_9:                               ; =>This Inner Loop Header: Depth=1
	ds_cmpstore_rtn_b32 v3, v1, v2, v3 offset:1120
	s_wait_dscnt 0x0
	v_cmp_ne_u32_e32 vcc_lo, 0, v3
	v_cmp_le_i32_e64 s1, v3, v2
	s_and_b32 s1, vcc_lo, s1
	s_wait_alu 0xfffe
	s_and_b32 s1, exec_lo, s1
	s_wait_alu 0xfffe
	s_or_b32 s45, s1, s45
	s_delay_alu instid0(SALU_CYCLE_1)
	s_and_not1_b32 exec_lo, exec_lo, s45
	s_cbranch_execnz .LBB98_9
.LBB98_10:
	s_or_b32 exec_lo, exec_lo, s44
	v_mov_b32_e32 v1, 0
	s_barrier_signal -1
	s_barrier_wait -1
	global_inv scope:SCOPE_SE
	ds_load_b32 v2, v1 offset:1120
	s_and_saveexec_b32 s1, s0
	s_cbranch_execz .LBB98_12
; %bb.11:
	s_lshl_b64 s[44:45], s[8:9], 2
	s_delay_alu instid0(SALU_CYCLE_1)
	s_add_nc_u64 s[44:45], s[6:7], s[44:45]
	s_wait_dscnt 0x0
	global_store_b32 v1, v2, s[44:45]
.LBB98_12:
	s_wait_alu 0xfffe
	s_or_b32 exec_lo, exec_lo, s1
	s_wait_dscnt 0x0
	v_cmp_ne_u32_e32 vcc_lo, 0, v2
	s_mov_b32 s1, 0
	s_cbranch_vccnz .LBB98_152
; %bb.13:
	v_add_nc_u32_e32 v14, 16, v13
                                        ; implicit-def: $vgpr1_vgpr2
                                        ; implicit-def: $vgpr9_vgpr10
	scratch_load_b128 v[5:8], v14, off
	s_wait_loadcnt 0x0
	v_cmp_ngt_f64_e64 s1, |v[5:6]|, |v[7:8]|
	s_wait_alu 0xfffe
	s_and_saveexec_b32 s44, s1
	s_delay_alu instid0(SALU_CYCLE_1)
	s_xor_b32 s1, exec_lo, s44
	s_cbranch_execz .LBB98_15
; %bb.14:
	v_div_scale_f64 v[1:2], null, v[7:8], v[7:8], v[5:6]
	v_div_scale_f64 v[11:12], vcc_lo, v[5:6], v[7:8], v[5:6]
	s_delay_alu instid0(VALU_DEP_2) | instskip(NEXT) | instid1(TRANS32_DEP_1)
	v_rcp_f64_e32 v[3:4], v[1:2]
	v_fma_f64 v[9:10], -v[1:2], v[3:4], 1.0
	s_delay_alu instid0(VALU_DEP_1) | instskip(NEXT) | instid1(VALU_DEP_1)
	v_fma_f64 v[3:4], v[3:4], v[9:10], v[3:4]
	v_fma_f64 v[9:10], -v[1:2], v[3:4], 1.0
	s_delay_alu instid0(VALU_DEP_1) | instskip(NEXT) | instid1(VALU_DEP_1)
	v_fma_f64 v[3:4], v[3:4], v[9:10], v[3:4]
	v_mul_f64_e32 v[9:10], v[11:12], v[3:4]
	s_delay_alu instid0(VALU_DEP_1) | instskip(SKIP_1) | instid1(VALU_DEP_1)
	v_fma_f64 v[1:2], -v[1:2], v[9:10], v[11:12]
	s_wait_alu 0xfffd
	v_div_fmas_f64 v[1:2], v[1:2], v[3:4], v[9:10]
	s_delay_alu instid0(VALU_DEP_1) | instskip(NEXT) | instid1(VALU_DEP_1)
	v_div_fixup_f64 v[1:2], v[1:2], v[7:8], v[5:6]
	v_fma_f64 v[3:4], v[5:6], v[1:2], v[7:8]
	s_delay_alu instid0(VALU_DEP_1) | instskip(SKIP_1) | instid1(VALU_DEP_2)
	v_div_scale_f64 v[5:6], null, v[3:4], v[3:4], 1.0
	v_div_scale_f64 v[11:12], vcc_lo, 1.0, v[3:4], 1.0
	v_rcp_f64_e32 v[7:8], v[5:6]
	s_delay_alu instid0(TRANS32_DEP_1) | instskip(NEXT) | instid1(VALU_DEP_1)
	v_fma_f64 v[9:10], -v[5:6], v[7:8], 1.0
	v_fma_f64 v[7:8], v[7:8], v[9:10], v[7:8]
	s_delay_alu instid0(VALU_DEP_1) | instskip(NEXT) | instid1(VALU_DEP_1)
	v_fma_f64 v[9:10], -v[5:6], v[7:8], 1.0
	v_fma_f64 v[7:8], v[7:8], v[9:10], v[7:8]
	s_delay_alu instid0(VALU_DEP_1) | instskip(NEXT) | instid1(VALU_DEP_1)
	v_mul_f64_e32 v[9:10], v[11:12], v[7:8]
	v_fma_f64 v[5:6], -v[5:6], v[9:10], v[11:12]
	s_wait_alu 0xfffd
	s_delay_alu instid0(VALU_DEP_1) | instskip(NEXT) | instid1(VALU_DEP_1)
	v_div_fmas_f64 v[5:6], v[5:6], v[7:8], v[9:10]
	v_div_fixup_f64 v[3:4], v[5:6], v[3:4], 1.0
                                        ; implicit-def: $vgpr5_vgpr6
	s_delay_alu instid0(VALU_DEP_1) | instskip(SKIP_1) | instid1(VALU_DEP_2)
	v_mul_f64_e32 v[1:2], v[1:2], v[3:4]
	v_xor_b32_e32 v4, 0x80000000, v4
	v_xor_b32_e32 v10, 0x80000000, v2
	s_delay_alu instid0(VALU_DEP_3)
	v_mov_b32_e32 v9, v1
.LBB98_15:
	s_wait_alu 0xfffe
	s_and_not1_saveexec_b32 s1, s1
	s_cbranch_execz .LBB98_17
; %bb.16:
	v_div_scale_f64 v[1:2], null, v[5:6], v[5:6], v[7:8]
	v_div_scale_f64 v[11:12], vcc_lo, v[7:8], v[5:6], v[7:8]
	s_delay_alu instid0(VALU_DEP_2) | instskip(NEXT) | instid1(TRANS32_DEP_1)
	v_rcp_f64_e32 v[3:4], v[1:2]
	v_fma_f64 v[9:10], -v[1:2], v[3:4], 1.0
	s_delay_alu instid0(VALU_DEP_1) | instskip(NEXT) | instid1(VALU_DEP_1)
	v_fma_f64 v[3:4], v[3:4], v[9:10], v[3:4]
	v_fma_f64 v[9:10], -v[1:2], v[3:4], 1.0
	s_delay_alu instid0(VALU_DEP_1) | instskip(NEXT) | instid1(VALU_DEP_1)
	v_fma_f64 v[3:4], v[3:4], v[9:10], v[3:4]
	v_mul_f64_e32 v[9:10], v[11:12], v[3:4]
	s_delay_alu instid0(VALU_DEP_1) | instskip(SKIP_1) | instid1(VALU_DEP_1)
	v_fma_f64 v[1:2], -v[1:2], v[9:10], v[11:12]
	s_wait_alu 0xfffd
	v_div_fmas_f64 v[1:2], v[1:2], v[3:4], v[9:10]
	s_delay_alu instid0(VALU_DEP_1) | instskip(NEXT) | instid1(VALU_DEP_1)
	v_div_fixup_f64 v[3:4], v[1:2], v[5:6], v[7:8]
	v_fma_f64 v[1:2], v[7:8], v[3:4], v[5:6]
	s_delay_alu instid0(VALU_DEP_1) | instskip(NEXT) | instid1(VALU_DEP_1)
	v_div_scale_f64 v[5:6], null, v[1:2], v[1:2], 1.0
	v_rcp_f64_e32 v[7:8], v[5:6]
	s_delay_alu instid0(TRANS32_DEP_1) | instskip(NEXT) | instid1(VALU_DEP_1)
	v_fma_f64 v[9:10], -v[5:6], v[7:8], 1.0
	v_fma_f64 v[7:8], v[7:8], v[9:10], v[7:8]
	s_delay_alu instid0(VALU_DEP_1) | instskip(NEXT) | instid1(VALU_DEP_1)
	v_fma_f64 v[9:10], -v[5:6], v[7:8], 1.0
	v_fma_f64 v[7:8], v[7:8], v[9:10], v[7:8]
	v_div_scale_f64 v[9:10], vcc_lo, 1.0, v[1:2], 1.0
	s_delay_alu instid0(VALU_DEP_1) | instskip(NEXT) | instid1(VALU_DEP_1)
	v_mul_f64_e32 v[11:12], v[9:10], v[7:8]
	v_fma_f64 v[5:6], -v[5:6], v[11:12], v[9:10]
	s_wait_alu 0xfffd
	s_delay_alu instid0(VALU_DEP_1) | instskip(NEXT) | instid1(VALU_DEP_1)
	v_div_fmas_f64 v[5:6], v[5:6], v[7:8], v[11:12]
	v_div_fixup_f64 v[1:2], v[5:6], v[1:2], 1.0
	s_delay_alu instid0(VALU_DEP_1)
	v_mul_f64_e64 v[3:4], v[3:4], -v[1:2]
	v_xor_b32_e32 v10, 0x80000000, v2
	v_mov_b32_e32 v9, v1
.LBB98_17:
	s_wait_alu 0xfffe
	s_or_b32 exec_lo, exec_lo, s1
	scratch_store_b128 v14, v[1:4], off
	scratch_load_b128 v[15:18], off, s43
	v_xor_b32_e32 v12, 0x80000000, v4
	v_mov_b32_e32 v11, v3
	v_add_nc_u32_e32 v5, 0x230, v13
	ds_store_b128 v13, v[9:12]
	s_wait_loadcnt 0x0
	ds_store_b128 v13, v[15:18] offset:560
	s_wait_storecnt_dscnt 0x0
	s_barrier_signal -1
	s_barrier_wait -1
	global_inv scope:SCOPE_SE
	s_and_saveexec_b32 s1, s0
	s_cbranch_execz .LBB98_19
; %bb.18:
	scratch_load_b128 v[1:4], v14, off
	ds_load_b128 v[6:9], v5
	v_mov_b32_e32 v10, 0
	ds_load_b128 v[15:18], v10 offset:16
	s_wait_loadcnt_dscnt 0x1
	v_mul_f64_e32 v[10:11], v[6:7], v[3:4]
	v_mul_f64_e32 v[3:4], v[8:9], v[3:4]
	s_delay_alu instid0(VALU_DEP_2) | instskip(NEXT) | instid1(VALU_DEP_2)
	v_fma_f64 v[8:9], v[8:9], v[1:2], v[10:11]
	v_fma_f64 v[1:2], v[6:7], v[1:2], -v[3:4]
	s_delay_alu instid0(VALU_DEP_2) | instskip(NEXT) | instid1(VALU_DEP_2)
	v_add_f64_e32 v[3:4], 0, v[8:9]
	v_add_f64_e32 v[1:2], 0, v[1:2]
	s_wait_dscnt 0x0
	s_delay_alu instid0(VALU_DEP_2) | instskip(NEXT) | instid1(VALU_DEP_2)
	v_mul_f64_e32 v[6:7], v[3:4], v[17:18]
	v_mul_f64_e32 v[8:9], v[1:2], v[17:18]
	s_delay_alu instid0(VALU_DEP_2) | instskip(NEXT) | instid1(VALU_DEP_2)
	v_fma_f64 v[1:2], v[1:2], v[15:16], -v[6:7]
	v_fma_f64 v[3:4], v[3:4], v[15:16], v[8:9]
	scratch_store_b128 off, v[1:4], off offset:32
.LBB98_19:
	s_wait_alu 0xfffe
	s_or_b32 exec_lo, exec_lo, s1
	s_wait_loadcnt 0x0
	s_wait_storecnt 0x0
	s_barrier_signal -1
	s_barrier_wait -1
	global_inv scope:SCOPE_SE
	scratch_load_b128 v[1:4], off, s42
	s_mov_b32 s1, exec_lo
	s_wait_loadcnt 0x0
	ds_store_b128 v5, v[1:4]
	s_wait_dscnt 0x0
	s_barrier_signal -1
	s_barrier_wait -1
	global_inv scope:SCOPE_SE
	v_cmpx_gt_u32_e32 2, v0
	s_cbranch_execz .LBB98_23
; %bb.20:
	scratch_load_b128 v[1:4], v14, off
	ds_load_b128 v[6:9], v5
	s_wait_loadcnt_dscnt 0x0
	v_mul_f64_e32 v[10:11], v[8:9], v[3:4]
	v_mul_f64_e32 v[3:4], v[6:7], v[3:4]
	s_delay_alu instid0(VALU_DEP_2) | instskip(NEXT) | instid1(VALU_DEP_2)
	v_fma_f64 v[6:7], v[6:7], v[1:2], -v[10:11]
	v_fma_f64 v[3:4], v[8:9], v[1:2], v[3:4]
	s_delay_alu instid0(VALU_DEP_2) | instskip(NEXT) | instid1(VALU_DEP_2)
	v_add_f64_e32 v[1:2], 0, v[6:7]
	v_add_f64_e32 v[3:4], 0, v[3:4]
	s_and_saveexec_b32 s44, s0
	s_cbranch_execz .LBB98_22
; %bb.21:
	scratch_load_b128 v[6:9], off, off offset:32
	v_mov_b32_e32 v10, 0
	ds_load_b128 v[15:18], v10 offset:576
	s_wait_loadcnt_dscnt 0x0
	v_mul_f64_e32 v[10:11], v[15:16], v[8:9]
	v_mul_f64_e32 v[8:9], v[17:18], v[8:9]
	s_delay_alu instid0(VALU_DEP_2) | instskip(NEXT) | instid1(VALU_DEP_2)
	v_fma_f64 v[10:11], v[17:18], v[6:7], v[10:11]
	v_fma_f64 v[6:7], v[15:16], v[6:7], -v[8:9]
	s_delay_alu instid0(VALU_DEP_2) | instskip(NEXT) | instid1(VALU_DEP_2)
	v_add_f64_e32 v[3:4], v[3:4], v[10:11]
	v_add_f64_e32 v[1:2], v[1:2], v[6:7]
.LBB98_22:
	s_or_b32 exec_lo, exec_lo, s44
	v_mov_b32_e32 v6, 0
	ds_load_b128 v[6:9], v6 offset:32
	s_wait_dscnt 0x0
	v_mul_f64_e32 v[10:11], v[3:4], v[8:9]
	v_mul_f64_e32 v[8:9], v[1:2], v[8:9]
	s_delay_alu instid0(VALU_DEP_2) | instskip(NEXT) | instid1(VALU_DEP_2)
	v_fma_f64 v[1:2], v[1:2], v[6:7], -v[10:11]
	v_fma_f64 v[3:4], v[3:4], v[6:7], v[8:9]
	scratch_store_b128 off, v[1:4], off offset:48
.LBB98_23:
	s_wait_alu 0xfffe
	s_or_b32 exec_lo, exec_lo, s1
	s_wait_loadcnt 0x0
	s_wait_storecnt 0x0
	s_barrier_signal -1
	s_barrier_wait -1
	global_inv scope:SCOPE_SE
	scratch_load_b128 v[1:4], off, s25
	v_add_nc_u32_e32 v6, -1, v0
	s_mov_b32 s0, exec_lo
	s_wait_loadcnt 0x0
	ds_store_b128 v5, v[1:4]
	s_wait_dscnt 0x0
	s_barrier_signal -1
	s_barrier_wait -1
	global_inv scope:SCOPE_SE
	v_cmpx_gt_u32_e32 3, v0
	s_cbranch_execz .LBB98_27
; %bb.24:
	v_dual_mov_b32 v1, 0 :: v_dual_add_nc_u32 v8, 0x230, v13
	v_mov_b32_e32 v3, 0
	v_dual_mov_b32 v2, 0 :: v_dual_add_nc_u32 v7, -1, v0
	v_mov_b32_e32 v4, 0
	v_or_b32_e32 v9, 8, v14
	s_mov_b32 s1, 0
.LBB98_25:                              ; =>This Inner Loop Header: Depth=1
	scratch_load_b128 v[15:18], v9, off offset:-8
	ds_load_b128 v[19:22], v8
	v_add_nc_u32_e32 v7, 1, v7
	v_add_nc_u32_e32 v8, 16, v8
	v_add_nc_u32_e32 v9, 16, v9
	s_delay_alu instid0(VALU_DEP_3)
	v_cmp_lt_u32_e32 vcc_lo, 1, v7
	s_wait_alu 0xfffe
	s_or_b32 s1, vcc_lo, s1
	s_wait_loadcnt_dscnt 0x0
	v_mul_f64_e32 v[10:11], v[21:22], v[17:18]
	v_mul_f64_e32 v[17:18], v[19:20], v[17:18]
	s_delay_alu instid0(VALU_DEP_2) | instskip(NEXT) | instid1(VALU_DEP_2)
	v_fma_f64 v[10:11], v[19:20], v[15:16], -v[10:11]
	v_fma_f64 v[15:16], v[21:22], v[15:16], v[17:18]
	s_delay_alu instid0(VALU_DEP_2) | instskip(NEXT) | instid1(VALU_DEP_2)
	v_add_f64_e32 v[3:4], v[3:4], v[10:11]
	v_add_f64_e32 v[1:2], v[1:2], v[15:16]
	s_wait_alu 0xfffe
	s_and_not1_b32 exec_lo, exec_lo, s1
	s_cbranch_execnz .LBB98_25
; %bb.26:
	s_or_b32 exec_lo, exec_lo, s1
	v_mov_b32_e32 v7, 0
	ds_load_b128 v[7:10], v7 offset:48
	s_wait_dscnt 0x0
	v_mul_f64_e32 v[11:12], v[1:2], v[9:10]
	v_mul_f64_e32 v[15:16], v[3:4], v[9:10]
	s_delay_alu instid0(VALU_DEP_2) | instskip(NEXT) | instid1(VALU_DEP_2)
	v_fma_f64 v[9:10], v[3:4], v[7:8], -v[11:12]
	v_fma_f64 v[11:12], v[1:2], v[7:8], v[15:16]
	scratch_store_b128 off, v[9:12], off offset:64
.LBB98_27:
	s_wait_alu 0xfffe
	s_or_b32 exec_lo, exec_lo, s0
	s_wait_loadcnt 0x0
	s_wait_storecnt 0x0
	s_barrier_signal -1
	s_barrier_wait -1
	global_inv scope:SCOPE_SE
	scratch_load_b128 v[1:4], off, s4
	s_mov_b32 s0, exec_lo
	s_wait_loadcnt 0x0
	ds_store_b128 v5, v[1:4]
	s_wait_dscnt 0x0
	s_barrier_signal -1
	s_barrier_wait -1
	global_inv scope:SCOPE_SE
	v_cmpx_gt_u32_e32 4, v0
	s_cbranch_execz .LBB98_31
; %bb.28:
	v_dual_mov_b32 v1, 0 :: v_dual_add_nc_u32 v8, 0x230, v13
	v_mov_b32_e32 v3, 0
	v_dual_mov_b32 v2, 0 :: v_dual_add_nc_u32 v7, -1, v0
	v_mov_b32_e32 v4, 0
	v_or_b32_e32 v9, 8, v14
	s_mov_b32 s1, 0
.LBB98_29:                              ; =>This Inner Loop Header: Depth=1
	scratch_load_b128 v[15:18], v9, off offset:-8
	ds_load_b128 v[19:22], v8
	v_add_nc_u32_e32 v7, 1, v7
	v_add_nc_u32_e32 v8, 16, v8
	v_add_nc_u32_e32 v9, 16, v9
	s_delay_alu instid0(VALU_DEP_3)
	v_cmp_lt_u32_e32 vcc_lo, 2, v7
	s_wait_alu 0xfffe
	s_or_b32 s1, vcc_lo, s1
	s_wait_loadcnt_dscnt 0x0
	v_mul_f64_e32 v[10:11], v[21:22], v[17:18]
	v_mul_f64_e32 v[17:18], v[19:20], v[17:18]
	s_delay_alu instid0(VALU_DEP_2) | instskip(NEXT) | instid1(VALU_DEP_2)
	v_fma_f64 v[10:11], v[19:20], v[15:16], -v[10:11]
	v_fma_f64 v[15:16], v[21:22], v[15:16], v[17:18]
	s_delay_alu instid0(VALU_DEP_2) | instskip(NEXT) | instid1(VALU_DEP_2)
	v_add_f64_e32 v[3:4], v[3:4], v[10:11]
	v_add_f64_e32 v[1:2], v[1:2], v[15:16]
	s_wait_alu 0xfffe
	s_and_not1_b32 exec_lo, exec_lo, s1
	s_cbranch_execnz .LBB98_29
; %bb.30:
	s_or_b32 exec_lo, exec_lo, s1
	v_mov_b32_e32 v7, 0
	ds_load_b128 v[7:10], v7 offset:64
	s_wait_dscnt 0x0
	v_mul_f64_e32 v[11:12], v[1:2], v[9:10]
	v_mul_f64_e32 v[15:16], v[3:4], v[9:10]
	s_delay_alu instid0(VALU_DEP_2) | instskip(NEXT) | instid1(VALU_DEP_2)
	v_fma_f64 v[9:10], v[3:4], v[7:8], -v[11:12]
	v_fma_f64 v[11:12], v[1:2], v[7:8], v[15:16]
	scratch_store_b128 off, v[9:12], off offset:80
.LBB98_31:
	s_wait_alu 0xfffe
	s_or_b32 exec_lo, exec_lo, s0
	s_wait_loadcnt 0x0
	s_wait_storecnt 0x0
	s_barrier_signal -1
	s_barrier_wait -1
	global_inv scope:SCOPE_SE
	scratch_load_b128 v[1:4], off, s26
	s_mov_b32 s0, exec_lo
	s_wait_loadcnt 0x0
	ds_store_b128 v5, v[1:4]
	s_wait_dscnt 0x0
	s_barrier_signal -1
	s_barrier_wait -1
	global_inv scope:SCOPE_SE
	v_cmpx_gt_u32_e32 5, v0
	s_cbranch_execz .LBB98_35
; %bb.32:
	v_dual_mov_b32 v1, 0 :: v_dual_add_nc_u32 v8, 0x230, v13
	v_mov_b32_e32 v3, 0
	v_dual_mov_b32 v2, 0 :: v_dual_add_nc_u32 v7, -1, v0
	v_mov_b32_e32 v4, 0
	v_or_b32_e32 v9, 8, v14
	s_mov_b32 s1, 0
.LBB98_33:                              ; =>This Inner Loop Header: Depth=1
	scratch_load_b128 v[15:18], v9, off offset:-8
	ds_load_b128 v[19:22], v8
	v_add_nc_u32_e32 v7, 1, v7
	v_add_nc_u32_e32 v8, 16, v8
	v_add_nc_u32_e32 v9, 16, v9
	s_delay_alu instid0(VALU_DEP_3)
	v_cmp_lt_u32_e32 vcc_lo, 3, v7
	s_wait_alu 0xfffe
	s_or_b32 s1, vcc_lo, s1
	s_wait_loadcnt_dscnt 0x0
	v_mul_f64_e32 v[10:11], v[21:22], v[17:18]
	v_mul_f64_e32 v[17:18], v[19:20], v[17:18]
	s_delay_alu instid0(VALU_DEP_2) | instskip(NEXT) | instid1(VALU_DEP_2)
	v_fma_f64 v[10:11], v[19:20], v[15:16], -v[10:11]
	v_fma_f64 v[15:16], v[21:22], v[15:16], v[17:18]
	s_delay_alu instid0(VALU_DEP_2) | instskip(NEXT) | instid1(VALU_DEP_2)
	v_add_f64_e32 v[3:4], v[3:4], v[10:11]
	v_add_f64_e32 v[1:2], v[1:2], v[15:16]
	s_wait_alu 0xfffe
	s_and_not1_b32 exec_lo, exec_lo, s1
	s_cbranch_execnz .LBB98_33
; %bb.34:
	s_or_b32 exec_lo, exec_lo, s1
	v_mov_b32_e32 v7, 0
	ds_load_b128 v[7:10], v7 offset:80
	s_wait_dscnt 0x0
	v_mul_f64_e32 v[11:12], v[1:2], v[9:10]
	v_mul_f64_e32 v[15:16], v[3:4], v[9:10]
	s_delay_alu instid0(VALU_DEP_2) | instskip(NEXT) | instid1(VALU_DEP_2)
	v_fma_f64 v[9:10], v[3:4], v[7:8], -v[11:12]
	v_fma_f64 v[11:12], v[1:2], v[7:8], v[15:16]
	scratch_store_b128 off, v[9:12], off offset:96
.LBB98_35:
	s_wait_alu 0xfffe
	s_or_b32 exec_lo, exec_lo, s0
	s_wait_loadcnt 0x0
	s_wait_storecnt 0x0
	s_barrier_signal -1
	s_barrier_wait -1
	global_inv scope:SCOPE_SE
	scratch_load_b128 v[1:4], off, s5
	s_mov_b32 s0, exec_lo
	s_wait_loadcnt 0x0
	ds_store_b128 v5, v[1:4]
	s_wait_dscnt 0x0
	s_barrier_signal -1
	s_barrier_wait -1
	global_inv scope:SCOPE_SE
	v_cmpx_gt_u32_e32 6, v0
	s_cbranch_execz .LBB98_39
; %bb.36:
	v_dual_mov_b32 v1, 0 :: v_dual_add_nc_u32 v8, 0x230, v13
	v_mov_b32_e32 v3, 0
	v_dual_mov_b32 v2, 0 :: v_dual_add_nc_u32 v7, -1, v0
	v_mov_b32_e32 v4, 0
	v_or_b32_e32 v9, 8, v14
	s_mov_b32 s1, 0
.LBB98_37:                              ; =>This Inner Loop Header: Depth=1
	scratch_load_b128 v[15:18], v9, off offset:-8
	ds_load_b128 v[19:22], v8
	v_add_nc_u32_e32 v7, 1, v7
	v_add_nc_u32_e32 v8, 16, v8
	v_add_nc_u32_e32 v9, 16, v9
	s_delay_alu instid0(VALU_DEP_3)
	v_cmp_lt_u32_e32 vcc_lo, 4, v7
	s_wait_alu 0xfffe
	s_or_b32 s1, vcc_lo, s1
	s_wait_loadcnt_dscnt 0x0
	v_mul_f64_e32 v[10:11], v[21:22], v[17:18]
	v_mul_f64_e32 v[17:18], v[19:20], v[17:18]
	s_delay_alu instid0(VALU_DEP_2) | instskip(NEXT) | instid1(VALU_DEP_2)
	v_fma_f64 v[10:11], v[19:20], v[15:16], -v[10:11]
	v_fma_f64 v[15:16], v[21:22], v[15:16], v[17:18]
	s_delay_alu instid0(VALU_DEP_2) | instskip(NEXT) | instid1(VALU_DEP_2)
	v_add_f64_e32 v[3:4], v[3:4], v[10:11]
	v_add_f64_e32 v[1:2], v[1:2], v[15:16]
	s_wait_alu 0xfffe
	s_and_not1_b32 exec_lo, exec_lo, s1
	s_cbranch_execnz .LBB98_37
; %bb.38:
	s_or_b32 exec_lo, exec_lo, s1
	v_mov_b32_e32 v7, 0
	ds_load_b128 v[7:10], v7 offset:96
	s_wait_dscnt 0x0
	v_mul_f64_e32 v[11:12], v[1:2], v[9:10]
	v_mul_f64_e32 v[15:16], v[3:4], v[9:10]
	s_delay_alu instid0(VALU_DEP_2) | instskip(NEXT) | instid1(VALU_DEP_2)
	v_fma_f64 v[9:10], v[3:4], v[7:8], -v[11:12]
	v_fma_f64 v[11:12], v[1:2], v[7:8], v[15:16]
	scratch_store_b128 off, v[9:12], off offset:112
.LBB98_39:
	s_wait_alu 0xfffe
	s_or_b32 exec_lo, exec_lo, s0
	s_wait_loadcnt 0x0
	s_wait_storecnt 0x0
	s_barrier_signal -1
	s_barrier_wait -1
	global_inv scope:SCOPE_SE
	scratch_load_b128 v[1:4], off, s27
	s_mov_b32 s0, exec_lo
	s_wait_loadcnt 0x0
	ds_store_b128 v5, v[1:4]
	s_wait_dscnt 0x0
	s_barrier_signal -1
	s_barrier_wait -1
	global_inv scope:SCOPE_SE
	v_cmpx_gt_u32_e32 7, v0
	s_cbranch_execz .LBB98_43
; %bb.40:
	v_dual_mov_b32 v1, 0 :: v_dual_add_nc_u32 v8, 0x230, v13
	v_mov_b32_e32 v3, 0
	v_dual_mov_b32 v2, 0 :: v_dual_add_nc_u32 v7, -1, v0
	v_mov_b32_e32 v4, 0
	v_or_b32_e32 v9, 8, v14
	s_mov_b32 s1, 0
.LBB98_41:                              ; =>This Inner Loop Header: Depth=1
	scratch_load_b128 v[15:18], v9, off offset:-8
	ds_load_b128 v[19:22], v8
	v_add_nc_u32_e32 v7, 1, v7
	v_add_nc_u32_e32 v8, 16, v8
	v_add_nc_u32_e32 v9, 16, v9
	s_delay_alu instid0(VALU_DEP_3)
	v_cmp_lt_u32_e32 vcc_lo, 5, v7
	s_wait_alu 0xfffe
	s_or_b32 s1, vcc_lo, s1
	s_wait_loadcnt_dscnt 0x0
	v_mul_f64_e32 v[10:11], v[21:22], v[17:18]
	v_mul_f64_e32 v[17:18], v[19:20], v[17:18]
	s_delay_alu instid0(VALU_DEP_2) | instskip(NEXT) | instid1(VALU_DEP_2)
	v_fma_f64 v[10:11], v[19:20], v[15:16], -v[10:11]
	v_fma_f64 v[15:16], v[21:22], v[15:16], v[17:18]
	s_delay_alu instid0(VALU_DEP_2) | instskip(NEXT) | instid1(VALU_DEP_2)
	v_add_f64_e32 v[3:4], v[3:4], v[10:11]
	v_add_f64_e32 v[1:2], v[1:2], v[15:16]
	s_wait_alu 0xfffe
	s_and_not1_b32 exec_lo, exec_lo, s1
	s_cbranch_execnz .LBB98_41
; %bb.42:
	s_or_b32 exec_lo, exec_lo, s1
	v_mov_b32_e32 v7, 0
	ds_load_b128 v[7:10], v7 offset:112
	s_wait_dscnt 0x0
	v_mul_f64_e32 v[11:12], v[1:2], v[9:10]
	v_mul_f64_e32 v[15:16], v[3:4], v[9:10]
	s_delay_alu instid0(VALU_DEP_2) | instskip(NEXT) | instid1(VALU_DEP_2)
	v_fma_f64 v[9:10], v[3:4], v[7:8], -v[11:12]
	v_fma_f64 v[11:12], v[1:2], v[7:8], v[15:16]
	scratch_store_b128 off, v[9:12], off offset:128
.LBB98_43:
	s_wait_alu 0xfffe
	s_or_b32 exec_lo, exec_lo, s0
	s_wait_loadcnt 0x0
	s_wait_storecnt 0x0
	s_barrier_signal -1
	s_barrier_wait -1
	global_inv scope:SCOPE_SE
	scratch_load_b128 v[1:4], off, s10
	s_mov_b32 s0, exec_lo
	s_wait_loadcnt 0x0
	ds_store_b128 v5, v[1:4]
	s_wait_dscnt 0x0
	s_barrier_signal -1
	s_barrier_wait -1
	global_inv scope:SCOPE_SE
	v_cmpx_gt_u32_e32 8, v0
	s_cbranch_execz .LBB98_47
; %bb.44:
	v_dual_mov_b32 v1, 0 :: v_dual_add_nc_u32 v8, 0x230, v13
	v_mov_b32_e32 v3, 0
	v_dual_mov_b32 v2, 0 :: v_dual_add_nc_u32 v7, -1, v0
	v_mov_b32_e32 v4, 0
	v_or_b32_e32 v9, 8, v14
	s_mov_b32 s1, 0
.LBB98_45:                              ; =>This Inner Loop Header: Depth=1
	scratch_load_b128 v[15:18], v9, off offset:-8
	ds_load_b128 v[19:22], v8
	v_add_nc_u32_e32 v7, 1, v7
	v_add_nc_u32_e32 v8, 16, v8
	v_add_nc_u32_e32 v9, 16, v9
	s_delay_alu instid0(VALU_DEP_3)
	v_cmp_lt_u32_e32 vcc_lo, 6, v7
	s_wait_alu 0xfffe
	s_or_b32 s1, vcc_lo, s1
	s_wait_loadcnt_dscnt 0x0
	v_mul_f64_e32 v[10:11], v[21:22], v[17:18]
	v_mul_f64_e32 v[17:18], v[19:20], v[17:18]
	s_delay_alu instid0(VALU_DEP_2) | instskip(NEXT) | instid1(VALU_DEP_2)
	v_fma_f64 v[10:11], v[19:20], v[15:16], -v[10:11]
	v_fma_f64 v[15:16], v[21:22], v[15:16], v[17:18]
	s_delay_alu instid0(VALU_DEP_2) | instskip(NEXT) | instid1(VALU_DEP_2)
	v_add_f64_e32 v[3:4], v[3:4], v[10:11]
	v_add_f64_e32 v[1:2], v[1:2], v[15:16]
	s_wait_alu 0xfffe
	s_and_not1_b32 exec_lo, exec_lo, s1
	s_cbranch_execnz .LBB98_45
; %bb.46:
	s_or_b32 exec_lo, exec_lo, s1
	v_mov_b32_e32 v7, 0
	ds_load_b128 v[7:10], v7 offset:128
	s_wait_dscnt 0x0
	v_mul_f64_e32 v[11:12], v[1:2], v[9:10]
	v_mul_f64_e32 v[15:16], v[3:4], v[9:10]
	s_delay_alu instid0(VALU_DEP_2) | instskip(NEXT) | instid1(VALU_DEP_2)
	v_fma_f64 v[9:10], v[3:4], v[7:8], -v[11:12]
	v_fma_f64 v[11:12], v[1:2], v[7:8], v[15:16]
	scratch_store_b128 off, v[9:12], off offset:144
.LBB98_47:
	s_wait_alu 0xfffe
	s_or_b32 exec_lo, exec_lo, s0
	s_wait_loadcnt 0x0
	s_wait_storecnt 0x0
	s_barrier_signal -1
	s_barrier_wait -1
	global_inv scope:SCOPE_SE
	scratch_load_b128 v[1:4], off, s28
	s_mov_b32 s0, exec_lo
	s_wait_loadcnt 0x0
	ds_store_b128 v5, v[1:4]
	s_wait_dscnt 0x0
	s_barrier_signal -1
	s_barrier_wait -1
	global_inv scope:SCOPE_SE
	v_cmpx_gt_u32_e32 9, v0
	s_cbranch_execz .LBB98_51
; %bb.48:
	v_dual_mov_b32 v1, 0 :: v_dual_add_nc_u32 v8, 0x230, v13
	v_mov_b32_e32 v3, 0
	v_dual_mov_b32 v2, 0 :: v_dual_add_nc_u32 v7, -1, v0
	v_mov_b32_e32 v4, 0
	v_or_b32_e32 v9, 8, v14
	s_mov_b32 s1, 0
.LBB98_49:                              ; =>This Inner Loop Header: Depth=1
	scratch_load_b128 v[15:18], v9, off offset:-8
	ds_load_b128 v[19:22], v8
	v_add_nc_u32_e32 v7, 1, v7
	v_add_nc_u32_e32 v8, 16, v8
	v_add_nc_u32_e32 v9, 16, v9
	s_delay_alu instid0(VALU_DEP_3)
	v_cmp_lt_u32_e32 vcc_lo, 7, v7
	s_wait_alu 0xfffe
	s_or_b32 s1, vcc_lo, s1
	s_wait_loadcnt_dscnt 0x0
	v_mul_f64_e32 v[10:11], v[21:22], v[17:18]
	v_mul_f64_e32 v[17:18], v[19:20], v[17:18]
	s_delay_alu instid0(VALU_DEP_2) | instskip(NEXT) | instid1(VALU_DEP_2)
	v_fma_f64 v[10:11], v[19:20], v[15:16], -v[10:11]
	v_fma_f64 v[15:16], v[21:22], v[15:16], v[17:18]
	s_delay_alu instid0(VALU_DEP_2) | instskip(NEXT) | instid1(VALU_DEP_2)
	v_add_f64_e32 v[3:4], v[3:4], v[10:11]
	v_add_f64_e32 v[1:2], v[1:2], v[15:16]
	s_wait_alu 0xfffe
	s_and_not1_b32 exec_lo, exec_lo, s1
	s_cbranch_execnz .LBB98_49
; %bb.50:
	s_or_b32 exec_lo, exec_lo, s1
	v_mov_b32_e32 v7, 0
	ds_load_b128 v[7:10], v7 offset:144
	s_wait_dscnt 0x0
	v_mul_f64_e32 v[11:12], v[1:2], v[9:10]
	v_mul_f64_e32 v[15:16], v[3:4], v[9:10]
	s_delay_alu instid0(VALU_DEP_2) | instskip(NEXT) | instid1(VALU_DEP_2)
	v_fma_f64 v[9:10], v[3:4], v[7:8], -v[11:12]
	v_fma_f64 v[11:12], v[1:2], v[7:8], v[15:16]
	scratch_store_b128 off, v[9:12], off offset:160
.LBB98_51:
	s_wait_alu 0xfffe
	s_or_b32 exec_lo, exec_lo, s0
	s_wait_loadcnt 0x0
	s_wait_storecnt 0x0
	s_barrier_signal -1
	s_barrier_wait -1
	global_inv scope:SCOPE_SE
	scratch_load_b128 v[1:4], off, s11
	s_mov_b32 s0, exec_lo
	s_wait_loadcnt 0x0
	ds_store_b128 v5, v[1:4]
	s_wait_dscnt 0x0
	s_barrier_signal -1
	s_barrier_wait -1
	global_inv scope:SCOPE_SE
	v_cmpx_gt_u32_e32 10, v0
	s_cbranch_execz .LBB98_55
; %bb.52:
	v_dual_mov_b32 v1, 0 :: v_dual_add_nc_u32 v8, 0x230, v13
	v_mov_b32_e32 v3, 0
	v_dual_mov_b32 v2, 0 :: v_dual_add_nc_u32 v7, -1, v0
	v_mov_b32_e32 v4, 0
	v_or_b32_e32 v9, 8, v14
	s_mov_b32 s1, 0
.LBB98_53:                              ; =>This Inner Loop Header: Depth=1
	scratch_load_b128 v[15:18], v9, off offset:-8
	ds_load_b128 v[19:22], v8
	v_add_nc_u32_e32 v7, 1, v7
	v_add_nc_u32_e32 v8, 16, v8
	v_add_nc_u32_e32 v9, 16, v9
	s_delay_alu instid0(VALU_DEP_3)
	v_cmp_lt_u32_e32 vcc_lo, 8, v7
	s_wait_alu 0xfffe
	s_or_b32 s1, vcc_lo, s1
	s_wait_loadcnt_dscnt 0x0
	v_mul_f64_e32 v[10:11], v[21:22], v[17:18]
	v_mul_f64_e32 v[17:18], v[19:20], v[17:18]
	s_delay_alu instid0(VALU_DEP_2) | instskip(NEXT) | instid1(VALU_DEP_2)
	v_fma_f64 v[10:11], v[19:20], v[15:16], -v[10:11]
	v_fma_f64 v[15:16], v[21:22], v[15:16], v[17:18]
	s_delay_alu instid0(VALU_DEP_2) | instskip(NEXT) | instid1(VALU_DEP_2)
	v_add_f64_e32 v[3:4], v[3:4], v[10:11]
	v_add_f64_e32 v[1:2], v[1:2], v[15:16]
	s_wait_alu 0xfffe
	s_and_not1_b32 exec_lo, exec_lo, s1
	s_cbranch_execnz .LBB98_53
; %bb.54:
	s_or_b32 exec_lo, exec_lo, s1
	v_mov_b32_e32 v7, 0
	ds_load_b128 v[7:10], v7 offset:160
	s_wait_dscnt 0x0
	v_mul_f64_e32 v[11:12], v[1:2], v[9:10]
	v_mul_f64_e32 v[15:16], v[3:4], v[9:10]
	s_delay_alu instid0(VALU_DEP_2) | instskip(NEXT) | instid1(VALU_DEP_2)
	v_fma_f64 v[9:10], v[3:4], v[7:8], -v[11:12]
	v_fma_f64 v[11:12], v[1:2], v[7:8], v[15:16]
	scratch_store_b128 off, v[9:12], off offset:176
.LBB98_55:
	s_wait_alu 0xfffe
	s_or_b32 exec_lo, exec_lo, s0
	s_wait_loadcnt 0x0
	s_wait_storecnt 0x0
	s_barrier_signal -1
	s_barrier_wait -1
	global_inv scope:SCOPE_SE
	scratch_load_b128 v[1:4], off, s29
	s_mov_b32 s0, exec_lo
	s_wait_loadcnt 0x0
	ds_store_b128 v5, v[1:4]
	s_wait_dscnt 0x0
	s_barrier_signal -1
	s_barrier_wait -1
	global_inv scope:SCOPE_SE
	v_cmpx_gt_u32_e32 11, v0
	s_cbranch_execz .LBB98_59
; %bb.56:
	v_dual_mov_b32 v1, 0 :: v_dual_add_nc_u32 v8, 0x230, v13
	v_mov_b32_e32 v3, 0
	v_dual_mov_b32 v2, 0 :: v_dual_add_nc_u32 v7, -1, v0
	v_mov_b32_e32 v4, 0
	v_or_b32_e32 v9, 8, v14
	s_mov_b32 s1, 0
.LBB98_57:                              ; =>This Inner Loop Header: Depth=1
	scratch_load_b128 v[15:18], v9, off offset:-8
	ds_load_b128 v[19:22], v8
	v_add_nc_u32_e32 v7, 1, v7
	v_add_nc_u32_e32 v8, 16, v8
	v_add_nc_u32_e32 v9, 16, v9
	s_delay_alu instid0(VALU_DEP_3)
	v_cmp_lt_u32_e32 vcc_lo, 9, v7
	s_wait_alu 0xfffe
	s_or_b32 s1, vcc_lo, s1
	s_wait_loadcnt_dscnt 0x0
	v_mul_f64_e32 v[10:11], v[21:22], v[17:18]
	v_mul_f64_e32 v[17:18], v[19:20], v[17:18]
	s_delay_alu instid0(VALU_DEP_2) | instskip(NEXT) | instid1(VALU_DEP_2)
	v_fma_f64 v[10:11], v[19:20], v[15:16], -v[10:11]
	v_fma_f64 v[15:16], v[21:22], v[15:16], v[17:18]
	s_delay_alu instid0(VALU_DEP_2) | instskip(NEXT) | instid1(VALU_DEP_2)
	v_add_f64_e32 v[3:4], v[3:4], v[10:11]
	v_add_f64_e32 v[1:2], v[1:2], v[15:16]
	s_wait_alu 0xfffe
	s_and_not1_b32 exec_lo, exec_lo, s1
	s_cbranch_execnz .LBB98_57
; %bb.58:
	s_or_b32 exec_lo, exec_lo, s1
	v_mov_b32_e32 v7, 0
	ds_load_b128 v[7:10], v7 offset:176
	s_wait_dscnt 0x0
	v_mul_f64_e32 v[11:12], v[1:2], v[9:10]
	v_mul_f64_e32 v[15:16], v[3:4], v[9:10]
	s_delay_alu instid0(VALU_DEP_2) | instskip(NEXT) | instid1(VALU_DEP_2)
	v_fma_f64 v[9:10], v[3:4], v[7:8], -v[11:12]
	v_fma_f64 v[11:12], v[1:2], v[7:8], v[15:16]
	scratch_store_b128 off, v[9:12], off offset:192
.LBB98_59:
	s_wait_alu 0xfffe
	s_or_b32 exec_lo, exec_lo, s0
	s_wait_loadcnt 0x0
	s_wait_storecnt 0x0
	s_barrier_signal -1
	s_barrier_wait -1
	global_inv scope:SCOPE_SE
	scratch_load_b128 v[1:4], off, s13
	s_mov_b32 s0, exec_lo
	s_wait_loadcnt 0x0
	ds_store_b128 v5, v[1:4]
	s_wait_dscnt 0x0
	s_barrier_signal -1
	s_barrier_wait -1
	global_inv scope:SCOPE_SE
	v_cmpx_gt_u32_e32 12, v0
	s_cbranch_execz .LBB98_63
; %bb.60:
	v_dual_mov_b32 v1, 0 :: v_dual_add_nc_u32 v8, 0x230, v13
	v_mov_b32_e32 v3, 0
	v_dual_mov_b32 v2, 0 :: v_dual_add_nc_u32 v7, -1, v0
	v_mov_b32_e32 v4, 0
	v_or_b32_e32 v9, 8, v14
	s_mov_b32 s1, 0
.LBB98_61:                              ; =>This Inner Loop Header: Depth=1
	scratch_load_b128 v[15:18], v9, off offset:-8
	ds_load_b128 v[19:22], v8
	v_add_nc_u32_e32 v7, 1, v7
	v_add_nc_u32_e32 v8, 16, v8
	v_add_nc_u32_e32 v9, 16, v9
	s_delay_alu instid0(VALU_DEP_3)
	v_cmp_lt_u32_e32 vcc_lo, 10, v7
	s_wait_alu 0xfffe
	s_or_b32 s1, vcc_lo, s1
	s_wait_loadcnt_dscnt 0x0
	v_mul_f64_e32 v[10:11], v[21:22], v[17:18]
	v_mul_f64_e32 v[17:18], v[19:20], v[17:18]
	s_delay_alu instid0(VALU_DEP_2) | instskip(NEXT) | instid1(VALU_DEP_2)
	v_fma_f64 v[10:11], v[19:20], v[15:16], -v[10:11]
	v_fma_f64 v[15:16], v[21:22], v[15:16], v[17:18]
	s_delay_alu instid0(VALU_DEP_2) | instskip(NEXT) | instid1(VALU_DEP_2)
	v_add_f64_e32 v[3:4], v[3:4], v[10:11]
	v_add_f64_e32 v[1:2], v[1:2], v[15:16]
	s_wait_alu 0xfffe
	s_and_not1_b32 exec_lo, exec_lo, s1
	s_cbranch_execnz .LBB98_61
; %bb.62:
	s_or_b32 exec_lo, exec_lo, s1
	v_mov_b32_e32 v7, 0
	ds_load_b128 v[7:10], v7 offset:192
	s_wait_dscnt 0x0
	v_mul_f64_e32 v[11:12], v[1:2], v[9:10]
	v_mul_f64_e32 v[15:16], v[3:4], v[9:10]
	s_delay_alu instid0(VALU_DEP_2) | instskip(NEXT) | instid1(VALU_DEP_2)
	v_fma_f64 v[9:10], v[3:4], v[7:8], -v[11:12]
	v_fma_f64 v[11:12], v[1:2], v[7:8], v[15:16]
	scratch_store_b128 off, v[9:12], off offset:208
.LBB98_63:
	s_wait_alu 0xfffe
	s_or_b32 exec_lo, exec_lo, s0
	s_wait_loadcnt 0x0
	s_wait_storecnt 0x0
	s_barrier_signal -1
	s_barrier_wait -1
	global_inv scope:SCOPE_SE
	scratch_load_b128 v[1:4], off, s30
	s_mov_b32 s0, exec_lo
	s_wait_loadcnt 0x0
	ds_store_b128 v5, v[1:4]
	s_wait_dscnt 0x0
	s_barrier_signal -1
	s_barrier_wait -1
	global_inv scope:SCOPE_SE
	v_cmpx_gt_u32_e32 13, v0
	s_cbranch_execz .LBB98_67
; %bb.64:
	v_dual_mov_b32 v1, 0 :: v_dual_add_nc_u32 v8, 0x230, v13
	v_mov_b32_e32 v3, 0
	v_dual_mov_b32 v2, 0 :: v_dual_add_nc_u32 v7, -1, v0
	v_mov_b32_e32 v4, 0
	v_or_b32_e32 v9, 8, v14
	s_mov_b32 s1, 0
.LBB98_65:                              ; =>This Inner Loop Header: Depth=1
	scratch_load_b128 v[15:18], v9, off offset:-8
	ds_load_b128 v[19:22], v8
	v_add_nc_u32_e32 v7, 1, v7
	v_add_nc_u32_e32 v8, 16, v8
	v_add_nc_u32_e32 v9, 16, v9
	s_delay_alu instid0(VALU_DEP_3)
	v_cmp_lt_u32_e32 vcc_lo, 11, v7
	s_wait_alu 0xfffe
	s_or_b32 s1, vcc_lo, s1
	s_wait_loadcnt_dscnt 0x0
	v_mul_f64_e32 v[10:11], v[21:22], v[17:18]
	v_mul_f64_e32 v[17:18], v[19:20], v[17:18]
	s_delay_alu instid0(VALU_DEP_2) | instskip(NEXT) | instid1(VALU_DEP_2)
	v_fma_f64 v[10:11], v[19:20], v[15:16], -v[10:11]
	v_fma_f64 v[15:16], v[21:22], v[15:16], v[17:18]
	s_delay_alu instid0(VALU_DEP_2) | instskip(NEXT) | instid1(VALU_DEP_2)
	v_add_f64_e32 v[3:4], v[3:4], v[10:11]
	v_add_f64_e32 v[1:2], v[1:2], v[15:16]
	s_wait_alu 0xfffe
	s_and_not1_b32 exec_lo, exec_lo, s1
	s_cbranch_execnz .LBB98_65
; %bb.66:
	s_or_b32 exec_lo, exec_lo, s1
	v_mov_b32_e32 v7, 0
	ds_load_b128 v[7:10], v7 offset:208
	s_wait_dscnt 0x0
	v_mul_f64_e32 v[11:12], v[1:2], v[9:10]
	v_mul_f64_e32 v[15:16], v[3:4], v[9:10]
	s_delay_alu instid0(VALU_DEP_2) | instskip(NEXT) | instid1(VALU_DEP_2)
	v_fma_f64 v[9:10], v[3:4], v[7:8], -v[11:12]
	v_fma_f64 v[11:12], v[1:2], v[7:8], v[15:16]
	scratch_store_b128 off, v[9:12], off offset:224
.LBB98_67:
	s_wait_alu 0xfffe
	s_or_b32 exec_lo, exec_lo, s0
	s_wait_loadcnt 0x0
	s_wait_storecnt 0x0
	s_barrier_signal -1
	s_barrier_wait -1
	global_inv scope:SCOPE_SE
	scratch_load_b128 v[1:4], off, s14
	s_mov_b32 s0, exec_lo
	s_wait_loadcnt 0x0
	ds_store_b128 v5, v[1:4]
	s_wait_dscnt 0x0
	s_barrier_signal -1
	s_barrier_wait -1
	global_inv scope:SCOPE_SE
	v_cmpx_gt_u32_e32 14, v0
	s_cbranch_execz .LBB98_71
; %bb.68:
	v_dual_mov_b32 v1, 0 :: v_dual_add_nc_u32 v8, 0x230, v13
	v_mov_b32_e32 v3, 0
	v_dual_mov_b32 v2, 0 :: v_dual_add_nc_u32 v7, -1, v0
	v_mov_b32_e32 v4, 0
	v_or_b32_e32 v9, 8, v14
	s_mov_b32 s1, 0
.LBB98_69:                              ; =>This Inner Loop Header: Depth=1
	scratch_load_b128 v[15:18], v9, off offset:-8
	ds_load_b128 v[19:22], v8
	v_add_nc_u32_e32 v7, 1, v7
	v_add_nc_u32_e32 v8, 16, v8
	v_add_nc_u32_e32 v9, 16, v9
	s_delay_alu instid0(VALU_DEP_3)
	v_cmp_lt_u32_e32 vcc_lo, 12, v7
	s_wait_alu 0xfffe
	s_or_b32 s1, vcc_lo, s1
	s_wait_loadcnt_dscnt 0x0
	v_mul_f64_e32 v[10:11], v[21:22], v[17:18]
	v_mul_f64_e32 v[17:18], v[19:20], v[17:18]
	s_delay_alu instid0(VALU_DEP_2) | instskip(NEXT) | instid1(VALU_DEP_2)
	v_fma_f64 v[10:11], v[19:20], v[15:16], -v[10:11]
	v_fma_f64 v[15:16], v[21:22], v[15:16], v[17:18]
	s_delay_alu instid0(VALU_DEP_2) | instskip(NEXT) | instid1(VALU_DEP_2)
	v_add_f64_e32 v[3:4], v[3:4], v[10:11]
	v_add_f64_e32 v[1:2], v[1:2], v[15:16]
	s_wait_alu 0xfffe
	s_and_not1_b32 exec_lo, exec_lo, s1
	s_cbranch_execnz .LBB98_69
; %bb.70:
	s_or_b32 exec_lo, exec_lo, s1
	v_mov_b32_e32 v7, 0
	ds_load_b128 v[7:10], v7 offset:224
	s_wait_dscnt 0x0
	v_mul_f64_e32 v[11:12], v[1:2], v[9:10]
	v_mul_f64_e32 v[15:16], v[3:4], v[9:10]
	s_delay_alu instid0(VALU_DEP_2) | instskip(NEXT) | instid1(VALU_DEP_2)
	v_fma_f64 v[9:10], v[3:4], v[7:8], -v[11:12]
	v_fma_f64 v[11:12], v[1:2], v[7:8], v[15:16]
	scratch_store_b128 off, v[9:12], off offset:240
.LBB98_71:
	s_wait_alu 0xfffe
	s_or_b32 exec_lo, exec_lo, s0
	s_wait_loadcnt 0x0
	s_wait_storecnt 0x0
	s_barrier_signal -1
	s_barrier_wait -1
	global_inv scope:SCOPE_SE
	scratch_load_b128 v[1:4], off, s31
	s_mov_b32 s0, exec_lo
	s_wait_loadcnt 0x0
	ds_store_b128 v5, v[1:4]
	s_wait_dscnt 0x0
	s_barrier_signal -1
	s_barrier_wait -1
	global_inv scope:SCOPE_SE
	v_cmpx_gt_u32_e32 15, v0
	s_cbranch_execz .LBB98_75
; %bb.72:
	v_dual_mov_b32 v1, 0 :: v_dual_add_nc_u32 v8, 0x230, v13
	v_mov_b32_e32 v3, 0
	v_dual_mov_b32 v2, 0 :: v_dual_add_nc_u32 v7, -1, v0
	v_mov_b32_e32 v4, 0
	v_or_b32_e32 v9, 8, v14
	s_mov_b32 s1, 0
.LBB98_73:                              ; =>This Inner Loop Header: Depth=1
	scratch_load_b128 v[15:18], v9, off offset:-8
	ds_load_b128 v[19:22], v8
	v_add_nc_u32_e32 v7, 1, v7
	v_add_nc_u32_e32 v8, 16, v8
	v_add_nc_u32_e32 v9, 16, v9
	s_delay_alu instid0(VALU_DEP_3)
	v_cmp_lt_u32_e32 vcc_lo, 13, v7
	s_wait_alu 0xfffe
	s_or_b32 s1, vcc_lo, s1
	s_wait_loadcnt_dscnt 0x0
	v_mul_f64_e32 v[10:11], v[21:22], v[17:18]
	v_mul_f64_e32 v[17:18], v[19:20], v[17:18]
	s_delay_alu instid0(VALU_DEP_2) | instskip(NEXT) | instid1(VALU_DEP_2)
	v_fma_f64 v[10:11], v[19:20], v[15:16], -v[10:11]
	v_fma_f64 v[15:16], v[21:22], v[15:16], v[17:18]
	s_delay_alu instid0(VALU_DEP_2) | instskip(NEXT) | instid1(VALU_DEP_2)
	v_add_f64_e32 v[3:4], v[3:4], v[10:11]
	v_add_f64_e32 v[1:2], v[1:2], v[15:16]
	s_wait_alu 0xfffe
	s_and_not1_b32 exec_lo, exec_lo, s1
	s_cbranch_execnz .LBB98_73
; %bb.74:
	s_or_b32 exec_lo, exec_lo, s1
	v_mov_b32_e32 v7, 0
	ds_load_b128 v[7:10], v7 offset:240
	s_wait_dscnt 0x0
	v_mul_f64_e32 v[11:12], v[1:2], v[9:10]
	v_mul_f64_e32 v[15:16], v[3:4], v[9:10]
	s_delay_alu instid0(VALU_DEP_2) | instskip(NEXT) | instid1(VALU_DEP_2)
	v_fma_f64 v[9:10], v[3:4], v[7:8], -v[11:12]
	v_fma_f64 v[11:12], v[1:2], v[7:8], v[15:16]
	scratch_store_b128 off, v[9:12], off offset:256
.LBB98_75:
	s_wait_alu 0xfffe
	s_or_b32 exec_lo, exec_lo, s0
	s_wait_loadcnt 0x0
	s_wait_storecnt 0x0
	s_barrier_signal -1
	s_barrier_wait -1
	global_inv scope:SCOPE_SE
	scratch_load_b128 v[1:4], off, s15
	s_mov_b32 s0, exec_lo
	s_wait_loadcnt 0x0
	ds_store_b128 v5, v[1:4]
	s_wait_dscnt 0x0
	s_barrier_signal -1
	s_barrier_wait -1
	global_inv scope:SCOPE_SE
	v_cmpx_gt_u32_e32 16, v0
	s_cbranch_execz .LBB98_79
; %bb.76:
	v_dual_mov_b32 v1, 0 :: v_dual_add_nc_u32 v8, 0x230, v13
	v_mov_b32_e32 v3, 0
	v_dual_mov_b32 v2, 0 :: v_dual_add_nc_u32 v7, -1, v0
	v_mov_b32_e32 v4, 0
	v_or_b32_e32 v9, 8, v14
	s_mov_b32 s1, 0
.LBB98_77:                              ; =>This Inner Loop Header: Depth=1
	scratch_load_b128 v[15:18], v9, off offset:-8
	ds_load_b128 v[19:22], v8
	v_add_nc_u32_e32 v7, 1, v7
	v_add_nc_u32_e32 v8, 16, v8
	v_add_nc_u32_e32 v9, 16, v9
	s_delay_alu instid0(VALU_DEP_3)
	v_cmp_lt_u32_e32 vcc_lo, 14, v7
	s_wait_alu 0xfffe
	s_or_b32 s1, vcc_lo, s1
	s_wait_loadcnt_dscnt 0x0
	v_mul_f64_e32 v[10:11], v[21:22], v[17:18]
	v_mul_f64_e32 v[17:18], v[19:20], v[17:18]
	s_delay_alu instid0(VALU_DEP_2) | instskip(NEXT) | instid1(VALU_DEP_2)
	v_fma_f64 v[10:11], v[19:20], v[15:16], -v[10:11]
	v_fma_f64 v[15:16], v[21:22], v[15:16], v[17:18]
	s_delay_alu instid0(VALU_DEP_2) | instskip(NEXT) | instid1(VALU_DEP_2)
	v_add_f64_e32 v[3:4], v[3:4], v[10:11]
	v_add_f64_e32 v[1:2], v[1:2], v[15:16]
	s_wait_alu 0xfffe
	s_and_not1_b32 exec_lo, exec_lo, s1
	s_cbranch_execnz .LBB98_77
; %bb.78:
	s_or_b32 exec_lo, exec_lo, s1
	v_mov_b32_e32 v7, 0
	ds_load_b128 v[7:10], v7 offset:256
	s_wait_dscnt 0x0
	v_mul_f64_e32 v[11:12], v[1:2], v[9:10]
	v_mul_f64_e32 v[15:16], v[3:4], v[9:10]
	s_delay_alu instid0(VALU_DEP_2) | instskip(NEXT) | instid1(VALU_DEP_2)
	v_fma_f64 v[9:10], v[3:4], v[7:8], -v[11:12]
	v_fma_f64 v[11:12], v[1:2], v[7:8], v[15:16]
	scratch_store_b128 off, v[9:12], off offset:272
.LBB98_79:
	s_wait_alu 0xfffe
	s_or_b32 exec_lo, exec_lo, s0
	s_wait_loadcnt 0x0
	s_wait_storecnt 0x0
	s_barrier_signal -1
	s_barrier_wait -1
	global_inv scope:SCOPE_SE
	scratch_load_b128 v[1:4], off, s33
	s_mov_b32 s0, exec_lo
	s_wait_loadcnt 0x0
	ds_store_b128 v5, v[1:4]
	s_wait_dscnt 0x0
	s_barrier_signal -1
	s_barrier_wait -1
	global_inv scope:SCOPE_SE
	v_cmpx_gt_u32_e32 17, v0
	s_cbranch_execz .LBB98_83
; %bb.80:
	v_dual_mov_b32 v1, 0 :: v_dual_add_nc_u32 v8, 0x230, v13
	v_mov_b32_e32 v3, 0
	v_dual_mov_b32 v2, 0 :: v_dual_add_nc_u32 v7, -1, v0
	v_mov_b32_e32 v4, 0
	v_or_b32_e32 v9, 8, v14
	s_mov_b32 s1, 0
.LBB98_81:                              ; =>This Inner Loop Header: Depth=1
	scratch_load_b128 v[15:18], v9, off offset:-8
	ds_load_b128 v[19:22], v8
	v_add_nc_u32_e32 v7, 1, v7
	v_add_nc_u32_e32 v8, 16, v8
	v_add_nc_u32_e32 v9, 16, v9
	s_delay_alu instid0(VALU_DEP_3)
	v_cmp_lt_u32_e32 vcc_lo, 15, v7
	s_wait_alu 0xfffe
	s_or_b32 s1, vcc_lo, s1
	s_wait_loadcnt_dscnt 0x0
	v_mul_f64_e32 v[10:11], v[21:22], v[17:18]
	v_mul_f64_e32 v[17:18], v[19:20], v[17:18]
	s_delay_alu instid0(VALU_DEP_2) | instskip(NEXT) | instid1(VALU_DEP_2)
	v_fma_f64 v[10:11], v[19:20], v[15:16], -v[10:11]
	v_fma_f64 v[15:16], v[21:22], v[15:16], v[17:18]
	s_delay_alu instid0(VALU_DEP_2) | instskip(NEXT) | instid1(VALU_DEP_2)
	v_add_f64_e32 v[3:4], v[3:4], v[10:11]
	v_add_f64_e32 v[1:2], v[1:2], v[15:16]
	s_wait_alu 0xfffe
	s_and_not1_b32 exec_lo, exec_lo, s1
	s_cbranch_execnz .LBB98_81
; %bb.82:
	s_or_b32 exec_lo, exec_lo, s1
	v_mov_b32_e32 v7, 0
	ds_load_b128 v[7:10], v7 offset:272
	s_wait_dscnt 0x0
	v_mul_f64_e32 v[11:12], v[1:2], v[9:10]
	v_mul_f64_e32 v[15:16], v[3:4], v[9:10]
	s_delay_alu instid0(VALU_DEP_2) | instskip(NEXT) | instid1(VALU_DEP_2)
	v_fma_f64 v[9:10], v[3:4], v[7:8], -v[11:12]
	v_fma_f64 v[11:12], v[1:2], v[7:8], v[15:16]
	scratch_store_b128 off, v[9:12], off offset:288
.LBB98_83:
	s_wait_alu 0xfffe
	s_or_b32 exec_lo, exec_lo, s0
	s_wait_loadcnt 0x0
	s_wait_storecnt 0x0
	s_barrier_signal -1
	s_barrier_wait -1
	global_inv scope:SCOPE_SE
	scratch_load_b128 v[1:4], off, s16
	s_mov_b32 s0, exec_lo
	s_wait_loadcnt 0x0
	ds_store_b128 v5, v[1:4]
	s_wait_dscnt 0x0
	s_barrier_signal -1
	s_barrier_wait -1
	global_inv scope:SCOPE_SE
	v_cmpx_gt_u32_e32 18, v0
	s_cbranch_execz .LBB98_87
; %bb.84:
	v_dual_mov_b32 v1, 0 :: v_dual_add_nc_u32 v8, 0x230, v13
	v_mov_b32_e32 v3, 0
	v_dual_mov_b32 v2, 0 :: v_dual_add_nc_u32 v7, -1, v0
	v_mov_b32_e32 v4, 0
	v_or_b32_e32 v9, 8, v14
	s_mov_b32 s1, 0
.LBB98_85:                              ; =>This Inner Loop Header: Depth=1
	scratch_load_b128 v[15:18], v9, off offset:-8
	ds_load_b128 v[19:22], v8
	v_add_nc_u32_e32 v7, 1, v7
	v_add_nc_u32_e32 v8, 16, v8
	v_add_nc_u32_e32 v9, 16, v9
	s_delay_alu instid0(VALU_DEP_3)
	v_cmp_lt_u32_e32 vcc_lo, 16, v7
	s_wait_alu 0xfffe
	s_or_b32 s1, vcc_lo, s1
	s_wait_loadcnt_dscnt 0x0
	v_mul_f64_e32 v[10:11], v[21:22], v[17:18]
	v_mul_f64_e32 v[17:18], v[19:20], v[17:18]
	s_delay_alu instid0(VALU_DEP_2) | instskip(NEXT) | instid1(VALU_DEP_2)
	v_fma_f64 v[10:11], v[19:20], v[15:16], -v[10:11]
	v_fma_f64 v[15:16], v[21:22], v[15:16], v[17:18]
	s_delay_alu instid0(VALU_DEP_2) | instskip(NEXT) | instid1(VALU_DEP_2)
	v_add_f64_e32 v[3:4], v[3:4], v[10:11]
	v_add_f64_e32 v[1:2], v[1:2], v[15:16]
	s_wait_alu 0xfffe
	s_and_not1_b32 exec_lo, exec_lo, s1
	s_cbranch_execnz .LBB98_85
; %bb.86:
	s_or_b32 exec_lo, exec_lo, s1
	v_mov_b32_e32 v7, 0
	ds_load_b128 v[7:10], v7 offset:288
	s_wait_dscnt 0x0
	v_mul_f64_e32 v[11:12], v[1:2], v[9:10]
	v_mul_f64_e32 v[15:16], v[3:4], v[9:10]
	s_delay_alu instid0(VALU_DEP_2) | instskip(NEXT) | instid1(VALU_DEP_2)
	v_fma_f64 v[9:10], v[3:4], v[7:8], -v[11:12]
	v_fma_f64 v[11:12], v[1:2], v[7:8], v[15:16]
	scratch_store_b128 off, v[9:12], off offset:304
.LBB98_87:
	s_wait_alu 0xfffe
	s_or_b32 exec_lo, exec_lo, s0
	s_wait_loadcnt 0x0
	s_wait_storecnt 0x0
	s_barrier_signal -1
	s_barrier_wait -1
	global_inv scope:SCOPE_SE
	scratch_load_b128 v[1:4], off, s34
	s_mov_b32 s0, exec_lo
	s_wait_loadcnt 0x0
	ds_store_b128 v5, v[1:4]
	s_wait_dscnt 0x0
	s_barrier_signal -1
	s_barrier_wait -1
	global_inv scope:SCOPE_SE
	v_cmpx_gt_u32_e32 19, v0
	s_cbranch_execz .LBB98_91
; %bb.88:
	v_dual_mov_b32 v1, 0 :: v_dual_add_nc_u32 v8, 0x230, v13
	v_mov_b32_e32 v3, 0
	v_dual_mov_b32 v2, 0 :: v_dual_add_nc_u32 v7, -1, v0
	v_mov_b32_e32 v4, 0
	v_or_b32_e32 v9, 8, v14
	s_mov_b32 s1, 0
.LBB98_89:                              ; =>This Inner Loop Header: Depth=1
	scratch_load_b128 v[15:18], v9, off offset:-8
	ds_load_b128 v[19:22], v8
	v_add_nc_u32_e32 v7, 1, v7
	v_add_nc_u32_e32 v8, 16, v8
	v_add_nc_u32_e32 v9, 16, v9
	s_delay_alu instid0(VALU_DEP_3)
	v_cmp_lt_u32_e32 vcc_lo, 17, v7
	s_wait_alu 0xfffe
	s_or_b32 s1, vcc_lo, s1
	s_wait_loadcnt_dscnt 0x0
	v_mul_f64_e32 v[10:11], v[21:22], v[17:18]
	v_mul_f64_e32 v[17:18], v[19:20], v[17:18]
	s_delay_alu instid0(VALU_DEP_2) | instskip(NEXT) | instid1(VALU_DEP_2)
	v_fma_f64 v[10:11], v[19:20], v[15:16], -v[10:11]
	v_fma_f64 v[15:16], v[21:22], v[15:16], v[17:18]
	s_delay_alu instid0(VALU_DEP_2) | instskip(NEXT) | instid1(VALU_DEP_2)
	v_add_f64_e32 v[3:4], v[3:4], v[10:11]
	v_add_f64_e32 v[1:2], v[1:2], v[15:16]
	s_wait_alu 0xfffe
	s_and_not1_b32 exec_lo, exec_lo, s1
	s_cbranch_execnz .LBB98_89
; %bb.90:
	s_or_b32 exec_lo, exec_lo, s1
	v_mov_b32_e32 v7, 0
	ds_load_b128 v[7:10], v7 offset:304
	s_wait_dscnt 0x0
	v_mul_f64_e32 v[11:12], v[1:2], v[9:10]
	v_mul_f64_e32 v[15:16], v[3:4], v[9:10]
	s_delay_alu instid0(VALU_DEP_2) | instskip(NEXT) | instid1(VALU_DEP_2)
	v_fma_f64 v[9:10], v[3:4], v[7:8], -v[11:12]
	v_fma_f64 v[11:12], v[1:2], v[7:8], v[15:16]
	scratch_store_b128 off, v[9:12], off offset:320
.LBB98_91:
	s_wait_alu 0xfffe
	s_or_b32 exec_lo, exec_lo, s0
	s_wait_loadcnt 0x0
	s_wait_storecnt 0x0
	s_barrier_signal -1
	s_barrier_wait -1
	global_inv scope:SCOPE_SE
	scratch_load_b128 v[1:4], off, s17
	s_mov_b32 s0, exec_lo
	s_wait_loadcnt 0x0
	ds_store_b128 v5, v[1:4]
	s_wait_dscnt 0x0
	s_barrier_signal -1
	s_barrier_wait -1
	global_inv scope:SCOPE_SE
	v_cmpx_gt_u32_e32 20, v0
	s_cbranch_execz .LBB98_95
; %bb.92:
	v_dual_mov_b32 v1, 0 :: v_dual_add_nc_u32 v8, 0x230, v13
	v_mov_b32_e32 v3, 0
	v_dual_mov_b32 v2, 0 :: v_dual_add_nc_u32 v7, -1, v0
	v_mov_b32_e32 v4, 0
	v_or_b32_e32 v9, 8, v14
	s_mov_b32 s1, 0
.LBB98_93:                              ; =>This Inner Loop Header: Depth=1
	scratch_load_b128 v[15:18], v9, off offset:-8
	ds_load_b128 v[19:22], v8
	v_add_nc_u32_e32 v7, 1, v7
	v_add_nc_u32_e32 v8, 16, v8
	v_add_nc_u32_e32 v9, 16, v9
	s_delay_alu instid0(VALU_DEP_3)
	v_cmp_lt_u32_e32 vcc_lo, 18, v7
	s_wait_alu 0xfffe
	s_or_b32 s1, vcc_lo, s1
	s_wait_loadcnt_dscnt 0x0
	v_mul_f64_e32 v[10:11], v[21:22], v[17:18]
	v_mul_f64_e32 v[17:18], v[19:20], v[17:18]
	s_delay_alu instid0(VALU_DEP_2) | instskip(NEXT) | instid1(VALU_DEP_2)
	v_fma_f64 v[10:11], v[19:20], v[15:16], -v[10:11]
	v_fma_f64 v[15:16], v[21:22], v[15:16], v[17:18]
	s_delay_alu instid0(VALU_DEP_2) | instskip(NEXT) | instid1(VALU_DEP_2)
	v_add_f64_e32 v[3:4], v[3:4], v[10:11]
	v_add_f64_e32 v[1:2], v[1:2], v[15:16]
	s_wait_alu 0xfffe
	s_and_not1_b32 exec_lo, exec_lo, s1
	s_cbranch_execnz .LBB98_93
; %bb.94:
	s_or_b32 exec_lo, exec_lo, s1
	v_mov_b32_e32 v7, 0
	ds_load_b128 v[7:10], v7 offset:320
	s_wait_dscnt 0x0
	v_mul_f64_e32 v[11:12], v[1:2], v[9:10]
	v_mul_f64_e32 v[15:16], v[3:4], v[9:10]
	s_delay_alu instid0(VALU_DEP_2) | instskip(NEXT) | instid1(VALU_DEP_2)
	v_fma_f64 v[9:10], v[3:4], v[7:8], -v[11:12]
	v_fma_f64 v[11:12], v[1:2], v[7:8], v[15:16]
	scratch_store_b128 off, v[9:12], off offset:336
.LBB98_95:
	s_wait_alu 0xfffe
	s_or_b32 exec_lo, exec_lo, s0
	s_wait_loadcnt 0x0
	s_wait_storecnt 0x0
	s_barrier_signal -1
	s_barrier_wait -1
	global_inv scope:SCOPE_SE
	scratch_load_b128 v[1:4], off, s35
	s_mov_b32 s0, exec_lo
	s_wait_loadcnt 0x0
	ds_store_b128 v5, v[1:4]
	s_wait_dscnt 0x0
	s_barrier_signal -1
	s_barrier_wait -1
	global_inv scope:SCOPE_SE
	v_cmpx_gt_u32_e32 21, v0
	s_cbranch_execz .LBB98_99
; %bb.96:
	v_dual_mov_b32 v1, 0 :: v_dual_add_nc_u32 v8, 0x230, v13
	v_mov_b32_e32 v3, 0
	v_dual_mov_b32 v2, 0 :: v_dual_add_nc_u32 v7, -1, v0
	v_mov_b32_e32 v4, 0
	v_or_b32_e32 v9, 8, v14
	s_mov_b32 s1, 0
.LBB98_97:                              ; =>This Inner Loop Header: Depth=1
	scratch_load_b128 v[15:18], v9, off offset:-8
	ds_load_b128 v[19:22], v8
	v_add_nc_u32_e32 v7, 1, v7
	v_add_nc_u32_e32 v8, 16, v8
	v_add_nc_u32_e32 v9, 16, v9
	s_delay_alu instid0(VALU_DEP_3)
	v_cmp_lt_u32_e32 vcc_lo, 19, v7
	s_wait_alu 0xfffe
	s_or_b32 s1, vcc_lo, s1
	s_wait_loadcnt_dscnt 0x0
	v_mul_f64_e32 v[10:11], v[21:22], v[17:18]
	v_mul_f64_e32 v[17:18], v[19:20], v[17:18]
	s_delay_alu instid0(VALU_DEP_2) | instskip(NEXT) | instid1(VALU_DEP_2)
	v_fma_f64 v[10:11], v[19:20], v[15:16], -v[10:11]
	v_fma_f64 v[15:16], v[21:22], v[15:16], v[17:18]
	s_delay_alu instid0(VALU_DEP_2) | instskip(NEXT) | instid1(VALU_DEP_2)
	v_add_f64_e32 v[3:4], v[3:4], v[10:11]
	v_add_f64_e32 v[1:2], v[1:2], v[15:16]
	s_wait_alu 0xfffe
	s_and_not1_b32 exec_lo, exec_lo, s1
	s_cbranch_execnz .LBB98_97
; %bb.98:
	s_or_b32 exec_lo, exec_lo, s1
	v_mov_b32_e32 v7, 0
	ds_load_b128 v[7:10], v7 offset:336
	s_wait_dscnt 0x0
	v_mul_f64_e32 v[11:12], v[1:2], v[9:10]
	v_mul_f64_e32 v[15:16], v[3:4], v[9:10]
	s_delay_alu instid0(VALU_DEP_2) | instskip(NEXT) | instid1(VALU_DEP_2)
	v_fma_f64 v[9:10], v[3:4], v[7:8], -v[11:12]
	v_fma_f64 v[11:12], v[1:2], v[7:8], v[15:16]
	scratch_store_b128 off, v[9:12], off offset:352
.LBB98_99:
	s_wait_alu 0xfffe
	s_or_b32 exec_lo, exec_lo, s0
	s_wait_loadcnt 0x0
	s_wait_storecnt 0x0
	s_barrier_signal -1
	s_barrier_wait -1
	global_inv scope:SCOPE_SE
	scratch_load_b128 v[1:4], off, s18
	s_mov_b32 s0, exec_lo
	s_wait_loadcnt 0x0
	ds_store_b128 v5, v[1:4]
	s_wait_dscnt 0x0
	s_barrier_signal -1
	s_barrier_wait -1
	global_inv scope:SCOPE_SE
	v_cmpx_gt_u32_e32 22, v0
	s_cbranch_execz .LBB98_103
; %bb.100:
	v_dual_mov_b32 v1, 0 :: v_dual_add_nc_u32 v8, 0x230, v13
	v_mov_b32_e32 v3, 0
	v_dual_mov_b32 v2, 0 :: v_dual_add_nc_u32 v7, -1, v0
	v_mov_b32_e32 v4, 0
	v_or_b32_e32 v9, 8, v14
	s_mov_b32 s1, 0
.LBB98_101:                             ; =>This Inner Loop Header: Depth=1
	scratch_load_b128 v[15:18], v9, off offset:-8
	ds_load_b128 v[19:22], v8
	v_add_nc_u32_e32 v7, 1, v7
	v_add_nc_u32_e32 v8, 16, v8
	v_add_nc_u32_e32 v9, 16, v9
	s_delay_alu instid0(VALU_DEP_3)
	v_cmp_lt_u32_e32 vcc_lo, 20, v7
	s_wait_alu 0xfffe
	s_or_b32 s1, vcc_lo, s1
	s_wait_loadcnt_dscnt 0x0
	v_mul_f64_e32 v[10:11], v[21:22], v[17:18]
	v_mul_f64_e32 v[17:18], v[19:20], v[17:18]
	s_delay_alu instid0(VALU_DEP_2) | instskip(NEXT) | instid1(VALU_DEP_2)
	v_fma_f64 v[10:11], v[19:20], v[15:16], -v[10:11]
	v_fma_f64 v[15:16], v[21:22], v[15:16], v[17:18]
	s_delay_alu instid0(VALU_DEP_2) | instskip(NEXT) | instid1(VALU_DEP_2)
	v_add_f64_e32 v[3:4], v[3:4], v[10:11]
	v_add_f64_e32 v[1:2], v[1:2], v[15:16]
	s_wait_alu 0xfffe
	s_and_not1_b32 exec_lo, exec_lo, s1
	s_cbranch_execnz .LBB98_101
; %bb.102:
	s_or_b32 exec_lo, exec_lo, s1
	v_mov_b32_e32 v7, 0
	ds_load_b128 v[7:10], v7 offset:352
	s_wait_dscnt 0x0
	v_mul_f64_e32 v[11:12], v[1:2], v[9:10]
	v_mul_f64_e32 v[15:16], v[3:4], v[9:10]
	s_delay_alu instid0(VALU_DEP_2) | instskip(NEXT) | instid1(VALU_DEP_2)
	v_fma_f64 v[9:10], v[3:4], v[7:8], -v[11:12]
	v_fma_f64 v[11:12], v[1:2], v[7:8], v[15:16]
	scratch_store_b128 off, v[9:12], off offset:368
.LBB98_103:
	s_wait_alu 0xfffe
	s_or_b32 exec_lo, exec_lo, s0
	s_wait_loadcnt 0x0
	s_wait_storecnt 0x0
	s_barrier_signal -1
	s_barrier_wait -1
	global_inv scope:SCOPE_SE
	scratch_load_b128 v[1:4], off, s36
	s_mov_b32 s0, exec_lo
	s_wait_loadcnt 0x0
	ds_store_b128 v5, v[1:4]
	s_wait_dscnt 0x0
	s_barrier_signal -1
	s_barrier_wait -1
	global_inv scope:SCOPE_SE
	v_cmpx_gt_u32_e32 23, v0
	s_cbranch_execz .LBB98_107
; %bb.104:
	v_dual_mov_b32 v1, 0 :: v_dual_add_nc_u32 v8, 0x230, v13
	v_mov_b32_e32 v3, 0
	v_dual_mov_b32 v2, 0 :: v_dual_add_nc_u32 v7, -1, v0
	v_mov_b32_e32 v4, 0
	v_or_b32_e32 v9, 8, v14
	s_mov_b32 s1, 0
.LBB98_105:                             ; =>This Inner Loop Header: Depth=1
	scratch_load_b128 v[15:18], v9, off offset:-8
	ds_load_b128 v[19:22], v8
	v_add_nc_u32_e32 v7, 1, v7
	v_add_nc_u32_e32 v8, 16, v8
	v_add_nc_u32_e32 v9, 16, v9
	s_delay_alu instid0(VALU_DEP_3)
	v_cmp_lt_u32_e32 vcc_lo, 21, v7
	s_wait_alu 0xfffe
	s_or_b32 s1, vcc_lo, s1
	s_wait_loadcnt_dscnt 0x0
	v_mul_f64_e32 v[10:11], v[21:22], v[17:18]
	v_mul_f64_e32 v[17:18], v[19:20], v[17:18]
	s_delay_alu instid0(VALU_DEP_2) | instskip(NEXT) | instid1(VALU_DEP_2)
	v_fma_f64 v[10:11], v[19:20], v[15:16], -v[10:11]
	v_fma_f64 v[15:16], v[21:22], v[15:16], v[17:18]
	s_delay_alu instid0(VALU_DEP_2) | instskip(NEXT) | instid1(VALU_DEP_2)
	v_add_f64_e32 v[3:4], v[3:4], v[10:11]
	v_add_f64_e32 v[1:2], v[1:2], v[15:16]
	s_wait_alu 0xfffe
	s_and_not1_b32 exec_lo, exec_lo, s1
	s_cbranch_execnz .LBB98_105
; %bb.106:
	s_or_b32 exec_lo, exec_lo, s1
	v_mov_b32_e32 v7, 0
	ds_load_b128 v[7:10], v7 offset:368
	s_wait_dscnt 0x0
	v_mul_f64_e32 v[11:12], v[1:2], v[9:10]
	v_mul_f64_e32 v[15:16], v[3:4], v[9:10]
	s_delay_alu instid0(VALU_DEP_2) | instskip(NEXT) | instid1(VALU_DEP_2)
	v_fma_f64 v[9:10], v[3:4], v[7:8], -v[11:12]
	v_fma_f64 v[11:12], v[1:2], v[7:8], v[15:16]
	scratch_store_b128 off, v[9:12], off offset:384
.LBB98_107:
	s_wait_alu 0xfffe
	s_or_b32 exec_lo, exec_lo, s0
	s_wait_loadcnt 0x0
	s_wait_storecnt 0x0
	s_barrier_signal -1
	s_barrier_wait -1
	global_inv scope:SCOPE_SE
	scratch_load_b128 v[1:4], off, s19
	s_mov_b32 s0, exec_lo
	s_wait_loadcnt 0x0
	ds_store_b128 v5, v[1:4]
	s_wait_dscnt 0x0
	s_barrier_signal -1
	s_barrier_wait -1
	global_inv scope:SCOPE_SE
	v_cmpx_gt_u32_e32 24, v0
	s_cbranch_execz .LBB98_111
; %bb.108:
	v_dual_mov_b32 v1, 0 :: v_dual_add_nc_u32 v8, 0x230, v13
	v_mov_b32_e32 v3, 0
	v_dual_mov_b32 v2, 0 :: v_dual_add_nc_u32 v7, -1, v0
	v_mov_b32_e32 v4, 0
	v_or_b32_e32 v9, 8, v14
	s_mov_b32 s1, 0
.LBB98_109:                             ; =>This Inner Loop Header: Depth=1
	scratch_load_b128 v[15:18], v9, off offset:-8
	ds_load_b128 v[19:22], v8
	v_add_nc_u32_e32 v7, 1, v7
	v_add_nc_u32_e32 v8, 16, v8
	v_add_nc_u32_e32 v9, 16, v9
	s_delay_alu instid0(VALU_DEP_3)
	v_cmp_lt_u32_e32 vcc_lo, 22, v7
	s_wait_alu 0xfffe
	s_or_b32 s1, vcc_lo, s1
	s_wait_loadcnt_dscnt 0x0
	v_mul_f64_e32 v[10:11], v[21:22], v[17:18]
	v_mul_f64_e32 v[17:18], v[19:20], v[17:18]
	s_delay_alu instid0(VALU_DEP_2) | instskip(NEXT) | instid1(VALU_DEP_2)
	v_fma_f64 v[10:11], v[19:20], v[15:16], -v[10:11]
	v_fma_f64 v[15:16], v[21:22], v[15:16], v[17:18]
	s_delay_alu instid0(VALU_DEP_2) | instskip(NEXT) | instid1(VALU_DEP_2)
	v_add_f64_e32 v[3:4], v[3:4], v[10:11]
	v_add_f64_e32 v[1:2], v[1:2], v[15:16]
	s_wait_alu 0xfffe
	s_and_not1_b32 exec_lo, exec_lo, s1
	s_cbranch_execnz .LBB98_109
; %bb.110:
	s_or_b32 exec_lo, exec_lo, s1
	v_mov_b32_e32 v7, 0
	ds_load_b128 v[7:10], v7 offset:384
	s_wait_dscnt 0x0
	v_mul_f64_e32 v[11:12], v[1:2], v[9:10]
	v_mul_f64_e32 v[15:16], v[3:4], v[9:10]
	s_delay_alu instid0(VALU_DEP_2) | instskip(NEXT) | instid1(VALU_DEP_2)
	v_fma_f64 v[9:10], v[3:4], v[7:8], -v[11:12]
	v_fma_f64 v[11:12], v[1:2], v[7:8], v[15:16]
	scratch_store_b128 off, v[9:12], off offset:400
.LBB98_111:
	s_wait_alu 0xfffe
	s_or_b32 exec_lo, exec_lo, s0
	s_wait_loadcnt 0x0
	s_wait_storecnt 0x0
	s_barrier_signal -1
	s_barrier_wait -1
	global_inv scope:SCOPE_SE
	scratch_load_b128 v[1:4], off, s37
	s_mov_b32 s0, exec_lo
	s_wait_loadcnt 0x0
	ds_store_b128 v5, v[1:4]
	s_wait_dscnt 0x0
	s_barrier_signal -1
	s_barrier_wait -1
	global_inv scope:SCOPE_SE
	v_cmpx_gt_u32_e32 25, v0
	s_cbranch_execz .LBB98_115
; %bb.112:
	v_dual_mov_b32 v1, 0 :: v_dual_add_nc_u32 v8, 0x230, v13
	v_mov_b32_e32 v3, 0
	v_dual_mov_b32 v2, 0 :: v_dual_add_nc_u32 v7, -1, v0
	v_mov_b32_e32 v4, 0
	v_or_b32_e32 v9, 8, v14
	s_mov_b32 s1, 0
.LBB98_113:                             ; =>This Inner Loop Header: Depth=1
	scratch_load_b128 v[15:18], v9, off offset:-8
	ds_load_b128 v[19:22], v8
	v_add_nc_u32_e32 v7, 1, v7
	v_add_nc_u32_e32 v8, 16, v8
	v_add_nc_u32_e32 v9, 16, v9
	s_delay_alu instid0(VALU_DEP_3)
	v_cmp_lt_u32_e32 vcc_lo, 23, v7
	s_wait_alu 0xfffe
	s_or_b32 s1, vcc_lo, s1
	s_wait_loadcnt_dscnt 0x0
	v_mul_f64_e32 v[10:11], v[21:22], v[17:18]
	v_mul_f64_e32 v[17:18], v[19:20], v[17:18]
	s_delay_alu instid0(VALU_DEP_2) | instskip(NEXT) | instid1(VALU_DEP_2)
	v_fma_f64 v[10:11], v[19:20], v[15:16], -v[10:11]
	v_fma_f64 v[15:16], v[21:22], v[15:16], v[17:18]
	s_delay_alu instid0(VALU_DEP_2) | instskip(NEXT) | instid1(VALU_DEP_2)
	v_add_f64_e32 v[3:4], v[3:4], v[10:11]
	v_add_f64_e32 v[1:2], v[1:2], v[15:16]
	s_wait_alu 0xfffe
	s_and_not1_b32 exec_lo, exec_lo, s1
	s_cbranch_execnz .LBB98_113
; %bb.114:
	s_or_b32 exec_lo, exec_lo, s1
	v_mov_b32_e32 v7, 0
	ds_load_b128 v[7:10], v7 offset:400
	s_wait_dscnt 0x0
	v_mul_f64_e32 v[11:12], v[1:2], v[9:10]
	v_mul_f64_e32 v[15:16], v[3:4], v[9:10]
	s_delay_alu instid0(VALU_DEP_2) | instskip(NEXT) | instid1(VALU_DEP_2)
	v_fma_f64 v[9:10], v[3:4], v[7:8], -v[11:12]
	v_fma_f64 v[11:12], v[1:2], v[7:8], v[15:16]
	scratch_store_b128 off, v[9:12], off offset:416
.LBB98_115:
	s_wait_alu 0xfffe
	s_or_b32 exec_lo, exec_lo, s0
	s_wait_loadcnt 0x0
	s_wait_storecnt 0x0
	s_barrier_signal -1
	s_barrier_wait -1
	global_inv scope:SCOPE_SE
	scratch_load_b128 v[1:4], off, s20
	s_mov_b32 s0, exec_lo
	s_wait_loadcnt 0x0
	ds_store_b128 v5, v[1:4]
	s_wait_dscnt 0x0
	s_barrier_signal -1
	s_barrier_wait -1
	global_inv scope:SCOPE_SE
	v_cmpx_gt_u32_e32 26, v0
	s_cbranch_execz .LBB98_119
; %bb.116:
	v_dual_mov_b32 v1, 0 :: v_dual_add_nc_u32 v8, 0x230, v13
	v_mov_b32_e32 v3, 0
	v_dual_mov_b32 v2, 0 :: v_dual_add_nc_u32 v7, -1, v0
	v_mov_b32_e32 v4, 0
	v_or_b32_e32 v9, 8, v14
	s_mov_b32 s1, 0
.LBB98_117:                             ; =>This Inner Loop Header: Depth=1
	scratch_load_b128 v[15:18], v9, off offset:-8
	ds_load_b128 v[19:22], v8
	v_add_nc_u32_e32 v7, 1, v7
	v_add_nc_u32_e32 v8, 16, v8
	v_add_nc_u32_e32 v9, 16, v9
	s_delay_alu instid0(VALU_DEP_3)
	v_cmp_lt_u32_e32 vcc_lo, 24, v7
	s_wait_alu 0xfffe
	s_or_b32 s1, vcc_lo, s1
	s_wait_loadcnt_dscnt 0x0
	v_mul_f64_e32 v[10:11], v[21:22], v[17:18]
	v_mul_f64_e32 v[17:18], v[19:20], v[17:18]
	s_delay_alu instid0(VALU_DEP_2) | instskip(NEXT) | instid1(VALU_DEP_2)
	v_fma_f64 v[10:11], v[19:20], v[15:16], -v[10:11]
	v_fma_f64 v[15:16], v[21:22], v[15:16], v[17:18]
	s_delay_alu instid0(VALU_DEP_2) | instskip(NEXT) | instid1(VALU_DEP_2)
	v_add_f64_e32 v[3:4], v[3:4], v[10:11]
	v_add_f64_e32 v[1:2], v[1:2], v[15:16]
	s_wait_alu 0xfffe
	s_and_not1_b32 exec_lo, exec_lo, s1
	s_cbranch_execnz .LBB98_117
; %bb.118:
	s_or_b32 exec_lo, exec_lo, s1
	v_mov_b32_e32 v7, 0
	ds_load_b128 v[7:10], v7 offset:416
	s_wait_dscnt 0x0
	v_mul_f64_e32 v[11:12], v[1:2], v[9:10]
	v_mul_f64_e32 v[15:16], v[3:4], v[9:10]
	s_delay_alu instid0(VALU_DEP_2) | instskip(NEXT) | instid1(VALU_DEP_2)
	v_fma_f64 v[9:10], v[3:4], v[7:8], -v[11:12]
	v_fma_f64 v[11:12], v[1:2], v[7:8], v[15:16]
	scratch_store_b128 off, v[9:12], off offset:432
.LBB98_119:
	s_wait_alu 0xfffe
	s_or_b32 exec_lo, exec_lo, s0
	s_wait_loadcnt 0x0
	s_wait_storecnt 0x0
	s_barrier_signal -1
	s_barrier_wait -1
	global_inv scope:SCOPE_SE
	scratch_load_b128 v[1:4], off, s38
	s_mov_b32 s0, exec_lo
	s_wait_loadcnt 0x0
	ds_store_b128 v5, v[1:4]
	s_wait_dscnt 0x0
	s_barrier_signal -1
	s_barrier_wait -1
	global_inv scope:SCOPE_SE
	v_cmpx_gt_u32_e32 27, v0
	s_cbranch_execz .LBB98_123
; %bb.120:
	v_dual_mov_b32 v1, 0 :: v_dual_add_nc_u32 v8, 0x230, v13
	v_mov_b32_e32 v3, 0
	v_dual_mov_b32 v2, 0 :: v_dual_add_nc_u32 v7, -1, v0
	v_mov_b32_e32 v4, 0
	v_or_b32_e32 v9, 8, v14
	s_mov_b32 s1, 0
.LBB98_121:                             ; =>This Inner Loop Header: Depth=1
	scratch_load_b128 v[15:18], v9, off offset:-8
	ds_load_b128 v[19:22], v8
	v_add_nc_u32_e32 v7, 1, v7
	v_add_nc_u32_e32 v8, 16, v8
	v_add_nc_u32_e32 v9, 16, v9
	s_delay_alu instid0(VALU_DEP_3)
	v_cmp_lt_u32_e32 vcc_lo, 25, v7
	s_wait_alu 0xfffe
	s_or_b32 s1, vcc_lo, s1
	s_wait_loadcnt_dscnt 0x0
	v_mul_f64_e32 v[10:11], v[21:22], v[17:18]
	v_mul_f64_e32 v[17:18], v[19:20], v[17:18]
	s_delay_alu instid0(VALU_DEP_2) | instskip(NEXT) | instid1(VALU_DEP_2)
	v_fma_f64 v[10:11], v[19:20], v[15:16], -v[10:11]
	v_fma_f64 v[15:16], v[21:22], v[15:16], v[17:18]
	s_delay_alu instid0(VALU_DEP_2) | instskip(NEXT) | instid1(VALU_DEP_2)
	v_add_f64_e32 v[3:4], v[3:4], v[10:11]
	v_add_f64_e32 v[1:2], v[1:2], v[15:16]
	s_wait_alu 0xfffe
	s_and_not1_b32 exec_lo, exec_lo, s1
	s_cbranch_execnz .LBB98_121
; %bb.122:
	s_or_b32 exec_lo, exec_lo, s1
	v_mov_b32_e32 v7, 0
	ds_load_b128 v[7:10], v7 offset:432
	s_wait_dscnt 0x0
	v_mul_f64_e32 v[11:12], v[1:2], v[9:10]
	v_mul_f64_e32 v[15:16], v[3:4], v[9:10]
	s_delay_alu instid0(VALU_DEP_2) | instskip(NEXT) | instid1(VALU_DEP_2)
	v_fma_f64 v[9:10], v[3:4], v[7:8], -v[11:12]
	v_fma_f64 v[11:12], v[1:2], v[7:8], v[15:16]
	scratch_store_b128 off, v[9:12], off offset:448
.LBB98_123:
	s_wait_alu 0xfffe
	s_or_b32 exec_lo, exec_lo, s0
	s_wait_loadcnt 0x0
	s_wait_storecnt 0x0
	s_barrier_signal -1
	s_barrier_wait -1
	global_inv scope:SCOPE_SE
	scratch_load_b128 v[1:4], off, s21
	s_mov_b32 s0, exec_lo
	s_wait_loadcnt 0x0
	ds_store_b128 v5, v[1:4]
	s_wait_dscnt 0x0
	s_barrier_signal -1
	s_barrier_wait -1
	global_inv scope:SCOPE_SE
	v_cmpx_gt_u32_e32 28, v0
	s_cbranch_execz .LBB98_127
; %bb.124:
	v_dual_mov_b32 v1, 0 :: v_dual_add_nc_u32 v8, 0x230, v13
	v_mov_b32_e32 v3, 0
	v_dual_mov_b32 v2, 0 :: v_dual_add_nc_u32 v7, -1, v0
	v_mov_b32_e32 v4, 0
	v_or_b32_e32 v9, 8, v14
	s_mov_b32 s1, 0
.LBB98_125:                             ; =>This Inner Loop Header: Depth=1
	scratch_load_b128 v[15:18], v9, off offset:-8
	ds_load_b128 v[19:22], v8
	v_add_nc_u32_e32 v7, 1, v7
	v_add_nc_u32_e32 v8, 16, v8
	v_add_nc_u32_e32 v9, 16, v9
	s_delay_alu instid0(VALU_DEP_3)
	v_cmp_lt_u32_e32 vcc_lo, 26, v7
	s_wait_alu 0xfffe
	s_or_b32 s1, vcc_lo, s1
	s_wait_loadcnt_dscnt 0x0
	v_mul_f64_e32 v[10:11], v[21:22], v[17:18]
	v_mul_f64_e32 v[17:18], v[19:20], v[17:18]
	s_delay_alu instid0(VALU_DEP_2) | instskip(NEXT) | instid1(VALU_DEP_2)
	v_fma_f64 v[10:11], v[19:20], v[15:16], -v[10:11]
	v_fma_f64 v[15:16], v[21:22], v[15:16], v[17:18]
	s_delay_alu instid0(VALU_DEP_2) | instskip(NEXT) | instid1(VALU_DEP_2)
	v_add_f64_e32 v[3:4], v[3:4], v[10:11]
	v_add_f64_e32 v[1:2], v[1:2], v[15:16]
	s_wait_alu 0xfffe
	s_and_not1_b32 exec_lo, exec_lo, s1
	s_cbranch_execnz .LBB98_125
; %bb.126:
	s_or_b32 exec_lo, exec_lo, s1
	v_mov_b32_e32 v7, 0
	ds_load_b128 v[7:10], v7 offset:448
	s_wait_dscnt 0x0
	v_mul_f64_e32 v[11:12], v[1:2], v[9:10]
	v_mul_f64_e32 v[15:16], v[3:4], v[9:10]
	s_delay_alu instid0(VALU_DEP_2) | instskip(NEXT) | instid1(VALU_DEP_2)
	v_fma_f64 v[9:10], v[3:4], v[7:8], -v[11:12]
	v_fma_f64 v[11:12], v[1:2], v[7:8], v[15:16]
	scratch_store_b128 off, v[9:12], off offset:464
.LBB98_127:
	s_wait_alu 0xfffe
	s_or_b32 exec_lo, exec_lo, s0
	s_wait_loadcnt 0x0
	s_wait_storecnt 0x0
	s_barrier_signal -1
	s_barrier_wait -1
	global_inv scope:SCOPE_SE
	scratch_load_b128 v[1:4], off, s39
	s_mov_b32 s0, exec_lo
	s_wait_loadcnt 0x0
	ds_store_b128 v5, v[1:4]
	s_wait_dscnt 0x0
	s_barrier_signal -1
	s_barrier_wait -1
	global_inv scope:SCOPE_SE
	v_cmpx_gt_u32_e32 29, v0
	s_cbranch_execz .LBB98_131
; %bb.128:
	v_dual_mov_b32 v1, 0 :: v_dual_add_nc_u32 v8, 0x230, v13
	v_mov_b32_e32 v3, 0
	v_dual_mov_b32 v2, 0 :: v_dual_add_nc_u32 v7, -1, v0
	v_mov_b32_e32 v4, 0
	v_or_b32_e32 v9, 8, v14
	s_mov_b32 s1, 0
.LBB98_129:                             ; =>This Inner Loop Header: Depth=1
	scratch_load_b128 v[15:18], v9, off offset:-8
	ds_load_b128 v[19:22], v8
	v_add_nc_u32_e32 v7, 1, v7
	v_add_nc_u32_e32 v8, 16, v8
	v_add_nc_u32_e32 v9, 16, v9
	s_delay_alu instid0(VALU_DEP_3)
	v_cmp_lt_u32_e32 vcc_lo, 27, v7
	s_wait_alu 0xfffe
	s_or_b32 s1, vcc_lo, s1
	s_wait_loadcnt_dscnt 0x0
	v_mul_f64_e32 v[10:11], v[21:22], v[17:18]
	v_mul_f64_e32 v[17:18], v[19:20], v[17:18]
	s_delay_alu instid0(VALU_DEP_2) | instskip(NEXT) | instid1(VALU_DEP_2)
	v_fma_f64 v[10:11], v[19:20], v[15:16], -v[10:11]
	v_fma_f64 v[15:16], v[21:22], v[15:16], v[17:18]
	s_delay_alu instid0(VALU_DEP_2) | instskip(NEXT) | instid1(VALU_DEP_2)
	v_add_f64_e32 v[3:4], v[3:4], v[10:11]
	v_add_f64_e32 v[1:2], v[1:2], v[15:16]
	s_wait_alu 0xfffe
	s_and_not1_b32 exec_lo, exec_lo, s1
	s_cbranch_execnz .LBB98_129
; %bb.130:
	s_or_b32 exec_lo, exec_lo, s1
	v_mov_b32_e32 v7, 0
	ds_load_b128 v[7:10], v7 offset:464
	s_wait_dscnt 0x0
	v_mul_f64_e32 v[11:12], v[1:2], v[9:10]
	v_mul_f64_e32 v[15:16], v[3:4], v[9:10]
	s_delay_alu instid0(VALU_DEP_2) | instskip(NEXT) | instid1(VALU_DEP_2)
	v_fma_f64 v[9:10], v[3:4], v[7:8], -v[11:12]
	v_fma_f64 v[11:12], v[1:2], v[7:8], v[15:16]
	scratch_store_b128 off, v[9:12], off offset:480
.LBB98_131:
	s_wait_alu 0xfffe
	s_or_b32 exec_lo, exec_lo, s0
	s_wait_loadcnt 0x0
	s_wait_storecnt 0x0
	s_barrier_signal -1
	s_barrier_wait -1
	global_inv scope:SCOPE_SE
	scratch_load_b128 v[1:4], off, s22
	s_mov_b32 s0, exec_lo
	s_wait_loadcnt 0x0
	ds_store_b128 v5, v[1:4]
	s_wait_dscnt 0x0
	s_barrier_signal -1
	s_barrier_wait -1
	global_inv scope:SCOPE_SE
	v_cmpx_gt_u32_e32 30, v0
	s_cbranch_execz .LBB98_135
; %bb.132:
	v_dual_mov_b32 v1, 0 :: v_dual_add_nc_u32 v8, 0x230, v13
	v_mov_b32_e32 v3, 0
	v_dual_mov_b32 v2, 0 :: v_dual_add_nc_u32 v7, -1, v0
	v_mov_b32_e32 v4, 0
	v_or_b32_e32 v9, 8, v14
	s_mov_b32 s1, 0
.LBB98_133:                             ; =>This Inner Loop Header: Depth=1
	scratch_load_b128 v[15:18], v9, off offset:-8
	ds_load_b128 v[19:22], v8
	v_add_nc_u32_e32 v7, 1, v7
	v_add_nc_u32_e32 v8, 16, v8
	v_add_nc_u32_e32 v9, 16, v9
	s_delay_alu instid0(VALU_DEP_3)
	v_cmp_lt_u32_e32 vcc_lo, 28, v7
	s_wait_alu 0xfffe
	s_or_b32 s1, vcc_lo, s1
	s_wait_loadcnt_dscnt 0x0
	v_mul_f64_e32 v[10:11], v[21:22], v[17:18]
	v_mul_f64_e32 v[17:18], v[19:20], v[17:18]
	s_delay_alu instid0(VALU_DEP_2) | instskip(NEXT) | instid1(VALU_DEP_2)
	v_fma_f64 v[10:11], v[19:20], v[15:16], -v[10:11]
	v_fma_f64 v[15:16], v[21:22], v[15:16], v[17:18]
	s_delay_alu instid0(VALU_DEP_2) | instskip(NEXT) | instid1(VALU_DEP_2)
	v_add_f64_e32 v[3:4], v[3:4], v[10:11]
	v_add_f64_e32 v[1:2], v[1:2], v[15:16]
	s_wait_alu 0xfffe
	s_and_not1_b32 exec_lo, exec_lo, s1
	s_cbranch_execnz .LBB98_133
; %bb.134:
	s_or_b32 exec_lo, exec_lo, s1
	v_mov_b32_e32 v7, 0
	ds_load_b128 v[7:10], v7 offset:480
	s_wait_dscnt 0x0
	v_mul_f64_e32 v[11:12], v[1:2], v[9:10]
	v_mul_f64_e32 v[15:16], v[3:4], v[9:10]
	s_delay_alu instid0(VALU_DEP_2) | instskip(NEXT) | instid1(VALU_DEP_2)
	v_fma_f64 v[9:10], v[3:4], v[7:8], -v[11:12]
	v_fma_f64 v[11:12], v[1:2], v[7:8], v[15:16]
	scratch_store_b128 off, v[9:12], off offset:496
.LBB98_135:
	s_wait_alu 0xfffe
	s_or_b32 exec_lo, exec_lo, s0
	s_wait_loadcnt 0x0
	s_wait_storecnt 0x0
	s_barrier_signal -1
	s_barrier_wait -1
	global_inv scope:SCOPE_SE
	scratch_load_b128 v[1:4], off, s40
	s_mov_b32 s0, exec_lo
	s_wait_loadcnt 0x0
	ds_store_b128 v5, v[1:4]
	s_wait_dscnt 0x0
	s_barrier_signal -1
	s_barrier_wait -1
	global_inv scope:SCOPE_SE
	v_cmpx_gt_u32_e32 31, v0
	s_cbranch_execz .LBB98_139
; %bb.136:
	v_dual_mov_b32 v1, 0 :: v_dual_add_nc_u32 v8, 0x230, v13
	v_mov_b32_e32 v3, 0
	v_dual_mov_b32 v2, 0 :: v_dual_add_nc_u32 v7, -1, v0
	v_mov_b32_e32 v4, 0
	v_or_b32_e32 v9, 8, v14
	s_mov_b32 s1, 0
.LBB98_137:                             ; =>This Inner Loop Header: Depth=1
	scratch_load_b128 v[15:18], v9, off offset:-8
	ds_load_b128 v[19:22], v8
	v_add_nc_u32_e32 v7, 1, v7
	v_add_nc_u32_e32 v8, 16, v8
	v_add_nc_u32_e32 v9, 16, v9
	s_delay_alu instid0(VALU_DEP_3)
	v_cmp_lt_u32_e32 vcc_lo, 29, v7
	s_wait_alu 0xfffe
	s_or_b32 s1, vcc_lo, s1
	s_wait_loadcnt_dscnt 0x0
	v_mul_f64_e32 v[10:11], v[21:22], v[17:18]
	v_mul_f64_e32 v[17:18], v[19:20], v[17:18]
	s_delay_alu instid0(VALU_DEP_2) | instskip(NEXT) | instid1(VALU_DEP_2)
	v_fma_f64 v[10:11], v[19:20], v[15:16], -v[10:11]
	v_fma_f64 v[15:16], v[21:22], v[15:16], v[17:18]
	s_delay_alu instid0(VALU_DEP_2) | instskip(NEXT) | instid1(VALU_DEP_2)
	v_add_f64_e32 v[3:4], v[3:4], v[10:11]
	v_add_f64_e32 v[1:2], v[1:2], v[15:16]
	s_wait_alu 0xfffe
	s_and_not1_b32 exec_lo, exec_lo, s1
	s_cbranch_execnz .LBB98_137
; %bb.138:
	s_or_b32 exec_lo, exec_lo, s1
	v_mov_b32_e32 v7, 0
	ds_load_b128 v[7:10], v7 offset:496
	s_wait_dscnt 0x0
	v_mul_f64_e32 v[11:12], v[1:2], v[9:10]
	v_mul_f64_e32 v[15:16], v[3:4], v[9:10]
	s_delay_alu instid0(VALU_DEP_2) | instskip(NEXT) | instid1(VALU_DEP_2)
	v_fma_f64 v[9:10], v[3:4], v[7:8], -v[11:12]
	v_fma_f64 v[11:12], v[1:2], v[7:8], v[15:16]
	scratch_store_b128 off, v[9:12], off offset:512
.LBB98_139:
	s_wait_alu 0xfffe
	s_or_b32 exec_lo, exec_lo, s0
	s_wait_loadcnt 0x0
	s_wait_storecnt 0x0
	s_barrier_signal -1
	s_barrier_wait -1
	global_inv scope:SCOPE_SE
	scratch_load_b128 v[1:4], off, s23
	s_mov_b32 s0, exec_lo
	s_wait_loadcnt 0x0
	ds_store_b128 v5, v[1:4]
	s_wait_dscnt 0x0
	s_barrier_signal -1
	s_barrier_wait -1
	global_inv scope:SCOPE_SE
	v_cmpx_gt_u32_e32 32, v0
	s_cbranch_execz .LBB98_143
; %bb.140:
	v_dual_mov_b32 v1, 0 :: v_dual_add_nc_u32 v8, 0x230, v13
	v_mov_b32_e32 v3, 0
	v_dual_mov_b32 v2, 0 :: v_dual_add_nc_u32 v7, -1, v0
	v_mov_b32_e32 v4, 0
	v_or_b32_e32 v9, 8, v14
	s_mov_b32 s1, 0
.LBB98_141:                             ; =>This Inner Loop Header: Depth=1
	scratch_load_b128 v[15:18], v9, off offset:-8
	ds_load_b128 v[19:22], v8
	v_add_nc_u32_e32 v7, 1, v7
	v_add_nc_u32_e32 v8, 16, v8
	v_add_nc_u32_e32 v9, 16, v9
	s_delay_alu instid0(VALU_DEP_3)
	v_cmp_lt_u32_e32 vcc_lo, 30, v7
	s_wait_alu 0xfffe
	s_or_b32 s1, vcc_lo, s1
	s_wait_loadcnt_dscnt 0x0
	v_mul_f64_e32 v[10:11], v[21:22], v[17:18]
	v_mul_f64_e32 v[17:18], v[19:20], v[17:18]
	s_delay_alu instid0(VALU_DEP_2) | instskip(NEXT) | instid1(VALU_DEP_2)
	v_fma_f64 v[10:11], v[19:20], v[15:16], -v[10:11]
	v_fma_f64 v[15:16], v[21:22], v[15:16], v[17:18]
	s_delay_alu instid0(VALU_DEP_2) | instskip(NEXT) | instid1(VALU_DEP_2)
	v_add_f64_e32 v[3:4], v[3:4], v[10:11]
	v_add_f64_e32 v[1:2], v[1:2], v[15:16]
	s_wait_alu 0xfffe
	s_and_not1_b32 exec_lo, exec_lo, s1
	s_cbranch_execnz .LBB98_141
; %bb.142:
	s_or_b32 exec_lo, exec_lo, s1
	v_mov_b32_e32 v7, 0
	ds_load_b128 v[7:10], v7 offset:512
	s_wait_dscnt 0x0
	v_mul_f64_e32 v[11:12], v[1:2], v[9:10]
	v_mul_f64_e32 v[15:16], v[3:4], v[9:10]
	s_delay_alu instid0(VALU_DEP_2) | instskip(NEXT) | instid1(VALU_DEP_2)
	v_fma_f64 v[9:10], v[3:4], v[7:8], -v[11:12]
	v_fma_f64 v[11:12], v[1:2], v[7:8], v[15:16]
	scratch_store_b128 off, v[9:12], off offset:528
.LBB98_143:
	s_wait_alu 0xfffe
	s_or_b32 exec_lo, exec_lo, s0
	s_wait_loadcnt 0x0
	s_wait_storecnt 0x0
	s_barrier_signal -1
	s_barrier_wait -1
	global_inv scope:SCOPE_SE
	scratch_load_b128 v[1:4], off, s41
	s_mov_b32 s0, exec_lo
	s_wait_loadcnt 0x0
	ds_store_b128 v5, v[1:4]
	s_wait_dscnt 0x0
	s_barrier_signal -1
	s_barrier_wait -1
	global_inv scope:SCOPE_SE
	v_cmpx_gt_u32_e32 33, v0
	s_cbranch_execz .LBB98_147
; %bb.144:
	v_dual_mov_b32 v1, 0 :: v_dual_add_nc_u32 v8, 0x230, v13
	v_mov_b32_e32 v3, 0
	v_dual_mov_b32 v2, 0 :: v_dual_add_nc_u32 v7, -1, v0
	v_mov_b32_e32 v4, 0
	v_or_b32_e32 v9, 8, v14
	s_mov_b32 s1, 0
.LBB98_145:                             ; =>This Inner Loop Header: Depth=1
	scratch_load_b128 v[10:13], v9, off offset:-8
	ds_load_b128 v[15:18], v8
	v_add_nc_u32_e32 v7, 1, v7
	v_add_nc_u32_e32 v8, 16, v8
	v_add_nc_u32_e32 v9, 16, v9
	s_delay_alu instid0(VALU_DEP_3)
	v_cmp_lt_u32_e32 vcc_lo, 31, v7
	s_wait_alu 0xfffe
	s_or_b32 s1, vcc_lo, s1
	s_wait_loadcnt_dscnt 0x0
	v_mul_f64_e32 v[19:20], v[17:18], v[12:13]
	v_mul_f64_e32 v[12:13], v[15:16], v[12:13]
	s_delay_alu instid0(VALU_DEP_2) | instskip(NEXT) | instid1(VALU_DEP_2)
	v_fma_f64 v[15:16], v[15:16], v[10:11], -v[19:20]
	v_fma_f64 v[10:11], v[17:18], v[10:11], v[12:13]
	s_delay_alu instid0(VALU_DEP_2) | instskip(NEXT) | instid1(VALU_DEP_2)
	v_add_f64_e32 v[3:4], v[3:4], v[15:16]
	v_add_f64_e32 v[1:2], v[1:2], v[10:11]
	s_wait_alu 0xfffe
	s_and_not1_b32 exec_lo, exec_lo, s1
	s_cbranch_execnz .LBB98_145
; %bb.146:
	s_or_b32 exec_lo, exec_lo, s1
	v_mov_b32_e32 v7, 0
	ds_load_b128 v[7:10], v7 offset:528
	s_wait_dscnt 0x0
	v_mul_f64_e32 v[11:12], v[1:2], v[9:10]
	v_mul_f64_e32 v[15:16], v[3:4], v[9:10]
	s_delay_alu instid0(VALU_DEP_2) | instskip(NEXT) | instid1(VALU_DEP_2)
	v_fma_f64 v[9:10], v[3:4], v[7:8], -v[11:12]
	v_fma_f64 v[11:12], v[1:2], v[7:8], v[15:16]
	scratch_store_b128 off, v[9:12], off offset:544
.LBB98_147:
	s_wait_alu 0xfffe
	s_or_b32 exec_lo, exec_lo, s0
	s_wait_loadcnt 0x0
	s_wait_storecnt 0x0
	s_barrier_signal -1
	s_barrier_wait -1
	global_inv scope:SCOPE_SE
	scratch_load_b128 v[1:4], off, s24
	s_mov_b32 s0, exec_lo
	s_wait_loadcnt 0x0
	ds_store_b128 v5, v[1:4]
	s_wait_dscnt 0x0
	s_barrier_signal -1
	s_barrier_wait -1
	global_inv scope:SCOPE_SE
	v_cmpx_ne_u32_e32 34, v0
	s_cbranch_execz .LBB98_151
; %bb.148:
	v_mov_b32_e32 v1, 0
	v_dual_mov_b32 v2, 0 :: v_dual_mov_b32 v3, 0
	v_mov_b32_e32 v4, 0
	v_or_b32_e32 v7, 8, v14
	s_mov_b32 s1, 0
.LBB98_149:                             ; =>This Inner Loop Header: Depth=1
	scratch_load_b128 v[8:11], v7, off offset:-8
	ds_load_b128 v[12:15], v5
	v_add_nc_u32_e32 v6, 1, v6
	v_add_nc_u32_e32 v5, 16, v5
	;; [unrolled: 1-line block ×3, first 2 shown]
	s_delay_alu instid0(VALU_DEP_3)
	v_cmp_lt_u32_e32 vcc_lo, 32, v6
	s_wait_alu 0xfffe
	s_or_b32 s1, vcc_lo, s1
	s_wait_loadcnt_dscnt 0x0
	v_mul_f64_e32 v[16:17], v[14:15], v[10:11]
	v_mul_f64_e32 v[10:11], v[12:13], v[10:11]
	s_delay_alu instid0(VALU_DEP_2) | instskip(NEXT) | instid1(VALU_DEP_2)
	v_fma_f64 v[12:13], v[12:13], v[8:9], -v[16:17]
	v_fma_f64 v[8:9], v[14:15], v[8:9], v[10:11]
	s_delay_alu instid0(VALU_DEP_2) | instskip(NEXT) | instid1(VALU_DEP_2)
	v_add_f64_e32 v[3:4], v[3:4], v[12:13]
	v_add_f64_e32 v[1:2], v[1:2], v[8:9]
	s_wait_alu 0xfffe
	s_and_not1_b32 exec_lo, exec_lo, s1
	s_cbranch_execnz .LBB98_149
; %bb.150:
	s_or_b32 exec_lo, exec_lo, s1
	v_mov_b32_e32 v5, 0
	ds_load_b128 v[5:8], v5 offset:544
	s_wait_dscnt 0x0
	v_mul_f64_e32 v[9:10], v[1:2], v[7:8]
	v_mul_f64_e32 v[7:8], v[3:4], v[7:8]
	s_delay_alu instid0(VALU_DEP_2) | instskip(NEXT) | instid1(VALU_DEP_2)
	v_fma_f64 v[3:4], v[3:4], v[5:6], -v[9:10]
	v_fma_f64 v[5:6], v[1:2], v[5:6], v[7:8]
	scratch_store_b128 off, v[3:6], off offset:560
.LBB98_151:
	s_wait_alu 0xfffe
	s_or_b32 exec_lo, exec_lo, s0
	s_mov_b32 s1, -1
	s_wait_loadcnt 0x0
	s_wait_storecnt 0x0
	s_barrier_signal -1
	s_barrier_wait -1
	global_inv scope:SCOPE_SE
.LBB98_152:
	s_wait_alu 0xfffe
	s_and_b32 vcc_lo, exec_lo, s1
	s_wait_alu 0xfffe
	s_cbranch_vccz .LBB98_154
; %bb.153:
	v_mov_b32_e32 v1, 0
	s_lshl_b64 s[0:1], s[8:9], 2
	s_wait_alu 0xfffe
	s_add_nc_u64 s[0:1], s[6:7], s[0:1]
	global_load_b32 v1, v1, s[0:1]
	s_wait_loadcnt 0x0
	v_cmp_ne_u32_e32 vcc_lo, 0, v1
	s_cbranch_vccz .LBB98_155
.LBB98_154:
	s_nop 0
	s_sendmsg sendmsg(MSG_DEALLOC_VGPRS)
	s_endpgm
.LBB98_155:
	v_lshl_add_u32 v26, v0, 4, 0x230
	s_mov_b32 s0, exec_lo
	v_cmpx_eq_u32_e32 34, v0
	s_cbranch_execz .LBB98_157
; %bb.156:
	scratch_load_b128 v[1:4], off, s41
	v_mov_b32_e32 v5, 0
	s_delay_alu instid0(VALU_DEP_1)
	v_dual_mov_b32 v6, v5 :: v_dual_mov_b32 v7, v5
	v_mov_b32_e32 v8, v5
	scratch_store_b128 off, v[5:8], off offset:544
	s_wait_loadcnt 0x0
	ds_store_b128 v26, v[1:4]
.LBB98_157:
	s_wait_alu 0xfffe
	s_or_b32 exec_lo, exec_lo, s0
	s_wait_storecnt_dscnt 0x0
	s_barrier_signal -1
	s_barrier_wait -1
	global_inv scope:SCOPE_SE
	s_clause 0x1
	scratch_load_b128 v[2:5], off, off offset:560
	scratch_load_b128 v[6:9], off, off offset:544
	v_mov_b32_e32 v1, 0
	s_mov_b32 s0, exec_lo
	ds_load_b128 v[10:13], v1 offset:1104
	s_wait_loadcnt_dscnt 0x100
	v_mul_f64_e32 v[14:15], v[12:13], v[4:5]
	v_mul_f64_e32 v[4:5], v[10:11], v[4:5]
	s_delay_alu instid0(VALU_DEP_2) | instskip(NEXT) | instid1(VALU_DEP_2)
	v_fma_f64 v[10:11], v[10:11], v[2:3], -v[14:15]
	v_fma_f64 v[2:3], v[12:13], v[2:3], v[4:5]
	s_delay_alu instid0(VALU_DEP_2) | instskip(NEXT) | instid1(VALU_DEP_2)
	v_add_f64_e32 v[4:5], 0, v[10:11]
	v_add_f64_e32 v[10:11], 0, v[2:3]
	s_wait_loadcnt 0x0
	s_delay_alu instid0(VALU_DEP_2) | instskip(NEXT) | instid1(VALU_DEP_2)
	v_add_f64_e64 v[2:3], v[6:7], -v[4:5]
	v_add_f64_e64 v[4:5], v[8:9], -v[10:11]
	scratch_store_b128 off, v[2:5], off offset:544
	v_cmpx_lt_u32_e32 32, v0
	s_cbranch_execz .LBB98_159
; %bb.158:
	scratch_load_b128 v[5:8], off, s23
	v_dual_mov_b32 v2, v1 :: v_dual_mov_b32 v3, v1
	v_mov_b32_e32 v4, v1
	scratch_store_b128 off, v[1:4], off offset:528
	s_wait_loadcnt 0x0
	ds_store_b128 v26, v[5:8]
.LBB98_159:
	s_wait_alu 0xfffe
	s_or_b32 exec_lo, exec_lo, s0
	s_wait_storecnt_dscnt 0x0
	s_barrier_signal -1
	s_barrier_wait -1
	global_inv scope:SCOPE_SE
	s_clause 0x2
	scratch_load_b128 v[2:5], off, off offset:544
	scratch_load_b128 v[6:9], off, off offset:560
	;; [unrolled: 1-line block ×3, first 2 shown]
	ds_load_b128 v[14:17], v1 offset:1088
	ds_load_b128 v[18:21], v1 offset:1104
	s_mov_b32 s0, exec_lo
	s_wait_loadcnt_dscnt 0x201
	v_mul_f64_e32 v[22:23], v[16:17], v[4:5]
	v_mul_f64_e32 v[4:5], v[14:15], v[4:5]
	s_wait_loadcnt_dscnt 0x100
	v_mul_f64_e32 v[24:25], v[18:19], v[8:9]
	v_mul_f64_e32 v[8:9], v[20:21], v[8:9]
	s_delay_alu instid0(VALU_DEP_4) | instskip(NEXT) | instid1(VALU_DEP_4)
	v_fma_f64 v[14:15], v[14:15], v[2:3], -v[22:23]
	v_fma_f64 v[1:2], v[16:17], v[2:3], v[4:5]
	s_delay_alu instid0(VALU_DEP_4) | instskip(NEXT) | instid1(VALU_DEP_4)
	v_fma_f64 v[3:4], v[20:21], v[6:7], v[24:25]
	v_fma_f64 v[5:6], v[18:19], v[6:7], -v[8:9]
	s_delay_alu instid0(VALU_DEP_4) | instskip(NEXT) | instid1(VALU_DEP_4)
	v_add_f64_e32 v[7:8], 0, v[14:15]
	v_add_f64_e32 v[1:2], 0, v[1:2]
	s_delay_alu instid0(VALU_DEP_2) | instskip(NEXT) | instid1(VALU_DEP_2)
	v_add_f64_e32 v[5:6], v[7:8], v[5:6]
	v_add_f64_e32 v[3:4], v[1:2], v[3:4]
	s_wait_loadcnt 0x0
	s_delay_alu instid0(VALU_DEP_2) | instskip(NEXT) | instid1(VALU_DEP_2)
	v_add_f64_e64 v[1:2], v[10:11], -v[5:6]
	v_add_f64_e64 v[3:4], v[12:13], -v[3:4]
	scratch_store_b128 off, v[1:4], off offset:528
	v_cmpx_lt_u32_e32 31, v0
	s_cbranch_execz .LBB98_161
; %bb.160:
	scratch_load_b128 v[1:4], off, s40
	v_mov_b32_e32 v5, 0
	s_delay_alu instid0(VALU_DEP_1)
	v_dual_mov_b32 v6, v5 :: v_dual_mov_b32 v7, v5
	v_mov_b32_e32 v8, v5
	scratch_store_b128 off, v[5:8], off offset:512
	s_wait_loadcnt 0x0
	ds_store_b128 v26, v[1:4]
.LBB98_161:
	s_wait_alu 0xfffe
	s_or_b32 exec_lo, exec_lo, s0
	s_wait_storecnt_dscnt 0x0
	s_barrier_signal -1
	s_barrier_wait -1
	global_inv scope:SCOPE_SE
	s_clause 0x3
	scratch_load_b128 v[2:5], off, off offset:528
	scratch_load_b128 v[6:9], off, off offset:544
	;; [unrolled: 1-line block ×4, first 2 shown]
	v_mov_b32_e32 v1, 0
	ds_load_b128 v[18:21], v1 offset:1072
	ds_load_b128 v[22:25], v1 offset:1088
	s_mov_b32 s0, exec_lo
	s_wait_loadcnt_dscnt 0x301
	v_mul_f64_e32 v[27:28], v[20:21], v[4:5]
	v_mul_f64_e32 v[4:5], v[18:19], v[4:5]
	s_wait_loadcnt_dscnt 0x200
	v_mul_f64_e32 v[29:30], v[22:23], v[8:9]
	v_mul_f64_e32 v[8:9], v[24:25], v[8:9]
	s_delay_alu instid0(VALU_DEP_4) | instskip(NEXT) | instid1(VALU_DEP_4)
	v_fma_f64 v[18:19], v[18:19], v[2:3], -v[27:28]
	v_fma_f64 v[20:21], v[20:21], v[2:3], v[4:5]
	ds_load_b128 v[2:5], v1 offset:1104
	v_fma_f64 v[24:25], v[24:25], v[6:7], v[29:30]
	v_fma_f64 v[6:7], v[22:23], v[6:7], -v[8:9]
	s_wait_loadcnt_dscnt 0x100
	v_mul_f64_e32 v[27:28], v[2:3], v[12:13]
	v_mul_f64_e32 v[12:13], v[4:5], v[12:13]
	v_add_f64_e32 v[8:9], 0, v[18:19]
	v_add_f64_e32 v[18:19], 0, v[20:21]
	s_delay_alu instid0(VALU_DEP_4) | instskip(NEXT) | instid1(VALU_DEP_4)
	v_fma_f64 v[4:5], v[4:5], v[10:11], v[27:28]
	v_fma_f64 v[2:3], v[2:3], v[10:11], -v[12:13]
	s_delay_alu instid0(VALU_DEP_4) | instskip(NEXT) | instid1(VALU_DEP_4)
	v_add_f64_e32 v[6:7], v[8:9], v[6:7]
	v_add_f64_e32 v[8:9], v[18:19], v[24:25]
	s_delay_alu instid0(VALU_DEP_2) | instskip(NEXT) | instid1(VALU_DEP_2)
	v_add_f64_e32 v[2:3], v[6:7], v[2:3]
	v_add_f64_e32 v[4:5], v[8:9], v[4:5]
	s_wait_loadcnt 0x0
	s_delay_alu instid0(VALU_DEP_2) | instskip(NEXT) | instid1(VALU_DEP_2)
	v_add_f64_e64 v[2:3], v[14:15], -v[2:3]
	v_add_f64_e64 v[4:5], v[16:17], -v[4:5]
	scratch_store_b128 off, v[2:5], off offset:512
	v_cmpx_lt_u32_e32 30, v0
	s_cbranch_execz .LBB98_163
; %bb.162:
	scratch_load_b128 v[5:8], off, s22
	v_dual_mov_b32 v2, v1 :: v_dual_mov_b32 v3, v1
	v_mov_b32_e32 v4, v1
	scratch_store_b128 off, v[1:4], off offset:496
	s_wait_loadcnt 0x0
	ds_store_b128 v26, v[5:8]
.LBB98_163:
	s_wait_alu 0xfffe
	s_or_b32 exec_lo, exec_lo, s0
	s_wait_storecnt_dscnt 0x0
	s_barrier_signal -1
	s_barrier_wait -1
	global_inv scope:SCOPE_SE
	s_clause 0x4
	scratch_load_b128 v[2:5], off, off offset:512
	scratch_load_b128 v[6:9], off, off offset:528
	;; [unrolled: 1-line block ×5, first 2 shown]
	ds_load_b128 v[22:25], v1 offset:1056
	ds_load_b128 v[27:30], v1 offset:1072
	s_mov_b32 s0, exec_lo
	s_wait_loadcnt_dscnt 0x401
	v_mul_f64_e32 v[31:32], v[24:25], v[4:5]
	v_mul_f64_e32 v[4:5], v[22:23], v[4:5]
	s_wait_loadcnt_dscnt 0x300
	v_mul_f64_e32 v[104:105], v[27:28], v[8:9]
	v_mul_f64_e32 v[8:9], v[29:30], v[8:9]
	s_delay_alu instid0(VALU_DEP_4) | instskip(NEXT) | instid1(VALU_DEP_4)
	v_fma_f64 v[31:32], v[22:23], v[2:3], -v[31:32]
	v_fma_f64 v[106:107], v[24:25], v[2:3], v[4:5]
	ds_load_b128 v[2:5], v1 offset:1088
	ds_load_b128 v[22:25], v1 offset:1104
	v_fma_f64 v[29:30], v[29:30], v[6:7], v[104:105]
	v_fma_f64 v[6:7], v[27:28], v[6:7], -v[8:9]
	s_wait_loadcnt_dscnt 0x201
	v_mul_f64_e32 v[108:109], v[2:3], v[12:13]
	v_mul_f64_e32 v[12:13], v[4:5], v[12:13]
	v_add_f64_e32 v[8:9], 0, v[31:32]
	v_add_f64_e32 v[27:28], 0, v[106:107]
	s_wait_loadcnt_dscnt 0x100
	v_mul_f64_e32 v[31:32], v[22:23], v[16:17]
	v_mul_f64_e32 v[16:17], v[24:25], v[16:17]
	v_fma_f64 v[4:5], v[4:5], v[10:11], v[108:109]
	v_fma_f64 v[1:2], v[2:3], v[10:11], -v[12:13]
	v_add_f64_e32 v[6:7], v[8:9], v[6:7]
	v_add_f64_e32 v[8:9], v[27:28], v[29:30]
	v_fma_f64 v[10:11], v[24:25], v[14:15], v[31:32]
	v_fma_f64 v[12:13], v[22:23], v[14:15], -v[16:17]
	s_delay_alu instid0(VALU_DEP_4) | instskip(NEXT) | instid1(VALU_DEP_4)
	v_add_f64_e32 v[1:2], v[6:7], v[1:2]
	v_add_f64_e32 v[3:4], v[8:9], v[4:5]
	s_delay_alu instid0(VALU_DEP_2) | instskip(NEXT) | instid1(VALU_DEP_2)
	v_add_f64_e32 v[1:2], v[1:2], v[12:13]
	v_add_f64_e32 v[3:4], v[3:4], v[10:11]
	s_wait_loadcnt 0x0
	s_delay_alu instid0(VALU_DEP_2) | instskip(NEXT) | instid1(VALU_DEP_2)
	v_add_f64_e64 v[1:2], v[18:19], -v[1:2]
	v_add_f64_e64 v[3:4], v[20:21], -v[3:4]
	scratch_store_b128 off, v[1:4], off offset:496
	v_cmpx_lt_u32_e32 29, v0
	s_cbranch_execz .LBB98_165
; %bb.164:
	scratch_load_b128 v[1:4], off, s39
	v_mov_b32_e32 v5, 0
	s_delay_alu instid0(VALU_DEP_1)
	v_dual_mov_b32 v6, v5 :: v_dual_mov_b32 v7, v5
	v_mov_b32_e32 v8, v5
	scratch_store_b128 off, v[5:8], off offset:480
	s_wait_loadcnt 0x0
	ds_store_b128 v26, v[1:4]
.LBB98_165:
	s_wait_alu 0xfffe
	s_or_b32 exec_lo, exec_lo, s0
	s_wait_storecnt_dscnt 0x0
	s_barrier_signal -1
	s_barrier_wait -1
	global_inv scope:SCOPE_SE
	s_clause 0x5
	scratch_load_b128 v[2:5], off, off offset:496
	scratch_load_b128 v[6:9], off, off offset:512
	;; [unrolled: 1-line block ×6, first 2 shown]
	v_mov_b32_e32 v1, 0
	ds_load_b128 v[27:30], v1 offset:1040
	ds_load_b128 v[104:107], v1 offset:1056
	s_mov_b32 s0, exec_lo
	s_wait_loadcnt_dscnt 0x501
	v_mul_f64_e32 v[31:32], v[29:30], v[4:5]
	v_mul_f64_e32 v[4:5], v[27:28], v[4:5]
	s_wait_loadcnt_dscnt 0x400
	v_mul_f64_e32 v[108:109], v[104:105], v[8:9]
	v_mul_f64_e32 v[8:9], v[106:107], v[8:9]
	s_delay_alu instid0(VALU_DEP_4) | instskip(NEXT) | instid1(VALU_DEP_4)
	v_fma_f64 v[31:32], v[27:28], v[2:3], -v[31:32]
	v_fma_f64 v[110:111], v[29:30], v[2:3], v[4:5]
	ds_load_b128 v[2:5], v1 offset:1072
	ds_load_b128 v[27:30], v1 offset:1088
	v_fma_f64 v[106:107], v[106:107], v[6:7], v[108:109]
	v_fma_f64 v[6:7], v[104:105], v[6:7], -v[8:9]
	s_wait_loadcnt_dscnt 0x301
	v_mul_f64_e32 v[112:113], v[2:3], v[12:13]
	v_mul_f64_e32 v[12:13], v[4:5], v[12:13]
	s_wait_loadcnt_dscnt 0x200
	v_mul_f64_e32 v[104:105], v[27:28], v[16:17]
	v_mul_f64_e32 v[16:17], v[29:30], v[16:17]
	v_add_f64_e32 v[8:9], 0, v[31:32]
	v_add_f64_e32 v[31:32], 0, v[110:111]
	v_fma_f64 v[108:109], v[4:5], v[10:11], v[112:113]
	v_fma_f64 v[10:11], v[2:3], v[10:11], -v[12:13]
	ds_load_b128 v[2:5], v1 offset:1104
	v_fma_f64 v[29:30], v[29:30], v[14:15], v[104:105]
	v_fma_f64 v[14:15], v[27:28], v[14:15], -v[16:17]
	v_add_f64_e32 v[6:7], v[8:9], v[6:7]
	v_add_f64_e32 v[8:9], v[31:32], v[106:107]
	s_wait_loadcnt_dscnt 0x100
	v_mul_f64_e32 v[12:13], v[2:3], v[20:21]
	v_mul_f64_e32 v[20:21], v[4:5], v[20:21]
	s_delay_alu instid0(VALU_DEP_4) | instskip(NEXT) | instid1(VALU_DEP_4)
	v_add_f64_e32 v[6:7], v[6:7], v[10:11]
	v_add_f64_e32 v[8:9], v[8:9], v[108:109]
	s_delay_alu instid0(VALU_DEP_4) | instskip(NEXT) | instid1(VALU_DEP_4)
	v_fma_f64 v[4:5], v[4:5], v[18:19], v[12:13]
	v_fma_f64 v[2:3], v[2:3], v[18:19], -v[20:21]
	s_delay_alu instid0(VALU_DEP_4) | instskip(NEXT) | instid1(VALU_DEP_4)
	v_add_f64_e32 v[6:7], v[6:7], v[14:15]
	v_add_f64_e32 v[8:9], v[8:9], v[29:30]
	s_delay_alu instid0(VALU_DEP_2) | instskip(NEXT) | instid1(VALU_DEP_2)
	v_add_f64_e32 v[2:3], v[6:7], v[2:3]
	v_add_f64_e32 v[4:5], v[8:9], v[4:5]
	s_wait_loadcnt 0x0
	s_delay_alu instid0(VALU_DEP_2) | instskip(NEXT) | instid1(VALU_DEP_2)
	v_add_f64_e64 v[2:3], v[22:23], -v[2:3]
	v_add_f64_e64 v[4:5], v[24:25], -v[4:5]
	scratch_store_b128 off, v[2:5], off offset:480
	v_cmpx_lt_u32_e32 28, v0
	s_cbranch_execz .LBB98_167
; %bb.166:
	scratch_load_b128 v[5:8], off, s21
	v_dual_mov_b32 v2, v1 :: v_dual_mov_b32 v3, v1
	v_mov_b32_e32 v4, v1
	scratch_store_b128 off, v[1:4], off offset:464
	s_wait_loadcnt 0x0
	ds_store_b128 v26, v[5:8]
.LBB98_167:
	s_wait_alu 0xfffe
	s_or_b32 exec_lo, exec_lo, s0
	s_wait_storecnt_dscnt 0x0
	s_barrier_signal -1
	s_barrier_wait -1
	global_inv scope:SCOPE_SE
	s_clause 0x5
	scratch_load_b128 v[2:5], off, off offset:480
	scratch_load_b128 v[6:9], off, off offset:496
	;; [unrolled: 1-line block ×6, first 2 shown]
	ds_load_b128 v[27:30], v1 offset:1024
	ds_load_b128 v[108:111], v1 offset:1040
	scratch_load_b128 v[104:107], off, off offset:464
	s_mov_b32 s0, exec_lo
	s_wait_loadcnt_dscnt 0x601
	v_mul_f64_e32 v[31:32], v[29:30], v[4:5]
	v_mul_f64_e32 v[4:5], v[27:28], v[4:5]
	s_wait_loadcnt_dscnt 0x500
	v_mul_f64_e32 v[112:113], v[108:109], v[8:9]
	v_mul_f64_e32 v[8:9], v[110:111], v[8:9]
	s_delay_alu instid0(VALU_DEP_4) | instskip(NEXT) | instid1(VALU_DEP_4)
	v_fma_f64 v[31:32], v[27:28], v[2:3], -v[31:32]
	v_fma_f64 v[114:115], v[29:30], v[2:3], v[4:5]
	ds_load_b128 v[2:5], v1 offset:1056
	ds_load_b128 v[27:30], v1 offset:1072
	v_fma_f64 v[110:111], v[110:111], v[6:7], v[112:113]
	v_fma_f64 v[6:7], v[108:109], v[6:7], -v[8:9]
	s_wait_loadcnt_dscnt 0x401
	v_mul_f64_e32 v[116:117], v[2:3], v[12:13]
	v_mul_f64_e32 v[12:13], v[4:5], v[12:13]
	s_wait_loadcnt_dscnt 0x300
	v_mul_f64_e32 v[108:109], v[27:28], v[16:17]
	v_mul_f64_e32 v[16:17], v[29:30], v[16:17]
	v_add_f64_e32 v[8:9], 0, v[31:32]
	v_add_f64_e32 v[31:32], 0, v[114:115]
	v_fma_f64 v[112:113], v[4:5], v[10:11], v[116:117]
	v_fma_f64 v[10:11], v[2:3], v[10:11], -v[12:13]
	v_fma_f64 v[29:30], v[29:30], v[14:15], v[108:109]
	v_fma_f64 v[14:15], v[27:28], v[14:15], -v[16:17]
	v_add_f64_e32 v[12:13], v[8:9], v[6:7]
	v_add_f64_e32 v[31:32], v[31:32], v[110:111]
	ds_load_b128 v[2:5], v1 offset:1088
	ds_load_b128 v[6:9], v1 offset:1104
	s_wait_loadcnt_dscnt 0x201
	v_mul_f64_e32 v[110:111], v[2:3], v[20:21]
	v_mul_f64_e32 v[20:21], v[4:5], v[20:21]
	s_wait_loadcnt_dscnt 0x100
	v_mul_f64_e32 v[16:17], v[6:7], v[24:25]
	v_mul_f64_e32 v[24:25], v[8:9], v[24:25]
	v_add_f64_e32 v[10:11], v[12:13], v[10:11]
	v_add_f64_e32 v[12:13], v[31:32], v[112:113]
	v_fma_f64 v[4:5], v[4:5], v[18:19], v[110:111]
	v_fma_f64 v[1:2], v[2:3], v[18:19], -v[20:21]
	v_fma_f64 v[8:9], v[8:9], v[22:23], v[16:17]
	v_fma_f64 v[6:7], v[6:7], v[22:23], -v[24:25]
	v_add_f64_e32 v[10:11], v[10:11], v[14:15]
	v_add_f64_e32 v[12:13], v[12:13], v[29:30]
	s_delay_alu instid0(VALU_DEP_2) | instskip(NEXT) | instid1(VALU_DEP_2)
	v_add_f64_e32 v[1:2], v[10:11], v[1:2]
	v_add_f64_e32 v[3:4], v[12:13], v[4:5]
	s_delay_alu instid0(VALU_DEP_2) | instskip(NEXT) | instid1(VALU_DEP_2)
	v_add_f64_e32 v[1:2], v[1:2], v[6:7]
	v_add_f64_e32 v[3:4], v[3:4], v[8:9]
	s_wait_loadcnt 0x0
	s_delay_alu instid0(VALU_DEP_2) | instskip(NEXT) | instid1(VALU_DEP_2)
	v_add_f64_e64 v[1:2], v[104:105], -v[1:2]
	v_add_f64_e64 v[3:4], v[106:107], -v[3:4]
	scratch_store_b128 off, v[1:4], off offset:464
	v_cmpx_lt_u32_e32 27, v0
	s_cbranch_execz .LBB98_169
; %bb.168:
	scratch_load_b128 v[1:4], off, s38
	v_mov_b32_e32 v5, 0
	s_delay_alu instid0(VALU_DEP_1)
	v_dual_mov_b32 v6, v5 :: v_dual_mov_b32 v7, v5
	v_mov_b32_e32 v8, v5
	scratch_store_b128 off, v[5:8], off offset:448
	s_wait_loadcnt 0x0
	ds_store_b128 v26, v[1:4]
.LBB98_169:
	s_wait_alu 0xfffe
	s_or_b32 exec_lo, exec_lo, s0
	s_wait_storecnt_dscnt 0x0
	s_barrier_signal -1
	s_barrier_wait -1
	global_inv scope:SCOPE_SE
	s_clause 0x6
	scratch_load_b128 v[2:5], off, off offset:464
	scratch_load_b128 v[6:9], off, off offset:480
	;; [unrolled: 1-line block ×7, first 2 shown]
	v_mov_b32_e32 v1, 0
	scratch_load_b128 v[108:111], off, off offset:448
	s_mov_b32 s0, exec_lo
	ds_load_b128 v[104:107], v1 offset:1008
	ds_load_b128 v[112:115], v1 offset:1024
	s_wait_loadcnt_dscnt 0x701
	v_mul_f64_e32 v[31:32], v[106:107], v[4:5]
	v_mul_f64_e32 v[4:5], v[104:105], v[4:5]
	s_wait_loadcnt_dscnt 0x600
	v_mul_f64_e32 v[116:117], v[112:113], v[8:9]
	v_mul_f64_e32 v[8:9], v[114:115], v[8:9]
	s_delay_alu instid0(VALU_DEP_4) | instskip(NEXT) | instid1(VALU_DEP_4)
	v_fma_f64 v[31:32], v[104:105], v[2:3], -v[31:32]
	v_fma_f64 v[118:119], v[106:107], v[2:3], v[4:5]
	ds_load_b128 v[2:5], v1 offset:1040
	ds_load_b128 v[104:107], v1 offset:1056
	v_fma_f64 v[114:115], v[114:115], v[6:7], v[116:117]
	v_fma_f64 v[6:7], v[112:113], v[6:7], -v[8:9]
	s_wait_loadcnt_dscnt 0x501
	v_mul_f64_e32 v[120:121], v[2:3], v[12:13]
	v_mul_f64_e32 v[12:13], v[4:5], v[12:13]
	s_wait_loadcnt_dscnt 0x400
	v_mul_f64_e32 v[112:113], v[104:105], v[16:17]
	v_mul_f64_e32 v[16:17], v[106:107], v[16:17]
	v_add_f64_e32 v[8:9], 0, v[31:32]
	v_add_f64_e32 v[31:32], 0, v[118:119]
	v_fma_f64 v[116:117], v[4:5], v[10:11], v[120:121]
	v_fma_f64 v[10:11], v[2:3], v[10:11], -v[12:13]
	v_fma_f64 v[106:107], v[106:107], v[14:15], v[112:113]
	v_fma_f64 v[14:15], v[104:105], v[14:15], -v[16:17]
	v_add_f64_e32 v[12:13], v[8:9], v[6:7]
	v_add_f64_e32 v[31:32], v[31:32], v[114:115]
	ds_load_b128 v[2:5], v1 offset:1072
	ds_load_b128 v[6:9], v1 offset:1088
	s_wait_loadcnt_dscnt 0x301
	v_mul_f64_e32 v[114:115], v[2:3], v[20:21]
	v_mul_f64_e32 v[20:21], v[4:5], v[20:21]
	s_wait_loadcnt_dscnt 0x200
	v_mul_f64_e32 v[16:17], v[6:7], v[24:25]
	v_mul_f64_e32 v[24:25], v[8:9], v[24:25]
	v_add_f64_e32 v[10:11], v[12:13], v[10:11]
	v_add_f64_e32 v[12:13], v[31:32], v[116:117]
	v_fma_f64 v[31:32], v[4:5], v[18:19], v[114:115]
	v_fma_f64 v[18:19], v[2:3], v[18:19], -v[20:21]
	ds_load_b128 v[2:5], v1 offset:1104
	v_fma_f64 v[8:9], v[8:9], v[22:23], v[16:17]
	v_fma_f64 v[6:7], v[6:7], v[22:23], -v[24:25]
	v_add_f64_e32 v[10:11], v[10:11], v[14:15]
	v_add_f64_e32 v[12:13], v[12:13], v[106:107]
	s_wait_loadcnt_dscnt 0x100
	v_mul_f64_e32 v[14:15], v[2:3], v[29:30]
	v_mul_f64_e32 v[20:21], v[4:5], v[29:30]
	s_delay_alu instid0(VALU_DEP_4) | instskip(NEXT) | instid1(VALU_DEP_4)
	v_add_f64_e32 v[10:11], v[10:11], v[18:19]
	v_add_f64_e32 v[12:13], v[12:13], v[31:32]
	s_delay_alu instid0(VALU_DEP_4) | instskip(NEXT) | instid1(VALU_DEP_4)
	v_fma_f64 v[4:5], v[4:5], v[27:28], v[14:15]
	v_fma_f64 v[2:3], v[2:3], v[27:28], -v[20:21]
	s_delay_alu instid0(VALU_DEP_4) | instskip(NEXT) | instid1(VALU_DEP_4)
	v_add_f64_e32 v[6:7], v[10:11], v[6:7]
	v_add_f64_e32 v[8:9], v[12:13], v[8:9]
	s_delay_alu instid0(VALU_DEP_2) | instskip(NEXT) | instid1(VALU_DEP_2)
	v_add_f64_e32 v[2:3], v[6:7], v[2:3]
	v_add_f64_e32 v[4:5], v[8:9], v[4:5]
	s_wait_loadcnt 0x0
	s_delay_alu instid0(VALU_DEP_2) | instskip(NEXT) | instid1(VALU_DEP_2)
	v_add_f64_e64 v[2:3], v[108:109], -v[2:3]
	v_add_f64_e64 v[4:5], v[110:111], -v[4:5]
	scratch_store_b128 off, v[2:5], off offset:448
	v_cmpx_lt_u32_e32 26, v0
	s_cbranch_execz .LBB98_171
; %bb.170:
	scratch_load_b128 v[5:8], off, s20
	v_dual_mov_b32 v2, v1 :: v_dual_mov_b32 v3, v1
	v_mov_b32_e32 v4, v1
	scratch_store_b128 off, v[1:4], off offset:432
	s_wait_loadcnt 0x0
	ds_store_b128 v26, v[5:8]
.LBB98_171:
	s_wait_alu 0xfffe
	s_or_b32 exec_lo, exec_lo, s0
	s_wait_storecnt_dscnt 0x0
	s_barrier_signal -1
	s_barrier_wait -1
	global_inv scope:SCOPE_SE
	s_clause 0x7
	scratch_load_b128 v[2:5], off, off offset:448
	scratch_load_b128 v[6:9], off, off offset:464
	;; [unrolled: 1-line block ×8, first 2 shown]
	ds_load_b128 v[108:111], v1 offset:992
	ds_load_b128 v[112:115], v1 offset:1008
	scratch_load_b128 v[116:119], off, off offset:432
	s_mov_b32 s0, exec_lo
	s_wait_loadcnt_dscnt 0x801
	v_mul_f64_e32 v[31:32], v[110:111], v[4:5]
	v_mul_f64_e32 v[4:5], v[108:109], v[4:5]
	s_wait_loadcnt_dscnt 0x700
	v_mul_f64_e32 v[120:121], v[112:113], v[8:9]
	v_mul_f64_e32 v[8:9], v[114:115], v[8:9]
	s_delay_alu instid0(VALU_DEP_4) | instskip(NEXT) | instid1(VALU_DEP_4)
	v_fma_f64 v[31:32], v[108:109], v[2:3], -v[31:32]
	v_fma_f64 v[122:123], v[110:111], v[2:3], v[4:5]
	ds_load_b128 v[2:5], v1 offset:1024
	ds_load_b128 v[108:111], v1 offset:1040
	v_fma_f64 v[114:115], v[114:115], v[6:7], v[120:121]
	v_fma_f64 v[6:7], v[112:113], v[6:7], -v[8:9]
	s_wait_loadcnt_dscnt 0x601
	v_mul_f64_e32 v[124:125], v[2:3], v[12:13]
	v_mul_f64_e32 v[12:13], v[4:5], v[12:13]
	s_wait_loadcnt_dscnt 0x500
	v_mul_f64_e32 v[112:113], v[108:109], v[16:17]
	v_mul_f64_e32 v[16:17], v[110:111], v[16:17]
	v_add_f64_e32 v[8:9], 0, v[31:32]
	v_add_f64_e32 v[31:32], 0, v[122:123]
	v_fma_f64 v[120:121], v[4:5], v[10:11], v[124:125]
	v_fma_f64 v[10:11], v[2:3], v[10:11], -v[12:13]
	v_fma_f64 v[110:111], v[110:111], v[14:15], v[112:113]
	v_fma_f64 v[14:15], v[108:109], v[14:15], -v[16:17]
	v_add_f64_e32 v[12:13], v[8:9], v[6:7]
	v_add_f64_e32 v[31:32], v[31:32], v[114:115]
	ds_load_b128 v[2:5], v1 offset:1056
	ds_load_b128 v[6:9], v1 offset:1072
	s_wait_loadcnt_dscnt 0x401
	v_mul_f64_e32 v[114:115], v[2:3], v[20:21]
	v_mul_f64_e32 v[20:21], v[4:5], v[20:21]
	s_wait_loadcnt_dscnt 0x300
	v_mul_f64_e32 v[16:17], v[6:7], v[24:25]
	v_mul_f64_e32 v[24:25], v[8:9], v[24:25]
	v_add_f64_e32 v[10:11], v[12:13], v[10:11]
	v_add_f64_e32 v[12:13], v[31:32], v[120:121]
	v_fma_f64 v[31:32], v[4:5], v[18:19], v[114:115]
	v_fma_f64 v[18:19], v[2:3], v[18:19], -v[20:21]
	v_fma_f64 v[8:9], v[8:9], v[22:23], v[16:17]
	v_fma_f64 v[6:7], v[6:7], v[22:23], -v[24:25]
	v_add_f64_e32 v[14:15], v[10:11], v[14:15]
	v_add_f64_e32 v[20:21], v[12:13], v[110:111]
	ds_load_b128 v[2:5], v1 offset:1088
	ds_load_b128 v[10:13], v1 offset:1104
	s_wait_loadcnt_dscnt 0x201
	v_mul_f64_e32 v[108:109], v[2:3], v[29:30]
	v_mul_f64_e32 v[29:30], v[4:5], v[29:30]
	v_add_f64_e32 v[14:15], v[14:15], v[18:19]
	v_add_f64_e32 v[16:17], v[20:21], v[31:32]
	s_wait_loadcnt_dscnt 0x100
	v_mul_f64_e32 v[18:19], v[10:11], v[106:107]
	v_mul_f64_e32 v[20:21], v[12:13], v[106:107]
	v_fma_f64 v[4:5], v[4:5], v[27:28], v[108:109]
	v_fma_f64 v[1:2], v[2:3], v[27:28], -v[29:30]
	v_add_f64_e32 v[6:7], v[14:15], v[6:7]
	v_add_f64_e32 v[8:9], v[16:17], v[8:9]
	v_fma_f64 v[12:13], v[12:13], v[104:105], v[18:19]
	v_fma_f64 v[10:11], v[10:11], v[104:105], -v[20:21]
	s_delay_alu instid0(VALU_DEP_4) | instskip(NEXT) | instid1(VALU_DEP_4)
	v_add_f64_e32 v[1:2], v[6:7], v[1:2]
	v_add_f64_e32 v[3:4], v[8:9], v[4:5]
	s_delay_alu instid0(VALU_DEP_2) | instskip(NEXT) | instid1(VALU_DEP_2)
	v_add_f64_e32 v[1:2], v[1:2], v[10:11]
	v_add_f64_e32 v[3:4], v[3:4], v[12:13]
	s_wait_loadcnt 0x0
	s_delay_alu instid0(VALU_DEP_2) | instskip(NEXT) | instid1(VALU_DEP_2)
	v_add_f64_e64 v[1:2], v[116:117], -v[1:2]
	v_add_f64_e64 v[3:4], v[118:119], -v[3:4]
	scratch_store_b128 off, v[1:4], off offset:432
	v_cmpx_lt_u32_e32 25, v0
	s_cbranch_execz .LBB98_173
; %bb.172:
	scratch_load_b128 v[1:4], off, s37
	v_mov_b32_e32 v5, 0
	s_delay_alu instid0(VALU_DEP_1)
	v_dual_mov_b32 v6, v5 :: v_dual_mov_b32 v7, v5
	v_mov_b32_e32 v8, v5
	scratch_store_b128 off, v[5:8], off offset:416
	s_wait_loadcnt 0x0
	ds_store_b128 v26, v[1:4]
.LBB98_173:
	s_wait_alu 0xfffe
	s_or_b32 exec_lo, exec_lo, s0
	s_wait_storecnt_dscnt 0x0
	s_barrier_signal -1
	s_barrier_wait -1
	global_inv scope:SCOPE_SE
	s_clause 0x7
	scratch_load_b128 v[2:5], off, off offset:432
	scratch_load_b128 v[6:9], off, off offset:448
	;; [unrolled: 1-line block ×8, first 2 shown]
	v_mov_b32_e32 v1, 0
	s_mov_b32 s0, exec_lo
	ds_load_b128 v[108:111], v1 offset:976
	s_clause 0x1
	scratch_load_b128 v[112:115], off, off offset:560
	scratch_load_b128 v[116:119], off, off offset:416
	ds_load_b128 v[120:123], v1 offset:992
	s_wait_loadcnt_dscnt 0x901
	v_mul_f64_e32 v[31:32], v[110:111], v[4:5]
	v_mul_f64_e32 v[4:5], v[108:109], v[4:5]
	s_wait_loadcnt_dscnt 0x800
	v_mul_f64_e32 v[124:125], v[120:121], v[8:9]
	v_mul_f64_e32 v[8:9], v[122:123], v[8:9]
	s_delay_alu instid0(VALU_DEP_4) | instskip(NEXT) | instid1(VALU_DEP_4)
	v_fma_f64 v[31:32], v[108:109], v[2:3], -v[31:32]
	v_fma_f64 v[126:127], v[110:111], v[2:3], v[4:5]
	ds_load_b128 v[2:5], v1 offset:1008
	ds_load_b128 v[108:111], v1 offset:1024
	v_fma_f64 v[122:123], v[122:123], v[6:7], v[124:125]
	v_fma_f64 v[6:7], v[120:121], v[6:7], -v[8:9]
	s_wait_loadcnt_dscnt 0x701
	v_mul_f64_e32 v[128:129], v[2:3], v[12:13]
	v_mul_f64_e32 v[12:13], v[4:5], v[12:13]
	s_wait_loadcnt_dscnt 0x600
	v_mul_f64_e32 v[120:121], v[108:109], v[16:17]
	v_mul_f64_e32 v[16:17], v[110:111], v[16:17]
	v_add_f64_e32 v[8:9], 0, v[31:32]
	v_add_f64_e32 v[31:32], 0, v[126:127]
	v_fma_f64 v[124:125], v[4:5], v[10:11], v[128:129]
	v_fma_f64 v[10:11], v[2:3], v[10:11], -v[12:13]
	v_fma_f64 v[110:111], v[110:111], v[14:15], v[120:121]
	v_fma_f64 v[14:15], v[108:109], v[14:15], -v[16:17]
	v_add_f64_e32 v[12:13], v[8:9], v[6:7]
	v_add_f64_e32 v[31:32], v[31:32], v[122:123]
	ds_load_b128 v[2:5], v1 offset:1040
	ds_load_b128 v[6:9], v1 offset:1056
	s_wait_loadcnt_dscnt 0x501
	v_mul_f64_e32 v[122:123], v[2:3], v[20:21]
	v_mul_f64_e32 v[20:21], v[4:5], v[20:21]
	s_wait_loadcnt_dscnt 0x400
	v_mul_f64_e32 v[16:17], v[6:7], v[24:25]
	v_mul_f64_e32 v[24:25], v[8:9], v[24:25]
	v_add_f64_e32 v[10:11], v[12:13], v[10:11]
	v_add_f64_e32 v[12:13], v[31:32], v[124:125]
	v_fma_f64 v[31:32], v[4:5], v[18:19], v[122:123]
	v_fma_f64 v[18:19], v[2:3], v[18:19], -v[20:21]
	v_fma_f64 v[8:9], v[8:9], v[22:23], v[16:17]
	v_fma_f64 v[6:7], v[6:7], v[22:23], -v[24:25]
	v_add_f64_e32 v[14:15], v[10:11], v[14:15]
	v_add_f64_e32 v[20:21], v[12:13], v[110:111]
	ds_load_b128 v[2:5], v1 offset:1072
	ds_load_b128 v[10:13], v1 offset:1088
	s_wait_loadcnt_dscnt 0x301
	v_mul_f64_e32 v[108:109], v[2:3], v[29:30]
	v_mul_f64_e32 v[29:30], v[4:5], v[29:30]
	v_add_f64_e32 v[14:15], v[14:15], v[18:19]
	v_add_f64_e32 v[16:17], v[20:21], v[31:32]
	s_wait_loadcnt_dscnt 0x200
	v_mul_f64_e32 v[18:19], v[10:11], v[106:107]
	v_mul_f64_e32 v[20:21], v[12:13], v[106:107]
	v_fma_f64 v[22:23], v[4:5], v[27:28], v[108:109]
	v_fma_f64 v[24:25], v[2:3], v[27:28], -v[29:30]
	ds_load_b128 v[2:5], v1 offset:1104
	v_add_f64_e32 v[6:7], v[14:15], v[6:7]
	v_add_f64_e32 v[8:9], v[16:17], v[8:9]
	v_fma_f64 v[12:13], v[12:13], v[104:105], v[18:19]
	v_fma_f64 v[10:11], v[10:11], v[104:105], -v[20:21]
	s_wait_loadcnt_dscnt 0x100
	v_mul_f64_e32 v[14:15], v[2:3], v[114:115]
	v_mul_f64_e32 v[16:17], v[4:5], v[114:115]
	v_add_f64_e32 v[6:7], v[6:7], v[24:25]
	v_add_f64_e32 v[8:9], v[8:9], v[22:23]
	s_delay_alu instid0(VALU_DEP_4) | instskip(NEXT) | instid1(VALU_DEP_4)
	v_fma_f64 v[4:5], v[4:5], v[112:113], v[14:15]
	v_fma_f64 v[2:3], v[2:3], v[112:113], -v[16:17]
	s_delay_alu instid0(VALU_DEP_4) | instskip(NEXT) | instid1(VALU_DEP_4)
	v_add_f64_e32 v[6:7], v[6:7], v[10:11]
	v_add_f64_e32 v[8:9], v[8:9], v[12:13]
	s_delay_alu instid0(VALU_DEP_2) | instskip(NEXT) | instid1(VALU_DEP_2)
	v_add_f64_e32 v[2:3], v[6:7], v[2:3]
	v_add_f64_e32 v[4:5], v[8:9], v[4:5]
	s_wait_loadcnt 0x0
	s_delay_alu instid0(VALU_DEP_2) | instskip(NEXT) | instid1(VALU_DEP_2)
	v_add_f64_e64 v[2:3], v[116:117], -v[2:3]
	v_add_f64_e64 v[4:5], v[118:119], -v[4:5]
	scratch_store_b128 off, v[2:5], off offset:416
	v_cmpx_lt_u32_e32 24, v0
	s_cbranch_execz .LBB98_175
; %bb.174:
	scratch_load_b128 v[5:8], off, s19
	v_dual_mov_b32 v2, v1 :: v_dual_mov_b32 v3, v1
	v_mov_b32_e32 v4, v1
	scratch_store_b128 off, v[1:4], off offset:400
	s_wait_loadcnt 0x0
	ds_store_b128 v26, v[5:8]
.LBB98_175:
	s_wait_alu 0xfffe
	s_or_b32 exec_lo, exec_lo, s0
	s_wait_storecnt_dscnt 0x0
	s_barrier_signal -1
	s_barrier_wait -1
	global_inv scope:SCOPE_SE
	s_clause 0x8
	scratch_load_b128 v[2:5], off, off offset:416
	scratch_load_b128 v[6:9], off, off offset:432
	;; [unrolled: 1-line block ×9, first 2 shown]
	ds_load_b128 v[112:115], v1 offset:960
	ds_load_b128 v[116:119], v1 offset:976
	s_clause 0x1
	scratch_load_b128 v[120:123], off, off offset:400
	scratch_load_b128 v[124:127], off, off offset:560
	s_mov_b32 s0, exec_lo
	s_wait_loadcnt_dscnt 0xa01
	v_mul_f64_e32 v[31:32], v[114:115], v[4:5]
	v_mul_f64_e32 v[4:5], v[112:113], v[4:5]
	s_wait_loadcnt_dscnt 0x900
	v_mul_f64_e32 v[128:129], v[116:117], v[8:9]
	v_mul_f64_e32 v[8:9], v[118:119], v[8:9]
	s_delay_alu instid0(VALU_DEP_4) | instskip(NEXT) | instid1(VALU_DEP_4)
	v_fma_f64 v[31:32], v[112:113], v[2:3], -v[31:32]
	v_fma_f64 v[130:131], v[114:115], v[2:3], v[4:5]
	ds_load_b128 v[2:5], v1 offset:992
	ds_load_b128 v[112:115], v1 offset:1008
	v_fma_f64 v[118:119], v[118:119], v[6:7], v[128:129]
	v_fma_f64 v[6:7], v[116:117], v[6:7], -v[8:9]
	s_wait_loadcnt_dscnt 0x801
	v_mul_f64_e32 v[132:133], v[2:3], v[12:13]
	v_mul_f64_e32 v[12:13], v[4:5], v[12:13]
	s_wait_loadcnt_dscnt 0x700
	v_mul_f64_e32 v[116:117], v[112:113], v[16:17]
	v_mul_f64_e32 v[16:17], v[114:115], v[16:17]
	v_add_f64_e32 v[8:9], 0, v[31:32]
	v_add_f64_e32 v[31:32], 0, v[130:131]
	v_fma_f64 v[128:129], v[4:5], v[10:11], v[132:133]
	v_fma_f64 v[10:11], v[2:3], v[10:11], -v[12:13]
	v_fma_f64 v[114:115], v[114:115], v[14:15], v[116:117]
	v_fma_f64 v[14:15], v[112:113], v[14:15], -v[16:17]
	v_add_f64_e32 v[12:13], v[8:9], v[6:7]
	v_add_f64_e32 v[31:32], v[31:32], v[118:119]
	ds_load_b128 v[2:5], v1 offset:1024
	ds_load_b128 v[6:9], v1 offset:1040
	s_wait_loadcnt_dscnt 0x601
	v_mul_f64_e32 v[118:119], v[2:3], v[20:21]
	v_mul_f64_e32 v[20:21], v[4:5], v[20:21]
	s_wait_loadcnt_dscnt 0x500
	v_mul_f64_e32 v[16:17], v[6:7], v[24:25]
	v_mul_f64_e32 v[24:25], v[8:9], v[24:25]
	v_add_f64_e32 v[10:11], v[12:13], v[10:11]
	v_add_f64_e32 v[12:13], v[31:32], v[128:129]
	v_fma_f64 v[31:32], v[4:5], v[18:19], v[118:119]
	v_fma_f64 v[18:19], v[2:3], v[18:19], -v[20:21]
	v_fma_f64 v[8:9], v[8:9], v[22:23], v[16:17]
	v_fma_f64 v[6:7], v[6:7], v[22:23], -v[24:25]
	v_add_f64_e32 v[14:15], v[10:11], v[14:15]
	v_add_f64_e32 v[20:21], v[12:13], v[114:115]
	ds_load_b128 v[2:5], v1 offset:1056
	ds_load_b128 v[10:13], v1 offset:1072
	s_wait_loadcnt_dscnt 0x401
	v_mul_f64_e32 v[112:113], v[2:3], v[29:30]
	v_mul_f64_e32 v[29:30], v[4:5], v[29:30]
	v_add_f64_e32 v[14:15], v[14:15], v[18:19]
	v_add_f64_e32 v[16:17], v[20:21], v[31:32]
	s_wait_loadcnt_dscnt 0x300
	v_mul_f64_e32 v[18:19], v[10:11], v[106:107]
	v_mul_f64_e32 v[20:21], v[12:13], v[106:107]
	v_fma_f64 v[22:23], v[4:5], v[27:28], v[112:113]
	v_fma_f64 v[24:25], v[2:3], v[27:28], -v[29:30]
	v_add_f64_e32 v[14:15], v[14:15], v[6:7]
	v_add_f64_e32 v[16:17], v[16:17], v[8:9]
	ds_load_b128 v[2:5], v1 offset:1088
	ds_load_b128 v[6:9], v1 offset:1104
	v_fma_f64 v[12:13], v[12:13], v[104:105], v[18:19]
	v_fma_f64 v[10:11], v[10:11], v[104:105], -v[20:21]
	s_wait_loadcnt_dscnt 0x201
	v_mul_f64_e32 v[27:28], v[2:3], v[110:111]
	v_mul_f64_e32 v[29:30], v[4:5], v[110:111]
	s_wait_loadcnt_dscnt 0x0
	v_mul_f64_e32 v[18:19], v[6:7], v[126:127]
	v_mul_f64_e32 v[20:21], v[8:9], v[126:127]
	v_add_f64_e32 v[14:15], v[14:15], v[24:25]
	v_add_f64_e32 v[16:17], v[16:17], v[22:23]
	v_fma_f64 v[4:5], v[4:5], v[108:109], v[27:28]
	v_fma_f64 v[1:2], v[2:3], v[108:109], -v[29:30]
	v_fma_f64 v[8:9], v[8:9], v[124:125], v[18:19]
	v_fma_f64 v[6:7], v[6:7], v[124:125], -v[20:21]
	v_add_f64_e32 v[10:11], v[14:15], v[10:11]
	v_add_f64_e32 v[12:13], v[16:17], v[12:13]
	s_delay_alu instid0(VALU_DEP_2) | instskip(NEXT) | instid1(VALU_DEP_2)
	v_add_f64_e32 v[1:2], v[10:11], v[1:2]
	v_add_f64_e32 v[3:4], v[12:13], v[4:5]
	s_delay_alu instid0(VALU_DEP_2) | instskip(NEXT) | instid1(VALU_DEP_2)
	;; [unrolled: 3-line block ×3, first 2 shown]
	v_add_f64_e64 v[1:2], v[120:121], -v[1:2]
	v_add_f64_e64 v[3:4], v[122:123], -v[3:4]
	scratch_store_b128 off, v[1:4], off offset:400
	v_cmpx_lt_u32_e32 23, v0
	s_cbranch_execz .LBB98_177
; %bb.176:
	scratch_load_b128 v[1:4], off, s36
	v_mov_b32_e32 v5, 0
	s_delay_alu instid0(VALU_DEP_1)
	v_dual_mov_b32 v6, v5 :: v_dual_mov_b32 v7, v5
	v_mov_b32_e32 v8, v5
	scratch_store_b128 off, v[5:8], off offset:384
	s_wait_loadcnt 0x0
	ds_store_b128 v26, v[1:4]
.LBB98_177:
	s_wait_alu 0xfffe
	s_or_b32 exec_lo, exec_lo, s0
	s_wait_storecnt_dscnt 0x0
	s_barrier_signal -1
	s_barrier_wait -1
	global_inv scope:SCOPE_SE
	s_clause 0x7
	scratch_load_b128 v[2:5], off, off offset:400
	scratch_load_b128 v[6:9], off, off offset:416
	;; [unrolled: 1-line block ×8, first 2 shown]
	v_mov_b32_e32 v1, 0
	s_mov_b32 s0, exec_lo
	ds_load_b128 v[108:111], v1 offset:944
	s_clause 0x1
	scratch_load_b128 v[112:115], off, off offset:528
	scratch_load_b128 v[116:119], off, off offset:384
	ds_load_b128 v[120:123], v1 offset:960
	scratch_load_b128 v[124:127], off, off offset:544
	ds_load_b128 v[128:131], v1 offset:992
	s_wait_loadcnt_dscnt 0xa02
	v_mul_f64_e32 v[31:32], v[110:111], v[4:5]
	v_mul_f64_e32 v[4:5], v[108:109], v[4:5]
	s_delay_alu instid0(VALU_DEP_2) | instskip(NEXT) | instid1(VALU_DEP_2)
	v_fma_f64 v[31:32], v[108:109], v[2:3], -v[31:32]
	v_fma_f64 v[134:135], v[110:111], v[2:3], v[4:5]
	ds_load_b128 v[2:5], v1 offset:976
	s_wait_loadcnt_dscnt 0x902
	v_mul_f64_e32 v[132:133], v[120:121], v[8:9]
	v_mul_f64_e32 v[8:9], v[122:123], v[8:9]
	scratch_load_b128 v[108:111], off, off offset:560
	s_wait_loadcnt_dscnt 0x900
	v_mul_f64_e32 v[136:137], v[2:3], v[12:13]
	v_mul_f64_e32 v[12:13], v[4:5], v[12:13]
	v_fma_f64 v[122:123], v[122:123], v[6:7], v[132:133]
	v_fma_f64 v[6:7], v[120:121], v[6:7], -v[8:9]
	v_add_f64_e32 v[8:9], 0, v[31:32]
	v_add_f64_e32 v[31:32], 0, v[134:135]
	s_wait_loadcnt 0x8
	v_mul_f64_e32 v[120:121], v[128:129], v[16:17]
	v_mul_f64_e32 v[16:17], v[130:131], v[16:17]
	v_fma_f64 v[132:133], v[4:5], v[10:11], v[136:137]
	v_fma_f64 v[10:11], v[2:3], v[10:11], -v[12:13]
	v_add_f64_e32 v[12:13], v[8:9], v[6:7]
	v_add_f64_e32 v[31:32], v[31:32], v[122:123]
	ds_load_b128 v[2:5], v1 offset:1008
	ds_load_b128 v[6:9], v1 offset:1024
	v_fma_f64 v[120:121], v[130:131], v[14:15], v[120:121]
	v_fma_f64 v[14:15], v[128:129], v[14:15], -v[16:17]
	s_wait_loadcnt_dscnt 0x701
	v_mul_f64_e32 v[122:123], v[2:3], v[20:21]
	v_mul_f64_e32 v[20:21], v[4:5], v[20:21]
	s_wait_loadcnt_dscnt 0x600
	v_mul_f64_e32 v[16:17], v[6:7], v[24:25]
	v_mul_f64_e32 v[24:25], v[8:9], v[24:25]
	v_add_f64_e32 v[10:11], v[12:13], v[10:11]
	v_add_f64_e32 v[12:13], v[31:32], v[132:133]
	v_fma_f64 v[31:32], v[4:5], v[18:19], v[122:123]
	v_fma_f64 v[18:19], v[2:3], v[18:19], -v[20:21]
	v_fma_f64 v[8:9], v[8:9], v[22:23], v[16:17]
	v_fma_f64 v[6:7], v[6:7], v[22:23], -v[24:25]
	v_add_f64_e32 v[14:15], v[10:11], v[14:15]
	v_add_f64_e32 v[20:21], v[12:13], v[120:121]
	ds_load_b128 v[2:5], v1 offset:1040
	ds_load_b128 v[10:13], v1 offset:1056
	s_wait_loadcnt_dscnt 0x501
	v_mul_f64_e32 v[120:121], v[2:3], v[29:30]
	v_mul_f64_e32 v[29:30], v[4:5], v[29:30]
	v_add_f64_e32 v[14:15], v[14:15], v[18:19]
	v_add_f64_e32 v[16:17], v[20:21], v[31:32]
	s_wait_loadcnt_dscnt 0x400
	v_mul_f64_e32 v[18:19], v[10:11], v[106:107]
	v_mul_f64_e32 v[20:21], v[12:13], v[106:107]
	v_fma_f64 v[22:23], v[4:5], v[27:28], v[120:121]
	v_fma_f64 v[24:25], v[2:3], v[27:28], -v[29:30]
	v_add_f64_e32 v[14:15], v[14:15], v[6:7]
	v_add_f64_e32 v[16:17], v[16:17], v[8:9]
	ds_load_b128 v[2:5], v1 offset:1072
	ds_load_b128 v[6:9], v1 offset:1088
	v_fma_f64 v[12:13], v[12:13], v[104:105], v[18:19]
	v_fma_f64 v[10:11], v[10:11], v[104:105], -v[20:21]
	s_wait_loadcnt_dscnt 0x301
	v_mul_f64_e32 v[27:28], v[2:3], v[114:115]
	v_mul_f64_e32 v[29:30], v[4:5], v[114:115]
	s_wait_loadcnt_dscnt 0x100
	v_mul_f64_e32 v[18:19], v[6:7], v[126:127]
	v_mul_f64_e32 v[20:21], v[8:9], v[126:127]
	v_add_f64_e32 v[14:15], v[14:15], v[24:25]
	v_add_f64_e32 v[16:17], v[16:17], v[22:23]
	v_fma_f64 v[22:23], v[4:5], v[112:113], v[27:28]
	v_fma_f64 v[24:25], v[2:3], v[112:113], -v[29:30]
	ds_load_b128 v[2:5], v1 offset:1104
	v_fma_f64 v[8:9], v[8:9], v[124:125], v[18:19]
	v_fma_f64 v[6:7], v[6:7], v[124:125], -v[20:21]
	v_add_f64_e32 v[10:11], v[14:15], v[10:11]
	v_add_f64_e32 v[12:13], v[16:17], v[12:13]
	s_wait_loadcnt_dscnt 0x0
	v_mul_f64_e32 v[14:15], v[2:3], v[110:111]
	v_mul_f64_e32 v[16:17], v[4:5], v[110:111]
	s_delay_alu instid0(VALU_DEP_4) | instskip(NEXT) | instid1(VALU_DEP_4)
	v_add_f64_e32 v[10:11], v[10:11], v[24:25]
	v_add_f64_e32 v[12:13], v[12:13], v[22:23]
	s_delay_alu instid0(VALU_DEP_4) | instskip(NEXT) | instid1(VALU_DEP_4)
	v_fma_f64 v[4:5], v[4:5], v[108:109], v[14:15]
	v_fma_f64 v[2:3], v[2:3], v[108:109], -v[16:17]
	s_delay_alu instid0(VALU_DEP_4) | instskip(NEXT) | instid1(VALU_DEP_4)
	v_add_f64_e32 v[6:7], v[10:11], v[6:7]
	v_add_f64_e32 v[8:9], v[12:13], v[8:9]
	s_delay_alu instid0(VALU_DEP_2) | instskip(NEXT) | instid1(VALU_DEP_2)
	v_add_f64_e32 v[2:3], v[6:7], v[2:3]
	v_add_f64_e32 v[4:5], v[8:9], v[4:5]
	s_delay_alu instid0(VALU_DEP_2) | instskip(NEXT) | instid1(VALU_DEP_2)
	v_add_f64_e64 v[2:3], v[116:117], -v[2:3]
	v_add_f64_e64 v[4:5], v[118:119], -v[4:5]
	scratch_store_b128 off, v[2:5], off offset:384
	v_cmpx_lt_u32_e32 22, v0
	s_cbranch_execz .LBB98_179
; %bb.178:
	scratch_load_b128 v[5:8], off, s18
	v_dual_mov_b32 v2, v1 :: v_dual_mov_b32 v3, v1
	v_mov_b32_e32 v4, v1
	scratch_store_b128 off, v[1:4], off offset:368
	s_wait_loadcnt 0x0
	ds_store_b128 v26, v[5:8]
.LBB98_179:
	s_wait_alu 0xfffe
	s_or_b32 exec_lo, exec_lo, s0
	s_wait_storecnt_dscnt 0x0
	s_barrier_signal -1
	s_barrier_wait -1
	global_inv scope:SCOPE_SE
	s_clause 0x8
	scratch_load_b128 v[2:5], off, off offset:384
	scratch_load_b128 v[6:9], off, off offset:400
	;; [unrolled: 1-line block ×9, first 2 shown]
	ds_load_b128 v[112:115], v1 offset:928
	ds_load_b128 v[116:119], v1 offset:944
	s_clause 0x1
	scratch_load_b128 v[120:123], off, off offset:368
	scratch_load_b128 v[124:127], off, off offset:528
	s_mov_b32 s0, exec_lo
	ds_load_b128 v[128:131], v1 offset:976
	s_wait_loadcnt_dscnt 0xa02
	v_mul_f64_e32 v[31:32], v[114:115], v[4:5]
	v_mul_f64_e32 v[4:5], v[112:113], v[4:5]
	s_wait_loadcnt_dscnt 0x901
	v_mul_f64_e32 v[132:133], v[116:117], v[8:9]
	v_mul_f64_e32 v[8:9], v[118:119], v[8:9]
	s_delay_alu instid0(VALU_DEP_4) | instskip(NEXT) | instid1(VALU_DEP_4)
	v_fma_f64 v[31:32], v[112:113], v[2:3], -v[31:32]
	v_fma_f64 v[134:135], v[114:115], v[2:3], v[4:5]
	ds_load_b128 v[2:5], v1 offset:960
	scratch_load_b128 v[112:115], off, off offset:544
	v_fma_f64 v[118:119], v[118:119], v[6:7], v[132:133]
	v_fma_f64 v[116:117], v[116:117], v[6:7], -v[8:9]
	scratch_load_b128 v[6:9], off, off offset:560
	s_wait_loadcnt_dscnt 0xa00
	v_mul_f64_e32 v[136:137], v[2:3], v[12:13]
	v_mul_f64_e32 v[12:13], v[4:5], v[12:13]
	v_add_f64_e32 v[31:32], 0, v[31:32]
	v_add_f64_e32 v[132:133], 0, v[134:135]
	s_wait_loadcnt 0x9
	v_mul_f64_e32 v[134:135], v[128:129], v[16:17]
	v_mul_f64_e32 v[16:17], v[130:131], v[16:17]
	v_fma_f64 v[136:137], v[4:5], v[10:11], v[136:137]
	v_fma_f64 v[138:139], v[2:3], v[10:11], -v[12:13]
	ds_load_b128 v[2:5], v1 offset:992
	ds_load_b128 v[10:13], v1 offset:1008
	v_add_f64_e32 v[31:32], v[31:32], v[116:117]
	v_add_f64_e32 v[116:117], v[132:133], v[118:119]
	v_fma_f64 v[130:131], v[130:131], v[14:15], v[134:135]
	v_fma_f64 v[14:15], v[128:129], v[14:15], -v[16:17]
	s_wait_loadcnt_dscnt 0x801
	v_mul_f64_e32 v[118:119], v[2:3], v[20:21]
	v_mul_f64_e32 v[20:21], v[4:5], v[20:21]
	v_add_f64_e32 v[16:17], v[31:32], v[138:139]
	v_add_f64_e32 v[31:32], v[116:117], v[136:137]
	s_wait_loadcnt_dscnt 0x700
	v_mul_f64_e32 v[116:117], v[10:11], v[24:25]
	v_mul_f64_e32 v[24:25], v[12:13], v[24:25]
	v_fma_f64 v[118:119], v[4:5], v[18:19], v[118:119]
	v_fma_f64 v[18:19], v[2:3], v[18:19], -v[20:21]
	v_add_f64_e32 v[20:21], v[16:17], v[14:15]
	v_add_f64_e32 v[31:32], v[31:32], v[130:131]
	ds_load_b128 v[2:5], v1 offset:1024
	ds_load_b128 v[14:17], v1 offset:1040
	v_fma_f64 v[12:13], v[12:13], v[22:23], v[116:117]
	v_fma_f64 v[10:11], v[10:11], v[22:23], -v[24:25]
	s_wait_loadcnt_dscnt 0x601
	v_mul_f64_e32 v[128:129], v[2:3], v[29:30]
	v_mul_f64_e32 v[29:30], v[4:5], v[29:30]
	s_wait_loadcnt_dscnt 0x500
	v_mul_f64_e32 v[22:23], v[14:15], v[106:107]
	v_mul_f64_e32 v[24:25], v[16:17], v[106:107]
	v_add_f64_e32 v[18:19], v[20:21], v[18:19]
	v_add_f64_e32 v[20:21], v[31:32], v[118:119]
	v_fma_f64 v[31:32], v[4:5], v[27:28], v[128:129]
	v_fma_f64 v[27:28], v[2:3], v[27:28], -v[29:30]
	v_fma_f64 v[16:17], v[16:17], v[104:105], v[22:23]
	v_fma_f64 v[14:15], v[14:15], v[104:105], -v[24:25]
	v_add_f64_e32 v[18:19], v[18:19], v[10:11]
	v_add_f64_e32 v[20:21], v[20:21], v[12:13]
	ds_load_b128 v[2:5], v1 offset:1056
	ds_load_b128 v[10:13], v1 offset:1072
	s_wait_loadcnt_dscnt 0x401
	v_mul_f64_e32 v[29:30], v[2:3], v[110:111]
	v_mul_f64_e32 v[106:107], v[4:5], v[110:111]
	s_wait_loadcnt_dscnt 0x200
	v_mul_f64_e32 v[22:23], v[10:11], v[126:127]
	v_mul_f64_e32 v[24:25], v[12:13], v[126:127]
	v_add_f64_e32 v[18:19], v[18:19], v[27:28]
	v_add_f64_e32 v[20:21], v[20:21], v[31:32]
	v_fma_f64 v[27:28], v[4:5], v[108:109], v[29:30]
	v_fma_f64 v[29:30], v[2:3], v[108:109], -v[106:107]
	v_fma_f64 v[12:13], v[12:13], v[124:125], v[22:23]
	v_fma_f64 v[10:11], v[10:11], v[124:125], -v[24:25]
	v_add_f64_e32 v[18:19], v[18:19], v[14:15]
	v_add_f64_e32 v[20:21], v[20:21], v[16:17]
	ds_load_b128 v[2:5], v1 offset:1088
	ds_load_b128 v[14:17], v1 offset:1104
	s_wait_loadcnt_dscnt 0x101
	v_mul_f64_e32 v[31:32], v[2:3], v[114:115]
	v_mul_f64_e32 v[104:105], v[4:5], v[114:115]
	s_wait_loadcnt_dscnt 0x0
	v_mul_f64_e32 v[22:23], v[14:15], v[8:9]
	v_mul_f64_e32 v[8:9], v[16:17], v[8:9]
	v_add_f64_e32 v[18:19], v[18:19], v[29:30]
	v_add_f64_e32 v[20:21], v[20:21], v[27:28]
	v_fma_f64 v[4:5], v[4:5], v[112:113], v[31:32]
	v_fma_f64 v[1:2], v[2:3], v[112:113], -v[104:105]
	v_fma_f64 v[16:17], v[16:17], v[6:7], v[22:23]
	v_fma_f64 v[6:7], v[14:15], v[6:7], -v[8:9]
	v_add_f64_e32 v[10:11], v[18:19], v[10:11]
	v_add_f64_e32 v[12:13], v[20:21], v[12:13]
	s_delay_alu instid0(VALU_DEP_2) | instskip(NEXT) | instid1(VALU_DEP_2)
	v_add_f64_e32 v[1:2], v[10:11], v[1:2]
	v_add_f64_e32 v[3:4], v[12:13], v[4:5]
	s_delay_alu instid0(VALU_DEP_2) | instskip(NEXT) | instid1(VALU_DEP_2)
	;; [unrolled: 3-line block ×3, first 2 shown]
	v_add_f64_e64 v[1:2], v[120:121], -v[1:2]
	v_add_f64_e64 v[3:4], v[122:123], -v[3:4]
	scratch_store_b128 off, v[1:4], off offset:368
	v_cmpx_lt_u32_e32 21, v0
	s_cbranch_execz .LBB98_181
; %bb.180:
	scratch_load_b128 v[1:4], off, s35
	v_mov_b32_e32 v5, 0
	s_delay_alu instid0(VALU_DEP_1)
	v_dual_mov_b32 v6, v5 :: v_dual_mov_b32 v7, v5
	v_mov_b32_e32 v8, v5
	scratch_store_b128 off, v[5:8], off offset:352
	s_wait_loadcnt 0x0
	ds_store_b128 v26, v[1:4]
.LBB98_181:
	s_wait_alu 0xfffe
	s_or_b32 exec_lo, exec_lo, s0
	s_wait_storecnt_dscnt 0x0
	s_barrier_signal -1
	s_barrier_wait -1
	global_inv scope:SCOPE_SE
	s_clause 0x7
	scratch_load_b128 v[2:5], off, off offset:368
	scratch_load_b128 v[6:9], off, off offset:384
	;; [unrolled: 1-line block ×8, first 2 shown]
	v_mov_b32_e32 v1, 0
	s_mov_b32 s0, exec_lo
	ds_load_b128 v[108:111], v1 offset:912
	s_clause 0x1
	scratch_load_b128 v[112:115], off, off offset:496
	scratch_load_b128 v[116:119], off, off offset:352
	ds_load_b128 v[120:123], v1 offset:928
	scratch_load_b128 v[124:127], off, off offset:512
	ds_load_b128 v[128:131], v1 offset:960
	s_wait_loadcnt_dscnt 0xa02
	v_mul_f64_e32 v[31:32], v[110:111], v[4:5]
	v_mul_f64_e32 v[4:5], v[108:109], v[4:5]
	s_delay_alu instid0(VALU_DEP_2) | instskip(NEXT) | instid1(VALU_DEP_2)
	v_fma_f64 v[31:32], v[108:109], v[2:3], -v[31:32]
	v_fma_f64 v[134:135], v[110:111], v[2:3], v[4:5]
	ds_load_b128 v[2:5], v1 offset:944
	s_wait_loadcnt_dscnt 0x902
	v_mul_f64_e32 v[132:133], v[120:121], v[8:9]
	v_mul_f64_e32 v[8:9], v[122:123], v[8:9]
	scratch_load_b128 v[108:111], off, off offset:528
	s_wait_loadcnt_dscnt 0x900
	v_mul_f64_e32 v[136:137], v[2:3], v[12:13]
	v_mul_f64_e32 v[12:13], v[4:5], v[12:13]
	v_add_f64_e32 v[31:32], 0, v[31:32]
	v_fma_f64 v[122:123], v[122:123], v[6:7], v[132:133]
	v_fma_f64 v[120:121], v[120:121], v[6:7], -v[8:9]
	v_add_f64_e32 v[132:133], 0, v[134:135]
	scratch_load_b128 v[6:9], off, off offset:544
	v_fma_f64 v[136:137], v[4:5], v[10:11], v[136:137]
	v_fma_f64 v[138:139], v[2:3], v[10:11], -v[12:13]
	ds_load_b128 v[2:5], v1 offset:976
	s_wait_loadcnt 0x9
	v_mul_f64_e32 v[134:135], v[128:129], v[16:17]
	v_mul_f64_e32 v[16:17], v[130:131], v[16:17]
	scratch_load_b128 v[10:13], off, off offset:560
	v_add_f64_e32 v[31:32], v[31:32], v[120:121]
	v_add_f64_e32 v[132:133], v[132:133], v[122:123]
	s_wait_loadcnt_dscnt 0x900
	v_mul_f64_e32 v[140:141], v[2:3], v[20:21]
	v_mul_f64_e32 v[20:21], v[4:5], v[20:21]
	ds_load_b128 v[120:123], v1 offset:992
	v_fma_f64 v[130:131], v[130:131], v[14:15], v[134:135]
	v_fma_f64 v[14:15], v[128:129], v[14:15], -v[16:17]
	s_wait_loadcnt_dscnt 0x800
	v_mul_f64_e32 v[128:129], v[120:121], v[24:25]
	v_mul_f64_e32 v[24:25], v[122:123], v[24:25]
	v_add_f64_e32 v[16:17], v[31:32], v[138:139]
	v_add_f64_e32 v[31:32], v[132:133], v[136:137]
	v_fma_f64 v[132:133], v[4:5], v[18:19], v[140:141]
	v_fma_f64 v[18:19], v[2:3], v[18:19], -v[20:21]
	v_fma_f64 v[122:123], v[122:123], v[22:23], v[128:129]
	v_fma_f64 v[22:23], v[120:121], v[22:23], -v[24:25]
	v_add_f64_e32 v[20:21], v[16:17], v[14:15]
	v_add_f64_e32 v[31:32], v[31:32], v[130:131]
	ds_load_b128 v[2:5], v1 offset:1008
	ds_load_b128 v[14:17], v1 offset:1024
	s_wait_loadcnt_dscnt 0x701
	v_mul_f64_e32 v[130:131], v[2:3], v[29:30]
	v_mul_f64_e32 v[29:30], v[4:5], v[29:30]
	s_wait_loadcnt_dscnt 0x600
	v_mul_f64_e32 v[24:25], v[14:15], v[106:107]
	v_add_f64_e32 v[18:19], v[20:21], v[18:19]
	v_add_f64_e32 v[20:21], v[31:32], v[132:133]
	v_mul_f64_e32 v[31:32], v[16:17], v[106:107]
	v_fma_f64 v[106:107], v[4:5], v[27:28], v[130:131]
	v_fma_f64 v[27:28], v[2:3], v[27:28], -v[29:30]
	v_fma_f64 v[16:17], v[16:17], v[104:105], v[24:25]
	v_add_f64_e32 v[22:23], v[18:19], v[22:23]
	v_add_f64_e32 v[29:30], v[20:21], v[122:123]
	ds_load_b128 v[2:5], v1 offset:1040
	ds_load_b128 v[18:21], v1 offset:1056
	v_fma_f64 v[14:15], v[14:15], v[104:105], -v[31:32]
	s_wait_loadcnt_dscnt 0x501
	v_mul_f64_e32 v[120:121], v[2:3], v[114:115]
	v_mul_f64_e32 v[114:115], v[4:5], v[114:115]
	v_add_f64_e32 v[22:23], v[22:23], v[27:28]
	v_add_f64_e32 v[24:25], v[29:30], v[106:107]
	s_wait_loadcnt_dscnt 0x300
	v_mul_f64_e32 v[27:28], v[18:19], v[126:127]
	v_mul_f64_e32 v[29:30], v[20:21], v[126:127]
	v_fma_f64 v[31:32], v[4:5], v[112:113], v[120:121]
	v_fma_f64 v[104:105], v[2:3], v[112:113], -v[114:115]
	v_add_f64_e32 v[22:23], v[22:23], v[14:15]
	v_add_f64_e32 v[24:25], v[24:25], v[16:17]
	ds_load_b128 v[2:5], v1 offset:1072
	ds_load_b128 v[14:17], v1 offset:1088
	v_fma_f64 v[20:21], v[20:21], v[124:125], v[27:28]
	v_fma_f64 v[18:19], v[18:19], v[124:125], -v[29:30]
	s_wait_loadcnt_dscnt 0x201
	v_mul_f64_e32 v[106:107], v[2:3], v[110:111]
	v_mul_f64_e32 v[110:111], v[4:5], v[110:111]
	v_add_f64_e32 v[22:23], v[22:23], v[104:105]
	v_add_f64_e32 v[24:25], v[24:25], v[31:32]
	s_wait_loadcnt_dscnt 0x100
	v_mul_f64_e32 v[27:28], v[14:15], v[8:9]
	v_mul_f64_e32 v[8:9], v[16:17], v[8:9]
	v_fma_f64 v[29:30], v[4:5], v[108:109], v[106:107]
	v_fma_f64 v[31:32], v[2:3], v[108:109], -v[110:111]
	ds_load_b128 v[2:5], v1 offset:1104
	v_add_f64_e32 v[18:19], v[22:23], v[18:19]
	v_add_f64_e32 v[20:21], v[24:25], v[20:21]
	s_wait_loadcnt_dscnt 0x0
	v_mul_f64_e32 v[22:23], v[2:3], v[12:13]
	v_mul_f64_e32 v[12:13], v[4:5], v[12:13]
	v_fma_f64 v[16:17], v[16:17], v[6:7], v[27:28]
	v_fma_f64 v[6:7], v[14:15], v[6:7], -v[8:9]
	v_add_f64_e32 v[8:9], v[18:19], v[31:32]
	v_add_f64_e32 v[14:15], v[20:21], v[29:30]
	v_fma_f64 v[4:5], v[4:5], v[10:11], v[22:23]
	v_fma_f64 v[2:3], v[2:3], v[10:11], -v[12:13]
	s_delay_alu instid0(VALU_DEP_4) | instskip(NEXT) | instid1(VALU_DEP_4)
	v_add_f64_e32 v[6:7], v[8:9], v[6:7]
	v_add_f64_e32 v[8:9], v[14:15], v[16:17]
	s_delay_alu instid0(VALU_DEP_2) | instskip(NEXT) | instid1(VALU_DEP_2)
	v_add_f64_e32 v[2:3], v[6:7], v[2:3]
	v_add_f64_e32 v[4:5], v[8:9], v[4:5]
	s_delay_alu instid0(VALU_DEP_2) | instskip(NEXT) | instid1(VALU_DEP_2)
	v_add_f64_e64 v[2:3], v[116:117], -v[2:3]
	v_add_f64_e64 v[4:5], v[118:119], -v[4:5]
	scratch_store_b128 off, v[2:5], off offset:352
	v_cmpx_lt_u32_e32 20, v0
	s_cbranch_execz .LBB98_183
; %bb.182:
	scratch_load_b128 v[5:8], off, s17
	v_dual_mov_b32 v2, v1 :: v_dual_mov_b32 v3, v1
	v_mov_b32_e32 v4, v1
	scratch_store_b128 off, v[1:4], off offset:336
	s_wait_loadcnt 0x0
	ds_store_b128 v26, v[5:8]
.LBB98_183:
	s_wait_alu 0xfffe
	s_or_b32 exec_lo, exec_lo, s0
	s_wait_storecnt_dscnt 0x0
	s_barrier_signal -1
	s_barrier_wait -1
	global_inv scope:SCOPE_SE
	s_clause 0x8
	scratch_load_b128 v[2:5], off, off offset:352
	scratch_load_b128 v[6:9], off, off offset:368
	;; [unrolled: 1-line block ×9, first 2 shown]
	ds_load_b128 v[112:115], v1 offset:896
	ds_load_b128 v[116:119], v1 offset:912
	s_clause 0x1
	scratch_load_b128 v[120:123], off, off offset:336
	scratch_load_b128 v[124:127], off, off offset:496
	s_mov_b32 s0, exec_lo
	ds_load_b128 v[128:131], v1 offset:944
	s_wait_loadcnt_dscnt 0xa02
	v_mul_f64_e32 v[31:32], v[114:115], v[4:5]
	v_mul_f64_e32 v[4:5], v[112:113], v[4:5]
	s_wait_loadcnt_dscnt 0x901
	v_mul_f64_e32 v[132:133], v[116:117], v[8:9]
	v_mul_f64_e32 v[8:9], v[118:119], v[8:9]
	s_delay_alu instid0(VALU_DEP_4) | instskip(NEXT) | instid1(VALU_DEP_4)
	v_fma_f64 v[31:32], v[112:113], v[2:3], -v[31:32]
	v_fma_f64 v[134:135], v[114:115], v[2:3], v[4:5]
	ds_load_b128 v[2:5], v1 offset:928
	scratch_load_b128 v[112:115], off, off offset:512
	v_fma_f64 v[118:119], v[118:119], v[6:7], v[132:133]
	v_fma_f64 v[116:117], v[116:117], v[6:7], -v[8:9]
	scratch_load_b128 v[6:9], off, off offset:528
	s_wait_loadcnt_dscnt 0xa00
	v_mul_f64_e32 v[136:137], v[2:3], v[12:13]
	v_mul_f64_e32 v[12:13], v[4:5], v[12:13]
	v_add_f64_e32 v[31:32], 0, v[31:32]
	v_add_f64_e32 v[132:133], 0, v[134:135]
	s_wait_loadcnt 0x9
	v_mul_f64_e32 v[134:135], v[128:129], v[16:17]
	v_mul_f64_e32 v[16:17], v[130:131], v[16:17]
	v_fma_f64 v[136:137], v[4:5], v[10:11], v[136:137]
	v_fma_f64 v[138:139], v[2:3], v[10:11], -v[12:13]
	ds_load_b128 v[2:5], v1 offset:960
	scratch_load_b128 v[10:13], off, off offset:544
	v_add_f64_e32 v[31:32], v[31:32], v[116:117]
	v_add_f64_e32 v[132:133], v[132:133], v[118:119]
	ds_load_b128 v[116:119], v1 offset:976
	v_fma_f64 v[130:131], v[130:131], v[14:15], v[134:135]
	v_fma_f64 v[128:129], v[128:129], v[14:15], -v[16:17]
	scratch_load_b128 v[14:17], off, off offset:560
	s_wait_loadcnt_dscnt 0xa01
	v_mul_f64_e32 v[140:141], v[2:3], v[20:21]
	v_mul_f64_e32 v[20:21], v[4:5], v[20:21]
	s_wait_loadcnt_dscnt 0x900
	v_mul_f64_e32 v[134:135], v[116:117], v[24:25]
	v_mul_f64_e32 v[24:25], v[118:119], v[24:25]
	v_add_f64_e32 v[31:32], v[31:32], v[138:139]
	v_add_f64_e32 v[132:133], v[132:133], v[136:137]
	v_fma_f64 v[136:137], v[4:5], v[18:19], v[140:141]
	v_fma_f64 v[138:139], v[2:3], v[18:19], -v[20:21]
	ds_load_b128 v[2:5], v1 offset:992
	ds_load_b128 v[18:21], v1 offset:1008
	v_fma_f64 v[118:119], v[118:119], v[22:23], v[134:135]
	v_fma_f64 v[22:23], v[116:117], v[22:23], -v[24:25]
	s_wait_loadcnt_dscnt 0x700
	v_mul_f64_e32 v[116:117], v[18:19], v[106:107]
	v_mul_f64_e32 v[106:107], v[20:21], v[106:107]
	v_add_f64_e32 v[31:32], v[31:32], v[128:129]
	v_add_f64_e32 v[128:129], v[132:133], v[130:131]
	v_mul_f64_e32 v[130:131], v[2:3], v[29:30]
	v_mul_f64_e32 v[29:30], v[4:5], v[29:30]
	v_fma_f64 v[20:21], v[20:21], v[104:105], v[116:117]
	v_fma_f64 v[18:19], v[18:19], v[104:105], -v[106:107]
	v_add_f64_e32 v[24:25], v[31:32], v[138:139]
	v_add_f64_e32 v[31:32], v[128:129], v[136:137]
	v_fma_f64 v[128:129], v[4:5], v[27:28], v[130:131]
	v_fma_f64 v[27:28], v[2:3], v[27:28], -v[29:30]
	s_delay_alu instid0(VALU_DEP_4) | instskip(NEXT) | instid1(VALU_DEP_4)
	v_add_f64_e32 v[29:30], v[24:25], v[22:23]
	v_add_f64_e32 v[31:32], v[31:32], v[118:119]
	ds_load_b128 v[2:5], v1 offset:1024
	ds_load_b128 v[22:25], v1 offset:1040
	s_wait_loadcnt_dscnt 0x601
	v_mul_f64_e32 v[118:119], v[2:3], v[110:111]
	v_mul_f64_e32 v[110:111], v[4:5], v[110:111]
	s_wait_loadcnt_dscnt 0x400
	v_mul_f64_e32 v[104:105], v[24:25], v[126:127]
	v_add_f64_e32 v[27:28], v[29:30], v[27:28]
	v_add_f64_e32 v[29:30], v[31:32], v[128:129]
	v_mul_f64_e32 v[31:32], v[22:23], v[126:127]
	v_fma_f64 v[106:107], v[4:5], v[108:109], v[118:119]
	v_fma_f64 v[108:109], v[2:3], v[108:109], -v[110:111]
	v_fma_f64 v[22:23], v[22:23], v[124:125], -v[104:105]
	v_add_f64_e32 v[27:28], v[27:28], v[18:19]
	v_add_f64_e32 v[29:30], v[29:30], v[20:21]
	ds_load_b128 v[2:5], v1 offset:1056
	ds_load_b128 v[18:21], v1 offset:1072
	v_fma_f64 v[24:25], v[24:25], v[124:125], v[31:32]
	s_wait_loadcnt_dscnt 0x301
	v_mul_f64_e32 v[110:111], v[2:3], v[114:115]
	v_mul_f64_e32 v[114:115], v[4:5], v[114:115]
	s_wait_loadcnt_dscnt 0x200
	v_mul_f64_e32 v[31:32], v[18:19], v[8:9]
	v_mul_f64_e32 v[8:9], v[20:21], v[8:9]
	v_add_f64_e32 v[27:28], v[27:28], v[108:109]
	v_add_f64_e32 v[29:30], v[29:30], v[106:107]
	v_fma_f64 v[104:105], v[4:5], v[112:113], v[110:111]
	v_fma_f64 v[106:107], v[2:3], v[112:113], -v[114:115]
	v_fma_f64 v[20:21], v[20:21], v[6:7], v[31:32]
	v_fma_f64 v[6:7], v[18:19], v[6:7], -v[8:9]
	v_add_f64_e32 v[27:28], v[27:28], v[22:23]
	v_add_f64_e32 v[29:30], v[29:30], v[24:25]
	ds_load_b128 v[2:5], v1 offset:1088
	ds_load_b128 v[22:25], v1 offset:1104
	s_wait_loadcnt_dscnt 0x101
	v_mul_f64_e32 v[108:109], v[2:3], v[12:13]
	v_mul_f64_e32 v[12:13], v[4:5], v[12:13]
	v_add_f64_e32 v[8:9], v[27:28], v[106:107]
	v_add_f64_e32 v[18:19], v[29:30], v[104:105]
	s_wait_loadcnt_dscnt 0x0
	v_mul_f64_e32 v[27:28], v[22:23], v[16:17]
	v_mul_f64_e32 v[16:17], v[24:25], v[16:17]
	v_fma_f64 v[4:5], v[4:5], v[10:11], v[108:109]
	v_fma_f64 v[1:2], v[2:3], v[10:11], -v[12:13]
	v_add_f64_e32 v[6:7], v[8:9], v[6:7]
	v_add_f64_e32 v[8:9], v[18:19], v[20:21]
	v_fma_f64 v[10:11], v[24:25], v[14:15], v[27:28]
	v_fma_f64 v[12:13], v[22:23], v[14:15], -v[16:17]
	s_delay_alu instid0(VALU_DEP_4) | instskip(NEXT) | instid1(VALU_DEP_4)
	v_add_f64_e32 v[1:2], v[6:7], v[1:2]
	v_add_f64_e32 v[3:4], v[8:9], v[4:5]
	s_delay_alu instid0(VALU_DEP_2) | instskip(NEXT) | instid1(VALU_DEP_2)
	v_add_f64_e32 v[1:2], v[1:2], v[12:13]
	v_add_f64_e32 v[3:4], v[3:4], v[10:11]
	s_delay_alu instid0(VALU_DEP_2) | instskip(NEXT) | instid1(VALU_DEP_2)
	v_add_f64_e64 v[1:2], v[120:121], -v[1:2]
	v_add_f64_e64 v[3:4], v[122:123], -v[3:4]
	scratch_store_b128 off, v[1:4], off offset:336
	v_cmpx_lt_u32_e32 19, v0
	s_cbranch_execz .LBB98_185
; %bb.184:
	scratch_load_b128 v[1:4], off, s34
	v_mov_b32_e32 v5, 0
	s_delay_alu instid0(VALU_DEP_1)
	v_dual_mov_b32 v6, v5 :: v_dual_mov_b32 v7, v5
	v_mov_b32_e32 v8, v5
	scratch_store_b128 off, v[5:8], off offset:320
	s_wait_loadcnt 0x0
	ds_store_b128 v26, v[1:4]
.LBB98_185:
	s_wait_alu 0xfffe
	s_or_b32 exec_lo, exec_lo, s0
	s_wait_storecnt_dscnt 0x0
	s_barrier_signal -1
	s_barrier_wait -1
	global_inv scope:SCOPE_SE
	s_clause 0x7
	scratch_load_b128 v[2:5], off, off offset:336
	scratch_load_b128 v[6:9], off, off offset:352
	;; [unrolled: 1-line block ×8, first 2 shown]
	v_mov_b32_e32 v1, 0
	s_mov_b32 s0, exec_lo
	ds_load_b128 v[108:111], v1 offset:880
	s_clause 0x1
	scratch_load_b128 v[112:115], off, off offset:464
	scratch_load_b128 v[116:119], off, off offset:320
	ds_load_b128 v[120:123], v1 offset:896
	scratch_load_b128 v[124:127], off, off offset:480
	ds_load_b128 v[128:131], v1 offset:928
	s_wait_loadcnt_dscnt 0xa02
	v_mul_f64_e32 v[31:32], v[110:111], v[4:5]
	v_mul_f64_e32 v[4:5], v[108:109], v[4:5]
	s_delay_alu instid0(VALU_DEP_2) | instskip(NEXT) | instid1(VALU_DEP_2)
	v_fma_f64 v[31:32], v[108:109], v[2:3], -v[31:32]
	v_fma_f64 v[134:135], v[110:111], v[2:3], v[4:5]
	ds_load_b128 v[2:5], v1 offset:912
	s_wait_loadcnt_dscnt 0x902
	v_mul_f64_e32 v[132:133], v[120:121], v[8:9]
	v_mul_f64_e32 v[8:9], v[122:123], v[8:9]
	scratch_load_b128 v[108:111], off, off offset:496
	s_wait_loadcnt_dscnt 0x900
	v_mul_f64_e32 v[136:137], v[2:3], v[12:13]
	v_mul_f64_e32 v[12:13], v[4:5], v[12:13]
	v_add_f64_e32 v[31:32], 0, v[31:32]
	v_fma_f64 v[122:123], v[122:123], v[6:7], v[132:133]
	v_fma_f64 v[120:121], v[120:121], v[6:7], -v[8:9]
	v_add_f64_e32 v[132:133], 0, v[134:135]
	scratch_load_b128 v[6:9], off, off offset:512
	v_fma_f64 v[136:137], v[4:5], v[10:11], v[136:137]
	v_fma_f64 v[138:139], v[2:3], v[10:11], -v[12:13]
	ds_load_b128 v[2:5], v1 offset:944
	s_wait_loadcnt 0x9
	v_mul_f64_e32 v[134:135], v[128:129], v[16:17]
	v_mul_f64_e32 v[16:17], v[130:131], v[16:17]
	scratch_load_b128 v[10:13], off, off offset:528
	v_add_f64_e32 v[31:32], v[31:32], v[120:121]
	v_add_f64_e32 v[132:133], v[132:133], v[122:123]
	s_wait_loadcnt_dscnt 0x900
	v_mul_f64_e32 v[140:141], v[2:3], v[20:21]
	v_mul_f64_e32 v[20:21], v[4:5], v[20:21]
	ds_load_b128 v[120:123], v1 offset:960
	v_fma_f64 v[130:131], v[130:131], v[14:15], v[134:135]
	v_fma_f64 v[128:129], v[128:129], v[14:15], -v[16:17]
	scratch_load_b128 v[14:17], off, off offset:544
	v_add_f64_e32 v[31:32], v[31:32], v[138:139]
	v_add_f64_e32 v[132:133], v[132:133], v[136:137]
	v_fma_f64 v[136:137], v[4:5], v[18:19], v[140:141]
	v_fma_f64 v[138:139], v[2:3], v[18:19], -v[20:21]
	ds_load_b128 v[2:5], v1 offset:976
	s_wait_loadcnt_dscnt 0x901
	v_mul_f64_e32 v[134:135], v[120:121], v[24:25]
	v_mul_f64_e32 v[24:25], v[122:123], v[24:25]
	scratch_load_b128 v[18:21], off, off offset:560
	s_wait_loadcnt_dscnt 0x900
	v_mul_f64_e32 v[140:141], v[2:3], v[29:30]
	v_mul_f64_e32 v[29:30], v[4:5], v[29:30]
	v_add_f64_e32 v[31:32], v[31:32], v[128:129]
	v_add_f64_e32 v[132:133], v[132:133], v[130:131]
	ds_load_b128 v[128:131], v1 offset:992
	v_fma_f64 v[122:123], v[122:123], v[22:23], v[134:135]
	v_fma_f64 v[22:23], v[120:121], v[22:23], -v[24:25]
	s_wait_loadcnt_dscnt 0x800
	v_mul_f64_e32 v[120:121], v[128:129], v[106:107]
	v_mul_f64_e32 v[106:107], v[130:131], v[106:107]
	v_add_f64_e32 v[24:25], v[31:32], v[138:139]
	v_add_f64_e32 v[31:32], v[132:133], v[136:137]
	v_fma_f64 v[132:133], v[4:5], v[27:28], v[140:141]
	v_fma_f64 v[27:28], v[2:3], v[27:28], -v[29:30]
	v_fma_f64 v[120:121], v[130:131], v[104:105], v[120:121]
	v_fma_f64 v[104:105], v[128:129], v[104:105], -v[106:107]
	v_add_f64_e32 v[29:30], v[24:25], v[22:23]
	v_add_f64_e32 v[31:32], v[31:32], v[122:123]
	ds_load_b128 v[2:5], v1 offset:1008
	ds_load_b128 v[22:25], v1 offset:1024
	s_wait_loadcnt_dscnt 0x701
	v_mul_f64_e32 v[122:123], v[2:3], v[114:115]
	v_mul_f64_e32 v[114:115], v[4:5], v[114:115]
	s_wait_loadcnt_dscnt 0x500
	v_mul_f64_e32 v[106:107], v[24:25], v[126:127]
	v_add_f64_e32 v[27:28], v[29:30], v[27:28]
	v_add_f64_e32 v[29:30], v[31:32], v[132:133]
	v_mul_f64_e32 v[31:32], v[22:23], v[126:127]
	v_fma_f64 v[122:123], v[4:5], v[112:113], v[122:123]
	v_fma_f64 v[112:113], v[2:3], v[112:113], -v[114:115]
	v_fma_f64 v[22:23], v[22:23], v[124:125], -v[106:107]
	v_add_f64_e32 v[104:105], v[27:28], v[104:105]
	v_add_f64_e32 v[114:115], v[29:30], v[120:121]
	ds_load_b128 v[2:5], v1 offset:1040
	ds_load_b128 v[27:30], v1 offset:1056
	v_fma_f64 v[24:25], v[24:25], v[124:125], v[31:32]
	s_wait_loadcnt_dscnt 0x401
	v_mul_f64_e32 v[120:121], v[2:3], v[110:111]
	v_mul_f64_e32 v[110:111], v[4:5], v[110:111]
	v_add_f64_e32 v[31:32], v[104:105], v[112:113]
	v_add_f64_e32 v[104:105], v[114:115], v[122:123]
	s_wait_loadcnt_dscnt 0x300
	v_mul_f64_e32 v[106:107], v[27:28], v[8:9]
	v_mul_f64_e32 v[8:9], v[29:30], v[8:9]
	v_fma_f64 v[112:113], v[4:5], v[108:109], v[120:121]
	v_fma_f64 v[108:109], v[2:3], v[108:109], -v[110:111]
	v_add_f64_e32 v[31:32], v[31:32], v[22:23]
	v_add_f64_e32 v[104:105], v[104:105], v[24:25]
	ds_load_b128 v[2:5], v1 offset:1072
	ds_load_b128 v[22:25], v1 offset:1088
	v_fma_f64 v[29:30], v[29:30], v[6:7], v[106:107]
	v_fma_f64 v[6:7], v[27:28], v[6:7], -v[8:9]
	s_wait_loadcnt_dscnt 0x201
	v_mul_f64_e32 v[110:111], v[2:3], v[12:13]
	v_mul_f64_e32 v[12:13], v[4:5], v[12:13]
	v_add_f64_e32 v[8:9], v[31:32], v[108:109]
	v_add_f64_e32 v[27:28], v[104:105], v[112:113]
	s_wait_loadcnt_dscnt 0x100
	v_mul_f64_e32 v[31:32], v[22:23], v[16:17]
	v_mul_f64_e32 v[16:17], v[24:25], v[16:17]
	v_fma_f64 v[104:105], v[4:5], v[10:11], v[110:111]
	v_fma_f64 v[10:11], v[2:3], v[10:11], -v[12:13]
	ds_load_b128 v[2:5], v1 offset:1104
	v_add_f64_e32 v[6:7], v[8:9], v[6:7]
	v_add_f64_e32 v[8:9], v[27:28], v[29:30]
	v_fma_f64 v[24:25], v[24:25], v[14:15], v[31:32]
	v_fma_f64 v[14:15], v[22:23], v[14:15], -v[16:17]
	s_wait_loadcnt_dscnt 0x0
	v_mul_f64_e32 v[12:13], v[2:3], v[20:21]
	v_mul_f64_e32 v[20:21], v[4:5], v[20:21]
	v_add_f64_e32 v[6:7], v[6:7], v[10:11]
	v_add_f64_e32 v[8:9], v[8:9], v[104:105]
	s_delay_alu instid0(VALU_DEP_4) | instskip(NEXT) | instid1(VALU_DEP_4)
	v_fma_f64 v[4:5], v[4:5], v[18:19], v[12:13]
	v_fma_f64 v[2:3], v[2:3], v[18:19], -v[20:21]
	s_delay_alu instid0(VALU_DEP_4) | instskip(NEXT) | instid1(VALU_DEP_4)
	v_add_f64_e32 v[6:7], v[6:7], v[14:15]
	v_add_f64_e32 v[8:9], v[8:9], v[24:25]
	s_delay_alu instid0(VALU_DEP_2) | instskip(NEXT) | instid1(VALU_DEP_2)
	v_add_f64_e32 v[2:3], v[6:7], v[2:3]
	v_add_f64_e32 v[4:5], v[8:9], v[4:5]
	s_delay_alu instid0(VALU_DEP_2) | instskip(NEXT) | instid1(VALU_DEP_2)
	v_add_f64_e64 v[2:3], v[116:117], -v[2:3]
	v_add_f64_e64 v[4:5], v[118:119], -v[4:5]
	scratch_store_b128 off, v[2:5], off offset:320
	v_cmpx_lt_u32_e32 18, v0
	s_cbranch_execz .LBB98_187
; %bb.186:
	scratch_load_b128 v[5:8], off, s16
	v_dual_mov_b32 v2, v1 :: v_dual_mov_b32 v3, v1
	v_mov_b32_e32 v4, v1
	scratch_store_b128 off, v[1:4], off offset:304
	s_wait_loadcnt 0x0
	ds_store_b128 v26, v[5:8]
.LBB98_187:
	s_wait_alu 0xfffe
	s_or_b32 exec_lo, exec_lo, s0
	s_wait_storecnt_dscnt 0x0
	s_barrier_signal -1
	s_barrier_wait -1
	global_inv scope:SCOPE_SE
	s_clause 0x8
	scratch_load_b128 v[2:5], off, off offset:320
	scratch_load_b128 v[6:9], off, off offset:336
	;; [unrolled: 1-line block ×9, first 2 shown]
	ds_load_b128 v[112:115], v1 offset:864
	ds_load_b128 v[116:119], v1 offset:880
	s_clause 0x1
	scratch_load_b128 v[120:123], off, off offset:304
	scratch_load_b128 v[124:127], off, off offset:464
	s_mov_b32 s0, exec_lo
	ds_load_b128 v[128:131], v1 offset:912
	s_wait_loadcnt_dscnt 0xa02
	v_mul_f64_e32 v[31:32], v[114:115], v[4:5]
	v_mul_f64_e32 v[4:5], v[112:113], v[4:5]
	s_wait_loadcnt_dscnt 0x901
	v_mul_f64_e32 v[132:133], v[116:117], v[8:9]
	v_mul_f64_e32 v[8:9], v[118:119], v[8:9]
	s_delay_alu instid0(VALU_DEP_4) | instskip(NEXT) | instid1(VALU_DEP_4)
	v_fma_f64 v[31:32], v[112:113], v[2:3], -v[31:32]
	v_fma_f64 v[134:135], v[114:115], v[2:3], v[4:5]
	ds_load_b128 v[2:5], v1 offset:896
	scratch_load_b128 v[112:115], off, off offset:480
	v_fma_f64 v[118:119], v[118:119], v[6:7], v[132:133]
	v_fma_f64 v[116:117], v[116:117], v[6:7], -v[8:9]
	scratch_load_b128 v[6:9], off, off offset:496
	s_wait_loadcnt_dscnt 0xa00
	v_mul_f64_e32 v[136:137], v[2:3], v[12:13]
	v_mul_f64_e32 v[12:13], v[4:5], v[12:13]
	v_add_f64_e32 v[31:32], 0, v[31:32]
	v_add_f64_e32 v[132:133], 0, v[134:135]
	s_wait_loadcnt 0x9
	v_mul_f64_e32 v[134:135], v[128:129], v[16:17]
	v_mul_f64_e32 v[16:17], v[130:131], v[16:17]
	v_fma_f64 v[136:137], v[4:5], v[10:11], v[136:137]
	v_fma_f64 v[138:139], v[2:3], v[10:11], -v[12:13]
	ds_load_b128 v[2:5], v1 offset:928
	scratch_load_b128 v[10:13], off, off offset:512
	v_add_f64_e32 v[31:32], v[31:32], v[116:117]
	v_add_f64_e32 v[132:133], v[132:133], v[118:119]
	ds_load_b128 v[116:119], v1 offset:944
	v_fma_f64 v[130:131], v[130:131], v[14:15], v[134:135]
	v_fma_f64 v[128:129], v[128:129], v[14:15], -v[16:17]
	scratch_load_b128 v[14:17], off, off offset:528
	s_wait_loadcnt_dscnt 0xa01
	v_mul_f64_e32 v[140:141], v[2:3], v[20:21]
	v_mul_f64_e32 v[20:21], v[4:5], v[20:21]
	s_wait_loadcnt_dscnt 0x900
	v_mul_f64_e32 v[134:135], v[116:117], v[24:25]
	v_mul_f64_e32 v[24:25], v[118:119], v[24:25]
	v_add_f64_e32 v[31:32], v[31:32], v[138:139]
	v_add_f64_e32 v[132:133], v[132:133], v[136:137]
	v_fma_f64 v[136:137], v[4:5], v[18:19], v[140:141]
	v_fma_f64 v[138:139], v[2:3], v[18:19], -v[20:21]
	ds_load_b128 v[2:5], v1 offset:960
	scratch_load_b128 v[18:21], off, off offset:544
	v_fma_f64 v[118:119], v[118:119], v[22:23], v[134:135]
	v_fma_f64 v[116:117], v[116:117], v[22:23], -v[24:25]
	scratch_load_b128 v[22:25], off, off offset:560
	v_add_f64_e32 v[31:32], v[31:32], v[128:129]
	v_add_f64_e32 v[132:133], v[132:133], v[130:131]
	ds_load_b128 v[128:131], v1 offset:976
	s_wait_loadcnt_dscnt 0xa01
	v_mul_f64_e32 v[140:141], v[2:3], v[29:30]
	v_mul_f64_e32 v[29:30], v[4:5], v[29:30]
	s_wait_loadcnt_dscnt 0x900
	v_mul_f64_e32 v[134:135], v[128:129], v[106:107]
	v_mul_f64_e32 v[106:107], v[130:131], v[106:107]
	v_add_f64_e32 v[31:32], v[31:32], v[138:139]
	v_add_f64_e32 v[132:133], v[132:133], v[136:137]
	v_fma_f64 v[136:137], v[4:5], v[27:28], v[140:141]
	v_fma_f64 v[138:139], v[2:3], v[27:28], -v[29:30]
	ds_load_b128 v[2:5], v1 offset:992
	ds_load_b128 v[27:30], v1 offset:1008
	v_fma_f64 v[130:131], v[130:131], v[104:105], v[134:135]
	v_fma_f64 v[104:105], v[128:129], v[104:105], -v[106:107]
	v_add_f64_e32 v[31:32], v[31:32], v[116:117]
	v_add_f64_e32 v[116:117], v[132:133], v[118:119]
	s_wait_loadcnt_dscnt 0x801
	v_mul_f64_e32 v[118:119], v[2:3], v[110:111]
	v_mul_f64_e32 v[110:111], v[4:5], v[110:111]
	s_delay_alu instid0(VALU_DEP_4) | instskip(NEXT) | instid1(VALU_DEP_4)
	v_add_f64_e32 v[31:32], v[31:32], v[138:139]
	v_add_f64_e32 v[106:107], v[116:117], v[136:137]
	s_wait_loadcnt_dscnt 0x600
	v_mul_f64_e32 v[116:117], v[27:28], v[126:127]
	v_mul_f64_e32 v[126:127], v[29:30], v[126:127]
	v_fma_f64 v[118:119], v[4:5], v[108:109], v[118:119]
	v_fma_f64 v[108:109], v[2:3], v[108:109], -v[110:111]
	v_add_f64_e32 v[31:32], v[31:32], v[104:105]
	v_add_f64_e32 v[110:111], v[106:107], v[130:131]
	ds_load_b128 v[2:5], v1 offset:1024
	ds_load_b128 v[104:107], v1 offset:1040
	v_fma_f64 v[29:30], v[29:30], v[124:125], v[116:117]
	v_fma_f64 v[27:28], v[27:28], v[124:125], -v[126:127]
	s_wait_loadcnt_dscnt 0x501
	v_mul_f64_e32 v[128:129], v[2:3], v[114:115]
	v_mul_f64_e32 v[114:115], v[4:5], v[114:115]
	v_add_f64_e32 v[31:32], v[31:32], v[108:109]
	v_add_f64_e32 v[108:109], v[110:111], v[118:119]
	s_wait_loadcnt_dscnt 0x400
	v_mul_f64_e32 v[110:111], v[104:105], v[8:9]
	v_mul_f64_e32 v[8:9], v[106:107], v[8:9]
	v_fma_f64 v[116:117], v[4:5], v[112:113], v[128:129]
	v_fma_f64 v[112:113], v[2:3], v[112:113], -v[114:115]
	v_add_f64_e32 v[31:32], v[31:32], v[27:28]
	v_add_f64_e32 v[108:109], v[108:109], v[29:30]
	ds_load_b128 v[2:5], v1 offset:1056
	ds_load_b128 v[27:30], v1 offset:1072
	v_fma_f64 v[106:107], v[106:107], v[6:7], v[110:111]
	v_fma_f64 v[6:7], v[104:105], v[6:7], -v[8:9]
	s_wait_loadcnt_dscnt 0x301
	v_mul_f64_e32 v[114:115], v[2:3], v[12:13]
	v_mul_f64_e32 v[12:13], v[4:5], v[12:13]
	s_wait_loadcnt_dscnt 0x200
	v_mul_f64_e32 v[104:105], v[27:28], v[16:17]
	v_mul_f64_e32 v[16:17], v[29:30], v[16:17]
	v_add_f64_e32 v[8:9], v[31:32], v[112:113]
	v_add_f64_e32 v[31:32], v[108:109], v[116:117]
	v_fma_f64 v[108:109], v[4:5], v[10:11], v[114:115]
	v_fma_f64 v[10:11], v[2:3], v[10:11], -v[12:13]
	v_fma_f64 v[29:30], v[29:30], v[14:15], v[104:105]
	v_fma_f64 v[14:15], v[27:28], v[14:15], -v[16:17]
	v_add_f64_e32 v[12:13], v[8:9], v[6:7]
	v_add_f64_e32 v[31:32], v[31:32], v[106:107]
	ds_load_b128 v[2:5], v1 offset:1088
	ds_load_b128 v[6:9], v1 offset:1104
	s_wait_loadcnt_dscnt 0x101
	v_mul_f64_e32 v[106:107], v[2:3], v[20:21]
	v_mul_f64_e32 v[20:21], v[4:5], v[20:21]
	s_wait_loadcnt_dscnt 0x0
	v_mul_f64_e32 v[16:17], v[6:7], v[24:25]
	v_mul_f64_e32 v[24:25], v[8:9], v[24:25]
	v_add_f64_e32 v[10:11], v[12:13], v[10:11]
	v_add_f64_e32 v[12:13], v[31:32], v[108:109]
	v_fma_f64 v[4:5], v[4:5], v[18:19], v[106:107]
	v_fma_f64 v[1:2], v[2:3], v[18:19], -v[20:21]
	v_fma_f64 v[8:9], v[8:9], v[22:23], v[16:17]
	v_fma_f64 v[6:7], v[6:7], v[22:23], -v[24:25]
	v_add_f64_e32 v[10:11], v[10:11], v[14:15]
	v_add_f64_e32 v[12:13], v[12:13], v[29:30]
	s_delay_alu instid0(VALU_DEP_2) | instskip(NEXT) | instid1(VALU_DEP_2)
	v_add_f64_e32 v[1:2], v[10:11], v[1:2]
	v_add_f64_e32 v[3:4], v[12:13], v[4:5]
	s_delay_alu instid0(VALU_DEP_2) | instskip(NEXT) | instid1(VALU_DEP_2)
	;; [unrolled: 3-line block ×3, first 2 shown]
	v_add_f64_e64 v[1:2], v[120:121], -v[1:2]
	v_add_f64_e64 v[3:4], v[122:123], -v[3:4]
	scratch_store_b128 off, v[1:4], off offset:304
	v_cmpx_lt_u32_e32 17, v0
	s_cbranch_execz .LBB98_189
; %bb.188:
	scratch_load_b128 v[1:4], off, s33
	v_mov_b32_e32 v5, 0
	s_delay_alu instid0(VALU_DEP_1)
	v_dual_mov_b32 v6, v5 :: v_dual_mov_b32 v7, v5
	v_mov_b32_e32 v8, v5
	scratch_store_b128 off, v[5:8], off offset:288
	s_wait_loadcnt 0x0
	ds_store_b128 v26, v[1:4]
.LBB98_189:
	s_wait_alu 0xfffe
	s_or_b32 exec_lo, exec_lo, s0
	s_wait_storecnt_dscnt 0x0
	s_barrier_signal -1
	s_barrier_wait -1
	global_inv scope:SCOPE_SE
	s_clause 0x7
	scratch_load_b128 v[2:5], off, off offset:304
	scratch_load_b128 v[6:9], off, off offset:320
	;; [unrolled: 1-line block ×8, first 2 shown]
	v_mov_b32_e32 v1, 0
	s_mov_b32 s0, exec_lo
	ds_load_b128 v[108:111], v1 offset:848
	s_clause 0x1
	scratch_load_b128 v[112:115], off, off offset:432
	scratch_load_b128 v[116:119], off, off offset:288
	ds_load_b128 v[120:123], v1 offset:864
	scratch_load_b128 v[124:127], off, off offset:448
	ds_load_b128 v[128:131], v1 offset:896
	s_wait_loadcnt_dscnt 0xa02
	v_mul_f64_e32 v[31:32], v[110:111], v[4:5]
	v_mul_f64_e32 v[4:5], v[108:109], v[4:5]
	s_delay_alu instid0(VALU_DEP_2) | instskip(NEXT) | instid1(VALU_DEP_2)
	v_fma_f64 v[31:32], v[108:109], v[2:3], -v[31:32]
	v_fma_f64 v[134:135], v[110:111], v[2:3], v[4:5]
	ds_load_b128 v[2:5], v1 offset:880
	s_wait_loadcnt_dscnt 0x902
	v_mul_f64_e32 v[132:133], v[120:121], v[8:9]
	v_mul_f64_e32 v[8:9], v[122:123], v[8:9]
	scratch_load_b128 v[108:111], off, off offset:464
	s_wait_loadcnt_dscnt 0x900
	v_mul_f64_e32 v[136:137], v[2:3], v[12:13]
	v_mul_f64_e32 v[12:13], v[4:5], v[12:13]
	v_add_f64_e32 v[31:32], 0, v[31:32]
	v_fma_f64 v[122:123], v[122:123], v[6:7], v[132:133]
	v_fma_f64 v[120:121], v[120:121], v[6:7], -v[8:9]
	v_add_f64_e32 v[132:133], 0, v[134:135]
	scratch_load_b128 v[6:9], off, off offset:480
	v_fma_f64 v[136:137], v[4:5], v[10:11], v[136:137]
	v_fma_f64 v[138:139], v[2:3], v[10:11], -v[12:13]
	ds_load_b128 v[2:5], v1 offset:912
	s_wait_loadcnt 0x9
	v_mul_f64_e32 v[134:135], v[128:129], v[16:17]
	v_mul_f64_e32 v[16:17], v[130:131], v[16:17]
	scratch_load_b128 v[10:13], off, off offset:496
	v_add_f64_e32 v[31:32], v[31:32], v[120:121]
	v_add_f64_e32 v[132:133], v[132:133], v[122:123]
	s_wait_loadcnt_dscnt 0x900
	v_mul_f64_e32 v[140:141], v[2:3], v[20:21]
	v_mul_f64_e32 v[20:21], v[4:5], v[20:21]
	ds_load_b128 v[120:123], v1 offset:928
	v_fma_f64 v[130:131], v[130:131], v[14:15], v[134:135]
	v_fma_f64 v[128:129], v[128:129], v[14:15], -v[16:17]
	scratch_load_b128 v[14:17], off, off offset:512
	v_add_f64_e32 v[31:32], v[31:32], v[138:139]
	v_add_f64_e32 v[132:133], v[132:133], v[136:137]
	v_fma_f64 v[136:137], v[4:5], v[18:19], v[140:141]
	v_fma_f64 v[138:139], v[2:3], v[18:19], -v[20:21]
	ds_load_b128 v[2:5], v1 offset:944
	s_wait_loadcnt_dscnt 0x901
	v_mul_f64_e32 v[134:135], v[120:121], v[24:25]
	v_mul_f64_e32 v[24:25], v[122:123], v[24:25]
	scratch_load_b128 v[18:21], off, off offset:528
	s_wait_loadcnt_dscnt 0x900
	v_mul_f64_e32 v[140:141], v[2:3], v[29:30]
	v_mul_f64_e32 v[29:30], v[4:5], v[29:30]
	v_add_f64_e32 v[31:32], v[31:32], v[128:129]
	v_add_f64_e32 v[132:133], v[132:133], v[130:131]
	ds_load_b128 v[128:131], v1 offset:960
	v_fma_f64 v[122:123], v[122:123], v[22:23], v[134:135]
	v_fma_f64 v[120:121], v[120:121], v[22:23], -v[24:25]
	scratch_load_b128 v[22:25], off, off offset:544
	v_add_f64_e32 v[31:32], v[31:32], v[138:139]
	v_add_f64_e32 v[132:133], v[132:133], v[136:137]
	v_fma_f64 v[136:137], v[4:5], v[27:28], v[140:141]
	v_fma_f64 v[138:139], v[2:3], v[27:28], -v[29:30]
	ds_load_b128 v[2:5], v1 offset:976
	s_wait_loadcnt_dscnt 0x901
	v_mul_f64_e32 v[134:135], v[128:129], v[106:107]
	v_mul_f64_e32 v[106:107], v[130:131], v[106:107]
	scratch_load_b128 v[27:30], off, off offset:560
	s_wait_loadcnt_dscnt 0x900
	v_mul_f64_e32 v[140:141], v[2:3], v[114:115]
	v_mul_f64_e32 v[114:115], v[4:5], v[114:115]
	v_add_f64_e32 v[31:32], v[31:32], v[120:121]
	v_add_f64_e32 v[132:133], v[132:133], v[122:123]
	ds_load_b128 v[120:123], v1 offset:992
	v_fma_f64 v[130:131], v[130:131], v[104:105], v[134:135]
	v_fma_f64 v[104:105], v[128:129], v[104:105], -v[106:107]
	s_wait_loadcnt_dscnt 0x700
	v_mul_f64_e32 v[128:129], v[120:121], v[126:127]
	v_mul_f64_e32 v[126:127], v[122:123], v[126:127]
	v_add_f64_e32 v[31:32], v[31:32], v[138:139]
	v_add_f64_e32 v[106:107], v[132:133], v[136:137]
	v_fma_f64 v[132:133], v[4:5], v[112:113], v[140:141]
	v_fma_f64 v[112:113], v[2:3], v[112:113], -v[114:115]
	v_fma_f64 v[122:123], v[122:123], v[124:125], v[128:129]
	v_fma_f64 v[120:121], v[120:121], v[124:125], -v[126:127]
	v_add_f64_e32 v[31:32], v[31:32], v[104:105]
	v_add_f64_e32 v[114:115], v[106:107], v[130:131]
	ds_load_b128 v[2:5], v1 offset:1008
	ds_load_b128 v[104:107], v1 offset:1024
	s_wait_loadcnt_dscnt 0x601
	v_mul_f64_e32 v[130:131], v[2:3], v[110:111]
	v_mul_f64_e32 v[110:111], v[4:5], v[110:111]
	v_add_f64_e32 v[31:32], v[31:32], v[112:113]
	v_add_f64_e32 v[112:113], v[114:115], v[132:133]
	s_wait_loadcnt_dscnt 0x500
	v_mul_f64_e32 v[114:115], v[104:105], v[8:9]
	v_mul_f64_e32 v[8:9], v[106:107], v[8:9]
	v_fma_f64 v[124:125], v[4:5], v[108:109], v[130:131]
	v_fma_f64 v[126:127], v[2:3], v[108:109], -v[110:111]
	ds_load_b128 v[2:5], v1 offset:1040
	ds_load_b128 v[108:111], v1 offset:1056
	v_add_f64_e32 v[31:32], v[31:32], v[120:121]
	v_add_f64_e32 v[112:113], v[112:113], v[122:123]
	s_wait_loadcnt_dscnt 0x401
	v_mul_f64_e32 v[120:121], v[2:3], v[12:13]
	v_mul_f64_e32 v[12:13], v[4:5], v[12:13]
	v_fma_f64 v[106:107], v[106:107], v[6:7], v[114:115]
	v_fma_f64 v[6:7], v[104:105], v[6:7], -v[8:9]
	v_add_f64_e32 v[8:9], v[31:32], v[126:127]
	v_add_f64_e32 v[31:32], v[112:113], v[124:125]
	s_wait_loadcnt_dscnt 0x300
	v_mul_f64_e32 v[104:105], v[108:109], v[16:17]
	v_mul_f64_e32 v[16:17], v[110:111], v[16:17]
	v_fma_f64 v[112:113], v[4:5], v[10:11], v[120:121]
	v_fma_f64 v[10:11], v[2:3], v[10:11], -v[12:13]
	v_add_f64_e32 v[12:13], v[8:9], v[6:7]
	v_add_f64_e32 v[31:32], v[31:32], v[106:107]
	ds_load_b128 v[2:5], v1 offset:1072
	ds_load_b128 v[6:9], v1 offset:1088
	v_fma_f64 v[104:105], v[110:111], v[14:15], v[104:105]
	v_fma_f64 v[14:15], v[108:109], v[14:15], -v[16:17]
	s_wait_loadcnt_dscnt 0x201
	v_mul_f64_e32 v[106:107], v[2:3], v[20:21]
	v_mul_f64_e32 v[20:21], v[4:5], v[20:21]
	s_wait_loadcnt_dscnt 0x100
	v_mul_f64_e32 v[16:17], v[6:7], v[24:25]
	v_mul_f64_e32 v[24:25], v[8:9], v[24:25]
	v_add_f64_e32 v[10:11], v[12:13], v[10:11]
	v_add_f64_e32 v[12:13], v[31:32], v[112:113]
	v_fma_f64 v[31:32], v[4:5], v[18:19], v[106:107]
	v_fma_f64 v[18:19], v[2:3], v[18:19], -v[20:21]
	ds_load_b128 v[2:5], v1 offset:1104
	v_fma_f64 v[8:9], v[8:9], v[22:23], v[16:17]
	v_fma_f64 v[6:7], v[6:7], v[22:23], -v[24:25]
	v_add_f64_e32 v[10:11], v[10:11], v[14:15]
	v_add_f64_e32 v[12:13], v[12:13], v[104:105]
	s_wait_loadcnt_dscnt 0x0
	v_mul_f64_e32 v[14:15], v[2:3], v[29:30]
	v_mul_f64_e32 v[20:21], v[4:5], v[29:30]
	s_delay_alu instid0(VALU_DEP_4) | instskip(NEXT) | instid1(VALU_DEP_4)
	v_add_f64_e32 v[10:11], v[10:11], v[18:19]
	v_add_f64_e32 v[12:13], v[12:13], v[31:32]
	s_delay_alu instid0(VALU_DEP_4) | instskip(NEXT) | instid1(VALU_DEP_4)
	v_fma_f64 v[4:5], v[4:5], v[27:28], v[14:15]
	v_fma_f64 v[2:3], v[2:3], v[27:28], -v[20:21]
	s_delay_alu instid0(VALU_DEP_4) | instskip(NEXT) | instid1(VALU_DEP_4)
	v_add_f64_e32 v[6:7], v[10:11], v[6:7]
	v_add_f64_e32 v[8:9], v[12:13], v[8:9]
	s_delay_alu instid0(VALU_DEP_2) | instskip(NEXT) | instid1(VALU_DEP_2)
	v_add_f64_e32 v[2:3], v[6:7], v[2:3]
	v_add_f64_e32 v[4:5], v[8:9], v[4:5]
	s_delay_alu instid0(VALU_DEP_2) | instskip(NEXT) | instid1(VALU_DEP_2)
	v_add_f64_e64 v[2:3], v[116:117], -v[2:3]
	v_add_f64_e64 v[4:5], v[118:119], -v[4:5]
	scratch_store_b128 off, v[2:5], off offset:288
	v_cmpx_lt_u32_e32 16, v0
	s_cbranch_execz .LBB98_191
; %bb.190:
	scratch_load_b128 v[5:8], off, s15
	v_dual_mov_b32 v2, v1 :: v_dual_mov_b32 v3, v1
	v_mov_b32_e32 v4, v1
	scratch_store_b128 off, v[1:4], off offset:272
	s_wait_loadcnt 0x0
	ds_store_b128 v26, v[5:8]
.LBB98_191:
	s_wait_alu 0xfffe
	s_or_b32 exec_lo, exec_lo, s0
	s_wait_storecnt_dscnt 0x0
	s_barrier_signal -1
	s_barrier_wait -1
	global_inv scope:SCOPE_SE
	s_clause 0x8
	scratch_load_b128 v[2:5], off, off offset:288
	scratch_load_b128 v[6:9], off, off offset:304
	;; [unrolled: 1-line block ×9, first 2 shown]
	ds_load_b128 v[112:115], v1 offset:832
	ds_load_b128 v[116:119], v1 offset:848
	s_clause 0x1
	scratch_load_b128 v[120:123], off, off offset:272
	scratch_load_b128 v[124:127], off, off offset:432
	s_mov_b32 s0, exec_lo
	ds_load_b128 v[128:131], v1 offset:880
	s_wait_loadcnt_dscnt 0xa02
	v_mul_f64_e32 v[31:32], v[114:115], v[4:5]
	v_mul_f64_e32 v[4:5], v[112:113], v[4:5]
	s_wait_loadcnt_dscnt 0x901
	v_mul_f64_e32 v[132:133], v[116:117], v[8:9]
	v_mul_f64_e32 v[8:9], v[118:119], v[8:9]
	s_delay_alu instid0(VALU_DEP_4) | instskip(NEXT) | instid1(VALU_DEP_4)
	v_fma_f64 v[31:32], v[112:113], v[2:3], -v[31:32]
	v_fma_f64 v[134:135], v[114:115], v[2:3], v[4:5]
	ds_load_b128 v[2:5], v1 offset:864
	scratch_load_b128 v[112:115], off, off offset:448
	v_fma_f64 v[118:119], v[118:119], v[6:7], v[132:133]
	v_fma_f64 v[116:117], v[116:117], v[6:7], -v[8:9]
	scratch_load_b128 v[6:9], off, off offset:464
	s_wait_loadcnt_dscnt 0xa00
	v_mul_f64_e32 v[136:137], v[2:3], v[12:13]
	v_mul_f64_e32 v[12:13], v[4:5], v[12:13]
	v_add_f64_e32 v[31:32], 0, v[31:32]
	v_add_f64_e32 v[132:133], 0, v[134:135]
	s_wait_loadcnt 0x9
	v_mul_f64_e32 v[134:135], v[128:129], v[16:17]
	v_mul_f64_e32 v[16:17], v[130:131], v[16:17]
	v_fma_f64 v[136:137], v[4:5], v[10:11], v[136:137]
	v_fma_f64 v[138:139], v[2:3], v[10:11], -v[12:13]
	ds_load_b128 v[2:5], v1 offset:896
	scratch_load_b128 v[10:13], off, off offset:480
	v_add_f64_e32 v[31:32], v[31:32], v[116:117]
	v_add_f64_e32 v[132:133], v[132:133], v[118:119]
	ds_load_b128 v[116:119], v1 offset:912
	v_fma_f64 v[130:131], v[130:131], v[14:15], v[134:135]
	v_fma_f64 v[128:129], v[128:129], v[14:15], -v[16:17]
	scratch_load_b128 v[14:17], off, off offset:496
	s_wait_loadcnt_dscnt 0xa01
	v_mul_f64_e32 v[140:141], v[2:3], v[20:21]
	v_mul_f64_e32 v[20:21], v[4:5], v[20:21]
	s_wait_loadcnt_dscnt 0x900
	v_mul_f64_e32 v[134:135], v[116:117], v[24:25]
	v_mul_f64_e32 v[24:25], v[118:119], v[24:25]
	v_add_f64_e32 v[31:32], v[31:32], v[138:139]
	v_add_f64_e32 v[132:133], v[132:133], v[136:137]
	v_fma_f64 v[136:137], v[4:5], v[18:19], v[140:141]
	v_fma_f64 v[138:139], v[2:3], v[18:19], -v[20:21]
	ds_load_b128 v[2:5], v1 offset:928
	scratch_load_b128 v[18:21], off, off offset:512
	v_fma_f64 v[118:119], v[118:119], v[22:23], v[134:135]
	v_fma_f64 v[116:117], v[116:117], v[22:23], -v[24:25]
	scratch_load_b128 v[22:25], off, off offset:528
	v_add_f64_e32 v[31:32], v[31:32], v[128:129]
	v_add_f64_e32 v[132:133], v[132:133], v[130:131]
	ds_load_b128 v[128:131], v1 offset:944
	s_wait_loadcnt_dscnt 0xa01
	v_mul_f64_e32 v[140:141], v[2:3], v[29:30]
	v_mul_f64_e32 v[29:30], v[4:5], v[29:30]
	s_wait_loadcnt_dscnt 0x900
	v_mul_f64_e32 v[134:135], v[128:129], v[106:107]
	v_mul_f64_e32 v[106:107], v[130:131], v[106:107]
	v_add_f64_e32 v[31:32], v[31:32], v[138:139]
	v_add_f64_e32 v[132:133], v[132:133], v[136:137]
	v_fma_f64 v[136:137], v[4:5], v[27:28], v[140:141]
	v_fma_f64 v[138:139], v[2:3], v[27:28], -v[29:30]
	ds_load_b128 v[2:5], v1 offset:960
	scratch_load_b128 v[27:30], off, off offset:544
	v_fma_f64 v[130:131], v[130:131], v[104:105], v[134:135]
	v_fma_f64 v[128:129], v[128:129], v[104:105], -v[106:107]
	scratch_load_b128 v[104:107], off, off offset:560
	v_add_f64_e32 v[31:32], v[31:32], v[116:117]
	v_add_f64_e32 v[132:133], v[132:133], v[118:119]
	ds_load_b128 v[116:119], v1 offset:976
	s_wait_loadcnt_dscnt 0xa01
	v_mul_f64_e32 v[140:141], v[2:3], v[110:111]
	v_mul_f64_e32 v[110:111], v[4:5], v[110:111]
	s_wait_loadcnt_dscnt 0x800
	v_mul_f64_e32 v[134:135], v[116:117], v[126:127]
	v_mul_f64_e32 v[126:127], v[118:119], v[126:127]
	v_add_f64_e32 v[31:32], v[31:32], v[138:139]
	v_add_f64_e32 v[132:133], v[132:133], v[136:137]
	v_fma_f64 v[136:137], v[4:5], v[108:109], v[140:141]
	v_fma_f64 v[138:139], v[2:3], v[108:109], -v[110:111]
	ds_load_b128 v[2:5], v1 offset:992
	ds_load_b128 v[108:111], v1 offset:1008
	v_fma_f64 v[118:119], v[118:119], v[124:125], v[134:135]
	v_fma_f64 v[116:117], v[116:117], v[124:125], -v[126:127]
	v_add_f64_e32 v[31:32], v[31:32], v[128:129]
	v_add_f64_e32 v[128:129], v[132:133], v[130:131]
	s_wait_loadcnt_dscnt 0x701
	v_mul_f64_e32 v[130:131], v[2:3], v[114:115]
	v_mul_f64_e32 v[114:115], v[4:5], v[114:115]
	s_wait_loadcnt_dscnt 0x600
	v_mul_f64_e32 v[126:127], v[108:109], v[8:9]
	v_mul_f64_e32 v[8:9], v[110:111], v[8:9]
	v_add_f64_e32 v[31:32], v[31:32], v[138:139]
	v_add_f64_e32 v[124:125], v[128:129], v[136:137]
	v_fma_f64 v[128:129], v[4:5], v[112:113], v[130:131]
	v_fma_f64 v[130:131], v[2:3], v[112:113], -v[114:115]
	ds_load_b128 v[2:5], v1 offset:1024
	ds_load_b128 v[112:115], v1 offset:1040
	v_fma_f64 v[110:111], v[110:111], v[6:7], v[126:127]
	v_fma_f64 v[6:7], v[108:109], v[6:7], -v[8:9]
	v_add_f64_e32 v[31:32], v[31:32], v[116:117]
	v_add_f64_e32 v[116:117], v[124:125], v[118:119]
	s_wait_loadcnt_dscnt 0x501
	v_mul_f64_e32 v[118:119], v[2:3], v[12:13]
	v_mul_f64_e32 v[12:13], v[4:5], v[12:13]
	s_wait_loadcnt_dscnt 0x400
	v_mul_f64_e32 v[108:109], v[112:113], v[16:17]
	v_mul_f64_e32 v[16:17], v[114:115], v[16:17]
	v_add_f64_e32 v[8:9], v[31:32], v[130:131]
	v_add_f64_e32 v[31:32], v[116:117], v[128:129]
	v_fma_f64 v[116:117], v[4:5], v[10:11], v[118:119]
	v_fma_f64 v[10:11], v[2:3], v[10:11], -v[12:13]
	v_fma_f64 v[108:109], v[114:115], v[14:15], v[108:109]
	v_fma_f64 v[14:15], v[112:113], v[14:15], -v[16:17]
	v_add_f64_e32 v[12:13], v[8:9], v[6:7]
	v_add_f64_e32 v[31:32], v[31:32], v[110:111]
	ds_load_b128 v[2:5], v1 offset:1056
	ds_load_b128 v[6:9], v1 offset:1072
	s_wait_loadcnt_dscnt 0x301
	v_mul_f64_e32 v[110:111], v[2:3], v[20:21]
	v_mul_f64_e32 v[20:21], v[4:5], v[20:21]
	s_wait_loadcnt_dscnt 0x200
	v_mul_f64_e32 v[16:17], v[6:7], v[24:25]
	v_mul_f64_e32 v[24:25], v[8:9], v[24:25]
	v_add_f64_e32 v[10:11], v[12:13], v[10:11]
	v_add_f64_e32 v[12:13], v[31:32], v[116:117]
	v_fma_f64 v[31:32], v[4:5], v[18:19], v[110:111]
	v_fma_f64 v[18:19], v[2:3], v[18:19], -v[20:21]
	v_fma_f64 v[8:9], v[8:9], v[22:23], v[16:17]
	v_fma_f64 v[6:7], v[6:7], v[22:23], -v[24:25]
	v_add_f64_e32 v[14:15], v[10:11], v[14:15]
	v_add_f64_e32 v[20:21], v[12:13], v[108:109]
	ds_load_b128 v[2:5], v1 offset:1088
	ds_load_b128 v[10:13], v1 offset:1104
	s_wait_loadcnt_dscnt 0x101
	v_mul_f64_e32 v[108:109], v[2:3], v[29:30]
	v_mul_f64_e32 v[29:30], v[4:5], v[29:30]
	v_add_f64_e32 v[14:15], v[14:15], v[18:19]
	v_add_f64_e32 v[16:17], v[20:21], v[31:32]
	s_wait_loadcnt_dscnt 0x0
	v_mul_f64_e32 v[18:19], v[10:11], v[106:107]
	v_mul_f64_e32 v[20:21], v[12:13], v[106:107]
	v_fma_f64 v[4:5], v[4:5], v[27:28], v[108:109]
	v_fma_f64 v[1:2], v[2:3], v[27:28], -v[29:30]
	v_add_f64_e32 v[6:7], v[14:15], v[6:7]
	v_add_f64_e32 v[8:9], v[16:17], v[8:9]
	v_fma_f64 v[12:13], v[12:13], v[104:105], v[18:19]
	v_fma_f64 v[10:11], v[10:11], v[104:105], -v[20:21]
	s_delay_alu instid0(VALU_DEP_4) | instskip(NEXT) | instid1(VALU_DEP_4)
	v_add_f64_e32 v[1:2], v[6:7], v[1:2]
	v_add_f64_e32 v[3:4], v[8:9], v[4:5]
	s_delay_alu instid0(VALU_DEP_2) | instskip(NEXT) | instid1(VALU_DEP_2)
	v_add_f64_e32 v[1:2], v[1:2], v[10:11]
	v_add_f64_e32 v[3:4], v[3:4], v[12:13]
	s_delay_alu instid0(VALU_DEP_2) | instskip(NEXT) | instid1(VALU_DEP_2)
	v_add_f64_e64 v[1:2], v[120:121], -v[1:2]
	v_add_f64_e64 v[3:4], v[122:123], -v[3:4]
	scratch_store_b128 off, v[1:4], off offset:272
	v_cmpx_lt_u32_e32 15, v0
	s_cbranch_execz .LBB98_193
; %bb.192:
	scratch_load_b128 v[1:4], off, s31
	v_mov_b32_e32 v5, 0
	s_delay_alu instid0(VALU_DEP_1)
	v_dual_mov_b32 v6, v5 :: v_dual_mov_b32 v7, v5
	v_mov_b32_e32 v8, v5
	scratch_store_b128 off, v[5:8], off offset:256
	s_wait_loadcnt 0x0
	ds_store_b128 v26, v[1:4]
.LBB98_193:
	s_wait_alu 0xfffe
	s_or_b32 exec_lo, exec_lo, s0
	s_wait_storecnt_dscnt 0x0
	s_barrier_signal -1
	s_barrier_wait -1
	global_inv scope:SCOPE_SE
	s_clause 0x7
	scratch_load_b128 v[2:5], off, off offset:272
	scratch_load_b128 v[6:9], off, off offset:288
	scratch_load_b128 v[10:13], off, off offset:304
	scratch_load_b128 v[14:17], off, off offset:320
	scratch_load_b128 v[18:21], off, off offset:336
	scratch_load_b128 v[22:25], off, off offset:352
	scratch_load_b128 v[27:30], off, off offset:368
	scratch_load_b128 v[104:107], off, off offset:384
	v_mov_b32_e32 v1, 0
	s_mov_b32 s0, exec_lo
	ds_load_b128 v[108:111], v1 offset:816
	s_clause 0x1
	scratch_load_b128 v[112:115], off, off offset:400
	scratch_load_b128 v[116:119], off, off offset:256
	ds_load_b128 v[120:123], v1 offset:832
	scratch_load_b128 v[124:127], off, off offset:416
	ds_load_b128 v[128:131], v1 offset:864
	s_wait_loadcnt_dscnt 0xa02
	v_mul_f64_e32 v[31:32], v[110:111], v[4:5]
	v_mul_f64_e32 v[4:5], v[108:109], v[4:5]
	s_delay_alu instid0(VALU_DEP_2) | instskip(NEXT) | instid1(VALU_DEP_2)
	v_fma_f64 v[31:32], v[108:109], v[2:3], -v[31:32]
	v_fma_f64 v[134:135], v[110:111], v[2:3], v[4:5]
	ds_load_b128 v[2:5], v1 offset:848
	s_wait_loadcnt_dscnt 0x902
	v_mul_f64_e32 v[132:133], v[120:121], v[8:9]
	v_mul_f64_e32 v[8:9], v[122:123], v[8:9]
	scratch_load_b128 v[108:111], off, off offset:432
	s_wait_loadcnt_dscnt 0x900
	v_mul_f64_e32 v[136:137], v[2:3], v[12:13]
	v_mul_f64_e32 v[12:13], v[4:5], v[12:13]
	v_add_f64_e32 v[31:32], 0, v[31:32]
	v_fma_f64 v[122:123], v[122:123], v[6:7], v[132:133]
	v_fma_f64 v[120:121], v[120:121], v[6:7], -v[8:9]
	v_add_f64_e32 v[132:133], 0, v[134:135]
	scratch_load_b128 v[6:9], off, off offset:448
	v_fma_f64 v[136:137], v[4:5], v[10:11], v[136:137]
	v_fma_f64 v[138:139], v[2:3], v[10:11], -v[12:13]
	ds_load_b128 v[2:5], v1 offset:880
	s_wait_loadcnt 0x9
	v_mul_f64_e32 v[134:135], v[128:129], v[16:17]
	v_mul_f64_e32 v[16:17], v[130:131], v[16:17]
	scratch_load_b128 v[10:13], off, off offset:464
	v_add_f64_e32 v[31:32], v[31:32], v[120:121]
	v_add_f64_e32 v[132:133], v[132:133], v[122:123]
	s_wait_loadcnt_dscnt 0x900
	v_mul_f64_e32 v[140:141], v[2:3], v[20:21]
	v_mul_f64_e32 v[20:21], v[4:5], v[20:21]
	ds_load_b128 v[120:123], v1 offset:896
	v_fma_f64 v[130:131], v[130:131], v[14:15], v[134:135]
	v_fma_f64 v[128:129], v[128:129], v[14:15], -v[16:17]
	scratch_load_b128 v[14:17], off, off offset:480
	v_add_f64_e32 v[31:32], v[31:32], v[138:139]
	v_add_f64_e32 v[132:133], v[132:133], v[136:137]
	v_fma_f64 v[136:137], v[4:5], v[18:19], v[140:141]
	v_fma_f64 v[138:139], v[2:3], v[18:19], -v[20:21]
	ds_load_b128 v[2:5], v1 offset:912
	s_wait_loadcnt_dscnt 0x901
	v_mul_f64_e32 v[134:135], v[120:121], v[24:25]
	v_mul_f64_e32 v[24:25], v[122:123], v[24:25]
	scratch_load_b128 v[18:21], off, off offset:496
	s_wait_loadcnt_dscnt 0x900
	v_mul_f64_e32 v[140:141], v[2:3], v[29:30]
	v_mul_f64_e32 v[29:30], v[4:5], v[29:30]
	v_add_f64_e32 v[31:32], v[31:32], v[128:129]
	v_add_f64_e32 v[132:133], v[132:133], v[130:131]
	ds_load_b128 v[128:131], v1 offset:928
	v_fma_f64 v[122:123], v[122:123], v[22:23], v[134:135]
	v_fma_f64 v[120:121], v[120:121], v[22:23], -v[24:25]
	scratch_load_b128 v[22:25], off, off offset:512
	v_add_f64_e32 v[31:32], v[31:32], v[138:139]
	v_add_f64_e32 v[132:133], v[132:133], v[136:137]
	v_fma_f64 v[136:137], v[4:5], v[27:28], v[140:141]
	v_fma_f64 v[138:139], v[2:3], v[27:28], -v[29:30]
	ds_load_b128 v[2:5], v1 offset:944
	s_wait_loadcnt_dscnt 0x901
	v_mul_f64_e32 v[134:135], v[128:129], v[106:107]
	v_mul_f64_e32 v[106:107], v[130:131], v[106:107]
	scratch_load_b128 v[27:30], off, off offset:528
	s_wait_loadcnt_dscnt 0x900
	v_mul_f64_e32 v[140:141], v[2:3], v[114:115]
	v_mul_f64_e32 v[114:115], v[4:5], v[114:115]
	v_add_f64_e32 v[31:32], v[31:32], v[120:121]
	v_add_f64_e32 v[132:133], v[132:133], v[122:123]
	ds_load_b128 v[120:123], v1 offset:960
	v_fma_f64 v[130:131], v[130:131], v[104:105], v[134:135]
	v_fma_f64 v[128:129], v[128:129], v[104:105], -v[106:107]
	scratch_load_b128 v[104:107], off, off offset:544
	v_add_f64_e32 v[31:32], v[31:32], v[138:139]
	v_add_f64_e32 v[132:133], v[132:133], v[136:137]
	v_fma_f64 v[138:139], v[4:5], v[112:113], v[140:141]
	v_fma_f64 v[140:141], v[2:3], v[112:113], -v[114:115]
	ds_load_b128 v[2:5], v1 offset:976
	s_wait_loadcnt_dscnt 0x801
	v_mul_f64_e32 v[134:135], v[120:121], v[126:127]
	v_mul_f64_e32 v[136:137], v[122:123], v[126:127]
	scratch_load_b128 v[112:115], off, off offset:560
	v_add_f64_e32 v[31:32], v[31:32], v[128:129]
	v_add_f64_e32 v[130:131], v[132:133], v[130:131]
	ds_load_b128 v[126:129], v1 offset:992
	v_fma_f64 v[122:123], v[122:123], v[124:125], v[134:135]
	v_fma_f64 v[120:121], v[120:121], v[124:125], -v[136:137]
	s_wait_loadcnt_dscnt 0x801
	v_mul_f64_e32 v[132:133], v[2:3], v[110:111]
	v_mul_f64_e32 v[110:111], v[4:5], v[110:111]
	v_add_f64_e32 v[31:32], v[31:32], v[140:141]
	v_add_f64_e32 v[124:125], v[130:131], v[138:139]
	s_delay_alu instid0(VALU_DEP_4)
	v_fma_f64 v[132:133], v[4:5], v[108:109], v[132:133]
	s_wait_loadcnt_dscnt 0x700
	v_mul_f64_e32 v[130:131], v[126:127], v[8:9]
	v_mul_f64_e32 v[8:9], v[128:129], v[8:9]
	v_fma_f64 v[134:135], v[2:3], v[108:109], -v[110:111]
	ds_load_b128 v[2:5], v1 offset:1008
	ds_load_b128 v[108:111], v1 offset:1024
	v_add_f64_e32 v[31:32], v[31:32], v[120:121]
	v_add_f64_e32 v[120:121], v[124:125], v[122:123]
	s_wait_loadcnt_dscnt 0x601
	v_mul_f64_e32 v[122:123], v[2:3], v[12:13]
	v_mul_f64_e32 v[12:13], v[4:5], v[12:13]
	v_fma_f64 v[124:125], v[128:129], v[6:7], v[130:131]
	v_fma_f64 v[6:7], v[126:127], v[6:7], -v[8:9]
	v_add_f64_e32 v[8:9], v[31:32], v[134:135]
	v_add_f64_e32 v[31:32], v[120:121], v[132:133]
	s_wait_loadcnt_dscnt 0x500
	v_mul_f64_e32 v[120:121], v[108:109], v[16:17]
	v_mul_f64_e32 v[16:17], v[110:111], v[16:17]
	v_fma_f64 v[122:123], v[4:5], v[10:11], v[122:123]
	v_fma_f64 v[10:11], v[2:3], v[10:11], -v[12:13]
	v_add_f64_e32 v[12:13], v[8:9], v[6:7]
	v_add_f64_e32 v[31:32], v[31:32], v[124:125]
	ds_load_b128 v[2:5], v1 offset:1040
	ds_load_b128 v[6:9], v1 offset:1056
	v_fma_f64 v[110:111], v[110:111], v[14:15], v[120:121]
	v_fma_f64 v[14:15], v[108:109], v[14:15], -v[16:17]
	s_wait_loadcnt_dscnt 0x401
	v_mul_f64_e32 v[124:125], v[2:3], v[20:21]
	v_mul_f64_e32 v[20:21], v[4:5], v[20:21]
	s_wait_loadcnt_dscnt 0x300
	v_mul_f64_e32 v[16:17], v[6:7], v[24:25]
	v_mul_f64_e32 v[24:25], v[8:9], v[24:25]
	v_add_f64_e32 v[10:11], v[12:13], v[10:11]
	v_add_f64_e32 v[12:13], v[31:32], v[122:123]
	v_fma_f64 v[31:32], v[4:5], v[18:19], v[124:125]
	v_fma_f64 v[18:19], v[2:3], v[18:19], -v[20:21]
	v_fma_f64 v[8:9], v[8:9], v[22:23], v[16:17]
	v_fma_f64 v[6:7], v[6:7], v[22:23], -v[24:25]
	v_add_f64_e32 v[14:15], v[10:11], v[14:15]
	v_add_f64_e32 v[20:21], v[12:13], v[110:111]
	ds_load_b128 v[2:5], v1 offset:1072
	ds_load_b128 v[10:13], v1 offset:1088
	s_wait_loadcnt_dscnt 0x201
	v_mul_f64_e32 v[108:109], v[2:3], v[29:30]
	v_mul_f64_e32 v[29:30], v[4:5], v[29:30]
	v_add_f64_e32 v[14:15], v[14:15], v[18:19]
	v_add_f64_e32 v[16:17], v[20:21], v[31:32]
	s_wait_loadcnt_dscnt 0x100
	v_mul_f64_e32 v[18:19], v[10:11], v[106:107]
	v_mul_f64_e32 v[20:21], v[12:13], v[106:107]
	v_fma_f64 v[22:23], v[4:5], v[27:28], v[108:109]
	v_fma_f64 v[24:25], v[2:3], v[27:28], -v[29:30]
	ds_load_b128 v[2:5], v1 offset:1104
	v_add_f64_e32 v[6:7], v[14:15], v[6:7]
	v_add_f64_e32 v[8:9], v[16:17], v[8:9]
	v_fma_f64 v[12:13], v[12:13], v[104:105], v[18:19]
	v_fma_f64 v[10:11], v[10:11], v[104:105], -v[20:21]
	s_wait_loadcnt_dscnt 0x0
	v_mul_f64_e32 v[14:15], v[2:3], v[114:115]
	v_mul_f64_e32 v[16:17], v[4:5], v[114:115]
	v_add_f64_e32 v[6:7], v[6:7], v[24:25]
	v_add_f64_e32 v[8:9], v[8:9], v[22:23]
	s_delay_alu instid0(VALU_DEP_4) | instskip(NEXT) | instid1(VALU_DEP_4)
	v_fma_f64 v[4:5], v[4:5], v[112:113], v[14:15]
	v_fma_f64 v[2:3], v[2:3], v[112:113], -v[16:17]
	s_delay_alu instid0(VALU_DEP_4) | instskip(NEXT) | instid1(VALU_DEP_4)
	v_add_f64_e32 v[6:7], v[6:7], v[10:11]
	v_add_f64_e32 v[8:9], v[8:9], v[12:13]
	s_delay_alu instid0(VALU_DEP_2) | instskip(NEXT) | instid1(VALU_DEP_2)
	v_add_f64_e32 v[2:3], v[6:7], v[2:3]
	v_add_f64_e32 v[4:5], v[8:9], v[4:5]
	s_delay_alu instid0(VALU_DEP_2) | instskip(NEXT) | instid1(VALU_DEP_2)
	v_add_f64_e64 v[2:3], v[116:117], -v[2:3]
	v_add_f64_e64 v[4:5], v[118:119], -v[4:5]
	scratch_store_b128 off, v[2:5], off offset:256
	v_cmpx_lt_u32_e32 14, v0
	s_cbranch_execz .LBB98_195
; %bb.194:
	scratch_load_b128 v[5:8], off, s14
	v_dual_mov_b32 v2, v1 :: v_dual_mov_b32 v3, v1
	v_mov_b32_e32 v4, v1
	scratch_store_b128 off, v[1:4], off offset:240
	s_wait_loadcnt 0x0
	ds_store_b128 v26, v[5:8]
.LBB98_195:
	s_wait_alu 0xfffe
	s_or_b32 exec_lo, exec_lo, s0
	s_wait_storecnt_dscnt 0x0
	s_barrier_signal -1
	s_barrier_wait -1
	global_inv scope:SCOPE_SE
	s_clause 0x8
	scratch_load_b128 v[2:5], off, off offset:256
	scratch_load_b128 v[6:9], off, off offset:272
	;; [unrolled: 1-line block ×9, first 2 shown]
	ds_load_b128 v[112:115], v1 offset:800
	ds_load_b128 v[116:119], v1 offset:816
	s_clause 0x1
	scratch_load_b128 v[120:123], off, off offset:240
	scratch_load_b128 v[124:127], off, off offset:400
	s_mov_b32 s0, exec_lo
	ds_load_b128 v[128:131], v1 offset:848
	s_wait_loadcnt_dscnt 0xa02
	v_mul_f64_e32 v[31:32], v[114:115], v[4:5]
	v_mul_f64_e32 v[4:5], v[112:113], v[4:5]
	s_wait_loadcnt_dscnt 0x901
	v_mul_f64_e32 v[132:133], v[116:117], v[8:9]
	v_mul_f64_e32 v[8:9], v[118:119], v[8:9]
	s_delay_alu instid0(VALU_DEP_4) | instskip(NEXT) | instid1(VALU_DEP_4)
	v_fma_f64 v[31:32], v[112:113], v[2:3], -v[31:32]
	v_fma_f64 v[134:135], v[114:115], v[2:3], v[4:5]
	ds_load_b128 v[2:5], v1 offset:832
	scratch_load_b128 v[112:115], off, off offset:416
	v_fma_f64 v[118:119], v[118:119], v[6:7], v[132:133]
	v_fma_f64 v[116:117], v[116:117], v[6:7], -v[8:9]
	scratch_load_b128 v[6:9], off, off offset:432
	s_wait_loadcnt_dscnt 0xa00
	v_mul_f64_e32 v[136:137], v[2:3], v[12:13]
	v_mul_f64_e32 v[12:13], v[4:5], v[12:13]
	v_add_f64_e32 v[31:32], 0, v[31:32]
	v_add_f64_e32 v[132:133], 0, v[134:135]
	s_wait_loadcnt 0x9
	v_mul_f64_e32 v[134:135], v[128:129], v[16:17]
	v_mul_f64_e32 v[16:17], v[130:131], v[16:17]
	v_fma_f64 v[136:137], v[4:5], v[10:11], v[136:137]
	v_fma_f64 v[138:139], v[2:3], v[10:11], -v[12:13]
	ds_load_b128 v[2:5], v1 offset:864
	scratch_load_b128 v[10:13], off, off offset:448
	v_add_f64_e32 v[31:32], v[31:32], v[116:117]
	v_add_f64_e32 v[132:133], v[132:133], v[118:119]
	ds_load_b128 v[116:119], v1 offset:880
	v_fma_f64 v[130:131], v[130:131], v[14:15], v[134:135]
	v_fma_f64 v[128:129], v[128:129], v[14:15], -v[16:17]
	scratch_load_b128 v[14:17], off, off offset:464
	s_wait_loadcnt_dscnt 0xa01
	v_mul_f64_e32 v[140:141], v[2:3], v[20:21]
	v_mul_f64_e32 v[20:21], v[4:5], v[20:21]
	s_wait_loadcnt_dscnt 0x900
	v_mul_f64_e32 v[134:135], v[116:117], v[24:25]
	v_mul_f64_e32 v[24:25], v[118:119], v[24:25]
	v_add_f64_e32 v[31:32], v[31:32], v[138:139]
	v_add_f64_e32 v[132:133], v[132:133], v[136:137]
	v_fma_f64 v[136:137], v[4:5], v[18:19], v[140:141]
	v_fma_f64 v[138:139], v[2:3], v[18:19], -v[20:21]
	ds_load_b128 v[2:5], v1 offset:896
	scratch_load_b128 v[18:21], off, off offset:480
	v_fma_f64 v[118:119], v[118:119], v[22:23], v[134:135]
	v_fma_f64 v[116:117], v[116:117], v[22:23], -v[24:25]
	scratch_load_b128 v[22:25], off, off offset:496
	v_add_f64_e32 v[31:32], v[31:32], v[128:129]
	v_add_f64_e32 v[132:133], v[132:133], v[130:131]
	ds_load_b128 v[128:131], v1 offset:912
	s_wait_loadcnt_dscnt 0xa01
	v_mul_f64_e32 v[140:141], v[2:3], v[29:30]
	v_mul_f64_e32 v[29:30], v[4:5], v[29:30]
	s_wait_loadcnt_dscnt 0x900
	v_mul_f64_e32 v[134:135], v[128:129], v[106:107]
	v_mul_f64_e32 v[106:107], v[130:131], v[106:107]
	v_add_f64_e32 v[31:32], v[31:32], v[138:139]
	v_add_f64_e32 v[132:133], v[132:133], v[136:137]
	v_fma_f64 v[136:137], v[4:5], v[27:28], v[140:141]
	v_fma_f64 v[138:139], v[2:3], v[27:28], -v[29:30]
	ds_load_b128 v[2:5], v1 offset:928
	scratch_load_b128 v[27:30], off, off offset:512
	v_fma_f64 v[130:131], v[130:131], v[104:105], v[134:135]
	v_fma_f64 v[128:129], v[128:129], v[104:105], -v[106:107]
	scratch_load_b128 v[104:107], off, off offset:528
	v_add_f64_e32 v[31:32], v[31:32], v[116:117]
	v_add_f64_e32 v[132:133], v[132:133], v[118:119]
	ds_load_b128 v[116:119], v1 offset:944
	s_wait_loadcnt_dscnt 0xa01
	v_mul_f64_e32 v[140:141], v[2:3], v[110:111]
	v_mul_f64_e32 v[110:111], v[4:5], v[110:111]
	s_wait_loadcnt_dscnt 0x800
	v_mul_f64_e32 v[134:135], v[116:117], v[126:127]
	v_add_f64_e32 v[31:32], v[31:32], v[138:139]
	v_add_f64_e32 v[132:133], v[132:133], v[136:137]
	v_mul_f64_e32 v[136:137], v[118:119], v[126:127]
	v_fma_f64 v[138:139], v[4:5], v[108:109], v[140:141]
	v_fma_f64 v[140:141], v[2:3], v[108:109], -v[110:111]
	ds_load_b128 v[2:5], v1 offset:960
	scratch_load_b128 v[108:111], off, off offset:544
	v_fma_f64 v[118:119], v[118:119], v[124:125], v[134:135]
	v_add_f64_e32 v[31:32], v[31:32], v[128:129]
	v_add_f64_e32 v[130:131], v[132:133], v[130:131]
	ds_load_b128 v[126:129], v1 offset:976
	v_fma_f64 v[124:125], v[116:117], v[124:125], -v[136:137]
	s_wait_loadcnt_dscnt 0x801
	v_mul_f64_e32 v[132:133], v[2:3], v[114:115]
	v_mul_f64_e32 v[142:143], v[4:5], v[114:115]
	scratch_load_b128 v[114:117], off, off offset:560
	s_wait_loadcnt_dscnt 0x800
	v_mul_f64_e32 v[134:135], v[126:127], v[8:9]
	v_mul_f64_e32 v[8:9], v[128:129], v[8:9]
	v_add_f64_e32 v[31:32], v[31:32], v[140:141]
	v_add_f64_e32 v[130:131], v[130:131], v[138:139]
	v_fma_f64 v[136:137], v[4:5], v[112:113], v[132:133]
	v_fma_f64 v[112:113], v[2:3], v[112:113], -v[142:143]
	v_fma_f64 v[128:129], v[128:129], v[6:7], v[134:135]
	v_fma_f64 v[6:7], v[126:127], v[6:7], -v[8:9]
	v_add_f64_e32 v[31:32], v[31:32], v[124:125]
	v_add_f64_e32 v[118:119], v[130:131], v[118:119]
	ds_load_b128 v[2:5], v1 offset:992
	ds_load_b128 v[130:133], v1 offset:1008
	s_wait_loadcnt_dscnt 0x701
	v_mul_f64_e32 v[124:125], v[2:3], v[12:13]
	v_mul_f64_e32 v[12:13], v[4:5], v[12:13]
	v_add_f64_e32 v[8:9], v[31:32], v[112:113]
	v_add_f64_e32 v[31:32], v[118:119], v[136:137]
	s_wait_loadcnt_dscnt 0x600
	v_mul_f64_e32 v[112:113], v[130:131], v[16:17]
	v_mul_f64_e32 v[16:17], v[132:133], v[16:17]
	v_fma_f64 v[118:119], v[4:5], v[10:11], v[124:125]
	v_fma_f64 v[10:11], v[2:3], v[10:11], -v[12:13]
	v_add_f64_e32 v[12:13], v[8:9], v[6:7]
	v_add_f64_e32 v[31:32], v[31:32], v[128:129]
	ds_load_b128 v[2:5], v1 offset:1024
	ds_load_b128 v[6:9], v1 offset:1040
	v_fma_f64 v[112:113], v[132:133], v[14:15], v[112:113]
	v_fma_f64 v[14:15], v[130:131], v[14:15], -v[16:17]
	s_wait_loadcnt_dscnt 0x501
	v_mul_f64_e32 v[124:125], v[2:3], v[20:21]
	v_mul_f64_e32 v[20:21], v[4:5], v[20:21]
	s_wait_loadcnt_dscnt 0x400
	v_mul_f64_e32 v[16:17], v[6:7], v[24:25]
	v_mul_f64_e32 v[24:25], v[8:9], v[24:25]
	v_add_f64_e32 v[10:11], v[12:13], v[10:11]
	v_add_f64_e32 v[12:13], v[31:32], v[118:119]
	v_fma_f64 v[31:32], v[4:5], v[18:19], v[124:125]
	v_fma_f64 v[18:19], v[2:3], v[18:19], -v[20:21]
	v_fma_f64 v[8:9], v[8:9], v[22:23], v[16:17]
	v_fma_f64 v[6:7], v[6:7], v[22:23], -v[24:25]
	v_add_f64_e32 v[14:15], v[10:11], v[14:15]
	v_add_f64_e32 v[20:21], v[12:13], v[112:113]
	ds_load_b128 v[2:5], v1 offset:1056
	ds_load_b128 v[10:13], v1 offset:1072
	s_wait_loadcnt_dscnt 0x301
	v_mul_f64_e32 v[112:113], v[2:3], v[29:30]
	v_mul_f64_e32 v[29:30], v[4:5], v[29:30]
	v_add_f64_e32 v[14:15], v[14:15], v[18:19]
	v_add_f64_e32 v[16:17], v[20:21], v[31:32]
	s_wait_loadcnt_dscnt 0x200
	v_mul_f64_e32 v[18:19], v[10:11], v[106:107]
	v_mul_f64_e32 v[20:21], v[12:13], v[106:107]
	v_fma_f64 v[22:23], v[4:5], v[27:28], v[112:113]
	v_fma_f64 v[24:25], v[2:3], v[27:28], -v[29:30]
	v_add_f64_e32 v[14:15], v[14:15], v[6:7]
	v_add_f64_e32 v[16:17], v[16:17], v[8:9]
	ds_load_b128 v[2:5], v1 offset:1088
	ds_load_b128 v[6:9], v1 offset:1104
	v_fma_f64 v[12:13], v[12:13], v[104:105], v[18:19]
	v_fma_f64 v[10:11], v[10:11], v[104:105], -v[20:21]
	s_wait_loadcnt_dscnt 0x101
	v_mul_f64_e32 v[27:28], v[2:3], v[110:111]
	v_mul_f64_e32 v[29:30], v[4:5], v[110:111]
	s_wait_loadcnt_dscnt 0x0
	v_mul_f64_e32 v[18:19], v[6:7], v[116:117]
	v_add_f64_e32 v[14:15], v[14:15], v[24:25]
	v_add_f64_e32 v[16:17], v[16:17], v[22:23]
	v_mul_f64_e32 v[20:21], v[8:9], v[116:117]
	v_fma_f64 v[4:5], v[4:5], v[108:109], v[27:28]
	v_fma_f64 v[1:2], v[2:3], v[108:109], -v[29:30]
	v_fma_f64 v[8:9], v[8:9], v[114:115], v[18:19]
	v_add_f64_e32 v[10:11], v[14:15], v[10:11]
	v_add_f64_e32 v[12:13], v[16:17], v[12:13]
	v_fma_f64 v[6:7], v[6:7], v[114:115], -v[20:21]
	s_delay_alu instid0(VALU_DEP_3) | instskip(NEXT) | instid1(VALU_DEP_3)
	v_add_f64_e32 v[1:2], v[10:11], v[1:2]
	v_add_f64_e32 v[3:4], v[12:13], v[4:5]
	s_delay_alu instid0(VALU_DEP_2) | instskip(NEXT) | instid1(VALU_DEP_2)
	v_add_f64_e32 v[1:2], v[1:2], v[6:7]
	v_add_f64_e32 v[3:4], v[3:4], v[8:9]
	s_delay_alu instid0(VALU_DEP_2) | instskip(NEXT) | instid1(VALU_DEP_2)
	v_add_f64_e64 v[1:2], v[120:121], -v[1:2]
	v_add_f64_e64 v[3:4], v[122:123], -v[3:4]
	scratch_store_b128 off, v[1:4], off offset:240
	v_cmpx_lt_u32_e32 13, v0
	s_cbranch_execz .LBB98_197
; %bb.196:
	scratch_load_b128 v[1:4], off, s30
	v_mov_b32_e32 v5, 0
	s_delay_alu instid0(VALU_DEP_1)
	v_dual_mov_b32 v6, v5 :: v_dual_mov_b32 v7, v5
	v_mov_b32_e32 v8, v5
	scratch_store_b128 off, v[5:8], off offset:224
	s_wait_loadcnt 0x0
	ds_store_b128 v26, v[1:4]
.LBB98_197:
	s_wait_alu 0xfffe
	s_or_b32 exec_lo, exec_lo, s0
	s_wait_storecnt_dscnt 0x0
	s_barrier_signal -1
	s_barrier_wait -1
	global_inv scope:SCOPE_SE
	s_clause 0x7
	scratch_load_b128 v[2:5], off, off offset:240
	scratch_load_b128 v[6:9], off, off offset:256
	;; [unrolled: 1-line block ×8, first 2 shown]
	v_mov_b32_e32 v1, 0
	s_mov_b32 s0, exec_lo
	ds_load_b128 v[108:111], v1 offset:784
	s_clause 0x1
	scratch_load_b128 v[112:115], off, off offset:368
	scratch_load_b128 v[116:119], off, off offset:224
	ds_load_b128 v[120:123], v1 offset:800
	scratch_load_b128 v[124:127], off, off offset:384
	ds_load_b128 v[128:131], v1 offset:832
	s_wait_loadcnt_dscnt 0xa02
	v_mul_f64_e32 v[31:32], v[110:111], v[4:5]
	v_mul_f64_e32 v[4:5], v[108:109], v[4:5]
	s_delay_alu instid0(VALU_DEP_2) | instskip(NEXT) | instid1(VALU_DEP_2)
	v_fma_f64 v[31:32], v[108:109], v[2:3], -v[31:32]
	v_fma_f64 v[134:135], v[110:111], v[2:3], v[4:5]
	ds_load_b128 v[2:5], v1 offset:816
	s_wait_loadcnt_dscnt 0x902
	v_mul_f64_e32 v[132:133], v[120:121], v[8:9]
	v_mul_f64_e32 v[8:9], v[122:123], v[8:9]
	scratch_load_b128 v[108:111], off, off offset:400
	s_wait_loadcnt_dscnt 0x900
	v_mul_f64_e32 v[136:137], v[2:3], v[12:13]
	v_mul_f64_e32 v[12:13], v[4:5], v[12:13]
	v_add_f64_e32 v[31:32], 0, v[31:32]
	v_fma_f64 v[122:123], v[122:123], v[6:7], v[132:133]
	v_fma_f64 v[120:121], v[120:121], v[6:7], -v[8:9]
	v_add_f64_e32 v[132:133], 0, v[134:135]
	scratch_load_b128 v[6:9], off, off offset:416
	v_fma_f64 v[136:137], v[4:5], v[10:11], v[136:137]
	v_fma_f64 v[138:139], v[2:3], v[10:11], -v[12:13]
	ds_load_b128 v[2:5], v1 offset:848
	s_wait_loadcnt 0x9
	v_mul_f64_e32 v[134:135], v[128:129], v[16:17]
	v_mul_f64_e32 v[16:17], v[130:131], v[16:17]
	scratch_load_b128 v[10:13], off, off offset:432
	v_add_f64_e32 v[31:32], v[31:32], v[120:121]
	v_add_f64_e32 v[132:133], v[132:133], v[122:123]
	s_wait_loadcnt_dscnt 0x900
	v_mul_f64_e32 v[140:141], v[2:3], v[20:21]
	v_mul_f64_e32 v[20:21], v[4:5], v[20:21]
	ds_load_b128 v[120:123], v1 offset:864
	v_fma_f64 v[130:131], v[130:131], v[14:15], v[134:135]
	v_fma_f64 v[128:129], v[128:129], v[14:15], -v[16:17]
	scratch_load_b128 v[14:17], off, off offset:448
	v_add_f64_e32 v[31:32], v[31:32], v[138:139]
	v_add_f64_e32 v[132:133], v[132:133], v[136:137]
	v_fma_f64 v[136:137], v[4:5], v[18:19], v[140:141]
	v_fma_f64 v[138:139], v[2:3], v[18:19], -v[20:21]
	ds_load_b128 v[2:5], v1 offset:880
	s_wait_loadcnt_dscnt 0x901
	v_mul_f64_e32 v[134:135], v[120:121], v[24:25]
	v_mul_f64_e32 v[24:25], v[122:123], v[24:25]
	scratch_load_b128 v[18:21], off, off offset:464
	s_wait_loadcnt_dscnt 0x900
	v_mul_f64_e32 v[140:141], v[2:3], v[29:30]
	v_mul_f64_e32 v[29:30], v[4:5], v[29:30]
	v_add_f64_e32 v[31:32], v[31:32], v[128:129]
	v_add_f64_e32 v[132:133], v[132:133], v[130:131]
	ds_load_b128 v[128:131], v1 offset:896
	v_fma_f64 v[122:123], v[122:123], v[22:23], v[134:135]
	v_fma_f64 v[120:121], v[120:121], v[22:23], -v[24:25]
	scratch_load_b128 v[22:25], off, off offset:480
	v_add_f64_e32 v[31:32], v[31:32], v[138:139]
	v_add_f64_e32 v[132:133], v[132:133], v[136:137]
	v_fma_f64 v[136:137], v[4:5], v[27:28], v[140:141]
	v_fma_f64 v[138:139], v[2:3], v[27:28], -v[29:30]
	ds_load_b128 v[2:5], v1 offset:912
	s_wait_loadcnt_dscnt 0x901
	v_mul_f64_e32 v[134:135], v[128:129], v[106:107]
	v_mul_f64_e32 v[106:107], v[130:131], v[106:107]
	scratch_load_b128 v[27:30], off, off offset:496
	s_wait_loadcnt_dscnt 0x900
	v_mul_f64_e32 v[140:141], v[2:3], v[114:115]
	v_mul_f64_e32 v[114:115], v[4:5], v[114:115]
	v_add_f64_e32 v[31:32], v[31:32], v[120:121]
	v_add_f64_e32 v[132:133], v[132:133], v[122:123]
	ds_load_b128 v[120:123], v1 offset:928
	v_fma_f64 v[130:131], v[130:131], v[104:105], v[134:135]
	v_fma_f64 v[128:129], v[128:129], v[104:105], -v[106:107]
	scratch_load_b128 v[104:107], off, off offset:512
	v_add_f64_e32 v[31:32], v[31:32], v[138:139]
	v_add_f64_e32 v[132:133], v[132:133], v[136:137]
	v_fma_f64 v[138:139], v[4:5], v[112:113], v[140:141]
	v_fma_f64 v[140:141], v[2:3], v[112:113], -v[114:115]
	ds_load_b128 v[2:5], v1 offset:944
	s_wait_loadcnt_dscnt 0x801
	v_mul_f64_e32 v[134:135], v[120:121], v[126:127]
	v_mul_f64_e32 v[136:137], v[122:123], v[126:127]
	scratch_load_b128 v[112:115], off, off offset:528
	v_add_f64_e32 v[31:32], v[31:32], v[128:129]
	v_add_f64_e32 v[130:131], v[132:133], v[130:131]
	ds_load_b128 v[126:129], v1 offset:960
	v_fma_f64 v[134:135], v[122:123], v[124:125], v[134:135]
	v_fma_f64 v[124:125], v[120:121], v[124:125], -v[136:137]
	scratch_load_b128 v[120:123], off, off offset:544
	s_wait_loadcnt_dscnt 0x901
	v_mul_f64_e32 v[132:133], v[2:3], v[110:111]
	v_mul_f64_e32 v[110:111], v[4:5], v[110:111]
	v_add_f64_e32 v[31:32], v[31:32], v[140:141]
	v_add_f64_e32 v[130:131], v[130:131], v[138:139]
	s_delay_alu instid0(VALU_DEP_4) | instskip(NEXT) | instid1(VALU_DEP_4)
	v_fma_f64 v[138:139], v[4:5], v[108:109], v[132:133]
	v_fma_f64 v[140:141], v[2:3], v[108:109], -v[110:111]
	ds_load_b128 v[2:5], v1 offset:976
	s_wait_loadcnt_dscnt 0x801
	v_mul_f64_e32 v[136:137], v[126:127], v[8:9]
	v_mul_f64_e32 v[8:9], v[128:129], v[8:9]
	scratch_load_b128 v[108:111], off, off offset:560
	v_add_f64_e32 v[31:32], v[31:32], v[124:125]
	v_add_f64_e32 v[124:125], v[130:131], v[134:135]
	s_wait_loadcnt_dscnt 0x800
	v_mul_f64_e32 v[134:135], v[2:3], v[12:13]
	v_mul_f64_e32 v[12:13], v[4:5], v[12:13]
	ds_load_b128 v[130:133], v1 offset:992
	v_fma_f64 v[128:129], v[128:129], v[6:7], v[136:137]
	v_fma_f64 v[6:7], v[126:127], v[6:7], -v[8:9]
	v_add_f64_e32 v[8:9], v[31:32], v[140:141]
	v_add_f64_e32 v[31:32], v[124:125], v[138:139]
	s_wait_loadcnt_dscnt 0x700
	v_mul_f64_e32 v[124:125], v[130:131], v[16:17]
	v_mul_f64_e32 v[16:17], v[132:133], v[16:17]
	v_fma_f64 v[126:127], v[4:5], v[10:11], v[134:135]
	v_fma_f64 v[10:11], v[2:3], v[10:11], -v[12:13]
	v_add_f64_e32 v[12:13], v[8:9], v[6:7]
	v_add_f64_e32 v[31:32], v[31:32], v[128:129]
	ds_load_b128 v[2:5], v1 offset:1008
	ds_load_b128 v[6:9], v1 offset:1024
	v_fma_f64 v[124:125], v[132:133], v[14:15], v[124:125]
	v_fma_f64 v[14:15], v[130:131], v[14:15], -v[16:17]
	s_wait_loadcnt_dscnt 0x601
	v_mul_f64_e32 v[128:129], v[2:3], v[20:21]
	v_mul_f64_e32 v[20:21], v[4:5], v[20:21]
	s_wait_loadcnt_dscnt 0x500
	v_mul_f64_e32 v[16:17], v[6:7], v[24:25]
	v_mul_f64_e32 v[24:25], v[8:9], v[24:25]
	v_add_f64_e32 v[10:11], v[12:13], v[10:11]
	v_add_f64_e32 v[12:13], v[31:32], v[126:127]
	v_fma_f64 v[31:32], v[4:5], v[18:19], v[128:129]
	v_fma_f64 v[18:19], v[2:3], v[18:19], -v[20:21]
	v_fma_f64 v[8:9], v[8:9], v[22:23], v[16:17]
	v_fma_f64 v[6:7], v[6:7], v[22:23], -v[24:25]
	v_add_f64_e32 v[14:15], v[10:11], v[14:15]
	v_add_f64_e32 v[20:21], v[12:13], v[124:125]
	ds_load_b128 v[2:5], v1 offset:1040
	ds_load_b128 v[10:13], v1 offset:1056
	s_wait_loadcnt_dscnt 0x401
	v_mul_f64_e32 v[124:125], v[2:3], v[29:30]
	v_mul_f64_e32 v[29:30], v[4:5], v[29:30]
	v_add_f64_e32 v[14:15], v[14:15], v[18:19]
	v_add_f64_e32 v[16:17], v[20:21], v[31:32]
	s_wait_loadcnt_dscnt 0x300
	v_mul_f64_e32 v[18:19], v[10:11], v[106:107]
	v_mul_f64_e32 v[20:21], v[12:13], v[106:107]
	v_fma_f64 v[22:23], v[4:5], v[27:28], v[124:125]
	v_fma_f64 v[24:25], v[2:3], v[27:28], -v[29:30]
	v_add_f64_e32 v[14:15], v[14:15], v[6:7]
	v_add_f64_e32 v[16:17], v[16:17], v[8:9]
	ds_load_b128 v[2:5], v1 offset:1072
	ds_load_b128 v[6:9], v1 offset:1088
	v_fma_f64 v[12:13], v[12:13], v[104:105], v[18:19]
	v_fma_f64 v[10:11], v[10:11], v[104:105], -v[20:21]
	s_wait_loadcnt_dscnt 0x201
	v_mul_f64_e32 v[27:28], v[2:3], v[114:115]
	v_mul_f64_e32 v[29:30], v[4:5], v[114:115]
	s_wait_loadcnt_dscnt 0x100
	v_mul_f64_e32 v[18:19], v[6:7], v[122:123]
	v_mul_f64_e32 v[20:21], v[8:9], v[122:123]
	v_add_f64_e32 v[14:15], v[14:15], v[24:25]
	v_add_f64_e32 v[16:17], v[16:17], v[22:23]
	v_fma_f64 v[22:23], v[4:5], v[112:113], v[27:28]
	v_fma_f64 v[24:25], v[2:3], v[112:113], -v[29:30]
	ds_load_b128 v[2:5], v1 offset:1104
	v_fma_f64 v[8:9], v[8:9], v[120:121], v[18:19]
	v_fma_f64 v[6:7], v[6:7], v[120:121], -v[20:21]
	v_add_f64_e32 v[10:11], v[14:15], v[10:11]
	v_add_f64_e32 v[12:13], v[16:17], v[12:13]
	s_wait_loadcnt_dscnt 0x0
	v_mul_f64_e32 v[14:15], v[2:3], v[110:111]
	v_mul_f64_e32 v[16:17], v[4:5], v[110:111]
	s_delay_alu instid0(VALU_DEP_4) | instskip(NEXT) | instid1(VALU_DEP_4)
	v_add_f64_e32 v[10:11], v[10:11], v[24:25]
	v_add_f64_e32 v[12:13], v[12:13], v[22:23]
	s_delay_alu instid0(VALU_DEP_4) | instskip(NEXT) | instid1(VALU_DEP_4)
	v_fma_f64 v[4:5], v[4:5], v[108:109], v[14:15]
	v_fma_f64 v[2:3], v[2:3], v[108:109], -v[16:17]
	s_delay_alu instid0(VALU_DEP_4) | instskip(NEXT) | instid1(VALU_DEP_4)
	v_add_f64_e32 v[6:7], v[10:11], v[6:7]
	v_add_f64_e32 v[8:9], v[12:13], v[8:9]
	s_delay_alu instid0(VALU_DEP_2) | instskip(NEXT) | instid1(VALU_DEP_2)
	v_add_f64_e32 v[2:3], v[6:7], v[2:3]
	v_add_f64_e32 v[4:5], v[8:9], v[4:5]
	s_delay_alu instid0(VALU_DEP_2) | instskip(NEXT) | instid1(VALU_DEP_2)
	v_add_f64_e64 v[2:3], v[116:117], -v[2:3]
	v_add_f64_e64 v[4:5], v[118:119], -v[4:5]
	scratch_store_b128 off, v[2:5], off offset:224
	v_cmpx_lt_u32_e32 12, v0
	s_cbranch_execz .LBB98_199
; %bb.198:
	scratch_load_b128 v[5:8], off, s13
	v_dual_mov_b32 v2, v1 :: v_dual_mov_b32 v3, v1
	v_mov_b32_e32 v4, v1
	scratch_store_b128 off, v[1:4], off offset:208
	s_wait_loadcnt 0x0
	ds_store_b128 v26, v[5:8]
.LBB98_199:
	s_wait_alu 0xfffe
	s_or_b32 exec_lo, exec_lo, s0
	s_wait_storecnt_dscnt 0x0
	s_barrier_signal -1
	s_barrier_wait -1
	global_inv scope:SCOPE_SE
	s_clause 0x8
	scratch_load_b128 v[2:5], off, off offset:224
	scratch_load_b128 v[6:9], off, off offset:240
	;; [unrolled: 1-line block ×9, first 2 shown]
	ds_load_b128 v[112:115], v1 offset:768
	ds_load_b128 v[116:119], v1 offset:784
	s_clause 0x1
	scratch_load_b128 v[120:123], off, off offset:208
	scratch_load_b128 v[124:127], off, off offset:368
	s_mov_b32 s0, exec_lo
	ds_load_b128 v[128:131], v1 offset:816
	s_wait_loadcnt_dscnt 0xa02
	v_mul_f64_e32 v[31:32], v[114:115], v[4:5]
	v_mul_f64_e32 v[4:5], v[112:113], v[4:5]
	s_wait_loadcnt_dscnt 0x901
	v_mul_f64_e32 v[132:133], v[116:117], v[8:9]
	v_mul_f64_e32 v[8:9], v[118:119], v[8:9]
	s_delay_alu instid0(VALU_DEP_4) | instskip(NEXT) | instid1(VALU_DEP_4)
	v_fma_f64 v[31:32], v[112:113], v[2:3], -v[31:32]
	v_fma_f64 v[134:135], v[114:115], v[2:3], v[4:5]
	ds_load_b128 v[2:5], v1 offset:800
	scratch_load_b128 v[112:115], off, off offset:384
	v_fma_f64 v[118:119], v[118:119], v[6:7], v[132:133]
	v_fma_f64 v[116:117], v[116:117], v[6:7], -v[8:9]
	scratch_load_b128 v[6:9], off, off offset:400
	s_wait_loadcnt_dscnt 0xa00
	v_mul_f64_e32 v[136:137], v[2:3], v[12:13]
	v_mul_f64_e32 v[12:13], v[4:5], v[12:13]
	v_add_f64_e32 v[31:32], 0, v[31:32]
	v_add_f64_e32 v[132:133], 0, v[134:135]
	s_wait_loadcnt 0x9
	v_mul_f64_e32 v[134:135], v[128:129], v[16:17]
	v_mul_f64_e32 v[16:17], v[130:131], v[16:17]
	v_fma_f64 v[136:137], v[4:5], v[10:11], v[136:137]
	v_fma_f64 v[138:139], v[2:3], v[10:11], -v[12:13]
	ds_load_b128 v[2:5], v1 offset:832
	scratch_load_b128 v[10:13], off, off offset:416
	v_add_f64_e32 v[31:32], v[31:32], v[116:117]
	v_add_f64_e32 v[132:133], v[132:133], v[118:119]
	ds_load_b128 v[116:119], v1 offset:848
	v_fma_f64 v[130:131], v[130:131], v[14:15], v[134:135]
	v_fma_f64 v[128:129], v[128:129], v[14:15], -v[16:17]
	scratch_load_b128 v[14:17], off, off offset:432
	s_wait_loadcnt_dscnt 0xa01
	v_mul_f64_e32 v[140:141], v[2:3], v[20:21]
	v_mul_f64_e32 v[20:21], v[4:5], v[20:21]
	s_wait_loadcnt_dscnt 0x900
	v_mul_f64_e32 v[134:135], v[116:117], v[24:25]
	v_mul_f64_e32 v[24:25], v[118:119], v[24:25]
	v_add_f64_e32 v[31:32], v[31:32], v[138:139]
	v_add_f64_e32 v[132:133], v[132:133], v[136:137]
	v_fma_f64 v[136:137], v[4:5], v[18:19], v[140:141]
	v_fma_f64 v[138:139], v[2:3], v[18:19], -v[20:21]
	ds_load_b128 v[2:5], v1 offset:864
	scratch_load_b128 v[18:21], off, off offset:448
	v_fma_f64 v[118:119], v[118:119], v[22:23], v[134:135]
	v_fma_f64 v[116:117], v[116:117], v[22:23], -v[24:25]
	scratch_load_b128 v[22:25], off, off offset:464
	v_add_f64_e32 v[31:32], v[31:32], v[128:129]
	v_add_f64_e32 v[132:133], v[132:133], v[130:131]
	ds_load_b128 v[128:131], v1 offset:880
	s_wait_loadcnt_dscnt 0xa01
	v_mul_f64_e32 v[140:141], v[2:3], v[29:30]
	v_mul_f64_e32 v[29:30], v[4:5], v[29:30]
	s_wait_loadcnt_dscnt 0x900
	v_mul_f64_e32 v[134:135], v[128:129], v[106:107]
	v_mul_f64_e32 v[106:107], v[130:131], v[106:107]
	v_add_f64_e32 v[31:32], v[31:32], v[138:139]
	v_add_f64_e32 v[132:133], v[132:133], v[136:137]
	v_fma_f64 v[136:137], v[4:5], v[27:28], v[140:141]
	v_fma_f64 v[138:139], v[2:3], v[27:28], -v[29:30]
	ds_load_b128 v[2:5], v1 offset:896
	scratch_load_b128 v[27:30], off, off offset:480
	v_fma_f64 v[130:131], v[130:131], v[104:105], v[134:135]
	v_fma_f64 v[128:129], v[128:129], v[104:105], -v[106:107]
	scratch_load_b128 v[104:107], off, off offset:496
	v_add_f64_e32 v[31:32], v[31:32], v[116:117]
	v_add_f64_e32 v[132:133], v[132:133], v[118:119]
	ds_load_b128 v[116:119], v1 offset:912
	s_wait_loadcnt_dscnt 0xa01
	v_mul_f64_e32 v[140:141], v[2:3], v[110:111]
	v_mul_f64_e32 v[110:111], v[4:5], v[110:111]
	s_wait_loadcnt_dscnt 0x800
	v_mul_f64_e32 v[134:135], v[116:117], v[126:127]
	v_add_f64_e32 v[31:32], v[31:32], v[138:139]
	v_add_f64_e32 v[132:133], v[132:133], v[136:137]
	v_mul_f64_e32 v[136:137], v[118:119], v[126:127]
	v_fma_f64 v[138:139], v[4:5], v[108:109], v[140:141]
	v_fma_f64 v[140:141], v[2:3], v[108:109], -v[110:111]
	ds_load_b128 v[2:5], v1 offset:928
	scratch_load_b128 v[108:111], off, off offset:512
	v_fma_f64 v[118:119], v[118:119], v[124:125], v[134:135]
	v_add_f64_e32 v[31:32], v[31:32], v[128:129]
	v_add_f64_e32 v[130:131], v[132:133], v[130:131]
	ds_load_b128 v[126:129], v1 offset:944
	v_fma_f64 v[124:125], v[116:117], v[124:125], -v[136:137]
	ds_load_b128 v[134:137], v1 offset:976
	s_wait_loadcnt_dscnt 0x802
	v_mul_f64_e32 v[132:133], v[2:3], v[114:115]
	v_mul_f64_e32 v[142:143], v[4:5], v[114:115]
	scratch_load_b128 v[114:117], off, off offset:528
	v_add_f64_e32 v[31:32], v[31:32], v[140:141]
	v_add_f64_e32 v[130:131], v[130:131], v[138:139]
	s_wait_loadcnt_dscnt 0x801
	v_mul_f64_e32 v[138:139], v[126:127], v[8:9]
	v_mul_f64_e32 v[8:9], v[128:129], v[8:9]
	v_fma_f64 v[140:141], v[4:5], v[112:113], v[132:133]
	v_fma_f64 v[112:113], v[2:3], v[112:113], -v[142:143]
	ds_load_b128 v[2:5], v1 offset:960
	v_add_f64_e32 v[31:32], v[31:32], v[124:125]
	v_add_f64_e32 v[118:119], v[130:131], v[118:119]
	scratch_load_b128 v[130:133], off, off offset:544
	s_wait_loadcnt_dscnt 0x800
	v_mul_f64_e32 v[124:125], v[2:3], v[12:13]
	v_mul_f64_e32 v[12:13], v[4:5], v[12:13]
	v_fma_f64 v[128:129], v[128:129], v[6:7], v[138:139]
	v_fma_f64 v[126:127], v[126:127], v[6:7], -v[8:9]
	scratch_load_b128 v[6:9], off, off offset:560
	v_add_f64_e32 v[31:32], v[31:32], v[112:113]
	v_add_f64_e32 v[112:113], v[118:119], v[140:141]
	s_wait_loadcnt 0x8
	v_mul_f64_e32 v[118:119], v[134:135], v[16:17]
	v_mul_f64_e32 v[16:17], v[136:137], v[16:17]
	v_fma_f64 v[124:125], v[4:5], v[10:11], v[124:125]
	v_fma_f64 v[138:139], v[2:3], v[10:11], -v[12:13]
	ds_load_b128 v[2:5], v1 offset:992
	ds_load_b128 v[10:13], v1 offset:1008
	v_add_f64_e32 v[31:32], v[31:32], v[126:127]
	v_add_f64_e32 v[112:113], v[112:113], v[128:129]
	s_wait_loadcnt_dscnt 0x701
	v_mul_f64_e32 v[126:127], v[2:3], v[20:21]
	v_mul_f64_e32 v[20:21], v[4:5], v[20:21]
	v_fma_f64 v[118:119], v[136:137], v[14:15], v[118:119]
	v_fma_f64 v[14:15], v[134:135], v[14:15], -v[16:17]
	v_add_f64_e32 v[16:17], v[31:32], v[138:139]
	v_add_f64_e32 v[31:32], v[112:113], v[124:125]
	s_wait_loadcnt_dscnt 0x600
	v_mul_f64_e32 v[112:113], v[10:11], v[24:25]
	v_mul_f64_e32 v[24:25], v[12:13], v[24:25]
	v_fma_f64 v[124:125], v[4:5], v[18:19], v[126:127]
	v_fma_f64 v[18:19], v[2:3], v[18:19], -v[20:21]
	v_add_f64_e32 v[20:21], v[16:17], v[14:15]
	v_add_f64_e32 v[31:32], v[31:32], v[118:119]
	ds_load_b128 v[2:5], v1 offset:1024
	ds_load_b128 v[14:17], v1 offset:1040
	v_fma_f64 v[12:13], v[12:13], v[22:23], v[112:113]
	v_fma_f64 v[10:11], v[10:11], v[22:23], -v[24:25]
	s_wait_loadcnt_dscnt 0x501
	v_mul_f64_e32 v[118:119], v[2:3], v[29:30]
	v_mul_f64_e32 v[29:30], v[4:5], v[29:30]
	s_wait_loadcnt_dscnt 0x400
	v_mul_f64_e32 v[22:23], v[14:15], v[106:107]
	v_mul_f64_e32 v[24:25], v[16:17], v[106:107]
	v_add_f64_e32 v[18:19], v[20:21], v[18:19]
	v_add_f64_e32 v[20:21], v[31:32], v[124:125]
	v_fma_f64 v[31:32], v[4:5], v[27:28], v[118:119]
	v_fma_f64 v[27:28], v[2:3], v[27:28], -v[29:30]
	v_fma_f64 v[16:17], v[16:17], v[104:105], v[22:23]
	v_fma_f64 v[14:15], v[14:15], v[104:105], -v[24:25]
	v_add_f64_e32 v[18:19], v[18:19], v[10:11]
	v_add_f64_e32 v[20:21], v[20:21], v[12:13]
	ds_load_b128 v[2:5], v1 offset:1056
	ds_load_b128 v[10:13], v1 offset:1072
	s_wait_loadcnt_dscnt 0x301
	v_mul_f64_e32 v[29:30], v[2:3], v[110:111]
	v_mul_f64_e32 v[106:107], v[4:5], v[110:111]
	s_wait_loadcnt_dscnt 0x200
	v_mul_f64_e32 v[22:23], v[10:11], v[116:117]
	v_add_f64_e32 v[18:19], v[18:19], v[27:28]
	v_add_f64_e32 v[20:21], v[20:21], v[31:32]
	v_mul_f64_e32 v[24:25], v[12:13], v[116:117]
	v_fma_f64 v[27:28], v[4:5], v[108:109], v[29:30]
	v_fma_f64 v[29:30], v[2:3], v[108:109], -v[106:107]
	v_fma_f64 v[12:13], v[12:13], v[114:115], v[22:23]
	v_add_f64_e32 v[18:19], v[18:19], v[14:15]
	v_add_f64_e32 v[20:21], v[20:21], v[16:17]
	ds_load_b128 v[2:5], v1 offset:1088
	ds_load_b128 v[14:17], v1 offset:1104
	v_fma_f64 v[10:11], v[10:11], v[114:115], -v[24:25]
	s_wait_loadcnt_dscnt 0x101
	v_mul_f64_e32 v[31:32], v[2:3], v[132:133]
	v_mul_f64_e32 v[104:105], v[4:5], v[132:133]
	s_wait_loadcnt_dscnt 0x0
	v_mul_f64_e32 v[22:23], v[14:15], v[8:9]
	v_mul_f64_e32 v[8:9], v[16:17], v[8:9]
	v_add_f64_e32 v[18:19], v[18:19], v[29:30]
	v_add_f64_e32 v[20:21], v[20:21], v[27:28]
	v_fma_f64 v[4:5], v[4:5], v[130:131], v[31:32]
	v_fma_f64 v[1:2], v[2:3], v[130:131], -v[104:105]
	v_fma_f64 v[16:17], v[16:17], v[6:7], v[22:23]
	v_fma_f64 v[6:7], v[14:15], v[6:7], -v[8:9]
	v_add_f64_e32 v[10:11], v[18:19], v[10:11]
	v_add_f64_e32 v[12:13], v[20:21], v[12:13]
	s_delay_alu instid0(VALU_DEP_2) | instskip(NEXT) | instid1(VALU_DEP_2)
	v_add_f64_e32 v[1:2], v[10:11], v[1:2]
	v_add_f64_e32 v[3:4], v[12:13], v[4:5]
	s_delay_alu instid0(VALU_DEP_2) | instskip(NEXT) | instid1(VALU_DEP_2)
	;; [unrolled: 3-line block ×3, first 2 shown]
	v_add_f64_e64 v[1:2], v[120:121], -v[1:2]
	v_add_f64_e64 v[3:4], v[122:123], -v[3:4]
	scratch_store_b128 off, v[1:4], off offset:208
	v_cmpx_lt_u32_e32 11, v0
	s_cbranch_execz .LBB98_201
; %bb.200:
	scratch_load_b128 v[1:4], off, s29
	v_mov_b32_e32 v5, 0
	s_delay_alu instid0(VALU_DEP_1)
	v_dual_mov_b32 v6, v5 :: v_dual_mov_b32 v7, v5
	v_mov_b32_e32 v8, v5
	scratch_store_b128 off, v[5:8], off offset:192
	s_wait_loadcnt 0x0
	ds_store_b128 v26, v[1:4]
.LBB98_201:
	s_wait_alu 0xfffe
	s_or_b32 exec_lo, exec_lo, s0
	s_wait_storecnt_dscnt 0x0
	s_barrier_signal -1
	s_barrier_wait -1
	global_inv scope:SCOPE_SE
	s_clause 0x7
	scratch_load_b128 v[2:5], off, off offset:208
	scratch_load_b128 v[6:9], off, off offset:224
	;; [unrolled: 1-line block ×8, first 2 shown]
	v_mov_b32_e32 v1, 0
	s_mov_b32 s0, exec_lo
	ds_load_b128 v[108:111], v1 offset:752
	s_clause 0x1
	scratch_load_b128 v[112:115], off, off offset:336
	scratch_load_b128 v[116:119], off, off offset:192
	ds_load_b128 v[120:123], v1 offset:768
	scratch_load_b128 v[124:127], off, off offset:352
	ds_load_b128 v[128:131], v1 offset:800
	s_wait_loadcnt_dscnt 0xa02
	v_mul_f64_e32 v[31:32], v[110:111], v[4:5]
	v_mul_f64_e32 v[4:5], v[108:109], v[4:5]
	s_delay_alu instid0(VALU_DEP_2) | instskip(NEXT) | instid1(VALU_DEP_2)
	v_fma_f64 v[31:32], v[108:109], v[2:3], -v[31:32]
	v_fma_f64 v[134:135], v[110:111], v[2:3], v[4:5]
	ds_load_b128 v[2:5], v1 offset:784
	s_wait_loadcnt_dscnt 0x902
	v_mul_f64_e32 v[132:133], v[120:121], v[8:9]
	v_mul_f64_e32 v[8:9], v[122:123], v[8:9]
	scratch_load_b128 v[108:111], off, off offset:368
	s_wait_loadcnt_dscnt 0x900
	v_mul_f64_e32 v[136:137], v[2:3], v[12:13]
	v_mul_f64_e32 v[12:13], v[4:5], v[12:13]
	v_add_f64_e32 v[31:32], 0, v[31:32]
	v_fma_f64 v[122:123], v[122:123], v[6:7], v[132:133]
	v_fma_f64 v[120:121], v[120:121], v[6:7], -v[8:9]
	v_add_f64_e32 v[132:133], 0, v[134:135]
	scratch_load_b128 v[6:9], off, off offset:384
	v_fma_f64 v[136:137], v[4:5], v[10:11], v[136:137]
	v_fma_f64 v[138:139], v[2:3], v[10:11], -v[12:13]
	ds_load_b128 v[2:5], v1 offset:816
	s_wait_loadcnt 0x9
	v_mul_f64_e32 v[134:135], v[128:129], v[16:17]
	v_mul_f64_e32 v[16:17], v[130:131], v[16:17]
	scratch_load_b128 v[10:13], off, off offset:400
	v_add_f64_e32 v[31:32], v[31:32], v[120:121]
	v_add_f64_e32 v[132:133], v[132:133], v[122:123]
	s_wait_loadcnt_dscnt 0x900
	v_mul_f64_e32 v[140:141], v[2:3], v[20:21]
	v_mul_f64_e32 v[20:21], v[4:5], v[20:21]
	ds_load_b128 v[120:123], v1 offset:832
	v_fma_f64 v[130:131], v[130:131], v[14:15], v[134:135]
	v_fma_f64 v[128:129], v[128:129], v[14:15], -v[16:17]
	scratch_load_b128 v[14:17], off, off offset:416
	v_add_f64_e32 v[31:32], v[31:32], v[138:139]
	v_add_f64_e32 v[132:133], v[132:133], v[136:137]
	v_fma_f64 v[136:137], v[4:5], v[18:19], v[140:141]
	v_fma_f64 v[138:139], v[2:3], v[18:19], -v[20:21]
	ds_load_b128 v[2:5], v1 offset:848
	s_wait_loadcnt_dscnt 0x901
	v_mul_f64_e32 v[134:135], v[120:121], v[24:25]
	v_mul_f64_e32 v[24:25], v[122:123], v[24:25]
	scratch_load_b128 v[18:21], off, off offset:432
	s_wait_loadcnt_dscnt 0x900
	v_mul_f64_e32 v[140:141], v[2:3], v[29:30]
	v_mul_f64_e32 v[29:30], v[4:5], v[29:30]
	v_add_f64_e32 v[31:32], v[31:32], v[128:129]
	v_add_f64_e32 v[132:133], v[132:133], v[130:131]
	ds_load_b128 v[128:131], v1 offset:864
	v_fma_f64 v[122:123], v[122:123], v[22:23], v[134:135]
	v_fma_f64 v[120:121], v[120:121], v[22:23], -v[24:25]
	scratch_load_b128 v[22:25], off, off offset:448
	v_add_f64_e32 v[31:32], v[31:32], v[138:139]
	v_add_f64_e32 v[132:133], v[132:133], v[136:137]
	v_fma_f64 v[136:137], v[4:5], v[27:28], v[140:141]
	v_fma_f64 v[138:139], v[2:3], v[27:28], -v[29:30]
	ds_load_b128 v[2:5], v1 offset:880
	s_wait_loadcnt_dscnt 0x901
	v_mul_f64_e32 v[134:135], v[128:129], v[106:107]
	v_mul_f64_e32 v[106:107], v[130:131], v[106:107]
	scratch_load_b128 v[27:30], off, off offset:464
	s_wait_loadcnt_dscnt 0x900
	v_mul_f64_e32 v[140:141], v[2:3], v[114:115]
	v_mul_f64_e32 v[114:115], v[4:5], v[114:115]
	v_add_f64_e32 v[31:32], v[31:32], v[120:121]
	v_add_f64_e32 v[132:133], v[132:133], v[122:123]
	ds_load_b128 v[120:123], v1 offset:896
	v_fma_f64 v[130:131], v[130:131], v[104:105], v[134:135]
	v_fma_f64 v[128:129], v[128:129], v[104:105], -v[106:107]
	scratch_load_b128 v[104:107], off, off offset:480
	v_add_f64_e32 v[31:32], v[31:32], v[138:139]
	v_add_f64_e32 v[132:133], v[132:133], v[136:137]
	v_fma_f64 v[138:139], v[4:5], v[112:113], v[140:141]
	v_fma_f64 v[140:141], v[2:3], v[112:113], -v[114:115]
	ds_load_b128 v[2:5], v1 offset:912
	s_wait_loadcnt_dscnt 0x801
	v_mul_f64_e32 v[134:135], v[120:121], v[126:127]
	v_mul_f64_e32 v[136:137], v[122:123], v[126:127]
	scratch_load_b128 v[112:115], off, off offset:496
	v_add_f64_e32 v[31:32], v[31:32], v[128:129]
	v_add_f64_e32 v[130:131], v[132:133], v[130:131]
	ds_load_b128 v[126:129], v1 offset:928
	v_fma_f64 v[134:135], v[122:123], v[124:125], v[134:135]
	v_fma_f64 v[124:125], v[120:121], v[124:125], -v[136:137]
	scratch_load_b128 v[120:123], off, off offset:512
	s_wait_loadcnt_dscnt 0x901
	v_mul_f64_e32 v[132:133], v[2:3], v[110:111]
	v_mul_f64_e32 v[110:111], v[4:5], v[110:111]
	v_add_f64_e32 v[31:32], v[31:32], v[140:141]
	v_add_f64_e32 v[130:131], v[130:131], v[138:139]
	s_delay_alu instid0(VALU_DEP_4) | instskip(NEXT) | instid1(VALU_DEP_4)
	v_fma_f64 v[138:139], v[4:5], v[108:109], v[132:133]
	v_fma_f64 v[140:141], v[2:3], v[108:109], -v[110:111]
	ds_load_b128 v[2:5], v1 offset:944
	s_wait_loadcnt_dscnt 0x801
	v_mul_f64_e32 v[136:137], v[126:127], v[8:9]
	v_mul_f64_e32 v[8:9], v[128:129], v[8:9]
	scratch_load_b128 v[108:111], off, off offset:528
	v_add_f64_e32 v[31:32], v[31:32], v[124:125]
	v_add_f64_e32 v[124:125], v[130:131], v[134:135]
	s_wait_loadcnt_dscnt 0x800
	v_mul_f64_e32 v[134:135], v[2:3], v[12:13]
	v_mul_f64_e32 v[12:13], v[4:5], v[12:13]
	ds_load_b128 v[130:133], v1 offset:960
	v_fma_f64 v[128:129], v[128:129], v[6:7], v[136:137]
	v_fma_f64 v[126:127], v[126:127], v[6:7], -v[8:9]
	scratch_load_b128 v[6:9], off, off offset:544
	v_add_f64_e32 v[31:32], v[31:32], v[140:141]
	v_add_f64_e32 v[124:125], v[124:125], v[138:139]
	v_fma_f64 v[134:135], v[4:5], v[10:11], v[134:135]
	v_fma_f64 v[138:139], v[2:3], v[10:11], -v[12:13]
	ds_load_b128 v[2:5], v1 offset:976
	s_wait_loadcnt_dscnt 0x801
	v_mul_f64_e32 v[136:137], v[130:131], v[16:17]
	v_mul_f64_e32 v[16:17], v[132:133], v[16:17]
	scratch_load_b128 v[10:13], off, off offset:560
	s_wait_loadcnt_dscnt 0x800
	v_mul_f64_e32 v[140:141], v[2:3], v[20:21]
	v_mul_f64_e32 v[20:21], v[4:5], v[20:21]
	v_add_f64_e32 v[31:32], v[31:32], v[126:127]
	v_add_f64_e32 v[128:129], v[124:125], v[128:129]
	ds_load_b128 v[124:127], v1 offset:992
	v_fma_f64 v[132:133], v[132:133], v[14:15], v[136:137]
	v_fma_f64 v[14:15], v[130:131], v[14:15], -v[16:17]
	v_fma_f64 v[130:131], v[4:5], v[18:19], v[140:141]
	v_fma_f64 v[18:19], v[2:3], v[18:19], -v[20:21]
	v_add_f64_e32 v[16:17], v[31:32], v[138:139]
	v_add_f64_e32 v[31:32], v[128:129], v[134:135]
	s_wait_loadcnt_dscnt 0x700
	v_mul_f64_e32 v[128:129], v[124:125], v[24:25]
	v_mul_f64_e32 v[24:25], v[126:127], v[24:25]
	s_delay_alu instid0(VALU_DEP_4) | instskip(NEXT) | instid1(VALU_DEP_4)
	v_add_f64_e32 v[20:21], v[16:17], v[14:15]
	v_add_f64_e32 v[31:32], v[31:32], v[132:133]
	ds_load_b128 v[2:5], v1 offset:1008
	ds_load_b128 v[14:17], v1 offset:1024
	v_fma_f64 v[126:127], v[126:127], v[22:23], v[128:129]
	v_fma_f64 v[22:23], v[124:125], v[22:23], -v[24:25]
	s_wait_loadcnt_dscnt 0x601
	v_mul_f64_e32 v[132:133], v[2:3], v[29:30]
	v_mul_f64_e32 v[29:30], v[4:5], v[29:30]
	s_wait_loadcnt_dscnt 0x500
	v_mul_f64_e32 v[24:25], v[14:15], v[106:107]
	v_add_f64_e32 v[18:19], v[20:21], v[18:19]
	v_add_f64_e32 v[20:21], v[31:32], v[130:131]
	v_mul_f64_e32 v[31:32], v[16:17], v[106:107]
	v_fma_f64 v[106:107], v[4:5], v[27:28], v[132:133]
	v_fma_f64 v[27:28], v[2:3], v[27:28], -v[29:30]
	v_fma_f64 v[16:17], v[16:17], v[104:105], v[24:25]
	v_add_f64_e32 v[22:23], v[18:19], v[22:23]
	v_add_f64_e32 v[29:30], v[20:21], v[126:127]
	ds_load_b128 v[2:5], v1 offset:1040
	ds_load_b128 v[18:21], v1 offset:1056
	v_fma_f64 v[14:15], v[14:15], v[104:105], -v[31:32]
	s_wait_loadcnt_dscnt 0x401
	v_mul_f64_e32 v[124:125], v[2:3], v[114:115]
	v_mul_f64_e32 v[114:115], v[4:5], v[114:115]
	v_add_f64_e32 v[22:23], v[22:23], v[27:28]
	v_add_f64_e32 v[24:25], v[29:30], v[106:107]
	s_wait_loadcnt_dscnt 0x300
	v_mul_f64_e32 v[27:28], v[18:19], v[122:123]
	v_mul_f64_e32 v[29:30], v[20:21], v[122:123]
	v_fma_f64 v[31:32], v[4:5], v[112:113], v[124:125]
	v_fma_f64 v[104:105], v[2:3], v[112:113], -v[114:115]
	v_add_f64_e32 v[22:23], v[22:23], v[14:15]
	v_add_f64_e32 v[24:25], v[24:25], v[16:17]
	ds_load_b128 v[2:5], v1 offset:1072
	ds_load_b128 v[14:17], v1 offset:1088
	v_fma_f64 v[20:21], v[20:21], v[120:121], v[27:28]
	v_fma_f64 v[18:19], v[18:19], v[120:121], -v[29:30]
	s_wait_loadcnt_dscnt 0x201
	v_mul_f64_e32 v[106:107], v[2:3], v[110:111]
	v_mul_f64_e32 v[110:111], v[4:5], v[110:111]
	s_wait_loadcnt_dscnt 0x100
	v_mul_f64_e32 v[27:28], v[14:15], v[8:9]
	v_add_f64_e32 v[22:23], v[22:23], v[104:105]
	v_add_f64_e32 v[24:25], v[24:25], v[31:32]
	v_mul_f64_e32 v[8:9], v[16:17], v[8:9]
	v_fma_f64 v[29:30], v[4:5], v[108:109], v[106:107]
	v_fma_f64 v[31:32], v[2:3], v[108:109], -v[110:111]
	ds_load_b128 v[2:5], v1 offset:1104
	v_fma_f64 v[16:17], v[16:17], v[6:7], v[27:28]
	v_add_f64_e32 v[18:19], v[22:23], v[18:19]
	v_add_f64_e32 v[20:21], v[24:25], v[20:21]
	v_fma_f64 v[6:7], v[14:15], v[6:7], -v[8:9]
	s_wait_loadcnt_dscnt 0x0
	v_mul_f64_e32 v[22:23], v[2:3], v[12:13]
	v_mul_f64_e32 v[12:13], v[4:5], v[12:13]
	v_add_f64_e32 v[8:9], v[18:19], v[31:32]
	v_add_f64_e32 v[14:15], v[20:21], v[29:30]
	s_delay_alu instid0(VALU_DEP_4) | instskip(NEXT) | instid1(VALU_DEP_4)
	v_fma_f64 v[4:5], v[4:5], v[10:11], v[22:23]
	v_fma_f64 v[2:3], v[2:3], v[10:11], -v[12:13]
	s_delay_alu instid0(VALU_DEP_4) | instskip(NEXT) | instid1(VALU_DEP_4)
	v_add_f64_e32 v[6:7], v[8:9], v[6:7]
	v_add_f64_e32 v[8:9], v[14:15], v[16:17]
	s_delay_alu instid0(VALU_DEP_2) | instskip(NEXT) | instid1(VALU_DEP_2)
	v_add_f64_e32 v[2:3], v[6:7], v[2:3]
	v_add_f64_e32 v[4:5], v[8:9], v[4:5]
	s_delay_alu instid0(VALU_DEP_2) | instskip(NEXT) | instid1(VALU_DEP_2)
	v_add_f64_e64 v[2:3], v[116:117], -v[2:3]
	v_add_f64_e64 v[4:5], v[118:119], -v[4:5]
	scratch_store_b128 off, v[2:5], off offset:192
	v_cmpx_lt_u32_e32 10, v0
	s_cbranch_execz .LBB98_203
; %bb.202:
	scratch_load_b128 v[5:8], off, s11
	v_dual_mov_b32 v2, v1 :: v_dual_mov_b32 v3, v1
	v_mov_b32_e32 v4, v1
	scratch_store_b128 off, v[1:4], off offset:176
	s_wait_loadcnt 0x0
	ds_store_b128 v26, v[5:8]
.LBB98_203:
	s_wait_alu 0xfffe
	s_or_b32 exec_lo, exec_lo, s0
	s_wait_storecnt_dscnt 0x0
	s_barrier_signal -1
	s_barrier_wait -1
	global_inv scope:SCOPE_SE
	s_clause 0x8
	scratch_load_b128 v[2:5], off, off offset:192
	scratch_load_b128 v[6:9], off, off offset:208
	;; [unrolled: 1-line block ×9, first 2 shown]
	ds_load_b128 v[112:115], v1 offset:736
	ds_load_b128 v[116:119], v1 offset:752
	s_clause 0x1
	scratch_load_b128 v[120:123], off, off offset:176
	scratch_load_b128 v[124:127], off, off offset:336
	s_mov_b32 s0, exec_lo
	ds_load_b128 v[128:131], v1 offset:784
	s_wait_loadcnt_dscnt 0xa02
	v_mul_f64_e32 v[31:32], v[114:115], v[4:5]
	v_mul_f64_e32 v[4:5], v[112:113], v[4:5]
	s_wait_loadcnt_dscnt 0x901
	v_mul_f64_e32 v[132:133], v[116:117], v[8:9]
	v_mul_f64_e32 v[8:9], v[118:119], v[8:9]
	s_delay_alu instid0(VALU_DEP_4) | instskip(NEXT) | instid1(VALU_DEP_4)
	v_fma_f64 v[31:32], v[112:113], v[2:3], -v[31:32]
	v_fma_f64 v[134:135], v[114:115], v[2:3], v[4:5]
	ds_load_b128 v[2:5], v1 offset:768
	scratch_load_b128 v[112:115], off, off offset:352
	v_fma_f64 v[118:119], v[118:119], v[6:7], v[132:133]
	v_fma_f64 v[116:117], v[116:117], v[6:7], -v[8:9]
	scratch_load_b128 v[6:9], off, off offset:368
	s_wait_loadcnt_dscnt 0xa00
	v_mul_f64_e32 v[136:137], v[2:3], v[12:13]
	v_mul_f64_e32 v[12:13], v[4:5], v[12:13]
	v_add_f64_e32 v[31:32], 0, v[31:32]
	v_add_f64_e32 v[132:133], 0, v[134:135]
	s_wait_loadcnt 0x9
	v_mul_f64_e32 v[134:135], v[128:129], v[16:17]
	v_mul_f64_e32 v[16:17], v[130:131], v[16:17]
	v_fma_f64 v[136:137], v[4:5], v[10:11], v[136:137]
	v_fma_f64 v[138:139], v[2:3], v[10:11], -v[12:13]
	ds_load_b128 v[2:5], v1 offset:800
	scratch_load_b128 v[10:13], off, off offset:384
	v_add_f64_e32 v[31:32], v[31:32], v[116:117]
	v_add_f64_e32 v[132:133], v[132:133], v[118:119]
	ds_load_b128 v[116:119], v1 offset:816
	v_fma_f64 v[130:131], v[130:131], v[14:15], v[134:135]
	v_fma_f64 v[128:129], v[128:129], v[14:15], -v[16:17]
	scratch_load_b128 v[14:17], off, off offset:400
	s_wait_loadcnt_dscnt 0xa01
	v_mul_f64_e32 v[140:141], v[2:3], v[20:21]
	v_mul_f64_e32 v[20:21], v[4:5], v[20:21]
	s_wait_loadcnt_dscnt 0x900
	v_mul_f64_e32 v[134:135], v[116:117], v[24:25]
	v_mul_f64_e32 v[24:25], v[118:119], v[24:25]
	v_add_f64_e32 v[31:32], v[31:32], v[138:139]
	v_add_f64_e32 v[132:133], v[132:133], v[136:137]
	v_fma_f64 v[136:137], v[4:5], v[18:19], v[140:141]
	v_fma_f64 v[138:139], v[2:3], v[18:19], -v[20:21]
	ds_load_b128 v[2:5], v1 offset:832
	scratch_load_b128 v[18:21], off, off offset:416
	v_fma_f64 v[118:119], v[118:119], v[22:23], v[134:135]
	v_fma_f64 v[116:117], v[116:117], v[22:23], -v[24:25]
	scratch_load_b128 v[22:25], off, off offset:432
	v_add_f64_e32 v[31:32], v[31:32], v[128:129]
	v_add_f64_e32 v[132:133], v[132:133], v[130:131]
	ds_load_b128 v[128:131], v1 offset:848
	s_wait_loadcnt_dscnt 0xa01
	v_mul_f64_e32 v[140:141], v[2:3], v[29:30]
	v_mul_f64_e32 v[29:30], v[4:5], v[29:30]
	s_wait_loadcnt_dscnt 0x900
	v_mul_f64_e32 v[134:135], v[128:129], v[106:107]
	v_mul_f64_e32 v[106:107], v[130:131], v[106:107]
	v_add_f64_e32 v[31:32], v[31:32], v[138:139]
	v_add_f64_e32 v[132:133], v[132:133], v[136:137]
	v_fma_f64 v[136:137], v[4:5], v[27:28], v[140:141]
	v_fma_f64 v[138:139], v[2:3], v[27:28], -v[29:30]
	ds_load_b128 v[2:5], v1 offset:864
	scratch_load_b128 v[27:30], off, off offset:448
	v_fma_f64 v[130:131], v[130:131], v[104:105], v[134:135]
	v_fma_f64 v[128:129], v[128:129], v[104:105], -v[106:107]
	scratch_load_b128 v[104:107], off, off offset:464
	v_add_f64_e32 v[31:32], v[31:32], v[116:117]
	v_add_f64_e32 v[132:133], v[132:133], v[118:119]
	ds_load_b128 v[116:119], v1 offset:880
	s_wait_loadcnt_dscnt 0xa01
	v_mul_f64_e32 v[140:141], v[2:3], v[110:111]
	v_mul_f64_e32 v[110:111], v[4:5], v[110:111]
	s_wait_loadcnt_dscnt 0x800
	v_mul_f64_e32 v[134:135], v[116:117], v[126:127]
	v_add_f64_e32 v[31:32], v[31:32], v[138:139]
	v_add_f64_e32 v[132:133], v[132:133], v[136:137]
	v_mul_f64_e32 v[136:137], v[118:119], v[126:127]
	v_fma_f64 v[138:139], v[4:5], v[108:109], v[140:141]
	v_fma_f64 v[140:141], v[2:3], v[108:109], -v[110:111]
	ds_load_b128 v[2:5], v1 offset:896
	scratch_load_b128 v[108:111], off, off offset:480
	v_fma_f64 v[118:119], v[118:119], v[124:125], v[134:135]
	v_add_f64_e32 v[31:32], v[31:32], v[128:129]
	v_add_f64_e32 v[130:131], v[132:133], v[130:131]
	ds_load_b128 v[126:129], v1 offset:912
	v_fma_f64 v[124:125], v[116:117], v[124:125], -v[136:137]
	ds_load_b128 v[134:137], v1 offset:944
	s_wait_loadcnt_dscnt 0x802
	v_mul_f64_e32 v[132:133], v[2:3], v[114:115]
	v_mul_f64_e32 v[142:143], v[4:5], v[114:115]
	scratch_load_b128 v[114:117], off, off offset:496
	v_add_f64_e32 v[31:32], v[31:32], v[140:141]
	v_add_f64_e32 v[130:131], v[130:131], v[138:139]
	s_wait_loadcnt_dscnt 0x801
	v_mul_f64_e32 v[138:139], v[126:127], v[8:9]
	v_mul_f64_e32 v[8:9], v[128:129], v[8:9]
	v_fma_f64 v[140:141], v[4:5], v[112:113], v[132:133]
	v_fma_f64 v[112:113], v[2:3], v[112:113], -v[142:143]
	ds_load_b128 v[2:5], v1 offset:928
	v_add_f64_e32 v[31:32], v[31:32], v[124:125]
	v_add_f64_e32 v[118:119], v[130:131], v[118:119]
	scratch_load_b128 v[130:133], off, off offset:512
	s_wait_loadcnt_dscnt 0x800
	v_mul_f64_e32 v[124:125], v[2:3], v[12:13]
	v_mul_f64_e32 v[12:13], v[4:5], v[12:13]
	v_fma_f64 v[128:129], v[128:129], v[6:7], v[138:139]
	v_fma_f64 v[126:127], v[126:127], v[6:7], -v[8:9]
	scratch_load_b128 v[6:9], off, off offset:528
	v_add_f64_e32 v[31:32], v[31:32], v[112:113]
	v_add_f64_e32 v[112:113], v[118:119], v[140:141]
	s_wait_loadcnt 0x8
	v_mul_f64_e32 v[118:119], v[134:135], v[16:17]
	v_mul_f64_e32 v[16:17], v[136:137], v[16:17]
	v_fma_f64 v[138:139], v[4:5], v[10:11], v[124:125]
	v_fma_f64 v[140:141], v[2:3], v[10:11], -v[12:13]
	ds_load_b128 v[2:5], v1 offset:960
	scratch_load_b128 v[10:13], off, off offset:544
	v_add_f64_e32 v[31:32], v[31:32], v[126:127]
	v_add_f64_e32 v[112:113], v[112:113], v[128:129]
	ds_load_b128 v[124:127], v1 offset:976
	s_wait_loadcnt_dscnt 0x801
	v_mul_f64_e32 v[128:129], v[2:3], v[20:21]
	v_mul_f64_e32 v[20:21], v[4:5], v[20:21]
	v_fma_f64 v[118:119], v[136:137], v[14:15], v[118:119]
	v_fma_f64 v[134:135], v[134:135], v[14:15], -v[16:17]
	scratch_load_b128 v[14:17], off, off offset:560
	s_wait_loadcnt_dscnt 0x800
	v_mul_f64_e32 v[136:137], v[124:125], v[24:25]
	v_mul_f64_e32 v[24:25], v[126:127], v[24:25]
	v_add_f64_e32 v[31:32], v[31:32], v[140:141]
	v_add_f64_e32 v[112:113], v[112:113], v[138:139]
	v_fma_f64 v[128:129], v[4:5], v[18:19], v[128:129]
	v_fma_f64 v[138:139], v[2:3], v[18:19], -v[20:21]
	ds_load_b128 v[2:5], v1 offset:992
	ds_load_b128 v[18:21], v1 offset:1008
	v_fma_f64 v[126:127], v[126:127], v[22:23], v[136:137]
	v_fma_f64 v[22:23], v[124:125], v[22:23], -v[24:25]
	v_add_f64_e32 v[31:32], v[31:32], v[134:135]
	v_add_f64_e32 v[112:113], v[112:113], v[118:119]
	s_wait_loadcnt_dscnt 0x701
	v_mul_f64_e32 v[118:119], v[2:3], v[29:30]
	v_mul_f64_e32 v[29:30], v[4:5], v[29:30]
	s_delay_alu instid0(VALU_DEP_4) | instskip(NEXT) | instid1(VALU_DEP_4)
	v_add_f64_e32 v[24:25], v[31:32], v[138:139]
	v_add_f64_e32 v[31:32], v[112:113], v[128:129]
	s_wait_loadcnt_dscnt 0x600
	v_mul_f64_e32 v[112:113], v[18:19], v[106:107]
	v_mul_f64_e32 v[106:107], v[20:21], v[106:107]
	v_fma_f64 v[118:119], v[4:5], v[27:28], v[118:119]
	v_fma_f64 v[27:28], v[2:3], v[27:28], -v[29:30]
	v_add_f64_e32 v[29:30], v[24:25], v[22:23]
	v_add_f64_e32 v[31:32], v[31:32], v[126:127]
	ds_load_b128 v[2:5], v1 offset:1024
	ds_load_b128 v[22:25], v1 offset:1040
	v_fma_f64 v[20:21], v[20:21], v[104:105], v[112:113]
	v_fma_f64 v[18:19], v[18:19], v[104:105], -v[106:107]
	s_wait_loadcnt_dscnt 0x501
	v_mul_f64_e32 v[124:125], v[2:3], v[110:111]
	v_mul_f64_e32 v[110:111], v[4:5], v[110:111]
	s_wait_loadcnt_dscnt 0x400
	v_mul_f64_e32 v[104:105], v[24:25], v[116:117]
	v_add_f64_e32 v[27:28], v[29:30], v[27:28]
	v_add_f64_e32 v[29:30], v[31:32], v[118:119]
	v_mul_f64_e32 v[31:32], v[22:23], v[116:117]
	v_fma_f64 v[106:107], v[4:5], v[108:109], v[124:125]
	v_fma_f64 v[108:109], v[2:3], v[108:109], -v[110:111]
	v_fma_f64 v[22:23], v[22:23], v[114:115], -v[104:105]
	v_add_f64_e32 v[27:28], v[27:28], v[18:19]
	v_add_f64_e32 v[29:30], v[29:30], v[20:21]
	ds_load_b128 v[2:5], v1 offset:1056
	ds_load_b128 v[18:21], v1 offset:1072
	v_fma_f64 v[24:25], v[24:25], v[114:115], v[31:32]
	s_wait_loadcnt_dscnt 0x301
	v_mul_f64_e32 v[110:111], v[2:3], v[132:133]
	v_mul_f64_e32 v[112:113], v[4:5], v[132:133]
	s_wait_loadcnt_dscnt 0x200
	v_mul_f64_e32 v[31:32], v[18:19], v[8:9]
	v_mul_f64_e32 v[8:9], v[20:21], v[8:9]
	v_add_f64_e32 v[27:28], v[27:28], v[108:109]
	v_add_f64_e32 v[29:30], v[29:30], v[106:107]
	v_fma_f64 v[104:105], v[4:5], v[130:131], v[110:111]
	v_fma_f64 v[106:107], v[2:3], v[130:131], -v[112:113]
	v_fma_f64 v[20:21], v[20:21], v[6:7], v[31:32]
	v_fma_f64 v[6:7], v[18:19], v[6:7], -v[8:9]
	v_add_f64_e32 v[27:28], v[27:28], v[22:23]
	v_add_f64_e32 v[29:30], v[29:30], v[24:25]
	ds_load_b128 v[2:5], v1 offset:1088
	ds_load_b128 v[22:25], v1 offset:1104
	s_wait_loadcnt_dscnt 0x101
	v_mul_f64_e32 v[108:109], v[2:3], v[12:13]
	v_mul_f64_e32 v[12:13], v[4:5], v[12:13]
	v_add_f64_e32 v[8:9], v[27:28], v[106:107]
	v_add_f64_e32 v[18:19], v[29:30], v[104:105]
	s_wait_loadcnt_dscnt 0x0
	v_mul_f64_e32 v[27:28], v[22:23], v[16:17]
	v_mul_f64_e32 v[16:17], v[24:25], v[16:17]
	v_fma_f64 v[4:5], v[4:5], v[10:11], v[108:109]
	v_fma_f64 v[1:2], v[2:3], v[10:11], -v[12:13]
	v_add_f64_e32 v[6:7], v[8:9], v[6:7]
	v_add_f64_e32 v[8:9], v[18:19], v[20:21]
	v_fma_f64 v[10:11], v[24:25], v[14:15], v[27:28]
	v_fma_f64 v[12:13], v[22:23], v[14:15], -v[16:17]
	s_delay_alu instid0(VALU_DEP_4) | instskip(NEXT) | instid1(VALU_DEP_4)
	v_add_f64_e32 v[1:2], v[6:7], v[1:2]
	v_add_f64_e32 v[3:4], v[8:9], v[4:5]
	s_delay_alu instid0(VALU_DEP_2) | instskip(NEXT) | instid1(VALU_DEP_2)
	v_add_f64_e32 v[1:2], v[1:2], v[12:13]
	v_add_f64_e32 v[3:4], v[3:4], v[10:11]
	s_delay_alu instid0(VALU_DEP_2) | instskip(NEXT) | instid1(VALU_DEP_2)
	v_add_f64_e64 v[1:2], v[120:121], -v[1:2]
	v_add_f64_e64 v[3:4], v[122:123], -v[3:4]
	scratch_store_b128 off, v[1:4], off offset:176
	v_cmpx_lt_u32_e32 9, v0
	s_cbranch_execz .LBB98_205
; %bb.204:
	scratch_load_b128 v[1:4], off, s28
	v_mov_b32_e32 v5, 0
	s_delay_alu instid0(VALU_DEP_1)
	v_dual_mov_b32 v6, v5 :: v_dual_mov_b32 v7, v5
	v_mov_b32_e32 v8, v5
	scratch_store_b128 off, v[5:8], off offset:160
	s_wait_loadcnt 0x0
	ds_store_b128 v26, v[1:4]
.LBB98_205:
	s_wait_alu 0xfffe
	s_or_b32 exec_lo, exec_lo, s0
	s_wait_storecnt_dscnt 0x0
	s_barrier_signal -1
	s_barrier_wait -1
	global_inv scope:SCOPE_SE
	s_clause 0x7
	scratch_load_b128 v[2:5], off, off offset:176
	scratch_load_b128 v[6:9], off, off offset:192
	;; [unrolled: 1-line block ×8, first 2 shown]
	v_mov_b32_e32 v1, 0
	s_mov_b32 s0, exec_lo
	ds_load_b128 v[108:111], v1 offset:720
	s_clause 0x1
	scratch_load_b128 v[112:115], off, off offset:304
	scratch_load_b128 v[116:119], off, off offset:160
	ds_load_b128 v[120:123], v1 offset:736
	scratch_load_b128 v[124:127], off, off offset:320
	ds_load_b128 v[128:131], v1 offset:768
	s_wait_loadcnt_dscnt 0xa02
	v_mul_f64_e32 v[31:32], v[110:111], v[4:5]
	v_mul_f64_e32 v[4:5], v[108:109], v[4:5]
	s_delay_alu instid0(VALU_DEP_2) | instskip(NEXT) | instid1(VALU_DEP_2)
	v_fma_f64 v[31:32], v[108:109], v[2:3], -v[31:32]
	v_fma_f64 v[134:135], v[110:111], v[2:3], v[4:5]
	ds_load_b128 v[2:5], v1 offset:752
	s_wait_loadcnt_dscnt 0x902
	v_mul_f64_e32 v[132:133], v[120:121], v[8:9]
	v_mul_f64_e32 v[8:9], v[122:123], v[8:9]
	scratch_load_b128 v[108:111], off, off offset:336
	s_wait_loadcnt_dscnt 0x900
	v_mul_f64_e32 v[136:137], v[2:3], v[12:13]
	v_mul_f64_e32 v[12:13], v[4:5], v[12:13]
	v_add_f64_e32 v[31:32], 0, v[31:32]
	v_fma_f64 v[122:123], v[122:123], v[6:7], v[132:133]
	v_fma_f64 v[120:121], v[120:121], v[6:7], -v[8:9]
	v_add_f64_e32 v[132:133], 0, v[134:135]
	scratch_load_b128 v[6:9], off, off offset:352
	v_fma_f64 v[136:137], v[4:5], v[10:11], v[136:137]
	v_fma_f64 v[138:139], v[2:3], v[10:11], -v[12:13]
	ds_load_b128 v[2:5], v1 offset:784
	s_wait_loadcnt 0x9
	v_mul_f64_e32 v[134:135], v[128:129], v[16:17]
	v_mul_f64_e32 v[16:17], v[130:131], v[16:17]
	scratch_load_b128 v[10:13], off, off offset:368
	v_add_f64_e32 v[31:32], v[31:32], v[120:121]
	v_add_f64_e32 v[132:133], v[132:133], v[122:123]
	s_wait_loadcnt_dscnt 0x900
	v_mul_f64_e32 v[140:141], v[2:3], v[20:21]
	v_mul_f64_e32 v[20:21], v[4:5], v[20:21]
	ds_load_b128 v[120:123], v1 offset:800
	v_fma_f64 v[130:131], v[130:131], v[14:15], v[134:135]
	v_fma_f64 v[128:129], v[128:129], v[14:15], -v[16:17]
	scratch_load_b128 v[14:17], off, off offset:384
	v_add_f64_e32 v[31:32], v[31:32], v[138:139]
	v_add_f64_e32 v[132:133], v[132:133], v[136:137]
	v_fma_f64 v[136:137], v[4:5], v[18:19], v[140:141]
	v_fma_f64 v[138:139], v[2:3], v[18:19], -v[20:21]
	ds_load_b128 v[2:5], v1 offset:816
	s_wait_loadcnt_dscnt 0x901
	v_mul_f64_e32 v[134:135], v[120:121], v[24:25]
	v_mul_f64_e32 v[24:25], v[122:123], v[24:25]
	scratch_load_b128 v[18:21], off, off offset:400
	s_wait_loadcnt_dscnt 0x900
	v_mul_f64_e32 v[140:141], v[2:3], v[29:30]
	v_mul_f64_e32 v[29:30], v[4:5], v[29:30]
	v_add_f64_e32 v[31:32], v[31:32], v[128:129]
	v_add_f64_e32 v[132:133], v[132:133], v[130:131]
	ds_load_b128 v[128:131], v1 offset:832
	v_fma_f64 v[122:123], v[122:123], v[22:23], v[134:135]
	v_fma_f64 v[120:121], v[120:121], v[22:23], -v[24:25]
	scratch_load_b128 v[22:25], off, off offset:416
	v_add_f64_e32 v[31:32], v[31:32], v[138:139]
	v_add_f64_e32 v[132:133], v[132:133], v[136:137]
	v_fma_f64 v[136:137], v[4:5], v[27:28], v[140:141]
	v_fma_f64 v[138:139], v[2:3], v[27:28], -v[29:30]
	ds_load_b128 v[2:5], v1 offset:848
	s_wait_loadcnt_dscnt 0x901
	v_mul_f64_e32 v[134:135], v[128:129], v[106:107]
	v_mul_f64_e32 v[106:107], v[130:131], v[106:107]
	scratch_load_b128 v[27:30], off, off offset:432
	s_wait_loadcnt_dscnt 0x900
	v_mul_f64_e32 v[140:141], v[2:3], v[114:115]
	v_mul_f64_e32 v[114:115], v[4:5], v[114:115]
	v_add_f64_e32 v[31:32], v[31:32], v[120:121]
	v_add_f64_e32 v[132:133], v[132:133], v[122:123]
	ds_load_b128 v[120:123], v1 offset:864
	v_fma_f64 v[130:131], v[130:131], v[104:105], v[134:135]
	v_fma_f64 v[128:129], v[128:129], v[104:105], -v[106:107]
	scratch_load_b128 v[104:107], off, off offset:448
	v_add_f64_e32 v[31:32], v[31:32], v[138:139]
	v_add_f64_e32 v[132:133], v[132:133], v[136:137]
	v_fma_f64 v[138:139], v[4:5], v[112:113], v[140:141]
	v_fma_f64 v[140:141], v[2:3], v[112:113], -v[114:115]
	ds_load_b128 v[2:5], v1 offset:880
	s_wait_loadcnt_dscnt 0x801
	v_mul_f64_e32 v[134:135], v[120:121], v[126:127]
	v_mul_f64_e32 v[136:137], v[122:123], v[126:127]
	scratch_load_b128 v[112:115], off, off offset:464
	v_add_f64_e32 v[31:32], v[31:32], v[128:129]
	v_add_f64_e32 v[130:131], v[132:133], v[130:131]
	ds_load_b128 v[126:129], v1 offset:896
	v_fma_f64 v[134:135], v[122:123], v[124:125], v[134:135]
	v_fma_f64 v[124:125], v[120:121], v[124:125], -v[136:137]
	scratch_load_b128 v[120:123], off, off offset:480
	s_wait_loadcnt_dscnt 0x901
	v_mul_f64_e32 v[132:133], v[2:3], v[110:111]
	v_mul_f64_e32 v[110:111], v[4:5], v[110:111]
	v_add_f64_e32 v[31:32], v[31:32], v[140:141]
	v_add_f64_e32 v[130:131], v[130:131], v[138:139]
	s_delay_alu instid0(VALU_DEP_4) | instskip(NEXT) | instid1(VALU_DEP_4)
	v_fma_f64 v[138:139], v[4:5], v[108:109], v[132:133]
	v_fma_f64 v[140:141], v[2:3], v[108:109], -v[110:111]
	ds_load_b128 v[2:5], v1 offset:912
	s_wait_loadcnt_dscnt 0x801
	v_mul_f64_e32 v[136:137], v[126:127], v[8:9]
	v_mul_f64_e32 v[8:9], v[128:129], v[8:9]
	scratch_load_b128 v[108:111], off, off offset:496
	v_add_f64_e32 v[31:32], v[31:32], v[124:125]
	v_add_f64_e32 v[124:125], v[130:131], v[134:135]
	s_wait_loadcnt_dscnt 0x800
	v_mul_f64_e32 v[134:135], v[2:3], v[12:13]
	v_mul_f64_e32 v[12:13], v[4:5], v[12:13]
	ds_load_b128 v[130:133], v1 offset:928
	v_fma_f64 v[128:129], v[128:129], v[6:7], v[136:137]
	v_fma_f64 v[126:127], v[126:127], v[6:7], -v[8:9]
	scratch_load_b128 v[6:9], off, off offset:512
	v_add_f64_e32 v[31:32], v[31:32], v[140:141]
	v_add_f64_e32 v[124:125], v[124:125], v[138:139]
	v_fma_f64 v[134:135], v[4:5], v[10:11], v[134:135]
	v_fma_f64 v[138:139], v[2:3], v[10:11], -v[12:13]
	ds_load_b128 v[2:5], v1 offset:944
	s_wait_loadcnt_dscnt 0x801
	v_mul_f64_e32 v[136:137], v[130:131], v[16:17]
	v_mul_f64_e32 v[16:17], v[132:133], v[16:17]
	scratch_load_b128 v[10:13], off, off offset:528
	s_wait_loadcnt_dscnt 0x800
	v_mul_f64_e32 v[140:141], v[2:3], v[20:21]
	v_mul_f64_e32 v[20:21], v[4:5], v[20:21]
	v_add_f64_e32 v[31:32], v[31:32], v[126:127]
	v_add_f64_e32 v[128:129], v[124:125], v[128:129]
	ds_load_b128 v[124:127], v1 offset:960
	v_fma_f64 v[132:133], v[132:133], v[14:15], v[136:137]
	v_fma_f64 v[130:131], v[130:131], v[14:15], -v[16:17]
	scratch_load_b128 v[14:17], off, off offset:544
	v_fma_f64 v[136:137], v[4:5], v[18:19], v[140:141]
	v_add_f64_e32 v[31:32], v[31:32], v[138:139]
	v_add_f64_e32 v[128:129], v[128:129], v[134:135]
	v_fma_f64 v[138:139], v[2:3], v[18:19], -v[20:21]
	ds_load_b128 v[2:5], v1 offset:976
	s_wait_loadcnt_dscnt 0x801
	v_mul_f64_e32 v[134:135], v[124:125], v[24:25]
	v_mul_f64_e32 v[24:25], v[126:127], v[24:25]
	scratch_load_b128 v[18:21], off, off offset:560
	s_wait_loadcnt_dscnt 0x800
	v_mul_f64_e32 v[140:141], v[2:3], v[29:30]
	v_mul_f64_e32 v[29:30], v[4:5], v[29:30]
	v_add_f64_e32 v[31:32], v[31:32], v[130:131]
	v_add_f64_e32 v[132:133], v[128:129], v[132:133]
	ds_load_b128 v[128:131], v1 offset:992
	v_fma_f64 v[126:127], v[126:127], v[22:23], v[134:135]
	v_fma_f64 v[22:23], v[124:125], v[22:23], -v[24:25]
	s_wait_loadcnt_dscnt 0x700
	v_mul_f64_e32 v[124:125], v[128:129], v[106:107]
	v_mul_f64_e32 v[106:107], v[130:131], v[106:107]
	v_add_f64_e32 v[24:25], v[31:32], v[138:139]
	v_add_f64_e32 v[31:32], v[132:133], v[136:137]
	v_fma_f64 v[132:133], v[4:5], v[27:28], v[140:141]
	v_fma_f64 v[27:28], v[2:3], v[27:28], -v[29:30]
	v_fma_f64 v[124:125], v[130:131], v[104:105], v[124:125]
	v_fma_f64 v[104:105], v[128:129], v[104:105], -v[106:107]
	v_add_f64_e32 v[29:30], v[24:25], v[22:23]
	v_add_f64_e32 v[31:32], v[31:32], v[126:127]
	ds_load_b128 v[2:5], v1 offset:1008
	ds_load_b128 v[22:25], v1 offset:1024
	s_wait_loadcnt_dscnt 0x601
	v_mul_f64_e32 v[126:127], v[2:3], v[114:115]
	v_mul_f64_e32 v[114:115], v[4:5], v[114:115]
	s_wait_loadcnt_dscnt 0x500
	v_mul_f64_e32 v[106:107], v[24:25], v[122:123]
	v_add_f64_e32 v[27:28], v[29:30], v[27:28]
	v_add_f64_e32 v[29:30], v[31:32], v[132:133]
	v_mul_f64_e32 v[31:32], v[22:23], v[122:123]
	v_fma_f64 v[122:123], v[4:5], v[112:113], v[126:127]
	v_fma_f64 v[112:113], v[2:3], v[112:113], -v[114:115]
	v_fma_f64 v[22:23], v[22:23], v[120:121], -v[106:107]
	v_add_f64_e32 v[104:105], v[27:28], v[104:105]
	v_add_f64_e32 v[114:115], v[29:30], v[124:125]
	ds_load_b128 v[2:5], v1 offset:1040
	ds_load_b128 v[27:30], v1 offset:1056
	v_fma_f64 v[24:25], v[24:25], v[120:121], v[31:32]
	s_wait_loadcnt_dscnt 0x401
	v_mul_f64_e32 v[124:125], v[2:3], v[110:111]
	v_mul_f64_e32 v[110:111], v[4:5], v[110:111]
	s_wait_loadcnt_dscnt 0x300
	v_mul_f64_e32 v[106:107], v[27:28], v[8:9]
	v_add_f64_e32 v[31:32], v[104:105], v[112:113]
	v_add_f64_e32 v[104:105], v[114:115], v[122:123]
	v_mul_f64_e32 v[8:9], v[29:30], v[8:9]
	v_fma_f64 v[112:113], v[4:5], v[108:109], v[124:125]
	v_fma_f64 v[108:109], v[2:3], v[108:109], -v[110:111]
	v_fma_f64 v[29:30], v[29:30], v[6:7], v[106:107]
	v_add_f64_e32 v[31:32], v[31:32], v[22:23]
	v_add_f64_e32 v[104:105], v[104:105], v[24:25]
	ds_load_b128 v[2:5], v1 offset:1072
	ds_load_b128 v[22:25], v1 offset:1088
	v_fma_f64 v[6:7], v[27:28], v[6:7], -v[8:9]
	s_wait_loadcnt_dscnt 0x201
	v_mul_f64_e32 v[110:111], v[2:3], v[12:13]
	v_mul_f64_e32 v[12:13], v[4:5], v[12:13]
	v_add_f64_e32 v[8:9], v[31:32], v[108:109]
	v_add_f64_e32 v[27:28], v[104:105], v[112:113]
	s_wait_loadcnt_dscnt 0x100
	v_mul_f64_e32 v[31:32], v[22:23], v[16:17]
	v_mul_f64_e32 v[16:17], v[24:25], v[16:17]
	v_fma_f64 v[104:105], v[4:5], v[10:11], v[110:111]
	v_fma_f64 v[10:11], v[2:3], v[10:11], -v[12:13]
	ds_load_b128 v[2:5], v1 offset:1104
	v_add_f64_e32 v[6:7], v[8:9], v[6:7]
	v_add_f64_e32 v[8:9], v[27:28], v[29:30]
	v_fma_f64 v[24:25], v[24:25], v[14:15], v[31:32]
	v_fma_f64 v[14:15], v[22:23], v[14:15], -v[16:17]
	s_wait_loadcnt_dscnt 0x0
	v_mul_f64_e32 v[12:13], v[2:3], v[20:21]
	v_mul_f64_e32 v[20:21], v[4:5], v[20:21]
	v_add_f64_e32 v[6:7], v[6:7], v[10:11]
	v_add_f64_e32 v[8:9], v[8:9], v[104:105]
	s_delay_alu instid0(VALU_DEP_4) | instskip(NEXT) | instid1(VALU_DEP_4)
	v_fma_f64 v[4:5], v[4:5], v[18:19], v[12:13]
	v_fma_f64 v[2:3], v[2:3], v[18:19], -v[20:21]
	s_delay_alu instid0(VALU_DEP_4) | instskip(NEXT) | instid1(VALU_DEP_4)
	v_add_f64_e32 v[6:7], v[6:7], v[14:15]
	v_add_f64_e32 v[8:9], v[8:9], v[24:25]
	s_delay_alu instid0(VALU_DEP_2) | instskip(NEXT) | instid1(VALU_DEP_2)
	v_add_f64_e32 v[2:3], v[6:7], v[2:3]
	v_add_f64_e32 v[4:5], v[8:9], v[4:5]
	s_delay_alu instid0(VALU_DEP_2) | instskip(NEXT) | instid1(VALU_DEP_2)
	v_add_f64_e64 v[2:3], v[116:117], -v[2:3]
	v_add_f64_e64 v[4:5], v[118:119], -v[4:5]
	scratch_store_b128 off, v[2:5], off offset:160
	v_cmpx_lt_u32_e32 8, v0
	s_cbranch_execz .LBB98_207
; %bb.206:
	scratch_load_b128 v[5:8], off, s10
	v_dual_mov_b32 v2, v1 :: v_dual_mov_b32 v3, v1
	v_mov_b32_e32 v4, v1
	scratch_store_b128 off, v[1:4], off offset:144
	s_wait_loadcnt 0x0
	ds_store_b128 v26, v[5:8]
.LBB98_207:
	s_wait_alu 0xfffe
	s_or_b32 exec_lo, exec_lo, s0
	s_wait_storecnt_dscnt 0x0
	s_barrier_signal -1
	s_barrier_wait -1
	global_inv scope:SCOPE_SE
	s_clause 0x8
	scratch_load_b128 v[2:5], off, off offset:160
	scratch_load_b128 v[6:9], off, off offset:176
	;; [unrolled: 1-line block ×9, first 2 shown]
	ds_load_b128 v[112:115], v1 offset:704
	ds_load_b128 v[116:119], v1 offset:720
	s_clause 0x1
	scratch_load_b128 v[120:123], off, off offset:144
	scratch_load_b128 v[124:127], off, off offset:304
	s_mov_b32 s0, exec_lo
	ds_load_b128 v[128:131], v1 offset:752
	s_wait_loadcnt_dscnt 0xa02
	v_mul_f64_e32 v[31:32], v[114:115], v[4:5]
	v_mul_f64_e32 v[4:5], v[112:113], v[4:5]
	s_wait_loadcnt_dscnt 0x901
	v_mul_f64_e32 v[132:133], v[116:117], v[8:9]
	v_mul_f64_e32 v[8:9], v[118:119], v[8:9]
	s_delay_alu instid0(VALU_DEP_4) | instskip(NEXT) | instid1(VALU_DEP_4)
	v_fma_f64 v[31:32], v[112:113], v[2:3], -v[31:32]
	v_fma_f64 v[134:135], v[114:115], v[2:3], v[4:5]
	ds_load_b128 v[2:5], v1 offset:736
	scratch_load_b128 v[112:115], off, off offset:320
	v_fma_f64 v[118:119], v[118:119], v[6:7], v[132:133]
	v_fma_f64 v[116:117], v[116:117], v[6:7], -v[8:9]
	scratch_load_b128 v[6:9], off, off offset:336
	s_wait_loadcnt_dscnt 0xa00
	v_mul_f64_e32 v[136:137], v[2:3], v[12:13]
	v_mul_f64_e32 v[12:13], v[4:5], v[12:13]
	v_add_f64_e32 v[31:32], 0, v[31:32]
	v_add_f64_e32 v[132:133], 0, v[134:135]
	s_wait_loadcnt 0x9
	v_mul_f64_e32 v[134:135], v[128:129], v[16:17]
	v_mul_f64_e32 v[16:17], v[130:131], v[16:17]
	v_fma_f64 v[136:137], v[4:5], v[10:11], v[136:137]
	v_fma_f64 v[138:139], v[2:3], v[10:11], -v[12:13]
	ds_load_b128 v[2:5], v1 offset:768
	scratch_load_b128 v[10:13], off, off offset:352
	v_add_f64_e32 v[31:32], v[31:32], v[116:117]
	v_add_f64_e32 v[132:133], v[132:133], v[118:119]
	ds_load_b128 v[116:119], v1 offset:784
	v_fma_f64 v[130:131], v[130:131], v[14:15], v[134:135]
	v_fma_f64 v[128:129], v[128:129], v[14:15], -v[16:17]
	scratch_load_b128 v[14:17], off, off offset:368
	s_wait_loadcnt_dscnt 0xa01
	v_mul_f64_e32 v[140:141], v[2:3], v[20:21]
	v_mul_f64_e32 v[20:21], v[4:5], v[20:21]
	s_wait_loadcnt_dscnt 0x900
	v_mul_f64_e32 v[134:135], v[116:117], v[24:25]
	v_mul_f64_e32 v[24:25], v[118:119], v[24:25]
	v_add_f64_e32 v[31:32], v[31:32], v[138:139]
	v_add_f64_e32 v[132:133], v[132:133], v[136:137]
	v_fma_f64 v[136:137], v[4:5], v[18:19], v[140:141]
	v_fma_f64 v[138:139], v[2:3], v[18:19], -v[20:21]
	ds_load_b128 v[2:5], v1 offset:800
	scratch_load_b128 v[18:21], off, off offset:384
	v_fma_f64 v[118:119], v[118:119], v[22:23], v[134:135]
	v_fma_f64 v[116:117], v[116:117], v[22:23], -v[24:25]
	scratch_load_b128 v[22:25], off, off offset:400
	v_add_f64_e32 v[31:32], v[31:32], v[128:129]
	v_add_f64_e32 v[132:133], v[132:133], v[130:131]
	ds_load_b128 v[128:131], v1 offset:816
	s_wait_loadcnt_dscnt 0xa01
	v_mul_f64_e32 v[140:141], v[2:3], v[29:30]
	v_mul_f64_e32 v[29:30], v[4:5], v[29:30]
	s_wait_loadcnt_dscnt 0x900
	v_mul_f64_e32 v[134:135], v[128:129], v[106:107]
	v_mul_f64_e32 v[106:107], v[130:131], v[106:107]
	v_add_f64_e32 v[31:32], v[31:32], v[138:139]
	v_add_f64_e32 v[132:133], v[132:133], v[136:137]
	v_fma_f64 v[136:137], v[4:5], v[27:28], v[140:141]
	v_fma_f64 v[138:139], v[2:3], v[27:28], -v[29:30]
	ds_load_b128 v[2:5], v1 offset:832
	scratch_load_b128 v[27:30], off, off offset:416
	v_fma_f64 v[130:131], v[130:131], v[104:105], v[134:135]
	v_fma_f64 v[128:129], v[128:129], v[104:105], -v[106:107]
	scratch_load_b128 v[104:107], off, off offset:432
	v_add_f64_e32 v[31:32], v[31:32], v[116:117]
	v_add_f64_e32 v[132:133], v[132:133], v[118:119]
	ds_load_b128 v[116:119], v1 offset:848
	s_wait_loadcnt_dscnt 0xa01
	v_mul_f64_e32 v[140:141], v[2:3], v[110:111]
	v_mul_f64_e32 v[110:111], v[4:5], v[110:111]
	s_wait_loadcnt_dscnt 0x800
	v_mul_f64_e32 v[134:135], v[116:117], v[126:127]
	v_add_f64_e32 v[31:32], v[31:32], v[138:139]
	v_add_f64_e32 v[132:133], v[132:133], v[136:137]
	v_mul_f64_e32 v[136:137], v[118:119], v[126:127]
	v_fma_f64 v[138:139], v[4:5], v[108:109], v[140:141]
	v_fma_f64 v[140:141], v[2:3], v[108:109], -v[110:111]
	ds_load_b128 v[2:5], v1 offset:864
	scratch_load_b128 v[108:111], off, off offset:448
	v_fma_f64 v[118:119], v[118:119], v[124:125], v[134:135]
	v_add_f64_e32 v[31:32], v[31:32], v[128:129]
	v_add_f64_e32 v[130:131], v[132:133], v[130:131]
	ds_load_b128 v[126:129], v1 offset:880
	v_fma_f64 v[124:125], v[116:117], v[124:125], -v[136:137]
	ds_load_b128 v[134:137], v1 offset:912
	s_wait_loadcnt_dscnt 0x802
	v_mul_f64_e32 v[132:133], v[2:3], v[114:115]
	v_mul_f64_e32 v[142:143], v[4:5], v[114:115]
	scratch_load_b128 v[114:117], off, off offset:464
	v_add_f64_e32 v[31:32], v[31:32], v[140:141]
	v_add_f64_e32 v[130:131], v[130:131], v[138:139]
	s_wait_loadcnt_dscnt 0x801
	v_mul_f64_e32 v[138:139], v[126:127], v[8:9]
	v_mul_f64_e32 v[8:9], v[128:129], v[8:9]
	v_fma_f64 v[140:141], v[4:5], v[112:113], v[132:133]
	v_fma_f64 v[112:113], v[2:3], v[112:113], -v[142:143]
	ds_load_b128 v[2:5], v1 offset:896
	v_add_f64_e32 v[31:32], v[31:32], v[124:125]
	v_add_f64_e32 v[118:119], v[130:131], v[118:119]
	scratch_load_b128 v[130:133], off, off offset:480
	s_wait_loadcnt_dscnt 0x800
	v_mul_f64_e32 v[124:125], v[2:3], v[12:13]
	v_mul_f64_e32 v[12:13], v[4:5], v[12:13]
	v_fma_f64 v[128:129], v[128:129], v[6:7], v[138:139]
	v_fma_f64 v[126:127], v[126:127], v[6:7], -v[8:9]
	scratch_load_b128 v[6:9], off, off offset:496
	v_add_f64_e32 v[31:32], v[31:32], v[112:113]
	v_add_f64_e32 v[112:113], v[118:119], v[140:141]
	s_wait_loadcnt 0x8
	v_mul_f64_e32 v[118:119], v[134:135], v[16:17]
	v_mul_f64_e32 v[16:17], v[136:137], v[16:17]
	v_fma_f64 v[138:139], v[4:5], v[10:11], v[124:125]
	v_fma_f64 v[140:141], v[2:3], v[10:11], -v[12:13]
	ds_load_b128 v[2:5], v1 offset:928
	scratch_load_b128 v[10:13], off, off offset:512
	v_add_f64_e32 v[31:32], v[31:32], v[126:127]
	v_add_f64_e32 v[112:113], v[112:113], v[128:129]
	ds_load_b128 v[124:127], v1 offset:944
	s_wait_loadcnt_dscnt 0x801
	v_mul_f64_e32 v[128:129], v[2:3], v[20:21]
	v_mul_f64_e32 v[20:21], v[4:5], v[20:21]
	v_fma_f64 v[118:119], v[136:137], v[14:15], v[118:119]
	v_fma_f64 v[134:135], v[134:135], v[14:15], -v[16:17]
	scratch_load_b128 v[14:17], off, off offset:528
	v_add_f64_e32 v[31:32], v[31:32], v[140:141]
	v_add_f64_e32 v[112:113], v[112:113], v[138:139]
	s_wait_loadcnt_dscnt 0x800
	v_mul_f64_e32 v[138:139], v[124:125], v[24:25]
	v_mul_f64_e32 v[24:25], v[126:127], v[24:25]
	v_fma_f64 v[128:129], v[4:5], v[18:19], v[128:129]
	v_fma_f64 v[140:141], v[2:3], v[18:19], -v[20:21]
	ds_load_b128 v[2:5], v1 offset:960
	scratch_load_b128 v[18:21], off, off offset:544
	v_add_f64_e32 v[31:32], v[31:32], v[134:135]
	v_add_f64_e32 v[112:113], v[112:113], v[118:119]
	ds_load_b128 v[134:137], v1 offset:976
	s_wait_loadcnt_dscnt 0x801
	v_mul_f64_e32 v[118:119], v[2:3], v[29:30]
	v_mul_f64_e32 v[29:30], v[4:5], v[29:30]
	v_fma_f64 v[126:127], v[126:127], v[22:23], v[138:139]
	v_fma_f64 v[124:125], v[124:125], v[22:23], -v[24:25]
	scratch_load_b128 v[22:25], off, off offset:560
	v_add_f64_e32 v[31:32], v[31:32], v[140:141]
	v_add_f64_e32 v[112:113], v[112:113], v[128:129]
	s_wait_loadcnt_dscnt 0x800
	v_mul_f64_e32 v[128:129], v[134:135], v[106:107]
	v_mul_f64_e32 v[106:107], v[136:137], v[106:107]
	v_fma_f64 v[118:119], v[4:5], v[27:28], v[118:119]
	v_fma_f64 v[138:139], v[2:3], v[27:28], -v[29:30]
	ds_load_b128 v[2:5], v1 offset:992
	ds_load_b128 v[27:30], v1 offset:1008
	v_add_f64_e32 v[31:32], v[31:32], v[124:125]
	v_add_f64_e32 v[112:113], v[112:113], v[126:127]
	s_wait_loadcnt_dscnt 0x701
	v_mul_f64_e32 v[124:125], v[2:3], v[110:111]
	v_mul_f64_e32 v[110:111], v[4:5], v[110:111]
	v_fma_f64 v[126:127], v[136:137], v[104:105], v[128:129]
	v_fma_f64 v[104:105], v[134:135], v[104:105], -v[106:107]
	v_add_f64_e32 v[31:32], v[31:32], v[138:139]
	v_add_f64_e32 v[106:107], v[112:113], v[118:119]
	s_wait_loadcnt_dscnt 0x600
	v_mul_f64_e32 v[112:113], v[27:28], v[116:117]
	v_mul_f64_e32 v[116:117], v[29:30], v[116:117]
	v_fma_f64 v[118:119], v[4:5], v[108:109], v[124:125]
	v_fma_f64 v[108:109], v[2:3], v[108:109], -v[110:111]
	v_add_f64_e32 v[31:32], v[31:32], v[104:105]
	v_add_f64_e32 v[110:111], v[106:107], v[126:127]
	ds_load_b128 v[2:5], v1 offset:1024
	ds_load_b128 v[104:107], v1 offset:1040
	v_fma_f64 v[29:30], v[29:30], v[114:115], v[112:113]
	v_fma_f64 v[27:28], v[27:28], v[114:115], -v[116:117]
	s_wait_loadcnt_dscnt 0x501
	v_mul_f64_e32 v[124:125], v[2:3], v[132:133]
	v_mul_f64_e32 v[126:127], v[4:5], v[132:133]
	v_add_f64_e32 v[31:32], v[31:32], v[108:109]
	v_add_f64_e32 v[108:109], v[110:111], v[118:119]
	s_wait_loadcnt_dscnt 0x400
	v_mul_f64_e32 v[110:111], v[104:105], v[8:9]
	v_mul_f64_e32 v[8:9], v[106:107], v[8:9]
	v_fma_f64 v[112:113], v[4:5], v[130:131], v[124:125]
	v_fma_f64 v[114:115], v[2:3], v[130:131], -v[126:127]
	v_add_f64_e32 v[31:32], v[31:32], v[27:28]
	v_add_f64_e32 v[108:109], v[108:109], v[29:30]
	ds_load_b128 v[2:5], v1 offset:1056
	ds_load_b128 v[27:30], v1 offset:1072
	v_fma_f64 v[106:107], v[106:107], v[6:7], v[110:111]
	v_fma_f64 v[6:7], v[104:105], v[6:7], -v[8:9]
	s_wait_loadcnt_dscnt 0x301
	v_mul_f64_e32 v[116:117], v[2:3], v[12:13]
	v_mul_f64_e32 v[12:13], v[4:5], v[12:13]
	s_wait_loadcnt_dscnt 0x200
	v_mul_f64_e32 v[104:105], v[27:28], v[16:17]
	v_mul_f64_e32 v[16:17], v[29:30], v[16:17]
	v_add_f64_e32 v[8:9], v[31:32], v[114:115]
	v_add_f64_e32 v[31:32], v[108:109], v[112:113]
	v_fma_f64 v[108:109], v[4:5], v[10:11], v[116:117]
	v_fma_f64 v[10:11], v[2:3], v[10:11], -v[12:13]
	v_fma_f64 v[29:30], v[29:30], v[14:15], v[104:105]
	v_fma_f64 v[14:15], v[27:28], v[14:15], -v[16:17]
	v_add_f64_e32 v[12:13], v[8:9], v[6:7]
	v_add_f64_e32 v[31:32], v[31:32], v[106:107]
	ds_load_b128 v[2:5], v1 offset:1088
	ds_load_b128 v[6:9], v1 offset:1104
	s_wait_loadcnt_dscnt 0x101
	v_mul_f64_e32 v[106:107], v[2:3], v[20:21]
	v_mul_f64_e32 v[20:21], v[4:5], v[20:21]
	s_wait_loadcnt_dscnt 0x0
	v_mul_f64_e32 v[16:17], v[6:7], v[24:25]
	v_mul_f64_e32 v[24:25], v[8:9], v[24:25]
	v_add_f64_e32 v[10:11], v[12:13], v[10:11]
	v_add_f64_e32 v[12:13], v[31:32], v[108:109]
	v_fma_f64 v[4:5], v[4:5], v[18:19], v[106:107]
	v_fma_f64 v[1:2], v[2:3], v[18:19], -v[20:21]
	v_fma_f64 v[8:9], v[8:9], v[22:23], v[16:17]
	v_fma_f64 v[6:7], v[6:7], v[22:23], -v[24:25]
	v_add_f64_e32 v[10:11], v[10:11], v[14:15]
	v_add_f64_e32 v[12:13], v[12:13], v[29:30]
	s_delay_alu instid0(VALU_DEP_2) | instskip(NEXT) | instid1(VALU_DEP_2)
	v_add_f64_e32 v[1:2], v[10:11], v[1:2]
	v_add_f64_e32 v[3:4], v[12:13], v[4:5]
	s_delay_alu instid0(VALU_DEP_2) | instskip(NEXT) | instid1(VALU_DEP_2)
	;; [unrolled: 3-line block ×3, first 2 shown]
	v_add_f64_e64 v[1:2], v[120:121], -v[1:2]
	v_add_f64_e64 v[3:4], v[122:123], -v[3:4]
	scratch_store_b128 off, v[1:4], off offset:144
	v_cmpx_lt_u32_e32 7, v0
	s_cbranch_execz .LBB98_209
; %bb.208:
	scratch_load_b128 v[1:4], off, s27
	v_mov_b32_e32 v5, 0
	s_delay_alu instid0(VALU_DEP_1)
	v_dual_mov_b32 v6, v5 :: v_dual_mov_b32 v7, v5
	v_mov_b32_e32 v8, v5
	scratch_store_b128 off, v[5:8], off offset:128
	s_wait_loadcnt 0x0
	ds_store_b128 v26, v[1:4]
.LBB98_209:
	s_wait_alu 0xfffe
	s_or_b32 exec_lo, exec_lo, s0
	s_wait_storecnt_dscnt 0x0
	s_barrier_signal -1
	s_barrier_wait -1
	global_inv scope:SCOPE_SE
	s_clause 0x7
	scratch_load_b128 v[2:5], off, off offset:144
	scratch_load_b128 v[6:9], off, off offset:160
	;; [unrolled: 1-line block ×8, first 2 shown]
	v_mov_b32_e32 v1, 0
	s_mov_b32 s0, exec_lo
	ds_load_b128 v[108:111], v1 offset:688
	s_clause 0x1
	scratch_load_b128 v[112:115], off, off offset:272
	scratch_load_b128 v[116:119], off, off offset:128
	ds_load_b128 v[120:123], v1 offset:704
	scratch_load_b128 v[124:127], off, off offset:288
	ds_load_b128 v[128:131], v1 offset:736
	s_wait_loadcnt_dscnt 0xa02
	v_mul_f64_e32 v[31:32], v[110:111], v[4:5]
	v_mul_f64_e32 v[4:5], v[108:109], v[4:5]
	s_delay_alu instid0(VALU_DEP_2) | instskip(NEXT) | instid1(VALU_DEP_2)
	v_fma_f64 v[31:32], v[108:109], v[2:3], -v[31:32]
	v_fma_f64 v[134:135], v[110:111], v[2:3], v[4:5]
	ds_load_b128 v[2:5], v1 offset:720
	s_wait_loadcnt_dscnt 0x902
	v_mul_f64_e32 v[132:133], v[120:121], v[8:9]
	v_mul_f64_e32 v[8:9], v[122:123], v[8:9]
	scratch_load_b128 v[108:111], off, off offset:304
	s_wait_loadcnt_dscnt 0x900
	v_mul_f64_e32 v[136:137], v[2:3], v[12:13]
	v_mul_f64_e32 v[12:13], v[4:5], v[12:13]
	v_add_f64_e32 v[31:32], 0, v[31:32]
	v_fma_f64 v[122:123], v[122:123], v[6:7], v[132:133]
	v_fma_f64 v[120:121], v[120:121], v[6:7], -v[8:9]
	v_add_f64_e32 v[132:133], 0, v[134:135]
	scratch_load_b128 v[6:9], off, off offset:320
	v_fma_f64 v[136:137], v[4:5], v[10:11], v[136:137]
	v_fma_f64 v[138:139], v[2:3], v[10:11], -v[12:13]
	ds_load_b128 v[2:5], v1 offset:752
	s_wait_loadcnt 0x9
	v_mul_f64_e32 v[134:135], v[128:129], v[16:17]
	v_mul_f64_e32 v[16:17], v[130:131], v[16:17]
	scratch_load_b128 v[10:13], off, off offset:336
	v_add_f64_e32 v[31:32], v[31:32], v[120:121]
	v_add_f64_e32 v[132:133], v[132:133], v[122:123]
	s_wait_loadcnt_dscnt 0x900
	v_mul_f64_e32 v[140:141], v[2:3], v[20:21]
	v_mul_f64_e32 v[20:21], v[4:5], v[20:21]
	ds_load_b128 v[120:123], v1 offset:768
	v_fma_f64 v[130:131], v[130:131], v[14:15], v[134:135]
	v_fma_f64 v[128:129], v[128:129], v[14:15], -v[16:17]
	scratch_load_b128 v[14:17], off, off offset:352
	v_add_f64_e32 v[31:32], v[31:32], v[138:139]
	v_add_f64_e32 v[132:133], v[132:133], v[136:137]
	v_fma_f64 v[136:137], v[4:5], v[18:19], v[140:141]
	v_fma_f64 v[138:139], v[2:3], v[18:19], -v[20:21]
	ds_load_b128 v[2:5], v1 offset:784
	s_wait_loadcnt_dscnt 0x901
	v_mul_f64_e32 v[134:135], v[120:121], v[24:25]
	v_mul_f64_e32 v[24:25], v[122:123], v[24:25]
	scratch_load_b128 v[18:21], off, off offset:368
	s_wait_loadcnt_dscnt 0x900
	v_mul_f64_e32 v[140:141], v[2:3], v[29:30]
	v_mul_f64_e32 v[29:30], v[4:5], v[29:30]
	v_add_f64_e32 v[31:32], v[31:32], v[128:129]
	v_add_f64_e32 v[132:133], v[132:133], v[130:131]
	ds_load_b128 v[128:131], v1 offset:800
	v_fma_f64 v[122:123], v[122:123], v[22:23], v[134:135]
	v_fma_f64 v[120:121], v[120:121], v[22:23], -v[24:25]
	scratch_load_b128 v[22:25], off, off offset:384
	v_add_f64_e32 v[31:32], v[31:32], v[138:139]
	v_add_f64_e32 v[132:133], v[132:133], v[136:137]
	v_fma_f64 v[136:137], v[4:5], v[27:28], v[140:141]
	v_fma_f64 v[138:139], v[2:3], v[27:28], -v[29:30]
	ds_load_b128 v[2:5], v1 offset:816
	s_wait_loadcnt_dscnt 0x901
	v_mul_f64_e32 v[134:135], v[128:129], v[106:107]
	v_mul_f64_e32 v[106:107], v[130:131], v[106:107]
	scratch_load_b128 v[27:30], off, off offset:400
	s_wait_loadcnt_dscnt 0x900
	v_mul_f64_e32 v[140:141], v[2:3], v[114:115]
	v_mul_f64_e32 v[114:115], v[4:5], v[114:115]
	v_add_f64_e32 v[31:32], v[31:32], v[120:121]
	v_add_f64_e32 v[132:133], v[132:133], v[122:123]
	ds_load_b128 v[120:123], v1 offset:832
	v_fma_f64 v[130:131], v[130:131], v[104:105], v[134:135]
	v_fma_f64 v[128:129], v[128:129], v[104:105], -v[106:107]
	scratch_load_b128 v[104:107], off, off offset:416
	v_add_f64_e32 v[31:32], v[31:32], v[138:139]
	v_add_f64_e32 v[132:133], v[132:133], v[136:137]
	v_fma_f64 v[138:139], v[4:5], v[112:113], v[140:141]
	v_fma_f64 v[140:141], v[2:3], v[112:113], -v[114:115]
	ds_load_b128 v[2:5], v1 offset:848
	s_wait_loadcnt_dscnt 0x801
	v_mul_f64_e32 v[134:135], v[120:121], v[126:127]
	v_mul_f64_e32 v[136:137], v[122:123], v[126:127]
	scratch_load_b128 v[112:115], off, off offset:432
	v_add_f64_e32 v[31:32], v[31:32], v[128:129]
	v_add_f64_e32 v[130:131], v[132:133], v[130:131]
	ds_load_b128 v[126:129], v1 offset:864
	v_fma_f64 v[134:135], v[122:123], v[124:125], v[134:135]
	v_fma_f64 v[124:125], v[120:121], v[124:125], -v[136:137]
	scratch_load_b128 v[120:123], off, off offset:448
	s_wait_loadcnt_dscnt 0x901
	v_mul_f64_e32 v[132:133], v[2:3], v[110:111]
	v_mul_f64_e32 v[110:111], v[4:5], v[110:111]
	v_add_f64_e32 v[31:32], v[31:32], v[140:141]
	v_add_f64_e32 v[130:131], v[130:131], v[138:139]
	s_delay_alu instid0(VALU_DEP_4) | instskip(NEXT) | instid1(VALU_DEP_4)
	v_fma_f64 v[138:139], v[4:5], v[108:109], v[132:133]
	v_fma_f64 v[140:141], v[2:3], v[108:109], -v[110:111]
	ds_load_b128 v[2:5], v1 offset:880
	s_wait_loadcnt_dscnt 0x801
	v_mul_f64_e32 v[136:137], v[126:127], v[8:9]
	v_mul_f64_e32 v[8:9], v[128:129], v[8:9]
	scratch_load_b128 v[108:111], off, off offset:464
	v_add_f64_e32 v[31:32], v[31:32], v[124:125]
	v_add_f64_e32 v[124:125], v[130:131], v[134:135]
	s_wait_loadcnt_dscnt 0x800
	v_mul_f64_e32 v[134:135], v[2:3], v[12:13]
	v_mul_f64_e32 v[12:13], v[4:5], v[12:13]
	ds_load_b128 v[130:133], v1 offset:896
	v_fma_f64 v[128:129], v[128:129], v[6:7], v[136:137]
	v_fma_f64 v[126:127], v[126:127], v[6:7], -v[8:9]
	scratch_load_b128 v[6:9], off, off offset:480
	v_add_f64_e32 v[31:32], v[31:32], v[140:141]
	v_add_f64_e32 v[124:125], v[124:125], v[138:139]
	v_fma_f64 v[134:135], v[4:5], v[10:11], v[134:135]
	v_fma_f64 v[138:139], v[2:3], v[10:11], -v[12:13]
	ds_load_b128 v[2:5], v1 offset:912
	s_wait_loadcnt_dscnt 0x801
	v_mul_f64_e32 v[136:137], v[130:131], v[16:17]
	v_mul_f64_e32 v[16:17], v[132:133], v[16:17]
	scratch_load_b128 v[10:13], off, off offset:496
	s_wait_loadcnt_dscnt 0x800
	v_mul_f64_e32 v[140:141], v[2:3], v[20:21]
	v_mul_f64_e32 v[20:21], v[4:5], v[20:21]
	v_add_f64_e32 v[31:32], v[31:32], v[126:127]
	v_add_f64_e32 v[128:129], v[124:125], v[128:129]
	ds_load_b128 v[124:127], v1 offset:928
	v_fma_f64 v[132:133], v[132:133], v[14:15], v[136:137]
	v_fma_f64 v[130:131], v[130:131], v[14:15], -v[16:17]
	scratch_load_b128 v[14:17], off, off offset:512
	v_fma_f64 v[136:137], v[4:5], v[18:19], v[140:141]
	v_add_f64_e32 v[31:32], v[31:32], v[138:139]
	v_add_f64_e32 v[128:129], v[128:129], v[134:135]
	v_fma_f64 v[138:139], v[2:3], v[18:19], -v[20:21]
	ds_load_b128 v[2:5], v1 offset:944
	s_wait_loadcnt_dscnt 0x801
	v_mul_f64_e32 v[134:135], v[124:125], v[24:25]
	v_mul_f64_e32 v[24:25], v[126:127], v[24:25]
	scratch_load_b128 v[18:21], off, off offset:528
	s_wait_loadcnt_dscnt 0x800
	v_mul_f64_e32 v[140:141], v[2:3], v[29:30]
	v_mul_f64_e32 v[29:30], v[4:5], v[29:30]
	v_add_f64_e32 v[31:32], v[31:32], v[130:131]
	v_add_f64_e32 v[132:133], v[128:129], v[132:133]
	ds_load_b128 v[128:131], v1 offset:960
	v_fma_f64 v[126:127], v[126:127], v[22:23], v[134:135]
	v_fma_f64 v[124:125], v[124:125], v[22:23], -v[24:25]
	scratch_load_b128 v[22:25], off, off offset:544
	v_add_f64_e32 v[31:32], v[31:32], v[138:139]
	v_add_f64_e32 v[132:133], v[132:133], v[136:137]
	v_fma_f64 v[136:137], v[4:5], v[27:28], v[140:141]
	v_fma_f64 v[138:139], v[2:3], v[27:28], -v[29:30]
	ds_load_b128 v[2:5], v1 offset:976
	s_wait_loadcnt_dscnt 0x801
	v_mul_f64_e32 v[134:135], v[128:129], v[106:107]
	v_mul_f64_e32 v[106:107], v[130:131], v[106:107]
	scratch_load_b128 v[27:30], off, off offset:560
	s_wait_loadcnt_dscnt 0x800
	v_mul_f64_e32 v[140:141], v[2:3], v[114:115]
	v_mul_f64_e32 v[114:115], v[4:5], v[114:115]
	v_add_f64_e32 v[31:32], v[31:32], v[124:125]
	v_add_f64_e32 v[132:133], v[132:133], v[126:127]
	ds_load_b128 v[124:127], v1 offset:992
	v_fma_f64 v[130:131], v[130:131], v[104:105], v[134:135]
	v_fma_f64 v[104:105], v[128:129], v[104:105], -v[106:107]
	s_wait_loadcnt_dscnt 0x700
	v_mul_f64_e32 v[128:129], v[124:125], v[122:123]
	v_mul_f64_e32 v[122:123], v[126:127], v[122:123]
	v_add_f64_e32 v[31:32], v[31:32], v[138:139]
	v_add_f64_e32 v[106:107], v[132:133], v[136:137]
	v_fma_f64 v[132:133], v[4:5], v[112:113], v[140:141]
	v_fma_f64 v[112:113], v[2:3], v[112:113], -v[114:115]
	v_fma_f64 v[126:127], v[126:127], v[120:121], v[128:129]
	v_fma_f64 v[120:121], v[124:125], v[120:121], -v[122:123]
	v_add_f64_e32 v[31:32], v[31:32], v[104:105]
	v_add_f64_e32 v[114:115], v[106:107], v[130:131]
	ds_load_b128 v[2:5], v1 offset:1008
	ds_load_b128 v[104:107], v1 offset:1024
	s_wait_loadcnt_dscnt 0x601
	v_mul_f64_e32 v[130:131], v[2:3], v[110:111]
	v_mul_f64_e32 v[110:111], v[4:5], v[110:111]
	v_add_f64_e32 v[31:32], v[31:32], v[112:113]
	v_add_f64_e32 v[112:113], v[114:115], v[132:133]
	s_wait_loadcnt_dscnt 0x500
	v_mul_f64_e32 v[114:115], v[104:105], v[8:9]
	v_mul_f64_e32 v[8:9], v[106:107], v[8:9]
	v_fma_f64 v[122:123], v[4:5], v[108:109], v[130:131]
	v_fma_f64 v[124:125], v[2:3], v[108:109], -v[110:111]
	ds_load_b128 v[2:5], v1 offset:1040
	ds_load_b128 v[108:111], v1 offset:1056
	v_add_f64_e32 v[31:32], v[31:32], v[120:121]
	v_add_f64_e32 v[112:113], v[112:113], v[126:127]
	v_fma_f64 v[106:107], v[106:107], v[6:7], v[114:115]
	v_fma_f64 v[6:7], v[104:105], v[6:7], -v[8:9]
	s_wait_loadcnt_dscnt 0x401
	v_mul_f64_e32 v[120:121], v[2:3], v[12:13]
	v_mul_f64_e32 v[12:13], v[4:5], v[12:13]
	s_wait_loadcnt_dscnt 0x300
	v_mul_f64_e32 v[104:105], v[108:109], v[16:17]
	v_mul_f64_e32 v[16:17], v[110:111], v[16:17]
	v_add_f64_e32 v[8:9], v[31:32], v[124:125]
	v_add_f64_e32 v[31:32], v[112:113], v[122:123]
	v_fma_f64 v[112:113], v[4:5], v[10:11], v[120:121]
	v_fma_f64 v[10:11], v[2:3], v[10:11], -v[12:13]
	v_fma_f64 v[104:105], v[110:111], v[14:15], v[104:105]
	v_fma_f64 v[14:15], v[108:109], v[14:15], -v[16:17]
	v_add_f64_e32 v[12:13], v[8:9], v[6:7]
	v_add_f64_e32 v[31:32], v[31:32], v[106:107]
	ds_load_b128 v[2:5], v1 offset:1072
	ds_load_b128 v[6:9], v1 offset:1088
	s_wait_loadcnt_dscnt 0x201
	v_mul_f64_e32 v[106:107], v[2:3], v[20:21]
	v_mul_f64_e32 v[20:21], v[4:5], v[20:21]
	s_wait_loadcnt_dscnt 0x100
	v_mul_f64_e32 v[16:17], v[6:7], v[24:25]
	v_mul_f64_e32 v[24:25], v[8:9], v[24:25]
	v_add_f64_e32 v[10:11], v[12:13], v[10:11]
	v_add_f64_e32 v[12:13], v[31:32], v[112:113]
	v_fma_f64 v[31:32], v[4:5], v[18:19], v[106:107]
	v_fma_f64 v[18:19], v[2:3], v[18:19], -v[20:21]
	ds_load_b128 v[2:5], v1 offset:1104
	v_fma_f64 v[8:9], v[8:9], v[22:23], v[16:17]
	v_fma_f64 v[6:7], v[6:7], v[22:23], -v[24:25]
	v_add_f64_e32 v[10:11], v[10:11], v[14:15]
	v_add_f64_e32 v[12:13], v[12:13], v[104:105]
	s_wait_loadcnt_dscnt 0x0
	v_mul_f64_e32 v[14:15], v[2:3], v[29:30]
	v_mul_f64_e32 v[20:21], v[4:5], v[29:30]
	s_delay_alu instid0(VALU_DEP_4) | instskip(NEXT) | instid1(VALU_DEP_4)
	v_add_f64_e32 v[10:11], v[10:11], v[18:19]
	v_add_f64_e32 v[12:13], v[12:13], v[31:32]
	s_delay_alu instid0(VALU_DEP_4) | instskip(NEXT) | instid1(VALU_DEP_4)
	v_fma_f64 v[4:5], v[4:5], v[27:28], v[14:15]
	v_fma_f64 v[2:3], v[2:3], v[27:28], -v[20:21]
	s_delay_alu instid0(VALU_DEP_4) | instskip(NEXT) | instid1(VALU_DEP_4)
	v_add_f64_e32 v[6:7], v[10:11], v[6:7]
	v_add_f64_e32 v[8:9], v[12:13], v[8:9]
	s_delay_alu instid0(VALU_DEP_2) | instskip(NEXT) | instid1(VALU_DEP_2)
	v_add_f64_e32 v[2:3], v[6:7], v[2:3]
	v_add_f64_e32 v[4:5], v[8:9], v[4:5]
	s_delay_alu instid0(VALU_DEP_2) | instskip(NEXT) | instid1(VALU_DEP_2)
	v_add_f64_e64 v[2:3], v[116:117], -v[2:3]
	v_add_f64_e64 v[4:5], v[118:119], -v[4:5]
	scratch_store_b128 off, v[2:5], off offset:128
	v_cmpx_lt_u32_e32 6, v0
	s_cbranch_execz .LBB98_211
; %bb.210:
	scratch_load_b128 v[5:8], off, s5
	v_dual_mov_b32 v2, v1 :: v_dual_mov_b32 v3, v1
	v_mov_b32_e32 v4, v1
	scratch_store_b128 off, v[1:4], off offset:112
	s_wait_loadcnt 0x0
	ds_store_b128 v26, v[5:8]
.LBB98_211:
	s_wait_alu 0xfffe
	s_or_b32 exec_lo, exec_lo, s0
	s_wait_storecnt_dscnt 0x0
	s_barrier_signal -1
	s_barrier_wait -1
	global_inv scope:SCOPE_SE
	s_clause 0x8
	scratch_load_b128 v[2:5], off, off offset:128
	scratch_load_b128 v[6:9], off, off offset:144
	;; [unrolled: 1-line block ×9, first 2 shown]
	ds_load_b128 v[112:115], v1 offset:672
	ds_load_b128 v[116:119], v1 offset:688
	s_clause 0x1
	scratch_load_b128 v[120:123], off, off offset:112
	scratch_load_b128 v[124:127], off, off offset:272
	s_mov_b32 s0, exec_lo
	ds_load_b128 v[128:131], v1 offset:720
	s_wait_loadcnt_dscnt 0xa02
	v_mul_f64_e32 v[31:32], v[114:115], v[4:5]
	v_mul_f64_e32 v[4:5], v[112:113], v[4:5]
	s_wait_loadcnt_dscnt 0x901
	v_mul_f64_e32 v[132:133], v[116:117], v[8:9]
	v_mul_f64_e32 v[8:9], v[118:119], v[8:9]
	s_delay_alu instid0(VALU_DEP_4) | instskip(NEXT) | instid1(VALU_DEP_4)
	v_fma_f64 v[31:32], v[112:113], v[2:3], -v[31:32]
	v_fma_f64 v[134:135], v[114:115], v[2:3], v[4:5]
	ds_load_b128 v[2:5], v1 offset:704
	scratch_load_b128 v[112:115], off, off offset:288
	v_fma_f64 v[118:119], v[118:119], v[6:7], v[132:133]
	v_fma_f64 v[116:117], v[116:117], v[6:7], -v[8:9]
	scratch_load_b128 v[6:9], off, off offset:304
	s_wait_loadcnt_dscnt 0xa00
	v_mul_f64_e32 v[136:137], v[2:3], v[12:13]
	v_mul_f64_e32 v[12:13], v[4:5], v[12:13]
	v_add_f64_e32 v[31:32], 0, v[31:32]
	v_add_f64_e32 v[132:133], 0, v[134:135]
	s_wait_loadcnt 0x9
	v_mul_f64_e32 v[134:135], v[128:129], v[16:17]
	v_mul_f64_e32 v[16:17], v[130:131], v[16:17]
	v_fma_f64 v[136:137], v[4:5], v[10:11], v[136:137]
	v_fma_f64 v[138:139], v[2:3], v[10:11], -v[12:13]
	ds_load_b128 v[2:5], v1 offset:736
	scratch_load_b128 v[10:13], off, off offset:320
	v_add_f64_e32 v[31:32], v[31:32], v[116:117]
	v_add_f64_e32 v[132:133], v[132:133], v[118:119]
	ds_load_b128 v[116:119], v1 offset:752
	v_fma_f64 v[130:131], v[130:131], v[14:15], v[134:135]
	v_fma_f64 v[128:129], v[128:129], v[14:15], -v[16:17]
	scratch_load_b128 v[14:17], off, off offset:336
	s_wait_loadcnt_dscnt 0xa01
	v_mul_f64_e32 v[140:141], v[2:3], v[20:21]
	v_mul_f64_e32 v[20:21], v[4:5], v[20:21]
	s_wait_loadcnt_dscnt 0x900
	v_mul_f64_e32 v[134:135], v[116:117], v[24:25]
	v_mul_f64_e32 v[24:25], v[118:119], v[24:25]
	v_add_f64_e32 v[31:32], v[31:32], v[138:139]
	v_add_f64_e32 v[132:133], v[132:133], v[136:137]
	v_fma_f64 v[136:137], v[4:5], v[18:19], v[140:141]
	v_fma_f64 v[138:139], v[2:3], v[18:19], -v[20:21]
	ds_load_b128 v[2:5], v1 offset:768
	scratch_load_b128 v[18:21], off, off offset:352
	v_fma_f64 v[118:119], v[118:119], v[22:23], v[134:135]
	v_fma_f64 v[116:117], v[116:117], v[22:23], -v[24:25]
	scratch_load_b128 v[22:25], off, off offset:368
	v_add_f64_e32 v[31:32], v[31:32], v[128:129]
	v_add_f64_e32 v[132:133], v[132:133], v[130:131]
	ds_load_b128 v[128:131], v1 offset:784
	s_wait_loadcnt_dscnt 0xa01
	v_mul_f64_e32 v[140:141], v[2:3], v[29:30]
	v_mul_f64_e32 v[29:30], v[4:5], v[29:30]
	s_wait_loadcnt_dscnt 0x900
	v_mul_f64_e32 v[134:135], v[128:129], v[106:107]
	v_mul_f64_e32 v[106:107], v[130:131], v[106:107]
	v_add_f64_e32 v[31:32], v[31:32], v[138:139]
	v_add_f64_e32 v[132:133], v[132:133], v[136:137]
	v_fma_f64 v[136:137], v[4:5], v[27:28], v[140:141]
	v_fma_f64 v[138:139], v[2:3], v[27:28], -v[29:30]
	ds_load_b128 v[2:5], v1 offset:800
	scratch_load_b128 v[27:30], off, off offset:384
	v_fma_f64 v[130:131], v[130:131], v[104:105], v[134:135]
	v_fma_f64 v[128:129], v[128:129], v[104:105], -v[106:107]
	scratch_load_b128 v[104:107], off, off offset:400
	v_add_f64_e32 v[31:32], v[31:32], v[116:117]
	v_add_f64_e32 v[132:133], v[132:133], v[118:119]
	ds_load_b128 v[116:119], v1 offset:816
	s_wait_loadcnt_dscnt 0xa01
	v_mul_f64_e32 v[140:141], v[2:3], v[110:111]
	v_mul_f64_e32 v[110:111], v[4:5], v[110:111]
	s_wait_loadcnt_dscnt 0x800
	v_mul_f64_e32 v[134:135], v[116:117], v[126:127]
	v_add_f64_e32 v[31:32], v[31:32], v[138:139]
	v_add_f64_e32 v[132:133], v[132:133], v[136:137]
	v_mul_f64_e32 v[136:137], v[118:119], v[126:127]
	v_fma_f64 v[138:139], v[4:5], v[108:109], v[140:141]
	v_fma_f64 v[140:141], v[2:3], v[108:109], -v[110:111]
	ds_load_b128 v[2:5], v1 offset:832
	scratch_load_b128 v[108:111], off, off offset:416
	v_fma_f64 v[118:119], v[118:119], v[124:125], v[134:135]
	v_add_f64_e32 v[31:32], v[31:32], v[128:129]
	v_add_f64_e32 v[130:131], v[132:133], v[130:131]
	ds_load_b128 v[126:129], v1 offset:848
	v_fma_f64 v[124:125], v[116:117], v[124:125], -v[136:137]
	ds_load_b128 v[134:137], v1 offset:880
	s_wait_loadcnt_dscnt 0x802
	v_mul_f64_e32 v[132:133], v[2:3], v[114:115]
	v_mul_f64_e32 v[142:143], v[4:5], v[114:115]
	scratch_load_b128 v[114:117], off, off offset:432
	v_add_f64_e32 v[31:32], v[31:32], v[140:141]
	v_add_f64_e32 v[130:131], v[130:131], v[138:139]
	s_wait_loadcnt_dscnt 0x801
	v_mul_f64_e32 v[138:139], v[126:127], v[8:9]
	v_mul_f64_e32 v[8:9], v[128:129], v[8:9]
	v_fma_f64 v[140:141], v[4:5], v[112:113], v[132:133]
	v_fma_f64 v[112:113], v[2:3], v[112:113], -v[142:143]
	ds_load_b128 v[2:5], v1 offset:864
	v_add_f64_e32 v[31:32], v[31:32], v[124:125]
	v_add_f64_e32 v[118:119], v[130:131], v[118:119]
	scratch_load_b128 v[130:133], off, off offset:448
	s_wait_loadcnt_dscnt 0x800
	v_mul_f64_e32 v[124:125], v[2:3], v[12:13]
	v_mul_f64_e32 v[12:13], v[4:5], v[12:13]
	v_fma_f64 v[128:129], v[128:129], v[6:7], v[138:139]
	v_fma_f64 v[126:127], v[126:127], v[6:7], -v[8:9]
	scratch_load_b128 v[6:9], off, off offset:464
	v_add_f64_e32 v[31:32], v[31:32], v[112:113]
	v_add_f64_e32 v[112:113], v[118:119], v[140:141]
	s_wait_loadcnt 0x8
	v_mul_f64_e32 v[118:119], v[134:135], v[16:17]
	v_mul_f64_e32 v[16:17], v[136:137], v[16:17]
	v_fma_f64 v[138:139], v[4:5], v[10:11], v[124:125]
	v_fma_f64 v[140:141], v[2:3], v[10:11], -v[12:13]
	ds_load_b128 v[2:5], v1 offset:896
	scratch_load_b128 v[10:13], off, off offset:480
	v_add_f64_e32 v[31:32], v[31:32], v[126:127]
	v_add_f64_e32 v[112:113], v[112:113], v[128:129]
	ds_load_b128 v[124:127], v1 offset:912
	s_wait_loadcnt_dscnt 0x801
	v_mul_f64_e32 v[128:129], v[2:3], v[20:21]
	v_mul_f64_e32 v[20:21], v[4:5], v[20:21]
	v_fma_f64 v[118:119], v[136:137], v[14:15], v[118:119]
	v_fma_f64 v[134:135], v[134:135], v[14:15], -v[16:17]
	scratch_load_b128 v[14:17], off, off offset:496
	v_add_f64_e32 v[31:32], v[31:32], v[140:141]
	v_add_f64_e32 v[112:113], v[112:113], v[138:139]
	s_wait_loadcnt_dscnt 0x800
	v_mul_f64_e32 v[138:139], v[124:125], v[24:25]
	v_mul_f64_e32 v[24:25], v[126:127], v[24:25]
	v_fma_f64 v[128:129], v[4:5], v[18:19], v[128:129]
	v_fma_f64 v[140:141], v[2:3], v[18:19], -v[20:21]
	ds_load_b128 v[2:5], v1 offset:928
	scratch_load_b128 v[18:21], off, off offset:512
	v_add_f64_e32 v[31:32], v[31:32], v[134:135]
	v_add_f64_e32 v[112:113], v[112:113], v[118:119]
	ds_load_b128 v[134:137], v1 offset:944
	s_wait_loadcnt_dscnt 0x801
	v_mul_f64_e32 v[118:119], v[2:3], v[29:30]
	v_mul_f64_e32 v[29:30], v[4:5], v[29:30]
	v_fma_f64 v[126:127], v[126:127], v[22:23], v[138:139]
	v_fma_f64 v[124:125], v[124:125], v[22:23], -v[24:25]
	scratch_load_b128 v[22:25], off, off offset:528
	v_add_f64_e32 v[31:32], v[31:32], v[140:141]
	v_add_f64_e32 v[112:113], v[112:113], v[128:129]
	s_wait_loadcnt_dscnt 0x800
	;; [unrolled: 18-line block ×3, first 2 shown]
	v_mul_f64_e32 v[118:119], v[124:125], v[116:117]
	v_mul_f64_e32 v[116:117], v[126:127], v[116:117]
	v_fma_f64 v[136:137], v[4:5], v[108:109], v[140:141]
	v_fma_f64 v[138:139], v[2:3], v[108:109], -v[110:111]
	ds_load_b128 v[2:5], v1 offset:992
	ds_load_b128 v[108:111], v1 offset:1008
	v_add_f64_e32 v[31:32], v[31:32], v[134:135]
	v_add_f64_e32 v[112:113], v[112:113], v[128:129]
	v_fma_f64 v[118:119], v[126:127], v[114:115], v[118:119]
	v_fma_f64 v[114:115], v[124:125], v[114:115], -v[116:117]
	s_wait_loadcnt_dscnt 0x701
	v_mul_f64_e32 v[128:129], v[2:3], v[132:133]
	v_mul_f64_e32 v[132:133], v[4:5], v[132:133]
	s_wait_loadcnt_dscnt 0x600
	v_mul_f64_e32 v[116:117], v[108:109], v[8:9]
	v_mul_f64_e32 v[8:9], v[110:111], v[8:9]
	v_add_f64_e32 v[31:32], v[31:32], v[138:139]
	v_add_f64_e32 v[112:113], v[112:113], v[136:137]
	v_fma_f64 v[124:125], v[4:5], v[130:131], v[128:129]
	v_fma_f64 v[126:127], v[2:3], v[130:131], -v[132:133]
	v_fma_f64 v[110:111], v[110:111], v[6:7], v[116:117]
	v_fma_f64 v[6:7], v[108:109], v[6:7], -v[8:9]
	v_add_f64_e32 v[31:32], v[31:32], v[114:115]
	v_add_f64_e32 v[118:119], v[112:113], v[118:119]
	ds_load_b128 v[2:5], v1 offset:1024
	ds_load_b128 v[112:115], v1 offset:1040
	s_wait_loadcnt_dscnt 0x501
	v_mul_f64_e32 v[128:129], v[2:3], v[12:13]
	v_mul_f64_e32 v[12:13], v[4:5], v[12:13]
	s_wait_loadcnt_dscnt 0x400
	v_mul_f64_e32 v[108:109], v[112:113], v[16:17]
	v_mul_f64_e32 v[16:17], v[114:115], v[16:17]
	v_add_f64_e32 v[8:9], v[31:32], v[126:127]
	v_add_f64_e32 v[31:32], v[118:119], v[124:125]
	v_fma_f64 v[116:117], v[4:5], v[10:11], v[128:129]
	v_fma_f64 v[10:11], v[2:3], v[10:11], -v[12:13]
	v_fma_f64 v[108:109], v[114:115], v[14:15], v[108:109]
	v_fma_f64 v[14:15], v[112:113], v[14:15], -v[16:17]
	v_add_f64_e32 v[12:13], v[8:9], v[6:7]
	v_add_f64_e32 v[31:32], v[31:32], v[110:111]
	ds_load_b128 v[2:5], v1 offset:1056
	ds_load_b128 v[6:9], v1 offset:1072
	;; [unrolled: 16-line block ×3, first 2 shown]
	s_wait_loadcnt_dscnt 0x101
	v_mul_f64_e32 v[108:109], v[2:3], v[29:30]
	v_mul_f64_e32 v[29:30], v[4:5], v[29:30]
	v_add_f64_e32 v[14:15], v[14:15], v[18:19]
	v_add_f64_e32 v[16:17], v[20:21], v[31:32]
	s_wait_loadcnt_dscnt 0x0
	v_mul_f64_e32 v[18:19], v[10:11], v[106:107]
	v_mul_f64_e32 v[20:21], v[12:13], v[106:107]
	v_fma_f64 v[4:5], v[4:5], v[27:28], v[108:109]
	v_fma_f64 v[1:2], v[2:3], v[27:28], -v[29:30]
	v_add_f64_e32 v[6:7], v[14:15], v[6:7]
	v_add_f64_e32 v[8:9], v[16:17], v[8:9]
	v_fma_f64 v[12:13], v[12:13], v[104:105], v[18:19]
	v_fma_f64 v[10:11], v[10:11], v[104:105], -v[20:21]
	s_delay_alu instid0(VALU_DEP_4) | instskip(NEXT) | instid1(VALU_DEP_4)
	v_add_f64_e32 v[1:2], v[6:7], v[1:2]
	v_add_f64_e32 v[3:4], v[8:9], v[4:5]
	s_delay_alu instid0(VALU_DEP_2) | instskip(NEXT) | instid1(VALU_DEP_2)
	v_add_f64_e32 v[1:2], v[1:2], v[10:11]
	v_add_f64_e32 v[3:4], v[3:4], v[12:13]
	s_delay_alu instid0(VALU_DEP_2) | instskip(NEXT) | instid1(VALU_DEP_2)
	v_add_f64_e64 v[1:2], v[120:121], -v[1:2]
	v_add_f64_e64 v[3:4], v[122:123], -v[3:4]
	scratch_store_b128 off, v[1:4], off offset:112
	v_cmpx_lt_u32_e32 5, v0
	s_cbranch_execz .LBB98_213
; %bb.212:
	scratch_load_b128 v[1:4], off, s26
	v_mov_b32_e32 v5, 0
	s_delay_alu instid0(VALU_DEP_1)
	v_dual_mov_b32 v6, v5 :: v_dual_mov_b32 v7, v5
	v_mov_b32_e32 v8, v5
	scratch_store_b128 off, v[5:8], off offset:96
	s_wait_loadcnt 0x0
	ds_store_b128 v26, v[1:4]
.LBB98_213:
	s_wait_alu 0xfffe
	s_or_b32 exec_lo, exec_lo, s0
	s_wait_storecnt_dscnt 0x0
	s_barrier_signal -1
	s_barrier_wait -1
	global_inv scope:SCOPE_SE
	s_clause 0x7
	scratch_load_b128 v[2:5], off, off offset:112
	scratch_load_b128 v[6:9], off, off offset:128
	;; [unrolled: 1-line block ×8, first 2 shown]
	v_mov_b32_e32 v1, 0
	s_mov_b32 s0, exec_lo
	ds_load_b128 v[108:111], v1 offset:656
	s_clause 0x1
	scratch_load_b128 v[112:115], off, off offset:240
	scratch_load_b128 v[116:119], off, off offset:96
	ds_load_b128 v[120:123], v1 offset:672
	scratch_load_b128 v[124:127], off, off offset:256
	ds_load_b128 v[128:131], v1 offset:704
	s_wait_loadcnt_dscnt 0xa02
	v_mul_f64_e32 v[31:32], v[110:111], v[4:5]
	v_mul_f64_e32 v[4:5], v[108:109], v[4:5]
	s_delay_alu instid0(VALU_DEP_2) | instskip(NEXT) | instid1(VALU_DEP_2)
	v_fma_f64 v[31:32], v[108:109], v[2:3], -v[31:32]
	v_fma_f64 v[134:135], v[110:111], v[2:3], v[4:5]
	ds_load_b128 v[2:5], v1 offset:688
	s_wait_loadcnt_dscnt 0x902
	v_mul_f64_e32 v[132:133], v[120:121], v[8:9]
	v_mul_f64_e32 v[8:9], v[122:123], v[8:9]
	scratch_load_b128 v[108:111], off, off offset:272
	s_wait_loadcnt_dscnt 0x900
	v_mul_f64_e32 v[136:137], v[2:3], v[12:13]
	v_mul_f64_e32 v[12:13], v[4:5], v[12:13]
	v_add_f64_e32 v[31:32], 0, v[31:32]
	v_fma_f64 v[122:123], v[122:123], v[6:7], v[132:133]
	v_fma_f64 v[120:121], v[120:121], v[6:7], -v[8:9]
	v_add_f64_e32 v[132:133], 0, v[134:135]
	scratch_load_b128 v[6:9], off, off offset:288
	v_fma_f64 v[136:137], v[4:5], v[10:11], v[136:137]
	v_fma_f64 v[138:139], v[2:3], v[10:11], -v[12:13]
	ds_load_b128 v[2:5], v1 offset:720
	s_wait_loadcnt 0x9
	v_mul_f64_e32 v[134:135], v[128:129], v[16:17]
	v_mul_f64_e32 v[16:17], v[130:131], v[16:17]
	scratch_load_b128 v[10:13], off, off offset:304
	v_add_f64_e32 v[31:32], v[31:32], v[120:121]
	v_add_f64_e32 v[132:133], v[132:133], v[122:123]
	s_wait_loadcnt_dscnt 0x900
	v_mul_f64_e32 v[140:141], v[2:3], v[20:21]
	v_mul_f64_e32 v[20:21], v[4:5], v[20:21]
	ds_load_b128 v[120:123], v1 offset:736
	v_fma_f64 v[130:131], v[130:131], v[14:15], v[134:135]
	v_fma_f64 v[128:129], v[128:129], v[14:15], -v[16:17]
	scratch_load_b128 v[14:17], off, off offset:320
	v_add_f64_e32 v[31:32], v[31:32], v[138:139]
	v_add_f64_e32 v[132:133], v[132:133], v[136:137]
	v_fma_f64 v[136:137], v[4:5], v[18:19], v[140:141]
	v_fma_f64 v[138:139], v[2:3], v[18:19], -v[20:21]
	ds_load_b128 v[2:5], v1 offset:752
	s_wait_loadcnt_dscnt 0x901
	v_mul_f64_e32 v[134:135], v[120:121], v[24:25]
	v_mul_f64_e32 v[24:25], v[122:123], v[24:25]
	scratch_load_b128 v[18:21], off, off offset:336
	s_wait_loadcnt_dscnt 0x900
	v_mul_f64_e32 v[140:141], v[2:3], v[29:30]
	v_mul_f64_e32 v[29:30], v[4:5], v[29:30]
	v_add_f64_e32 v[31:32], v[31:32], v[128:129]
	v_add_f64_e32 v[132:133], v[132:133], v[130:131]
	ds_load_b128 v[128:131], v1 offset:768
	v_fma_f64 v[122:123], v[122:123], v[22:23], v[134:135]
	v_fma_f64 v[120:121], v[120:121], v[22:23], -v[24:25]
	scratch_load_b128 v[22:25], off, off offset:352
	v_add_f64_e32 v[31:32], v[31:32], v[138:139]
	v_add_f64_e32 v[132:133], v[132:133], v[136:137]
	v_fma_f64 v[136:137], v[4:5], v[27:28], v[140:141]
	v_fma_f64 v[138:139], v[2:3], v[27:28], -v[29:30]
	ds_load_b128 v[2:5], v1 offset:784
	s_wait_loadcnt_dscnt 0x901
	v_mul_f64_e32 v[134:135], v[128:129], v[106:107]
	v_mul_f64_e32 v[106:107], v[130:131], v[106:107]
	scratch_load_b128 v[27:30], off, off offset:368
	s_wait_loadcnt_dscnt 0x900
	v_mul_f64_e32 v[140:141], v[2:3], v[114:115]
	v_mul_f64_e32 v[114:115], v[4:5], v[114:115]
	v_add_f64_e32 v[31:32], v[31:32], v[120:121]
	v_add_f64_e32 v[132:133], v[132:133], v[122:123]
	ds_load_b128 v[120:123], v1 offset:800
	v_fma_f64 v[130:131], v[130:131], v[104:105], v[134:135]
	v_fma_f64 v[128:129], v[128:129], v[104:105], -v[106:107]
	scratch_load_b128 v[104:107], off, off offset:384
	v_add_f64_e32 v[31:32], v[31:32], v[138:139]
	v_add_f64_e32 v[132:133], v[132:133], v[136:137]
	v_fma_f64 v[138:139], v[4:5], v[112:113], v[140:141]
	v_fma_f64 v[140:141], v[2:3], v[112:113], -v[114:115]
	ds_load_b128 v[2:5], v1 offset:816
	s_wait_loadcnt_dscnt 0x801
	v_mul_f64_e32 v[134:135], v[120:121], v[126:127]
	v_mul_f64_e32 v[136:137], v[122:123], v[126:127]
	scratch_load_b128 v[112:115], off, off offset:400
	v_add_f64_e32 v[31:32], v[31:32], v[128:129]
	v_add_f64_e32 v[130:131], v[132:133], v[130:131]
	ds_load_b128 v[126:129], v1 offset:832
	v_fma_f64 v[134:135], v[122:123], v[124:125], v[134:135]
	v_fma_f64 v[124:125], v[120:121], v[124:125], -v[136:137]
	scratch_load_b128 v[120:123], off, off offset:416
	s_wait_loadcnt_dscnt 0x901
	v_mul_f64_e32 v[132:133], v[2:3], v[110:111]
	v_mul_f64_e32 v[110:111], v[4:5], v[110:111]
	v_add_f64_e32 v[31:32], v[31:32], v[140:141]
	v_add_f64_e32 v[130:131], v[130:131], v[138:139]
	s_delay_alu instid0(VALU_DEP_4) | instskip(NEXT) | instid1(VALU_DEP_4)
	v_fma_f64 v[138:139], v[4:5], v[108:109], v[132:133]
	v_fma_f64 v[140:141], v[2:3], v[108:109], -v[110:111]
	ds_load_b128 v[2:5], v1 offset:848
	s_wait_loadcnt_dscnt 0x801
	v_mul_f64_e32 v[136:137], v[126:127], v[8:9]
	v_mul_f64_e32 v[8:9], v[128:129], v[8:9]
	scratch_load_b128 v[108:111], off, off offset:432
	v_add_f64_e32 v[31:32], v[31:32], v[124:125]
	v_add_f64_e32 v[124:125], v[130:131], v[134:135]
	s_wait_loadcnt_dscnt 0x800
	v_mul_f64_e32 v[134:135], v[2:3], v[12:13]
	v_mul_f64_e32 v[12:13], v[4:5], v[12:13]
	ds_load_b128 v[130:133], v1 offset:864
	v_fma_f64 v[128:129], v[128:129], v[6:7], v[136:137]
	v_fma_f64 v[126:127], v[126:127], v[6:7], -v[8:9]
	scratch_load_b128 v[6:9], off, off offset:448
	v_add_f64_e32 v[31:32], v[31:32], v[140:141]
	v_add_f64_e32 v[124:125], v[124:125], v[138:139]
	v_fma_f64 v[134:135], v[4:5], v[10:11], v[134:135]
	v_fma_f64 v[138:139], v[2:3], v[10:11], -v[12:13]
	ds_load_b128 v[2:5], v1 offset:880
	s_wait_loadcnt_dscnt 0x801
	v_mul_f64_e32 v[136:137], v[130:131], v[16:17]
	v_mul_f64_e32 v[16:17], v[132:133], v[16:17]
	scratch_load_b128 v[10:13], off, off offset:464
	s_wait_loadcnt_dscnt 0x800
	v_mul_f64_e32 v[140:141], v[2:3], v[20:21]
	v_mul_f64_e32 v[20:21], v[4:5], v[20:21]
	v_add_f64_e32 v[31:32], v[31:32], v[126:127]
	v_add_f64_e32 v[128:129], v[124:125], v[128:129]
	ds_load_b128 v[124:127], v1 offset:896
	v_fma_f64 v[132:133], v[132:133], v[14:15], v[136:137]
	v_fma_f64 v[130:131], v[130:131], v[14:15], -v[16:17]
	scratch_load_b128 v[14:17], off, off offset:480
	v_fma_f64 v[136:137], v[4:5], v[18:19], v[140:141]
	v_add_f64_e32 v[31:32], v[31:32], v[138:139]
	v_add_f64_e32 v[128:129], v[128:129], v[134:135]
	v_fma_f64 v[138:139], v[2:3], v[18:19], -v[20:21]
	ds_load_b128 v[2:5], v1 offset:912
	s_wait_loadcnt_dscnt 0x801
	v_mul_f64_e32 v[134:135], v[124:125], v[24:25]
	v_mul_f64_e32 v[24:25], v[126:127], v[24:25]
	scratch_load_b128 v[18:21], off, off offset:496
	s_wait_loadcnt_dscnt 0x800
	v_mul_f64_e32 v[140:141], v[2:3], v[29:30]
	v_mul_f64_e32 v[29:30], v[4:5], v[29:30]
	v_add_f64_e32 v[31:32], v[31:32], v[130:131]
	v_add_f64_e32 v[132:133], v[128:129], v[132:133]
	ds_load_b128 v[128:131], v1 offset:928
	v_fma_f64 v[126:127], v[126:127], v[22:23], v[134:135]
	v_fma_f64 v[124:125], v[124:125], v[22:23], -v[24:25]
	scratch_load_b128 v[22:25], off, off offset:512
	v_add_f64_e32 v[31:32], v[31:32], v[138:139]
	v_add_f64_e32 v[132:133], v[132:133], v[136:137]
	v_fma_f64 v[136:137], v[4:5], v[27:28], v[140:141]
	v_fma_f64 v[138:139], v[2:3], v[27:28], -v[29:30]
	ds_load_b128 v[2:5], v1 offset:944
	s_wait_loadcnt_dscnt 0x801
	v_mul_f64_e32 v[134:135], v[128:129], v[106:107]
	v_mul_f64_e32 v[106:107], v[130:131], v[106:107]
	scratch_load_b128 v[27:30], off, off offset:528
	s_wait_loadcnt_dscnt 0x800
	v_mul_f64_e32 v[140:141], v[2:3], v[114:115]
	v_mul_f64_e32 v[114:115], v[4:5], v[114:115]
	v_add_f64_e32 v[31:32], v[31:32], v[124:125]
	v_add_f64_e32 v[132:133], v[132:133], v[126:127]
	ds_load_b128 v[124:127], v1 offset:960
	v_fma_f64 v[130:131], v[130:131], v[104:105], v[134:135]
	v_fma_f64 v[128:129], v[128:129], v[104:105], -v[106:107]
	scratch_load_b128 v[104:107], off, off offset:544
	v_add_f64_e32 v[31:32], v[31:32], v[138:139]
	v_add_f64_e32 v[132:133], v[132:133], v[136:137]
	v_fma_f64 v[136:137], v[4:5], v[112:113], v[140:141]
	v_fma_f64 v[138:139], v[2:3], v[112:113], -v[114:115]
	ds_load_b128 v[2:5], v1 offset:976
	s_wait_loadcnt_dscnt 0x801
	v_mul_f64_e32 v[134:135], v[124:125], v[122:123]
	v_mul_f64_e32 v[122:123], v[126:127], v[122:123]
	scratch_load_b128 v[112:115], off, off offset:560
	s_wait_loadcnt_dscnt 0x800
	v_mul_f64_e32 v[140:141], v[2:3], v[110:111]
	v_add_f64_e32 v[31:32], v[31:32], v[128:129]
	v_add_f64_e32 v[132:133], v[132:133], v[130:131]
	v_mul_f64_e32 v[110:111], v[4:5], v[110:111]
	ds_load_b128 v[128:131], v1 offset:992
	v_fma_f64 v[126:127], v[126:127], v[120:121], v[134:135]
	v_fma_f64 v[120:121], v[124:125], v[120:121], -v[122:123]
	s_wait_loadcnt_dscnt 0x700
	v_mul_f64_e32 v[124:125], v[128:129], v[8:9]
	v_add_f64_e32 v[31:32], v[31:32], v[138:139]
	v_add_f64_e32 v[122:123], v[132:133], v[136:137]
	v_mul_f64_e32 v[8:9], v[130:131], v[8:9]
	v_fma_f64 v[132:133], v[4:5], v[108:109], v[140:141]
	v_fma_f64 v[134:135], v[2:3], v[108:109], -v[110:111]
	ds_load_b128 v[2:5], v1 offset:1008
	ds_load_b128 v[108:111], v1 offset:1024
	v_fma_f64 v[124:125], v[130:131], v[6:7], v[124:125]
	v_add_f64_e32 v[31:32], v[31:32], v[120:121]
	v_add_f64_e32 v[120:121], v[122:123], v[126:127]
	s_wait_loadcnt_dscnt 0x601
	v_mul_f64_e32 v[122:123], v[2:3], v[12:13]
	v_mul_f64_e32 v[12:13], v[4:5], v[12:13]
	v_fma_f64 v[6:7], v[128:129], v[6:7], -v[8:9]
	v_add_f64_e32 v[8:9], v[31:32], v[134:135]
	v_add_f64_e32 v[31:32], v[120:121], v[132:133]
	s_wait_loadcnt_dscnt 0x500
	v_mul_f64_e32 v[120:121], v[108:109], v[16:17]
	v_mul_f64_e32 v[16:17], v[110:111], v[16:17]
	v_fma_f64 v[122:123], v[4:5], v[10:11], v[122:123]
	v_fma_f64 v[10:11], v[2:3], v[10:11], -v[12:13]
	v_add_f64_e32 v[12:13], v[8:9], v[6:7]
	v_add_f64_e32 v[31:32], v[31:32], v[124:125]
	ds_load_b128 v[2:5], v1 offset:1040
	ds_load_b128 v[6:9], v1 offset:1056
	v_fma_f64 v[110:111], v[110:111], v[14:15], v[120:121]
	v_fma_f64 v[14:15], v[108:109], v[14:15], -v[16:17]
	s_wait_loadcnt_dscnt 0x401
	v_mul_f64_e32 v[124:125], v[2:3], v[20:21]
	v_mul_f64_e32 v[20:21], v[4:5], v[20:21]
	s_wait_loadcnt_dscnt 0x300
	v_mul_f64_e32 v[16:17], v[6:7], v[24:25]
	v_mul_f64_e32 v[24:25], v[8:9], v[24:25]
	v_add_f64_e32 v[10:11], v[12:13], v[10:11]
	v_add_f64_e32 v[12:13], v[31:32], v[122:123]
	v_fma_f64 v[31:32], v[4:5], v[18:19], v[124:125]
	v_fma_f64 v[18:19], v[2:3], v[18:19], -v[20:21]
	v_fma_f64 v[8:9], v[8:9], v[22:23], v[16:17]
	v_fma_f64 v[6:7], v[6:7], v[22:23], -v[24:25]
	v_add_f64_e32 v[14:15], v[10:11], v[14:15]
	v_add_f64_e32 v[20:21], v[12:13], v[110:111]
	ds_load_b128 v[2:5], v1 offset:1072
	ds_load_b128 v[10:13], v1 offset:1088
	s_wait_loadcnt_dscnt 0x201
	v_mul_f64_e32 v[108:109], v[2:3], v[29:30]
	v_mul_f64_e32 v[29:30], v[4:5], v[29:30]
	v_add_f64_e32 v[14:15], v[14:15], v[18:19]
	v_add_f64_e32 v[16:17], v[20:21], v[31:32]
	s_wait_loadcnt_dscnt 0x100
	v_mul_f64_e32 v[18:19], v[10:11], v[106:107]
	v_mul_f64_e32 v[20:21], v[12:13], v[106:107]
	v_fma_f64 v[22:23], v[4:5], v[27:28], v[108:109]
	v_fma_f64 v[24:25], v[2:3], v[27:28], -v[29:30]
	ds_load_b128 v[2:5], v1 offset:1104
	v_add_f64_e32 v[6:7], v[14:15], v[6:7]
	v_add_f64_e32 v[8:9], v[16:17], v[8:9]
	v_fma_f64 v[12:13], v[12:13], v[104:105], v[18:19]
	v_fma_f64 v[10:11], v[10:11], v[104:105], -v[20:21]
	s_wait_loadcnt_dscnt 0x0
	v_mul_f64_e32 v[14:15], v[2:3], v[114:115]
	v_mul_f64_e32 v[16:17], v[4:5], v[114:115]
	v_add_f64_e32 v[6:7], v[6:7], v[24:25]
	v_add_f64_e32 v[8:9], v[8:9], v[22:23]
	s_delay_alu instid0(VALU_DEP_4) | instskip(NEXT) | instid1(VALU_DEP_4)
	v_fma_f64 v[4:5], v[4:5], v[112:113], v[14:15]
	v_fma_f64 v[2:3], v[2:3], v[112:113], -v[16:17]
	s_delay_alu instid0(VALU_DEP_4) | instskip(NEXT) | instid1(VALU_DEP_4)
	v_add_f64_e32 v[6:7], v[6:7], v[10:11]
	v_add_f64_e32 v[8:9], v[8:9], v[12:13]
	s_delay_alu instid0(VALU_DEP_2) | instskip(NEXT) | instid1(VALU_DEP_2)
	v_add_f64_e32 v[2:3], v[6:7], v[2:3]
	v_add_f64_e32 v[4:5], v[8:9], v[4:5]
	s_delay_alu instid0(VALU_DEP_2) | instskip(NEXT) | instid1(VALU_DEP_2)
	v_add_f64_e64 v[2:3], v[116:117], -v[2:3]
	v_add_f64_e64 v[4:5], v[118:119], -v[4:5]
	scratch_store_b128 off, v[2:5], off offset:96
	v_cmpx_lt_u32_e32 4, v0
	s_cbranch_execz .LBB98_215
; %bb.214:
	scratch_load_b128 v[5:8], off, s4
	v_dual_mov_b32 v2, v1 :: v_dual_mov_b32 v3, v1
	v_mov_b32_e32 v4, v1
	scratch_store_b128 off, v[1:4], off offset:80
	s_wait_loadcnt 0x0
	ds_store_b128 v26, v[5:8]
.LBB98_215:
	s_wait_alu 0xfffe
	s_or_b32 exec_lo, exec_lo, s0
	s_wait_storecnt_dscnt 0x0
	s_barrier_signal -1
	s_barrier_wait -1
	global_inv scope:SCOPE_SE
	s_clause 0x8
	scratch_load_b128 v[2:5], off, off offset:96
	scratch_load_b128 v[6:9], off, off offset:112
	;; [unrolled: 1-line block ×9, first 2 shown]
	ds_load_b128 v[112:115], v1 offset:640
	ds_load_b128 v[116:119], v1 offset:656
	s_clause 0x1
	scratch_load_b128 v[120:123], off, off offset:80
	scratch_load_b128 v[124:127], off, off offset:240
	s_mov_b32 s0, exec_lo
	ds_load_b128 v[128:131], v1 offset:688
	s_wait_loadcnt_dscnt 0xa02
	v_mul_f64_e32 v[31:32], v[114:115], v[4:5]
	v_mul_f64_e32 v[4:5], v[112:113], v[4:5]
	s_wait_loadcnt_dscnt 0x901
	v_mul_f64_e32 v[132:133], v[116:117], v[8:9]
	v_mul_f64_e32 v[8:9], v[118:119], v[8:9]
	s_delay_alu instid0(VALU_DEP_4) | instskip(NEXT) | instid1(VALU_DEP_4)
	v_fma_f64 v[31:32], v[112:113], v[2:3], -v[31:32]
	v_fma_f64 v[134:135], v[114:115], v[2:3], v[4:5]
	ds_load_b128 v[2:5], v1 offset:672
	scratch_load_b128 v[112:115], off, off offset:256
	v_fma_f64 v[118:119], v[118:119], v[6:7], v[132:133]
	v_fma_f64 v[116:117], v[116:117], v[6:7], -v[8:9]
	scratch_load_b128 v[6:9], off, off offset:272
	s_wait_loadcnt_dscnt 0xa00
	v_mul_f64_e32 v[136:137], v[2:3], v[12:13]
	v_mul_f64_e32 v[12:13], v[4:5], v[12:13]
	v_add_f64_e32 v[31:32], 0, v[31:32]
	v_add_f64_e32 v[132:133], 0, v[134:135]
	s_wait_loadcnt 0x9
	v_mul_f64_e32 v[134:135], v[128:129], v[16:17]
	v_mul_f64_e32 v[16:17], v[130:131], v[16:17]
	v_fma_f64 v[136:137], v[4:5], v[10:11], v[136:137]
	v_fma_f64 v[138:139], v[2:3], v[10:11], -v[12:13]
	ds_load_b128 v[2:5], v1 offset:704
	scratch_load_b128 v[10:13], off, off offset:288
	v_add_f64_e32 v[31:32], v[31:32], v[116:117]
	v_add_f64_e32 v[132:133], v[132:133], v[118:119]
	ds_load_b128 v[116:119], v1 offset:720
	v_fma_f64 v[130:131], v[130:131], v[14:15], v[134:135]
	v_fma_f64 v[128:129], v[128:129], v[14:15], -v[16:17]
	scratch_load_b128 v[14:17], off, off offset:304
	s_wait_loadcnt_dscnt 0xa01
	v_mul_f64_e32 v[140:141], v[2:3], v[20:21]
	v_mul_f64_e32 v[20:21], v[4:5], v[20:21]
	s_wait_loadcnt_dscnt 0x900
	v_mul_f64_e32 v[134:135], v[116:117], v[24:25]
	v_mul_f64_e32 v[24:25], v[118:119], v[24:25]
	v_add_f64_e32 v[31:32], v[31:32], v[138:139]
	v_add_f64_e32 v[132:133], v[132:133], v[136:137]
	v_fma_f64 v[136:137], v[4:5], v[18:19], v[140:141]
	v_fma_f64 v[138:139], v[2:3], v[18:19], -v[20:21]
	ds_load_b128 v[2:5], v1 offset:736
	scratch_load_b128 v[18:21], off, off offset:320
	v_fma_f64 v[118:119], v[118:119], v[22:23], v[134:135]
	v_fma_f64 v[116:117], v[116:117], v[22:23], -v[24:25]
	scratch_load_b128 v[22:25], off, off offset:336
	v_add_f64_e32 v[31:32], v[31:32], v[128:129]
	v_add_f64_e32 v[132:133], v[132:133], v[130:131]
	ds_load_b128 v[128:131], v1 offset:752
	s_wait_loadcnt_dscnt 0xa01
	v_mul_f64_e32 v[140:141], v[2:3], v[29:30]
	v_mul_f64_e32 v[29:30], v[4:5], v[29:30]
	s_wait_loadcnt_dscnt 0x900
	v_mul_f64_e32 v[134:135], v[128:129], v[106:107]
	v_mul_f64_e32 v[106:107], v[130:131], v[106:107]
	v_add_f64_e32 v[31:32], v[31:32], v[138:139]
	v_add_f64_e32 v[132:133], v[132:133], v[136:137]
	v_fma_f64 v[136:137], v[4:5], v[27:28], v[140:141]
	v_fma_f64 v[138:139], v[2:3], v[27:28], -v[29:30]
	ds_load_b128 v[2:5], v1 offset:768
	scratch_load_b128 v[27:30], off, off offset:352
	v_fma_f64 v[130:131], v[130:131], v[104:105], v[134:135]
	v_fma_f64 v[128:129], v[128:129], v[104:105], -v[106:107]
	scratch_load_b128 v[104:107], off, off offset:368
	v_add_f64_e32 v[31:32], v[31:32], v[116:117]
	v_add_f64_e32 v[132:133], v[132:133], v[118:119]
	ds_load_b128 v[116:119], v1 offset:784
	s_wait_loadcnt_dscnt 0xa01
	v_mul_f64_e32 v[140:141], v[2:3], v[110:111]
	v_mul_f64_e32 v[110:111], v[4:5], v[110:111]
	s_wait_loadcnt_dscnt 0x800
	v_mul_f64_e32 v[134:135], v[116:117], v[126:127]
	v_add_f64_e32 v[31:32], v[31:32], v[138:139]
	v_add_f64_e32 v[132:133], v[132:133], v[136:137]
	v_mul_f64_e32 v[136:137], v[118:119], v[126:127]
	v_fma_f64 v[138:139], v[4:5], v[108:109], v[140:141]
	v_fma_f64 v[140:141], v[2:3], v[108:109], -v[110:111]
	ds_load_b128 v[2:5], v1 offset:800
	scratch_load_b128 v[108:111], off, off offset:384
	v_fma_f64 v[118:119], v[118:119], v[124:125], v[134:135]
	v_add_f64_e32 v[31:32], v[31:32], v[128:129]
	v_add_f64_e32 v[130:131], v[132:133], v[130:131]
	ds_load_b128 v[126:129], v1 offset:816
	v_fma_f64 v[124:125], v[116:117], v[124:125], -v[136:137]
	ds_load_b128 v[134:137], v1 offset:848
	s_wait_loadcnt_dscnt 0x802
	v_mul_f64_e32 v[132:133], v[2:3], v[114:115]
	v_mul_f64_e32 v[142:143], v[4:5], v[114:115]
	scratch_load_b128 v[114:117], off, off offset:400
	v_add_f64_e32 v[31:32], v[31:32], v[140:141]
	v_add_f64_e32 v[130:131], v[130:131], v[138:139]
	s_wait_loadcnt_dscnt 0x801
	v_mul_f64_e32 v[138:139], v[126:127], v[8:9]
	v_mul_f64_e32 v[8:9], v[128:129], v[8:9]
	v_fma_f64 v[140:141], v[4:5], v[112:113], v[132:133]
	v_fma_f64 v[112:113], v[2:3], v[112:113], -v[142:143]
	ds_load_b128 v[2:5], v1 offset:832
	v_add_f64_e32 v[31:32], v[31:32], v[124:125]
	v_add_f64_e32 v[118:119], v[130:131], v[118:119]
	scratch_load_b128 v[130:133], off, off offset:416
	s_wait_loadcnt_dscnt 0x800
	v_mul_f64_e32 v[124:125], v[2:3], v[12:13]
	v_mul_f64_e32 v[12:13], v[4:5], v[12:13]
	v_fma_f64 v[128:129], v[128:129], v[6:7], v[138:139]
	v_fma_f64 v[126:127], v[126:127], v[6:7], -v[8:9]
	scratch_load_b128 v[6:9], off, off offset:432
	v_add_f64_e32 v[31:32], v[31:32], v[112:113]
	v_add_f64_e32 v[112:113], v[118:119], v[140:141]
	s_wait_loadcnt 0x8
	v_mul_f64_e32 v[118:119], v[134:135], v[16:17]
	v_mul_f64_e32 v[16:17], v[136:137], v[16:17]
	v_fma_f64 v[138:139], v[4:5], v[10:11], v[124:125]
	v_fma_f64 v[140:141], v[2:3], v[10:11], -v[12:13]
	ds_load_b128 v[2:5], v1 offset:864
	scratch_load_b128 v[10:13], off, off offset:448
	v_add_f64_e32 v[31:32], v[31:32], v[126:127]
	v_add_f64_e32 v[112:113], v[112:113], v[128:129]
	ds_load_b128 v[124:127], v1 offset:880
	s_wait_loadcnt_dscnt 0x801
	v_mul_f64_e32 v[128:129], v[2:3], v[20:21]
	v_mul_f64_e32 v[20:21], v[4:5], v[20:21]
	v_fma_f64 v[118:119], v[136:137], v[14:15], v[118:119]
	v_fma_f64 v[134:135], v[134:135], v[14:15], -v[16:17]
	scratch_load_b128 v[14:17], off, off offset:464
	v_add_f64_e32 v[31:32], v[31:32], v[140:141]
	v_add_f64_e32 v[112:113], v[112:113], v[138:139]
	s_wait_loadcnt_dscnt 0x800
	v_mul_f64_e32 v[138:139], v[124:125], v[24:25]
	v_mul_f64_e32 v[24:25], v[126:127], v[24:25]
	v_fma_f64 v[128:129], v[4:5], v[18:19], v[128:129]
	v_fma_f64 v[140:141], v[2:3], v[18:19], -v[20:21]
	ds_load_b128 v[2:5], v1 offset:896
	scratch_load_b128 v[18:21], off, off offset:480
	v_add_f64_e32 v[31:32], v[31:32], v[134:135]
	v_add_f64_e32 v[112:113], v[112:113], v[118:119]
	ds_load_b128 v[134:137], v1 offset:912
	s_wait_loadcnt_dscnt 0x801
	v_mul_f64_e32 v[118:119], v[2:3], v[29:30]
	v_mul_f64_e32 v[29:30], v[4:5], v[29:30]
	v_fma_f64 v[126:127], v[126:127], v[22:23], v[138:139]
	v_fma_f64 v[124:125], v[124:125], v[22:23], -v[24:25]
	scratch_load_b128 v[22:25], off, off offset:496
	v_add_f64_e32 v[31:32], v[31:32], v[140:141]
	v_add_f64_e32 v[112:113], v[112:113], v[128:129]
	s_wait_loadcnt_dscnt 0x800
	v_mul_f64_e32 v[128:129], v[134:135], v[106:107]
	v_mul_f64_e32 v[106:107], v[136:137], v[106:107]
	v_fma_f64 v[118:119], v[4:5], v[27:28], v[118:119]
	v_fma_f64 v[138:139], v[2:3], v[27:28], -v[29:30]
	ds_load_b128 v[2:5], v1 offset:928
	scratch_load_b128 v[27:30], off, off offset:512
	v_add_f64_e32 v[31:32], v[31:32], v[124:125]
	v_add_f64_e32 v[112:113], v[112:113], v[126:127]
	ds_load_b128 v[124:127], v1 offset:944
	s_wait_loadcnt_dscnt 0x801
	v_mul_f64_e32 v[140:141], v[2:3], v[110:111]
	v_mul_f64_e32 v[110:111], v[4:5], v[110:111]
	v_fma_f64 v[128:129], v[136:137], v[104:105], v[128:129]
	v_fma_f64 v[134:135], v[134:135], v[104:105], -v[106:107]
	scratch_load_b128 v[104:107], off, off offset:528
	s_wait_loadcnt_dscnt 0x800
	v_mul_f64_e32 v[136:137], v[124:125], v[116:117]
	v_add_f64_e32 v[31:32], v[31:32], v[138:139]
	v_add_f64_e32 v[112:113], v[112:113], v[118:119]
	v_mul_f64_e32 v[138:139], v[126:127], v[116:117]
	v_fma_f64 v[140:141], v[4:5], v[108:109], v[140:141]
	v_fma_f64 v[142:143], v[2:3], v[108:109], -v[110:111]
	ds_load_b128 v[2:5], v1 offset:960
	ds_load_b128 v[116:119], v1 offset:976
	scratch_load_b128 v[108:111], off, off offset:544
	v_fma_f64 v[126:127], v[126:127], v[114:115], v[136:137]
	v_add_f64_e32 v[31:32], v[31:32], v[134:135]
	v_add_f64_e32 v[112:113], v[112:113], v[128:129]
	v_fma_f64 v[124:125], v[124:125], v[114:115], -v[138:139]
	s_wait_loadcnt_dscnt 0x801
	v_mul_f64_e32 v[128:129], v[2:3], v[132:133]
	v_mul_f64_e32 v[132:133], v[4:5], v[132:133]
	s_wait_loadcnt_dscnt 0x700
	v_mul_f64_e32 v[136:137], v[116:117], v[8:9]
	v_mul_f64_e32 v[8:9], v[118:119], v[8:9]
	v_add_f64_e32 v[31:32], v[31:32], v[142:143]
	v_add_f64_e32 v[134:135], v[112:113], v[140:141]
	scratch_load_b128 v[112:115], off, off offset:560
	v_fma_f64 v[128:129], v[4:5], v[130:131], v[128:129]
	v_fma_f64 v[130:131], v[2:3], v[130:131], -v[132:133]
	v_fma_f64 v[118:119], v[118:119], v[6:7], v[136:137]
	v_fma_f64 v[6:7], v[116:117], v[6:7], -v[8:9]
	v_add_f64_e32 v[31:32], v[31:32], v[124:125]
	v_add_f64_e32 v[132:133], v[134:135], v[126:127]
	ds_load_b128 v[2:5], v1 offset:992
	ds_load_b128 v[124:127], v1 offset:1008
	s_wait_loadcnt_dscnt 0x701
	v_mul_f64_e32 v[134:135], v[2:3], v[12:13]
	v_mul_f64_e32 v[12:13], v[4:5], v[12:13]
	s_wait_loadcnt_dscnt 0x600
	v_mul_f64_e32 v[116:117], v[124:125], v[16:17]
	v_mul_f64_e32 v[16:17], v[126:127], v[16:17]
	v_add_f64_e32 v[8:9], v[31:32], v[130:131]
	v_add_f64_e32 v[31:32], v[132:133], v[128:129]
	v_fma_f64 v[128:129], v[4:5], v[10:11], v[134:135]
	v_fma_f64 v[10:11], v[2:3], v[10:11], -v[12:13]
	v_fma_f64 v[116:117], v[126:127], v[14:15], v[116:117]
	v_fma_f64 v[14:15], v[124:125], v[14:15], -v[16:17]
	v_add_f64_e32 v[12:13], v[8:9], v[6:7]
	v_add_f64_e32 v[31:32], v[31:32], v[118:119]
	ds_load_b128 v[2:5], v1 offset:1024
	ds_load_b128 v[6:9], v1 offset:1040
	s_wait_loadcnt_dscnt 0x501
	v_mul_f64_e32 v[118:119], v[2:3], v[20:21]
	v_mul_f64_e32 v[20:21], v[4:5], v[20:21]
	s_wait_loadcnt_dscnt 0x400
	v_mul_f64_e32 v[16:17], v[6:7], v[24:25]
	v_mul_f64_e32 v[24:25], v[8:9], v[24:25]
	v_add_f64_e32 v[10:11], v[12:13], v[10:11]
	v_add_f64_e32 v[12:13], v[31:32], v[128:129]
	v_fma_f64 v[31:32], v[4:5], v[18:19], v[118:119]
	v_fma_f64 v[18:19], v[2:3], v[18:19], -v[20:21]
	v_fma_f64 v[8:9], v[8:9], v[22:23], v[16:17]
	v_fma_f64 v[6:7], v[6:7], v[22:23], -v[24:25]
	v_add_f64_e32 v[14:15], v[10:11], v[14:15]
	v_add_f64_e32 v[20:21], v[12:13], v[116:117]
	ds_load_b128 v[2:5], v1 offset:1056
	ds_load_b128 v[10:13], v1 offset:1072
	s_wait_loadcnt_dscnt 0x301
	v_mul_f64_e32 v[116:117], v[2:3], v[29:30]
	v_mul_f64_e32 v[29:30], v[4:5], v[29:30]
	v_add_f64_e32 v[14:15], v[14:15], v[18:19]
	v_add_f64_e32 v[16:17], v[20:21], v[31:32]
	s_wait_loadcnt_dscnt 0x200
	v_mul_f64_e32 v[18:19], v[10:11], v[106:107]
	v_mul_f64_e32 v[20:21], v[12:13], v[106:107]
	v_fma_f64 v[22:23], v[4:5], v[27:28], v[116:117]
	v_fma_f64 v[24:25], v[2:3], v[27:28], -v[29:30]
	v_add_f64_e32 v[14:15], v[14:15], v[6:7]
	v_add_f64_e32 v[16:17], v[16:17], v[8:9]
	ds_load_b128 v[2:5], v1 offset:1088
	ds_load_b128 v[6:9], v1 offset:1104
	v_fma_f64 v[12:13], v[12:13], v[104:105], v[18:19]
	v_fma_f64 v[10:11], v[10:11], v[104:105], -v[20:21]
	s_wait_loadcnt_dscnt 0x101
	v_mul_f64_e32 v[27:28], v[2:3], v[110:111]
	v_mul_f64_e32 v[29:30], v[4:5], v[110:111]
	v_add_f64_e32 v[14:15], v[14:15], v[24:25]
	v_add_f64_e32 v[16:17], v[16:17], v[22:23]
	s_wait_loadcnt_dscnt 0x0
	v_mul_f64_e32 v[18:19], v[6:7], v[114:115]
	v_mul_f64_e32 v[20:21], v[8:9], v[114:115]
	v_fma_f64 v[4:5], v[4:5], v[108:109], v[27:28]
	v_fma_f64 v[1:2], v[2:3], v[108:109], -v[29:30]
	v_add_f64_e32 v[10:11], v[14:15], v[10:11]
	v_add_f64_e32 v[12:13], v[16:17], v[12:13]
	v_fma_f64 v[8:9], v[8:9], v[112:113], v[18:19]
	v_fma_f64 v[6:7], v[6:7], v[112:113], -v[20:21]
	s_delay_alu instid0(VALU_DEP_4) | instskip(NEXT) | instid1(VALU_DEP_4)
	v_add_f64_e32 v[1:2], v[10:11], v[1:2]
	v_add_f64_e32 v[3:4], v[12:13], v[4:5]
	s_delay_alu instid0(VALU_DEP_2) | instskip(NEXT) | instid1(VALU_DEP_2)
	v_add_f64_e32 v[1:2], v[1:2], v[6:7]
	v_add_f64_e32 v[3:4], v[3:4], v[8:9]
	s_delay_alu instid0(VALU_DEP_2) | instskip(NEXT) | instid1(VALU_DEP_2)
	v_add_f64_e64 v[1:2], v[120:121], -v[1:2]
	v_add_f64_e64 v[3:4], v[122:123], -v[3:4]
	scratch_store_b128 off, v[1:4], off offset:80
	v_cmpx_lt_u32_e32 3, v0
	s_cbranch_execz .LBB98_217
; %bb.216:
	scratch_load_b128 v[1:4], off, s25
	v_mov_b32_e32 v5, 0
	s_delay_alu instid0(VALU_DEP_1)
	v_dual_mov_b32 v6, v5 :: v_dual_mov_b32 v7, v5
	v_mov_b32_e32 v8, v5
	scratch_store_b128 off, v[5:8], off offset:64
	s_wait_loadcnt 0x0
	ds_store_b128 v26, v[1:4]
.LBB98_217:
	s_wait_alu 0xfffe
	s_or_b32 exec_lo, exec_lo, s0
	s_wait_storecnt_dscnt 0x0
	s_barrier_signal -1
	s_barrier_wait -1
	global_inv scope:SCOPE_SE
	s_clause 0x7
	scratch_load_b128 v[2:5], off, off offset:80
	scratch_load_b128 v[6:9], off, off offset:96
	;; [unrolled: 1-line block ×8, first 2 shown]
	v_mov_b32_e32 v1, 0
	s_mov_b32 s0, exec_lo
	ds_load_b128 v[108:111], v1 offset:624
	s_clause 0x1
	scratch_load_b128 v[112:115], off, off offset:208
	scratch_load_b128 v[116:119], off, off offset:64
	ds_load_b128 v[120:123], v1 offset:640
	scratch_load_b128 v[124:127], off, off offset:224
	ds_load_b128 v[128:131], v1 offset:672
	s_wait_loadcnt_dscnt 0xa02
	v_mul_f64_e32 v[31:32], v[110:111], v[4:5]
	v_mul_f64_e32 v[4:5], v[108:109], v[4:5]
	s_delay_alu instid0(VALU_DEP_2) | instskip(NEXT) | instid1(VALU_DEP_2)
	v_fma_f64 v[31:32], v[108:109], v[2:3], -v[31:32]
	v_fma_f64 v[134:135], v[110:111], v[2:3], v[4:5]
	ds_load_b128 v[2:5], v1 offset:656
	s_wait_loadcnt_dscnt 0x902
	v_mul_f64_e32 v[132:133], v[120:121], v[8:9]
	v_mul_f64_e32 v[8:9], v[122:123], v[8:9]
	scratch_load_b128 v[108:111], off, off offset:240
	s_wait_loadcnt_dscnt 0x900
	v_mul_f64_e32 v[136:137], v[2:3], v[12:13]
	v_mul_f64_e32 v[12:13], v[4:5], v[12:13]
	v_add_f64_e32 v[31:32], 0, v[31:32]
	v_fma_f64 v[122:123], v[122:123], v[6:7], v[132:133]
	v_fma_f64 v[120:121], v[120:121], v[6:7], -v[8:9]
	v_add_f64_e32 v[132:133], 0, v[134:135]
	scratch_load_b128 v[6:9], off, off offset:256
	v_fma_f64 v[136:137], v[4:5], v[10:11], v[136:137]
	v_fma_f64 v[138:139], v[2:3], v[10:11], -v[12:13]
	ds_load_b128 v[2:5], v1 offset:688
	s_wait_loadcnt 0x9
	v_mul_f64_e32 v[134:135], v[128:129], v[16:17]
	v_mul_f64_e32 v[16:17], v[130:131], v[16:17]
	scratch_load_b128 v[10:13], off, off offset:272
	v_add_f64_e32 v[31:32], v[31:32], v[120:121]
	v_add_f64_e32 v[132:133], v[132:133], v[122:123]
	s_wait_loadcnt_dscnt 0x900
	v_mul_f64_e32 v[140:141], v[2:3], v[20:21]
	v_mul_f64_e32 v[20:21], v[4:5], v[20:21]
	ds_load_b128 v[120:123], v1 offset:704
	v_fma_f64 v[130:131], v[130:131], v[14:15], v[134:135]
	v_fma_f64 v[128:129], v[128:129], v[14:15], -v[16:17]
	scratch_load_b128 v[14:17], off, off offset:288
	v_add_f64_e32 v[31:32], v[31:32], v[138:139]
	v_add_f64_e32 v[132:133], v[132:133], v[136:137]
	v_fma_f64 v[136:137], v[4:5], v[18:19], v[140:141]
	v_fma_f64 v[138:139], v[2:3], v[18:19], -v[20:21]
	ds_load_b128 v[2:5], v1 offset:720
	s_wait_loadcnt_dscnt 0x901
	v_mul_f64_e32 v[134:135], v[120:121], v[24:25]
	v_mul_f64_e32 v[24:25], v[122:123], v[24:25]
	scratch_load_b128 v[18:21], off, off offset:304
	s_wait_loadcnt_dscnt 0x900
	v_mul_f64_e32 v[140:141], v[2:3], v[29:30]
	v_mul_f64_e32 v[29:30], v[4:5], v[29:30]
	v_add_f64_e32 v[31:32], v[31:32], v[128:129]
	v_add_f64_e32 v[132:133], v[132:133], v[130:131]
	ds_load_b128 v[128:131], v1 offset:736
	v_fma_f64 v[122:123], v[122:123], v[22:23], v[134:135]
	v_fma_f64 v[120:121], v[120:121], v[22:23], -v[24:25]
	scratch_load_b128 v[22:25], off, off offset:320
	v_add_f64_e32 v[31:32], v[31:32], v[138:139]
	v_add_f64_e32 v[132:133], v[132:133], v[136:137]
	v_fma_f64 v[136:137], v[4:5], v[27:28], v[140:141]
	v_fma_f64 v[138:139], v[2:3], v[27:28], -v[29:30]
	ds_load_b128 v[2:5], v1 offset:752
	s_wait_loadcnt_dscnt 0x901
	v_mul_f64_e32 v[134:135], v[128:129], v[106:107]
	v_mul_f64_e32 v[106:107], v[130:131], v[106:107]
	scratch_load_b128 v[27:30], off, off offset:336
	s_wait_loadcnt_dscnt 0x900
	v_mul_f64_e32 v[140:141], v[2:3], v[114:115]
	v_mul_f64_e32 v[114:115], v[4:5], v[114:115]
	v_add_f64_e32 v[31:32], v[31:32], v[120:121]
	v_add_f64_e32 v[132:133], v[132:133], v[122:123]
	ds_load_b128 v[120:123], v1 offset:768
	v_fma_f64 v[130:131], v[130:131], v[104:105], v[134:135]
	v_fma_f64 v[128:129], v[128:129], v[104:105], -v[106:107]
	scratch_load_b128 v[104:107], off, off offset:352
	v_add_f64_e32 v[31:32], v[31:32], v[138:139]
	v_add_f64_e32 v[132:133], v[132:133], v[136:137]
	v_fma_f64 v[138:139], v[4:5], v[112:113], v[140:141]
	v_fma_f64 v[140:141], v[2:3], v[112:113], -v[114:115]
	ds_load_b128 v[2:5], v1 offset:784
	s_wait_loadcnt_dscnt 0x801
	v_mul_f64_e32 v[134:135], v[120:121], v[126:127]
	v_mul_f64_e32 v[136:137], v[122:123], v[126:127]
	scratch_load_b128 v[112:115], off, off offset:368
	v_add_f64_e32 v[31:32], v[31:32], v[128:129]
	v_add_f64_e32 v[130:131], v[132:133], v[130:131]
	ds_load_b128 v[126:129], v1 offset:800
	v_fma_f64 v[134:135], v[122:123], v[124:125], v[134:135]
	v_fma_f64 v[124:125], v[120:121], v[124:125], -v[136:137]
	scratch_load_b128 v[120:123], off, off offset:384
	s_wait_loadcnt_dscnt 0x901
	v_mul_f64_e32 v[132:133], v[2:3], v[110:111]
	v_mul_f64_e32 v[110:111], v[4:5], v[110:111]
	v_add_f64_e32 v[31:32], v[31:32], v[140:141]
	v_add_f64_e32 v[130:131], v[130:131], v[138:139]
	s_delay_alu instid0(VALU_DEP_4) | instskip(NEXT) | instid1(VALU_DEP_4)
	v_fma_f64 v[138:139], v[4:5], v[108:109], v[132:133]
	v_fma_f64 v[140:141], v[2:3], v[108:109], -v[110:111]
	ds_load_b128 v[2:5], v1 offset:816
	s_wait_loadcnt_dscnt 0x801
	v_mul_f64_e32 v[136:137], v[126:127], v[8:9]
	v_mul_f64_e32 v[8:9], v[128:129], v[8:9]
	scratch_load_b128 v[108:111], off, off offset:400
	v_add_f64_e32 v[31:32], v[31:32], v[124:125]
	v_add_f64_e32 v[124:125], v[130:131], v[134:135]
	s_wait_loadcnt_dscnt 0x800
	v_mul_f64_e32 v[134:135], v[2:3], v[12:13]
	v_mul_f64_e32 v[12:13], v[4:5], v[12:13]
	ds_load_b128 v[130:133], v1 offset:832
	v_fma_f64 v[128:129], v[128:129], v[6:7], v[136:137]
	v_fma_f64 v[126:127], v[126:127], v[6:7], -v[8:9]
	scratch_load_b128 v[6:9], off, off offset:416
	v_add_f64_e32 v[31:32], v[31:32], v[140:141]
	v_add_f64_e32 v[124:125], v[124:125], v[138:139]
	v_fma_f64 v[134:135], v[4:5], v[10:11], v[134:135]
	v_fma_f64 v[138:139], v[2:3], v[10:11], -v[12:13]
	ds_load_b128 v[2:5], v1 offset:848
	s_wait_loadcnt_dscnt 0x801
	v_mul_f64_e32 v[136:137], v[130:131], v[16:17]
	v_mul_f64_e32 v[16:17], v[132:133], v[16:17]
	scratch_load_b128 v[10:13], off, off offset:432
	s_wait_loadcnt_dscnt 0x800
	v_mul_f64_e32 v[140:141], v[2:3], v[20:21]
	v_mul_f64_e32 v[20:21], v[4:5], v[20:21]
	v_add_f64_e32 v[31:32], v[31:32], v[126:127]
	v_add_f64_e32 v[128:129], v[124:125], v[128:129]
	ds_load_b128 v[124:127], v1 offset:864
	v_fma_f64 v[132:133], v[132:133], v[14:15], v[136:137]
	v_fma_f64 v[130:131], v[130:131], v[14:15], -v[16:17]
	scratch_load_b128 v[14:17], off, off offset:448
	v_fma_f64 v[136:137], v[4:5], v[18:19], v[140:141]
	v_add_f64_e32 v[31:32], v[31:32], v[138:139]
	v_add_f64_e32 v[128:129], v[128:129], v[134:135]
	v_fma_f64 v[138:139], v[2:3], v[18:19], -v[20:21]
	ds_load_b128 v[2:5], v1 offset:880
	s_wait_loadcnt_dscnt 0x801
	v_mul_f64_e32 v[134:135], v[124:125], v[24:25]
	v_mul_f64_e32 v[24:25], v[126:127], v[24:25]
	scratch_load_b128 v[18:21], off, off offset:464
	s_wait_loadcnt_dscnt 0x800
	v_mul_f64_e32 v[140:141], v[2:3], v[29:30]
	v_mul_f64_e32 v[29:30], v[4:5], v[29:30]
	v_add_f64_e32 v[31:32], v[31:32], v[130:131]
	v_add_f64_e32 v[132:133], v[128:129], v[132:133]
	ds_load_b128 v[128:131], v1 offset:896
	v_fma_f64 v[126:127], v[126:127], v[22:23], v[134:135]
	v_fma_f64 v[124:125], v[124:125], v[22:23], -v[24:25]
	scratch_load_b128 v[22:25], off, off offset:480
	v_add_f64_e32 v[31:32], v[31:32], v[138:139]
	v_add_f64_e32 v[132:133], v[132:133], v[136:137]
	v_fma_f64 v[136:137], v[4:5], v[27:28], v[140:141]
	v_fma_f64 v[138:139], v[2:3], v[27:28], -v[29:30]
	ds_load_b128 v[2:5], v1 offset:912
	s_wait_loadcnt_dscnt 0x801
	v_mul_f64_e32 v[134:135], v[128:129], v[106:107]
	v_mul_f64_e32 v[106:107], v[130:131], v[106:107]
	scratch_load_b128 v[27:30], off, off offset:496
	s_wait_loadcnt_dscnt 0x800
	v_mul_f64_e32 v[140:141], v[2:3], v[114:115]
	v_mul_f64_e32 v[114:115], v[4:5], v[114:115]
	v_add_f64_e32 v[31:32], v[31:32], v[124:125]
	v_add_f64_e32 v[132:133], v[132:133], v[126:127]
	ds_load_b128 v[124:127], v1 offset:928
	v_fma_f64 v[130:131], v[130:131], v[104:105], v[134:135]
	v_fma_f64 v[128:129], v[128:129], v[104:105], -v[106:107]
	scratch_load_b128 v[104:107], off, off offset:512
	v_add_f64_e32 v[31:32], v[31:32], v[138:139]
	v_add_f64_e32 v[132:133], v[132:133], v[136:137]
	v_fma_f64 v[136:137], v[4:5], v[112:113], v[140:141]
	v_fma_f64 v[138:139], v[2:3], v[112:113], -v[114:115]
	ds_load_b128 v[2:5], v1 offset:944
	s_wait_loadcnt_dscnt 0x801
	v_mul_f64_e32 v[134:135], v[124:125], v[122:123]
	v_mul_f64_e32 v[122:123], v[126:127], v[122:123]
	scratch_load_b128 v[112:115], off, off offset:528
	s_wait_loadcnt_dscnt 0x800
	v_mul_f64_e32 v[140:141], v[2:3], v[110:111]
	v_add_f64_e32 v[31:32], v[31:32], v[128:129]
	v_add_f64_e32 v[132:133], v[132:133], v[130:131]
	v_mul_f64_e32 v[110:111], v[4:5], v[110:111]
	ds_load_b128 v[128:131], v1 offset:960
	v_fma_f64 v[126:127], v[126:127], v[120:121], v[134:135]
	v_fma_f64 v[124:125], v[124:125], v[120:121], -v[122:123]
	scratch_load_b128 v[120:123], off, off offset:544
	v_add_f64_e32 v[31:32], v[31:32], v[138:139]
	v_add_f64_e32 v[132:133], v[132:133], v[136:137]
	v_fma_f64 v[136:137], v[4:5], v[108:109], v[140:141]
	v_fma_f64 v[138:139], v[2:3], v[108:109], -v[110:111]
	ds_load_b128 v[2:5], v1 offset:976
	s_wait_loadcnt_dscnt 0x801
	v_mul_f64_e32 v[134:135], v[128:129], v[8:9]
	v_mul_f64_e32 v[8:9], v[130:131], v[8:9]
	scratch_load_b128 v[108:111], off, off offset:560
	s_wait_loadcnt_dscnt 0x800
	v_mul_f64_e32 v[140:141], v[2:3], v[12:13]
	v_mul_f64_e32 v[12:13], v[4:5], v[12:13]
	v_add_f64_e32 v[31:32], v[31:32], v[124:125]
	v_add_f64_e32 v[132:133], v[132:133], v[126:127]
	ds_load_b128 v[124:127], v1 offset:992
	v_fma_f64 v[130:131], v[130:131], v[6:7], v[134:135]
	v_fma_f64 v[6:7], v[128:129], v[6:7], -v[8:9]
	s_wait_loadcnt_dscnt 0x700
	v_mul_f64_e32 v[128:129], v[124:125], v[16:17]
	v_mul_f64_e32 v[16:17], v[126:127], v[16:17]
	v_add_f64_e32 v[8:9], v[31:32], v[138:139]
	v_add_f64_e32 v[31:32], v[132:133], v[136:137]
	v_fma_f64 v[132:133], v[4:5], v[10:11], v[140:141]
	v_fma_f64 v[10:11], v[2:3], v[10:11], -v[12:13]
	v_fma_f64 v[126:127], v[126:127], v[14:15], v[128:129]
	v_fma_f64 v[14:15], v[124:125], v[14:15], -v[16:17]
	v_add_f64_e32 v[12:13], v[8:9], v[6:7]
	v_add_f64_e32 v[31:32], v[31:32], v[130:131]
	ds_load_b128 v[2:5], v1 offset:1008
	ds_load_b128 v[6:9], v1 offset:1024
	s_wait_loadcnt_dscnt 0x601
	v_mul_f64_e32 v[130:131], v[2:3], v[20:21]
	v_mul_f64_e32 v[20:21], v[4:5], v[20:21]
	s_wait_loadcnt_dscnt 0x500
	v_mul_f64_e32 v[16:17], v[6:7], v[24:25]
	v_mul_f64_e32 v[24:25], v[8:9], v[24:25]
	v_add_f64_e32 v[10:11], v[12:13], v[10:11]
	v_add_f64_e32 v[12:13], v[31:32], v[132:133]
	v_fma_f64 v[31:32], v[4:5], v[18:19], v[130:131]
	v_fma_f64 v[18:19], v[2:3], v[18:19], -v[20:21]
	v_fma_f64 v[8:9], v[8:9], v[22:23], v[16:17]
	v_fma_f64 v[6:7], v[6:7], v[22:23], -v[24:25]
	v_add_f64_e32 v[14:15], v[10:11], v[14:15]
	v_add_f64_e32 v[20:21], v[12:13], v[126:127]
	ds_load_b128 v[2:5], v1 offset:1040
	ds_load_b128 v[10:13], v1 offset:1056
	s_wait_loadcnt_dscnt 0x401
	v_mul_f64_e32 v[124:125], v[2:3], v[29:30]
	v_mul_f64_e32 v[29:30], v[4:5], v[29:30]
	v_add_f64_e32 v[14:15], v[14:15], v[18:19]
	v_add_f64_e32 v[16:17], v[20:21], v[31:32]
	s_wait_loadcnt_dscnt 0x300
	v_mul_f64_e32 v[18:19], v[10:11], v[106:107]
	v_mul_f64_e32 v[20:21], v[12:13], v[106:107]
	v_fma_f64 v[22:23], v[4:5], v[27:28], v[124:125]
	v_fma_f64 v[24:25], v[2:3], v[27:28], -v[29:30]
	v_add_f64_e32 v[14:15], v[14:15], v[6:7]
	v_add_f64_e32 v[16:17], v[16:17], v[8:9]
	ds_load_b128 v[2:5], v1 offset:1072
	ds_load_b128 v[6:9], v1 offset:1088
	v_fma_f64 v[12:13], v[12:13], v[104:105], v[18:19]
	v_fma_f64 v[10:11], v[10:11], v[104:105], -v[20:21]
	s_wait_loadcnt_dscnt 0x201
	v_mul_f64_e32 v[27:28], v[2:3], v[114:115]
	v_mul_f64_e32 v[29:30], v[4:5], v[114:115]
	s_wait_loadcnt_dscnt 0x100
	v_mul_f64_e32 v[18:19], v[6:7], v[122:123]
	v_mul_f64_e32 v[20:21], v[8:9], v[122:123]
	v_add_f64_e32 v[14:15], v[14:15], v[24:25]
	v_add_f64_e32 v[16:17], v[16:17], v[22:23]
	v_fma_f64 v[22:23], v[4:5], v[112:113], v[27:28]
	v_fma_f64 v[24:25], v[2:3], v[112:113], -v[29:30]
	ds_load_b128 v[2:5], v1 offset:1104
	v_fma_f64 v[8:9], v[8:9], v[120:121], v[18:19]
	v_fma_f64 v[6:7], v[6:7], v[120:121], -v[20:21]
	v_add_f64_e32 v[10:11], v[14:15], v[10:11]
	v_add_f64_e32 v[12:13], v[16:17], v[12:13]
	s_wait_loadcnt_dscnt 0x0
	v_mul_f64_e32 v[14:15], v[2:3], v[110:111]
	v_mul_f64_e32 v[16:17], v[4:5], v[110:111]
	s_delay_alu instid0(VALU_DEP_4) | instskip(NEXT) | instid1(VALU_DEP_4)
	v_add_f64_e32 v[10:11], v[10:11], v[24:25]
	v_add_f64_e32 v[12:13], v[12:13], v[22:23]
	s_delay_alu instid0(VALU_DEP_4) | instskip(NEXT) | instid1(VALU_DEP_4)
	v_fma_f64 v[4:5], v[4:5], v[108:109], v[14:15]
	v_fma_f64 v[2:3], v[2:3], v[108:109], -v[16:17]
	s_delay_alu instid0(VALU_DEP_4) | instskip(NEXT) | instid1(VALU_DEP_4)
	v_add_f64_e32 v[6:7], v[10:11], v[6:7]
	v_add_f64_e32 v[8:9], v[12:13], v[8:9]
	s_delay_alu instid0(VALU_DEP_2) | instskip(NEXT) | instid1(VALU_DEP_2)
	v_add_f64_e32 v[2:3], v[6:7], v[2:3]
	v_add_f64_e32 v[4:5], v[8:9], v[4:5]
	s_delay_alu instid0(VALU_DEP_2) | instskip(NEXT) | instid1(VALU_DEP_2)
	v_add_f64_e64 v[2:3], v[116:117], -v[2:3]
	v_add_f64_e64 v[4:5], v[118:119], -v[4:5]
	scratch_store_b128 off, v[2:5], off offset:64
	v_cmpx_lt_u32_e32 2, v0
	s_cbranch_execz .LBB98_219
; %bb.218:
	scratch_load_b128 v[5:8], off, s42
	v_dual_mov_b32 v2, v1 :: v_dual_mov_b32 v3, v1
	v_mov_b32_e32 v4, v1
	scratch_store_b128 off, v[1:4], off offset:48
	s_wait_loadcnt 0x0
	ds_store_b128 v26, v[5:8]
.LBB98_219:
	s_wait_alu 0xfffe
	s_or_b32 exec_lo, exec_lo, s0
	s_wait_storecnt_dscnt 0x0
	s_barrier_signal -1
	s_barrier_wait -1
	global_inv scope:SCOPE_SE
	s_clause 0x8
	scratch_load_b128 v[2:5], off, off offset:64
	scratch_load_b128 v[6:9], off, off offset:80
	;; [unrolled: 1-line block ×9, first 2 shown]
	ds_load_b128 v[112:115], v1 offset:608
	ds_load_b128 v[116:119], v1 offset:624
	s_clause 0x1
	scratch_load_b128 v[120:123], off, off offset:48
	scratch_load_b128 v[124:127], off, off offset:208
	s_mov_b32 s0, exec_lo
	ds_load_b128 v[128:131], v1 offset:656
	s_wait_loadcnt_dscnt 0xa02
	v_mul_f64_e32 v[31:32], v[114:115], v[4:5]
	v_mul_f64_e32 v[4:5], v[112:113], v[4:5]
	s_wait_loadcnt_dscnt 0x901
	v_mul_f64_e32 v[132:133], v[116:117], v[8:9]
	v_mul_f64_e32 v[8:9], v[118:119], v[8:9]
	s_delay_alu instid0(VALU_DEP_4) | instskip(NEXT) | instid1(VALU_DEP_4)
	v_fma_f64 v[31:32], v[112:113], v[2:3], -v[31:32]
	v_fma_f64 v[134:135], v[114:115], v[2:3], v[4:5]
	ds_load_b128 v[2:5], v1 offset:640
	scratch_load_b128 v[112:115], off, off offset:224
	v_fma_f64 v[118:119], v[118:119], v[6:7], v[132:133]
	v_fma_f64 v[116:117], v[116:117], v[6:7], -v[8:9]
	scratch_load_b128 v[6:9], off, off offset:240
	s_wait_loadcnt_dscnt 0xa00
	v_mul_f64_e32 v[136:137], v[2:3], v[12:13]
	v_mul_f64_e32 v[12:13], v[4:5], v[12:13]
	v_add_f64_e32 v[31:32], 0, v[31:32]
	v_add_f64_e32 v[132:133], 0, v[134:135]
	s_wait_loadcnt 0x9
	v_mul_f64_e32 v[134:135], v[128:129], v[16:17]
	v_mul_f64_e32 v[16:17], v[130:131], v[16:17]
	v_fma_f64 v[136:137], v[4:5], v[10:11], v[136:137]
	v_fma_f64 v[138:139], v[2:3], v[10:11], -v[12:13]
	ds_load_b128 v[2:5], v1 offset:672
	scratch_load_b128 v[10:13], off, off offset:256
	v_add_f64_e32 v[31:32], v[31:32], v[116:117]
	v_add_f64_e32 v[132:133], v[132:133], v[118:119]
	ds_load_b128 v[116:119], v1 offset:688
	v_fma_f64 v[130:131], v[130:131], v[14:15], v[134:135]
	v_fma_f64 v[128:129], v[128:129], v[14:15], -v[16:17]
	scratch_load_b128 v[14:17], off, off offset:272
	s_wait_loadcnt_dscnt 0xa01
	v_mul_f64_e32 v[140:141], v[2:3], v[20:21]
	v_mul_f64_e32 v[20:21], v[4:5], v[20:21]
	s_wait_loadcnt_dscnt 0x900
	v_mul_f64_e32 v[134:135], v[116:117], v[24:25]
	v_mul_f64_e32 v[24:25], v[118:119], v[24:25]
	v_add_f64_e32 v[31:32], v[31:32], v[138:139]
	v_add_f64_e32 v[132:133], v[132:133], v[136:137]
	v_fma_f64 v[136:137], v[4:5], v[18:19], v[140:141]
	v_fma_f64 v[138:139], v[2:3], v[18:19], -v[20:21]
	ds_load_b128 v[2:5], v1 offset:704
	scratch_load_b128 v[18:21], off, off offset:288
	v_fma_f64 v[118:119], v[118:119], v[22:23], v[134:135]
	v_fma_f64 v[116:117], v[116:117], v[22:23], -v[24:25]
	scratch_load_b128 v[22:25], off, off offset:304
	v_add_f64_e32 v[31:32], v[31:32], v[128:129]
	v_add_f64_e32 v[132:133], v[132:133], v[130:131]
	ds_load_b128 v[128:131], v1 offset:720
	s_wait_loadcnt_dscnt 0xa01
	v_mul_f64_e32 v[140:141], v[2:3], v[29:30]
	v_mul_f64_e32 v[29:30], v[4:5], v[29:30]
	s_wait_loadcnt_dscnt 0x900
	v_mul_f64_e32 v[134:135], v[128:129], v[106:107]
	v_mul_f64_e32 v[106:107], v[130:131], v[106:107]
	v_add_f64_e32 v[31:32], v[31:32], v[138:139]
	v_add_f64_e32 v[132:133], v[132:133], v[136:137]
	v_fma_f64 v[136:137], v[4:5], v[27:28], v[140:141]
	v_fma_f64 v[138:139], v[2:3], v[27:28], -v[29:30]
	ds_load_b128 v[2:5], v1 offset:736
	scratch_load_b128 v[27:30], off, off offset:320
	v_fma_f64 v[130:131], v[130:131], v[104:105], v[134:135]
	v_fma_f64 v[128:129], v[128:129], v[104:105], -v[106:107]
	scratch_load_b128 v[104:107], off, off offset:336
	v_add_f64_e32 v[31:32], v[31:32], v[116:117]
	v_add_f64_e32 v[132:133], v[132:133], v[118:119]
	ds_load_b128 v[116:119], v1 offset:752
	s_wait_loadcnt_dscnt 0xa01
	v_mul_f64_e32 v[140:141], v[2:3], v[110:111]
	v_mul_f64_e32 v[110:111], v[4:5], v[110:111]
	s_wait_loadcnt_dscnt 0x800
	v_mul_f64_e32 v[134:135], v[116:117], v[126:127]
	v_add_f64_e32 v[31:32], v[31:32], v[138:139]
	v_add_f64_e32 v[132:133], v[132:133], v[136:137]
	v_mul_f64_e32 v[136:137], v[118:119], v[126:127]
	v_fma_f64 v[138:139], v[4:5], v[108:109], v[140:141]
	v_fma_f64 v[140:141], v[2:3], v[108:109], -v[110:111]
	ds_load_b128 v[2:5], v1 offset:768
	scratch_load_b128 v[108:111], off, off offset:352
	v_fma_f64 v[118:119], v[118:119], v[124:125], v[134:135]
	v_add_f64_e32 v[31:32], v[31:32], v[128:129]
	v_add_f64_e32 v[130:131], v[132:133], v[130:131]
	ds_load_b128 v[126:129], v1 offset:784
	v_fma_f64 v[124:125], v[116:117], v[124:125], -v[136:137]
	ds_load_b128 v[134:137], v1 offset:816
	s_wait_loadcnt_dscnt 0x802
	v_mul_f64_e32 v[132:133], v[2:3], v[114:115]
	v_mul_f64_e32 v[142:143], v[4:5], v[114:115]
	scratch_load_b128 v[114:117], off, off offset:368
	v_add_f64_e32 v[31:32], v[31:32], v[140:141]
	v_add_f64_e32 v[130:131], v[130:131], v[138:139]
	s_wait_loadcnt_dscnt 0x801
	v_mul_f64_e32 v[138:139], v[126:127], v[8:9]
	v_mul_f64_e32 v[8:9], v[128:129], v[8:9]
	v_fma_f64 v[140:141], v[4:5], v[112:113], v[132:133]
	v_fma_f64 v[112:113], v[2:3], v[112:113], -v[142:143]
	ds_load_b128 v[2:5], v1 offset:800
	v_add_f64_e32 v[31:32], v[31:32], v[124:125]
	v_add_f64_e32 v[118:119], v[130:131], v[118:119]
	scratch_load_b128 v[130:133], off, off offset:384
	s_wait_loadcnt_dscnt 0x800
	v_mul_f64_e32 v[124:125], v[2:3], v[12:13]
	v_mul_f64_e32 v[12:13], v[4:5], v[12:13]
	v_fma_f64 v[128:129], v[128:129], v[6:7], v[138:139]
	v_fma_f64 v[126:127], v[126:127], v[6:7], -v[8:9]
	scratch_load_b128 v[6:9], off, off offset:400
	v_add_f64_e32 v[31:32], v[31:32], v[112:113]
	v_add_f64_e32 v[112:113], v[118:119], v[140:141]
	s_wait_loadcnt 0x8
	v_mul_f64_e32 v[118:119], v[134:135], v[16:17]
	v_mul_f64_e32 v[16:17], v[136:137], v[16:17]
	v_fma_f64 v[138:139], v[4:5], v[10:11], v[124:125]
	v_fma_f64 v[140:141], v[2:3], v[10:11], -v[12:13]
	ds_load_b128 v[2:5], v1 offset:832
	scratch_load_b128 v[10:13], off, off offset:416
	v_add_f64_e32 v[31:32], v[31:32], v[126:127]
	v_add_f64_e32 v[112:113], v[112:113], v[128:129]
	ds_load_b128 v[124:127], v1 offset:848
	s_wait_loadcnt_dscnt 0x801
	v_mul_f64_e32 v[128:129], v[2:3], v[20:21]
	v_mul_f64_e32 v[20:21], v[4:5], v[20:21]
	v_fma_f64 v[118:119], v[136:137], v[14:15], v[118:119]
	v_fma_f64 v[134:135], v[134:135], v[14:15], -v[16:17]
	scratch_load_b128 v[14:17], off, off offset:432
	v_add_f64_e32 v[31:32], v[31:32], v[140:141]
	v_add_f64_e32 v[112:113], v[112:113], v[138:139]
	s_wait_loadcnt_dscnt 0x800
	v_mul_f64_e32 v[138:139], v[124:125], v[24:25]
	v_mul_f64_e32 v[24:25], v[126:127], v[24:25]
	v_fma_f64 v[128:129], v[4:5], v[18:19], v[128:129]
	v_fma_f64 v[140:141], v[2:3], v[18:19], -v[20:21]
	ds_load_b128 v[2:5], v1 offset:864
	scratch_load_b128 v[18:21], off, off offset:448
	v_add_f64_e32 v[31:32], v[31:32], v[134:135]
	v_add_f64_e32 v[112:113], v[112:113], v[118:119]
	ds_load_b128 v[134:137], v1 offset:880
	s_wait_loadcnt_dscnt 0x801
	v_mul_f64_e32 v[118:119], v[2:3], v[29:30]
	v_mul_f64_e32 v[29:30], v[4:5], v[29:30]
	v_fma_f64 v[126:127], v[126:127], v[22:23], v[138:139]
	v_fma_f64 v[124:125], v[124:125], v[22:23], -v[24:25]
	scratch_load_b128 v[22:25], off, off offset:464
	v_add_f64_e32 v[31:32], v[31:32], v[140:141]
	v_add_f64_e32 v[112:113], v[112:113], v[128:129]
	s_wait_loadcnt_dscnt 0x800
	v_mul_f64_e32 v[128:129], v[134:135], v[106:107]
	v_mul_f64_e32 v[106:107], v[136:137], v[106:107]
	v_fma_f64 v[118:119], v[4:5], v[27:28], v[118:119]
	v_fma_f64 v[138:139], v[2:3], v[27:28], -v[29:30]
	ds_load_b128 v[2:5], v1 offset:896
	scratch_load_b128 v[27:30], off, off offset:480
	v_add_f64_e32 v[31:32], v[31:32], v[124:125]
	v_add_f64_e32 v[112:113], v[112:113], v[126:127]
	ds_load_b128 v[124:127], v1 offset:912
	s_wait_loadcnt_dscnt 0x801
	v_mul_f64_e32 v[140:141], v[2:3], v[110:111]
	v_mul_f64_e32 v[110:111], v[4:5], v[110:111]
	v_fma_f64 v[128:129], v[136:137], v[104:105], v[128:129]
	v_fma_f64 v[134:135], v[134:135], v[104:105], -v[106:107]
	scratch_load_b128 v[104:107], off, off offset:496
	s_wait_loadcnt_dscnt 0x800
	v_mul_f64_e32 v[136:137], v[124:125], v[116:117]
	v_add_f64_e32 v[31:32], v[31:32], v[138:139]
	v_add_f64_e32 v[112:113], v[112:113], v[118:119]
	v_mul_f64_e32 v[138:139], v[126:127], v[116:117]
	v_fma_f64 v[140:141], v[4:5], v[108:109], v[140:141]
	v_fma_f64 v[142:143], v[2:3], v[108:109], -v[110:111]
	ds_load_b128 v[2:5], v1 offset:928
	ds_load_b128 v[116:119], v1 offset:944
	scratch_load_b128 v[108:111], off, off offset:512
	v_fma_f64 v[126:127], v[126:127], v[114:115], v[136:137]
	v_add_f64_e32 v[31:32], v[31:32], v[134:135]
	v_add_f64_e32 v[112:113], v[112:113], v[128:129]
	v_fma_f64 v[124:125], v[124:125], v[114:115], -v[138:139]
	s_wait_loadcnt_dscnt 0x801
	v_mul_f64_e32 v[128:129], v[2:3], v[132:133]
	v_mul_f64_e32 v[132:133], v[4:5], v[132:133]
	s_wait_loadcnt_dscnt 0x700
	v_mul_f64_e32 v[136:137], v[116:117], v[8:9]
	v_mul_f64_e32 v[8:9], v[118:119], v[8:9]
	v_add_f64_e32 v[31:32], v[31:32], v[142:143]
	v_add_f64_e32 v[134:135], v[112:113], v[140:141]
	scratch_load_b128 v[112:115], off, off offset:528
	v_fma_f64 v[138:139], v[4:5], v[130:131], v[128:129]
	v_fma_f64 v[132:133], v[2:3], v[130:131], -v[132:133]
	ds_load_b128 v[2:5], v1 offset:960
	ds_load_b128 v[128:131], v1 offset:976
	v_fma_f64 v[118:119], v[118:119], v[6:7], v[136:137]
	v_fma_f64 v[116:117], v[116:117], v[6:7], -v[8:9]
	scratch_load_b128 v[6:9], off, off offset:560
	v_add_f64_e32 v[31:32], v[31:32], v[124:125]
	v_add_f64_e32 v[134:135], v[134:135], v[126:127]
	scratch_load_b128 v[124:127], off, off offset:544
	s_wait_loadcnt_dscnt 0x901
	v_mul_f64_e32 v[140:141], v[2:3], v[12:13]
	v_mul_f64_e32 v[12:13], v[4:5], v[12:13]
	v_add_f64_e32 v[31:32], v[31:32], v[132:133]
	v_add_f64_e32 v[132:133], v[134:135], v[138:139]
	s_wait_loadcnt_dscnt 0x800
	v_mul_f64_e32 v[134:135], v[128:129], v[16:17]
	v_mul_f64_e32 v[16:17], v[130:131], v[16:17]
	v_fma_f64 v[136:137], v[4:5], v[10:11], v[140:141]
	v_fma_f64 v[138:139], v[2:3], v[10:11], -v[12:13]
	ds_load_b128 v[2:5], v1 offset:992
	ds_load_b128 v[10:13], v1 offset:1008
	v_add_f64_e32 v[31:32], v[31:32], v[116:117]
	v_add_f64_e32 v[116:117], v[132:133], v[118:119]
	s_wait_loadcnt_dscnt 0x701
	v_mul_f64_e32 v[118:119], v[2:3], v[20:21]
	v_mul_f64_e32 v[20:21], v[4:5], v[20:21]
	v_fma_f64 v[130:131], v[130:131], v[14:15], v[134:135]
	v_fma_f64 v[14:15], v[128:129], v[14:15], -v[16:17]
	v_add_f64_e32 v[16:17], v[31:32], v[138:139]
	v_add_f64_e32 v[31:32], v[116:117], v[136:137]
	s_wait_loadcnt_dscnt 0x600
	v_mul_f64_e32 v[116:117], v[10:11], v[24:25]
	v_mul_f64_e32 v[24:25], v[12:13], v[24:25]
	v_fma_f64 v[118:119], v[4:5], v[18:19], v[118:119]
	v_fma_f64 v[18:19], v[2:3], v[18:19], -v[20:21]
	v_add_f64_e32 v[20:21], v[16:17], v[14:15]
	v_add_f64_e32 v[31:32], v[31:32], v[130:131]
	ds_load_b128 v[2:5], v1 offset:1024
	ds_load_b128 v[14:17], v1 offset:1040
	v_fma_f64 v[12:13], v[12:13], v[22:23], v[116:117]
	v_fma_f64 v[10:11], v[10:11], v[22:23], -v[24:25]
	s_wait_loadcnt_dscnt 0x501
	v_mul_f64_e32 v[128:129], v[2:3], v[29:30]
	v_mul_f64_e32 v[29:30], v[4:5], v[29:30]
	s_wait_loadcnt_dscnt 0x400
	v_mul_f64_e32 v[22:23], v[14:15], v[106:107]
	v_mul_f64_e32 v[24:25], v[16:17], v[106:107]
	v_add_f64_e32 v[18:19], v[20:21], v[18:19]
	v_add_f64_e32 v[20:21], v[31:32], v[118:119]
	v_fma_f64 v[31:32], v[4:5], v[27:28], v[128:129]
	v_fma_f64 v[27:28], v[2:3], v[27:28], -v[29:30]
	v_fma_f64 v[16:17], v[16:17], v[104:105], v[22:23]
	v_fma_f64 v[14:15], v[14:15], v[104:105], -v[24:25]
	v_add_f64_e32 v[18:19], v[18:19], v[10:11]
	v_add_f64_e32 v[20:21], v[20:21], v[12:13]
	ds_load_b128 v[2:5], v1 offset:1056
	ds_load_b128 v[10:13], v1 offset:1072
	s_wait_loadcnt_dscnt 0x301
	v_mul_f64_e32 v[29:30], v[2:3], v[110:111]
	v_mul_f64_e32 v[106:107], v[4:5], v[110:111]
	v_add_f64_e32 v[18:19], v[18:19], v[27:28]
	v_add_f64_e32 v[20:21], v[20:21], v[31:32]
	s_wait_loadcnt_dscnt 0x200
	v_mul_f64_e32 v[22:23], v[10:11], v[114:115]
	v_mul_f64_e32 v[24:25], v[12:13], v[114:115]
	v_fma_f64 v[27:28], v[4:5], v[108:109], v[29:30]
	v_fma_f64 v[29:30], v[2:3], v[108:109], -v[106:107]
	v_add_f64_e32 v[18:19], v[18:19], v[14:15]
	v_add_f64_e32 v[20:21], v[20:21], v[16:17]
	ds_load_b128 v[2:5], v1 offset:1088
	ds_load_b128 v[14:17], v1 offset:1104
	v_fma_f64 v[12:13], v[12:13], v[112:113], v[22:23]
	v_fma_f64 v[10:11], v[10:11], v[112:113], -v[24:25]
	s_wait_loadcnt_dscnt 0x1
	v_mul_f64_e32 v[31:32], v[2:3], v[126:127]
	v_mul_f64_e32 v[104:105], v[4:5], v[126:127]
	s_wait_dscnt 0x0
	v_mul_f64_e32 v[22:23], v[14:15], v[8:9]
	v_mul_f64_e32 v[8:9], v[16:17], v[8:9]
	v_add_f64_e32 v[18:19], v[18:19], v[29:30]
	v_add_f64_e32 v[20:21], v[20:21], v[27:28]
	v_fma_f64 v[4:5], v[4:5], v[124:125], v[31:32]
	v_fma_f64 v[1:2], v[2:3], v[124:125], -v[104:105]
	v_fma_f64 v[16:17], v[16:17], v[6:7], v[22:23]
	v_fma_f64 v[6:7], v[14:15], v[6:7], -v[8:9]
	v_add_f64_e32 v[10:11], v[18:19], v[10:11]
	v_add_f64_e32 v[12:13], v[20:21], v[12:13]
	s_delay_alu instid0(VALU_DEP_2) | instskip(NEXT) | instid1(VALU_DEP_2)
	v_add_f64_e32 v[1:2], v[10:11], v[1:2]
	v_add_f64_e32 v[3:4], v[12:13], v[4:5]
	s_delay_alu instid0(VALU_DEP_2) | instskip(NEXT) | instid1(VALU_DEP_2)
	;; [unrolled: 3-line block ×3, first 2 shown]
	v_add_f64_e64 v[1:2], v[120:121], -v[1:2]
	v_add_f64_e64 v[3:4], v[122:123], -v[3:4]
	scratch_store_b128 off, v[1:4], off offset:48
	v_cmpx_lt_u32_e32 1, v0
	s_cbranch_execz .LBB98_221
; %bb.220:
	scratch_load_b128 v[1:4], off, s43
	v_mov_b32_e32 v5, 0
	s_delay_alu instid0(VALU_DEP_1)
	v_dual_mov_b32 v6, v5 :: v_dual_mov_b32 v7, v5
	v_mov_b32_e32 v8, v5
	scratch_store_b128 off, v[5:8], off offset:32
	s_wait_loadcnt 0x0
	ds_store_b128 v26, v[1:4]
.LBB98_221:
	s_wait_alu 0xfffe
	s_or_b32 exec_lo, exec_lo, s0
	s_wait_storecnt_dscnt 0x0
	s_barrier_signal -1
	s_barrier_wait -1
	global_inv scope:SCOPE_SE
	s_clause 0x7
	scratch_load_b128 v[2:5], off, off offset:48
	scratch_load_b128 v[6:9], off, off offset:64
	;; [unrolled: 1-line block ×8, first 2 shown]
	v_mov_b32_e32 v1, 0
	s_mov_b32 s0, exec_lo
	ds_load_b128 v[108:111], v1 offset:592
	s_clause 0x1
	scratch_load_b128 v[112:115], off, off offset:176
	scratch_load_b128 v[116:119], off, off offset:32
	ds_load_b128 v[120:123], v1 offset:608
	scratch_load_b128 v[124:127], off, off offset:192
	ds_load_b128 v[128:131], v1 offset:640
	s_wait_loadcnt_dscnt 0xa02
	v_mul_f64_e32 v[31:32], v[110:111], v[4:5]
	v_mul_f64_e32 v[4:5], v[108:109], v[4:5]
	s_delay_alu instid0(VALU_DEP_2) | instskip(NEXT) | instid1(VALU_DEP_2)
	v_fma_f64 v[31:32], v[108:109], v[2:3], -v[31:32]
	v_fma_f64 v[134:135], v[110:111], v[2:3], v[4:5]
	ds_load_b128 v[2:5], v1 offset:624
	s_wait_loadcnt_dscnt 0x902
	v_mul_f64_e32 v[132:133], v[120:121], v[8:9]
	v_mul_f64_e32 v[8:9], v[122:123], v[8:9]
	scratch_load_b128 v[108:111], off, off offset:208
	s_wait_loadcnt_dscnt 0x900
	v_mul_f64_e32 v[136:137], v[2:3], v[12:13]
	v_mul_f64_e32 v[12:13], v[4:5], v[12:13]
	v_add_f64_e32 v[31:32], 0, v[31:32]
	v_fma_f64 v[122:123], v[122:123], v[6:7], v[132:133]
	v_fma_f64 v[120:121], v[120:121], v[6:7], -v[8:9]
	v_add_f64_e32 v[132:133], 0, v[134:135]
	scratch_load_b128 v[6:9], off, off offset:224
	v_fma_f64 v[136:137], v[4:5], v[10:11], v[136:137]
	v_fma_f64 v[138:139], v[2:3], v[10:11], -v[12:13]
	ds_load_b128 v[2:5], v1 offset:656
	s_wait_loadcnt 0x9
	v_mul_f64_e32 v[134:135], v[128:129], v[16:17]
	v_mul_f64_e32 v[16:17], v[130:131], v[16:17]
	scratch_load_b128 v[10:13], off, off offset:240
	v_add_f64_e32 v[31:32], v[31:32], v[120:121]
	v_add_f64_e32 v[132:133], v[132:133], v[122:123]
	s_wait_loadcnt_dscnt 0x900
	v_mul_f64_e32 v[140:141], v[2:3], v[20:21]
	v_mul_f64_e32 v[20:21], v[4:5], v[20:21]
	ds_load_b128 v[120:123], v1 offset:672
	v_fma_f64 v[130:131], v[130:131], v[14:15], v[134:135]
	v_fma_f64 v[128:129], v[128:129], v[14:15], -v[16:17]
	scratch_load_b128 v[14:17], off, off offset:256
	v_add_f64_e32 v[31:32], v[31:32], v[138:139]
	v_add_f64_e32 v[132:133], v[132:133], v[136:137]
	v_fma_f64 v[136:137], v[4:5], v[18:19], v[140:141]
	v_fma_f64 v[138:139], v[2:3], v[18:19], -v[20:21]
	ds_load_b128 v[2:5], v1 offset:688
	s_wait_loadcnt_dscnt 0x901
	v_mul_f64_e32 v[134:135], v[120:121], v[24:25]
	v_mul_f64_e32 v[24:25], v[122:123], v[24:25]
	scratch_load_b128 v[18:21], off, off offset:272
	s_wait_loadcnt_dscnt 0x900
	v_mul_f64_e32 v[140:141], v[2:3], v[29:30]
	v_mul_f64_e32 v[29:30], v[4:5], v[29:30]
	v_add_f64_e32 v[31:32], v[31:32], v[128:129]
	v_add_f64_e32 v[132:133], v[132:133], v[130:131]
	ds_load_b128 v[128:131], v1 offset:704
	v_fma_f64 v[122:123], v[122:123], v[22:23], v[134:135]
	v_fma_f64 v[120:121], v[120:121], v[22:23], -v[24:25]
	scratch_load_b128 v[22:25], off, off offset:288
	v_add_f64_e32 v[31:32], v[31:32], v[138:139]
	v_add_f64_e32 v[132:133], v[132:133], v[136:137]
	v_fma_f64 v[136:137], v[4:5], v[27:28], v[140:141]
	v_fma_f64 v[138:139], v[2:3], v[27:28], -v[29:30]
	ds_load_b128 v[2:5], v1 offset:720
	s_wait_loadcnt_dscnt 0x901
	v_mul_f64_e32 v[134:135], v[128:129], v[106:107]
	v_mul_f64_e32 v[106:107], v[130:131], v[106:107]
	scratch_load_b128 v[27:30], off, off offset:304
	s_wait_loadcnt_dscnt 0x900
	v_mul_f64_e32 v[140:141], v[2:3], v[114:115]
	v_mul_f64_e32 v[114:115], v[4:5], v[114:115]
	v_add_f64_e32 v[31:32], v[31:32], v[120:121]
	v_add_f64_e32 v[132:133], v[132:133], v[122:123]
	ds_load_b128 v[120:123], v1 offset:736
	v_fma_f64 v[130:131], v[130:131], v[104:105], v[134:135]
	v_fma_f64 v[128:129], v[128:129], v[104:105], -v[106:107]
	scratch_load_b128 v[104:107], off, off offset:320
	v_add_f64_e32 v[31:32], v[31:32], v[138:139]
	v_add_f64_e32 v[132:133], v[132:133], v[136:137]
	v_fma_f64 v[138:139], v[4:5], v[112:113], v[140:141]
	v_fma_f64 v[140:141], v[2:3], v[112:113], -v[114:115]
	ds_load_b128 v[2:5], v1 offset:752
	s_wait_loadcnt_dscnt 0x801
	v_mul_f64_e32 v[134:135], v[120:121], v[126:127]
	v_mul_f64_e32 v[136:137], v[122:123], v[126:127]
	scratch_load_b128 v[112:115], off, off offset:336
	v_add_f64_e32 v[31:32], v[31:32], v[128:129]
	v_add_f64_e32 v[130:131], v[132:133], v[130:131]
	ds_load_b128 v[126:129], v1 offset:768
	v_fma_f64 v[134:135], v[122:123], v[124:125], v[134:135]
	v_fma_f64 v[124:125], v[120:121], v[124:125], -v[136:137]
	scratch_load_b128 v[120:123], off, off offset:352
	s_wait_loadcnt_dscnt 0x901
	v_mul_f64_e32 v[132:133], v[2:3], v[110:111]
	v_mul_f64_e32 v[110:111], v[4:5], v[110:111]
	v_add_f64_e32 v[31:32], v[31:32], v[140:141]
	v_add_f64_e32 v[130:131], v[130:131], v[138:139]
	s_delay_alu instid0(VALU_DEP_4) | instskip(NEXT) | instid1(VALU_DEP_4)
	v_fma_f64 v[138:139], v[4:5], v[108:109], v[132:133]
	v_fma_f64 v[140:141], v[2:3], v[108:109], -v[110:111]
	ds_load_b128 v[2:5], v1 offset:784
	s_wait_loadcnt_dscnt 0x801
	v_mul_f64_e32 v[136:137], v[126:127], v[8:9]
	v_mul_f64_e32 v[8:9], v[128:129], v[8:9]
	scratch_load_b128 v[108:111], off, off offset:368
	v_add_f64_e32 v[31:32], v[31:32], v[124:125]
	v_add_f64_e32 v[124:125], v[130:131], v[134:135]
	s_wait_loadcnt_dscnt 0x800
	v_mul_f64_e32 v[134:135], v[2:3], v[12:13]
	v_mul_f64_e32 v[12:13], v[4:5], v[12:13]
	ds_load_b128 v[130:133], v1 offset:800
	v_fma_f64 v[128:129], v[128:129], v[6:7], v[136:137]
	v_fma_f64 v[126:127], v[126:127], v[6:7], -v[8:9]
	scratch_load_b128 v[6:9], off, off offset:384
	v_add_f64_e32 v[31:32], v[31:32], v[140:141]
	v_add_f64_e32 v[124:125], v[124:125], v[138:139]
	v_fma_f64 v[134:135], v[4:5], v[10:11], v[134:135]
	v_fma_f64 v[138:139], v[2:3], v[10:11], -v[12:13]
	ds_load_b128 v[2:5], v1 offset:816
	s_wait_loadcnt_dscnt 0x801
	v_mul_f64_e32 v[136:137], v[130:131], v[16:17]
	v_mul_f64_e32 v[16:17], v[132:133], v[16:17]
	scratch_load_b128 v[10:13], off, off offset:400
	s_wait_loadcnt_dscnt 0x800
	v_mul_f64_e32 v[140:141], v[2:3], v[20:21]
	v_mul_f64_e32 v[20:21], v[4:5], v[20:21]
	v_add_f64_e32 v[31:32], v[31:32], v[126:127]
	v_add_f64_e32 v[128:129], v[124:125], v[128:129]
	ds_load_b128 v[124:127], v1 offset:832
	v_fma_f64 v[132:133], v[132:133], v[14:15], v[136:137]
	v_fma_f64 v[130:131], v[130:131], v[14:15], -v[16:17]
	scratch_load_b128 v[14:17], off, off offset:416
	v_fma_f64 v[136:137], v[4:5], v[18:19], v[140:141]
	v_add_f64_e32 v[31:32], v[31:32], v[138:139]
	v_add_f64_e32 v[128:129], v[128:129], v[134:135]
	v_fma_f64 v[138:139], v[2:3], v[18:19], -v[20:21]
	ds_load_b128 v[2:5], v1 offset:848
	s_wait_loadcnt_dscnt 0x801
	v_mul_f64_e32 v[134:135], v[124:125], v[24:25]
	v_mul_f64_e32 v[24:25], v[126:127], v[24:25]
	scratch_load_b128 v[18:21], off, off offset:432
	s_wait_loadcnt_dscnt 0x800
	v_mul_f64_e32 v[140:141], v[2:3], v[29:30]
	v_mul_f64_e32 v[29:30], v[4:5], v[29:30]
	v_add_f64_e32 v[31:32], v[31:32], v[130:131]
	v_add_f64_e32 v[132:133], v[128:129], v[132:133]
	ds_load_b128 v[128:131], v1 offset:864
	v_fma_f64 v[126:127], v[126:127], v[22:23], v[134:135]
	v_fma_f64 v[124:125], v[124:125], v[22:23], -v[24:25]
	scratch_load_b128 v[22:25], off, off offset:448
	v_add_f64_e32 v[31:32], v[31:32], v[138:139]
	v_add_f64_e32 v[132:133], v[132:133], v[136:137]
	v_fma_f64 v[136:137], v[4:5], v[27:28], v[140:141]
	v_fma_f64 v[138:139], v[2:3], v[27:28], -v[29:30]
	ds_load_b128 v[2:5], v1 offset:880
	s_wait_loadcnt_dscnt 0x801
	v_mul_f64_e32 v[134:135], v[128:129], v[106:107]
	v_mul_f64_e32 v[106:107], v[130:131], v[106:107]
	scratch_load_b128 v[27:30], off, off offset:464
	s_wait_loadcnt_dscnt 0x800
	v_mul_f64_e32 v[140:141], v[2:3], v[114:115]
	v_mul_f64_e32 v[114:115], v[4:5], v[114:115]
	v_add_f64_e32 v[31:32], v[31:32], v[124:125]
	v_add_f64_e32 v[132:133], v[132:133], v[126:127]
	ds_load_b128 v[124:127], v1 offset:896
	v_fma_f64 v[130:131], v[130:131], v[104:105], v[134:135]
	v_fma_f64 v[128:129], v[128:129], v[104:105], -v[106:107]
	scratch_load_b128 v[104:107], off, off offset:480
	v_add_f64_e32 v[31:32], v[31:32], v[138:139]
	v_add_f64_e32 v[132:133], v[132:133], v[136:137]
	v_fma_f64 v[136:137], v[4:5], v[112:113], v[140:141]
	v_fma_f64 v[138:139], v[2:3], v[112:113], -v[114:115]
	ds_load_b128 v[2:5], v1 offset:912
	s_wait_loadcnt_dscnt 0x801
	v_mul_f64_e32 v[134:135], v[124:125], v[122:123]
	v_mul_f64_e32 v[122:123], v[126:127], v[122:123]
	scratch_load_b128 v[112:115], off, off offset:496
	s_wait_loadcnt_dscnt 0x800
	v_mul_f64_e32 v[140:141], v[2:3], v[110:111]
	v_add_f64_e32 v[31:32], v[31:32], v[128:129]
	v_add_f64_e32 v[132:133], v[132:133], v[130:131]
	v_mul_f64_e32 v[110:111], v[4:5], v[110:111]
	ds_load_b128 v[128:131], v1 offset:928
	v_fma_f64 v[126:127], v[126:127], v[120:121], v[134:135]
	v_fma_f64 v[124:125], v[124:125], v[120:121], -v[122:123]
	scratch_load_b128 v[120:123], off, off offset:512
	v_add_f64_e32 v[31:32], v[31:32], v[138:139]
	v_add_f64_e32 v[132:133], v[132:133], v[136:137]
	v_fma_f64 v[136:137], v[4:5], v[108:109], v[140:141]
	v_fma_f64 v[138:139], v[2:3], v[108:109], -v[110:111]
	ds_load_b128 v[2:5], v1 offset:944
	s_wait_loadcnt_dscnt 0x801
	v_mul_f64_e32 v[134:135], v[128:129], v[8:9]
	v_mul_f64_e32 v[8:9], v[130:131], v[8:9]
	scratch_load_b128 v[108:111], off, off offset:528
	s_wait_loadcnt_dscnt 0x800
	v_mul_f64_e32 v[140:141], v[2:3], v[12:13]
	v_mul_f64_e32 v[12:13], v[4:5], v[12:13]
	v_add_f64_e32 v[31:32], v[31:32], v[124:125]
	v_add_f64_e32 v[132:133], v[132:133], v[126:127]
	ds_load_b128 v[124:127], v1 offset:960
	v_fma_f64 v[130:131], v[130:131], v[6:7], v[134:135]
	v_fma_f64 v[128:129], v[128:129], v[6:7], -v[8:9]
	scratch_load_b128 v[6:9], off, off offset:544
	v_add_f64_e32 v[31:32], v[31:32], v[138:139]
	v_add_f64_e32 v[132:133], v[132:133], v[136:137]
	v_fma_f64 v[136:137], v[4:5], v[10:11], v[140:141]
	v_fma_f64 v[138:139], v[2:3], v[10:11], -v[12:13]
	ds_load_b128 v[2:5], v1 offset:976
	s_wait_loadcnt_dscnt 0x801
	v_mul_f64_e32 v[134:135], v[124:125], v[16:17]
	v_mul_f64_e32 v[16:17], v[126:127], v[16:17]
	scratch_load_b128 v[10:13], off, off offset:560
	s_wait_loadcnt_dscnt 0x800
	v_mul_f64_e32 v[140:141], v[2:3], v[20:21]
	v_mul_f64_e32 v[20:21], v[4:5], v[20:21]
	v_add_f64_e32 v[31:32], v[31:32], v[128:129]
	v_add_f64_e32 v[132:133], v[132:133], v[130:131]
	ds_load_b128 v[128:131], v1 offset:992
	v_fma_f64 v[126:127], v[126:127], v[14:15], v[134:135]
	v_fma_f64 v[14:15], v[124:125], v[14:15], -v[16:17]
	s_wait_loadcnt_dscnt 0x700
	v_mul_f64_e32 v[124:125], v[128:129], v[24:25]
	v_mul_f64_e32 v[24:25], v[130:131], v[24:25]
	v_add_f64_e32 v[16:17], v[31:32], v[138:139]
	v_add_f64_e32 v[31:32], v[132:133], v[136:137]
	v_fma_f64 v[132:133], v[4:5], v[18:19], v[140:141]
	v_fma_f64 v[18:19], v[2:3], v[18:19], -v[20:21]
	v_fma_f64 v[124:125], v[130:131], v[22:23], v[124:125]
	v_fma_f64 v[22:23], v[128:129], v[22:23], -v[24:25]
	v_add_f64_e32 v[20:21], v[16:17], v[14:15]
	v_add_f64_e32 v[31:32], v[31:32], v[126:127]
	ds_load_b128 v[2:5], v1 offset:1008
	ds_load_b128 v[14:17], v1 offset:1024
	s_wait_loadcnt_dscnt 0x601
	v_mul_f64_e32 v[126:127], v[2:3], v[29:30]
	v_mul_f64_e32 v[29:30], v[4:5], v[29:30]
	s_wait_loadcnt_dscnt 0x500
	v_mul_f64_e32 v[24:25], v[14:15], v[106:107]
	v_add_f64_e32 v[18:19], v[20:21], v[18:19]
	v_add_f64_e32 v[20:21], v[31:32], v[132:133]
	v_mul_f64_e32 v[31:32], v[16:17], v[106:107]
	v_fma_f64 v[106:107], v[4:5], v[27:28], v[126:127]
	v_fma_f64 v[27:28], v[2:3], v[27:28], -v[29:30]
	v_fma_f64 v[16:17], v[16:17], v[104:105], v[24:25]
	v_add_f64_e32 v[22:23], v[18:19], v[22:23]
	v_add_f64_e32 v[29:30], v[20:21], v[124:125]
	ds_load_b128 v[2:5], v1 offset:1040
	ds_load_b128 v[18:21], v1 offset:1056
	v_fma_f64 v[14:15], v[14:15], v[104:105], -v[31:32]
	s_wait_loadcnt_dscnt 0x401
	v_mul_f64_e32 v[124:125], v[2:3], v[114:115]
	v_mul_f64_e32 v[114:115], v[4:5], v[114:115]
	v_add_f64_e32 v[22:23], v[22:23], v[27:28]
	v_add_f64_e32 v[24:25], v[29:30], v[106:107]
	s_wait_loadcnt_dscnt 0x300
	v_mul_f64_e32 v[27:28], v[18:19], v[122:123]
	v_mul_f64_e32 v[29:30], v[20:21], v[122:123]
	v_fma_f64 v[31:32], v[4:5], v[112:113], v[124:125]
	v_fma_f64 v[104:105], v[2:3], v[112:113], -v[114:115]
	v_add_f64_e32 v[22:23], v[22:23], v[14:15]
	v_add_f64_e32 v[24:25], v[24:25], v[16:17]
	ds_load_b128 v[2:5], v1 offset:1072
	ds_load_b128 v[14:17], v1 offset:1088
	v_fma_f64 v[20:21], v[20:21], v[120:121], v[27:28]
	v_fma_f64 v[18:19], v[18:19], v[120:121], -v[29:30]
	s_wait_loadcnt_dscnt 0x201
	v_mul_f64_e32 v[106:107], v[2:3], v[110:111]
	v_mul_f64_e32 v[110:111], v[4:5], v[110:111]
	s_wait_loadcnt_dscnt 0x100
	v_mul_f64_e32 v[27:28], v[14:15], v[8:9]
	v_mul_f64_e32 v[8:9], v[16:17], v[8:9]
	v_add_f64_e32 v[22:23], v[22:23], v[104:105]
	v_add_f64_e32 v[24:25], v[24:25], v[31:32]
	v_fma_f64 v[29:30], v[4:5], v[108:109], v[106:107]
	v_fma_f64 v[31:32], v[2:3], v[108:109], -v[110:111]
	ds_load_b128 v[2:5], v1 offset:1104
	v_fma_f64 v[16:17], v[16:17], v[6:7], v[27:28]
	v_fma_f64 v[6:7], v[14:15], v[6:7], -v[8:9]
	v_add_f64_e32 v[18:19], v[22:23], v[18:19]
	v_add_f64_e32 v[20:21], v[24:25], v[20:21]
	s_wait_loadcnt_dscnt 0x0
	v_mul_f64_e32 v[22:23], v[2:3], v[12:13]
	v_mul_f64_e32 v[12:13], v[4:5], v[12:13]
	s_delay_alu instid0(VALU_DEP_4) | instskip(NEXT) | instid1(VALU_DEP_4)
	v_add_f64_e32 v[8:9], v[18:19], v[31:32]
	v_add_f64_e32 v[14:15], v[20:21], v[29:30]
	s_delay_alu instid0(VALU_DEP_4) | instskip(NEXT) | instid1(VALU_DEP_4)
	v_fma_f64 v[4:5], v[4:5], v[10:11], v[22:23]
	v_fma_f64 v[2:3], v[2:3], v[10:11], -v[12:13]
	s_delay_alu instid0(VALU_DEP_4) | instskip(NEXT) | instid1(VALU_DEP_4)
	v_add_f64_e32 v[6:7], v[8:9], v[6:7]
	v_add_f64_e32 v[8:9], v[14:15], v[16:17]
	s_delay_alu instid0(VALU_DEP_2) | instskip(NEXT) | instid1(VALU_DEP_2)
	v_add_f64_e32 v[2:3], v[6:7], v[2:3]
	v_add_f64_e32 v[4:5], v[8:9], v[4:5]
	s_delay_alu instid0(VALU_DEP_2) | instskip(NEXT) | instid1(VALU_DEP_2)
	v_add_f64_e64 v[2:3], v[116:117], -v[2:3]
	v_add_f64_e64 v[4:5], v[118:119], -v[4:5]
	scratch_store_b128 off, v[2:5], off offset:32
	v_cmpx_ne_u32_e32 0, v0
	s_cbranch_execz .LBB98_223
; %bb.222:
	scratch_load_b128 v[5:8], off, off offset:16
	v_dual_mov_b32 v2, v1 :: v_dual_mov_b32 v3, v1
	v_mov_b32_e32 v4, v1
	scratch_store_b128 off, v[1:4], off offset:16
	s_wait_loadcnt 0x0
	ds_store_b128 v26, v[5:8]
.LBB98_223:
	s_wait_alu 0xfffe
	s_or_b32 exec_lo, exec_lo, s0
	s_wait_storecnt_dscnt 0x0
	s_barrier_signal -1
	s_barrier_wait -1
	global_inv scope:SCOPE_SE
	s_clause 0x8
	scratch_load_b128 v[2:5], off, off offset:32
	scratch_load_b128 v[6:9], off, off offset:48
	;; [unrolled: 1-line block ×9, first 2 shown]
	ds_load_b128 v[108:111], v1 offset:576
	ds_load_b128 v[112:115], v1 offset:592
	s_clause 0x1
	scratch_load_b128 v[116:119], off, off offset:16
	scratch_load_b128 v[120:123], off, off offset:176
	s_and_b32 vcc_lo, exec_lo, s12
	s_wait_loadcnt_dscnt 0xa01
	v_mul_f64_e32 v[124:125], v[110:111], v[4:5]
	v_mul_f64_e32 v[4:5], v[108:109], v[4:5]
	s_wait_loadcnt_dscnt 0x900
	v_mul_f64_e32 v[128:129], v[112:113], v[8:9]
	v_mul_f64_e32 v[8:9], v[114:115], v[8:9]
	s_delay_alu instid0(VALU_DEP_4) | instskip(NEXT) | instid1(VALU_DEP_4)
	v_fma_f64 v[130:131], v[108:109], v[2:3], -v[124:125]
	v_fma_f64 v[132:133], v[110:111], v[2:3], v[4:5]
	ds_load_b128 v[2:5], v1 offset:608
	ds_load_b128 v[124:127], v1 offset:624
	scratch_load_b128 v[108:111], off, off offset:192
	v_fma_f64 v[114:115], v[114:115], v[6:7], v[128:129]
	v_fma_f64 v[112:113], v[112:113], v[6:7], -v[8:9]
	scratch_load_b128 v[6:9], off, off offset:208
	s_wait_loadcnt_dscnt 0xa01
	v_mul_f64_e32 v[134:135], v[2:3], v[12:13]
	v_mul_f64_e32 v[12:13], v[4:5], v[12:13]
	v_add_f64_e32 v[128:129], 0, v[130:131]
	v_add_f64_e32 v[130:131], 0, v[132:133]
	s_wait_loadcnt_dscnt 0x900
	v_mul_f64_e32 v[132:133], v[124:125], v[16:17]
	v_mul_f64_e32 v[16:17], v[126:127], v[16:17]
	v_fma_f64 v[134:135], v[4:5], v[10:11], v[134:135]
	v_fma_f64 v[136:137], v[2:3], v[10:11], -v[12:13]
	ds_load_b128 v[2:5], v1 offset:640
	scratch_load_b128 v[10:13], off, off offset:224
	v_add_f64_e32 v[128:129], v[128:129], v[112:113]
	v_add_f64_e32 v[130:131], v[130:131], v[114:115]
	ds_load_b128 v[112:115], v1 offset:656
	v_fma_f64 v[126:127], v[126:127], v[14:15], v[132:133]
	v_fma_f64 v[124:125], v[124:125], v[14:15], -v[16:17]
	scratch_load_b128 v[14:17], off, off offset:240
	s_wait_loadcnt_dscnt 0xa01
	v_mul_f64_e32 v[138:139], v[2:3], v[20:21]
	v_mul_f64_e32 v[20:21], v[4:5], v[20:21]
	s_wait_loadcnt_dscnt 0x900
	v_mul_f64_e32 v[132:133], v[112:113], v[24:25]
	v_mul_f64_e32 v[24:25], v[114:115], v[24:25]
	v_add_f64_e32 v[128:129], v[128:129], v[136:137]
	v_add_f64_e32 v[130:131], v[130:131], v[134:135]
	v_fma_f64 v[134:135], v[4:5], v[18:19], v[138:139]
	v_fma_f64 v[136:137], v[2:3], v[18:19], -v[20:21]
	ds_load_b128 v[2:5], v1 offset:672
	scratch_load_b128 v[18:21], off, off offset:256
	v_fma_f64 v[114:115], v[114:115], v[22:23], v[132:133]
	v_fma_f64 v[112:113], v[112:113], v[22:23], -v[24:25]
	scratch_load_b128 v[22:25], off, off offset:272
	v_add_f64_e32 v[128:129], v[128:129], v[124:125]
	v_add_f64_e32 v[130:131], v[130:131], v[126:127]
	ds_load_b128 v[124:127], v1 offset:688
	s_wait_loadcnt_dscnt 0xa01
	v_mul_f64_e32 v[138:139], v[2:3], v[28:29]
	v_mul_f64_e32 v[28:29], v[4:5], v[28:29]
	s_wait_loadcnt_dscnt 0x900
	v_mul_f64_e32 v[132:133], v[124:125], v[32:33]
	v_mul_f64_e32 v[32:33], v[126:127], v[32:33]
	v_add_f64_e32 v[128:129], v[128:129], v[136:137]
	v_add_f64_e32 v[130:131], v[130:131], v[134:135]
	v_fma_f64 v[134:135], v[4:5], v[26:27], v[138:139]
	v_fma_f64 v[136:137], v[2:3], v[26:27], -v[28:29]
	ds_load_b128 v[2:5], v1 offset:704
	scratch_load_b128 v[26:29], off, off offset:288
	v_fma_f64 v[126:127], v[126:127], v[30:31], v[132:133]
	v_fma_f64 v[124:125], v[124:125], v[30:31], -v[32:33]
	scratch_load_b128 v[30:33], off, off offset:304
	v_add_f64_e32 v[128:129], v[128:129], v[112:113]
	v_add_f64_e32 v[130:131], v[130:131], v[114:115]
	ds_load_b128 v[112:115], v1 offset:720
	s_wait_loadcnt_dscnt 0xa01
	v_mul_f64_e32 v[138:139], v[2:3], v[106:107]
	v_mul_f64_e32 v[106:107], v[4:5], v[106:107]
	s_wait_loadcnt_dscnt 0x800
	v_mul_f64_e32 v[132:133], v[112:113], v[122:123]
	v_add_f64_e32 v[128:129], v[128:129], v[136:137]
	v_add_f64_e32 v[130:131], v[130:131], v[134:135]
	v_mul_f64_e32 v[134:135], v[114:115], v[122:123]
	v_fma_f64 v[136:137], v[4:5], v[104:105], v[138:139]
	v_fma_f64 v[138:139], v[2:3], v[104:105], -v[106:107]
	ds_load_b128 v[2:5], v1 offset:736
	scratch_load_b128 v[104:107], off, off offset:320
	v_fma_f64 v[114:115], v[114:115], v[120:121], v[132:133]
	v_add_f64_e32 v[128:129], v[128:129], v[124:125]
	v_add_f64_e32 v[126:127], v[130:131], v[126:127]
	ds_load_b128 v[122:125], v1 offset:752
	v_fma_f64 v[120:121], v[112:113], v[120:121], -v[134:135]
	s_wait_loadcnt_dscnt 0x801
	v_mul_f64_e32 v[130:131], v[2:3], v[110:111]
	v_mul_f64_e32 v[140:141], v[4:5], v[110:111]
	scratch_load_b128 v[110:113], off, off offset:336
	s_wait_loadcnt_dscnt 0x800
	v_mul_f64_e32 v[134:135], v[122:123], v[8:9]
	v_mul_f64_e32 v[8:9], v[124:125], v[8:9]
	v_add_f64_e32 v[128:129], v[128:129], v[138:139]
	v_add_f64_e32 v[126:127], v[126:127], v[136:137]
	v_fma_f64 v[136:137], v[4:5], v[108:109], v[130:131]
	v_fma_f64 v[108:109], v[2:3], v[108:109], -v[140:141]
	ds_load_b128 v[2:5], v1 offset:768
	ds_load_b128 v[130:133], v1 offset:784
	v_fma_f64 v[124:125], v[124:125], v[6:7], v[134:135]
	v_fma_f64 v[122:123], v[122:123], v[6:7], -v[8:9]
	scratch_load_b128 v[6:9], off, off offset:368
	v_add_f64_e32 v[120:121], v[128:129], v[120:121]
	v_add_f64_e32 v[114:115], v[126:127], v[114:115]
	scratch_load_b128 v[126:129], off, off offset:352
	s_wait_loadcnt_dscnt 0x901
	v_mul_f64_e32 v[138:139], v[2:3], v[12:13]
	v_mul_f64_e32 v[12:13], v[4:5], v[12:13]
	s_wait_loadcnt_dscnt 0x800
	v_mul_f64_e32 v[134:135], v[130:131], v[16:17]
	v_mul_f64_e32 v[16:17], v[132:133], v[16:17]
	v_add_f64_e32 v[108:109], v[120:121], v[108:109]
	v_add_f64_e32 v[114:115], v[114:115], v[136:137]
	v_fma_f64 v[136:137], v[4:5], v[10:11], v[138:139]
	v_fma_f64 v[138:139], v[2:3], v[10:11], -v[12:13]
	ds_load_b128 v[2:5], v1 offset:800
	scratch_load_b128 v[10:13], off, off offset:384
	v_fma_f64 v[132:133], v[132:133], v[14:15], v[134:135]
	v_fma_f64 v[130:131], v[130:131], v[14:15], -v[16:17]
	scratch_load_b128 v[14:17], off, off offset:400
	v_add_f64_e32 v[108:109], v[108:109], v[122:123]
	v_add_f64_e32 v[114:115], v[114:115], v[124:125]
	ds_load_b128 v[120:123], v1 offset:816
	s_wait_loadcnt_dscnt 0x901
	v_mul_f64_e32 v[124:125], v[2:3], v[20:21]
	v_mul_f64_e32 v[20:21], v[4:5], v[20:21]
	s_wait_loadcnt_dscnt 0x800
	v_mul_f64_e32 v[134:135], v[120:121], v[24:25]
	v_mul_f64_e32 v[24:25], v[122:123], v[24:25]
	v_add_f64_e32 v[108:109], v[108:109], v[138:139]
	v_add_f64_e32 v[114:115], v[114:115], v[136:137]
	v_fma_f64 v[124:125], v[4:5], v[18:19], v[124:125]
	v_fma_f64 v[136:137], v[2:3], v[18:19], -v[20:21]
	ds_load_b128 v[2:5], v1 offset:832
	scratch_load_b128 v[18:21], off, off offset:416
	v_fma_f64 v[122:123], v[122:123], v[22:23], v[134:135]
	v_fma_f64 v[120:121], v[120:121], v[22:23], -v[24:25]
	scratch_load_b128 v[22:25], off, off offset:432
	v_add_f64_e32 v[108:109], v[108:109], v[130:131]
	v_add_f64_e32 v[114:115], v[114:115], v[132:133]
	ds_load_b128 v[130:133], v1 offset:848
	s_wait_loadcnt_dscnt 0x901
	v_mul_f64_e32 v[138:139], v[2:3], v[28:29]
	v_mul_f64_e32 v[28:29], v[4:5], v[28:29]
	v_add_f64_e32 v[108:109], v[108:109], v[136:137]
	v_add_f64_e32 v[114:115], v[114:115], v[124:125]
	s_wait_loadcnt_dscnt 0x800
	v_mul_f64_e32 v[124:125], v[130:131], v[32:33]
	v_mul_f64_e32 v[32:33], v[132:133], v[32:33]
	v_fma_f64 v[134:135], v[4:5], v[26:27], v[138:139]
	v_fma_f64 v[136:137], v[2:3], v[26:27], -v[28:29]
	ds_load_b128 v[2:5], v1 offset:864
	scratch_load_b128 v[26:29], off, off offset:448
	v_add_f64_e32 v[108:109], v[108:109], v[120:121]
	v_add_f64_e32 v[114:115], v[114:115], v[122:123]
	ds_load_b128 v[120:123], v1 offset:880
	s_wait_loadcnt_dscnt 0x801
	v_mul_f64_e32 v[138:139], v[2:3], v[106:107]
	v_mul_f64_e32 v[106:107], v[4:5], v[106:107]
	v_fma_f64 v[124:125], v[132:133], v[30:31], v[124:125]
	v_fma_f64 v[130:131], v[130:131], v[30:31], -v[32:33]
	scratch_load_b128 v[30:33], off, off offset:464
	s_wait_loadcnt_dscnt 0x800
	v_mul_f64_e32 v[132:133], v[120:121], v[112:113]
	v_add_f64_e32 v[108:109], v[108:109], v[136:137]
	v_add_f64_e32 v[114:115], v[114:115], v[134:135]
	v_mul_f64_e32 v[134:135], v[122:123], v[112:113]
	v_fma_f64 v[136:137], v[4:5], v[104:105], v[138:139]
	v_fma_f64 v[138:139], v[2:3], v[104:105], -v[106:107]
	ds_load_b128 v[2:5], v1 offset:896
	scratch_load_b128 v[104:107], off, off offset:480
	v_fma_f64 v[122:123], v[122:123], v[110:111], v[132:133]
	v_add_f64_e32 v[108:109], v[108:109], v[130:131]
	v_add_f64_e32 v[124:125], v[114:115], v[124:125]
	ds_load_b128 v[112:115], v1 offset:912
	v_fma_f64 v[120:121], v[120:121], v[110:111], -v[134:135]
	s_wait_loadcnt_dscnt 0x701
	v_mul_f64_e32 v[130:131], v[2:3], v[128:129]
	v_mul_f64_e32 v[128:129], v[4:5], v[128:129]
	s_wait_dscnt 0x0
	v_mul_f64_e32 v[134:135], v[112:113], v[8:9]
	v_mul_f64_e32 v[8:9], v[114:115], v[8:9]
	v_add_f64_e32 v[132:133], v[108:109], v[138:139]
	v_add_f64_e32 v[124:125], v[124:125], v[136:137]
	scratch_load_b128 v[108:111], off, off offset:496
	v_fma_f64 v[130:131], v[4:5], v[126:127], v[130:131]
	v_fma_f64 v[128:129], v[2:3], v[126:127], -v[128:129]
	ds_load_b128 v[2:5], v1 offset:928
	v_fma_f64 v[114:115], v[114:115], v[6:7], v[134:135]
	v_fma_f64 v[112:113], v[112:113], v[6:7], -v[8:9]
	scratch_load_b128 v[6:9], off, off offset:528
	v_add_f64_e32 v[132:133], v[132:133], v[120:121]
	v_add_f64_e32 v[136:137], v[124:125], v[122:123]
	scratch_load_b128 v[120:123], off, off offset:512
	ds_load_b128 v[124:127], v1 offset:944
	s_wait_loadcnt_dscnt 0x901
	v_mul_f64_e32 v[138:139], v[2:3], v[12:13]
	v_mul_f64_e32 v[12:13], v[4:5], v[12:13]
	v_add_f64_e32 v[128:129], v[132:133], v[128:129]
	v_add_f64_e32 v[130:131], v[136:137], v[130:131]
	s_wait_loadcnt_dscnt 0x800
	v_mul_f64_e32 v[132:133], v[124:125], v[16:17]
	v_mul_f64_e32 v[16:17], v[126:127], v[16:17]
	v_fma_f64 v[134:135], v[4:5], v[10:11], v[138:139]
	v_fma_f64 v[136:137], v[2:3], v[10:11], -v[12:13]
	ds_load_b128 v[2:5], v1 offset:960
	scratch_load_b128 v[10:13], off, off offset:544
	v_add_f64_e32 v[128:129], v[128:129], v[112:113]
	v_add_f64_e32 v[130:131], v[130:131], v[114:115]
	ds_load_b128 v[112:115], v1 offset:976
	s_wait_loadcnt_dscnt 0x801
	v_mul_f64_e32 v[138:139], v[2:3], v[20:21]
	v_mul_f64_e32 v[20:21], v[4:5], v[20:21]
	v_fma_f64 v[126:127], v[126:127], v[14:15], v[132:133]
	v_fma_f64 v[124:125], v[124:125], v[14:15], -v[16:17]
	scratch_load_b128 v[14:17], off, off offset:560
	s_wait_loadcnt_dscnt 0x800
	v_mul_f64_e32 v[132:133], v[112:113], v[24:25]
	v_mul_f64_e32 v[24:25], v[114:115], v[24:25]
	v_add_f64_e32 v[128:129], v[128:129], v[136:137]
	v_add_f64_e32 v[130:131], v[130:131], v[134:135]
	v_fma_f64 v[134:135], v[4:5], v[18:19], v[138:139]
	v_fma_f64 v[136:137], v[2:3], v[18:19], -v[20:21]
	ds_load_b128 v[2:5], v1 offset:992
	ds_load_b128 v[18:21], v1 offset:1008
	v_fma_f64 v[114:115], v[114:115], v[22:23], v[132:133]
	v_fma_f64 v[22:23], v[112:113], v[22:23], -v[24:25]
	v_add_f64_e32 v[124:125], v[128:129], v[124:125]
	v_add_f64_e32 v[126:127], v[130:131], v[126:127]
	s_wait_loadcnt_dscnt 0x701
	v_mul_f64_e32 v[128:129], v[2:3], v[28:29]
	v_mul_f64_e32 v[28:29], v[4:5], v[28:29]
	s_delay_alu instid0(VALU_DEP_4) | instskip(NEXT) | instid1(VALU_DEP_4)
	v_add_f64_e32 v[24:25], v[124:125], v[136:137]
	v_add_f64_e32 v[112:113], v[126:127], v[134:135]
	s_wait_loadcnt_dscnt 0x600
	v_mul_f64_e32 v[124:125], v[18:19], v[32:33]
	v_mul_f64_e32 v[32:33], v[20:21], v[32:33]
	v_fma_f64 v[126:127], v[4:5], v[26:27], v[128:129]
	v_fma_f64 v[26:27], v[2:3], v[26:27], -v[28:29]
	v_add_f64_e32 v[28:29], v[24:25], v[22:23]
	v_add_f64_e32 v[112:113], v[112:113], v[114:115]
	ds_load_b128 v[2:5], v1 offset:1024
	ds_load_b128 v[22:25], v1 offset:1040
	v_fma_f64 v[20:21], v[20:21], v[30:31], v[124:125]
	v_fma_f64 v[18:19], v[18:19], v[30:31], -v[32:33]
	s_wait_loadcnt_dscnt 0x501
	v_mul_f64_e32 v[114:115], v[2:3], v[106:107]
	v_mul_f64_e32 v[106:107], v[4:5], v[106:107]
	v_add_f64_e32 v[26:27], v[28:29], v[26:27]
	v_add_f64_e32 v[28:29], v[112:113], v[126:127]
	s_wait_loadcnt_dscnt 0x400
	v_mul_f64_e32 v[30:31], v[22:23], v[110:111]
	v_mul_f64_e32 v[32:33], v[24:25], v[110:111]
	v_fma_f64 v[110:111], v[4:5], v[104:105], v[114:115]
	v_fma_f64 v[104:105], v[2:3], v[104:105], -v[106:107]
	v_add_f64_e32 v[26:27], v[26:27], v[18:19]
	v_add_f64_e32 v[28:29], v[28:29], v[20:21]
	ds_load_b128 v[2:5], v1 offset:1056
	ds_load_b128 v[18:21], v1 offset:1072
	v_fma_f64 v[24:25], v[24:25], v[108:109], v[30:31]
	v_fma_f64 v[22:23], v[22:23], v[108:109], -v[32:33]
	s_wait_loadcnt_dscnt 0x201
	v_mul_f64_e32 v[106:107], v[2:3], v[122:123]
	v_mul_f64_e32 v[112:113], v[4:5], v[122:123]
	s_wait_dscnt 0x0
	v_mul_f64_e32 v[30:31], v[18:19], v[8:9]
	v_mul_f64_e32 v[8:9], v[20:21], v[8:9]
	v_add_f64_e32 v[26:27], v[26:27], v[104:105]
	v_add_f64_e32 v[28:29], v[28:29], v[110:111]
	v_fma_f64 v[32:33], v[4:5], v[120:121], v[106:107]
	v_fma_f64 v[104:105], v[2:3], v[120:121], -v[112:113]
	v_fma_f64 v[20:21], v[20:21], v[6:7], v[30:31]
	v_fma_f64 v[6:7], v[18:19], v[6:7], -v[8:9]
	v_add_f64_e32 v[26:27], v[26:27], v[22:23]
	v_add_f64_e32 v[28:29], v[28:29], v[24:25]
	ds_load_b128 v[2:5], v1 offset:1088
	ds_load_b128 v[22:25], v1 offset:1104
	s_wait_loadcnt_dscnt 0x101
	v_mul_f64_e32 v[0:1], v[2:3], v[12:13]
	v_mul_f64_e32 v[12:13], v[4:5], v[12:13]
	v_add_f64_e32 v[8:9], v[26:27], v[104:105]
	v_add_f64_e32 v[18:19], v[28:29], v[32:33]
	s_wait_loadcnt_dscnt 0x0
	v_mul_f64_e32 v[26:27], v[22:23], v[16:17]
	v_mul_f64_e32 v[16:17], v[24:25], v[16:17]
	v_fma_f64 v[0:1], v[4:5], v[10:11], v[0:1]
	v_fma_f64 v[2:3], v[2:3], v[10:11], -v[12:13]
	v_add_f64_e32 v[4:5], v[8:9], v[6:7]
	v_add_f64_e32 v[6:7], v[18:19], v[20:21]
	v_fma_f64 v[8:9], v[24:25], v[14:15], v[26:27]
	v_fma_f64 v[10:11], v[22:23], v[14:15], -v[16:17]
	s_delay_alu instid0(VALU_DEP_4) | instskip(NEXT) | instid1(VALU_DEP_4)
	v_add_f64_e32 v[2:3], v[4:5], v[2:3]
	v_add_f64_e32 v[0:1], v[6:7], v[0:1]
	s_delay_alu instid0(VALU_DEP_2) | instskip(NEXT) | instid1(VALU_DEP_2)
	v_add_f64_e32 v[2:3], v[2:3], v[10:11]
	v_add_f64_e32 v[4:5], v[0:1], v[8:9]
	s_delay_alu instid0(VALU_DEP_2) | instskip(NEXT) | instid1(VALU_DEP_2)
	v_add_f64_e64 v[0:1], v[116:117], -v[2:3]
	v_add_f64_e64 v[2:3], v[118:119], -v[4:5]
	scratch_store_b128 off, v[0:3], off offset:16
	s_wait_alu 0xfffe
	s_cbranch_vccz .LBB98_292
; %bb.224:
	v_mov_b32_e32 v0, 0
	global_load_b32 v1, v0, s[2:3] offset:132
	s_wait_loadcnt 0x0
	v_cmp_ne_u32_e32 vcc_lo, 34, v1
	s_cbranch_vccz .LBB98_226
; %bb.225:
	v_lshlrev_b32_e32 v1, 4, v1
	s_delay_alu instid0(VALU_DEP_1)
	v_add_nc_u32_e32 v9, 16, v1
	s_clause 0x1
	scratch_load_b128 v[1:4], v9, off offset:-16
	scratch_load_b128 v[5:8], off, s41
	s_wait_loadcnt 0x1
	scratch_store_b128 off, v[1:4], s41
	s_wait_loadcnt 0x0
	scratch_store_b128 v9, v[5:8], off offset:-16
.LBB98_226:
	global_load_b32 v0, v0, s[2:3] offset:128
	s_wait_loadcnt 0x0
	v_cmp_eq_u32_e32 vcc_lo, 33, v0
	s_cbranch_vccnz .LBB98_228
; %bb.227:
	v_lshlrev_b32_e32 v0, 4, v0
	s_delay_alu instid0(VALU_DEP_1)
	v_add_nc_u32_e32 v8, 16, v0
	s_clause 0x1
	scratch_load_b128 v[0:3], v8, off offset:-16
	scratch_load_b128 v[4:7], off, s23
	s_wait_loadcnt 0x1
	scratch_store_b128 off, v[0:3], s23
	s_wait_loadcnt 0x0
	scratch_store_b128 v8, v[4:7], off offset:-16
.LBB98_228:
	v_mov_b32_e32 v0, 0
	global_load_b32 v1, v0, s[2:3] offset:124
	s_wait_loadcnt 0x0
	v_cmp_eq_u32_e32 vcc_lo, 32, v1
	s_cbranch_vccnz .LBB98_230
; %bb.229:
	v_lshlrev_b32_e32 v1, 4, v1
	s_delay_alu instid0(VALU_DEP_1)
	v_add_nc_u32_e32 v9, 16, v1
	s_clause 0x1
	scratch_load_b128 v[1:4], v9, off offset:-16
	scratch_load_b128 v[5:8], off, s40
	s_wait_loadcnt 0x1
	scratch_store_b128 off, v[1:4], s40
	s_wait_loadcnt 0x0
	scratch_store_b128 v9, v[5:8], off offset:-16
.LBB98_230:
	global_load_b32 v0, v0, s[2:3] offset:120
	s_wait_loadcnt 0x0
	v_cmp_eq_u32_e32 vcc_lo, 31, v0
	s_cbranch_vccnz .LBB98_232
; %bb.231:
	v_lshlrev_b32_e32 v0, 4, v0
	s_delay_alu instid0(VALU_DEP_1)
	v_add_nc_u32_e32 v8, 16, v0
	s_clause 0x1
	scratch_load_b128 v[0:3], v8, off offset:-16
	scratch_load_b128 v[4:7], off, s22
	s_wait_loadcnt 0x1
	scratch_store_b128 off, v[0:3], s22
	s_wait_loadcnt 0x0
	scratch_store_b128 v8, v[4:7], off offset:-16
.LBB98_232:
	v_mov_b32_e32 v0, 0
	global_load_b32 v1, v0, s[2:3] offset:116
	s_wait_loadcnt 0x0
	v_cmp_eq_u32_e32 vcc_lo, 30, v1
	s_cbranch_vccnz .LBB98_234
; %bb.233:
	v_lshlrev_b32_e32 v1, 4, v1
	s_delay_alu instid0(VALU_DEP_1)
	v_add_nc_u32_e32 v9, 16, v1
	s_clause 0x1
	scratch_load_b128 v[1:4], v9, off offset:-16
	scratch_load_b128 v[5:8], off, s39
	s_wait_loadcnt 0x1
	scratch_store_b128 off, v[1:4], s39
	s_wait_loadcnt 0x0
	scratch_store_b128 v9, v[5:8], off offset:-16
.LBB98_234:
	;; [unrolled: 33-line block ×16, first 2 shown]
	global_load_b32 v0, v0, s[2:3]
	s_wait_loadcnt 0x0
	v_cmp_eq_u32_e32 vcc_lo, 1, v0
	s_cbranch_vccnz .LBB98_292
; %bb.291:
	v_lshlrev_b32_e32 v0, 4, v0
	s_delay_alu instid0(VALU_DEP_1)
	v_add_nc_u32_e32 v8, 16, v0
	scratch_load_b128 v[0:3], v8, off offset:-16
	scratch_load_b128 v[4:7], off, off offset:16
	s_wait_loadcnt 0x1
	scratch_store_b128 off, v[0:3], off offset:16
	s_wait_loadcnt 0x0
	scratch_store_b128 v8, v[4:7], off offset:-16
.LBB98_292:
	scratch_load_b128 v[0:3], off, off offset:16
	s_wait_loadcnt 0x0
	flat_store_b128 v[34:35], v[0:3]
	scratch_load_b128 v[0:3], off, s43
	s_wait_loadcnt 0x0
	flat_store_b128 v[36:37], v[0:3]
	scratch_load_b128 v[0:3], off, s42
	;; [unrolled: 3-line block ×34, first 2 shown]
	s_wait_loadcnt 0x0
	flat_store_b128 v[102:103], v[0:3]
	s_nop 0
	s_sendmsg sendmsg(MSG_DEALLOC_VGPRS)
	s_endpgm
	.section	.rodata,"a",@progbits
	.p2align	6, 0x0
	.amdhsa_kernel _ZN9rocsolver6v33100L18getri_kernel_smallILi35E19rocblas_complex_numIdEPKPS3_EEvT1_iilPiilS8_bb
		.amdhsa_group_segment_fixed_size 1128
		.amdhsa_private_segment_fixed_size 592
		.amdhsa_kernarg_size 60
		.amdhsa_user_sgpr_count 2
		.amdhsa_user_sgpr_dispatch_ptr 0
		.amdhsa_user_sgpr_queue_ptr 0
		.amdhsa_user_sgpr_kernarg_segment_ptr 1
		.amdhsa_user_sgpr_dispatch_id 0
		.amdhsa_user_sgpr_private_segment_size 0
		.amdhsa_wavefront_size32 1
		.amdhsa_uses_dynamic_stack 0
		.amdhsa_enable_private_segment 1
		.amdhsa_system_sgpr_workgroup_id_x 1
		.amdhsa_system_sgpr_workgroup_id_y 0
		.amdhsa_system_sgpr_workgroup_id_z 0
		.amdhsa_system_sgpr_workgroup_info 0
		.amdhsa_system_vgpr_workitem_id 0
		.amdhsa_next_free_vgpr 144
		.amdhsa_next_free_sgpr 47
		.amdhsa_reserve_vcc 1
		.amdhsa_float_round_mode_32 0
		.amdhsa_float_round_mode_16_64 0
		.amdhsa_float_denorm_mode_32 3
		.amdhsa_float_denorm_mode_16_64 3
		.amdhsa_fp16_overflow 0
		.amdhsa_workgroup_processor_mode 1
		.amdhsa_memory_ordered 1
		.amdhsa_forward_progress 1
		.amdhsa_inst_pref_size 255
		.amdhsa_round_robin_scheduling 0
		.amdhsa_exception_fp_ieee_invalid_op 0
		.amdhsa_exception_fp_denorm_src 0
		.amdhsa_exception_fp_ieee_div_zero 0
		.amdhsa_exception_fp_ieee_overflow 0
		.amdhsa_exception_fp_ieee_underflow 0
		.amdhsa_exception_fp_ieee_inexact 0
		.amdhsa_exception_int_div_zero 0
	.end_amdhsa_kernel
	.section	.text._ZN9rocsolver6v33100L18getri_kernel_smallILi35E19rocblas_complex_numIdEPKPS3_EEvT1_iilPiilS8_bb,"axG",@progbits,_ZN9rocsolver6v33100L18getri_kernel_smallILi35E19rocblas_complex_numIdEPKPS3_EEvT1_iilPiilS8_bb,comdat
.Lfunc_end98:
	.size	_ZN9rocsolver6v33100L18getri_kernel_smallILi35E19rocblas_complex_numIdEPKPS3_EEvT1_iilPiilS8_bb, .Lfunc_end98-_ZN9rocsolver6v33100L18getri_kernel_smallILi35E19rocblas_complex_numIdEPKPS3_EEvT1_iilPiilS8_bb
                                        ; -- End function
	.set _ZN9rocsolver6v33100L18getri_kernel_smallILi35E19rocblas_complex_numIdEPKPS3_EEvT1_iilPiilS8_bb.num_vgpr, 144
	.set _ZN9rocsolver6v33100L18getri_kernel_smallILi35E19rocblas_complex_numIdEPKPS3_EEvT1_iilPiilS8_bb.num_agpr, 0
	.set _ZN9rocsolver6v33100L18getri_kernel_smallILi35E19rocblas_complex_numIdEPKPS3_EEvT1_iilPiilS8_bb.numbered_sgpr, 47
	.set _ZN9rocsolver6v33100L18getri_kernel_smallILi35E19rocblas_complex_numIdEPKPS3_EEvT1_iilPiilS8_bb.num_named_barrier, 0
	.set _ZN9rocsolver6v33100L18getri_kernel_smallILi35E19rocblas_complex_numIdEPKPS3_EEvT1_iilPiilS8_bb.private_seg_size, 592
	.set _ZN9rocsolver6v33100L18getri_kernel_smallILi35E19rocblas_complex_numIdEPKPS3_EEvT1_iilPiilS8_bb.uses_vcc, 1
	.set _ZN9rocsolver6v33100L18getri_kernel_smallILi35E19rocblas_complex_numIdEPKPS3_EEvT1_iilPiilS8_bb.uses_flat_scratch, 1
	.set _ZN9rocsolver6v33100L18getri_kernel_smallILi35E19rocblas_complex_numIdEPKPS3_EEvT1_iilPiilS8_bb.has_dyn_sized_stack, 0
	.set _ZN9rocsolver6v33100L18getri_kernel_smallILi35E19rocblas_complex_numIdEPKPS3_EEvT1_iilPiilS8_bb.has_recursion, 0
	.set _ZN9rocsolver6v33100L18getri_kernel_smallILi35E19rocblas_complex_numIdEPKPS3_EEvT1_iilPiilS8_bb.has_indirect_call, 0
	.section	.AMDGPU.csdata,"",@progbits
; Kernel info:
; codeLenInByte = 57144
; TotalNumSgprs: 49
; NumVgprs: 144
; ScratchSize: 592
; MemoryBound: 0
; FloatMode: 240
; IeeeMode: 1
; LDSByteSize: 1128 bytes/workgroup (compile time only)
; SGPRBlocks: 0
; VGPRBlocks: 17
; NumSGPRsForWavesPerEU: 49
; NumVGPRsForWavesPerEU: 144
; Occupancy: 10
; WaveLimiterHint : 1
; COMPUTE_PGM_RSRC2:SCRATCH_EN: 1
; COMPUTE_PGM_RSRC2:USER_SGPR: 2
; COMPUTE_PGM_RSRC2:TRAP_HANDLER: 0
; COMPUTE_PGM_RSRC2:TGID_X_EN: 1
; COMPUTE_PGM_RSRC2:TGID_Y_EN: 0
; COMPUTE_PGM_RSRC2:TGID_Z_EN: 0
; COMPUTE_PGM_RSRC2:TIDIG_COMP_CNT: 0
	.section	.text._ZN9rocsolver6v33100L18getri_kernel_smallILi36E19rocblas_complex_numIdEPKPS3_EEvT1_iilPiilS8_bb,"axG",@progbits,_ZN9rocsolver6v33100L18getri_kernel_smallILi36E19rocblas_complex_numIdEPKPS3_EEvT1_iilPiilS8_bb,comdat
	.globl	_ZN9rocsolver6v33100L18getri_kernel_smallILi36E19rocblas_complex_numIdEPKPS3_EEvT1_iilPiilS8_bb ; -- Begin function _ZN9rocsolver6v33100L18getri_kernel_smallILi36E19rocblas_complex_numIdEPKPS3_EEvT1_iilPiilS8_bb
	.p2align	8
	.type	_ZN9rocsolver6v33100L18getri_kernel_smallILi36E19rocblas_complex_numIdEPKPS3_EEvT1_iilPiilS8_bb,@function
_ZN9rocsolver6v33100L18getri_kernel_smallILi36E19rocblas_complex_numIdEPKPS3_EEvT1_iilPiilS8_bb: ; @_ZN9rocsolver6v33100L18getri_kernel_smallILi36E19rocblas_complex_numIdEPKPS3_EEvT1_iilPiilS8_bb
; %bb.0:
	s_mov_b32 s2, exec_lo
	v_cmpx_gt_u32_e32 36, v0
	s_cbranch_execz .LBB99_158
; %bb.1:
	s_clause 0x1
	s_load_b32 s13, s[0:1], 0x38
	s_load_b64 s[2:3], s[0:1], 0x0
	s_mov_b32 s8, ttmp9
	s_load_b128 s[4:7], s[0:1], 0x28
	s_wait_kmcnt 0x0
	s_bitcmp1_b32 s13, 8
	s_cselect_b32 s12, -1, 0
	s_ashr_i32 s9, ttmp9, 31
	s_delay_alu instid0(SALU_CYCLE_1) | instskip(NEXT) | instid1(SALU_CYCLE_1)
	s_lshl_b64 s[10:11], s[8:9], 3
	s_add_nc_u64 s[2:3], s[2:3], s[10:11]
	s_load_b64 s[10:11], s[2:3], 0x0
	s_bfe_u32 s2, s13, 0x10008
	s_delay_alu instid0(SALU_CYCLE_1)
	s_cmp_eq_u32 s2, 0
                                        ; implicit-def: $sgpr2_sgpr3
	s_cbranch_scc1 .LBB99_3
; %bb.2:
	s_load_b96 s[16:18], s[0:1], 0x18
	s_mul_u64 s[2:3], s[4:5], s[8:9]
	s_delay_alu instid0(SALU_CYCLE_1)
	s_lshl_b64 s[2:3], s[2:3], 2
	s_wait_kmcnt 0x0
	s_ashr_i32 s5, s18, 31
	s_mov_b32 s4, s18
	s_add_nc_u64 s[2:3], s[16:17], s[2:3]
	s_lshl_b64 s[4:5], s[4:5], 2
	s_delay_alu instid0(SALU_CYCLE_1)
	s_add_nc_u64 s[2:3], s[2:3], s[4:5]
.LBB99_3:
	s_clause 0x1
	s_load_b64 s[4:5], s[0:1], 0x8
	s_load_b32 s45, s[0:1], 0x38
	v_lshlrev_b32_e32 v13, 4, v0
	s_mov_b32 s44, 32
	s_mov_b32 s43, 48
	;; [unrolled: 1-line block ×3, first 2 shown]
	s_movk_i32 s26, 0x50
	s_wait_kmcnt 0x0
	s_ashr_i32 s1, s4, 31
	s_mov_b32 s0, s4
	v_add3_u32 v5, s5, s5, v0
	s_lshl_b64 s[0:1], s[0:1], 4
	s_delay_alu instid0(SALU_CYCLE_1)
	s_add_nc_u64 s[0:1], s[10:11], s[0:1]
	s_ashr_i32 s11, s5, 31
	v_add_co_u32 v36, s4, s0, v13
	s_wait_alu 0xf1ff
	v_add_co_ci_u32_e64 v37, null, s1, 0, s4
	s_mov_b32 s10, s5
	v_ashrrev_i32_e32 v6, 31, v5
	s_lshl_b64 s[10:11], s[10:11], 4
	flat_load_b128 v[1:4], v[36:37]
	v_add_co_u32 v38, vcc_lo, v36, s10
	s_delay_alu instid0(VALU_DEP_1) | instskip(SKIP_2) | instid1(VALU_DEP_2)
	v_add_co_ci_u32_e64 v39, null, s11, v37, vcc_lo
	v_lshlrev_b64_e32 v[6:7], 4, v[5:6]
	v_add_nc_u32_e32 v5, s5, v5
	v_add_co_u32 v40, vcc_lo, s0, v6
	s_wait_alu 0xfffd
	s_delay_alu instid0(VALU_DEP_3) | instskip(NEXT) | instid1(VALU_DEP_3)
	v_add_co_ci_u32_e64 v41, null, s1, v7, vcc_lo
	v_ashrrev_i32_e32 v6, 31, v5
	s_delay_alu instid0(VALU_DEP_1) | instskip(SKIP_1) | instid1(VALU_DEP_2)
	v_lshlrev_b64_e32 v[6:7], 4, v[5:6]
	v_add_nc_u32_e32 v5, s5, v5
	v_add_co_u32 v42, vcc_lo, s0, v6
	s_wait_alu 0xfffd
	s_delay_alu instid0(VALU_DEP_3) | instskip(NEXT) | instid1(VALU_DEP_3)
	v_add_co_ci_u32_e64 v43, null, s1, v7, vcc_lo
	v_ashrrev_i32_e32 v6, 31, v5
	s_delay_alu instid0(VALU_DEP_1) | instskip(SKIP_1) | instid1(VALU_DEP_2)
	;; [unrolled: 8-line block ×20, first 2 shown]
	v_lshlrev_b64_e32 v[6:7], 4, v[5:6]
	v_add_nc_u32_e32 v5, s5, v5
	v_add_co_u32 v80, vcc_lo, s0, v6
	s_wait_alu 0xfffd
	s_delay_alu instid0(VALU_DEP_3) | instskip(NEXT) | instid1(VALU_DEP_3)
	v_add_co_ci_u32_e64 v81, null, s1, v7, vcc_lo
	v_ashrrev_i32_e32 v6, 31, v5
	s_delay_alu instid0(VALU_DEP_1)
	v_lshlrev_b64_e32 v[6:7], 4, v[5:6]
	s_wait_loadcnt_dscnt 0x0
	scratch_store_b128 off, v[1:4], off offset:16
	flat_load_b128 v[1:4], v[38:39]
	v_add_nc_u32_e32 v5, s5, v5
	v_add_co_u32 v82, vcc_lo, s0, v6
	s_wait_alu 0xfffd
	v_add_co_ci_u32_e64 v83, null, s1, v7, vcc_lo
	s_delay_alu instid0(VALU_DEP_3) | instskip(NEXT) | instid1(VALU_DEP_1)
	v_ashrrev_i32_e32 v6, 31, v5
	v_lshlrev_b64_e32 v[6:7], 4, v[5:6]
	v_add_nc_u32_e32 v5, s5, v5
	s_delay_alu instid0(VALU_DEP_2) | instskip(SKIP_1) | instid1(VALU_DEP_3)
	v_add_co_u32 v84, vcc_lo, s0, v6
	s_wait_alu 0xfffd
	v_add_co_ci_u32_e64 v85, null, s1, v7, vcc_lo
	s_delay_alu instid0(VALU_DEP_3) | instskip(NEXT) | instid1(VALU_DEP_1)
	v_ashrrev_i32_e32 v6, 31, v5
	v_lshlrev_b64_e32 v[6:7], 4, v[5:6]
	v_add_nc_u32_e32 v5, s5, v5
	s_delay_alu instid0(VALU_DEP_2) | instskip(SKIP_1) | instid1(VALU_DEP_3)
	;; [unrolled: 8-line block ×11, first 2 shown]
	v_add_co_u32 v104, vcc_lo, s0, v6
	s_wait_alu 0xfffd
	v_add_co_ci_u32_e64 v105, null, s1, v7, vcc_lo
	s_delay_alu instid0(VALU_DEP_3) | instskip(NEXT) | instid1(VALU_DEP_1)
	v_ashrrev_i32_e32 v6, 31, v5
	v_lshlrev_b64_e32 v[5:6], 4, v[5:6]
	s_delay_alu instid0(VALU_DEP_1) | instskip(SKIP_1) | instid1(VALU_DEP_2)
	v_add_co_u32 v106, vcc_lo, s0, v5
	s_wait_alu 0xfffd
	v_add_co_ci_u32_e64 v107, null, s1, v6, vcc_lo
	s_movk_i32 s0, 0x50
	s_movk_i32 s1, 0x70
	s_wait_alu 0xfffe
	s_add_co_i32 s4, s0, 16
	s_movk_i32 s0, 0x60
	s_add_co_i32 s5, s1, 16
	s_wait_alu 0xfffe
	s_add_co_i32 s27, s0, 16
	s_movk_i32 s0, 0x80
	s_movk_i32 s1, 0x90
	s_wait_alu 0xfffe
	s_add_co_i32 s28, s0, 16
	s_add_co_i32 s10, s1, 16
	s_movk_i32 s0, 0xa0
	s_movk_i32 s1, 0xb0
	s_wait_alu 0xfffe
	s_add_co_i32 s29, s0, 16
	;; [unrolled: 5-line block ×14, first 2 shown]
	s_add_co_i32 s24, s1, 16
	s_bitcmp0_b32 s45, 0
	s_mov_b32 s1, -1
	s_wait_loadcnt_dscnt 0x0
	scratch_store_b128 off, v[1:4], off offset:32
	flat_load_b128 v[1:4], v[40:41]
	s_wait_loadcnt_dscnt 0x0
	scratch_store_b128 off, v[1:4], off offset:48
	flat_load_b128 v[1:4], v[42:43]
	s_wait_loadcnt_dscnt 0x0
	scratch_store_b128 off, v[1:4], off offset:64
	flat_load_b128 v[1:4], v[44:45]
	s_wait_loadcnt_dscnt 0x0
	scratch_store_b128 off, v[1:4], off offset:80
	flat_load_b128 v[1:4], v[46:47]
	s_wait_loadcnt_dscnt 0x0
	scratch_store_b128 off, v[1:4], off offset:96
	flat_load_b128 v[1:4], v[48:49]
	s_wait_loadcnt_dscnt 0x0
	scratch_store_b128 off, v[1:4], off offset:112
	flat_load_b128 v[1:4], v[50:51]
	s_wait_loadcnt_dscnt 0x0
	scratch_store_b128 off, v[1:4], off offset:128
	flat_load_b128 v[1:4], v[52:53]
	s_wait_loadcnt_dscnt 0x0
	scratch_store_b128 off, v[1:4], off offset:144
	flat_load_b128 v[1:4], v[54:55]
	s_wait_loadcnt_dscnt 0x0
	scratch_store_b128 off, v[1:4], off offset:160
	flat_load_b128 v[1:4], v[56:57]
	s_wait_loadcnt_dscnt 0x0
	scratch_store_b128 off, v[1:4], off offset:176
	flat_load_b128 v[1:4], v[58:59]
	s_wait_loadcnt_dscnt 0x0
	scratch_store_b128 off, v[1:4], off offset:192
	flat_load_b128 v[1:4], v[60:61]
	s_wait_loadcnt_dscnt 0x0
	scratch_store_b128 off, v[1:4], off offset:208
	flat_load_b128 v[1:4], v[62:63]
	s_wait_loadcnt_dscnt 0x0
	scratch_store_b128 off, v[1:4], off offset:224
	flat_load_b128 v[1:4], v[64:65]
	s_wait_loadcnt_dscnt 0x0
	scratch_store_b128 off, v[1:4], off offset:240
	flat_load_b128 v[1:4], v[66:67]
	s_wait_loadcnt_dscnt 0x0
	scratch_store_b128 off, v[1:4], off offset:256
	flat_load_b128 v[1:4], v[68:69]
	s_wait_loadcnt_dscnt 0x0
	scratch_store_b128 off, v[1:4], off offset:272
	flat_load_b128 v[1:4], v[70:71]
	s_wait_loadcnt_dscnt 0x0
	scratch_store_b128 off, v[1:4], off offset:288
	flat_load_b128 v[1:4], v[72:73]
	s_wait_loadcnt_dscnt 0x0
	scratch_store_b128 off, v[1:4], off offset:304
	flat_load_b128 v[1:4], v[74:75]
	s_wait_loadcnt_dscnt 0x0
	scratch_store_b128 off, v[1:4], off offset:320
	flat_load_b128 v[1:4], v[76:77]
	s_wait_loadcnt_dscnt 0x0
	scratch_store_b128 off, v[1:4], off offset:336
	flat_load_b128 v[1:4], v[78:79]
	s_wait_loadcnt_dscnt 0x0
	scratch_store_b128 off, v[1:4], off offset:352
	flat_load_b128 v[1:4], v[80:81]
	s_wait_loadcnt_dscnt 0x0
	scratch_store_b128 off, v[1:4], off offset:368
	flat_load_b128 v[1:4], v[82:83]
	s_wait_loadcnt_dscnt 0x0
	scratch_store_b128 off, v[1:4], off offset:384
	flat_load_b128 v[1:4], v[84:85]
	s_wait_loadcnt_dscnt 0x0
	scratch_store_b128 off, v[1:4], off offset:400
	flat_load_b128 v[1:4], v[86:87]
	s_wait_loadcnt_dscnt 0x0
	scratch_store_b128 off, v[1:4], off offset:416
	flat_load_b128 v[1:4], v[88:89]
	s_wait_loadcnt_dscnt 0x0
	scratch_store_b128 off, v[1:4], off offset:432
	flat_load_b128 v[1:4], v[90:91]
	s_wait_loadcnt_dscnt 0x0
	scratch_store_b128 off, v[1:4], off offset:448
	flat_load_b128 v[1:4], v[92:93]
	s_wait_loadcnt_dscnt 0x0
	scratch_store_b128 off, v[1:4], off offset:464
	flat_load_b128 v[1:4], v[94:95]
	s_wait_loadcnt_dscnt 0x0
	scratch_store_b128 off, v[1:4], off offset:480
	flat_load_b128 v[1:4], v[96:97]
	s_wait_loadcnt_dscnt 0x0
	scratch_store_b128 off, v[1:4], off offset:496
	flat_load_b128 v[1:4], v[98:99]
	s_wait_loadcnt_dscnt 0x0
	scratch_store_b128 off, v[1:4], off offset:512
	flat_load_b128 v[1:4], v[100:101]
	s_wait_loadcnt_dscnt 0x0
	scratch_store_b128 off, v[1:4], off offset:528
	flat_load_b128 v[1:4], v[102:103]
	s_wait_loadcnt_dscnt 0x0
	scratch_store_b128 off, v[1:4], off offset:544
	flat_load_b128 v[1:4], v[104:105]
	s_wait_loadcnt_dscnt 0x0
	scratch_store_b128 off, v[1:4], off offset:560
	flat_load_b128 v[1:4], v[106:107]
	s_wait_loadcnt_dscnt 0x0
	scratch_store_b128 off, v[1:4], off offset:576
	s_cbranch_scc1 .LBB99_156
; %bb.4:
	v_cmp_eq_u32_e64 s0, 0, v0
	s_and_saveexec_b32 s1, s0
; %bb.5:
	v_mov_b32_e32 v1, 0
	ds_store_b32 v1, v1 offset:1152
; %bb.6:
	s_wait_alu 0xfffe
	s_or_b32 exec_lo, exec_lo, s1
	s_wait_storecnt_dscnt 0x0
	s_barrier_signal -1
	s_barrier_wait -1
	global_inv scope:SCOPE_SE
	scratch_load_b128 v[1:4], v13, off offset:16
	s_wait_loadcnt 0x0
	v_cmp_eq_f64_e32 vcc_lo, 0, v[1:2]
	v_cmp_eq_f64_e64 s1, 0, v[3:4]
	s_and_b32 s1, vcc_lo, s1
	s_wait_alu 0xfffe
	s_and_saveexec_b32 s45, s1
	s_cbranch_execz .LBB99_10
; %bb.7:
	v_mov_b32_e32 v1, 0
	s_mov_b32 s46, 0
	ds_load_b32 v2, v1 offset:1152
	s_wait_dscnt 0x0
	v_readfirstlane_b32 s1, v2
	v_add_nc_u32_e32 v2, 1, v0
	s_cmp_eq_u32 s1, 0
	s_delay_alu instid0(VALU_DEP_1) | instskip(SKIP_1) | instid1(SALU_CYCLE_1)
	v_cmp_gt_i32_e32 vcc_lo, s1, v2
	s_cselect_b32 s47, -1, 0
	s_or_b32 s47, s47, vcc_lo
	s_delay_alu instid0(SALU_CYCLE_1)
	s_and_b32 exec_lo, exec_lo, s47
	s_cbranch_execz .LBB99_10
; %bb.8:
	v_mov_b32_e32 v3, s1
.LBB99_9:                               ; =>This Inner Loop Header: Depth=1
	ds_cmpstore_rtn_b32 v3, v1, v2, v3 offset:1152
	s_wait_dscnt 0x0
	v_cmp_ne_u32_e32 vcc_lo, 0, v3
	v_cmp_le_i32_e64 s1, v3, v2
	s_and_b32 s1, vcc_lo, s1
	s_wait_alu 0xfffe
	s_and_b32 s1, exec_lo, s1
	s_wait_alu 0xfffe
	s_or_b32 s46, s1, s46
	s_delay_alu instid0(SALU_CYCLE_1)
	s_and_not1_b32 exec_lo, exec_lo, s46
	s_cbranch_execnz .LBB99_9
.LBB99_10:
	s_or_b32 exec_lo, exec_lo, s45
	v_mov_b32_e32 v1, 0
	s_barrier_signal -1
	s_barrier_wait -1
	global_inv scope:SCOPE_SE
	ds_load_b32 v2, v1 offset:1152
	s_and_saveexec_b32 s1, s0
	s_cbranch_execz .LBB99_12
; %bb.11:
	s_lshl_b64 s[46:47], s[8:9], 2
	s_delay_alu instid0(SALU_CYCLE_1)
	s_add_nc_u64 s[46:47], s[6:7], s[46:47]
	s_wait_dscnt 0x0
	global_store_b32 v1, v2, s[46:47]
.LBB99_12:
	s_wait_alu 0xfffe
	s_or_b32 exec_lo, exec_lo, s1
	s_wait_dscnt 0x0
	v_cmp_ne_u32_e32 vcc_lo, 0, v2
	s_mov_b32 s1, 0
	s_cbranch_vccnz .LBB99_156
; %bb.13:
	v_add_nc_u32_e32 v14, 16, v13
                                        ; implicit-def: $vgpr1_vgpr2
                                        ; implicit-def: $vgpr9_vgpr10
	scratch_load_b128 v[5:8], v14, off
	s_wait_loadcnt 0x0
	v_cmp_ngt_f64_e64 s1, |v[5:6]|, |v[7:8]|
	s_wait_alu 0xfffe
	s_and_saveexec_b32 s45, s1
	s_delay_alu instid0(SALU_CYCLE_1)
	s_xor_b32 s1, exec_lo, s45
	s_cbranch_execz .LBB99_15
; %bb.14:
	v_div_scale_f64 v[1:2], null, v[7:8], v[7:8], v[5:6]
	v_div_scale_f64 v[11:12], vcc_lo, v[5:6], v[7:8], v[5:6]
	s_delay_alu instid0(VALU_DEP_2) | instskip(NEXT) | instid1(TRANS32_DEP_1)
	v_rcp_f64_e32 v[3:4], v[1:2]
	v_fma_f64 v[9:10], -v[1:2], v[3:4], 1.0
	s_delay_alu instid0(VALU_DEP_1) | instskip(NEXT) | instid1(VALU_DEP_1)
	v_fma_f64 v[3:4], v[3:4], v[9:10], v[3:4]
	v_fma_f64 v[9:10], -v[1:2], v[3:4], 1.0
	s_delay_alu instid0(VALU_DEP_1) | instskip(NEXT) | instid1(VALU_DEP_1)
	v_fma_f64 v[3:4], v[3:4], v[9:10], v[3:4]
	v_mul_f64_e32 v[9:10], v[11:12], v[3:4]
	s_delay_alu instid0(VALU_DEP_1) | instskip(SKIP_1) | instid1(VALU_DEP_1)
	v_fma_f64 v[1:2], -v[1:2], v[9:10], v[11:12]
	s_wait_alu 0xfffd
	v_div_fmas_f64 v[1:2], v[1:2], v[3:4], v[9:10]
	s_delay_alu instid0(VALU_DEP_1) | instskip(NEXT) | instid1(VALU_DEP_1)
	v_div_fixup_f64 v[1:2], v[1:2], v[7:8], v[5:6]
	v_fma_f64 v[3:4], v[5:6], v[1:2], v[7:8]
	s_delay_alu instid0(VALU_DEP_1) | instskip(SKIP_1) | instid1(VALU_DEP_2)
	v_div_scale_f64 v[5:6], null, v[3:4], v[3:4], 1.0
	v_div_scale_f64 v[11:12], vcc_lo, 1.0, v[3:4], 1.0
	v_rcp_f64_e32 v[7:8], v[5:6]
	s_delay_alu instid0(TRANS32_DEP_1) | instskip(NEXT) | instid1(VALU_DEP_1)
	v_fma_f64 v[9:10], -v[5:6], v[7:8], 1.0
	v_fma_f64 v[7:8], v[7:8], v[9:10], v[7:8]
	s_delay_alu instid0(VALU_DEP_1) | instskip(NEXT) | instid1(VALU_DEP_1)
	v_fma_f64 v[9:10], -v[5:6], v[7:8], 1.0
	v_fma_f64 v[7:8], v[7:8], v[9:10], v[7:8]
	s_delay_alu instid0(VALU_DEP_1) | instskip(NEXT) | instid1(VALU_DEP_1)
	v_mul_f64_e32 v[9:10], v[11:12], v[7:8]
	v_fma_f64 v[5:6], -v[5:6], v[9:10], v[11:12]
	s_wait_alu 0xfffd
	s_delay_alu instid0(VALU_DEP_1) | instskip(NEXT) | instid1(VALU_DEP_1)
	v_div_fmas_f64 v[5:6], v[5:6], v[7:8], v[9:10]
	v_div_fixup_f64 v[3:4], v[5:6], v[3:4], 1.0
                                        ; implicit-def: $vgpr5_vgpr6
	s_delay_alu instid0(VALU_DEP_1) | instskip(SKIP_1) | instid1(VALU_DEP_2)
	v_mul_f64_e32 v[1:2], v[1:2], v[3:4]
	v_xor_b32_e32 v4, 0x80000000, v4
	v_xor_b32_e32 v10, 0x80000000, v2
	s_delay_alu instid0(VALU_DEP_3)
	v_mov_b32_e32 v9, v1
.LBB99_15:
	s_wait_alu 0xfffe
	s_and_not1_saveexec_b32 s1, s1
	s_cbranch_execz .LBB99_17
; %bb.16:
	v_div_scale_f64 v[1:2], null, v[5:6], v[5:6], v[7:8]
	v_div_scale_f64 v[11:12], vcc_lo, v[7:8], v[5:6], v[7:8]
	s_delay_alu instid0(VALU_DEP_2) | instskip(NEXT) | instid1(TRANS32_DEP_1)
	v_rcp_f64_e32 v[3:4], v[1:2]
	v_fma_f64 v[9:10], -v[1:2], v[3:4], 1.0
	s_delay_alu instid0(VALU_DEP_1) | instskip(NEXT) | instid1(VALU_DEP_1)
	v_fma_f64 v[3:4], v[3:4], v[9:10], v[3:4]
	v_fma_f64 v[9:10], -v[1:2], v[3:4], 1.0
	s_delay_alu instid0(VALU_DEP_1) | instskip(NEXT) | instid1(VALU_DEP_1)
	v_fma_f64 v[3:4], v[3:4], v[9:10], v[3:4]
	v_mul_f64_e32 v[9:10], v[11:12], v[3:4]
	s_delay_alu instid0(VALU_DEP_1) | instskip(SKIP_1) | instid1(VALU_DEP_1)
	v_fma_f64 v[1:2], -v[1:2], v[9:10], v[11:12]
	s_wait_alu 0xfffd
	v_div_fmas_f64 v[1:2], v[1:2], v[3:4], v[9:10]
	s_delay_alu instid0(VALU_DEP_1) | instskip(NEXT) | instid1(VALU_DEP_1)
	v_div_fixup_f64 v[3:4], v[1:2], v[5:6], v[7:8]
	v_fma_f64 v[1:2], v[7:8], v[3:4], v[5:6]
	s_delay_alu instid0(VALU_DEP_1) | instskip(NEXT) | instid1(VALU_DEP_1)
	v_div_scale_f64 v[5:6], null, v[1:2], v[1:2], 1.0
	v_rcp_f64_e32 v[7:8], v[5:6]
	s_delay_alu instid0(TRANS32_DEP_1) | instskip(NEXT) | instid1(VALU_DEP_1)
	v_fma_f64 v[9:10], -v[5:6], v[7:8], 1.0
	v_fma_f64 v[7:8], v[7:8], v[9:10], v[7:8]
	s_delay_alu instid0(VALU_DEP_1) | instskip(NEXT) | instid1(VALU_DEP_1)
	v_fma_f64 v[9:10], -v[5:6], v[7:8], 1.0
	v_fma_f64 v[7:8], v[7:8], v[9:10], v[7:8]
	v_div_scale_f64 v[9:10], vcc_lo, 1.0, v[1:2], 1.0
	s_delay_alu instid0(VALU_DEP_1) | instskip(NEXT) | instid1(VALU_DEP_1)
	v_mul_f64_e32 v[11:12], v[9:10], v[7:8]
	v_fma_f64 v[5:6], -v[5:6], v[11:12], v[9:10]
	s_wait_alu 0xfffd
	s_delay_alu instid0(VALU_DEP_1) | instskip(NEXT) | instid1(VALU_DEP_1)
	v_div_fmas_f64 v[5:6], v[5:6], v[7:8], v[11:12]
	v_div_fixup_f64 v[1:2], v[5:6], v[1:2], 1.0
	s_delay_alu instid0(VALU_DEP_1)
	v_mul_f64_e64 v[3:4], v[3:4], -v[1:2]
	v_xor_b32_e32 v10, 0x80000000, v2
	v_mov_b32_e32 v9, v1
.LBB99_17:
	s_wait_alu 0xfffe
	s_or_b32 exec_lo, exec_lo, s1
	scratch_store_b128 v14, v[1:4], off
	scratch_load_b128 v[15:18], off, s44
	v_xor_b32_e32 v12, 0x80000000, v4
	v_mov_b32_e32 v11, v3
	v_add_nc_u32_e32 v5, 0x240, v13
	ds_store_b128 v13, v[9:12]
	s_wait_loadcnt 0x0
	ds_store_b128 v13, v[15:18] offset:576
	s_wait_storecnt_dscnt 0x0
	s_barrier_signal -1
	s_barrier_wait -1
	global_inv scope:SCOPE_SE
	s_and_saveexec_b32 s1, s0
	s_cbranch_execz .LBB99_19
; %bb.18:
	scratch_load_b128 v[1:4], v14, off
	ds_load_b128 v[6:9], v5
	v_mov_b32_e32 v10, 0
	ds_load_b128 v[15:18], v10 offset:16
	s_wait_loadcnt_dscnt 0x1
	v_mul_f64_e32 v[10:11], v[6:7], v[3:4]
	v_mul_f64_e32 v[3:4], v[8:9], v[3:4]
	s_delay_alu instid0(VALU_DEP_2) | instskip(NEXT) | instid1(VALU_DEP_2)
	v_fma_f64 v[8:9], v[8:9], v[1:2], v[10:11]
	v_fma_f64 v[1:2], v[6:7], v[1:2], -v[3:4]
	s_delay_alu instid0(VALU_DEP_2) | instskip(NEXT) | instid1(VALU_DEP_2)
	v_add_f64_e32 v[3:4], 0, v[8:9]
	v_add_f64_e32 v[1:2], 0, v[1:2]
	s_wait_dscnt 0x0
	s_delay_alu instid0(VALU_DEP_2) | instskip(NEXT) | instid1(VALU_DEP_2)
	v_mul_f64_e32 v[6:7], v[3:4], v[17:18]
	v_mul_f64_e32 v[8:9], v[1:2], v[17:18]
	s_delay_alu instid0(VALU_DEP_2) | instskip(NEXT) | instid1(VALU_DEP_2)
	v_fma_f64 v[1:2], v[1:2], v[15:16], -v[6:7]
	v_fma_f64 v[3:4], v[3:4], v[15:16], v[8:9]
	scratch_store_b128 off, v[1:4], off offset:32
.LBB99_19:
	s_wait_alu 0xfffe
	s_or_b32 exec_lo, exec_lo, s1
	s_wait_loadcnt 0x0
	s_wait_storecnt 0x0
	s_barrier_signal -1
	s_barrier_wait -1
	global_inv scope:SCOPE_SE
	scratch_load_b128 v[1:4], off, s43
	s_mov_b32 s1, exec_lo
	s_wait_loadcnt 0x0
	ds_store_b128 v5, v[1:4]
	s_wait_dscnt 0x0
	s_barrier_signal -1
	s_barrier_wait -1
	global_inv scope:SCOPE_SE
	v_cmpx_gt_u32_e32 2, v0
	s_cbranch_execz .LBB99_23
; %bb.20:
	scratch_load_b128 v[1:4], v14, off
	ds_load_b128 v[6:9], v5
	s_wait_loadcnt_dscnt 0x0
	v_mul_f64_e32 v[10:11], v[8:9], v[3:4]
	v_mul_f64_e32 v[3:4], v[6:7], v[3:4]
	s_delay_alu instid0(VALU_DEP_2) | instskip(NEXT) | instid1(VALU_DEP_2)
	v_fma_f64 v[6:7], v[6:7], v[1:2], -v[10:11]
	v_fma_f64 v[3:4], v[8:9], v[1:2], v[3:4]
	s_delay_alu instid0(VALU_DEP_2) | instskip(NEXT) | instid1(VALU_DEP_2)
	v_add_f64_e32 v[1:2], 0, v[6:7]
	v_add_f64_e32 v[3:4], 0, v[3:4]
	s_and_saveexec_b32 s45, s0
	s_cbranch_execz .LBB99_22
; %bb.21:
	scratch_load_b128 v[6:9], off, off offset:32
	v_mov_b32_e32 v10, 0
	ds_load_b128 v[15:18], v10 offset:592
	s_wait_loadcnt_dscnt 0x0
	v_mul_f64_e32 v[10:11], v[15:16], v[8:9]
	v_mul_f64_e32 v[8:9], v[17:18], v[8:9]
	s_delay_alu instid0(VALU_DEP_2) | instskip(NEXT) | instid1(VALU_DEP_2)
	v_fma_f64 v[10:11], v[17:18], v[6:7], v[10:11]
	v_fma_f64 v[6:7], v[15:16], v[6:7], -v[8:9]
	s_delay_alu instid0(VALU_DEP_2) | instskip(NEXT) | instid1(VALU_DEP_2)
	v_add_f64_e32 v[3:4], v[3:4], v[10:11]
	v_add_f64_e32 v[1:2], v[1:2], v[6:7]
.LBB99_22:
	s_or_b32 exec_lo, exec_lo, s45
	v_mov_b32_e32 v6, 0
	ds_load_b128 v[6:9], v6 offset:32
	s_wait_dscnt 0x0
	v_mul_f64_e32 v[10:11], v[3:4], v[8:9]
	v_mul_f64_e32 v[8:9], v[1:2], v[8:9]
	s_delay_alu instid0(VALU_DEP_2) | instskip(NEXT) | instid1(VALU_DEP_2)
	v_fma_f64 v[1:2], v[1:2], v[6:7], -v[10:11]
	v_fma_f64 v[3:4], v[3:4], v[6:7], v[8:9]
	scratch_store_b128 off, v[1:4], off offset:48
.LBB99_23:
	s_wait_alu 0xfffe
	s_or_b32 exec_lo, exec_lo, s1
	s_wait_loadcnt 0x0
	s_wait_storecnt 0x0
	s_barrier_signal -1
	s_barrier_wait -1
	global_inv scope:SCOPE_SE
	scratch_load_b128 v[1:4], off, s25
	v_add_nc_u32_e32 v6, -1, v0
	s_mov_b32 s0, exec_lo
	s_wait_loadcnt 0x0
	ds_store_b128 v5, v[1:4]
	s_wait_dscnt 0x0
	s_barrier_signal -1
	s_barrier_wait -1
	global_inv scope:SCOPE_SE
	v_cmpx_gt_u32_e32 3, v0
	s_cbranch_execz .LBB99_27
; %bb.24:
	v_dual_mov_b32 v1, 0 :: v_dual_add_nc_u32 v8, 0x240, v13
	v_mov_b32_e32 v3, 0
	v_dual_mov_b32 v2, 0 :: v_dual_add_nc_u32 v7, -1, v0
	v_mov_b32_e32 v4, 0
	v_or_b32_e32 v9, 8, v14
	s_mov_b32 s1, 0
.LBB99_25:                              ; =>This Inner Loop Header: Depth=1
	scratch_load_b128 v[15:18], v9, off offset:-8
	ds_load_b128 v[19:22], v8
	v_add_nc_u32_e32 v7, 1, v7
	v_add_nc_u32_e32 v8, 16, v8
	v_add_nc_u32_e32 v9, 16, v9
	s_delay_alu instid0(VALU_DEP_3)
	v_cmp_lt_u32_e32 vcc_lo, 1, v7
	s_wait_alu 0xfffe
	s_or_b32 s1, vcc_lo, s1
	s_wait_loadcnt_dscnt 0x0
	v_mul_f64_e32 v[10:11], v[21:22], v[17:18]
	v_mul_f64_e32 v[17:18], v[19:20], v[17:18]
	s_delay_alu instid0(VALU_DEP_2) | instskip(NEXT) | instid1(VALU_DEP_2)
	v_fma_f64 v[10:11], v[19:20], v[15:16], -v[10:11]
	v_fma_f64 v[15:16], v[21:22], v[15:16], v[17:18]
	s_delay_alu instid0(VALU_DEP_2) | instskip(NEXT) | instid1(VALU_DEP_2)
	v_add_f64_e32 v[3:4], v[3:4], v[10:11]
	v_add_f64_e32 v[1:2], v[1:2], v[15:16]
	s_wait_alu 0xfffe
	s_and_not1_b32 exec_lo, exec_lo, s1
	s_cbranch_execnz .LBB99_25
; %bb.26:
	s_or_b32 exec_lo, exec_lo, s1
	v_mov_b32_e32 v7, 0
	ds_load_b128 v[7:10], v7 offset:48
	s_wait_dscnt 0x0
	v_mul_f64_e32 v[11:12], v[1:2], v[9:10]
	v_mul_f64_e32 v[15:16], v[3:4], v[9:10]
	s_delay_alu instid0(VALU_DEP_2) | instskip(NEXT) | instid1(VALU_DEP_2)
	v_fma_f64 v[9:10], v[3:4], v[7:8], -v[11:12]
	v_fma_f64 v[11:12], v[1:2], v[7:8], v[15:16]
	scratch_store_b128 off, v[9:12], off offset:64
.LBB99_27:
	s_wait_alu 0xfffe
	s_or_b32 exec_lo, exec_lo, s0
	s_wait_loadcnt 0x0
	s_wait_storecnt 0x0
	s_barrier_signal -1
	s_barrier_wait -1
	global_inv scope:SCOPE_SE
	scratch_load_b128 v[1:4], off, s26
	s_mov_b32 s0, exec_lo
	s_wait_loadcnt 0x0
	ds_store_b128 v5, v[1:4]
	s_wait_dscnt 0x0
	s_barrier_signal -1
	s_barrier_wait -1
	global_inv scope:SCOPE_SE
	v_cmpx_gt_u32_e32 4, v0
	s_cbranch_execz .LBB99_31
; %bb.28:
	v_dual_mov_b32 v1, 0 :: v_dual_add_nc_u32 v8, 0x240, v13
	v_mov_b32_e32 v3, 0
	v_dual_mov_b32 v2, 0 :: v_dual_add_nc_u32 v7, -1, v0
	v_mov_b32_e32 v4, 0
	v_or_b32_e32 v9, 8, v14
	s_mov_b32 s1, 0
.LBB99_29:                              ; =>This Inner Loop Header: Depth=1
	scratch_load_b128 v[15:18], v9, off offset:-8
	ds_load_b128 v[19:22], v8
	v_add_nc_u32_e32 v7, 1, v7
	v_add_nc_u32_e32 v8, 16, v8
	v_add_nc_u32_e32 v9, 16, v9
	s_delay_alu instid0(VALU_DEP_3)
	v_cmp_lt_u32_e32 vcc_lo, 2, v7
	s_wait_alu 0xfffe
	s_or_b32 s1, vcc_lo, s1
	s_wait_loadcnt_dscnt 0x0
	v_mul_f64_e32 v[10:11], v[21:22], v[17:18]
	v_mul_f64_e32 v[17:18], v[19:20], v[17:18]
	s_delay_alu instid0(VALU_DEP_2) | instskip(NEXT) | instid1(VALU_DEP_2)
	v_fma_f64 v[10:11], v[19:20], v[15:16], -v[10:11]
	v_fma_f64 v[15:16], v[21:22], v[15:16], v[17:18]
	s_delay_alu instid0(VALU_DEP_2) | instskip(NEXT) | instid1(VALU_DEP_2)
	v_add_f64_e32 v[3:4], v[3:4], v[10:11]
	v_add_f64_e32 v[1:2], v[1:2], v[15:16]
	s_wait_alu 0xfffe
	s_and_not1_b32 exec_lo, exec_lo, s1
	s_cbranch_execnz .LBB99_29
; %bb.30:
	s_or_b32 exec_lo, exec_lo, s1
	v_mov_b32_e32 v7, 0
	ds_load_b128 v[7:10], v7 offset:64
	s_wait_dscnt 0x0
	v_mul_f64_e32 v[11:12], v[1:2], v[9:10]
	v_mul_f64_e32 v[15:16], v[3:4], v[9:10]
	s_delay_alu instid0(VALU_DEP_2) | instskip(NEXT) | instid1(VALU_DEP_2)
	v_fma_f64 v[9:10], v[3:4], v[7:8], -v[11:12]
	v_fma_f64 v[11:12], v[1:2], v[7:8], v[15:16]
	scratch_store_b128 off, v[9:12], off offset:80
.LBB99_31:
	s_wait_alu 0xfffe
	s_or_b32 exec_lo, exec_lo, s0
	s_wait_loadcnt 0x0
	s_wait_storecnt 0x0
	s_barrier_signal -1
	s_barrier_wait -1
	global_inv scope:SCOPE_SE
	scratch_load_b128 v[1:4], off, s4
	;; [unrolled: 58-line block ×19, first 2 shown]
	s_mov_b32 s0, exec_lo
	s_wait_loadcnt 0x0
	ds_store_b128 v5, v[1:4]
	s_wait_dscnt 0x0
	s_barrier_signal -1
	s_barrier_wait -1
	global_inv scope:SCOPE_SE
	v_cmpx_gt_u32_e32 22, v0
	s_cbranch_execz .LBB99_103
; %bb.100:
	v_dual_mov_b32 v1, 0 :: v_dual_add_nc_u32 v8, 0x240, v13
	v_mov_b32_e32 v3, 0
	v_dual_mov_b32 v2, 0 :: v_dual_add_nc_u32 v7, -1, v0
	v_mov_b32_e32 v4, 0
	v_or_b32_e32 v9, 8, v14
	s_mov_b32 s1, 0
.LBB99_101:                             ; =>This Inner Loop Header: Depth=1
	scratch_load_b128 v[15:18], v9, off offset:-8
	ds_load_b128 v[19:22], v8
	v_add_nc_u32_e32 v7, 1, v7
	v_add_nc_u32_e32 v8, 16, v8
	v_add_nc_u32_e32 v9, 16, v9
	s_delay_alu instid0(VALU_DEP_3)
	v_cmp_lt_u32_e32 vcc_lo, 20, v7
	s_wait_alu 0xfffe
	s_or_b32 s1, vcc_lo, s1
	s_wait_loadcnt_dscnt 0x0
	v_mul_f64_e32 v[10:11], v[21:22], v[17:18]
	v_mul_f64_e32 v[17:18], v[19:20], v[17:18]
	s_delay_alu instid0(VALU_DEP_2) | instskip(NEXT) | instid1(VALU_DEP_2)
	v_fma_f64 v[10:11], v[19:20], v[15:16], -v[10:11]
	v_fma_f64 v[15:16], v[21:22], v[15:16], v[17:18]
	s_delay_alu instid0(VALU_DEP_2) | instskip(NEXT) | instid1(VALU_DEP_2)
	v_add_f64_e32 v[3:4], v[3:4], v[10:11]
	v_add_f64_e32 v[1:2], v[1:2], v[15:16]
	s_wait_alu 0xfffe
	s_and_not1_b32 exec_lo, exec_lo, s1
	s_cbranch_execnz .LBB99_101
; %bb.102:
	s_or_b32 exec_lo, exec_lo, s1
	v_mov_b32_e32 v7, 0
	ds_load_b128 v[7:10], v7 offset:352
	s_wait_dscnt 0x0
	v_mul_f64_e32 v[11:12], v[1:2], v[9:10]
	v_mul_f64_e32 v[15:16], v[3:4], v[9:10]
	s_delay_alu instid0(VALU_DEP_2) | instskip(NEXT) | instid1(VALU_DEP_2)
	v_fma_f64 v[9:10], v[3:4], v[7:8], -v[11:12]
	v_fma_f64 v[11:12], v[1:2], v[7:8], v[15:16]
	scratch_store_b128 off, v[9:12], off offset:368
.LBB99_103:
	s_wait_alu 0xfffe
	s_or_b32 exec_lo, exec_lo, s0
	s_wait_loadcnt 0x0
	s_wait_storecnt 0x0
	s_barrier_signal -1
	s_barrier_wait -1
	global_inv scope:SCOPE_SE
	scratch_load_b128 v[1:4], off, s18
	s_mov_b32 s0, exec_lo
	s_wait_loadcnt 0x0
	ds_store_b128 v5, v[1:4]
	s_wait_dscnt 0x0
	s_barrier_signal -1
	s_barrier_wait -1
	global_inv scope:SCOPE_SE
	v_cmpx_gt_u32_e32 23, v0
	s_cbranch_execz .LBB99_107
; %bb.104:
	v_dual_mov_b32 v1, 0 :: v_dual_add_nc_u32 v8, 0x240, v13
	v_mov_b32_e32 v3, 0
	v_dual_mov_b32 v2, 0 :: v_dual_add_nc_u32 v7, -1, v0
	v_mov_b32_e32 v4, 0
	v_or_b32_e32 v9, 8, v14
	s_mov_b32 s1, 0
.LBB99_105:                             ; =>This Inner Loop Header: Depth=1
	scratch_load_b128 v[15:18], v9, off offset:-8
	ds_load_b128 v[19:22], v8
	v_add_nc_u32_e32 v7, 1, v7
	v_add_nc_u32_e32 v8, 16, v8
	v_add_nc_u32_e32 v9, 16, v9
	s_delay_alu instid0(VALU_DEP_3)
	v_cmp_lt_u32_e32 vcc_lo, 21, v7
	s_wait_alu 0xfffe
	s_or_b32 s1, vcc_lo, s1
	s_wait_loadcnt_dscnt 0x0
	v_mul_f64_e32 v[10:11], v[21:22], v[17:18]
	v_mul_f64_e32 v[17:18], v[19:20], v[17:18]
	s_delay_alu instid0(VALU_DEP_2) | instskip(NEXT) | instid1(VALU_DEP_2)
	v_fma_f64 v[10:11], v[19:20], v[15:16], -v[10:11]
	v_fma_f64 v[15:16], v[21:22], v[15:16], v[17:18]
	s_delay_alu instid0(VALU_DEP_2) | instskip(NEXT) | instid1(VALU_DEP_2)
	v_add_f64_e32 v[3:4], v[3:4], v[10:11]
	v_add_f64_e32 v[1:2], v[1:2], v[15:16]
	s_wait_alu 0xfffe
	s_and_not1_b32 exec_lo, exec_lo, s1
	s_cbranch_execnz .LBB99_105
; %bb.106:
	s_or_b32 exec_lo, exec_lo, s1
	v_mov_b32_e32 v7, 0
	ds_load_b128 v[7:10], v7 offset:368
	s_wait_dscnt 0x0
	v_mul_f64_e32 v[11:12], v[1:2], v[9:10]
	v_mul_f64_e32 v[15:16], v[3:4], v[9:10]
	s_delay_alu instid0(VALU_DEP_2) | instskip(NEXT) | instid1(VALU_DEP_2)
	v_fma_f64 v[9:10], v[3:4], v[7:8], -v[11:12]
	v_fma_f64 v[11:12], v[1:2], v[7:8], v[15:16]
	scratch_store_b128 off, v[9:12], off offset:384
.LBB99_107:
	s_wait_alu 0xfffe
	s_or_b32 exec_lo, exec_lo, s0
	s_wait_loadcnt 0x0
	s_wait_storecnt 0x0
	s_barrier_signal -1
	s_barrier_wait -1
	global_inv scope:SCOPE_SE
	scratch_load_b128 v[1:4], off, s37
	;; [unrolled: 58-line block ×13, first 2 shown]
	s_mov_b32 s0, exec_lo
	s_wait_loadcnt 0x0
	ds_store_b128 v5, v[1:4]
	s_wait_dscnt 0x0
	s_barrier_signal -1
	s_barrier_wait -1
	global_inv scope:SCOPE_SE
	v_cmpx_ne_u32_e32 35, v0
	s_cbranch_execz .LBB99_155
; %bb.152:
	v_mov_b32_e32 v1, 0
	v_dual_mov_b32 v2, 0 :: v_dual_mov_b32 v3, 0
	v_mov_b32_e32 v4, 0
	v_or_b32_e32 v7, 8, v14
	s_mov_b32 s1, 0
.LBB99_153:                             ; =>This Inner Loop Header: Depth=1
	scratch_load_b128 v[8:11], v7, off offset:-8
	ds_load_b128 v[12:15], v5
	v_add_nc_u32_e32 v6, 1, v6
	v_add_nc_u32_e32 v5, 16, v5
	;; [unrolled: 1-line block ×3, first 2 shown]
	s_delay_alu instid0(VALU_DEP_3)
	v_cmp_lt_u32_e32 vcc_lo, 33, v6
	s_wait_alu 0xfffe
	s_or_b32 s1, vcc_lo, s1
	s_wait_loadcnt_dscnt 0x0
	v_mul_f64_e32 v[16:17], v[14:15], v[10:11]
	v_mul_f64_e32 v[10:11], v[12:13], v[10:11]
	s_delay_alu instid0(VALU_DEP_2) | instskip(NEXT) | instid1(VALU_DEP_2)
	v_fma_f64 v[12:13], v[12:13], v[8:9], -v[16:17]
	v_fma_f64 v[8:9], v[14:15], v[8:9], v[10:11]
	s_delay_alu instid0(VALU_DEP_2) | instskip(NEXT) | instid1(VALU_DEP_2)
	v_add_f64_e32 v[3:4], v[3:4], v[12:13]
	v_add_f64_e32 v[1:2], v[1:2], v[8:9]
	s_wait_alu 0xfffe
	s_and_not1_b32 exec_lo, exec_lo, s1
	s_cbranch_execnz .LBB99_153
; %bb.154:
	s_or_b32 exec_lo, exec_lo, s1
	v_mov_b32_e32 v5, 0
	ds_load_b128 v[5:8], v5 offset:560
	s_wait_dscnt 0x0
	v_mul_f64_e32 v[9:10], v[1:2], v[7:8]
	v_mul_f64_e32 v[7:8], v[3:4], v[7:8]
	s_delay_alu instid0(VALU_DEP_2) | instskip(NEXT) | instid1(VALU_DEP_2)
	v_fma_f64 v[3:4], v[3:4], v[5:6], -v[9:10]
	v_fma_f64 v[5:6], v[1:2], v[5:6], v[7:8]
	scratch_store_b128 off, v[3:6], off offset:576
.LBB99_155:
	s_wait_alu 0xfffe
	s_or_b32 exec_lo, exec_lo, s0
	s_mov_b32 s1, -1
	s_wait_loadcnt 0x0
	s_wait_storecnt 0x0
	s_barrier_signal -1
	s_barrier_wait -1
	global_inv scope:SCOPE_SE
.LBB99_156:
	s_wait_alu 0xfffe
	s_and_b32 vcc_lo, exec_lo, s1
	s_wait_alu 0xfffe
	s_cbranch_vccz .LBB99_158
; %bb.157:
	v_mov_b32_e32 v1, 0
	s_lshl_b64 s[0:1], s[8:9], 2
	s_wait_alu 0xfffe
	s_add_nc_u64 s[0:1], s[6:7], s[0:1]
	global_load_b32 v1, v1, s[0:1]
	s_wait_loadcnt 0x0
	v_cmp_ne_u32_e32 vcc_lo, 0, v1
	s_cbranch_vccz .LBB99_159
.LBB99_158:
	s_nop 0
	s_sendmsg sendmsg(MSG_DEALLOC_VGPRS)
	s_endpgm
.LBB99_159:
	v_lshl_add_u32 v34, v0, 4, 0x240
	s_mov_b32 s0, exec_lo
	v_cmpx_eq_u32_e32 35, v0
	s_cbranch_execz .LBB99_161
; %bb.160:
	scratch_load_b128 v[1:4], off, s42
	v_mov_b32_e32 v5, 0
	s_delay_alu instid0(VALU_DEP_1)
	v_dual_mov_b32 v6, v5 :: v_dual_mov_b32 v7, v5
	v_mov_b32_e32 v8, v5
	scratch_store_b128 off, v[5:8], off offset:560
	s_wait_loadcnt 0x0
	ds_store_b128 v34, v[1:4]
.LBB99_161:
	s_wait_alu 0xfffe
	s_or_b32 exec_lo, exec_lo, s0
	s_wait_storecnt_dscnt 0x0
	s_barrier_signal -1
	s_barrier_wait -1
	global_inv scope:SCOPE_SE
	s_clause 0x1
	scratch_load_b128 v[2:5], off, off offset:576
	scratch_load_b128 v[6:9], off, off offset:560
	v_mov_b32_e32 v1, 0
	s_mov_b32 s0, exec_lo
	ds_load_b128 v[10:13], v1 offset:1136
	s_wait_loadcnt_dscnt 0x100
	v_mul_f64_e32 v[14:15], v[12:13], v[4:5]
	v_mul_f64_e32 v[4:5], v[10:11], v[4:5]
	s_delay_alu instid0(VALU_DEP_2) | instskip(NEXT) | instid1(VALU_DEP_2)
	v_fma_f64 v[10:11], v[10:11], v[2:3], -v[14:15]
	v_fma_f64 v[2:3], v[12:13], v[2:3], v[4:5]
	s_delay_alu instid0(VALU_DEP_2) | instskip(NEXT) | instid1(VALU_DEP_2)
	v_add_f64_e32 v[4:5], 0, v[10:11]
	v_add_f64_e32 v[10:11], 0, v[2:3]
	s_wait_loadcnt 0x0
	s_delay_alu instid0(VALU_DEP_2) | instskip(NEXT) | instid1(VALU_DEP_2)
	v_add_f64_e64 v[2:3], v[6:7], -v[4:5]
	v_add_f64_e64 v[4:5], v[8:9], -v[10:11]
	scratch_store_b128 off, v[2:5], off offset:560
	v_cmpx_lt_u32_e32 33, v0
	s_cbranch_execz .LBB99_163
; %bb.162:
	scratch_load_b128 v[5:8], off, s23
	v_dual_mov_b32 v2, v1 :: v_dual_mov_b32 v3, v1
	v_mov_b32_e32 v4, v1
	scratch_store_b128 off, v[1:4], off offset:544
	s_wait_loadcnt 0x0
	ds_store_b128 v34, v[5:8]
.LBB99_163:
	s_wait_alu 0xfffe
	s_or_b32 exec_lo, exec_lo, s0
	s_wait_storecnt_dscnt 0x0
	s_barrier_signal -1
	s_barrier_wait -1
	global_inv scope:SCOPE_SE
	s_clause 0x2
	scratch_load_b128 v[2:5], off, off offset:560
	scratch_load_b128 v[6:9], off, off offset:576
	;; [unrolled: 1-line block ×3, first 2 shown]
	ds_load_b128 v[14:17], v1 offset:1120
	ds_load_b128 v[18:21], v1 offset:1136
	s_mov_b32 s0, exec_lo
	s_wait_loadcnt_dscnt 0x201
	v_mul_f64_e32 v[22:23], v[16:17], v[4:5]
	v_mul_f64_e32 v[4:5], v[14:15], v[4:5]
	s_wait_loadcnt_dscnt 0x100
	v_mul_f64_e32 v[24:25], v[18:19], v[8:9]
	v_mul_f64_e32 v[8:9], v[20:21], v[8:9]
	s_delay_alu instid0(VALU_DEP_4) | instskip(NEXT) | instid1(VALU_DEP_4)
	v_fma_f64 v[14:15], v[14:15], v[2:3], -v[22:23]
	v_fma_f64 v[1:2], v[16:17], v[2:3], v[4:5]
	s_delay_alu instid0(VALU_DEP_4) | instskip(NEXT) | instid1(VALU_DEP_4)
	v_fma_f64 v[3:4], v[20:21], v[6:7], v[24:25]
	v_fma_f64 v[5:6], v[18:19], v[6:7], -v[8:9]
	s_delay_alu instid0(VALU_DEP_4) | instskip(NEXT) | instid1(VALU_DEP_4)
	v_add_f64_e32 v[7:8], 0, v[14:15]
	v_add_f64_e32 v[1:2], 0, v[1:2]
	s_delay_alu instid0(VALU_DEP_2) | instskip(NEXT) | instid1(VALU_DEP_2)
	v_add_f64_e32 v[5:6], v[7:8], v[5:6]
	v_add_f64_e32 v[3:4], v[1:2], v[3:4]
	s_wait_loadcnt 0x0
	s_delay_alu instid0(VALU_DEP_2) | instskip(NEXT) | instid1(VALU_DEP_2)
	v_add_f64_e64 v[1:2], v[10:11], -v[5:6]
	v_add_f64_e64 v[3:4], v[12:13], -v[3:4]
	scratch_store_b128 off, v[1:4], off offset:544
	v_cmpx_lt_u32_e32 32, v0
	s_cbranch_execz .LBB99_165
; %bb.164:
	scratch_load_b128 v[1:4], off, s41
	v_mov_b32_e32 v5, 0
	s_delay_alu instid0(VALU_DEP_1)
	v_dual_mov_b32 v6, v5 :: v_dual_mov_b32 v7, v5
	v_mov_b32_e32 v8, v5
	scratch_store_b128 off, v[5:8], off offset:528
	s_wait_loadcnt 0x0
	ds_store_b128 v34, v[1:4]
.LBB99_165:
	s_wait_alu 0xfffe
	s_or_b32 exec_lo, exec_lo, s0
	s_wait_storecnt_dscnt 0x0
	s_barrier_signal -1
	s_barrier_wait -1
	global_inv scope:SCOPE_SE
	s_clause 0x3
	scratch_load_b128 v[2:5], off, off offset:544
	scratch_load_b128 v[6:9], off, off offset:560
	scratch_load_b128 v[10:13], off, off offset:576
	scratch_load_b128 v[14:17], off, off offset:528
	v_mov_b32_e32 v1, 0
	ds_load_b128 v[18:21], v1 offset:1104
	ds_load_b128 v[22:25], v1 offset:1120
	s_mov_b32 s0, exec_lo
	s_wait_loadcnt_dscnt 0x301
	v_mul_f64_e32 v[26:27], v[20:21], v[4:5]
	v_mul_f64_e32 v[4:5], v[18:19], v[4:5]
	s_wait_loadcnt_dscnt 0x200
	v_mul_f64_e32 v[28:29], v[22:23], v[8:9]
	v_mul_f64_e32 v[8:9], v[24:25], v[8:9]
	s_delay_alu instid0(VALU_DEP_4) | instskip(NEXT) | instid1(VALU_DEP_4)
	v_fma_f64 v[18:19], v[18:19], v[2:3], -v[26:27]
	v_fma_f64 v[20:21], v[20:21], v[2:3], v[4:5]
	ds_load_b128 v[2:5], v1 offset:1136
	v_fma_f64 v[24:25], v[24:25], v[6:7], v[28:29]
	v_fma_f64 v[6:7], v[22:23], v[6:7], -v[8:9]
	s_wait_loadcnt_dscnt 0x100
	v_mul_f64_e32 v[26:27], v[2:3], v[12:13]
	v_mul_f64_e32 v[12:13], v[4:5], v[12:13]
	v_add_f64_e32 v[8:9], 0, v[18:19]
	v_add_f64_e32 v[18:19], 0, v[20:21]
	s_delay_alu instid0(VALU_DEP_4) | instskip(NEXT) | instid1(VALU_DEP_4)
	v_fma_f64 v[4:5], v[4:5], v[10:11], v[26:27]
	v_fma_f64 v[2:3], v[2:3], v[10:11], -v[12:13]
	s_delay_alu instid0(VALU_DEP_4) | instskip(NEXT) | instid1(VALU_DEP_4)
	v_add_f64_e32 v[6:7], v[8:9], v[6:7]
	v_add_f64_e32 v[8:9], v[18:19], v[24:25]
	s_delay_alu instid0(VALU_DEP_2) | instskip(NEXT) | instid1(VALU_DEP_2)
	v_add_f64_e32 v[2:3], v[6:7], v[2:3]
	v_add_f64_e32 v[4:5], v[8:9], v[4:5]
	s_wait_loadcnt 0x0
	s_delay_alu instid0(VALU_DEP_2) | instskip(NEXT) | instid1(VALU_DEP_2)
	v_add_f64_e64 v[2:3], v[14:15], -v[2:3]
	v_add_f64_e64 v[4:5], v[16:17], -v[4:5]
	scratch_store_b128 off, v[2:5], off offset:528
	v_cmpx_lt_u32_e32 31, v0
	s_cbranch_execz .LBB99_167
; %bb.166:
	scratch_load_b128 v[5:8], off, s22
	v_dual_mov_b32 v2, v1 :: v_dual_mov_b32 v3, v1
	v_mov_b32_e32 v4, v1
	scratch_store_b128 off, v[1:4], off offset:512
	s_wait_loadcnt 0x0
	ds_store_b128 v34, v[5:8]
.LBB99_167:
	s_wait_alu 0xfffe
	s_or_b32 exec_lo, exec_lo, s0
	s_wait_storecnt_dscnt 0x0
	s_barrier_signal -1
	s_barrier_wait -1
	global_inv scope:SCOPE_SE
	s_clause 0x4
	scratch_load_b128 v[2:5], off, off offset:528
	scratch_load_b128 v[6:9], off, off offset:544
	;; [unrolled: 1-line block ×5, first 2 shown]
	ds_load_b128 v[22:25], v1 offset:1088
	ds_load_b128 v[26:29], v1 offset:1104
	s_mov_b32 s0, exec_lo
	s_wait_loadcnt_dscnt 0x401
	v_mul_f64_e32 v[30:31], v[24:25], v[4:5]
	v_mul_f64_e32 v[4:5], v[22:23], v[4:5]
	s_wait_loadcnt_dscnt 0x300
	v_mul_f64_e32 v[32:33], v[26:27], v[8:9]
	v_mul_f64_e32 v[8:9], v[28:29], v[8:9]
	s_delay_alu instid0(VALU_DEP_4) | instskip(NEXT) | instid1(VALU_DEP_4)
	v_fma_f64 v[30:31], v[22:23], v[2:3], -v[30:31]
	v_fma_f64 v[108:109], v[24:25], v[2:3], v[4:5]
	ds_load_b128 v[2:5], v1 offset:1120
	ds_load_b128 v[22:25], v1 offset:1136
	v_fma_f64 v[28:29], v[28:29], v[6:7], v[32:33]
	v_fma_f64 v[6:7], v[26:27], v[6:7], -v[8:9]
	s_wait_loadcnt_dscnt 0x201
	v_mul_f64_e32 v[110:111], v[2:3], v[12:13]
	v_mul_f64_e32 v[12:13], v[4:5], v[12:13]
	v_add_f64_e32 v[8:9], 0, v[30:31]
	v_add_f64_e32 v[26:27], 0, v[108:109]
	s_wait_loadcnt_dscnt 0x100
	v_mul_f64_e32 v[30:31], v[22:23], v[16:17]
	v_mul_f64_e32 v[16:17], v[24:25], v[16:17]
	v_fma_f64 v[4:5], v[4:5], v[10:11], v[110:111]
	v_fma_f64 v[1:2], v[2:3], v[10:11], -v[12:13]
	v_add_f64_e32 v[6:7], v[8:9], v[6:7]
	v_add_f64_e32 v[8:9], v[26:27], v[28:29]
	v_fma_f64 v[10:11], v[24:25], v[14:15], v[30:31]
	v_fma_f64 v[12:13], v[22:23], v[14:15], -v[16:17]
	s_delay_alu instid0(VALU_DEP_4) | instskip(NEXT) | instid1(VALU_DEP_4)
	v_add_f64_e32 v[1:2], v[6:7], v[1:2]
	v_add_f64_e32 v[3:4], v[8:9], v[4:5]
	s_delay_alu instid0(VALU_DEP_2) | instskip(NEXT) | instid1(VALU_DEP_2)
	v_add_f64_e32 v[1:2], v[1:2], v[12:13]
	v_add_f64_e32 v[3:4], v[3:4], v[10:11]
	s_wait_loadcnt 0x0
	s_delay_alu instid0(VALU_DEP_2) | instskip(NEXT) | instid1(VALU_DEP_2)
	v_add_f64_e64 v[1:2], v[18:19], -v[1:2]
	v_add_f64_e64 v[3:4], v[20:21], -v[3:4]
	scratch_store_b128 off, v[1:4], off offset:512
	v_cmpx_lt_u32_e32 30, v0
	s_cbranch_execz .LBB99_169
; %bb.168:
	scratch_load_b128 v[1:4], off, s40
	v_mov_b32_e32 v5, 0
	s_delay_alu instid0(VALU_DEP_1)
	v_dual_mov_b32 v6, v5 :: v_dual_mov_b32 v7, v5
	v_mov_b32_e32 v8, v5
	scratch_store_b128 off, v[5:8], off offset:496
	s_wait_loadcnt 0x0
	ds_store_b128 v34, v[1:4]
.LBB99_169:
	s_wait_alu 0xfffe
	s_or_b32 exec_lo, exec_lo, s0
	s_wait_storecnt_dscnt 0x0
	s_barrier_signal -1
	s_barrier_wait -1
	global_inv scope:SCOPE_SE
	s_clause 0x5
	scratch_load_b128 v[2:5], off, off offset:512
	scratch_load_b128 v[6:9], off, off offset:528
	;; [unrolled: 1-line block ×6, first 2 shown]
	v_mov_b32_e32 v1, 0
	ds_load_b128 v[26:29], v1 offset:1072
	ds_load_b128 v[30:33], v1 offset:1088
	s_mov_b32 s0, exec_lo
	s_wait_loadcnt_dscnt 0x501
	v_mul_f64_e32 v[108:109], v[28:29], v[4:5]
	v_mul_f64_e32 v[4:5], v[26:27], v[4:5]
	s_wait_loadcnt_dscnt 0x400
	v_mul_f64_e32 v[110:111], v[30:31], v[8:9]
	v_mul_f64_e32 v[8:9], v[32:33], v[8:9]
	s_delay_alu instid0(VALU_DEP_4) | instskip(NEXT) | instid1(VALU_DEP_4)
	v_fma_f64 v[108:109], v[26:27], v[2:3], -v[108:109]
	v_fma_f64 v[112:113], v[28:29], v[2:3], v[4:5]
	ds_load_b128 v[2:5], v1 offset:1104
	ds_load_b128 v[26:29], v1 offset:1120
	v_fma_f64 v[32:33], v[32:33], v[6:7], v[110:111]
	v_fma_f64 v[6:7], v[30:31], v[6:7], -v[8:9]
	s_wait_loadcnt_dscnt 0x301
	v_mul_f64_e32 v[114:115], v[2:3], v[12:13]
	v_mul_f64_e32 v[12:13], v[4:5], v[12:13]
	v_add_f64_e32 v[8:9], 0, v[108:109]
	v_add_f64_e32 v[30:31], 0, v[112:113]
	s_wait_loadcnt_dscnt 0x200
	v_mul_f64_e32 v[108:109], v[26:27], v[16:17]
	v_mul_f64_e32 v[16:17], v[28:29], v[16:17]
	v_fma_f64 v[110:111], v[4:5], v[10:11], v[114:115]
	v_fma_f64 v[10:11], v[2:3], v[10:11], -v[12:13]
	ds_load_b128 v[2:5], v1 offset:1136
	v_add_f64_e32 v[6:7], v[8:9], v[6:7]
	v_add_f64_e32 v[8:9], v[30:31], v[32:33]
	v_fma_f64 v[28:29], v[28:29], v[14:15], v[108:109]
	v_fma_f64 v[14:15], v[26:27], v[14:15], -v[16:17]
	s_wait_loadcnt_dscnt 0x100
	v_mul_f64_e32 v[12:13], v[2:3], v[20:21]
	v_mul_f64_e32 v[20:21], v[4:5], v[20:21]
	v_add_f64_e32 v[6:7], v[6:7], v[10:11]
	v_add_f64_e32 v[8:9], v[8:9], v[110:111]
	s_delay_alu instid0(VALU_DEP_4) | instskip(NEXT) | instid1(VALU_DEP_4)
	v_fma_f64 v[4:5], v[4:5], v[18:19], v[12:13]
	v_fma_f64 v[2:3], v[2:3], v[18:19], -v[20:21]
	s_delay_alu instid0(VALU_DEP_4) | instskip(NEXT) | instid1(VALU_DEP_4)
	v_add_f64_e32 v[6:7], v[6:7], v[14:15]
	v_add_f64_e32 v[8:9], v[8:9], v[28:29]
	s_delay_alu instid0(VALU_DEP_2) | instskip(NEXT) | instid1(VALU_DEP_2)
	v_add_f64_e32 v[2:3], v[6:7], v[2:3]
	v_add_f64_e32 v[4:5], v[8:9], v[4:5]
	s_wait_loadcnt 0x0
	s_delay_alu instid0(VALU_DEP_2) | instskip(NEXT) | instid1(VALU_DEP_2)
	v_add_f64_e64 v[2:3], v[22:23], -v[2:3]
	v_add_f64_e64 v[4:5], v[24:25], -v[4:5]
	scratch_store_b128 off, v[2:5], off offset:496
	v_cmpx_lt_u32_e32 29, v0
	s_cbranch_execz .LBB99_171
; %bb.170:
	scratch_load_b128 v[5:8], off, s21
	v_dual_mov_b32 v2, v1 :: v_dual_mov_b32 v3, v1
	v_mov_b32_e32 v4, v1
	scratch_store_b128 off, v[1:4], off offset:480
	s_wait_loadcnt 0x0
	ds_store_b128 v34, v[5:8]
.LBB99_171:
	s_wait_alu 0xfffe
	s_or_b32 exec_lo, exec_lo, s0
	s_wait_storecnt_dscnt 0x0
	s_barrier_signal -1
	s_barrier_wait -1
	global_inv scope:SCOPE_SE
	s_clause 0x5
	scratch_load_b128 v[2:5], off, off offset:496
	scratch_load_b128 v[6:9], off, off offset:512
	scratch_load_b128 v[10:13], off, off offset:528
	scratch_load_b128 v[14:17], off, off offset:544
	scratch_load_b128 v[18:21], off, off offset:560
	scratch_load_b128 v[22:25], off, off offset:576
	ds_load_b128 v[26:29], v1 offset:1056
	ds_load_b128 v[108:111], v1 offset:1072
	scratch_load_b128 v[30:33], off, off offset:480
	s_mov_b32 s0, exec_lo
	s_wait_loadcnt_dscnt 0x601
	v_mul_f64_e32 v[112:113], v[28:29], v[4:5]
	v_mul_f64_e32 v[4:5], v[26:27], v[4:5]
	s_wait_loadcnt_dscnt 0x500
	v_mul_f64_e32 v[114:115], v[108:109], v[8:9]
	v_mul_f64_e32 v[8:9], v[110:111], v[8:9]
	s_delay_alu instid0(VALU_DEP_4) | instskip(NEXT) | instid1(VALU_DEP_4)
	v_fma_f64 v[112:113], v[26:27], v[2:3], -v[112:113]
	v_fma_f64 v[116:117], v[28:29], v[2:3], v[4:5]
	ds_load_b128 v[2:5], v1 offset:1088
	ds_load_b128 v[26:29], v1 offset:1104
	v_fma_f64 v[110:111], v[110:111], v[6:7], v[114:115]
	v_fma_f64 v[6:7], v[108:109], v[6:7], -v[8:9]
	s_wait_loadcnt_dscnt 0x401
	v_mul_f64_e32 v[118:119], v[2:3], v[12:13]
	v_mul_f64_e32 v[12:13], v[4:5], v[12:13]
	v_add_f64_e32 v[8:9], 0, v[112:113]
	v_add_f64_e32 v[108:109], 0, v[116:117]
	s_wait_loadcnt_dscnt 0x300
	v_mul_f64_e32 v[112:113], v[26:27], v[16:17]
	v_mul_f64_e32 v[16:17], v[28:29], v[16:17]
	v_fma_f64 v[114:115], v[4:5], v[10:11], v[118:119]
	v_fma_f64 v[10:11], v[2:3], v[10:11], -v[12:13]
	v_add_f64_e32 v[12:13], v[8:9], v[6:7]
	v_add_f64_e32 v[108:109], v[108:109], v[110:111]
	ds_load_b128 v[2:5], v1 offset:1120
	ds_load_b128 v[6:9], v1 offset:1136
	v_fma_f64 v[28:29], v[28:29], v[14:15], v[112:113]
	v_fma_f64 v[14:15], v[26:27], v[14:15], -v[16:17]
	s_wait_loadcnt_dscnt 0x201
	v_mul_f64_e32 v[110:111], v[2:3], v[20:21]
	v_mul_f64_e32 v[20:21], v[4:5], v[20:21]
	s_wait_loadcnt_dscnt 0x100
	v_mul_f64_e32 v[16:17], v[6:7], v[24:25]
	v_mul_f64_e32 v[24:25], v[8:9], v[24:25]
	v_add_f64_e32 v[10:11], v[12:13], v[10:11]
	v_add_f64_e32 v[12:13], v[108:109], v[114:115]
	v_fma_f64 v[4:5], v[4:5], v[18:19], v[110:111]
	v_fma_f64 v[1:2], v[2:3], v[18:19], -v[20:21]
	v_fma_f64 v[8:9], v[8:9], v[22:23], v[16:17]
	v_fma_f64 v[6:7], v[6:7], v[22:23], -v[24:25]
	v_add_f64_e32 v[10:11], v[10:11], v[14:15]
	v_add_f64_e32 v[12:13], v[12:13], v[28:29]
	s_delay_alu instid0(VALU_DEP_2) | instskip(NEXT) | instid1(VALU_DEP_2)
	v_add_f64_e32 v[1:2], v[10:11], v[1:2]
	v_add_f64_e32 v[3:4], v[12:13], v[4:5]
	s_delay_alu instid0(VALU_DEP_2) | instskip(NEXT) | instid1(VALU_DEP_2)
	v_add_f64_e32 v[1:2], v[1:2], v[6:7]
	v_add_f64_e32 v[3:4], v[3:4], v[8:9]
	s_wait_loadcnt 0x0
	s_delay_alu instid0(VALU_DEP_2) | instskip(NEXT) | instid1(VALU_DEP_2)
	v_add_f64_e64 v[1:2], v[30:31], -v[1:2]
	v_add_f64_e64 v[3:4], v[32:33], -v[3:4]
	scratch_store_b128 off, v[1:4], off offset:480
	v_cmpx_lt_u32_e32 28, v0
	s_cbranch_execz .LBB99_173
; %bb.172:
	scratch_load_b128 v[1:4], off, s39
	v_mov_b32_e32 v5, 0
	s_delay_alu instid0(VALU_DEP_1)
	v_dual_mov_b32 v6, v5 :: v_dual_mov_b32 v7, v5
	v_mov_b32_e32 v8, v5
	scratch_store_b128 off, v[5:8], off offset:464
	s_wait_loadcnt 0x0
	ds_store_b128 v34, v[1:4]
.LBB99_173:
	s_wait_alu 0xfffe
	s_or_b32 exec_lo, exec_lo, s0
	s_wait_storecnt_dscnt 0x0
	s_barrier_signal -1
	s_barrier_wait -1
	global_inv scope:SCOPE_SE
	s_clause 0x6
	scratch_load_b128 v[2:5], off, off offset:480
	scratch_load_b128 v[6:9], off, off offset:496
	;; [unrolled: 1-line block ×7, first 2 shown]
	v_mov_b32_e32 v1, 0
	scratch_load_b128 v[108:111], off, off offset:464
	s_mov_b32 s0, exec_lo
	ds_load_b128 v[30:33], v1 offset:1040
	ds_load_b128 v[112:115], v1 offset:1056
	s_wait_loadcnt_dscnt 0x701
	v_mul_f64_e32 v[116:117], v[32:33], v[4:5]
	v_mul_f64_e32 v[4:5], v[30:31], v[4:5]
	s_wait_loadcnt_dscnt 0x600
	v_mul_f64_e32 v[118:119], v[112:113], v[8:9]
	v_mul_f64_e32 v[8:9], v[114:115], v[8:9]
	s_delay_alu instid0(VALU_DEP_4) | instskip(NEXT) | instid1(VALU_DEP_4)
	v_fma_f64 v[116:117], v[30:31], v[2:3], -v[116:117]
	v_fma_f64 v[120:121], v[32:33], v[2:3], v[4:5]
	ds_load_b128 v[2:5], v1 offset:1072
	ds_load_b128 v[30:33], v1 offset:1088
	v_fma_f64 v[114:115], v[114:115], v[6:7], v[118:119]
	v_fma_f64 v[6:7], v[112:113], v[6:7], -v[8:9]
	s_wait_loadcnt_dscnt 0x501
	v_mul_f64_e32 v[122:123], v[2:3], v[12:13]
	v_mul_f64_e32 v[12:13], v[4:5], v[12:13]
	v_add_f64_e32 v[8:9], 0, v[116:117]
	v_add_f64_e32 v[112:113], 0, v[120:121]
	s_wait_loadcnt_dscnt 0x400
	v_mul_f64_e32 v[116:117], v[30:31], v[16:17]
	v_mul_f64_e32 v[16:17], v[32:33], v[16:17]
	v_fma_f64 v[118:119], v[4:5], v[10:11], v[122:123]
	v_fma_f64 v[10:11], v[2:3], v[10:11], -v[12:13]
	v_add_f64_e32 v[12:13], v[8:9], v[6:7]
	v_add_f64_e32 v[112:113], v[112:113], v[114:115]
	ds_load_b128 v[2:5], v1 offset:1104
	ds_load_b128 v[6:9], v1 offset:1120
	v_fma_f64 v[32:33], v[32:33], v[14:15], v[116:117]
	v_fma_f64 v[14:15], v[30:31], v[14:15], -v[16:17]
	s_wait_loadcnt_dscnt 0x301
	v_mul_f64_e32 v[114:115], v[2:3], v[20:21]
	v_mul_f64_e32 v[20:21], v[4:5], v[20:21]
	s_wait_loadcnt_dscnt 0x200
	v_mul_f64_e32 v[16:17], v[6:7], v[24:25]
	v_mul_f64_e32 v[24:25], v[8:9], v[24:25]
	v_add_f64_e32 v[10:11], v[12:13], v[10:11]
	v_add_f64_e32 v[12:13], v[112:113], v[118:119]
	v_fma_f64 v[30:31], v[4:5], v[18:19], v[114:115]
	v_fma_f64 v[18:19], v[2:3], v[18:19], -v[20:21]
	ds_load_b128 v[2:5], v1 offset:1136
	v_fma_f64 v[8:9], v[8:9], v[22:23], v[16:17]
	v_fma_f64 v[6:7], v[6:7], v[22:23], -v[24:25]
	v_add_f64_e32 v[10:11], v[10:11], v[14:15]
	v_add_f64_e32 v[12:13], v[12:13], v[32:33]
	s_wait_loadcnt_dscnt 0x100
	v_mul_f64_e32 v[14:15], v[2:3], v[28:29]
	v_mul_f64_e32 v[20:21], v[4:5], v[28:29]
	s_delay_alu instid0(VALU_DEP_4) | instskip(NEXT) | instid1(VALU_DEP_4)
	v_add_f64_e32 v[10:11], v[10:11], v[18:19]
	v_add_f64_e32 v[12:13], v[12:13], v[30:31]
	s_delay_alu instid0(VALU_DEP_4) | instskip(NEXT) | instid1(VALU_DEP_4)
	v_fma_f64 v[4:5], v[4:5], v[26:27], v[14:15]
	v_fma_f64 v[2:3], v[2:3], v[26:27], -v[20:21]
	s_delay_alu instid0(VALU_DEP_4) | instskip(NEXT) | instid1(VALU_DEP_4)
	v_add_f64_e32 v[6:7], v[10:11], v[6:7]
	v_add_f64_e32 v[8:9], v[12:13], v[8:9]
	s_delay_alu instid0(VALU_DEP_2) | instskip(NEXT) | instid1(VALU_DEP_2)
	v_add_f64_e32 v[2:3], v[6:7], v[2:3]
	v_add_f64_e32 v[4:5], v[8:9], v[4:5]
	s_wait_loadcnt 0x0
	s_delay_alu instid0(VALU_DEP_2) | instskip(NEXT) | instid1(VALU_DEP_2)
	v_add_f64_e64 v[2:3], v[108:109], -v[2:3]
	v_add_f64_e64 v[4:5], v[110:111], -v[4:5]
	scratch_store_b128 off, v[2:5], off offset:464
	v_cmpx_lt_u32_e32 27, v0
	s_cbranch_execz .LBB99_175
; %bb.174:
	scratch_load_b128 v[5:8], off, s20
	v_dual_mov_b32 v2, v1 :: v_dual_mov_b32 v3, v1
	v_mov_b32_e32 v4, v1
	scratch_store_b128 off, v[1:4], off offset:448
	s_wait_loadcnt 0x0
	ds_store_b128 v34, v[5:8]
.LBB99_175:
	s_wait_alu 0xfffe
	s_or_b32 exec_lo, exec_lo, s0
	s_wait_storecnt_dscnt 0x0
	s_barrier_signal -1
	s_barrier_wait -1
	global_inv scope:SCOPE_SE
	s_clause 0x7
	scratch_load_b128 v[2:5], off, off offset:464
	scratch_load_b128 v[6:9], off, off offset:480
	;; [unrolled: 1-line block ×8, first 2 shown]
	ds_load_b128 v[108:111], v1 offset:1024
	ds_load_b128 v[112:115], v1 offset:1040
	scratch_load_b128 v[116:119], off, off offset:448
	s_mov_b32 s0, exec_lo
	s_wait_loadcnt_dscnt 0x801
	v_mul_f64_e32 v[120:121], v[110:111], v[4:5]
	v_mul_f64_e32 v[4:5], v[108:109], v[4:5]
	s_wait_loadcnt_dscnt 0x700
	v_mul_f64_e32 v[122:123], v[112:113], v[8:9]
	v_mul_f64_e32 v[8:9], v[114:115], v[8:9]
	s_delay_alu instid0(VALU_DEP_4) | instskip(NEXT) | instid1(VALU_DEP_4)
	v_fma_f64 v[120:121], v[108:109], v[2:3], -v[120:121]
	v_fma_f64 v[124:125], v[110:111], v[2:3], v[4:5]
	ds_load_b128 v[2:5], v1 offset:1056
	ds_load_b128 v[108:111], v1 offset:1072
	v_fma_f64 v[114:115], v[114:115], v[6:7], v[122:123]
	v_fma_f64 v[6:7], v[112:113], v[6:7], -v[8:9]
	s_wait_loadcnt_dscnt 0x601
	v_mul_f64_e32 v[126:127], v[2:3], v[12:13]
	v_mul_f64_e32 v[12:13], v[4:5], v[12:13]
	v_add_f64_e32 v[8:9], 0, v[120:121]
	v_add_f64_e32 v[112:113], 0, v[124:125]
	s_wait_loadcnt_dscnt 0x500
	v_mul_f64_e32 v[120:121], v[108:109], v[16:17]
	v_mul_f64_e32 v[16:17], v[110:111], v[16:17]
	v_fma_f64 v[122:123], v[4:5], v[10:11], v[126:127]
	v_fma_f64 v[10:11], v[2:3], v[10:11], -v[12:13]
	v_add_f64_e32 v[12:13], v[8:9], v[6:7]
	v_add_f64_e32 v[112:113], v[112:113], v[114:115]
	ds_load_b128 v[2:5], v1 offset:1088
	ds_load_b128 v[6:9], v1 offset:1104
	v_fma_f64 v[110:111], v[110:111], v[14:15], v[120:121]
	v_fma_f64 v[14:15], v[108:109], v[14:15], -v[16:17]
	s_wait_loadcnt_dscnt 0x401
	v_mul_f64_e32 v[114:115], v[2:3], v[20:21]
	v_mul_f64_e32 v[20:21], v[4:5], v[20:21]
	s_wait_loadcnt_dscnt 0x300
	v_mul_f64_e32 v[16:17], v[6:7], v[24:25]
	v_mul_f64_e32 v[24:25], v[8:9], v[24:25]
	v_add_f64_e32 v[10:11], v[12:13], v[10:11]
	v_add_f64_e32 v[12:13], v[112:113], v[122:123]
	v_fma_f64 v[108:109], v[4:5], v[18:19], v[114:115]
	v_fma_f64 v[18:19], v[2:3], v[18:19], -v[20:21]
	v_fma_f64 v[8:9], v[8:9], v[22:23], v[16:17]
	v_fma_f64 v[6:7], v[6:7], v[22:23], -v[24:25]
	v_add_f64_e32 v[14:15], v[10:11], v[14:15]
	v_add_f64_e32 v[20:21], v[12:13], v[110:111]
	ds_load_b128 v[2:5], v1 offset:1120
	ds_load_b128 v[10:13], v1 offset:1136
	s_wait_loadcnt_dscnt 0x201
	v_mul_f64_e32 v[110:111], v[2:3], v[28:29]
	v_mul_f64_e32 v[28:29], v[4:5], v[28:29]
	v_add_f64_e32 v[14:15], v[14:15], v[18:19]
	v_add_f64_e32 v[16:17], v[20:21], v[108:109]
	s_wait_loadcnt_dscnt 0x100
	v_mul_f64_e32 v[18:19], v[10:11], v[32:33]
	v_mul_f64_e32 v[20:21], v[12:13], v[32:33]
	v_fma_f64 v[4:5], v[4:5], v[26:27], v[110:111]
	v_fma_f64 v[1:2], v[2:3], v[26:27], -v[28:29]
	v_add_f64_e32 v[6:7], v[14:15], v[6:7]
	v_add_f64_e32 v[8:9], v[16:17], v[8:9]
	v_fma_f64 v[12:13], v[12:13], v[30:31], v[18:19]
	v_fma_f64 v[10:11], v[10:11], v[30:31], -v[20:21]
	s_delay_alu instid0(VALU_DEP_4) | instskip(NEXT) | instid1(VALU_DEP_4)
	v_add_f64_e32 v[1:2], v[6:7], v[1:2]
	v_add_f64_e32 v[3:4], v[8:9], v[4:5]
	s_delay_alu instid0(VALU_DEP_2) | instskip(NEXT) | instid1(VALU_DEP_2)
	v_add_f64_e32 v[1:2], v[1:2], v[10:11]
	v_add_f64_e32 v[3:4], v[3:4], v[12:13]
	s_wait_loadcnt 0x0
	s_delay_alu instid0(VALU_DEP_2) | instskip(NEXT) | instid1(VALU_DEP_2)
	v_add_f64_e64 v[1:2], v[116:117], -v[1:2]
	v_add_f64_e64 v[3:4], v[118:119], -v[3:4]
	scratch_store_b128 off, v[1:4], off offset:448
	v_cmpx_lt_u32_e32 26, v0
	s_cbranch_execz .LBB99_177
; %bb.176:
	scratch_load_b128 v[1:4], off, s38
	v_mov_b32_e32 v5, 0
	s_delay_alu instid0(VALU_DEP_1)
	v_dual_mov_b32 v6, v5 :: v_dual_mov_b32 v7, v5
	v_mov_b32_e32 v8, v5
	scratch_store_b128 off, v[5:8], off offset:432
	s_wait_loadcnt 0x0
	ds_store_b128 v34, v[1:4]
.LBB99_177:
	s_wait_alu 0xfffe
	s_or_b32 exec_lo, exec_lo, s0
	s_wait_storecnt_dscnt 0x0
	s_barrier_signal -1
	s_barrier_wait -1
	global_inv scope:SCOPE_SE
	s_clause 0x7
	scratch_load_b128 v[2:5], off, off offset:448
	scratch_load_b128 v[6:9], off, off offset:464
	;; [unrolled: 1-line block ×8, first 2 shown]
	v_mov_b32_e32 v1, 0
	s_mov_b32 s0, exec_lo
	ds_load_b128 v[108:111], v1 offset:1008
	s_clause 0x1
	scratch_load_b128 v[112:115], off, off offset:576
	scratch_load_b128 v[116:119], off, off offset:432
	ds_load_b128 v[120:123], v1 offset:1024
	s_wait_loadcnt_dscnt 0x901
	v_mul_f64_e32 v[124:125], v[110:111], v[4:5]
	v_mul_f64_e32 v[4:5], v[108:109], v[4:5]
	s_wait_loadcnt_dscnt 0x800
	v_mul_f64_e32 v[126:127], v[120:121], v[8:9]
	v_mul_f64_e32 v[8:9], v[122:123], v[8:9]
	s_delay_alu instid0(VALU_DEP_4) | instskip(NEXT) | instid1(VALU_DEP_4)
	v_fma_f64 v[124:125], v[108:109], v[2:3], -v[124:125]
	v_fma_f64 v[128:129], v[110:111], v[2:3], v[4:5]
	ds_load_b128 v[2:5], v1 offset:1040
	ds_load_b128 v[108:111], v1 offset:1056
	v_fma_f64 v[122:123], v[122:123], v[6:7], v[126:127]
	v_fma_f64 v[6:7], v[120:121], v[6:7], -v[8:9]
	s_wait_loadcnt_dscnt 0x701
	v_mul_f64_e32 v[130:131], v[2:3], v[12:13]
	v_mul_f64_e32 v[12:13], v[4:5], v[12:13]
	v_add_f64_e32 v[8:9], 0, v[124:125]
	v_add_f64_e32 v[120:121], 0, v[128:129]
	s_wait_loadcnt_dscnt 0x600
	v_mul_f64_e32 v[124:125], v[108:109], v[16:17]
	v_mul_f64_e32 v[16:17], v[110:111], v[16:17]
	v_fma_f64 v[126:127], v[4:5], v[10:11], v[130:131]
	v_fma_f64 v[10:11], v[2:3], v[10:11], -v[12:13]
	v_add_f64_e32 v[12:13], v[8:9], v[6:7]
	v_add_f64_e32 v[120:121], v[120:121], v[122:123]
	ds_load_b128 v[2:5], v1 offset:1072
	ds_load_b128 v[6:9], v1 offset:1088
	v_fma_f64 v[110:111], v[110:111], v[14:15], v[124:125]
	v_fma_f64 v[14:15], v[108:109], v[14:15], -v[16:17]
	s_wait_loadcnt_dscnt 0x501
	v_mul_f64_e32 v[122:123], v[2:3], v[20:21]
	v_mul_f64_e32 v[20:21], v[4:5], v[20:21]
	s_wait_loadcnt_dscnt 0x400
	v_mul_f64_e32 v[16:17], v[6:7], v[24:25]
	v_mul_f64_e32 v[24:25], v[8:9], v[24:25]
	v_add_f64_e32 v[10:11], v[12:13], v[10:11]
	v_add_f64_e32 v[12:13], v[120:121], v[126:127]
	v_fma_f64 v[108:109], v[4:5], v[18:19], v[122:123]
	v_fma_f64 v[18:19], v[2:3], v[18:19], -v[20:21]
	v_fma_f64 v[8:9], v[8:9], v[22:23], v[16:17]
	v_fma_f64 v[6:7], v[6:7], v[22:23], -v[24:25]
	v_add_f64_e32 v[14:15], v[10:11], v[14:15]
	v_add_f64_e32 v[20:21], v[12:13], v[110:111]
	ds_load_b128 v[2:5], v1 offset:1104
	ds_load_b128 v[10:13], v1 offset:1120
	s_wait_loadcnt_dscnt 0x301
	v_mul_f64_e32 v[110:111], v[2:3], v[28:29]
	v_mul_f64_e32 v[28:29], v[4:5], v[28:29]
	v_add_f64_e32 v[14:15], v[14:15], v[18:19]
	v_add_f64_e32 v[16:17], v[20:21], v[108:109]
	s_wait_loadcnt_dscnt 0x200
	v_mul_f64_e32 v[18:19], v[10:11], v[32:33]
	v_mul_f64_e32 v[20:21], v[12:13], v[32:33]
	v_fma_f64 v[22:23], v[4:5], v[26:27], v[110:111]
	v_fma_f64 v[24:25], v[2:3], v[26:27], -v[28:29]
	ds_load_b128 v[2:5], v1 offset:1136
	v_add_f64_e32 v[6:7], v[14:15], v[6:7]
	v_add_f64_e32 v[8:9], v[16:17], v[8:9]
	v_fma_f64 v[12:13], v[12:13], v[30:31], v[18:19]
	v_fma_f64 v[10:11], v[10:11], v[30:31], -v[20:21]
	s_wait_loadcnt_dscnt 0x100
	v_mul_f64_e32 v[14:15], v[2:3], v[114:115]
	v_mul_f64_e32 v[16:17], v[4:5], v[114:115]
	v_add_f64_e32 v[6:7], v[6:7], v[24:25]
	v_add_f64_e32 v[8:9], v[8:9], v[22:23]
	s_delay_alu instid0(VALU_DEP_4) | instskip(NEXT) | instid1(VALU_DEP_4)
	v_fma_f64 v[4:5], v[4:5], v[112:113], v[14:15]
	v_fma_f64 v[2:3], v[2:3], v[112:113], -v[16:17]
	s_delay_alu instid0(VALU_DEP_4) | instskip(NEXT) | instid1(VALU_DEP_4)
	v_add_f64_e32 v[6:7], v[6:7], v[10:11]
	v_add_f64_e32 v[8:9], v[8:9], v[12:13]
	s_delay_alu instid0(VALU_DEP_2) | instskip(NEXT) | instid1(VALU_DEP_2)
	v_add_f64_e32 v[2:3], v[6:7], v[2:3]
	v_add_f64_e32 v[4:5], v[8:9], v[4:5]
	s_wait_loadcnt 0x0
	s_delay_alu instid0(VALU_DEP_2) | instskip(NEXT) | instid1(VALU_DEP_2)
	v_add_f64_e64 v[2:3], v[116:117], -v[2:3]
	v_add_f64_e64 v[4:5], v[118:119], -v[4:5]
	scratch_store_b128 off, v[2:5], off offset:432
	v_cmpx_lt_u32_e32 25, v0
	s_cbranch_execz .LBB99_179
; %bb.178:
	scratch_load_b128 v[5:8], off, s19
	v_dual_mov_b32 v2, v1 :: v_dual_mov_b32 v3, v1
	v_mov_b32_e32 v4, v1
	scratch_store_b128 off, v[1:4], off offset:416
	s_wait_loadcnt 0x0
	ds_store_b128 v34, v[5:8]
.LBB99_179:
	s_wait_alu 0xfffe
	s_or_b32 exec_lo, exec_lo, s0
	s_wait_storecnt_dscnt 0x0
	s_barrier_signal -1
	s_barrier_wait -1
	global_inv scope:SCOPE_SE
	s_clause 0x8
	scratch_load_b128 v[2:5], off, off offset:432
	scratch_load_b128 v[6:9], off, off offset:448
	;; [unrolled: 1-line block ×9, first 2 shown]
	ds_load_b128 v[112:115], v1 offset:992
	ds_load_b128 v[116:119], v1 offset:1008
	s_clause 0x1
	scratch_load_b128 v[120:123], off, off offset:416
	scratch_load_b128 v[124:127], off, off offset:576
	s_mov_b32 s0, exec_lo
	s_wait_loadcnt_dscnt 0xa01
	v_mul_f64_e32 v[128:129], v[114:115], v[4:5]
	v_mul_f64_e32 v[4:5], v[112:113], v[4:5]
	s_wait_loadcnt_dscnt 0x900
	v_mul_f64_e32 v[130:131], v[116:117], v[8:9]
	v_mul_f64_e32 v[8:9], v[118:119], v[8:9]
	s_delay_alu instid0(VALU_DEP_4) | instskip(NEXT) | instid1(VALU_DEP_4)
	v_fma_f64 v[128:129], v[112:113], v[2:3], -v[128:129]
	v_fma_f64 v[132:133], v[114:115], v[2:3], v[4:5]
	ds_load_b128 v[2:5], v1 offset:1024
	ds_load_b128 v[112:115], v1 offset:1040
	v_fma_f64 v[118:119], v[118:119], v[6:7], v[130:131]
	v_fma_f64 v[6:7], v[116:117], v[6:7], -v[8:9]
	s_wait_loadcnt_dscnt 0x801
	v_mul_f64_e32 v[134:135], v[2:3], v[12:13]
	v_mul_f64_e32 v[12:13], v[4:5], v[12:13]
	v_add_f64_e32 v[8:9], 0, v[128:129]
	v_add_f64_e32 v[116:117], 0, v[132:133]
	s_wait_loadcnt_dscnt 0x700
	v_mul_f64_e32 v[128:129], v[112:113], v[16:17]
	v_mul_f64_e32 v[16:17], v[114:115], v[16:17]
	v_fma_f64 v[130:131], v[4:5], v[10:11], v[134:135]
	v_fma_f64 v[10:11], v[2:3], v[10:11], -v[12:13]
	v_add_f64_e32 v[12:13], v[8:9], v[6:7]
	v_add_f64_e32 v[116:117], v[116:117], v[118:119]
	ds_load_b128 v[2:5], v1 offset:1056
	ds_load_b128 v[6:9], v1 offset:1072
	v_fma_f64 v[114:115], v[114:115], v[14:15], v[128:129]
	v_fma_f64 v[14:15], v[112:113], v[14:15], -v[16:17]
	s_wait_loadcnt_dscnt 0x601
	v_mul_f64_e32 v[118:119], v[2:3], v[20:21]
	v_mul_f64_e32 v[20:21], v[4:5], v[20:21]
	s_wait_loadcnt_dscnt 0x500
	v_mul_f64_e32 v[16:17], v[6:7], v[24:25]
	v_mul_f64_e32 v[24:25], v[8:9], v[24:25]
	v_add_f64_e32 v[10:11], v[12:13], v[10:11]
	v_add_f64_e32 v[12:13], v[116:117], v[130:131]
	v_fma_f64 v[112:113], v[4:5], v[18:19], v[118:119]
	v_fma_f64 v[18:19], v[2:3], v[18:19], -v[20:21]
	v_fma_f64 v[8:9], v[8:9], v[22:23], v[16:17]
	v_fma_f64 v[6:7], v[6:7], v[22:23], -v[24:25]
	v_add_f64_e32 v[14:15], v[10:11], v[14:15]
	v_add_f64_e32 v[20:21], v[12:13], v[114:115]
	ds_load_b128 v[2:5], v1 offset:1088
	ds_load_b128 v[10:13], v1 offset:1104
	s_wait_loadcnt_dscnt 0x401
	v_mul_f64_e32 v[114:115], v[2:3], v[28:29]
	v_mul_f64_e32 v[28:29], v[4:5], v[28:29]
	v_add_f64_e32 v[14:15], v[14:15], v[18:19]
	v_add_f64_e32 v[16:17], v[20:21], v[112:113]
	s_wait_loadcnt_dscnt 0x300
	v_mul_f64_e32 v[18:19], v[10:11], v[32:33]
	v_mul_f64_e32 v[20:21], v[12:13], v[32:33]
	v_fma_f64 v[22:23], v[4:5], v[26:27], v[114:115]
	v_fma_f64 v[24:25], v[2:3], v[26:27], -v[28:29]
	v_add_f64_e32 v[14:15], v[14:15], v[6:7]
	v_add_f64_e32 v[16:17], v[16:17], v[8:9]
	ds_load_b128 v[2:5], v1 offset:1120
	ds_load_b128 v[6:9], v1 offset:1136
	v_fma_f64 v[12:13], v[12:13], v[30:31], v[18:19]
	v_fma_f64 v[10:11], v[10:11], v[30:31], -v[20:21]
	s_wait_loadcnt_dscnt 0x201
	v_mul_f64_e32 v[26:27], v[2:3], v[110:111]
	v_mul_f64_e32 v[28:29], v[4:5], v[110:111]
	s_wait_loadcnt_dscnt 0x0
	v_mul_f64_e32 v[18:19], v[6:7], v[126:127]
	v_mul_f64_e32 v[20:21], v[8:9], v[126:127]
	v_add_f64_e32 v[14:15], v[14:15], v[24:25]
	v_add_f64_e32 v[16:17], v[16:17], v[22:23]
	v_fma_f64 v[4:5], v[4:5], v[108:109], v[26:27]
	v_fma_f64 v[1:2], v[2:3], v[108:109], -v[28:29]
	v_fma_f64 v[8:9], v[8:9], v[124:125], v[18:19]
	v_fma_f64 v[6:7], v[6:7], v[124:125], -v[20:21]
	v_add_f64_e32 v[10:11], v[14:15], v[10:11]
	v_add_f64_e32 v[12:13], v[16:17], v[12:13]
	s_delay_alu instid0(VALU_DEP_2) | instskip(NEXT) | instid1(VALU_DEP_2)
	v_add_f64_e32 v[1:2], v[10:11], v[1:2]
	v_add_f64_e32 v[3:4], v[12:13], v[4:5]
	s_delay_alu instid0(VALU_DEP_2) | instskip(NEXT) | instid1(VALU_DEP_2)
	;; [unrolled: 3-line block ×3, first 2 shown]
	v_add_f64_e64 v[1:2], v[120:121], -v[1:2]
	v_add_f64_e64 v[3:4], v[122:123], -v[3:4]
	scratch_store_b128 off, v[1:4], off offset:416
	v_cmpx_lt_u32_e32 24, v0
	s_cbranch_execz .LBB99_181
; %bb.180:
	scratch_load_b128 v[1:4], off, s37
	v_mov_b32_e32 v5, 0
	s_delay_alu instid0(VALU_DEP_1)
	v_dual_mov_b32 v6, v5 :: v_dual_mov_b32 v7, v5
	v_mov_b32_e32 v8, v5
	scratch_store_b128 off, v[5:8], off offset:400
	s_wait_loadcnt 0x0
	ds_store_b128 v34, v[1:4]
.LBB99_181:
	s_wait_alu 0xfffe
	s_or_b32 exec_lo, exec_lo, s0
	s_wait_storecnt_dscnt 0x0
	s_barrier_signal -1
	s_barrier_wait -1
	global_inv scope:SCOPE_SE
	s_clause 0x7
	scratch_load_b128 v[2:5], off, off offset:416
	scratch_load_b128 v[6:9], off, off offset:432
	;; [unrolled: 1-line block ×8, first 2 shown]
	v_mov_b32_e32 v1, 0
	s_mov_b32 s0, exec_lo
	ds_load_b128 v[108:111], v1 offset:976
	s_clause 0x1
	scratch_load_b128 v[112:115], off, off offset:544
	scratch_load_b128 v[116:119], off, off offset:400
	ds_load_b128 v[120:123], v1 offset:992
	scratch_load_b128 v[124:127], off, off offset:560
	s_wait_loadcnt_dscnt 0xa01
	v_mul_f64_e32 v[128:129], v[110:111], v[4:5]
	v_mul_f64_e32 v[4:5], v[108:109], v[4:5]
	s_delay_alu instid0(VALU_DEP_2) | instskip(NEXT) | instid1(VALU_DEP_2)
	v_fma_f64 v[134:135], v[108:109], v[2:3], -v[128:129]
	v_fma_f64 v[136:137], v[110:111], v[2:3], v[4:5]
	ds_load_b128 v[2:5], v1 offset:1008
	s_wait_loadcnt_dscnt 0x901
	v_mul_f64_e32 v[132:133], v[120:121], v[8:9]
	v_mul_f64_e32 v[8:9], v[122:123], v[8:9]
	scratch_load_b128 v[108:111], off, off offset:576
	ds_load_b128 v[128:131], v1 offset:1024
	s_wait_loadcnt_dscnt 0x901
	v_mul_f64_e32 v[138:139], v[2:3], v[12:13]
	v_mul_f64_e32 v[12:13], v[4:5], v[12:13]
	v_fma_f64 v[122:123], v[122:123], v[6:7], v[132:133]
	v_fma_f64 v[6:7], v[120:121], v[6:7], -v[8:9]
	v_add_f64_e32 v[8:9], 0, v[134:135]
	v_add_f64_e32 v[120:121], 0, v[136:137]
	s_wait_loadcnt_dscnt 0x800
	v_mul_f64_e32 v[132:133], v[128:129], v[16:17]
	v_mul_f64_e32 v[16:17], v[130:131], v[16:17]
	v_fma_f64 v[134:135], v[4:5], v[10:11], v[138:139]
	v_fma_f64 v[10:11], v[2:3], v[10:11], -v[12:13]
	v_add_f64_e32 v[12:13], v[8:9], v[6:7]
	v_add_f64_e32 v[120:121], v[120:121], v[122:123]
	ds_load_b128 v[2:5], v1 offset:1040
	ds_load_b128 v[6:9], v1 offset:1056
	v_fma_f64 v[130:131], v[130:131], v[14:15], v[132:133]
	v_fma_f64 v[14:15], v[128:129], v[14:15], -v[16:17]
	s_wait_loadcnt_dscnt 0x701
	v_mul_f64_e32 v[122:123], v[2:3], v[20:21]
	v_mul_f64_e32 v[20:21], v[4:5], v[20:21]
	s_wait_loadcnt_dscnt 0x600
	v_mul_f64_e32 v[16:17], v[6:7], v[24:25]
	v_mul_f64_e32 v[24:25], v[8:9], v[24:25]
	v_add_f64_e32 v[10:11], v[12:13], v[10:11]
	v_add_f64_e32 v[12:13], v[120:121], v[134:135]
	v_fma_f64 v[120:121], v[4:5], v[18:19], v[122:123]
	v_fma_f64 v[18:19], v[2:3], v[18:19], -v[20:21]
	v_fma_f64 v[8:9], v[8:9], v[22:23], v[16:17]
	v_fma_f64 v[6:7], v[6:7], v[22:23], -v[24:25]
	v_add_f64_e32 v[14:15], v[10:11], v[14:15]
	v_add_f64_e32 v[20:21], v[12:13], v[130:131]
	ds_load_b128 v[2:5], v1 offset:1072
	ds_load_b128 v[10:13], v1 offset:1088
	s_wait_loadcnt_dscnt 0x501
	v_mul_f64_e32 v[122:123], v[2:3], v[28:29]
	v_mul_f64_e32 v[28:29], v[4:5], v[28:29]
	v_add_f64_e32 v[14:15], v[14:15], v[18:19]
	v_add_f64_e32 v[16:17], v[20:21], v[120:121]
	s_wait_loadcnt_dscnt 0x400
	v_mul_f64_e32 v[18:19], v[10:11], v[32:33]
	v_mul_f64_e32 v[20:21], v[12:13], v[32:33]
	v_fma_f64 v[22:23], v[4:5], v[26:27], v[122:123]
	v_fma_f64 v[24:25], v[2:3], v[26:27], -v[28:29]
	v_add_f64_e32 v[14:15], v[14:15], v[6:7]
	v_add_f64_e32 v[16:17], v[16:17], v[8:9]
	ds_load_b128 v[2:5], v1 offset:1104
	ds_load_b128 v[6:9], v1 offset:1120
	v_fma_f64 v[12:13], v[12:13], v[30:31], v[18:19]
	v_fma_f64 v[10:11], v[10:11], v[30:31], -v[20:21]
	s_wait_loadcnt_dscnt 0x301
	v_mul_f64_e32 v[26:27], v[2:3], v[114:115]
	v_mul_f64_e32 v[28:29], v[4:5], v[114:115]
	s_wait_loadcnt_dscnt 0x100
	v_mul_f64_e32 v[18:19], v[6:7], v[126:127]
	v_mul_f64_e32 v[20:21], v[8:9], v[126:127]
	v_add_f64_e32 v[14:15], v[14:15], v[24:25]
	v_add_f64_e32 v[16:17], v[16:17], v[22:23]
	v_fma_f64 v[22:23], v[4:5], v[112:113], v[26:27]
	v_fma_f64 v[24:25], v[2:3], v[112:113], -v[28:29]
	ds_load_b128 v[2:5], v1 offset:1136
	v_fma_f64 v[8:9], v[8:9], v[124:125], v[18:19]
	v_fma_f64 v[6:7], v[6:7], v[124:125], -v[20:21]
	v_add_f64_e32 v[10:11], v[14:15], v[10:11]
	v_add_f64_e32 v[12:13], v[16:17], v[12:13]
	s_wait_loadcnt_dscnt 0x0
	v_mul_f64_e32 v[14:15], v[2:3], v[110:111]
	v_mul_f64_e32 v[16:17], v[4:5], v[110:111]
	s_delay_alu instid0(VALU_DEP_4) | instskip(NEXT) | instid1(VALU_DEP_4)
	v_add_f64_e32 v[10:11], v[10:11], v[24:25]
	v_add_f64_e32 v[12:13], v[12:13], v[22:23]
	s_delay_alu instid0(VALU_DEP_4) | instskip(NEXT) | instid1(VALU_DEP_4)
	v_fma_f64 v[4:5], v[4:5], v[108:109], v[14:15]
	v_fma_f64 v[2:3], v[2:3], v[108:109], -v[16:17]
	s_delay_alu instid0(VALU_DEP_4) | instskip(NEXT) | instid1(VALU_DEP_4)
	v_add_f64_e32 v[6:7], v[10:11], v[6:7]
	v_add_f64_e32 v[8:9], v[12:13], v[8:9]
	s_delay_alu instid0(VALU_DEP_2) | instskip(NEXT) | instid1(VALU_DEP_2)
	v_add_f64_e32 v[2:3], v[6:7], v[2:3]
	v_add_f64_e32 v[4:5], v[8:9], v[4:5]
	s_delay_alu instid0(VALU_DEP_2) | instskip(NEXT) | instid1(VALU_DEP_2)
	v_add_f64_e64 v[2:3], v[116:117], -v[2:3]
	v_add_f64_e64 v[4:5], v[118:119], -v[4:5]
	scratch_store_b128 off, v[2:5], off offset:400
	v_cmpx_lt_u32_e32 23, v0
	s_cbranch_execz .LBB99_183
; %bb.182:
	scratch_load_b128 v[5:8], off, s18
	v_dual_mov_b32 v2, v1 :: v_dual_mov_b32 v3, v1
	v_mov_b32_e32 v4, v1
	scratch_store_b128 off, v[1:4], off offset:384
	s_wait_loadcnt 0x0
	ds_store_b128 v34, v[5:8]
.LBB99_183:
	s_wait_alu 0xfffe
	s_or_b32 exec_lo, exec_lo, s0
	s_wait_storecnt_dscnt 0x0
	s_barrier_signal -1
	s_barrier_wait -1
	global_inv scope:SCOPE_SE
	s_clause 0x8
	scratch_load_b128 v[2:5], off, off offset:400
	scratch_load_b128 v[6:9], off, off offset:416
	;; [unrolled: 1-line block ×9, first 2 shown]
	ds_load_b128 v[112:115], v1 offset:960
	ds_load_b128 v[116:119], v1 offset:976
	s_clause 0x1
	scratch_load_b128 v[120:123], off, off offset:384
	scratch_load_b128 v[124:127], off, off offset:544
	s_mov_b32 s0, exec_lo
	s_wait_loadcnt_dscnt 0xa01
	v_mul_f64_e32 v[128:129], v[114:115], v[4:5]
	v_mul_f64_e32 v[4:5], v[112:113], v[4:5]
	s_wait_loadcnt_dscnt 0x900
	v_mul_f64_e32 v[132:133], v[116:117], v[8:9]
	v_mul_f64_e32 v[8:9], v[118:119], v[8:9]
	s_delay_alu instid0(VALU_DEP_4) | instskip(NEXT) | instid1(VALU_DEP_4)
	v_fma_f64 v[134:135], v[112:113], v[2:3], -v[128:129]
	v_fma_f64 v[136:137], v[114:115], v[2:3], v[4:5]
	ds_load_b128 v[2:5], v1 offset:992
	ds_load_b128 v[128:131], v1 offset:1008
	scratch_load_b128 v[112:115], off, off offset:560
	v_fma_f64 v[118:119], v[118:119], v[6:7], v[132:133]
	v_fma_f64 v[116:117], v[116:117], v[6:7], -v[8:9]
	scratch_load_b128 v[6:9], off, off offset:576
	s_wait_loadcnt_dscnt 0xa01
	v_mul_f64_e32 v[138:139], v[2:3], v[12:13]
	v_mul_f64_e32 v[12:13], v[4:5], v[12:13]
	v_add_f64_e32 v[132:133], 0, v[134:135]
	v_add_f64_e32 v[134:135], 0, v[136:137]
	s_wait_loadcnt_dscnt 0x900
	v_mul_f64_e32 v[136:137], v[128:129], v[16:17]
	v_mul_f64_e32 v[16:17], v[130:131], v[16:17]
	v_fma_f64 v[138:139], v[4:5], v[10:11], v[138:139]
	v_fma_f64 v[140:141], v[2:3], v[10:11], -v[12:13]
	ds_load_b128 v[2:5], v1 offset:1024
	ds_load_b128 v[10:13], v1 offset:1040
	v_add_f64_e32 v[116:117], v[132:133], v[116:117]
	v_add_f64_e32 v[118:119], v[134:135], v[118:119]
	v_fma_f64 v[130:131], v[130:131], v[14:15], v[136:137]
	v_fma_f64 v[14:15], v[128:129], v[14:15], -v[16:17]
	s_wait_loadcnt_dscnt 0x801
	v_mul_f64_e32 v[132:133], v[2:3], v[20:21]
	v_mul_f64_e32 v[20:21], v[4:5], v[20:21]
	v_add_f64_e32 v[16:17], v[116:117], v[140:141]
	v_add_f64_e32 v[116:117], v[118:119], v[138:139]
	s_wait_loadcnt_dscnt 0x700
	v_mul_f64_e32 v[118:119], v[10:11], v[24:25]
	v_mul_f64_e32 v[24:25], v[12:13], v[24:25]
	v_fma_f64 v[128:129], v[4:5], v[18:19], v[132:133]
	v_fma_f64 v[18:19], v[2:3], v[18:19], -v[20:21]
	v_add_f64_e32 v[20:21], v[16:17], v[14:15]
	v_add_f64_e32 v[116:117], v[116:117], v[130:131]
	ds_load_b128 v[2:5], v1 offset:1056
	ds_load_b128 v[14:17], v1 offset:1072
	v_fma_f64 v[12:13], v[12:13], v[22:23], v[118:119]
	v_fma_f64 v[10:11], v[10:11], v[22:23], -v[24:25]
	s_wait_loadcnt_dscnt 0x601
	v_mul_f64_e32 v[130:131], v[2:3], v[28:29]
	v_mul_f64_e32 v[28:29], v[4:5], v[28:29]
	s_wait_loadcnt_dscnt 0x500
	v_mul_f64_e32 v[22:23], v[14:15], v[32:33]
	v_mul_f64_e32 v[24:25], v[16:17], v[32:33]
	v_add_f64_e32 v[18:19], v[20:21], v[18:19]
	v_add_f64_e32 v[20:21], v[116:117], v[128:129]
	v_fma_f64 v[32:33], v[4:5], v[26:27], v[130:131]
	v_fma_f64 v[26:27], v[2:3], v[26:27], -v[28:29]
	v_fma_f64 v[16:17], v[16:17], v[30:31], v[22:23]
	v_fma_f64 v[14:15], v[14:15], v[30:31], -v[24:25]
	v_add_f64_e32 v[18:19], v[18:19], v[10:11]
	v_add_f64_e32 v[20:21], v[20:21], v[12:13]
	ds_load_b128 v[2:5], v1 offset:1088
	ds_load_b128 v[10:13], v1 offset:1104
	s_wait_loadcnt_dscnt 0x401
	v_mul_f64_e32 v[28:29], v[2:3], v[110:111]
	v_mul_f64_e32 v[110:111], v[4:5], v[110:111]
	s_wait_loadcnt_dscnt 0x200
	v_mul_f64_e32 v[22:23], v[10:11], v[126:127]
	v_mul_f64_e32 v[24:25], v[12:13], v[126:127]
	v_add_f64_e32 v[18:19], v[18:19], v[26:27]
	v_add_f64_e32 v[20:21], v[20:21], v[32:33]
	v_fma_f64 v[26:27], v[4:5], v[108:109], v[28:29]
	v_fma_f64 v[28:29], v[2:3], v[108:109], -v[110:111]
	v_fma_f64 v[12:13], v[12:13], v[124:125], v[22:23]
	v_fma_f64 v[10:11], v[10:11], v[124:125], -v[24:25]
	v_add_f64_e32 v[18:19], v[18:19], v[14:15]
	v_add_f64_e32 v[20:21], v[20:21], v[16:17]
	ds_load_b128 v[2:5], v1 offset:1120
	ds_load_b128 v[14:17], v1 offset:1136
	s_wait_loadcnt_dscnt 0x101
	v_mul_f64_e32 v[30:31], v[2:3], v[114:115]
	v_mul_f64_e32 v[32:33], v[4:5], v[114:115]
	s_wait_loadcnt_dscnt 0x0
	v_mul_f64_e32 v[22:23], v[14:15], v[8:9]
	v_mul_f64_e32 v[8:9], v[16:17], v[8:9]
	v_add_f64_e32 v[18:19], v[18:19], v[28:29]
	v_add_f64_e32 v[20:21], v[20:21], v[26:27]
	v_fma_f64 v[4:5], v[4:5], v[112:113], v[30:31]
	v_fma_f64 v[1:2], v[2:3], v[112:113], -v[32:33]
	v_fma_f64 v[16:17], v[16:17], v[6:7], v[22:23]
	v_fma_f64 v[6:7], v[14:15], v[6:7], -v[8:9]
	v_add_f64_e32 v[10:11], v[18:19], v[10:11]
	v_add_f64_e32 v[12:13], v[20:21], v[12:13]
	s_delay_alu instid0(VALU_DEP_2) | instskip(NEXT) | instid1(VALU_DEP_2)
	v_add_f64_e32 v[1:2], v[10:11], v[1:2]
	v_add_f64_e32 v[3:4], v[12:13], v[4:5]
	s_delay_alu instid0(VALU_DEP_2) | instskip(NEXT) | instid1(VALU_DEP_2)
	;; [unrolled: 3-line block ×3, first 2 shown]
	v_add_f64_e64 v[1:2], v[120:121], -v[1:2]
	v_add_f64_e64 v[3:4], v[122:123], -v[3:4]
	scratch_store_b128 off, v[1:4], off offset:384
	v_cmpx_lt_u32_e32 22, v0
	s_cbranch_execz .LBB99_185
; %bb.184:
	scratch_load_b128 v[1:4], off, s36
	v_mov_b32_e32 v5, 0
	s_delay_alu instid0(VALU_DEP_1)
	v_dual_mov_b32 v6, v5 :: v_dual_mov_b32 v7, v5
	v_mov_b32_e32 v8, v5
	scratch_store_b128 off, v[5:8], off offset:368
	s_wait_loadcnt 0x0
	ds_store_b128 v34, v[1:4]
.LBB99_185:
	s_wait_alu 0xfffe
	s_or_b32 exec_lo, exec_lo, s0
	s_wait_storecnt_dscnt 0x0
	s_barrier_signal -1
	s_barrier_wait -1
	global_inv scope:SCOPE_SE
	s_clause 0x7
	scratch_load_b128 v[2:5], off, off offset:384
	scratch_load_b128 v[6:9], off, off offset:400
	scratch_load_b128 v[10:13], off, off offset:416
	scratch_load_b128 v[14:17], off, off offset:432
	scratch_load_b128 v[18:21], off, off offset:448
	scratch_load_b128 v[22:25], off, off offset:464
	scratch_load_b128 v[26:29], off, off offset:480
	scratch_load_b128 v[30:33], off, off offset:496
	v_mov_b32_e32 v1, 0
	s_mov_b32 s0, exec_lo
	ds_load_b128 v[108:111], v1 offset:944
	s_clause 0x1
	scratch_load_b128 v[112:115], off, off offset:512
	scratch_load_b128 v[116:119], off, off offset:368
	ds_load_b128 v[120:123], v1 offset:960
	scratch_load_b128 v[124:127], off, off offset:528
	s_wait_loadcnt_dscnt 0xa01
	v_mul_f64_e32 v[128:129], v[110:111], v[4:5]
	v_mul_f64_e32 v[4:5], v[108:109], v[4:5]
	s_delay_alu instid0(VALU_DEP_2) | instskip(NEXT) | instid1(VALU_DEP_2)
	v_fma_f64 v[134:135], v[108:109], v[2:3], -v[128:129]
	v_fma_f64 v[136:137], v[110:111], v[2:3], v[4:5]
	ds_load_b128 v[2:5], v1 offset:976
	s_wait_loadcnt_dscnt 0x901
	v_mul_f64_e32 v[132:133], v[120:121], v[8:9]
	v_mul_f64_e32 v[8:9], v[122:123], v[8:9]
	scratch_load_b128 v[108:111], off, off offset:544
	ds_load_b128 v[128:131], v1 offset:992
	s_wait_loadcnt_dscnt 0x901
	v_mul_f64_e32 v[138:139], v[2:3], v[12:13]
	v_mul_f64_e32 v[12:13], v[4:5], v[12:13]
	v_fma_f64 v[122:123], v[122:123], v[6:7], v[132:133]
	v_fma_f64 v[120:121], v[120:121], v[6:7], -v[8:9]
	v_add_f64_e32 v[132:133], 0, v[134:135]
	v_add_f64_e32 v[134:135], 0, v[136:137]
	scratch_load_b128 v[6:9], off, off offset:560
	v_fma_f64 v[138:139], v[4:5], v[10:11], v[138:139]
	v_fma_f64 v[140:141], v[2:3], v[10:11], -v[12:13]
	ds_load_b128 v[2:5], v1 offset:1008
	s_wait_loadcnt_dscnt 0x901
	v_mul_f64_e32 v[136:137], v[128:129], v[16:17]
	v_mul_f64_e32 v[16:17], v[130:131], v[16:17]
	scratch_load_b128 v[10:13], off, off offset:576
	v_add_f64_e32 v[132:133], v[132:133], v[120:121]
	v_add_f64_e32 v[134:135], v[134:135], v[122:123]
	s_wait_loadcnt_dscnt 0x900
	v_mul_f64_e32 v[142:143], v[2:3], v[20:21]
	v_mul_f64_e32 v[20:21], v[4:5], v[20:21]
	ds_load_b128 v[120:123], v1 offset:1024
	v_fma_f64 v[130:131], v[130:131], v[14:15], v[136:137]
	v_fma_f64 v[14:15], v[128:129], v[14:15], -v[16:17]
	v_add_f64_e32 v[16:17], v[132:133], v[140:141]
	v_add_f64_e32 v[128:129], v[134:135], v[138:139]
	s_wait_loadcnt_dscnt 0x800
	v_mul_f64_e32 v[132:133], v[120:121], v[24:25]
	v_mul_f64_e32 v[24:25], v[122:123], v[24:25]
	v_fma_f64 v[134:135], v[4:5], v[18:19], v[142:143]
	v_fma_f64 v[18:19], v[2:3], v[18:19], -v[20:21]
	v_add_f64_e32 v[20:21], v[16:17], v[14:15]
	v_add_f64_e32 v[128:129], v[128:129], v[130:131]
	ds_load_b128 v[2:5], v1 offset:1040
	ds_load_b128 v[14:17], v1 offset:1056
	v_fma_f64 v[122:123], v[122:123], v[22:23], v[132:133]
	v_fma_f64 v[22:23], v[120:121], v[22:23], -v[24:25]
	s_wait_loadcnt_dscnt 0x701
	v_mul_f64_e32 v[130:131], v[2:3], v[28:29]
	v_mul_f64_e32 v[28:29], v[4:5], v[28:29]
	s_wait_loadcnt_dscnt 0x600
	v_mul_f64_e32 v[24:25], v[14:15], v[32:33]
	v_mul_f64_e32 v[32:33], v[16:17], v[32:33]
	v_add_f64_e32 v[18:19], v[20:21], v[18:19]
	v_add_f64_e32 v[20:21], v[128:129], v[134:135]
	v_fma_f64 v[120:121], v[4:5], v[26:27], v[130:131]
	v_fma_f64 v[26:27], v[2:3], v[26:27], -v[28:29]
	v_fma_f64 v[16:17], v[16:17], v[30:31], v[24:25]
	v_fma_f64 v[14:15], v[14:15], v[30:31], -v[32:33]
	v_add_f64_e32 v[22:23], v[18:19], v[22:23]
	v_add_f64_e32 v[28:29], v[20:21], v[122:123]
	ds_load_b128 v[2:5], v1 offset:1072
	ds_load_b128 v[18:21], v1 offset:1088
	s_wait_loadcnt_dscnt 0x501
	v_mul_f64_e32 v[122:123], v[2:3], v[114:115]
	v_mul_f64_e32 v[114:115], v[4:5], v[114:115]
	v_add_f64_e32 v[22:23], v[22:23], v[26:27]
	v_add_f64_e32 v[24:25], v[28:29], v[120:121]
	s_wait_loadcnt_dscnt 0x300
	v_mul_f64_e32 v[26:27], v[18:19], v[126:127]
	v_mul_f64_e32 v[28:29], v[20:21], v[126:127]
	v_fma_f64 v[30:31], v[4:5], v[112:113], v[122:123]
	v_fma_f64 v[32:33], v[2:3], v[112:113], -v[114:115]
	v_add_f64_e32 v[22:23], v[22:23], v[14:15]
	v_add_f64_e32 v[24:25], v[24:25], v[16:17]
	ds_load_b128 v[2:5], v1 offset:1104
	ds_load_b128 v[14:17], v1 offset:1120
	v_fma_f64 v[20:21], v[20:21], v[124:125], v[26:27]
	v_fma_f64 v[18:19], v[18:19], v[124:125], -v[28:29]
	s_wait_loadcnt_dscnt 0x201
	v_mul_f64_e32 v[112:113], v[2:3], v[110:111]
	v_mul_f64_e32 v[110:111], v[4:5], v[110:111]
	v_add_f64_e32 v[22:23], v[22:23], v[32:33]
	v_add_f64_e32 v[24:25], v[24:25], v[30:31]
	s_wait_loadcnt_dscnt 0x100
	v_mul_f64_e32 v[26:27], v[14:15], v[8:9]
	v_mul_f64_e32 v[8:9], v[16:17], v[8:9]
	v_fma_f64 v[28:29], v[4:5], v[108:109], v[112:113]
	v_fma_f64 v[30:31], v[2:3], v[108:109], -v[110:111]
	ds_load_b128 v[2:5], v1 offset:1136
	v_add_f64_e32 v[18:19], v[22:23], v[18:19]
	v_add_f64_e32 v[20:21], v[24:25], v[20:21]
	s_wait_loadcnt_dscnt 0x0
	v_mul_f64_e32 v[22:23], v[2:3], v[12:13]
	v_mul_f64_e32 v[12:13], v[4:5], v[12:13]
	v_fma_f64 v[16:17], v[16:17], v[6:7], v[26:27]
	v_fma_f64 v[6:7], v[14:15], v[6:7], -v[8:9]
	v_add_f64_e32 v[8:9], v[18:19], v[30:31]
	v_add_f64_e32 v[14:15], v[20:21], v[28:29]
	v_fma_f64 v[4:5], v[4:5], v[10:11], v[22:23]
	v_fma_f64 v[2:3], v[2:3], v[10:11], -v[12:13]
	s_delay_alu instid0(VALU_DEP_4) | instskip(NEXT) | instid1(VALU_DEP_4)
	v_add_f64_e32 v[6:7], v[8:9], v[6:7]
	v_add_f64_e32 v[8:9], v[14:15], v[16:17]
	s_delay_alu instid0(VALU_DEP_2) | instskip(NEXT) | instid1(VALU_DEP_2)
	v_add_f64_e32 v[2:3], v[6:7], v[2:3]
	v_add_f64_e32 v[4:5], v[8:9], v[4:5]
	s_delay_alu instid0(VALU_DEP_2) | instskip(NEXT) | instid1(VALU_DEP_2)
	v_add_f64_e64 v[2:3], v[116:117], -v[2:3]
	v_add_f64_e64 v[4:5], v[118:119], -v[4:5]
	scratch_store_b128 off, v[2:5], off offset:368
	v_cmpx_lt_u32_e32 21, v0
	s_cbranch_execz .LBB99_187
; %bb.186:
	scratch_load_b128 v[5:8], off, s17
	v_dual_mov_b32 v2, v1 :: v_dual_mov_b32 v3, v1
	v_mov_b32_e32 v4, v1
	scratch_store_b128 off, v[1:4], off offset:352
	s_wait_loadcnt 0x0
	ds_store_b128 v34, v[5:8]
.LBB99_187:
	s_wait_alu 0xfffe
	s_or_b32 exec_lo, exec_lo, s0
	s_wait_storecnt_dscnt 0x0
	s_barrier_signal -1
	s_barrier_wait -1
	global_inv scope:SCOPE_SE
	s_clause 0x8
	scratch_load_b128 v[2:5], off, off offset:368
	scratch_load_b128 v[6:9], off, off offset:384
	;; [unrolled: 1-line block ×9, first 2 shown]
	ds_load_b128 v[112:115], v1 offset:928
	ds_load_b128 v[116:119], v1 offset:944
	s_clause 0x1
	scratch_load_b128 v[120:123], off, off offset:352
	scratch_load_b128 v[124:127], off, off offset:512
	s_mov_b32 s0, exec_lo
	s_wait_loadcnt_dscnt 0xa01
	v_mul_f64_e32 v[128:129], v[114:115], v[4:5]
	v_mul_f64_e32 v[4:5], v[112:113], v[4:5]
	s_wait_loadcnt_dscnt 0x900
	v_mul_f64_e32 v[132:133], v[116:117], v[8:9]
	v_mul_f64_e32 v[8:9], v[118:119], v[8:9]
	s_delay_alu instid0(VALU_DEP_4) | instskip(NEXT) | instid1(VALU_DEP_4)
	v_fma_f64 v[134:135], v[112:113], v[2:3], -v[128:129]
	v_fma_f64 v[136:137], v[114:115], v[2:3], v[4:5]
	ds_load_b128 v[2:5], v1 offset:960
	ds_load_b128 v[128:131], v1 offset:976
	scratch_load_b128 v[112:115], off, off offset:528
	v_fma_f64 v[118:119], v[118:119], v[6:7], v[132:133]
	v_fma_f64 v[116:117], v[116:117], v[6:7], -v[8:9]
	scratch_load_b128 v[6:9], off, off offset:544
	s_wait_loadcnt_dscnt 0xa01
	v_mul_f64_e32 v[138:139], v[2:3], v[12:13]
	v_mul_f64_e32 v[12:13], v[4:5], v[12:13]
	v_add_f64_e32 v[132:133], 0, v[134:135]
	v_add_f64_e32 v[134:135], 0, v[136:137]
	s_wait_loadcnt_dscnt 0x900
	v_mul_f64_e32 v[136:137], v[128:129], v[16:17]
	v_mul_f64_e32 v[16:17], v[130:131], v[16:17]
	v_fma_f64 v[138:139], v[4:5], v[10:11], v[138:139]
	v_fma_f64 v[140:141], v[2:3], v[10:11], -v[12:13]
	ds_load_b128 v[2:5], v1 offset:992
	scratch_load_b128 v[10:13], off, off offset:560
	v_add_f64_e32 v[132:133], v[132:133], v[116:117]
	v_add_f64_e32 v[134:135], v[134:135], v[118:119]
	ds_load_b128 v[116:119], v1 offset:1008
	v_fma_f64 v[130:131], v[130:131], v[14:15], v[136:137]
	v_fma_f64 v[128:129], v[128:129], v[14:15], -v[16:17]
	scratch_load_b128 v[14:17], off, off offset:576
	s_wait_loadcnt_dscnt 0xa01
	v_mul_f64_e32 v[142:143], v[2:3], v[20:21]
	v_mul_f64_e32 v[20:21], v[4:5], v[20:21]
	s_wait_loadcnt_dscnt 0x900
	v_mul_f64_e32 v[136:137], v[116:117], v[24:25]
	v_mul_f64_e32 v[24:25], v[118:119], v[24:25]
	v_add_f64_e32 v[132:133], v[132:133], v[140:141]
	v_add_f64_e32 v[134:135], v[134:135], v[138:139]
	v_fma_f64 v[138:139], v[4:5], v[18:19], v[142:143]
	v_fma_f64 v[140:141], v[2:3], v[18:19], -v[20:21]
	ds_load_b128 v[2:5], v1 offset:1024
	ds_load_b128 v[18:21], v1 offset:1040
	v_fma_f64 v[118:119], v[118:119], v[22:23], v[136:137]
	v_fma_f64 v[22:23], v[116:117], v[22:23], -v[24:25]
	v_add_f64_e32 v[128:129], v[132:133], v[128:129]
	v_add_f64_e32 v[130:131], v[134:135], v[130:131]
	s_wait_loadcnt_dscnt 0x801
	v_mul_f64_e32 v[132:133], v[2:3], v[28:29]
	v_mul_f64_e32 v[28:29], v[4:5], v[28:29]
	s_delay_alu instid0(VALU_DEP_4) | instskip(NEXT) | instid1(VALU_DEP_4)
	v_add_f64_e32 v[24:25], v[128:129], v[140:141]
	v_add_f64_e32 v[116:117], v[130:131], v[138:139]
	s_wait_loadcnt_dscnt 0x700
	v_mul_f64_e32 v[128:129], v[18:19], v[32:33]
	v_mul_f64_e32 v[32:33], v[20:21], v[32:33]
	v_fma_f64 v[130:131], v[4:5], v[26:27], v[132:133]
	v_fma_f64 v[26:27], v[2:3], v[26:27], -v[28:29]
	v_add_f64_e32 v[28:29], v[24:25], v[22:23]
	v_add_f64_e32 v[116:117], v[116:117], v[118:119]
	ds_load_b128 v[2:5], v1 offset:1056
	ds_load_b128 v[22:25], v1 offset:1072
	v_fma_f64 v[20:21], v[20:21], v[30:31], v[128:129]
	v_fma_f64 v[18:19], v[18:19], v[30:31], -v[32:33]
	s_wait_loadcnt_dscnt 0x601
	v_mul_f64_e32 v[118:119], v[2:3], v[110:111]
	v_mul_f64_e32 v[110:111], v[4:5], v[110:111]
	s_wait_loadcnt_dscnt 0x400
	v_mul_f64_e32 v[30:31], v[22:23], v[126:127]
	v_mul_f64_e32 v[32:33], v[24:25], v[126:127]
	v_add_f64_e32 v[26:27], v[28:29], v[26:27]
	v_add_f64_e32 v[28:29], v[116:117], v[130:131]
	v_fma_f64 v[116:117], v[4:5], v[108:109], v[118:119]
	v_fma_f64 v[108:109], v[2:3], v[108:109], -v[110:111]
	v_fma_f64 v[24:25], v[24:25], v[124:125], v[30:31]
	v_fma_f64 v[22:23], v[22:23], v[124:125], -v[32:33]
	v_add_f64_e32 v[26:27], v[26:27], v[18:19]
	v_add_f64_e32 v[28:29], v[28:29], v[20:21]
	ds_load_b128 v[2:5], v1 offset:1088
	ds_load_b128 v[18:21], v1 offset:1104
	s_wait_loadcnt_dscnt 0x301
	v_mul_f64_e32 v[110:111], v[2:3], v[114:115]
	v_mul_f64_e32 v[114:115], v[4:5], v[114:115]
	s_wait_loadcnt_dscnt 0x200
	v_mul_f64_e32 v[30:31], v[18:19], v[8:9]
	v_mul_f64_e32 v[8:9], v[20:21], v[8:9]
	v_add_f64_e32 v[26:27], v[26:27], v[108:109]
	v_add_f64_e32 v[28:29], v[28:29], v[116:117]
	v_fma_f64 v[32:33], v[4:5], v[112:113], v[110:111]
	v_fma_f64 v[108:109], v[2:3], v[112:113], -v[114:115]
	v_fma_f64 v[20:21], v[20:21], v[6:7], v[30:31]
	v_fma_f64 v[6:7], v[18:19], v[6:7], -v[8:9]
	v_add_f64_e32 v[26:27], v[26:27], v[22:23]
	v_add_f64_e32 v[28:29], v[28:29], v[24:25]
	ds_load_b128 v[2:5], v1 offset:1120
	ds_load_b128 v[22:25], v1 offset:1136
	s_wait_loadcnt_dscnt 0x101
	v_mul_f64_e32 v[110:111], v[2:3], v[12:13]
	v_mul_f64_e32 v[12:13], v[4:5], v[12:13]
	v_add_f64_e32 v[8:9], v[26:27], v[108:109]
	v_add_f64_e32 v[18:19], v[28:29], v[32:33]
	s_wait_loadcnt_dscnt 0x0
	v_mul_f64_e32 v[26:27], v[22:23], v[16:17]
	v_mul_f64_e32 v[16:17], v[24:25], v[16:17]
	v_fma_f64 v[4:5], v[4:5], v[10:11], v[110:111]
	v_fma_f64 v[1:2], v[2:3], v[10:11], -v[12:13]
	v_add_f64_e32 v[6:7], v[8:9], v[6:7]
	v_add_f64_e32 v[8:9], v[18:19], v[20:21]
	v_fma_f64 v[10:11], v[24:25], v[14:15], v[26:27]
	v_fma_f64 v[12:13], v[22:23], v[14:15], -v[16:17]
	s_delay_alu instid0(VALU_DEP_4) | instskip(NEXT) | instid1(VALU_DEP_4)
	v_add_f64_e32 v[1:2], v[6:7], v[1:2]
	v_add_f64_e32 v[3:4], v[8:9], v[4:5]
	s_delay_alu instid0(VALU_DEP_2) | instskip(NEXT) | instid1(VALU_DEP_2)
	v_add_f64_e32 v[1:2], v[1:2], v[12:13]
	v_add_f64_e32 v[3:4], v[3:4], v[10:11]
	s_delay_alu instid0(VALU_DEP_2) | instskip(NEXT) | instid1(VALU_DEP_2)
	v_add_f64_e64 v[1:2], v[120:121], -v[1:2]
	v_add_f64_e64 v[3:4], v[122:123], -v[3:4]
	scratch_store_b128 off, v[1:4], off offset:352
	v_cmpx_lt_u32_e32 20, v0
	s_cbranch_execz .LBB99_189
; %bb.188:
	scratch_load_b128 v[1:4], off, s35
	v_mov_b32_e32 v5, 0
	s_delay_alu instid0(VALU_DEP_1)
	v_dual_mov_b32 v6, v5 :: v_dual_mov_b32 v7, v5
	v_mov_b32_e32 v8, v5
	scratch_store_b128 off, v[5:8], off offset:336
	s_wait_loadcnt 0x0
	ds_store_b128 v34, v[1:4]
.LBB99_189:
	s_wait_alu 0xfffe
	s_or_b32 exec_lo, exec_lo, s0
	s_wait_storecnt_dscnt 0x0
	s_barrier_signal -1
	s_barrier_wait -1
	global_inv scope:SCOPE_SE
	s_clause 0x7
	scratch_load_b128 v[2:5], off, off offset:352
	scratch_load_b128 v[6:9], off, off offset:368
	;; [unrolled: 1-line block ×8, first 2 shown]
	v_mov_b32_e32 v1, 0
	s_mov_b32 s0, exec_lo
	ds_load_b128 v[108:111], v1 offset:912
	s_clause 0x1
	scratch_load_b128 v[112:115], off, off offset:480
	scratch_load_b128 v[116:119], off, off offset:336
	ds_load_b128 v[120:123], v1 offset:928
	scratch_load_b128 v[124:127], off, off offset:496
	s_wait_loadcnt_dscnt 0xa01
	v_mul_f64_e32 v[128:129], v[110:111], v[4:5]
	v_mul_f64_e32 v[4:5], v[108:109], v[4:5]
	s_delay_alu instid0(VALU_DEP_2) | instskip(NEXT) | instid1(VALU_DEP_2)
	v_fma_f64 v[134:135], v[108:109], v[2:3], -v[128:129]
	v_fma_f64 v[136:137], v[110:111], v[2:3], v[4:5]
	ds_load_b128 v[2:5], v1 offset:944
	s_wait_loadcnt_dscnt 0x901
	v_mul_f64_e32 v[132:133], v[120:121], v[8:9]
	v_mul_f64_e32 v[8:9], v[122:123], v[8:9]
	scratch_load_b128 v[108:111], off, off offset:512
	ds_load_b128 v[128:131], v1 offset:960
	s_wait_loadcnt_dscnt 0x901
	v_mul_f64_e32 v[138:139], v[2:3], v[12:13]
	v_mul_f64_e32 v[12:13], v[4:5], v[12:13]
	v_fma_f64 v[122:123], v[122:123], v[6:7], v[132:133]
	v_fma_f64 v[120:121], v[120:121], v[6:7], -v[8:9]
	v_add_f64_e32 v[132:133], 0, v[134:135]
	v_add_f64_e32 v[134:135], 0, v[136:137]
	scratch_load_b128 v[6:9], off, off offset:528
	v_fma_f64 v[138:139], v[4:5], v[10:11], v[138:139]
	v_fma_f64 v[140:141], v[2:3], v[10:11], -v[12:13]
	ds_load_b128 v[2:5], v1 offset:976
	s_wait_loadcnt_dscnt 0x901
	v_mul_f64_e32 v[136:137], v[128:129], v[16:17]
	v_mul_f64_e32 v[16:17], v[130:131], v[16:17]
	scratch_load_b128 v[10:13], off, off offset:544
	v_add_f64_e32 v[132:133], v[132:133], v[120:121]
	v_add_f64_e32 v[134:135], v[134:135], v[122:123]
	s_wait_loadcnt_dscnt 0x900
	v_mul_f64_e32 v[142:143], v[2:3], v[20:21]
	v_mul_f64_e32 v[20:21], v[4:5], v[20:21]
	ds_load_b128 v[120:123], v1 offset:992
	v_fma_f64 v[130:131], v[130:131], v[14:15], v[136:137]
	v_fma_f64 v[128:129], v[128:129], v[14:15], -v[16:17]
	scratch_load_b128 v[14:17], off, off offset:560
	v_add_f64_e32 v[132:133], v[132:133], v[140:141]
	v_add_f64_e32 v[134:135], v[134:135], v[138:139]
	v_fma_f64 v[138:139], v[4:5], v[18:19], v[142:143]
	v_fma_f64 v[140:141], v[2:3], v[18:19], -v[20:21]
	ds_load_b128 v[2:5], v1 offset:1008
	s_wait_loadcnt_dscnt 0x901
	v_mul_f64_e32 v[136:137], v[120:121], v[24:25]
	v_mul_f64_e32 v[24:25], v[122:123], v[24:25]
	scratch_load_b128 v[18:21], off, off offset:576
	s_wait_loadcnt_dscnt 0x900
	v_mul_f64_e32 v[142:143], v[2:3], v[28:29]
	v_mul_f64_e32 v[28:29], v[4:5], v[28:29]
	v_add_f64_e32 v[132:133], v[132:133], v[128:129]
	v_add_f64_e32 v[134:135], v[134:135], v[130:131]
	ds_load_b128 v[128:131], v1 offset:1024
	v_fma_f64 v[122:123], v[122:123], v[22:23], v[136:137]
	v_fma_f64 v[22:23], v[120:121], v[22:23], -v[24:25]
	v_add_f64_e32 v[24:25], v[132:133], v[140:141]
	v_add_f64_e32 v[120:121], v[134:135], v[138:139]
	s_wait_loadcnt_dscnt 0x800
	v_mul_f64_e32 v[132:133], v[128:129], v[32:33]
	v_mul_f64_e32 v[32:33], v[130:131], v[32:33]
	v_fma_f64 v[134:135], v[4:5], v[26:27], v[142:143]
	v_fma_f64 v[26:27], v[2:3], v[26:27], -v[28:29]
	v_add_f64_e32 v[28:29], v[24:25], v[22:23]
	v_add_f64_e32 v[120:121], v[120:121], v[122:123]
	ds_load_b128 v[2:5], v1 offset:1040
	ds_load_b128 v[22:25], v1 offset:1056
	v_fma_f64 v[130:131], v[130:131], v[30:31], v[132:133]
	v_fma_f64 v[30:31], v[128:129], v[30:31], -v[32:33]
	s_wait_loadcnt_dscnt 0x701
	v_mul_f64_e32 v[122:123], v[2:3], v[114:115]
	v_mul_f64_e32 v[114:115], v[4:5], v[114:115]
	s_wait_loadcnt_dscnt 0x500
	v_mul_f64_e32 v[32:33], v[22:23], v[126:127]
	v_add_f64_e32 v[26:27], v[28:29], v[26:27]
	v_add_f64_e32 v[28:29], v[120:121], v[134:135]
	v_mul_f64_e32 v[120:121], v[24:25], v[126:127]
	v_fma_f64 v[122:123], v[4:5], v[112:113], v[122:123]
	v_fma_f64 v[112:113], v[2:3], v[112:113], -v[114:115]
	v_fma_f64 v[24:25], v[24:25], v[124:125], v[32:33]
	v_add_f64_e32 v[30:31], v[26:27], v[30:31]
	v_add_f64_e32 v[114:115], v[28:29], v[130:131]
	ds_load_b128 v[2:5], v1 offset:1072
	ds_load_b128 v[26:29], v1 offset:1088
	v_fma_f64 v[22:23], v[22:23], v[124:125], -v[120:121]
	s_wait_loadcnt_dscnt 0x401
	v_mul_f64_e32 v[126:127], v[2:3], v[110:111]
	v_mul_f64_e32 v[110:111], v[4:5], v[110:111]
	v_add_f64_e32 v[30:31], v[30:31], v[112:113]
	v_add_f64_e32 v[32:33], v[114:115], v[122:123]
	s_wait_loadcnt_dscnt 0x300
	v_mul_f64_e32 v[112:113], v[26:27], v[8:9]
	v_mul_f64_e32 v[8:9], v[28:29], v[8:9]
	v_fma_f64 v[114:115], v[4:5], v[108:109], v[126:127]
	v_fma_f64 v[108:109], v[2:3], v[108:109], -v[110:111]
	v_add_f64_e32 v[30:31], v[30:31], v[22:23]
	v_add_f64_e32 v[32:33], v[32:33], v[24:25]
	ds_load_b128 v[2:5], v1 offset:1104
	ds_load_b128 v[22:25], v1 offset:1120
	v_fma_f64 v[28:29], v[28:29], v[6:7], v[112:113]
	v_fma_f64 v[6:7], v[26:27], v[6:7], -v[8:9]
	s_wait_loadcnt_dscnt 0x201
	v_mul_f64_e32 v[110:111], v[2:3], v[12:13]
	v_mul_f64_e32 v[12:13], v[4:5], v[12:13]
	v_add_f64_e32 v[8:9], v[30:31], v[108:109]
	v_add_f64_e32 v[26:27], v[32:33], v[114:115]
	s_wait_loadcnt_dscnt 0x100
	v_mul_f64_e32 v[30:31], v[22:23], v[16:17]
	v_mul_f64_e32 v[16:17], v[24:25], v[16:17]
	v_fma_f64 v[32:33], v[4:5], v[10:11], v[110:111]
	v_fma_f64 v[10:11], v[2:3], v[10:11], -v[12:13]
	ds_load_b128 v[2:5], v1 offset:1136
	v_add_f64_e32 v[6:7], v[8:9], v[6:7]
	v_add_f64_e32 v[8:9], v[26:27], v[28:29]
	v_fma_f64 v[24:25], v[24:25], v[14:15], v[30:31]
	v_fma_f64 v[14:15], v[22:23], v[14:15], -v[16:17]
	s_wait_loadcnt_dscnt 0x0
	v_mul_f64_e32 v[12:13], v[2:3], v[20:21]
	v_mul_f64_e32 v[20:21], v[4:5], v[20:21]
	v_add_f64_e32 v[6:7], v[6:7], v[10:11]
	v_add_f64_e32 v[8:9], v[8:9], v[32:33]
	s_delay_alu instid0(VALU_DEP_4) | instskip(NEXT) | instid1(VALU_DEP_4)
	v_fma_f64 v[4:5], v[4:5], v[18:19], v[12:13]
	v_fma_f64 v[2:3], v[2:3], v[18:19], -v[20:21]
	s_delay_alu instid0(VALU_DEP_4) | instskip(NEXT) | instid1(VALU_DEP_4)
	v_add_f64_e32 v[6:7], v[6:7], v[14:15]
	v_add_f64_e32 v[8:9], v[8:9], v[24:25]
	s_delay_alu instid0(VALU_DEP_2) | instskip(NEXT) | instid1(VALU_DEP_2)
	v_add_f64_e32 v[2:3], v[6:7], v[2:3]
	v_add_f64_e32 v[4:5], v[8:9], v[4:5]
	s_delay_alu instid0(VALU_DEP_2) | instskip(NEXT) | instid1(VALU_DEP_2)
	v_add_f64_e64 v[2:3], v[116:117], -v[2:3]
	v_add_f64_e64 v[4:5], v[118:119], -v[4:5]
	scratch_store_b128 off, v[2:5], off offset:336
	v_cmpx_lt_u32_e32 19, v0
	s_cbranch_execz .LBB99_191
; %bb.190:
	scratch_load_b128 v[5:8], off, s16
	v_dual_mov_b32 v2, v1 :: v_dual_mov_b32 v3, v1
	v_mov_b32_e32 v4, v1
	scratch_store_b128 off, v[1:4], off offset:320
	s_wait_loadcnt 0x0
	ds_store_b128 v34, v[5:8]
.LBB99_191:
	s_wait_alu 0xfffe
	s_or_b32 exec_lo, exec_lo, s0
	s_wait_storecnt_dscnt 0x0
	s_barrier_signal -1
	s_barrier_wait -1
	global_inv scope:SCOPE_SE
	s_clause 0x8
	scratch_load_b128 v[2:5], off, off offset:336
	scratch_load_b128 v[6:9], off, off offset:352
	;; [unrolled: 1-line block ×9, first 2 shown]
	ds_load_b128 v[112:115], v1 offset:896
	ds_load_b128 v[116:119], v1 offset:912
	s_clause 0x1
	scratch_load_b128 v[120:123], off, off offset:320
	scratch_load_b128 v[124:127], off, off offset:480
	s_mov_b32 s0, exec_lo
	s_wait_loadcnt_dscnt 0xa01
	v_mul_f64_e32 v[128:129], v[114:115], v[4:5]
	v_mul_f64_e32 v[4:5], v[112:113], v[4:5]
	s_wait_loadcnt_dscnt 0x900
	v_mul_f64_e32 v[132:133], v[116:117], v[8:9]
	v_mul_f64_e32 v[8:9], v[118:119], v[8:9]
	s_delay_alu instid0(VALU_DEP_4) | instskip(NEXT) | instid1(VALU_DEP_4)
	v_fma_f64 v[134:135], v[112:113], v[2:3], -v[128:129]
	v_fma_f64 v[136:137], v[114:115], v[2:3], v[4:5]
	ds_load_b128 v[2:5], v1 offset:928
	ds_load_b128 v[128:131], v1 offset:944
	scratch_load_b128 v[112:115], off, off offset:496
	v_fma_f64 v[118:119], v[118:119], v[6:7], v[132:133]
	v_fma_f64 v[116:117], v[116:117], v[6:7], -v[8:9]
	scratch_load_b128 v[6:9], off, off offset:512
	s_wait_loadcnt_dscnt 0xa01
	v_mul_f64_e32 v[138:139], v[2:3], v[12:13]
	v_mul_f64_e32 v[12:13], v[4:5], v[12:13]
	v_add_f64_e32 v[132:133], 0, v[134:135]
	v_add_f64_e32 v[134:135], 0, v[136:137]
	s_wait_loadcnt_dscnt 0x900
	v_mul_f64_e32 v[136:137], v[128:129], v[16:17]
	v_mul_f64_e32 v[16:17], v[130:131], v[16:17]
	v_fma_f64 v[138:139], v[4:5], v[10:11], v[138:139]
	v_fma_f64 v[140:141], v[2:3], v[10:11], -v[12:13]
	ds_load_b128 v[2:5], v1 offset:960
	scratch_load_b128 v[10:13], off, off offset:528
	v_add_f64_e32 v[132:133], v[132:133], v[116:117]
	v_add_f64_e32 v[134:135], v[134:135], v[118:119]
	ds_load_b128 v[116:119], v1 offset:976
	v_fma_f64 v[130:131], v[130:131], v[14:15], v[136:137]
	v_fma_f64 v[128:129], v[128:129], v[14:15], -v[16:17]
	scratch_load_b128 v[14:17], off, off offset:544
	s_wait_loadcnt_dscnt 0xa01
	v_mul_f64_e32 v[142:143], v[2:3], v[20:21]
	v_mul_f64_e32 v[20:21], v[4:5], v[20:21]
	s_wait_loadcnt_dscnt 0x900
	v_mul_f64_e32 v[136:137], v[116:117], v[24:25]
	v_mul_f64_e32 v[24:25], v[118:119], v[24:25]
	v_add_f64_e32 v[132:133], v[132:133], v[140:141]
	v_add_f64_e32 v[134:135], v[134:135], v[138:139]
	v_fma_f64 v[138:139], v[4:5], v[18:19], v[142:143]
	v_fma_f64 v[140:141], v[2:3], v[18:19], -v[20:21]
	ds_load_b128 v[2:5], v1 offset:992
	scratch_load_b128 v[18:21], off, off offset:560
	v_fma_f64 v[118:119], v[118:119], v[22:23], v[136:137]
	v_fma_f64 v[116:117], v[116:117], v[22:23], -v[24:25]
	scratch_load_b128 v[22:25], off, off offset:576
	v_add_f64_e32 v[132:133], v[132:133], v[128:129]
	v_add_f64_e32 v[134:135], v[134:135], v[130:131]
	ds_load_b128 v[128:131], v1 offset:1008
	s_wait_loadcnt_dscnt 0xa01
	v_mul_f64_e32 v[142:143], v[2:3], v[28:29]
	v_mul_f64_e32 v[28:29], v[4:5], v[28:29]
	s_wait_loadcnt_dscnt 0x900
	v_mul_f64_e32 v[136:137], v[128:129], v[32:33]
	v_mul_f64_e32 v[32:33], v[130:131], v[32:33]
	v_add_f64_e32 v[132:133], v[132:133], v[140:141]
	v_add_f64_e32 v[134:135], v[134:135], v[138:139]
	v_fma_f64 v[138:139], v[4:5], v[26:27], v[142:143]
	v_fma_f64 v[140:141], v[2:3], v[26:27], -v[28:29]
	ds_load_b128 v[2:5], v1 offset:1024
	ds_load_b128 v[26:29], v1 offset:1040
	v_fma_f64 v[130:131], v[130:131], v[30:31], v[136:137]
	v_fma_f64 v[30:31], v[128:129], v[30:31], -v[32:33]
	v_add_f64_e32 v[116:117], v[132:133], v[116:117]
	v_add_f64_e32 v[118:119], v[134:135], v[118:119]
	s_wait_loadcnt_dscnt 0x801
	v_mul_f64_e32 v[132:133], v[2:3], v[110:111]
	v_mul_f64_e32 v[110:111], v[4:5], v[110:111]
	s_delay_alu instid0(VALU_DEP_4) | instskip(NEXT) | instid1(VALU_DEP_4)
	v_add_f64_e32 v[32:33], v[116:117], v[140:141]
	v_add_f64_e32 v[116:117], v[118:119], v[138:139]
	s_wait_loadcnt_dscnt 0x600
	v_mul_f64_e32 v[118:119], v[26:27], v[126:127]
	v_mul_f64_e32 v[126:127], v[28:29], v[126:127]
	v_fma_f64 v[128:129], v[4:5], v[108:109], v[132:133]
	v_fma_f64 v[108:109], v[2:3], v[108:109], -v[110:111]
	v_add_f64_e32 v[110:111], v[32:33], v[30:31]
	v_add_f64_e32 v[116:117], v[116:117], v[130:131]
	ds_load_b128 v[2:5], v1 offset:1056
	ds_load_b128 v[30:33], v1 offset:1072
	v_fma_f64 v[28:29], v[28:29], v[124:125], v[118:119]
	v_fma_f64 v[26:27], v[26:27], v[124:125], -v[126:127]
	s_wait_loadcnt_dscnt 0x501
	v_mul_f64_e32 v[130:131], v[2:3], v[114:115]
	v_mul_f64_e32 v[114:115], v[4:5], v[114:115]
	v_add_f64_e32 v[108:109], v[110:111], v[108:109]
	v_add_f64_e32 v[110:111], v[116:117], v[128:129]
	s_wait_loadcnt_dscnt 0x400
	v_mul_f64_e32 v[116:117], v[30:31], v[8:9]
	v_mul_f64_e32 v[8:9], v[32:33], v[8:9]
	v_fma_f64 v[118:119], v[4:5], v[112:113], v[130:131]
	v_fma_f64 v[112:113], v[2:3], v[112:113], -v[114:115]
	v_add_f64_e32 v[108:109], v[108:109], v[26:27]
	v_add_f64_e32 v[110:111], v[110:111], v[28:29]
	ds_load_b128 v[2:5], v1 offset:1088
	ds_load_b128 v[26:29], v1 offset:1104
	v_fma_f64 v[32:33], v[32:33], v[6:7], v[116:117]
	v_fma_f64 v[6:7], v[30:31], v[6:7], -v[8:9]
	s_wait_loadcnt_dscnt 0x301
	v_mul_f64_e32 v[114:115], v[2:3], v[12:13]
	v_mul_f64_e32 v[12:13], v[4:5], v[12:13]
	;; [unrolled: 16-line block ×3, first 2 shown]
	s_wait_loadcnt_dscnt 0x0
	v_mul_f64_e32 v[16:17], v[6:7], v[24:25]
	v_mul_f64_e32 v[24:25], v[8:9], v[24:25]
	v_add_f64_e32 v[10:11], v[12:13], v[10:11]
	v_add_f64_e32 v[12:13], v[30:31], v[110:111]
	v_fma_f64 v[4:5], v[4:5], v[18:19], v[32:33]
	v_fma_f64 v[1:2], v[2:3], v[18:19], -v[20:21]
	v_fma_f64 v[8:9], v[8:9], v[22:23], v[16:17]
	v_fma_f64 v[6:7], v[6:7], v[22:23], -v[24:25]
	v_add_f64_e32 v[10:11], v[10:11], v[14:15]
	v_add_f64_e32 v[12:13], v[12:13], v[28:29]
	s_delay_alu instid0(VALU_DEP_2) | instskip(NEXT) | instid1(VALU_DEP_2)
	v_add_f64_e32 v[1:2], v[10:11], v[1:2]
	v_add_f64_e32 v[3:4], v[12:13], v[4:5]
	s_delay_alu instid0(VALU_DEP_2) | instskip(NEXT) | instid1(VALU_DEP_2)
	v_add_f64_e32 v[1:2], v[1:2], v[6:7]
	v_add_f64_e32 v[3:4], v[3:4], v[8:9]
	s_delay_alu instid0(VALU_DEP_2) | instskip(NEXT) | instid1(VALU_DEP_2)
	v_add_f64_e64 v[1:2], v[120:121], -v[1:2]
	v_add_f64_e64 v[3:4], v[122:123], -v[3:4]
	scratch_store_b128 off, v[1:4], off offset:320
	v_cmpx_lt_u32_e32 18, v0
	s_cbranch_execz .LBB99_193
; %bb.192:
	scratch_load_b128 v[1:4], off, s34
	v_mov_b32_e32 v5, 0
	s_delay_alu instid0(VALU_DEP_1)
	v_dual_mov_b32 v6, v5 :: v_dual_mov_b32 v7, v5
	v_mov_b32_e32 v8, v5
	scratch_store_b128 off, v[5:8], off offset:304
	s_wait_loadcnt 0x0
	ds_store_b128 v34, v[1:4]
.LBB99_193:
	s_wait_alu 0xfffe
	s_or_b32 exec_lo, exec_lo, s0
	s_wait_storecnt_dscnt 0x0
	s_barrier_signal -1
	s_barrier_wait -1
	global_inv scope:SCOPE_SE
	s_clause 0x7
	scratch_load_b128 v[2:5], off, off offset:320
	scratch_load_b128 v[6:9], off, off offset:336
	;; [unrolled: 1-line block ×8, first 2 shown]
	v_mov_b32_e32 v1, 0
	s_mov_b32 s0, exec_lo
	ds_load_b128 v[108:111], v1 offset:880
	s_clause 0x1
	scratch_load_b128 v[112:115], off, off offset:448
	scratch_load_b128 v[116:119], off, off offset:304
	ds_load_b128 v[120:123], v1 offset:896
	scratch_load_b128 v[124:127], off, off offset:464
	s_wait_loadcnt_dscnt 0xa01
	v_mul_f64_e32 v[128:129], v[110:111], v[4:5]
	v_mul_f64_e32 v[4:5], v[108:109], v[4:5]
	s_delay_alu instid0(VALU_DEP_2) | instskip(NEXT) | instid1(VALU_DEP_2)
	v_fma_f64 v[134:135], v[108:109], v[2:3], -v[128:129]
	v_fma_f64 v[136:137], v[110:111], v[2:3], v[4:5]
	ds_load_b128 v[2:5], v1 offset:912
	s_wait_loadcnt_dscnt 0x901
	v_mul_f64_e32 v[132:133], v[120:121], v[8:9]
	v_mul_f64_e32 v[8:9], v[122:123], v[8:9]
	scratch_load_b128 v[108:111], off, off offset:480
	ds_load_b128 v[128:131], v1 offset:928
	s_wait_loadcnt_dscnt 0x901
	v_mul_f64_e32 v[138:139], v[2:3], v[12:13]
	v_mul_f64_e32 v[12:13], v[4:5], v[12:13]
	v_fma_f64 v[122:123], v[122:123], v[6:7], v[132:133]
	v_fma_f64 v[120:121], v[120:121], v[6:7], -v[8:9]
	v_add_f64_e32 v[132:133], 0, v[134:135]
	v_add_f64_e32 v[134:135], 0, v[136:137]
	scratch_load_b128 v[6:9], off, off offset:496
	v_fma_f64 v[138:139], v[4:5], v[10:11], v[138:139]
	v_fma_f64 v[140:141], v[2:3], v[10:11], -v[12:13]
	ds_load_b128 v[2:5], v1 offset:944
	s_wait_loadcnt_dscnt 0x901
	v_mul_f64_e32 v[136:137], v[128:129], v[16:17]
	v_mul_f64_e32 v[16:17], v[130:131], v[16:17]
	scratch_load_b128 v[10:13], off, off offset:512
	v_add_f64_e32 v[132:133], v[132:133], v[120:121]
	v_add_f64_e32 v[134:135], v[134:135], v[122:123]
	s_wait_loadcnt_dscnt 0x900
	v_mul_f64_e32 v[142:143], v[2:3], v[20:21]
	v_mul_f64_e32 v[20:21], v[4:5], v[20:21]
	ds_load_b128 v[120:123], v1 offset:960
	v_fma_f64 v[130:131], v[130:131], v[14:15], v[136:137]
	v_fma_f64 v[128:129], v[128:129], v[14:15], -v[16:17]
	scratch_load_b128 v[14:17], off, off offset:528
	v_add_f64_e32 v[132:133], v[132:133], v[140:141]
	v_add_f64_e32 v[134:135], v[134:135], v[138:139]
	v_fma_f64 v[138:139], v[4:5], v[18:19], v[142:143]
	v_fma_f64 v[140:141], v[2:3], v[18:19], -v[20:21]
	ds_load_b128 v[2:5], v1 offset:976
	s_wait_loadcnt_dscnt 0x901
	v_mul_f64_e32 v[136:137], v[120:121], v[24:25]
	v_mul_f64_e32 v[24:25], v[122:123], v[24:25]
	scratch_load_b128 v[18:21], off, off offset:544
	s_wait_loadcnt_dscnt 0x900
	v_mul_f64_e32 v[142:143], v[2:3], v[28:29]
	v_mul_f64_e32 v[28:29], v[4:5], v[28:29]
	v_add_f64_e32 v[132:133], v[132:133], v[128:129]
	v_add_f64_e32 v[134:135], v[134:135], v[130:131]
	ds_load_b128 v[128:131], v1 offset:992
	v_fma_f64 v[122:123], v[122:123], v[22:23], v[136:137]
	v_fma_f64 v[120:121], v[120:121], v[22:23], -v[24:25]
	scratch_load_b128 v[22:25], off, off offset:560
	v_add_f64_e32 v[132:133], v[132:133], v[140:141]
	v_add_f64_e32 v[134:135], v[134:135], v[138:139]
	v_fma_f64 v[138:139], v[4:5], v[26:27], v[142:143]
	v_fma_f64 v[140:141], v[2:3], v[26:27], -v[28:29]
	ds_load_b128 v[2:5], v1 offset:1008
	s_wait_loadcnt_dscnt 0x901
	v_mul_f64_e32 v[136:137], v[128:129], v[32:33]
	v_mul_f64_e32 v[32:33], v[130:131], v[32:33]
	scratch_load_b128 v[26:29], off, off offset:576
	s_wait_loadcnt_dscnt 0x900
	v_mul_f64_e32 v[142:143], v[2:3], v[114:115]
	v_mul_f64_e32 v[114:115], v[4:5], v[114:115]
	v_add_f64_e32 v[132:133], v[132:133], v[120:121]
	v_add_f64_e32 v[134:135], v[134:135], v[122:123]
	ds_load_b128 v[120:123], v1 offset:1024
	v_fma_f64 v[130:131], v[130:131], v[30:31], v[136:137]
	v_fma_f64 v[30:31], v[128:129], v[30:31], -v[32:33]
	v_add_f64_e32 v[32:33], v[132:133], v[140:141]
	v_add_f64_e32 v[128:129], v[134:135], v[138:139]
	s_wait_loadcnt_dscnt 0x700
	v_mul_f64_e32 v[132:133], v[120:121], v[126:127]
	v_mul_f64_e32 v[126:127], v[122:123], v[126:127]
	v_fma_f64 v[134:135], v[4:5], v[112:113], v[142:143]
	v_fma_f64 v[112:113], v[2:3], v[112:113], -v[114:115]
	v_add_f64_e32 v[114:115], v[32:33], v[30:31]
	v_add_f64_e32 v[128:129], v[128:129], v[130:131]
	ds_load_b128 v[2:5], v1 offset:1040
	ds_load_b128 v[30:33], v1 offset:1056
	v_fma_f64 v[122:123], v[122:123], v[124:125], v[132:133]
	v_fma_f64 v[120:121], v[120:121], v[124:125], -v[126:127]
	s_wait_loadcnt_dscnt 0x601
	v_mul_f64_e32 v[130:131], v[2:3], v[110:111]
	v_mul_f64_e32 v[110:111], v[4:5], v[110:111]
	v_add_f64_e32 v[112:113], v[114:115], v[112:113]
	v_add_f64_e32 v[114:115], v[128:129], v[134:135]
	s_wait_loadcnt_dscnt 0x500
	v_mul_f64_e32 v[124:125], v[30:31], v[8:9]
	v_mul_f64_e32 v[8:9], v[32:33], v[8:9]
	v_fma_f64 v[126:127], v[4:5], v[108:109], v[130:131]
	v_fma_f64 v[128:129], v[2:3], v[108:109], -v[110:111]
	ds_load_b128 v[2:5], v1 offset:1072
	ds_load_b128 v[108:111], v1 offset:1088
	v_add_f64_e32 v[112:113], v[112:113], v[120:121]
	v_add_f64_e32 v[114:115], v[114:115], v[122:123]
	s_wait_loadcnt_dscnt 0x401
	v_mul_f64_e32 v[120:121], v[2:3], v[12:13]
	v_mul_f64_e32 v[12:13], v[4:5], v[12:13]
	v_fma_f64 v[32:33], v[32:33], v[6:7], v[124:125]
	v_fma_f64 v[6:7], v[30:31], v[6:7], -v[8:9]
	v_add_f64_e32 v[8:9], v[112:113], v[128:129]
	v_add_f64_e32 v[30:31], v[114:115], v[126:127]
	s_wait_loadcnt_dscnt 0x300
	v_mul_f64_e32 v[112:113], v[108:109], v[16:17]
	v_mul_f64_e32 v[16:17], v[110:111], v[16:17]
	v_fma_f64 v[114:115], v[4:5], v[10:11], v[120:121]
	v_fma_f64 v[10:11], v[2:3], v[10:11], -v[12:13]
	v_add_f64_e32 v[12:13], v[8:9], v[6:7]
	v_add_f64_e32 v[30:31], v[30:31], v[32:33]
	ds_load_b128 v[2:5], v1 offset:1104
	ds_load_b128 v[6:9], v1 offset:1120
	v_fma_f64 v[110:111], v[110:111], v[14:15], v[112:113]
	v_fma_f64 v[14:15], v[108:109], v[14:15], -v[16:17]
	s_wait_loadcnt_dscnt 0x201
	v_mul_f64_e32 v[32:33], v[2:3], v[20:21]
	v_mul_f64_e32 v[20:21], v[4:5], v[20:21]
	s_wait_loadcnt_dscnt 0x100
	v_mul_f64_e32 v[16:17], v[6:7], v[24:25]
	v_mul_f64_e32 v[24:25], v[8:9], v[24:25]
	v_add_f64_e32 v[10:11], v[12:13], v[10:11]
	v_add_f64_e32 v[12:13], v[30:31], v[114:115]
	v_fma_f64 v[30:31], v[4:5], v[18:19], v[32:33]
	v_fma_f64 v[18:19], v[2:3], v[18:19], -v[20:21]
	ds_load_b128 v[2:5], v1 offset:1136
	v_fma_f64 v[8:9], v[8:9], v[22:23], v[16:17]
	v_fma_f64 v[6:7], v[6:7], v[22:23], -v[24:25]
	v_add_f64_e32 v[10:11], v[10:11], v[14:15]
	v_add_f64_e32 v[12:13], v[12:13], v[110:111]
	s_wait_loadcnt_dscnt 0x0
	v_mul_f64_e32 v[14:15], v[2:3], v[28:29]
	v_mul_f64_e32 v[20:21], v[4:5], v[28:29]
	s_delay_alu instid0(VALU_DEP_4) | instskip(NEXT) | instid1(VALU_DEP_4)
	v_add_f64_e32 v[10:11], v[10:11], v[18:19]
	v_add_f64_e32 v[12:13], v[12:13], v[30:31]
	s_delay_alu instid0(VALU_DEP_4) | instskip(NEXT) | instid1(VALU_DEP_4)
	v_fma_f64 v[4:5], v[4:5], v[26:27], v[14:15]
	v_fma_f64 v[2:3], v[2:3], v[26:27], -v[20:21]
	s_delay_alu instid0(VALU_DEP_4) | instskip(NEXT) | instid1(VALU_DEP_4)
	v_add_f64_e32 v[6:7], v[10:11], v[6:7]
	v_add_f64_e32 v[8:9], v[12:13], v[8:9]
	s_delay_alu instid0(VALU_DEP_2) | instskip(NEXT) | instid1(VALU_DEP_2)
	v_add_f64_e32 v[2:3], v[6:7], v[2:3]
	v_add_f64_e32 v[4:5], v[8:9], v[4:5]
	s_delay_alu instid0(VALU_DEP_2) | instskip(NEXT) | instid1(VALU_DEP_2)
	v_add_f64_e64 v[2:3], v[116:117], -v[2:3]
	v_add_f64_e64 v[4:5], v[118:119], -v[4:5]
	scratch_store_b128 off, v[2:5], off offset:304
	v_cmpx_lt_u32_e32 17, v0
	s_cbranch_execz .LBB99_195
; %bb.194:
	scratch_load_b128 v[5:8], off, s15
	v_dual_mov_b32 v2, v1 :: v_dual_mov_b32 v3, v1
	v_mov_b32_e32 v4, v1
	scratch_store_b128 off, v[1:4], off offset:288
	s_wait_loadcnt 0x0
	ds_store_b128 v34, v[5:8]
.LBB99_195:
	s_wait_alu 0xfffe
	s_or_b32 exec_lo, exec_lo, s0
	s_wait_storecnt_dscnt 0x0
	s_barrier_signal -1
	s_barrier_wait -1
	global_inv scope:SCOPE_SE
	s_clause 0x8
	scratch_load_b128 v[2:5], off, off offset:304
	scratch_load_b128 v[6:9], off, off offset:320
	;; [unrolled: 1-line block ×9, first 2 shown]
	ds_load_b128 v[112:115], v1 offset:864
	ds_load_b128 v[116:119], v1 offset:880
	s_clause 0x1
	scratch_load_b128 v[120:123], off, off offset:288
	scratch_load_b128 v[124:127], off, off offset:448
	s_mov_b32 s0, exec_lo
	s_wait_loadcnt_dscnt 0xa01
	v_mul_f64_e32 v[128:129], v[114:115], v[4:5]
	v_mul_f64_e32 v[4:5], v[112:113], v[4:5]
	s_wait_loadcnt_dscnt 0x900
	v_mul_f64_e32 v[132:133], v[116:117], v[8:9]
	v_mul_f64_e32 v[8:9], v[118:119], v[8:9]
	s_delay_alu instid0(VALU_DEP_4) | instskip(NEXT) | instid1(VALU_DEP_4)
	v_fma_f64 v[134:135], v[112:113], v[2:3], -v[128:129]
	v_fma_f64 v[136:137], v[114:115], v[2:3], v[4:5]
	ds_load_b128 v[2:5], v1 offset:896
	ds_load_b128 v[128:131], v1 offset:912
	scratch_load_b128 v[112:115], off, off offset:464
	v_fma_f64 v[118:119], v[118:119], v[6:7], v[132:133]
	v_fma_f64 v[116:117], v[116:117], v[6:7], -v[8:9]
	scratch_load_b128 v[6:9], off, off offset:480
	s_wait_loadcnt_dscnt 0xa01
	v_mul_f64_e32 v[138:139], v[2:3], v[12:13]
	v_mul_f64_e32 v[12:13], v[4:5], v[12:13]
	v_add_f64_e32 v[132:133], 0, v[134:135]
	v_add_f64_e32 v[134:135], 0, v[136:137]
	s_wait_loadcnt_dscnt 0x900
	v_mul_f64_e32 v[136:137], v[128:129], v[16:17]
	v_mul_f64_e32 v[16:17], v[130:131], v[16:17]
	v_fma_f64 v[138:139], v[4:5], v[10:11], v[138:139]
	v_fma_f64 v[140:141], v[2:3], v[10:11], -v[12:13]
	ds_load_b128 v[2:5], v1 offset:928
	scratch_load_b128 v[10:13], off, off offset:496
	v_add_f64_e32 v[132:133], v[132:133], v[116:117]
	v_add_f64_e32 v[134:135], v[134:135], v[118:119]
	ds_load_b128 v[116:119], v1 offset:944
	v_fma_f64 v[130:131], v[130:131], v[14:15], v[136:137]
	v_fma_f64 v[128:129], v[128:129], v[14:15], -v[16:17]
	scratch_load_b128 v[14:17], off, off offset:512
	s_wait_loadcnt_dscnt 0xa01
	v_mul_f64_e32 v[142:143], v[2:3], v[20:21]
	v_mul_f64_e32 v[20:21], v[4:5], v[20:21]
	s_wait_loadcnt_dscnt 0x900
	v_mul_f64_e32 v[136:137], v[116:117], v[24:25]
	v_mul_f64_e32 v[24:25], v[118:119], v[24:25]
	v_add_f64_e32 v[132:133], v[132:133], v[140:141]
	v_add_f64_e32 v[134:135], v[134:135], v[138:139]
	v_fma_f64 v[138:139], v[4:5], v[18:19], v[142:143]
	v_fma_f64 v[140:141], v[2:3], v[18:19], -v[20:21]
	ds_load_b128 v[2:5], v1 offset:960
	scratch_load_b128 v[18:21], off, off offset:528
	v_fma_f64 v[118:119], v[118:119], v[22:23], v[136:137]
	v_fma_f64 v[116:117], v[116:117], v[22:23], -v[24:25]
	scratch_load_b128 v[22:25], off, off offset:544
	v_add_f64_e32 v[132:133], v[132:133], v[128:129]
	v_add_f64_e32 v[134:135], v[134:135], v[130:131]
	ds_load_b128 v[128:131], v1 offset:976
	s_wait_loadcnt_dscnt 0xa01
	v_mul_f64_e32 v[142:143], v[2:3], v[28:29]
	v_mul_f64_e32 v[28:29], v[4:5], v[28:29]
	s_wait_loadcnt_dscnt 0x900
	v_mul_f64_e32 v[136:137], v[128:129], v[32:33]
	v_mul_f64_e32 v[32:33], v[130:131], v[32:33]
	v_add_f64_e32 v[132:133], v[132:133], v[140:141]
	v_add_f64_e32 v[134:135], v[134:135], v[138:139]
	v_fma_f64 v[138:139], v[4:5], v[26:27], v[142:143]
	v_fma_f64 v[140:141], v[2:3], v[26:27], -v[28:29]
	ds_load_b128 v[2:5], v1 offset:992
	scratch_load_b128 v[26:29], off, off offset:560
	v_fma_f64 v[130:131], v[130:131], v[30:31], v[136:137]
	v_fma_f64 v[128:129], v[128:129], v[30:31], -v[32:33]
	scratch_load_b128 v[30:33], off, off offset:576
	v_add_f64_e32 v[132:133], v[132:133], v[116:117]
	v_add_f64_e32 v[134:135], v[134:135], v[118:119]
	ds_load_b128 v[116:119], v1 offset:1008
	s_wait_loadcnt_dscnt 0xa01
	v_mul_f64_e32 v[142:143], v[2:3], v[110:111]
	v_mul_f64_e32 v[110:111], v[4:5], v[110:111]
	s_wait_loadcnt_dscnt 0x800
	v_mul_f64_e32 v[136:137], v[116:117], v[126:127]
	v_mul_f64_e32 v[126:127], v[118:119], v[126:127]
	v_add_f64_e32 v[132:133], v[132:133], v[140:141]
	v_add_f64_e32 v[134:135], v[134:135], v[138:139]
	v_fma_f64 v[138:139], v[4:5], v[108:109], v[142:143]
	v_fma_f64 v[140:141], v[2:3], v[108:109], -v[110:111]
	ds_load_b128 v[2:5], v1 offset:1024
	ds_load_b128 v[108:111], v1 offset:1040
	v_fma_f64 v[118:119], v[118:119], v[124:125], v[136:137]
	v_fma_f64 v[116:117], v[116:117], v[124:125], -v[126:127]
	v_add_f64_e32 v[128:129], v[132:133], v[128:129]
	v_add_f64_e32 v[130:131], v[134:135], v[130:131]
	s_wait_loadcnt_dscnt 0x701
	v_mul_f64_e32 v[132:133], v[2:3], v[114:115]
	v_mul_f64_e32 v[114:115], v[4:5], v[114:115]
	s_delay_alu instid0(VALU_DEP_4) | instskip(NEXT) | instid1(VALU_DEP_4)
	v_add_f64_e32 v[124:125], v[128:129], v[140:141]
	v_add_f64_e32 v[126:127], v[130:131], v[138:139]
	s_wait_loadcnt_dscnt 0x600
	v_mul_f64_e32 v[128:129], v[108:109], v[8:9]
	v_mul_f64_e32 v[8:9], v[110:111], v[8:9]
	v_fma_f64 v[130:131], v[4:5], v[112:113], v[132:133]
	v_fma_f64 v[132:133], v[2:3], v[112:113], -v[114:115]
	ds_load_b128 v[2:5], v1 offset:1056
	ds_load_b128 v[112:115], v1 offset:1072
	v_add_f64_e32 v[116:117], v[124:125], v[116:117]
	v_add_f64_e32 v[118:119], v[126:127], v[118:119]
	v_fma_f64 v[110:111], v[110:111], v[6:7], v[128:129]
	s_wait_loadcnt_dscnt 0x501
	v_mul_f64_e32 v[124:125], v[2:3], v[12:13]
	v_mul_f64_e32 v[12:13], v[4:5], v[12:13]
	v_fma_f64 v[6:7], v[108:109], v[6:7], -v[8:9]
	v_add_f64_e32 v[8:9], v[116:117], v[132:133]
	v_add_f64_e32 v[108:109], v[118:119], v[130:131]
	s_wait_loadcnt_dscnt 0x400
	v_mul_f64_e32 v[116:117], v[112:113], v[16:17]
	v_mul_f64_e32 v[16:17], v[114:115], v[16:17]
	v_fma_f64 v[118:119], v[4:5], v[10:11], v[124:125]
	v_fma_f64 v[10:11], v[2:3], v[10:11], -v[12:13]
	v_add_f64_e32 v[12:13], v[8:9], v[6:7]
	v_add_f64_e32 v[108:109], v[108:109], v[110:111]
	ds_load_b128 v[2:5], v1 offset:1088
	ds_load_b128 v[6:9], v1 offset:1104
	v_fma_f64 v[114:115], v[114:115], v[14:15], v[116:117]
	v_fma_f64 v[14:15], v[112:113], v[14:15], -v[16:17]
	s_wait_loadcnt_dscnt 0x301
	v_mul_f64_e32 v[110:111], v[2:3], v[20:21]
	v_mul_f64_e32 v[20:21], v[4:5], v[20:21]
	s_wait_loadcnt_dscnt 0x200
	v_mul_f64_e32 v[16:17], v[6:7], v[24:25]
	v_mul_f64_e32 v[24:25], v[8:9], v[24:25]
	v_add_f64_e32 v[10:11], v[12:13], v[10:11]
	v_add_f64_e32 v[12:13], v[108:109], v[118:119]
	v_fma_f64 v[108:109], v[4:5], v[18:19], v[110:111]
	v_fma_f64 v[18:19], v[2:3], v[18:19], -v[20:21]
	v_fma_f64 v[8:9], v[8:9], v[22:23], v[16:17]
	v_fma_f64 v[6:7], v[6:7], v[22:23], -v[24:25]
	v_add_f64_e32 v[14:15], v[10:11], v[14:15]
	v_add_f64_e32 v[20:21], v[12:13], v[114:115]
	ds_load_b128 v[2:5], v1 offset:1120
	ds_load_b128 v[10:13], v1 offset:1136
	s_wait_loadcnt_dscnt 0x101
	v_mul_f64_e32 v[110:111], v[2:3], v[28:29]
	v_mul_f64_e32 v[28:29], v[4:5], v[28:29]
	v_add_f64_e32 v[14:15], v[14:15], v[18:19]
	v_add_f64_e32 v[16:17], v[20:21], v[108:109]
	s_wait_loadcnt_dscnt 0x0
	v_mul_f64_e32 v[18:19], v[10:11], v[32:33]
	v_mul_f64_e32 v[20:21], v[12:13], v[32:33]
	v_fma_f64 v[4:5], v[4:5], v[26:27], v[110:111]
	v_fma_f64 v[1:2], v[2:3], v[26:27], -v[28:29]
	v_add_f64_e32 v[6:7], v[14:15], v[6:7]
	v_add_f64_e32 v[8:9], v[16:17], v[8:9]
	v_fma_f64 v[12:13], v[12:13], v[30:31], v[18:19]
	v_fma_f64 v[10:11], v[10:11], v[30:31], -v[20:21]
	s_delay_alu instid0(VALU_DEP_4) | instskip(NEXT) | instid1(VALU_DEP_4)
	v_add_f64_e32 v[1:2], v[6:7], v[1:2]
	v_add_f64_e32 v[3:4], v[8:9], v[4:5]
	s_delay_alu instid0(VALU_DEP_2) | instskip(NEXT) | instid1(VALU_DEP_2)
	v_add_f64_e32 v[1:2], v[1:2], v[10:11]
	v_add_f64_e32 v[3:4], v[3:4], v[12:13]
	s_delay_alu instid0(VALU_DEP_2) | instskip(NEXT) | instid1(VALU_DEP_2)
	v_add_f64_e64 v[1:2], v[120:121], -v[1:2]
	v_add_f64_e64 v[3:4], v[122:123], -v[3:4]
	scratch_store_b128 off, v[1:4], off offset:288
	v_cmpx_lt_u32_e32 16, v0
	s_cbranch_execz .LBB99_197
; %bb.196:
	scratch_load_b128 v[1:4], off, s33
	v_mov_b32_e32 v5, 0
	s_delay_alu instid0(VALU_DEP_1)
	v_dual_mov_b32 v6, v5 :: v_dual_mov_b32 v7, v5
	v_mov_b32_e32 v8, v5
	scratch_store_b128 off, v[5:8], off offset:272
	s_wait_loadcnt 0x0
	ds_store_b128 v34, v[1:4]
.LBB99_197:
	s_wait_alu 0xfffe
	s_or_b32 exec_lo, exec_lo, s0
	s_wait_storecnt_dscnt 0x0
	s_barrier_signal -1
	s_barrier_wait -1
	global_inv scope:SCOPE_SE
	s_clause 0x7
	scratch_load_b128 v[2:5], off, off offset:288
	scratch_load_b128 v[6:9], off, off offset:304
	;; [unrolled: 1-line block ×8, first 2 shown]
	v_mov_b32_e32 v1, 0
	s_mov_b32 s0, exec_lo
	ds_load_b128 v[108:111], v1 offset:848
	s_clause 0x1
	scratch_load_b128 v[112:115], off, off offset:416
	scratch_load_b128 v[116:119], off, off offset:272
	ds_load_b128 v[120:123], v1 offset:864
	scratch_load_b128 v[124:127], off, off offset:432
	s_wait_loadcnt_dscnt 0xa01
	v_mul_f64_e32 v[128:129], v[110:111], v[4:5]
	v_mul_f64_e32 v[4:5], v[108:109], v[4:5]
	s_delay_alu instid0(VALU_DEP_2) | instskip(NEXT) | instid1(VALU_DEP_2)
	v_fma_f64 v[134:135], v[108:109], v[2:3], -v[128:129]
	v_fma_f64 v[136:137], v[110:111], v[2:3], v[4:5]
	ds_load_b128 v[2:5], v1 offset:880
	s_wait_loadcnt_dscnt 0x901
	v_mul_f64_e32 v[132:133], v[120:121], v[8:9]
	v_mul_f64_e32 v[8:9], v[122:123], v[8:9]
	scratch_load_b128 v[108:111], off, off offset:448
	ds_load_b128 v[128:131], v1 offset:896
	s_wait_loadcnt_dscnt 0x901
	v_mul_f64_e32 v[138:139], v[2:3], v[12:13]
	v_mul_f64_e32 v[12:13], v[4:5], v[12:13]
	v_fma_f64 v[122:123], v[122:123], v[6:7], v[132:133]
	v_fma_f64 v[120:121], v[120:121], v[6:7], -v[8:9]
	v_add_f64_e32 v[132:133], 0, v[134:135]
	v_add_f64_e32 v[134:135], 0, v[136:137]
	scratch_load_b128 v[6:9], off, off offset:464
	v_fma_f64 v[138:139], v[4:5], v[10:11], v[138:139]
	v_fma_f64 v[140:141], v[2:3], v[10:11], -v[12:13]
	ds_load_b128 v[2:5], v1 offset:912
	s_wait_loadcnt_dscnt 0x901
	v_mul_f64_e32 v[136:137], v[128:129], v[16:17]
	v_mul_f64_e32 v[16:17], v[130:131], v[16:17]
	scratch_load_b128 v[10:13], off, off offset:480
	v_add_f64_e32 v[132:133], v[132:133], v[120:121]
	v_add_f64_e32 v[134:135], v[134:135], v[122:123]
	s_wait_loadcnt_dscnt 0x900
	v_mul_f64_e32 v[142:143], v[2:3], v[20:21]
	v_mul_f64_e32 v[20:21], v[4:5], v[20:21]
	ds_load_b128 v[120:123], v1 offset:928
	v_fma_f64 v[130:131], v[130:131], v[14:15], v[136:137]
	v_fma_f64 v[128:129], v[128:129], v[14:15], -v[16:17]
	scratch_load_b128 v[14:17], off, off offset:496
	v_add_f64_e32 v[132:133], v[132:133], v[140:141]
	v_add_f64_e32 v[134:135], v[134:135], v[138:139]
	v_fma_f64 v[138:139], v[4:5], v[18:19], v[142:143]
	v_fma_f64 v[140:141], v[2:3], v[18:19], -v[20:21]
	ds_load_b128 v[2:5], v1 offset:944
	s_wait_loadcnt_dscnt 0x901
	v_mul_f64_e32 v[136:137], v[120:121], v[24:25]
	v_mul_f64_e32 v[24:25], v[122:123], v[24:25]
	scratch_load_b128 v[18:21], off, off offset:512
	s_wait_loadcnt_dscnt 0x900
	v_mul_f64_e32 v[142:143], v[2:3], v[28:29]
	v_mul_f64_e32 v[28:29], v[4:5], v[28:29]
	v_add_f64_e32 v[132:133], v[132:133], v[128:129]
	v_add_f64_e32 v[134:135], v[134:135], v[130:131]
	ds_load_b128 v[128:131], v1 offset:960
	v_fma_f64 v[122:123], v[122:123], v[22:23], v[136:137]
	v_fma_f64 v[120:121], v[120:121], v[22:23], -v[24:25]
	scratch_load_b128 v[22:25], off, off offset:528
	v_add_f64_e32 v[132:133], v[132:133], v[140:141]
	v_add_f64_e32 v[134:135], v[134:135], v[138:139]
	v_fma_f64 v[138:139], v[4:5], v[26:27], v[142:143]
	v_fma_f64 v[140:141], v[2:3], v[26:27], -v[28:29]
	ds_load_b128 v[2:5], v1 offset:976
	s_wait_loadcnt_dscnt 0x901
	v_mul_f64_e32 v[136:137], v[128:129], v[32:33]
	v_mul_f64_e32 v[32:33], v[130:131], v[32:33]
	scratch_load_b128 v[26:29], off, off offset:544
	s_wait_loadcnt_dscnt 0x900
	v_mul_f64_e32 v[142:143], v[2:3], v[114:115]
	v_mul_f64_e32 v[114:115], v[4:5], v[114:115]
	v_add_f64_e32 v[132:133], v[132:133], v[120:121]
	v_add_f64_e32 v[134:135], v[134:135], v[122:123]
	ds_load_b128 v[120:123], v1 offset:992
	v_fma_f64 v[130:131], v[130:131], v[30:31], v[136:137]
	v_fma_f64 v[128:129], v[128:129], v[30:31], -v[32:33]
	scratch_load_b128 v[30:33], off, off offset:560
	v_add_f64_e32 v[132:133], v[132:133], v[140:141]
	v_add_f64_e32 v[134:135], v[134:135], v[138:139]
	v_fma_f64 v[140:141], v[4:5], v[112:113], v[142:143]
	v_fma_f64 v[142:143], v[2:3], v[112:113], -v[114:115]
	ds_load_b128 v[2:5], v1 offset:1008
	s_wait_loadcnt_dscnt 0x801
	v_mul_f64_e32 v[136:137], v[120:121], v[126:127]
	v_mul_f64_e32 v[138:139], v[122:123], v[126:127]
	scratch_load_b128 v[112:115], off, off offset:576
	v_add_f64_e32 v[132:133], v[132:133], v[128:129]
	v_add_f64_e32 v[130:131], v[134:135], v[130:131]
	ds_load_b128 v[126:129], v1 offset:1024
	v_fma_f64 v[122:123], v[122:123], v[124:125], v[136:137]
	v_fma_f64 v[120:121], v[120:121], v[124:125], -v[138:139]
	s_wait_loadcnt_dscnt 0x801
	v_mul_f64_e32 v[134:135], v[2:3], v[110:111]
	v_mul_f64_e32 v[110:111], v[4:5], v[110:111]
	v_add_f64_e32 v[124:125], v[132:133], v[142:143]
	v_add_f64_e32 v[130:131], v[130:131], v[140:141]
	s_delay_alu instid0(VALU_DEP_4) | instskip(NEXT) | instid1(VALU_DEP_4)
	v_fma_f64 v[134:135], v[4:5], v[108:109], v[134:135]
	v_fma_f64 v[136:137], v[2:3], v[108:109], -v[110:111]
	s_wait_loadcnt_dscnt 0x700
	v_mul_f64_e32 v[132:133], v[126:127], v[8:9]
	v_mul_f64_e32 v[8:9], v[128:129], v[8:9]
	ds_load_b128 v[2:5], v1 offset:1040
	ds_load_b128 v[108:111], v1 offset:1056
	v_add_f64_e32 v[120:121], v[124:125], v[120:121]
	v_add_f64_e32 v[122:123], v[130:131], v[122:123]
	s_wait_loadcnt_dscnt 0x601
	v_mul_f64_e32 v[124:125], v[2:3], v[12:13]
	v_mul_f64_e32 v[12:13], v[4:5], v[12:13]
	v_fma_f64 v[128:129], v[128:129], v[6:7], v[132:133]
	v_fma_f64 v[6:7], v[126:127], v[6:7], -v[8:9]
	v_add_f64_e32 v[8:9], v[120:121], v[136:137]
	v_add_f64_e32 v[120:121], v[122:123], v[134:135]
	s_wait_loadcnt_dscnt 0x500
	v_mul_f64_e32 v[122:123], v[108:109], v[16:17]
	v_mul_f64_e32 v[16:17], v[110:111], v[16:17]
	v_fma_f64 v[124:125], v[4:5], v[10:11], v[124:125]
	v_fma_f64 v[10:11], v[2:3], v[10:11], -v[12:13]
	v_add_f64_e32 v[12:13], v[8:9], v[6:7]
	v_add_f64_e32 v[120:121], v[120:121], v[128:129]
	ds_load_b128 v[2:5], v1 offset:1072
	ds_load_b128 v[6:9], v1 offset:1088
	v_fma_f64 v[110:111], v[110:111], v[14:15], v[122:123]
	v_fma_f64 v[14:15], v[108:109], v[14:15], -v[16:17]
	s_wait_loadcnt_dscnt 0x401
	v_mul_f64_e32 v[126:127], v[2:3], v[20:21]
	v_mul_f64_e32 v[20:21], v[4:5], v[20:21]
	s_wait_loadcnt_dscnt 0x300
	v_mul_f64_e32 v[16:17], v[6:7], v[24:25]
	v_mul_f64_e32 v[24:25], v[8:9], v[24:25]
	v_add_f64_e32 v[10:11], v[12:13], v[10:11]
	v_add_f64_e32 v[12:13], v[120:121], v[124:125]
	v_fma_f64 v[108:109], v[4:5], v[18:19], v[126:127]
	v_fma_f64 v[18:19], v[2:3], v[18:19], -v[20:21]
	v_fma_f64 v[8:9], v[8:9], v[22:23], v[16:17]
	v_fma_f64 v[6:7], v[6:7], v[22:23], -v[24:25]
	v_add_f64_e32 v[14:15], v[10:11], v[14:15]
	v_add_f64_e32 v[20:21], v[12:13], v[110:111]
	ds_load_b128 v[2:5], v1 offset:1104
	ds_load_b128 v[10:13], v1 offset:1120
	s_wait_loadcnt_dscnt 0x201
	v_mul_f64_e32 v[110:111], v[2:3], v[28:29]
	v_mul_f64_e32 v[28:29], v[4:5], v[28:29]
	v_add_f64_e32 v[14:15], v[14:15], v[18:19]
	v_add_f64_e32 v[16:17], v[20:21], v[108:109]
	s_wait_loadcnt_dscnt 0x100
	v_mul_f64_e32 v[18:19], v[10:11], v[32:33]
	v_mul_f64_e32 v[20:21], v[12:13], v[32:33]
	v_fma_f64 v[22:23], v[4:5], v[26:27], v[110:111]
	v_fma_f64 v[24:25], v[2:3], v[26:27], -v[28:29]
	ds_load_b128 v[2:5], v1 offset:1136
	v_add_f64_e32 v[6:7], v[14:15], v[6:7]
	v_add_f64_e32 v[8:9], v[16:17], v[8:9]
	v_fma_f64 v[12:13], v[12:13], v[30:31], v[18:19]
	v_fma_f64 v[10:11], v[10:11], v[30:31], -v[20:21]
	s_wait_loadcnt_dscnt 0x0
	v_mul_f64_e32 v[14:15], v[2:3], v[114:115]
	v_mul_f64_e32 v[16:17], v[4:5], v[114:115]
	v_add_f64_e32 v[6:7], v[6:7], v[24:25]
	v_add_f64_e32 v[8:9], v[8:9], v[22:23]
	s_delay_alu instid0(VALU_DEP_4) | instskip(NEXT) | instid1(VALU_DEP_4)
	v_fma_f64 v[4:5], v[4:5], v[112:113], v[14:15]
	v_fma_f64 v[2:3], v[2:3], v[112:113], -v[16:17]
	s_delay_alu instid0(VALU_DEP_4) | instskip(NEXT) | instid1(VALU_DEP_4)
	v_add_f64_e32 v[6:7], v[6:7], v[10:11]
	v_add_f64_e32 v[8:9], v[8:9], v[12:13]
	s_delay_alu instid0(VALU_DEP_2) | instskip(NEXT) | instid1(VALU_DEP_2)
	v_add_f64_e32 v[2:3], v[6:7], v[2:3]
	v_add_f64_e32 v[4:5], v[8:9], v[4:5]
	s_delay_alu instid0(VALU_DEP_2) | instskip(NEXT) | instid1(VALU_DEP_2)
	v_add_f64_e64 v[2:3], v[116:117], -v[2:3]
	v_add_f64_e64 v[4:5], v[118:119], -v[4:5]
	scratch_store_b128 off, v[2:5], off offset:272
	v_cmpx_lt_u32_e32 15, v0
	s_cbranch_execz .LBB99_199
; %bb.198:
	scratch_load_b128 v[5:8], off, s14
	v_dual_mov_b32 v2, v1 :: v_dual_mov_b32 v3, v1
	v_mov_b32_e32 v4, v1
	scratch_store_b128 off, v[1:4], off offset:256
	s_wait_loadcnt 0x0
	ds_store_b128 v34, v[5:8]
.LBB99_199:
	s_wait_alu 0xfffe
	s_or_b32 exec_lo, exec_lo, s0
	s_wait_storecnt_dscnt 0x0
	s_barrier_signal -1
	s_barrier_wait -1
	global_inv scope:SCOPE_SE
	s_clause 0x8
	scratch_load_b128 v[2:5], off, off offset:272
	scratch_load_b128 v[6:9], off, off offset:288
	;; [unrolled: 1-line block ×9, first 2 shown]
	ds_load_b128 v[112:115], v1 offset:832
	ds_load_b128 v[116:119], v1 offset:848
	s_clause 0x1
	scratch_load_b128 v[120:123], off, off offset:256
	scratch_load_b128 v[124:127], off, off offset:416
	s_mov_b32 s0, exec_lo
	s_wait_loadcnt_dscnt 0xa01
	v_mul_f64_e32 v[128:129], v[114:115], v[4:5]
	v_mul_f64_e32 v[4:5], v[112:113], v[4:5]
	s_wait_loadcnt_dscnt 0x900
	v_mul_f64_e32 v[132:133], v[116:117], v[8:9]
	v_mul_f64_e32 v[8:9], v[118:119], v[8:9]
	s_delay_alu instid0(VALU_DEP_4) | instskip(NEXT) | instid1(VALU_DEP_4)
	v_fma_f64 v[134:135], v[112:113], v[2:3], -v[128:129]
	v_fma_f64 v[136:137], v[114:115], v[2:3], v[4:5]
	ds_load_b128 v[2:5], v1 offset:864
	ds_load_b128 v[128:131], v1 offset:880
	scratch_load_b128 v[112:115], off, off offset:432
	v_fma_f64 v[118:119], v[118:119], v[6:7], v[132:133]
	v_fma_f64 v[116:117], v[116:117], v[6:7], -v[8:9]
	scratch_load_b128 v[6:9], off, off offset:448
	s_wait_loadcnt_dscnt 0xa01
	v_mul_f64_e32 v[138:139], v[2:3], v[12:13]
	v_mul_f64_e32 v[12:13], v[4:5], v[12:13]
	v_add_f64_e32 v[132:133], 0, v[134:135]
	v_add_f64_e32 v[134:135], 0, v[136:137]
	s_wait_loadcnt_dscnt 0x900
	v_mul_f64_e32 v[136:137], v[128:129], v[16:17]
	v_mul_f64_e32 v[16:17], v[130:131], v[16:17]
	v_fma_f64 v[138:139], v[4:5], v[10:11], v[138:139]
	v_fma_f64 v[140:141], v[2:3], v[10:11], -v[12:13]
	ds_load_b128 v[2:5], v1 offset:896
	scratch_load_b128 v[10:13], off, off offset:464
	v_add_f64_e32 v[132:133], v[132:133], v[116:117]
	v_add_f64_e32 v[134:135], v[134:135], v[118:119]
	ds_load_b128 v[116:119], v1 offset:912
	v_fma_f64 v[130:131], v[130:131], v[14:15], v[136:137]
	v_fma_f64 v[128:129], v[128:129], v[14:15], -v[16:17]
	scratch_load_b128 v[14:17], off, off offset:480
	s_wait_loadcnt_dscnt 0xa01
	v_mul_f64_e32 v[142:143], v[2:3], v[20:21]
	v_mul_f64_e32 v[20:21], v[4:5], v[20:21]
	s_wait_loadcnt_dscnt 0x900
	v_mul_f64_e32 v[136:137], v[116:117], v[24:25]
	v_mul_f64_e32 v[24:25], v[118:119], v[24:25]
	v_add_f64_e32 v[132:133], v[132:133], v[140:141]
	v_add_f64_e32 v[134:135], v[134:135], v[138:139]
	v_fma_f64 v[138:139], v[4:5], v[18:19], v[142:143]
	v_fma_f64 v[140:141], v[2:3], v[18:19], -v[20:21]
	ds_load_b128 v[2:5], v1 offset:928
	scratch_load_b128 v[18:21], off, off offset:496
	v_fma_f64 v[118:119], v[118:119], v[22:23], v[136:137]
	v_fma_f64 v[116:117], v[116:117], v[22:23], -v[24:25]
	scratch_load_b128 v[22:25], off, off offset:512
	v_add_f64_e32 v[132:133], v[132:133], v[128:129]
	v_add_f64_e32 v[134:135], v[134:135], v[130:131]
	ds_load_b128 v[128:131], v1 offset:944
	s_wait_loadcnt_dscnt 0xa01
	v_mul_f64_e32 v[142:143], v[2:3], v[28:29]
	v_mul_f64_e32 v[28:29], v[4:5], v[28:29]
	s_wait_loadcnt_dscnt 0x900
	v_mul_f64_e32 v[136:137], v[128:129], v[32:33]
	v_mul_f64_e32 v[32:33], v[130:131], v[32:33]
	v_add_f64_e32 v[132:133], v[132:133], v[140:141]
	v_add_f64_e32 v[134:135], v[134:135], v[138:139]
	v_fma_f64 v[138:139], v[4:5], v[26:27], v[142:143]
	v_fma_f64 v[140:141], v[2:3], v[26:27], -v[28:29]
	ds_load_b128 v[2:5], v1 offset:960
	scratch_load_b128 v[26:29], off, off offset:528
	v_fma_f64 v[130:131], v[130:131], v[30:31], v[136:137]
	v_fma_f64 v[128:129], v[128:129], v[30:31], -v[32:33]
	scratch_load_b128 v[30:33], off, off offset:544
	v_add_f64_e32 v[132:133], v[132:133], v[116:117]
	v_add_f64_e32 v[134:135], v[134:135], v[118:119]
	ds_load_b128 v[116:119], v1 offset:976
	s_wait_loadcnt_dscnt 0xa01
	v_mul_f64_e32 v[142:143], v[2:3], v[110:111]
	v_mul_f64_e32 v[110:111], v[4:5], v[110:111]
	s_wait_loadcnt_dscnt 0x800
	v_mul_f64_e32 v[136:137], v[116:117], v[126:127]
	v_add_f64_e32 v[132:133], v[132:133], v[140:141]
	v_add_f64_e32 v[134:135], v[134:135], v[138:139]
	v_mul_f64_e32 v[138:139], v[118:119], v[126:127]
	v_fma_f64 v[140:141], v[4:5], v[108:109], v[142:143]
	v_fma_f64 v[142:143], v[2:3], v[108:109], -v[110:111]
	ds_load_b128 v[2:5], v1 offset:992
	scratch_load_b128 v[108:111], off, off offset:560
	v_fma_f64 v[118:119], v[118:119], v[124:125], v[136:137]
	v_add_f64_e32 v[132:133], v[132:133], v[128:129]
	v_add_f64_e32 v[130:131], v[134:135], v[130:131]
	ds_load_b128 v[126:129], v1 offset:1008
	v_fma_f64 v[124:125], v[116:117], v[124:125], -v[138:139]
	s_wait_loadcnt_dscnt 0x801
	v_mul_f64_e32 v[134:135], v[2:3], v[114:115]
	v_mul_f64_e32 v[144:145], v[4:5], v[114:115]
	scratch_load_b128 v[114:117], off, off offset:576
	s_wait_loadcnt_dscnt 0x800
	v_mul_f64_e32 v[136:137], v[126:127], v[8:9]
	v_mul_f64_e32 v[8:9], v[128:129], v[8:9]
	v_add_f64_e32 v[132:133], v[132:133], v[142:143]
	v_add_f64_e32 v[130:131], v[130:131], v[140:141]
	v_fma_f64 v[134:135], v[4:5], v[112:113], v[134:135]
	v_fma_f64 v[112:113], v[2:3], v[112:113], -v[144:145]
	v_fma_f64 v[128:129], v[128:129], v[6:7], v[136:137]
	v_fma_f64 v[6:7], v[126:127], v[6:7], -v[8:9]
	v_add_f64_e32 v[124:125], v[132:133], v[124:125]
	v_add_f64_e32 v[118:119], v[130:131], v[118:119]
	ds_load_b128 v[2:5], v1 offset:1024
	ds_load_b128 v[130:133], v1 offset:1040
	s_wait_loadcnt_dscnt 0x701
	v_mul_f64_e32 v[138:139], v[2:3], v[12:13]
	v_mul_f64_e32 v[12:13], v[4:5], v[12:13]
	v_add_f64_e32 v[8:9], v[124:125], v[112:113]
	v_add_f64_e32 v[112:113], v[118:119], v[134:135]
	s_wait_loadcnt_dscnt 0x600
	v_mul_f64_e32 v[118:119], v[130:131], v[16:17]
	v_mul_f64_e32 v[16:17], v[132:133], v[16:17]
	v_fma_f64 v[124:125], v[4:5], v[10:11], v[138:139]
	v_fma_f64 v[10:11], v[2:3], v[10:11], -v[12:13]
	v_add_f64_e32 v[12:13], v[8:9], v[6:7]
	v_add_f64_e32 v[112:113], v[112:113], v[128:129]
	ds_load_b128 v[2:5], v1 offset:1056
	ds_load_b128 v[6:9], v1 offset:1072
	v_fma_f64 v[118:119], v[132:133], v[14:15], v[118:119]
	v_fma_f64 v[14:15], v[130:131], v[14:15], -v[16:17]
	s_wait_loadcnt_dscnt 0x501
	v_mul_f64_e32 v[126:127], v[2:3], v[20:21]
	v_mul_f64_e32 v[20:21], v[4:5], v[20:21]
	s_wait_loadcnt_dscnt 0x400
	v_mul_f64_e32 v[16:17], v[6:7], v[24:25]
	v_mul_f64_e32 v[24:25], v[8:9], v[24:25]
	v_add_f64_e32 v[10:11], v[12:13], v[10:11]
	v_add_f64_e32 v[12:13], v[112:113], v[124:125]
	v_fma_f64 v[112:113], v[4:5], v[18:19], v[126:127]
	v_fma_f64 v[18:19], v[2:3], v[18:19], -v[20:21]
	v_fma_f64 v[8:9], v[8:9], v[22:23], v[16:17]
	v_fma_f64 v[6:7], v[6:7], v[22:23], -v[24:25]
	v_add_f64_e32 v[14:15], v[10:11], v[14:15]
	v_add_f64_e32 v[20:21], v[12:13], v[118:119]
	ds_load_b128 v[2:5], v1 offset:1088
	ds_load_b128 v[10:13], v1 offset:1104
	s_wait_loadcnt_dscnt 0x301
	v_mul_f64_e32 v[118:119], v[2:3], v[28:29]
	v_mul_f64_e32 v[28:29], v[4:5], v[28:29]
	v_add_f64_e32 v[14:15], v[14:15], v[18:19]
	v_add_f64_e32 v[16:17], v[20:21], v[112:113]
	s_wait_loadcnt_dscnt 0x200
	v_mul_f64_e32 v[18:19], v[10:11], v[32:33]
	v_mul_f64_e32 v[20:21], v[12:13], v[32:33]
	v_fma_f64 v[22:23], v[4:5], v[26:27], v[118:119]
	v_fma_f64 v[24:25], v[2:3], v[26:27], -v[28:29]
	v_add_f64_e32 v[14:15], v[14:15], v[6:7]
	v_add_f64_e32 v[16:17], v[16:17], v[8:9]
	ds_load_b128 v[2:5], v1 offset:1120
	ds_load_b128 v[6:9], v1 offset:1136
	v_fma_f64 v[12:13], v[12:13], v[30:31], v[18:19]
	v_fma_f64 v[10:11], v[10:11], v[30:31], -v[20:21]
	s_wait_loadcnt_dscnt 0x101
	v_mul_f64_e32 v[26:27], v[2:3], v[110:111]
	v_mul_f64_e32 v[28:29], v[4:5], v[110:111]
	s_wait_loadcnt_dscnt 0x0
	v_mul_f64_e32 v[18:19], v[6:7], v[116:117]
	v_add_f64_e32 v[14:15], v[14:15], v[24:25]
	v_add_f64_e32 v[16:17], v[16:17], v[22:23]
	v_mul_f64_e32 v[20:21], v[8:9], v[116:117]
	v_fma_f64 v[4:5], v[4:5], v[108:109], v[26:27]
	v_fma_f64 v[1:2], v[2:3], v[108:109], -v[28:29]
	v_fma_f64 v[8:9], v[8:9], v[114:115], v[18:19]
	v_add_f64_e32 v[10:11], v[14:15], v[10:11]
	v_add_f64_e32 v[12:13], v[16:17], v[12:13]
	v_fma_f64 v[6:7], v[6:7], v[114:115], -v[20:21]
	s_delay_alu instid0(VALU_DEP_3) | instskip(NEXT) | instid1(VALU_DEP_3)
	v_add_f64_e32 v[1:2], v[10:11], v[1:2]
	v_add_f64_e32 v[3:4], v[12:13], v[4:5]
	s_delay_alu instid0(VALU_DEP_2) | instskip(NEXT) | instid1(VALU_DEP_2)
	v_add_f64_e32 v[1:2], v[1:2], v[6:7]
	v_add_f64_e32 v[3:4], v[3:4], v[8:9]
	s_delay_alu instid0(VALU_DEP_2) | instskip(NEXT) | instid1(VALU_DEP_2)
	v_add_f64_e64 v[1:2], v[120:121], -v[1:2]
	v_add_f64_e64 v[3:4], v[122:123], -v[3:4]
	scratch_store_b128 off, v[1:4], off offset:256
	v_cmpx_lt_u32_e32 14, v0
	s_cbranch_execz .LBB99_201
; %bb.200:
	scratch_load_b128 v[1:4], off, s31
	v_mov_b32_e32 v5, 0
	s_delay_alu instid0(VALU_DEP_1)
	v_dual_mov_b32 v6, v5 :: v_dual_mov_b32 v7, v5
	v_mov_b32_e32 v8, v5
	scratch_store_b128 off, v[5:8], off offset:240
	s_wait_loadcnt 0x0
	ds_store_b128 v34, v[1:4]
.LBB99_201:
	s_wait_alu 0xfffe
	s_or_b32 exec_lo, exec_lo, s0
	s_wait_storecnt_dscnt 0x0
	s_barrier_signal -1
	s_barrier_wait -1
	global_inv scope:SCOPE_SE
	s_clause 0x7
	scratch_load_b128 v[2:5], off, off offset:256
	scratch_load_b128 v[6:9], off, off offset:272
	;; [unrolled: 1-line block ×8, first 2 shown]
	v_mov_b32_e32 v1, 0
	s_mov_b32 s0, exec_lo
	ds_load_b128 v[108:111], v1 offset:816
	s_clause 0x1
	scratch_load_b128 v[112:115], off, off offset:384
	scratch_load_b128 v[116:119], off, off offset:240
	ds_load_b128 v[120:123], v1 offset:832
	scratch_load_b128 v[124:127], off, off offset:400
	s_wait_loadcnt_dscnt 0xa01
	v_mul_f64_e32 v[128:129], v[110:111], v[4:5]
	v_mul_f64_e32 v[4:5], v[108:109], v[4:5]
	s_delay_alu instid0(VALU_DEP_2) | instskip(NEXT) | instid1(VALU_DEP_2)
	v_fma_f64 v[134:135], v[108:109], v[2:3], -v[128:129]
	v_fma_f64 v[136:137], v[110:111], v[2:3], v[4:5]
	ds_load_b128 v[2:5], v1 offset:848
	s_wait_loadcnt_dscnt 0x901
	v_mul_f64_e32 v[132:133], v[120:121], v[8:9]
	v_mul_f64_e32 v[8:9], v[122:123], v[8:9]
	scratch_load_b128 v[108:111], off, off offset:416
	ds_load_b128 v[128:131], v1 offset:864
	s_wait_loadcnt_dscnt 0x901
	v_mul_f64_e32 v[138:139], v[2:3], v[12:13]
	v_mul_f64_e32 v[12:13], v[4:5], v[12:13]
	v_fma_f64 v[122:123], v[122:123], v[6:7], v[132:133]
	v_fma_f64 v[120:121], v[120:121], v[6:7], -v[8:9]
	v_add_f64_e32 v[132:133], 0, v[134:135]
	v_add_f64_e32 v[134:135], 0, v[136:137]
	scratch_load_b128 v[6:9], off, off offset:432
	v_fma_f64 v[138:139], v[4:5], v[10:11], v[138:139]
	v_fma_f64 v[140:141], v[2:3], v[10:11], -v[12:13]
	ds_load_b128 v[2:5], v1 offset:880
	s_wait_loadcnt_dscnt 0x901
	v_mul_f64_e32 v[136:137], v[128:129], v[16:17]
	v_mul_f64_e32 v[16:17], v[130:131], v[16:17]
	scratch_load_b128 v[10:13], off, off offset:448
	v_add_f64_e32 v[132:133], v[132:133], v[120:121]
	v_add_f64_e32 v[134:135], v[134:135], v[122:123]
	s_wait_loadcnt_dscnt 0x900
	v_mul_f64_e32 v[142:143], v[2:3], v[20:21]
	v_mul_f64_e32 v[20:21], v[4:5], v[20:21]
	ds_load_b128 v[120:123], v1 offset:896
	v_fma_f64 v[130:131], v[130:131], v[14:15], v[136:137]
	v_fma_f64 v[128:129], v[128:129], v[14:15], -v[16:17]
	scratch_load_b128 v[14:17], off, off offset:464
	v_add_f64_e32 v[132:133], v[132:133], v[140:141]
	v_add_f64_e32 v[134:135], v[134:135], v[138:139]
	v_fma_f64 v[138:139], v[4:5], v[18:19], v[142:143]
	v_fma_f64 v[140:141], v[2:3], v[18:19], -v[20:21]
	ds_load_b128 v[2:5], v1 offset:912
	s_wait_loadcnt_dscnt 0x901
	v_mul_f64_e32 v[136:137], v[120:121], v[24:25]
	v_mul_f64_e32 v[24:25], v[122:123], v[24:25]
	scratch_load_b128 v[18:21], off, off offset:480
	s_wait_loadcnt_dscnt 0x900
	v_mul_f64_e32 v[142:143], v[2:3], v[28:29]
	v_mul_f64_e32 v[28:29], v[4:5], v[28:29]
	v_add_f64_e32 v[132:133], v[132:133], v[128:129]
	v_add_f64_e32 v[134:135], v[134:135], v[130:131]
	ds_load_b128 v[128:131], v1 offset:928
	v_fma_f64 v[122:123], v[122:123], v[22:23], v[136:137]
	v_fma_f64 v[120:121], v[120:121], v[22:23], -v[24:25]
	scratch_load_b128 v[22:25], off, off offset:496
	v_add_f64_e32 v[132:133], v[132:133], v[140:141]
	v_add_f64_e32 v[134:135], v[134:135], v[138:139]
	v_fma_f64 v[138:139], v[4:5], v[26:27], v[142:143]
	v_fma_f64 v[140:141], v[2:3], v[26:27], -v[28:29]
	ds_load_b128 v[2:5], v1 offset:944
	s_wait_loadcnt_dscnt 0x901
	v_mul_f64_e32 v[136:137], v[128:129], v[32:33]
	v_mul_f64_e32 v[32:33], v[130:131], v[32:33]
	scratch_load_b128 v[26:29], off, off offset:512
	s_wait_loadcnt_dscnt 0x900
	v_mul_f64_e32 v[142:143], v[2:3], v[114:115]
	v_mul_f64_e32 v[114:115], v[4:5], v[114:115]
	v_add_f64_e32 v[132:133], v[132:133], v[120:121]
	v_add_f64_e32 v[134:135], v[134:135], v[122:123]
	ds_load_b128 v[120:123], v1 offset:960
	v_fma_f64 v[130:131], v[130:131], v[30:31], v[136:137]
	v_fma_f64 v[128:129], v[128:129], v[30:31], -v[32:33]
	scratch_load_b128 v[30:33], off, off offset:528
	v_add_f64_e32 v[132:133], v[132:133], v[140:141]
	v_add_f64_e32 v[134:135], v[134:135], v[138:139]
	v_fma_f64 v[140:141], v[4:5], v[112:113], v[142:143]
	v_fma_f64 v[142:143], v[2:3], v[112:113], -v[114:115]
	ds_load_b128 v[2:5], v1 offset:976
	s_wait_loadcnt_dscnt 0x801
	v_mul_f64_e32 v[136:137], v[120:121], v[126:127]
	v_mul_f64_e32 v[138:139], v[122:123], v[126:127]
	scratch_load_b128 v[112:115], off, off offset:544
	v_add_f64_e32 v[132:133], v[132:133], v[128:129]
	v_add_f64_e32 v[130:131], v[134:135], v[130:131]
	ds_load_b128 v[126:129], v1 offset:992
	v_fma_f64 v[136:137], v[122:123], v[124:125], v[136:137]
	v_fma_f64 v[124:125], v[120:121], v[124:125], -v[138:139]
	scratch_load_b128 v[120:123], off, off offset:560
	s_wait_loadcnt_dscnt 0x901
	v_mul_f64_e32 v[134:135], v[2:3], v[110:111]
	v_mul_f64_e32 v[110:111], v[4:5], v[110:111]
	v_add_f64_e32 v[132:133], v[132:133], v[142:143]
	v_add_f64_e32 v[130:131], v[130:131], v[140:141]
	s_delay_alu instid0(VALU_DEP_4) | instskip(NEXT) | instid1(VALU_DEP_4)
	v_fma_f64 v[134:135], v[4:5], v[108:109], v[134:135]
	v_fma_f64 v[140:141], v[2:3], v[108:109], -v[110:111]
	ds_load_b128 v[2:5], v1 offset:1008
	s_wait_loadcnt_dscnt 0x801
	v_mul_f64_e32 v[138:139], v[126:127], v[8:9]
	v_mul_f64_e32 v[8:9], v[128:129], v[8:9]
	scratch_load_b128 v[108:111], off, off offset:576
	s_wait_loadcnt_dscnt 0x800
	v_mul_f64_e32 v[142:143], v[2:3], v[12:13]
	v_add_f64_e32 v[124:125], v[132:133], v[124:125]
	v_add_f64_e32 v[136:137], v[130:131], v[136:137]
	v_mul_f64_e32 v[12:13], v[4:5], v[12:13]
	ds_load_b128 v[130:133], v1 offset:1024
	v_fma_f64 v[128:129], v[128:129], v[6:7], v[138:139]
	v_fma_f64 v[6:7], v[126:127], v[6:7], -v[8:9]
	s_wait_loadcnt_dscnt 0x700
	v_mul_f64_e32 v[126:127], v[130:131], v[16:17]
	v_add_f64_e32 v[8:9], v[124:125], v[140:141]
	v_add_f64_e32 v[124:125], v[136:137], v[134:135]
	v_mul_f64_e32 v[16:17], v[132:133], v[16:17]
	v_fma_f64 v[134:135], v[4:5], v[10:11], v[142:143]
	v_fma_f64 v[10:11], v[2:3], v[10:11], -v[12:13]
	v_fma_f64 v[126:127], v[132:133], v[14:15], v[126:127]
	v_add_f64_e32 v[12:13], v[8:9], v[6:7]
	v_add_f64_e32 v[124:125], v[124:125], v[128:129]
	ds_load_b128 v[2:5], v1 offset:1040
	ds_load_b128 v[6:9], v1 offset:1056
	v_fma_f64 v[14:15], v[130:131], v[14:15], -v[16:17]
	s_wait_loadcnt_dscnt 0x601
	v_mul_f64_e32 v[128:129], v[2:3], v[20:21]
	v_mul_f64_e32 v[20:21], v[4:5], v[20:21]
	s_wait_loadcnt_dscnt 0x500
	v_mul_f64_e32 v[16:17], v[6:7], v[24:25]
	v_mul_f64_e32 v[24:25], v[8:9], v[24:25]
	v_add_f64_e32 v[10:11], v[12:13], v[10:11]
	v_add_f64_e32 v[12:13], v[124:125], v[134:135]
	v_fma_f64 v[124:125], v[4:5], v[18:19], v[128:129]
	v_fma_f64 v[18:19], v[2:3], v[18:19], -v[20:21]
	v_fma_f64 v[8:9], v[8:9], v[22:23], v[16:17]
	v_fma_f64 v[6:7], v[6:7], v[22:23], -v[24:25]
	v_add_f64_e32 v[14:15], v[10:11], v[14:15]
	v_add_f64_e32 v[20:21], v[12:13], v[126:127]
	ds_load_b128 v[2:5], v1 offset:1072
	ds_load_b128 v[10:13], v1 offset:1088
	s_wait_loadcnt_dscnt 0x401
	v_mul_f64_e32 v[126:127], v[2:3], v[28:29]
	v_mul_f64_e32 v[28:29], v[4:5], v[28:29]
	v_add_f64_e32 v[14:15], v[14:15], v[18:19]
	v_add_f64_e32 v[16:17], v[20:21], v[124:125]
	s_wait_loadcnt_dscnt 0x300
	v_mul_f64_e32 v[18:19], v[10:11], v[32:33]
	v_mul_f64_e32 v[20:21], v[12:13], v[32:33]
	v_fma_f64 v[22:23], v[4:5], v[26:27], v[126:127]
	v_fma_f64 v[24:25], v[2:3], v[26:27], -v[28:29]
	v_add_f64_e32 v[14:15], v[14:15], v[6:7]
	v_add_f64_e32 v[16:17], v[16:17], v[8:9]
	ds_load_b128 v[2:5], v1 offset:1104
	ds_load_b128 v[6:9], v1 offset:1120
	v_fma_f64 v[12:13], v[12:13], v[30:31], v[18:19]
	v_fma_f64 v[10:11], v[10:11], v[30:31], -v[20:21]
	s_wait_loadcnt_dscnt 0x201
	v_mul_f64_e32 v[26:27], v[2:3], v[114:115]
	v_mul_f64_e32 v[28:29], v[4:5], v[114:115]
	s_wait_loadcnt_dscnt 0x100
	v_mul_f64_e32 v[18:19], v[6:7], v[122:123]
	v_mul_f64_e32 v[20:21], v[8:9], v[122:123]
	v_add_f64_e32 v[14:15], v[14:15], v[24:25]
	v_add_f64_e32 v[16:17], v[16:17], v[22:23]
	v_fma_f64 v[22:23], v[4:5], v[112:113], v[26:27]
	v_fma_f64 v[24:25], v[2:3], v[112:113], -v[28:29]
	ds_load_b128 v[2:5], v1 offset:1136
	v_fma_f64 v[8:9], v[8:9], v[120:121], v[18:19]
	v_fma_f64 v[6:7], v[6:7], v[120:121], -v[20:21]
	v_add_f64_e32 v[10:11], v[14:15], v[10:11]
	v_add_f64_e32 v[12:13], v[16:17], v[12:13]
	s_wait_loadcnt_dscnt 0x0
	v_mul_f64_e32 v[14:15], v[2:3], v[110:111]
	v_mul_f64_e32 v[16:17], v[4:5], v[110:111]
	s_delay_alu instid0(VALU_DEP_4) | instskip(NEXT) | instid1(VALU_DEP_4)
	v_add_f64_e32 v[10:11], v[10:11], v[24:25]
	v_add_f64_e32 v[12:13], v[12:13], v[22:23]
	s_delay_alu instid0(VALU_DEP_4) | instskip(NEXT) | instid1(VALU_DEP_4)
	v_fma_f64 v[4:5], v[4:5], v[108:109], v[14:15]
	v_fma_f64 v[2:3], v[2:3], v[108:109], -v[16:17]
	s_delay_alu instid0(VALU_DEP_4) | instskip(NEXT) | instid1(VALU_DEP_4)
	v_add_f64_e32 v[6:7], v[10:11], v[6:7]
	v_add_f64_e32 v[8:9], v[12:13], v[8:9]
	s_delay_alu instid0(VALU_DEP_2) | instskip(NEXT) | instid1(VALU_DEP_2)
	v_add_f64_e32 v[2:3], v[6:7], v[2:3]
	v_add_f64_e32 v[4:5], v[8:9], v[4:5]
	s_delay_alu instid0(VALU_DEP_2) | instskip(NEXT) | instid1(VALU_DEP_2)
	v_add_f64_e64 v[2:3], v[116:117], -v[2:3]
	v_add_f64_e64 v[4:5], v[118:119], -v[4:5]
	scratch_store_b128 off, v[2:5], off offset:240
	v_cmpx_lt_u32_e32 13, v0
	s_cbranch_execz .LBB99_203
; %bb.202:
	scratch_load_b128 v[5:8], off, s13
	v_dual_mov_b32 v2, v1 :: v_dual_mov_b32 v3, v1
	v_mov_b32_e32 v4, v1
	scratch_store_b128 off, v[1:4], off offset:224
	s_wait_loadcnt 0x0
	ds_store_b128 v34, v[5:8]
.LBB99_203:
	s_wait_alu 0xfffe
	s_or_b32 exec_lo, exec_lo, s0
	s_wait_storecnt_dscnt 0x0
	s_barrier_signal -1
	s_barrier_wait -1
	global_inv scope:SCOPE_SE
	s_clause 0x8
	scratch_load_b128 v[2:5], off, off offset:240
	scratch_load_b128 v[6:9], off, off offset:256
	scratch_load_b128 v[10:13], off, off offset:272
	scratch_load_b128 v[14:17], off, off offset:288
	scratch_load_b128 v[18:21], off, off offset:304
	scratch_load_b128 v[22:25], off, off offset:320
	scratch_load_b128 v[26:29], off, off offset:336
	scratch_load_b128 v[30:33], off, off offset:352
	scratch_load_b128 v[108:111], off, off offset:368
	ds_load_b128 v[112:115], v1 offset:800
	ds_load_b128 v[116:119], v1 offset:816
	s_clause 0x1
	scratch_load_b128 v[120:123], off, off offset:224
	scratch_load_b128 v[124:127], off, off offset:384
	s_mov_b32 s0, exec_lo
	s_wait_loadcnt_dscnt 0xa01
	v_mul_f64_e32 v[128:129], v[114:115], v[4:5]
	v_mul_f64_e32 v[4:5], v[112:113], v[4:5]
	s_wait_loadcnt_dscnt 0x900
	v_mul_f64_e32 v[132:133], v[116:117], v[8:9]
	v_mul_f64_e32 v[8:9], v[118:119], v[8:9]
	s_delay_alu instid0(VALU_DEP_4) | instskip(NEXT) | instid1(VALU_DEP_4)
	v_fma_f64 v[134:135], v[112:113], v[2:3], -v[128:129]
	v_fma_f64 v[136:137], v[114:115], v[2:3], v[4:5]
	ds_load_b128 v[2:5], v1 offset:832
	ds_load_b128 v[128:131], v1 offset:848
	scratch_load_b128 v[112:115], off, off offset:400
	v_fma_f64 v[118:119], v[118:119], v[6:7], v[132:133]
	v_fma_f64 v[116:117], v[116:117], v[6:7], -v[8:9]
	scratch_load_b128 v[6:9], off, off offset:416
	s_wait_loadcnt_dscnt 0xa01
	v_mul_f64_e32 v[138:139], v[2:3], v[12:13]
	v_mul_f64_e32 v[12:13], v[4:5], v[12:13]
	v_add_f64_e32 v[132:133], 0, v[134:135]
	v_add_f64_e32 v[134:135], 0, v[136:137]
	s_wait_loadcnt_dscnt 0x900
	v_mul_f64_e32 v[136:137], v[128:129], v[16:17]
	v_mul_f64_e32 v[16:17], v[130:131], v[16:17]
	v_fma_f64 v[138:139], v[4:5], v[10:11], v[138:139]
	v_fma_f64 v[140:141], v[2:3], v[10:11], -v[12:13]
	ds_load_b128 v[2:5], v1 offset:864
	scratch_load_b128 v[10:13], off, off offset:432
	v_add_f64_e32 v[132:133], v[132:133], v[116:117]
	v_add_f64_e32 v[134:135], v[134:135], v[118:119]
	ds_load_b128 v[116:119], v1 offset:880
	v_fma_f64 v[130:131], v[130:131], v[14:15], v[136:137]
	v_fma_f64 v[128:129], v[128:129], v[14:15], -v[16:17]
	scratch_load_b128 v[14:17], off, off offset:448
	s_wait_loadcnt_dscnt 0xa01
	v_mul_f64_e32 v[142:143], v[2:3], v[20:21]
	v_mul_f64_e32 v[20:21], v[4:5], v[20:21]
	s_wait_loadcnt_dscnt 0x900
	v_mul_f64_e32 v[136:137], v[116:117], v[24:25]
	v_mul_f64_e32 v[24:25], v[118:119], v[24:25]
	v_add_f64_e32 v[132:133], v[132:133], v[140:141]
	v_add_f64_e32 v[134:135], v[134:135], v[138:139]
	v_fma_f64 v[138:139], v[4:5], v[18:19], v[142:143]
	v_fma_f64 v[140:141], v[2:3], v[18:19], -v[20:21]
	ds_load_b128 v[2:5], v1 offset:896
	scratch_load_b128 v[18:21], off, off offset:464
	v_fma_f64 v[118:119], v[118:119], v[22:23], v[136:137]
	v_fma_f64 v[116:117], v[116:117], v[22:23], -v[24:25]
	scratch_load_b128 v[22:25], off, off offset:480
	v_add_f64_e32 v[132:133], v[132:133], v[128:129]
	v_add_f64_e32 v[134:135], v[134:135], v[130:131]
	ds_load_b128 v[128:131], v1 offset:912
	s_wait_loadcnt_dscnt 0xa01
	v_mul_f64_e32 v[142:143], v[2:3], v[28:29]
	v_mul_f64_e32 v[28:29], v[4:5], v[28:29]
	s_wait_loadcnt_dscnt 0x900
	v_mul_f64_e32 v[136:137], v[128:129], v[32:33]
	v_mul_f64_e32 v[32:33], v[130:131], v[32:33]
	v_add_f64_e32 v[132:133], v[132:133], v[140:141]
	v_add_f64_e32 v[134:135], v[134:135], v[138:139]
	v_fma_f64 v[138:139], v[4:5], v[26:27], v[142:143]
	v_fma_f64 v[140:141], v[2:3], v[26:27], -v[28:29]
	ds_load_b128 v[2:5], v1 offset:928
	scratch_load_b128 v[26:29], off, off offset:496
	v_fma_f64 v[130:131], v[130:131], v[30:31], v[136:137]
	v_fma_f64 v[128:129], v[128:129], v[30:31], -v[32:33]
	scratch_load_b128 v[30:33], off, off offset:512
	v_add_f64_e32 v[132:133], v[132:133], v[116:117]
	v_add_f64_e32 v[134:135], v[134:135], v[118:119]
	ds_load_b128 v[116:119], v1 offset:944
	s_wait_loadcnt_dscnt 0xa01
	v_mul_f64_e32 v[142:143], v[2:3], v[110:111]
	v_mul_f64_e32 v[110:111], v[4:5], v[110:111]
	s_wait_loadcnt_dscnt 0x800
	v_mul_f64_e32 v[136:137], v[116:117], v[126:127]
	v_add_f64_e32 v[132:133], v[132:133], v[140:141]
	v_add_f64_e32 v[134:135], v[134:135], v[138:139]
	v_mul_f64_e32 v[138:139], v[118:119], v[126:127]
	v_fma_f64 v[140:141], v[4:5], v[108:109], v[142:143]
	v_fma_f64 v[142:143], v[2:3], v[108:109], -v[110:111]
	ds_load_b128 v[2:5], v1 offset:960
	scratch_load_b128 v[108:111], off, off offset:528
	v_fma_f64 v[118:119], v[118:119], v[124:125], v[136:137]
	v_add_f64_e32 v[132:133], v[132:133], v[128:129]
	v_add_f64_e32 v[130:131], v[134:135], v[130:131]
	ds_load_b128 v[126:129], v1 offset:976
	v_fma_f64 v[124:125], v[116:117], v[124:125], -v[138:139]
	s_wait_loadcnt_dscnt 0x801
	v_mul_f64_e32 v[134:135], v[2:3], v[114:115]
	v_mul_f64_e32 v[144:145], v[4:5], v[114:115]
	scratch_load_b128 v[114:117], off, off offset:544
	s_wait_loadcnt_dscnt 0x800
	v_mul_f64_e32 v[138:139], v[126:127], v[8:9]
	v_mul_f64_e32 v[8:9], v[128:129], v[8:9]
	v_add_f64_e32 v[132:133], v[132:133], v[142:143]
	v_add_f64_e32 v[130:131], v[130:131], v[140:141]
	v_fma_f64 v[140:141], v[4:5], v[112:113], v[134:135]
	v_fma_f64 v[112:113], v[2:3], v[112:113], -v[144:145]
	ds_load_b128 v[2:5], v1 offset:992
	ds_load_b128 v[134:137], v1 offset:1008
	v_fma_f64 v[128:129], v[128:129], v[6:7], v[138:139]
	v_fma_f64 v[126:127], v[126:127], v[6:7], -v[8:9]
	scratch_load_b128 v[6:9], off, off offset:576
	v_add_f64_e32 v[124:125], v[132:133], v[124:125]
	v_add_f64_e32 v[118:119], v[130:131], v[118:119]
	scratch_load_b128 v[130:133], off, off offset:560
	s_wait_loadcnt_dscnt 0x901
	v_mul_f64_e32 v[142:143], v[2:3], v[12:13]
	v_mul_f64_e32 v[12:13], v[4:5], v[12:13]
	v_add_f64_e32 v[112:113], v[124:125], v[112:113]
	v_add_f64_e32 v[118:119], v[118:119], v[140:141]
	s_wait_loadcnt_dscnt 0x800
	v_mul_f64_e32 v[124:125], v[134:135], v[16:17]
	v_mul_f64_e32 v[16:17], v[136:137], v[16:17]
	v_fma_f64 v[138:139], v[4:5], v[10:11], v[142:143]
	v_fma_f64 v[140:141], v[2:3], v[10:11], -v[12:13]
	ds_load_b128 v[2:5], v1 offset:1024
	ds_load_b128 v[10:13], v1 offset:1040
	v_add_f64_e32 v[112:113], v[112:113], v[126:127]
	v_add_f64_e32 v[118:119], v[118:119], v[128:129]
	s_wait_loadcnt_dscnt 0x701
	v_mul_f64_e32 v[126:127], v[2:3], v[20:21]
	v_mul_f64_e32 v[20:21], v[4:5], v[20:21]
	v_fma_f64 v[124:125], v[136:137], v[14:15], v[124:125]
	v_fma_f64 v[14:15], v[134:135], v[14:15], -v[16:17]
	v_add_f64_e32 v[16:17], v[112:113], v[140:141]
	v_add_f64_e32 v[112:113], v[118:119], v[138:139]
	s_wait_loadcnt_dscnt 0x600
	v_mul_f64_e32 v[118:119], v[10:11], v[24:25]
	v_mul_f64_e32 v[24:25], v[12:13], v[24:25]
	v_fma_f64 v[126:127], v[4:5], v[18:19], v[126:127]
	v_fma_f64 v[18:19], v[2:3], v[18:19], -v[20:21]
	v_add_f64_e32 v[20:21], v[16:17], v[14:15]
	v_add_f64_e32 v[112:113], v[112:113], v[124:125]
	ds_load_b128 v[2:5], v1 offset:1056
	ds_load_b128 v[14:17], v1 offset:1072
	v_fma_f64 v[12:13], v[12:13], v[22:23], v[118:119]
	v_fma_f64 v[10:11], v[10:11], v[22:23], -v[24:25]
	s_wait_loadcnt_dscnt 0x501
	v_mul_f64_e32 v[124:125], v[2:3], v[28:29]
	v_mul_f64_e32 v[28:29], v[4:5], v[28:29]
	s_wait_loadcnt_dscnt 0x400
	v_mul_f64_e32 v[22:23], v[14:15], v[32:33]
	v_mul_f64_e32 v[24:25], v[16:17], v[32:33]
	v_add_f64_e32 v[18:19], v[20:21], v[18:19]
	v_add_f64_e32 v[20:21], v[112:113], v[126:127]
	v_fma_f64 v[32:33], v[4:5], v[26:27], v[124:125]
	v_fma_f64 v[26:27], v[2:3], v[26:27], -v[28:29]
	v_fma_f64 v[16:17], v[16:17], v[30:31], v[22:23]
	v_fma_f64 v[14:15], v[14:15], v[30:31], -v[24:25]
	v_add_f64_e32 v[18:19], v[18:19], v[10:11]
	v_add_f64_e32 v[20:21], v[20:21], v[12:13]
	ds_load_b128 v[2:5], v1 offset:1088
	ds_load_b128 v[10:13], v1 offset:1104
	s_wait_loadcnt_dscnt 0x301
	v_mul_f64_e32 v[28:29], v[2:3], v[110:111]
	v_mul_f64_e32 v[110:111], v[4:5], v[110:111]
	s_wait_loadcnt_dscnt 0x200
	v_mul_f64_e32 v[22:23], v[10:11], v[116:117]
	v_add_f64_e32 v[18:19], v[18:19], v[26:27]
	v_add_f64_e32 v[20:21], v[20:21], v[32:33]
	v_mul_f64_e32 v[24:25], v[12:13], v[116:117]
	v_fma_f64 v[26:27], v[4:5], v[108:109], v[28:29]
	v_fma_f64 v[28:29], v[2:3], v[108:109], -v[110:111]
	v_fma_f64 v[12:13], v[12:13], v[114:115], v[22:23]
	v_add_f64_e32 v[18:19], v[18:19], v[14:15]
	v_add_f64_e32 v[20:21], v[20:21], v[16:17]
	ds_load_b128 v[2:5], v1 offset:1120
	ds_load_b128 v[14:17], v1 offset:1136
	v_fma_f64 v[10:11], v[10:11], v[114:115], -v[24:25]
	s_wait_loadcnt_dscnt 0x1
	v_mul_f64_e32 v[30:31], v[2:3], v[132:133]
	v_mul_f64_e32 v[32:33], v[4:5], v[132:133]
	s_wait_dscnt 0x0
	v_mul_f64_e32 v[22:23], v[14:15], v[8:9]
	v_mul_f64_e32 v[8:9], v[16:17], v[8:9]
	v_add_f64_e32 v[18:19], v[18:19], v[28:29]
	v_add_f64_e32 v[20:21], v[20:21], v[26:27]
	v_fma_f64 v[4:5], v[4:5], v[130:131], v[30:31]
	v_fma_f64 v[1:2], v[2:3], v[130:131], -v[32:33]
	v_fma_f64 v[16:17], v[16:17], v[6:7], v[22:23]
	v_fma_f64 v[6:7], v[14:15], v[6:7], -v[8:9]
	v_add_f64_e32 v[10:11], v[18:19], v[10:11]
	v_add_f64_e32 v[12:13], v[20:21], v[12:13]
	s_delay_alu instid0(VALU_DEP_2) | instskip(NEXT) | instid1(VALU_DEP_2)
	v_add_f64_e32 v[1:2], v[10:11], v[1:2]
	v_add_f64_e32 v[3:4], v[12:13], v[4:5]
	s_delay_alu instid0(VALU_DEP_2) | instskip(NEXT) | instid1(VALU_DEP_2)
	;; [unrolled: 3-line block ×3, first 2 shown]
	v_add_f64_e64 v[1:2], v[120:121], -v[1:2]
	v_add_f64_e64 v[3:4], v[122:123], -v[3:4]
	scratch_store_b128 off, v[1:4], off offset:224
	v_cmpx_lt_u32_e32 12, v0
	s_cbranch_execz .LBB99_205
; %bb.204:
	scratch_load_b128 v[1:4], off, s30
	v_mov_b32_e32 v5, 0
	s_delay_alu instid0(VALU_DEP_1)
	v_dual_mov_b32 v6, v5 :: v_dual_mov_b32 v7, v5
	v_mov_b32_e32 v8, v5
	scratch_store_b128 off, v[5:8], off offset:208
	s_wait_loadcnt 0x0
	ds_store_b128 v34, v[1:4]
.LBB99_205:
	s_wait_alu 0xfffe
	s_or_b32 exec_lo, exec_lo, s0
	s_wait_storecnt_dscnt 0x0
	s_barrier_signal -1
	s_barrier_wait -1
	global_inv scope:SCOPE_SE
	s_clause 0x7
	scratch_load_b128 v[2:5], off, off offset:224
	scratch_load_b128 v[6:9], off, off offset:240
	;; [unrolled: 1-line block ×8, first 2 shown]
	v_mov_b32_e32 v1, 0
	s_mov_b32 s0, exec_lo
	ds_load_b128 v[108:111], v1 offset:784
	s_clause 0x1
	scratch_load_b128 v[112:115], off, off offset:352
	scratch_load_b128 v[116:119], off, off offset:208
	ds_load_b128 v[120:123], v1 offset:800
	scratch_load_b128 v[124:127], off, off offset:368
	s_wait_loadcnt_dscnt 0xa01
	v_mul_f64_e32 v[128:129], v[110:111], v[4:5]
	v_mul_f64_e32 v[4:5], v[108:109], v[4:5]
	s_delay_alu instid0(VALU_DEP_2) | instskip(NEXT) | instid1(VALU_DEP_2)
	v_fma_f64 v[134:135], v[108:109], v[2:3], -v[128:129]
	v_fma_f64 v[136:137], v[110:111], v[2:3], v[4:5]
	ds_load_b128 v[2:5], v1 offset:816
	s_wait_loadcnt_dscnt 0x901
	v_mul_f64_e32 v[132:133], v[120:121], v[8:9]
	v_mul_f64_e32 v[8:9], v[122:123], v[8:9]
	scratch_load_b128 v[108:111], off, off offset:384
	ds_load_b128 v[128:131], v1 offset:832
	s_wait_loadcnt_dscnt 0x901
	v_mul_f64_e32 v[138:139], v[2:3], v[12:13]
	v_mul_f64_e32 v[12:13], v[4:5], v[12:13]
	v_fma_f64 v[122:123], v[122:123], v[6:7], v[132:133]
	v_fma_f64 v[120:121], v[120:121], v[6:7], -v[8:9]
	v_add_f64_e32 v[132:133], 0, v[134:135]
	v_add_f64_e32 v[134:135], 0, v[136:137]
	scratch_load_b128 v[6:9], off, off offset:400
	v_fma_f64 v[138:139], v[4:5], v[10:11], v[138:139]
	v_fma_f64 v[140:141], v[2:3], v[10:11], -v[12:13]
	ds_load_b128 v[2:5], v1 offset:848
	s_wait_loadcnt_dscnt 0x901
	v_mul_f64_e32 v[136:137], v[128:129], v[16:17]
	v_mul_f64_e32 v[16:17], v[130:131], v[16:17]
	scratch_load_b128 v[10:13], off, off offset:416
	v_add_f64_e32 v[132:133], v[132:133], v[120:121]
	v_add_f64_e32 v[134:135], v[134:135], v[122:123]
	s_wait_loadcnt_dscnt 0x900
	v_mul_f64_e32 v[142:143], v[2:3], v[20:21]
	v_mul_f64_e32 v[20:21], v[4:5], v[20:21]
	ds_load_b128 v[120:123], v1 offset:864
	v_fma_f64 v[130:131], v[130:131], v[14:15], v[136:137]
	v_fma_f64 v[128:129], v[128:129], v[14:15], -v[16:17]
	scratch_load_b128 v[14:17], off, off offset:432
	v_add_f64_e32 v[132:133], v[132:133], v[140:141]
	v_add_f64_e32 v[134:135], v[134:135], v[138:139]
	v_fma_f64 v[138:139], v[4:5], v[18:19], v[142:143]
	v_fma_f64 v[140:141], v[2:3], v[18:19], -v[20:21]
	ds_load_b128 v[2:5], v1 offset:880
	s_wait_loadcnt_dscnt 0x901
	v_mul_f64_e32 v[136:137], v[120:121], v[24:25]
	v_mul_f64_e32 v[24:25], v[122:123], v[24:25]
	scratch_load_b128 v[18:21], off, off offset:448
	s_wait_loadcnt_dscnt 0x900
	v_mul_f64_e32 v[142:143], v[2:3], v[28:29]
	v_mul_f64_e32 v[28:29], v[4:5], v[28:29]
	v_add_f64_e32 v[132:133], v[132:133], v[128:129]
	v_add_f64_e32 v[134:135], v[134:135], v[130:131]
	ds_load_b128 v[128:131], v1 offset:896
	v_fma_f64 v[122:123], v[122:123], v[22:23], v[136:137]
	v_fma_f64 v[120:121], v[120:121], v[22:23], -v[24:25]
	scratch_load_b128 v[22:25], off, off offset:464
	v_add_f64_e32 v[132:133], v[132:133], v[140:141]
	v_add_f64_e32 v[134:135], v[134:135], v[138:139]
	v_fma_f64 v[138:139], v[4:5], v[26:27], v[142:143]
	v_fma_f64 v[140:141], v[2:3], v[26:27], -v[28:29]
	ds_load_b128 v[2:5], v1 offset:912
	s_wait_loadcnt_dscnt 0x901
	v_mul_f64_e32 v[136:137], v[128:129], v[32:33]
	v_mul_f64_e32 v[32:33], v[130:131], v[32:33]
	scratch_load_b128 v[26:29], off, off offset:480
	s_wait_loadcnt_dscnt 0x900
	v_mul_f64_e32 v[142:143], v[2:3], v[114:115]
	v_mul_f64_e32 v[114:115], v[4:5], v[114:115]
	v_add_f64_e32 v[132:133], v[132:133], v[120:121]
	v_add_f64_e32 v[134:135], v[134:135], v[122:123]
	ds_load_b128 v[120:123], v1 offset:928
	v_fma_f64 v[130:131], v[130:131], v[30:31], v[136:137]
	v_fma_f64 v[128:129], v[128:129], v[30:31], -v[32:33]
	scratch_load_b128 v[30:33], off, off offset:496
	v_add_f64_e32 v[132:133], v[132:133], v[140:141]
	v_add_f64_e32 v[134:135], v[134:135], v[138:139]
	v_fma_f64 v[140:141], v[4:5], v[112:113], v[142:143]
	v_fma_f64 v[142:143], v[2:3], v[112:113], -v[114:115]
	ds_load_b128 v[2:5], v1 offset:944
	s_wait_loadcnt_dscnt 0x801
	v_mul_f64_e32 v[136:137], v[120:121], v[126:127]
	v_mul_f64_e32 v[138:139], v[122:123], v[126:127]
	scratch_load_b128 v[112:115], off, off offset:512
	v_add_f64_e32 v[132:133], v[132:133], v[128:129]
	v_add_f64_e32 v[130:131], v[134:135], v[130:131]
	ds_load_b128 v[126:129], v1 offset:960
	v_fma_f64 v[136:137], v[122:123], v[124:125], v[136:137]
	v_fma_f64 v[124:125], v[120:121], v[124:125], -v[138:139]
	scratch_load_b128 v[120:123], off, off offset:528
	s_wait_loadcnt_dscnt 0x901
	v_mul_f64_e32 v[134:135], v[2:3], v[110:111]
	v_mul_f64_e32 v[110:111], v[4:5], v[110:111]
	v_add_f64_e32 v[132:133], v[132:133], v[142:143]
	v_add_f64_e32 v[130:131], v[130:131], v[140:141]
	s_delay_alu instid0(VALU_DEP_4) | instskip(NEXT) | instid1(VALU_DEP_4)
	v_fma_f64 v[134:135], v[4:5], v[108:109], v[134:135]
	v_fma_f64 v[140:141], v[2:3], v[108:109], -v[110:111]
	ds_load_b128 v[2:5], v1 offset:976
	s_wait_loadcnt_dscnt 0x801
	v_mul_f64_e32 v[138:139], v[126:127], v[8:9]
	v_mul_f64_e32 v[8:9], v[128:129], v[8:9]
	scratch_load_b128 v[108:111], off, off offset:544
	s_wait_loadcnt_dscnt 0x800
	v_mul_f64_e32 v[142:143], v[2:3], v[12:13]
	v_add_f64_e32 v[124:125], v[132:133], v[124:125]
	v_add_f64_e32 v[136:137], v[130:131], v[136:137]
	v_mul_f64_e32 v[12:13], v[4:5], v[12:13]
	ds_load_b128 v[130:133], v1 offset:992
	v_fma_f64 v[128:129], v[128:129], v[6:7], v[138:139]
	v_fma_f64 v[126:127], v[126:127], v[6:7], -v[8:9]
	scratch_load_b128 v[6:9], off, off offset:560
	v_fma_f64 v[138:139], v[4:5], v[10:11], v[142:143]
	v_add_f64_e32 v[124:125], v[124:125], v[140:141]
	v_add_f64_e32 v[134:135], v[136:137], v[134:135]
	v_fma_f64 v[140:141], v[2:3], v[10:11], -v[12:13]
	ds_load_b128 v[2:5], v1 offset:1008
	s_wait_loadcnt_dscnt 0x801
	v_mul_f64_e32 v[136:137], v[130:131], v[16:17]
	v_mul_f64_e32 v[16:17], v[132:133], v[16:17]
	scratch_load_b128 v[10:13], off, off offset:576
	v_add_f64_e32 v[142:143], v[124:125], v[126:127]
	v_add_f64_e32 v[128:129], v[134:135], v[128:129]
	s_wait_loadcnt_dscnt 0x800
	v_mul_f64_e32 v[134:135], v[2:3], v[20:21]
	v_mul_f64_e32 v[20:21], v[4:5], v[20:21]
	v_fma_f64 v[132:133], v[132:133], v[14:15], v[136:137]
	v_fma_f64 v[14:15], v[130:131], v[14:15], -v[16:17]
	ds_load_b128 v[124:127], v1 offset:1024
	s_wait_loadcnt_dscnt 0x700
	v_mul_f64_e32 v[130:131], v[124:125], v[24:25]
	v_mul_f64_e32 v[24:25], v[126:127], v[24:25]
	v_add_f64_e32 v[16:17], v[142:143], v[140:141]
	v_add_f64_e32 v[128:129], v[128:129], v[138:139]
	v_fma_f64 v[134:135], v[4:5], v[18:19], v[134:135]
	v_fma_f64 v[18:19], v[2:3], v[18:19], -v[20:21]
	v_fma_f64 v[126:127], v[126:127], v[22:23], v[130:131]
	v_fma_f64 v[22:23], v[124:125], v[22:23], -v[24:25]
	v_add_f64_e32 v[20:21], v[16:17], v[14:15]
	v_add_f64_e32 v[128:129], v[128:129], v[132:133]
	ds_load_b128 v[2:5], v1 offset:1040
	ds_load_b128 v[14:17], v1 offset:1056
	s_wait_loadcnt_dscnt 0x601
	v_mul_f64_e32 v[132:133], v[2:3], v[28:29]
	v_mul_f64_e32 v[28:29], v[4:5], v[28:29]
	s_wait_loadcnt_dscnt 0x500
	v_mul_f64_e32 v[24:25], v[14:15], v[32:33]
	v_mul_f64_e32 v[32:33], v[16:17], v[32:33]
	v_add_f64_e32 v[18:19], v[20:21], v[18:19]
	v_add_f64_e32 v[20:21], v[128:129], v[134:135]
	v_fma_f64 v[124:125], v[4:5], v[26:27], v[132:133]
	v_fma_f64 v[26:27], v[2:3], v[26:27], -v[28:29]
	v_fma_f64 v[16:17], v[16:17], v[30:31], v[24:25]
	v_fma_f64 v[14:15], v[14:15], v[30:31], -v[32:33]
	v_add_f64_e32 v[22:23], v[18:19], v[22:23]
	v_add_f64_e32 v[28:29], v[20:21], v[126:127]
	ds_load_b128 v[2:5], v1 offset:1072
	ds_load_b128 v[18:21], v1 offset:1088
	s_wait_loadcnt_dscnt 0x401
	v_mul_f64_e32 v[126:127], v[2:3], v[114:115]
	v_mul_f64_e32 v[114:115], v[4:5], v[114:115]
	v_add_f64_e32 v[22:23], v[22:23], v[26:27]
	v_add_f64_e32 v[24:25], v[28:29], v[124:125]
	s_wait_loadcnt_dscnt 0x300
	v_mul_f64_e32 v[26:27], v[18:19], v[122:123]
	v_mul_f64_e32 v[28:29], v[20:21], v[122:123]
	v_fma_f64 v[30:31], v[4:5], v[112:113], v[126:127]
	v_fma_f64 v[32:33], v[2:3], v[112:113], -v[114:115]
	v_add_f64_e32 v[22:23], v[22:23], v[14:15]
	v_add_f64_e32 v[24:25], v[24:25], v[16:17]
	ds_load_b128 v[2:5], v1 offset:1104
	ds_load_b128 v[14:17], v1 offset:1120
	v_fma_f64 v[20:21], v[20:21], v[120:121], v[26:27]
	v_fma_f64 v[18:19], v[18:19], v[120:121], -v[28:29]
	s_wait_loadcnt_dscnt 0x201
	v_mul_f64_e32 v[112:113], v[2:3], v[110:111]
	v_mul_f64_e32 v[110:111], v[4:5], v[110:111]
	s_wait_loadcnt_dscnt 0x100
	v_mul_f64_e32 v[26:27], v[14:15], v[8:9]
	v_mul_f64_e32 v[8:9], v[16:17], v[8:9]
	v_add_f64_e32 v[22:23], v[22:23], v[32:33]
	v_add_f64_e32 v[24:25], v[24:25], v[30:31]
	v_fma_f64 v[28:29], v[4:5], v[108:109], v[112:113]
	v_fma_f64 v[30:31], v[2:3], v[108:109], -v[110:111]
	ds_load_b128 v[2:5], v1 offset:1136
	v_fma_f64 v[16:17], v[16:17], v[6:7], v[26:27]
	v_fma_f64 v[6:7], v[14:15], v[6:7], -v[8:9]
	v_add_f64_e32 v[18:19], v[22:23], v[18:19]
	v_add_f64_e32 v[20:21], v[24:25], v[20:21]
	s_wait_loadcnt_dscnt 0x0
	v_mul_f64_e32 v[22:23], v[2:3], v[12:13]
	v_mul_f64_e32 v[12:13], v[4:5], v[12:13]
	s_delay_alu instid0(VALU_DEP_4) | instskip(NEXT) | instid1(VALU_DEP_4)
	v_add_f64_e32 v[8:9], v[18:19], v[30:31]
	v_add_f64_e32 v[14:15], v[20:21], v[28:29]
	s_delay_alu instid0(VALU_DEP_4) | instskip(NEXT) | instid1(VALU_DEP_4)
	v_fma_f64 v[4:5], v[4:5], v[10:11], v[22:23]
	v_fma_f64 v[2:3], v[2:3], v[10:11], -v[12:13]
	s_delay_alu instid0(VALU_DEP_4) | instskip(NEXT) | instid1(VALU_DEP_4)
	v_add_f64_e32 v[6:7], v[8:9], v[6:7]
	v_add_f64_e32 v[8:9], v[14:15], v[16:17]
	s_delay_alu instid0(VALU_DEP_2) | instskip(NEXT) | instid1(VALU_DEP_2)
	v_add_f64_e32 v[2:3], v[6:7], v[2:3]
	v_add_f64_e32 v[4:5], v[8:9], v[4:5]
	s_delay_alu instid0(VALU_DEP_2) | instskip(NEXT) | instid1(VALU_DEP_2)
	v_add_f64_e64 v[2:3], v[116:117], -v[2:3]
	v_add_f64_e64 v[4:5], v[118:119], -v[4:5]
	scratch_store_b128 off, v[2:5], off offset:208
	v_cmpx_lt_u32_e32 11, v0
	s_cbranch_execz .LBB99_207
; %bb.206:
	scratch_load_b128 v[5:8], off, s11
	v_dual_mov_b32 v2, v1 :: v_dual_mov_b32 v3, v1
	v_mov_b32_e32 v4, v1
	scratch_store_b128 off, v[1:4], off offset:192
	s_wait_loadcnt 0x0
	ds_store_b128 v34, v[5:8]
.LBB99_207:
	s_wait_alu 0xfffe
	s_or_b32 exec_lo, exec_lo, s0
	s_wait_storecnt_dscnt 0x0
	s_barrier_signal -1
	s_barrier_wait -1
	global_inv scope:SCOPE_SE
	s_clause 0x8
	scratch_load_b128 v[2:5], off, off offset:208
	scratch_load_b128 v[6:9], off, off offset:224
	;; [unrolled: 1-line block ×9, first 2 shown]
	ds_load_b128 v[112:115], v1 offset:768
	ds_load_b128 v[116:119], v1 offset:784
	s_clause 0x1
	scratch_load_b128 v[120:123], off, off offset:192
	scratch_load_b128 v[124:127], off, off offset:352
	s_mov_b32 s0, exec_lo
	s_wait_loadcnt_dscnt 0xa01
	v_mul_f64_e32 v[128:129], v[114:115], v[4:5]
	v_mul_f64_e32 v[4:5], v[112:113], v[4:5]
	s_wait_loadcnt_dscnt 0x900
	v_mul_f64_e32 v[132:133], v[116:117], v[8:9]
	v_mul_f64_e32 v[8:9], v[118:119], v[8:9]
	s_delay_alu instid0(VALU_DEP_4) | instskip(NEXT) | instid1(VALU_DEP_4)
	v_fma_f64 v[134:135], v[112:113], v[2:3], -v[128:129]
	v_fma_f64 v[136:137], v[114:115], v[2:3], v[4:5]
	ds_load_b128 v[2:5], v1 offset:800
	ds_load_b128 v[128:131], v1 offset:816
	scratch_load_b128 v[112:115], off, off offset:368
	v_fma_f64 v[118:119], v[118:119], v[6:7], v[132:133]
	v_fma_f64 v[116:117], v[116:117], v[6:7], -v[8:9]
	scratch_load_b128 v[6:9], off, off offset:384
	s_wait_loadcnt_dscnt 0xa01
	v_mul_f64_e32 v[138:139], v[2:3], v[12:13]
	v_mul_f64_e32 v[12:13], v[4:5], v[12:13]
	v_add_f64_e32 v[132:133], 0, v[134:135]
	v_add_f64_e32 v[134:135], 0, v[136:137]
	s_wait_loadcnt_dscnt 0x900
	v_mul_f64_e32 v[136:137], v[128:129], v[16:17]
	v_mul_f64_e32 v[16:17], v[130:131], v[16:17]
	v_fma_f64 v[138:139], v[4:5], v[10:11], v[138:139]
	v_fma_f64 v[140:141], v[2:3], v[10:11], -v[12:13]
	ds_load_b128 v[2:5], v1 offset:832
	scratch_load_b128 v[10:13], off, off offset:400
	v_add_f64_e32 v[132:133], v[132:133], v[116:117]
	v_add_f64_e32 v[134:135], v[134:135], v[118:119]
	ds_load_b128 v[116:119], v1 offset:848
	v_fma_f64 v[130:131], v[130:131], v[14:15], v[136:137]
	v_fma_f64 v[128:129], v[128:129], v[14:15], -v[16:17]
	scratch_load_b128 v[14:17], off, off offset:416
	s_wait_loadcnt_dscnt 0xa01
	v_mul_f64_e32 v[142:143], v[2:3], v[20:21]
	v_mul_f64_e32 v[20:21], v[4:5], v[20:21]
	s_wait_loadcnt_dscnt 0x900
	v_mul_f64_e32 v[136:137], v[116:117], v[24:25]
	v_mul_f64_e32 v[24:25], v[118:119], v[24:25]
	v_add_f64_e32 v[132:133], v[132:133], v[140:141]
	v_add_f64_e32 v[134:135], v[134:135], v[138:139]
	v_fma_f64 v[138:139], v[4:5], v[18:19], v[142:143]
	v_fma_f64 v[140:141], v[2:3], v[18:19], -v[20:21]
	ds_load_b128 v[2:5], v1 offset:864
	scratch_load_b128 v[18:21], off, off offset:432
	v_fma_f64 v[118:119], v[118:119], v[22:23], v[136:137]
	v_fma_f64 v[116:117], v[116:117], v[22:23], -v[24:25]
	scratch_load_b128 v[22:25], off, off offset:448
	v_add_f64_e32 v[132:133], v[132:133], v[128:129]
	v_add_f64_e32 v[134:135], v[134:135], v[130:131]
	ds_load_b128 v[128:131], v1 offset:880
	s_wait_loadcnt_dscnt 0xa01
	v_mul_f64_e32 v[142:143], v[2:3], v[28:29]
	v_mul_f64_e32 v[28:29], v[4:5], v[28:29]
	s_wait_loadcnt_dscnt 0x900
	v_mul_f64_e32 v[136:137], v[128:129], v[32:33]
	v_mul_f64_e32 v[32:33], v[130:131], v[32:33]
	v_add_f64_e32 v[132:133], v[132:133], v[140:141]
	v_add_f64_e32 v[134:135], v[134:135], v[138:139]
	v_fma_f64 v[138:139], v[4:5], v[26:27], v[142:143]
	v_fma_f64 v[140:141], v[2:3], v[26:27], -v[28:29]
	ds_load_b128 v[2:5], v1 offset:896
	scratch_load_b128 v[26:29], off, off offset:464
	v_fma_f64 v[130:131], v[130:131], v[30:31], v[136:137]
	v_fma_f64 v[128:129], v[128:129], v[30:31], -v[32:33]
	scratch_load_b128 v[30:33], off, off offset:480
	v_add_f64_e32 v[132:133], v[132:133], v[116:117]
	v_add_f64_e32 v[134:135], v[134:135], v[118:119]
	ds_load_b128 v[116:119], v1 offset:912
	s_wait_loadcnt_dscnt 0xa01
	v_mul_f64_e32 v[142:143], v[2:3], v[110:111]
	v_mul_f64_e32 v[110:111], v[4:5], v[110:111]
	s_wait_loadcnt_dscnt 0x800
	v_mul_f64_e32 v[136:137], v[116:117], v[126:127]
	v_add_f64_e32 v[132:133], v[132:133], v[140:141]
	v_add_f64_e32 v[134:135], v[134:135], v[138:139]
	v_mul_f64_e32 v[138:139], v[118:119], v[126:127]
	v_fma_f64 v[140:141], v[4:5], v[108:109], v[142:143]
	v_fma_f64 v[142:143], v[2:3], v[108:109], -v[110:111]
	ds_load_b128 v[2:5], v1 offset:928
	scratch_load_b128 v[108:111], off, off offset:496
	v_fma_f64 v[118:119], v[118:119], v[124:125], v[136:137]
	v_add_f64_e32 v[132:133], v[132:133], v[128:129]
	v_add_f64_e32 v[130:131], v[134:135], v[130:131]
	ds_load_b128 v[126:129], v1 offset:944
	v_fma_f64 v[124:125], v[116:117], v[124:125], -v[138:139]
	s_wait_loadcnt_dscnt 0x801
	v_mul_f64_e32 v[134:135], v[2:3], v[114:115]
	v_mul_f64_e32 v[144:145], v[4:5], v[114:115]
	scratch_load_b128 v[114:117], off, off offset:512
	s_wait_loadcnt_dscnt 0x800
	v_mul_f64_e32 v[138:139], v[126:127], v[8:9]
	v_mul_f64_e32 v[8:9], v[128:129], v[8:9]
	v_add_f64_e32 v[132:133], v[132:133], v[142:143]
	v_add_f64_e32 v[130:131], v[130:131], v[140:141]
	v_fma_f64 v[140:141], v[4:5], v[112:113], v[134:135]
	v_fma_f64 v[112:113], v[2:3], v[112:113], -v[144:145]
	ds_load_b128 v[2:5], v1 offset:960
	ds_load_b128 v[134:137], v1 offset:976
	v_fma_f64 v[128:129], v[128:129], v[6:7], v[138:139]
	v_fma_f64 v[126:127], v[126:127], v[6:7], -v[8:9]
	scratch_load_b128 v[6:9], off, off offset:544
	v_add_f64_e32 v[124:125], v[132:133], v[124:125]
	v_add_f64_e32 v[118:119], v[130:131], v[118:119]
	scratch_load_b128 v[130:133], off, off offset:528
	s_wait_loadcnt_dscnt 0x901
	v_mul_f64_e32 v[142:143], v[2:3], v[12:13]
	v_mul_f64_e32 v[12:13], v[4:5], v[12:13]
	s_wait_loadcnt_dscnt 0x800
	v_mul_f64_e32 v[138:139], v[134:135], v[16:17]
	v_mul_f64_e32 v[16:17], v[136:137], v[16:17]
	v_add_f64_e32 v[112:113], v[124:125], v[112:113]
	v_add_f64_e32 v[118:119], v[118:119], v[140:141]
	v_fma_f64 v[140:141], v[4:5], v[10:11], v[142:143]
	v_fma_f64 v[142:143], v[2:3], v[10:11], -v[12:13]
	ds_load_b128 v[2:5], v1 offset:992
	scratch_load_b128 v[10:13], off, off offset:560
	v_fma_f64 v[136:137], v[136:137], v[14:15], v[138:139]
	v_fma_f64 v[134:135], v[134:135], v[14:15], -v[16:17]
	scratch_load_b128 v[14:17], off, off offset:576
	v_add_f64_e32 v[112:113], v[112:113], v[126:127]
	v_add_f64_e32 v[118:119], v[118:119], v[128:129]
	ds_load_b128 v[124:127], v1 offset:1008
	s_wait_loadcnt_dscnt 0x901
	v_mul_f64_e32 v[128:129], v[2:3], v[20:21]
	v_mul_f64_e32 v[20:21], v[4:5], v[20:21]
	s_wait_loadcnt_dscnt 0x800
	v_mul_f64_e32 v[138:139], v[124:125], v[24:25]
	v_mul_f64_e32 v[24:25], v[126:127], v[24:25]
	v_add_f64_e32 v[112:113], v[112:113], v[142:143]
	v_add_f64_e32 v[118:119], v[118:119], v[140:141]
	v_fma_f64 v[128:129], v[4:5], v[18:19], v[128:129]
	v_fma_f64 v[140:141], v[2:3], v[18:19], -v[20:21]
	ds_load_b128 v[2:5], v1 offset:1024
	ds_load_b128 v[18:21], v1 offset:1040
	v_fma_f64 v[126:127], v[126:127], v[22:23], v[138:139]
	v_fma_f64 v[22:23], v[124:125], v[22:23], -v[24:25]
	v_add_f64_e32 v[112:113], v[112:113], v[134:135]
	v_add_f64_e32 v[118:119], v[118:119], v[136:137]
	s_wait_loadcnt_dscnt 0x701
	v_mul_f64_e32 v[134:135], v[2:3], v[28:29]
	v_mul_f64_e32 v[28:29], v[4:5], v[28:29]
	s_delay_alu instid0(VALU_DEP_4) | instskip(NEXT) | instid1(VALU_DEP_4)
	v_add_f64_e32 v[24:25], v[112:113], v[140:141]
	v_add_f64_e32 v[112:113], v[118:119], v[128:129]
	s_wait_loadcnt_dscnt 0x600
	v_mul_f64_e32 v[118:119], v[18:19], v[32:33]
	v_mul_f64_e32 v[32:33], v[20:21], v[32:33]
	v_fma_f64 v[124:125], v[4:5], v[26:27], v[134:135]
	v_fma_f64 v[26:27], v[2:3], v[26:27], -v[28:29]
	v_add_f64_e32 v[28:29], v[24:25], v[22:23]
	v_add_f64_e32 v[112:113], v[112:113], v[126:127]
	ds_load_b128 v[2:5], v1 offset:1056
	ds_load_b128 v[22:25], v1 offset:1072
	v_fma_f64 v[20:21], v[20:21], v[30:31], v[118:119]
	v_fma_f64 v[18:19], v[18:19], v[30:31], -v[32:33]
	s_wait_loadcnt_dscnt 0x501
	v_mul_f64_e32 v[126:127], v[2:3], v[110:111]
	v_mul_f64_e32 v[110:111], v[4:5], v[110:111]
	s_wait_loadcnt_dscnt 0x400
	v_mul_f64_e32 v[30:31], v[22:23], v[116:117]
	v_add_f64_e32 v[26:27], v[28:29], v[26:27]
	v_add_f64_e32 v[28:29], v[112:113], v[124:125]
	v_mul_f64_e32 v[32:33], v[24:25], v[116:117]
	v_fma_f64 v[112:113], v[4:5], v[108:109], v[126:127]
	v_fma_f64 v[108:109], v[2:3], v[108:109], -v[110:111]
	v_fma_f64 v[24:25], v[24:25], v[114:115], v[30:31]
	v_add_f64_e32 v[26:27], v[26:27], v[18:19]
	v_add_f64_e32 v[28:29], v[28:29], v[20:21]
	ds_load_b128 v[2:5], v1 offset:1088
	ds_load_b128 v[18:21], v1 offset:1104
	v_fma_f64 v[22:23], v[22:23], v[114:115], -v[32:33]
	s_wait_loadcnt_dscnt 0x201
	v_mul_f64_e32 v[110:111], v[2:3], v[132:133]
	v_mul_f64_e32 v[116:117], v[4:5], v[132:133]
	s_wait_dscnt 0x0
	v_mul_f64_e32 v[30:31], v[18:19], v[8:9]
	v_mul_f64_e32 v[8:9], v[20:21], v[8:9]
	v_add_f64_e32 v[26:27], v[26:27], v[108:109]
	v_add_f64_e32 v[28:29], v[28:29], v[112:113]
	v_fma_f64 v[32:33], v[4:5], v[130:131], v[110:111]
	v_fma_f64 v[108:109], v[2:3], v[130:131], -v[116:117]
	v_fma_f64 v[20:21], v[20:21], v[6:7], v[30:31]
	v_fma_f64 v[6:7], v[18:19], v[6:7], -v[8:9]
	v_add_f64_e32 v[26:27], v[26:27], v[22:23]
	v_add_f64_e32 v[28:29], v[28:29], v[24:25]
	ds_load_b128 v[2:5], v1 offset:1120
	ds_load_b128 v[22:25], v1 offset:1136
	s_wait_loadcnt_dscnt 0x101
	v_mul_f64_e32 v[110:111], v[2:3], v[12:13]
	v_mul_f64_e32 v[12:13], v[4:5], v[12:13]
	v_add_f64_e32 v[8:9], v[26:27], v[108:109]
	v_add_f64_e32 v[18:19], v[28:29], v[32:33]
	s_wait_loadcnt_dscnt 0x0
	v_mul_f64_e32 v[26:27], v[22:23], v[16:17]
	v_mul_f64_e32 v[16:17], v[24:25], v[16:17]
	v_fma_f64 v[4:5], v[4:5], v[10:11], v[110:111]
	v_fma_f64 v[1:2], v[2:3], v[10:11], -v[12:13]
	v_add_f64_e32 v[6:7], v[8:9], v[6:7]
	v_add_f64_e32 v[8:9], v[18:19], v[20:21]
	v_fma_f64 v[10:11], v[24:25], v[14:15], v[26:27]
	v_fma_f64 v[12:13], v[22:23], v[14:15], -v[16:17]
	s_delay_alu instid0(VALU_DEP_4) | instskip(NEXT) | instid1(VALU_DEP_4)
	v_add_f64_e32 v[1:2], v[6:7], v[1:2]
	v_add_f64_e32 v[3:4], v[8:9], v[4:5]
	s_delay_alu instid0(VALU_DEP_2) | instskip(NEXT) | instid1(VALU_DEP_2)
	v_add_f64_e32 v[1:2], v[1:2], v[12:13]
	v_add_f64_e32 v[3:4], v[3:4], v[10:11]
	s_delay_alu instid0(VALU_DEP_2) | instskip(NEXT) | instid1(VALU_DEP_2)
	v_add_f64_e64 v[1:2], v[120:121], -v[1:2]
	v_add_f64_e64 v[3:4], v[122:123], -v[3:4]
	scratch_store_b128 off, v[1:4], off offset:192
	v_cmpx_lt_u32_e32 10, v0
	s_cbranch_execz .LBB99_209
; %bb.208:
	scratch_load_b128 v[1:4], off, s29
	v_mov_b32_e32 v5, 0
	s_delay_alu instid0(VALU_DEP_1)
	v_dual_mov_b32 v6, v5 :: v_dual_mov_b32 v7, v5
	v_mov_b32_e32 v8, v5
	scratch_store_b128 off, v[5:8], off offset:176
	s_wait_loadcnt 0x0
	ds_store_b128 v34, v[1:4]
.LBB99_209:
	s_wait_alu 0xfffe
	s_or_b32 exec_lo, exec_lo, s0
	s_wait_storecnt_dscnt 0x0
	s_barrier_signal -1
	s_barrier_wait -1
	global_inv scope:SCOPE_SE
	s_clause 0x7
	scratch_load_b128 v[2:5], off, off offset:192
	scratch_load_b128 v[6:9], off, off offset:208
	;; [unrolled: 1-line block ×8, first 2 shown]
	v_mov_b32_e32 v1, 0
	s_mov_b32 s0, exec_lo
	ds_load_b128 v[108:111], v1 offset:752
	s_clause 0x1
	scratch_load_b128 v[112:115], off, off offset:320
	scratch_load_b128 v[116:119], off, off offset:176
	ds_load_b128 v[120:123], v1 offset:768
	scratch_load_b128 v[124:127], off, off offset:336
	s_wait_loadcnt_dscnt 0xa01
	v_mul_f64_e32 v[128:129], v[110:111], v[4:5]
	v_mul_f64_e32 v[4:5], v[108:109], v[4:5]
	s_delay_alu instid0(VALU_DEP_2) | instskip(NEXT) | instid1(VALU_DEP_2)
	v_fma_f64 v[134:135], v[108:109], v[2:3], -v[128:129]
	v_fma_f64 v[136:137], v[110:111], v[2:3], v[4:5]
	ds_load_b128 v[2:5], v1 offset:784
	s_wait_loadcnt_dscnt 0x901
	v_mul_f64_e32 v[132:133], v[120:121], v[8:9]
	v_mul_f64_e32 v[8:9], v[122:123], v[8:9]
	scratch_load_b128 v[108:111], off, off offset:352
	ds_load_b128 v[128:131], v1 offset:800
	s_wait_loadcnt_dscnt 0x901
	v_mul_f64_e32 v[138:139], v[2:3], v[12:13]
	v_mul_f64_e32 v[12:13], v[4:5], v[12:13]
	v_fma_f64 v[122:123], v[122:123], v[6:7], v[132:133]
	v_fma_f64 v[120:121], v[120:121], v[6:7], -v[8:9]
	v_add_f64_e32 v[132:133], 0, v[134:135]
	v_add_f64_e32 v[134:135], 0, v[136:137]
	scratch_load_b128 v[6:9], off, off offset:368
	v_fma_f64 v[138:139], v[4:5], v[10:11], v[138:139]
	v_fma_f64 v[140:141], v[2:3], v[10:11], -v[12:13]
	ds_load_b128 v[2:5], v1 offset:816
	s_wait_loadcnt_dscnt 0x901
	v_mul_f64_e32 v[136:137], v[128:129], v[16:17]
	v_mul_f64_e32 v[16:17], v[130:131], v[16:17]
	scratch_load_b128 v[10:13], off, off offset:384
	v_add_f64_e32 v[132:133], v[132:133], v[120:121]
	v_add_f64_e32 v[134:135], v[134:135], v[122:123]
	s_wait_loadcnt_dscnt 0x900
	v_mul_f64_e32 v[142:143], v[2:3], v[20:21]
	v_mul_f64_e32 v[20:21], v[4:5], v[20:21]
	ds_load_b128 v[120:123], v1 offset:832
	v_fma_f64 v[130:131], v[130:131], v[14:15], v[136:137]
	v_fma_f64 v[128:129], v[128:129], v[14:15], -v[16:17]
	scratch_load_b128 v[14:17], off, off offset:400
	v_add_f64_e32 v[132:133], v[132:133], v[140:141]
	v_add_f64_e32 v[134:135], v[134:135], v[138:139]
	v_fma_f64 v[138:139], v[4:5], v[18:19], v[142:143]
	v_fma_f64 v[140:141], v[2:3], v[18:19], -v[20:21]
	ds_load_b128 v[2:5], v1 offset:848
	s_wait_loadcnt_dscnt 0x901
	v_mul_f64_e32 v[136:137], v[120:121], v[24:25]
	v_mul_f64_e32 v[24:25], v[122:123], v[24:25]
	scratch_load_b128 v[18:21], off, off offset:416
	s_wait_loadcnt_dscnt 0x900
	v_mul_f64_e32 v[142:143], v[2:3], v[28:29]
	v_mul_f64_e32 v[28:29], v[4:5], v[28:29]
	v_add_f64_e32 v[132:133], v[132:133], v[128:129]
	v_add_f64_e32 v[134:135], v[134:135], v[130:131]
	ds_load_b128 v[128:131], v1 offset:864
	v_fma_f64 v[122:123], v[122:123], v[22:23], v[136:137]
	v_fma_f64 v[120:121], v[120:121], v[22:23], -v[24:25]
	scratch_load_b128 v[22:25], off, off offset:432
	v_add_f64_e32 v[132:133], v[132:133], v[140:141]
	v_add_f64_e32 v[134:135], v[134:135], v[138:139]
	v_fma_f64 v[138:139], v[4:5], v[26:27], v[142:143]
	v_fma_f64 v[140:141], v[2:3], v[26:27], -v[28:29]
	ds_load_b128 v[2:5], v1 offset:880
	s_wait_loadcnt_dscnt 0x901
	v_mul_f64_e32 v[136:137], v[128:129], v[32:33]
	v_mul_f64_e32 v[32:33], v[130:131], v[32:33]
	scratch_load_b128 v[26:29], off, off offset:448
	s_wait_loadcnt_dscnt 0x900
	v_mul_f64_e32 v[142:143], v[2:3], v[114:115]
	v_mul_f64_e32 v[114:115], v[4:5], v[114:115]
	v_add_f64_e32 v[132:133], v[132:133], v[120:121]
	v_add_f64_e32 v[134:135], v[134:135], v[122:123]
	ds_load_b128 v[120:123], v1 offset:896
	v_fma_f64 v[130:131], v[130:131], v[30:31], v[136:137]
	v_fma_f64 v[128:129], v[128:129], v[30:31], -v[32:33]
	scratch_load_b128 v[30:33], off, off offset:464
	v_add_f64_e32 v[132:133], v[132:133], v[140:141]
	v_add_f64_e32 v[134:135], v[134:135], v[138:139]
	v_fma_f64 v[140:141], v[4:5], v[112:113], v[142:143]
	v_fma_f64 v[142:143], v[2:3], v[112:113], -v[114:115]
	ds_load_b128 v[2:5], v1 offset:912
	s_wait_loadcnt_dscnt 0x801
	v_mul_f64_e32 v[136:137], v[120:121], v[126:127]
	v_mul_f64_e32 v[138:139], v[122:123], v[126:127]
	scratch_load_b128 v[112:115], off, off offset:480
	v_add_f64_e32 v[132:133], v[132:133], v[128:129]
	v_add_f64_e32 v[130:131], v[134:135], v[130:131]
	ds_load_b128 v[126:129], v1 offset:928
	v_fma_f64 v[136:137], v[122:123], v[124:125], v[136:137]
	v_fma_f64 v[124:125], v[120:121], v[124:125], -v[138:139]
	scratch_load_b128 v[120:123], off, off offset:496
	s_wait_loadcnt_dscnt 0x901
	v_mul_f64_e32 v[134:135], v[2:3], v[110:111]
	v_mul_f64_e32 v[110:111], v[4:5], v[110:111]
	v_add_f64_e32 v[132:133], v[132:133], v[142:143]
	v_add_f64_e32 v[130:131], v[130:131], v[140:141]
	s_delay_alu instid0(VALU_DEP_4) | instskip(NEXT) | instid1(VALU_DEP_4)
	v_fma_f64 v[134:135], v[4:5], v[108:109], v[134:135]
	v_fma_f64 v[140:141], v[2:3], v[108:109], -v[110:111]
	ds_load_b128 v[2:5], v1 offset:944
	s_wait_loadcnt_dscnt 0x801
	v_mul_f64_e32 v[138:139], v[126:127], v[8:9]
	v_mul_f64_e32 v[8:9], v[128:129], v[8:9]
	scratch_load_b128 v[108:111], off, off offset:512
	s_wait_loadcnt_dscnt 0x800
	v_mul_f64_e32 v[142:143], v[2:3], v[12:13]
	v_add_f64_e32 v[124:125], v[132:133], v[124:125]
	v_add_f64_e32 v[136:137], v[130:131], v[136:137]
	v_mul_f64_e32 v[12:13], v[4:5], v[12:13]
	ds_load_b128 v[130:133], v1 offset:960
	v_fma_f64 v[128:129], v[128:129], v[6:7], v[138:139]
	v_fma_f64 v[126:127], v[126:127], v[6:7], -v[8:9]
	scratch_load_b128 v[6:9], off, off offset:528
	v_fma_f64 v[138:139], v[4:5], v[10:11], v[142:143]
	v_add_f64_e32 v[124:125], v[124:125], v[140:141]
	v_add_f64_e32 v[134:135], v[136:137], v[134:135]
	v_fma_f64 v[140:141], v[2:3], v[10:11], -v[12:13]
	ds_load_b128 v[2:5], v1 offset:976
	s_wait_loadcnt_dscnt 0x801
	v_mul_f64_e32 v[136:137], v[130:131], v[16:17]
	v_mul_f64_e32 v[16:17], v[132:133], v[16:17]
	scratch_load_b128 v[10:13], off, off offset:544
	v_add_f64_e32 v[142:143], v[124:125], v[126:127]
	v_add_f64_e32 v[128:129], v[134:135], v[128:129]
	s_wait_loadcnt_dscnt 0x800
	v_mul_f64_e32 v[134:135], v[2:3], v[20:21]
	v_mul_f64_e32 v[20:21], v[4:5], v[20:21]
	v_fma_f64 v[132:133], v[132:133], v[14:15], v[136:137]
	v_fma_f64 v[130:131], v[130:131], v[14:15], -v[16:17]
	ds_load_b128 v[124:127], v1 offset:992
	scratch_load_b128 v[14:17], off, off offset:560
	v_add_f64_e32 v[136:137], v[142:143], v[140:141]
	v_add_f64_e32 v[128:129], v[128:129], v[138:139]
	v_fma_f64 v[134:135], v[4:5], v[18:19], v[134:135]
	v_fma_f64 v[140:141], v[2:3], v[18:19], -v[20:21]
	ds_load_b128 v[2:5], v1 offset:1008
	s_wait_loadcnt_dscnt 0x801
	v_mul_f64_e32 v[138:139], v[124:125], v[24:25]
	v_mul_f64_e32 v[24:25], v[126:127], v[24:25]
	scratch_load_b128 v[18:21], off, off offset:576
	s_wait_loadcnt_dscnt 0x800
	v_mul_f64_e32 v[142:143], v[2:3], v[28:29]
	v_mul_f64_e32 v[28:29], v[4:5], v[28:29]
	v_add_f64_e32 v[136:137], v[136:137], v[130:131]
	v_add_f64_e32 v[132:133], v[128:129], v[132:133]
	ds_load_b128 v[128:131], v1 offset:1024
	v_fma_f64 v[126:127], v[126:127], v[22:23], v[138:139]
	v_fma_f64 v[22:23], v[124:125], v[22:23], -v[24:25]
	v_add_f64_e32 v[24:25], v[136:137], v[140:141]
	v_add_f64_e32 v[124:125], v[132:133], v[134:135]
	s_wait_loadcnt_dscnt 0x700
	v_mul_f64_e32 v[132:133], v[128:129], v[32:33]
	v_mul_f64_e32 v[32:33], v[130:131], v[32:33]
	v_fma_f64 v[134:135], v[4:5], v[26:27], v[142:143]
	v_fma_f64 v[26:27], v[2:3], v[26:27], -v[28:29]
	v_add_f64_e32 v[28:29], v[24:25], v[22:23]
	v_add_f64_e32 v[124:125], v[124:125], v[126:127]
	ds_load_b128 v[2:5], v1 offset:1040
	ds_load_b128 v[22:25], v1 offset:1056
	v_fma_f64 v[130:131], v[130:131], v[30:31], v[132:133]
	v_fma_f64 v[30:31], v[128:129], v[30:31], -v[32:33]
	s_wait_loadcnt_dscnt 0x601
	v_mul_f64_e32 v[126:127], v[2:3], v[114:115]
	v_mul_f64_e32 v[114:115], v[4:5], v[114:115]
	s_wait_loadcnt_dscnt 0x500
	v_mul_f64_e32 v[32:33], v[22:23], v[122:123]
	v_mul_f64_e32 v[122:123], v[24:25], v[122:123]
	v_add_f64_e32 v[26:27], v[28:29], v[26:27]
	v_add_f64_e32 v[28:29], v[124:125], v[134:135]
	v_fma_f64 v[124:125], v[4:5], v[112:113], v[126:127]
	v_fma_f64 v[112:113], v[2:3], v[112:113], -v[114:115]
	v_fma_f64 v[24:25], v[24:25], v[120:121], v[32:33]
	v_fma_f64 v[22:23], v[22:23], v[120:121], -v[122:123]
	v_add_f64_e32 v[30:31], v[26:27], v[30:31]
	v_add_f64_e32 v[114:115], v[28:29], v[130:131]
	ds_load_b128 v[2:5], v1 offset:1072
	ds_load_b128 v[26:29], v1 offset:1088
	s_wait_loadcnt_dscnt 0x401
	v_mul_f64_e32 v[126:127], v[2:3], v[110:111]
	v_mul_f64_e32 v[110:111], v[4:5], v[110:111]
	v_add_f64_e32 v[30:31], v[30:31], v[112:113]
	v_add_f64_e32 v[32:33], v[114:115], v[124:125]
	s_wait_loadcnt_dscnt 0x300
	v_mul_f64_e32 v[112:113], v[26:27], v[8:9]
	v_mul_f64_e32 v[8:9], v[28:29], v[8:9]
	v_fma_f64 v[114:115], v[4:5], v[108:109], v[126:127]
	v_fma_f64 v[108:109], v[2:3], v[108:109], -v[110:111]
	v_add_f64_e32 v[30:31], v[30:31], v[22:23]
	v_add_f64_e32 v[32:33], v[32:33], v[24:25]
	ds_load_b128 v[2:5], v1 offset:1104
	ds_load_b128 v[22:25], v1 offset:1120
	v_fma_f64 v[28:29], v[28:29], v[6:7], v[112:113]
	v_fma_f64 v[6:7], v[26:27], v[6:7], -v[8:9]
	s_wait_loadcnt_dscnt 0x201
	v_mul_f64_e32 v[110:111], v[2:3], v[12:13]
	v_mul_f64_e32 v[12:13], v[4:5], v[12:13]
	v_add_f64_e32 v[8:9], v[30:31], v[108:109]
	v_add_f64_e32 v[26:27], v[32:33], v[114:115]
	s_wait_loadcnt_dscnt 0x100
	v_mul_f64_e32 v[30:31], v[22:23], v[16:17]
	v_mul_f64_e32 v[16:17], v[24:25], v[16:17]
	v_fma_f64 v[32:33], v[4:5], v[10:11], v[110:111]
	v_fma_f64 v[10:11], v[2:3], v[10:11], -v[12:13]
	ds_load_b128 v[2:5], v1 offset:1136
	v_add_f64_e32 v[6:7], v[8:9], v[6:7]
	v_add_f64_e32 v[8:9], v[26:27], v[28:29]
	v_fma_f64 v[24:25], v[24:25], v[14:15], v[30:31]
	v_fma_f64 v[14:15], v[22:23], v[14:15], -v[16:17]
	s_wait_loadcnt_dscnt 0x0
	v_mul_f64_e32 v[12:13], v[2:3], v[20:21]
	v_mul_f64_e32 v[20:21], v[4:5], v[20:21]
	v_add_f64_e32 v[6:7], v[6:7], v[10:11]
	v_add_f64_e32 v[8:9], v[8:9], v[32:33]
	s_delay_alu instid0(VALU_DEP_4) | instskip(NEXT) | instid1(VALU_DEP_4)
	v_fma_f64 v[4:5], v[4:5], v[18:19], v[12:13]
	v_fma_f64 v[2:3], v[2:3], v[18:19], -v[20:21]
	s_delay_alu instid0(VALU_DEP_4) | instskip(NEXT) | instid1(VALU_DEP_4)
	v_add_f64_e32 v[6:7], v[6:7], v[14:15]
	v_add_f64_e32 v[8:9], v[8:9], v[24:25]
	s_delay_alu instid0(VALU_DEP_2) | instskip(NEXT) | instid1(VALU_DEP_2)
	v_add_f64_e32 v[2:3], v[6:7], v[2:3]
	v_add_f64_e32 v[4:5], v[8:9], v[4:5]
	s_delay_alu instid0(VALU_DEP_2) | instskip(NEXT) | instid1(VALU_DEP_2)
	v_add_f64_e64 v[2:3], v[116:117], -v[2:3]
	v_add_f64_e64 v[4:5], v[118:119], -v[4:5]
	scratch_store_b128 off, v[2:5], off offset:176
	v_cmpx_lt_u32_e32 9, v0
	s_cbranch_execz .LBB99_211
; %bb.210:
	scratch_load_b128 v[5:8], off, s10
	v_dual_mov_b32 v2, v1 :: v_dual_mov_b32 v3, v1
	v_mov_b32_e32 v4, v1
	scratch_store_b128 off, v[1:4], off offset:160
	s_wait_loadcnt 0x0
	ds_store_b128 v34, v[5:8]
.LBB99_211:
	s_wait_alu 0xfffe
	s_or_b32 exec_lo, exec_lo, s0
	s_wait_storecnt_dscnt 0x0
	s_barrier_signal -1
	s_barrier_wait -1
	global_inv scope:SCOPE_SE
	s_clause 0x8
	scratch_load_b128 v[2:5], off, off offset:176
	scratch_load_b128 v[6:9], off, off offset:192
	;; [unrolled: 1-line block ×9, first 2 shown]
	ds_load_b128 v[112:115], v1 offset:736
	ds_load_b128 v[116:119], v1 offset:752
	s_clause 0x1
	scratch_load_b128 v[120:123], off, off offset:160
	scratch_load_b128 v[124:127], off, off offset:320
	s_mov_b32 s0, exec_lo
	s_wait_loadcnt_dscnt 0xa01
	v_mul_f64_e32 v[128:129], v[114:115], v[4:5]
	v_mul_f64_e32 v[4:5], v[112:113], v[4:5]
	s_wait_loadcnt_dscnt 0x900
	v_mul_f64_e32 v[132:133], v[116:117], v[8:9]
	v_mul_f64_e32 v[8:9], v[118:119], v[8:9]
	s_delay_alu instid0(VALU_DEP_4) | instskip(NEXT) | instid1(VALU_DEP_4)
	v_fma_f64 v[134:135], v[112:113], v[2:3], -v[128:129]
	v_fma_f64 v[136:137], v[114:115], v[2:3], v[4:5]
	ds_load_b128 v[2:5], v1 offset:768
	ds_load_b128 v[128:131], v1 offset:784
	scratch_load_b128 v[112:115], off, off offset:336
	v_fma_f64 v[118:119], v[118:119], v[6:7], v[132:133]
	v_fma_f64 v[116:117], v[116:117], v[6:7], -v[8:9]
	scratch_load_b128 v[6:9], off, off offset:352
	s_wait_loadcnt_dscnt 0xa01
	v_mul_f64_e32 v[138:139], v[2:3], v[12:13]
	v_mul_f64_e32 v[12:13], v[4:5], v[12:13]
	v_add_f64_e32 v[132:133], 0, v[134:135]
	v_add_f64_e32 v[134:135], 0, v[136:137]
	s_wait_loadcnt_dscnt 0x900
	v_mul_f64_e32 v[136:137], v[128:129], v[16:17]
	v_mul_f64_e32 v[16:17], v[130:131], v[16:17]
	v_fma_f64 v[138:139], v[4:5], v[10:11], v[138:139]
	v_fma_f64 v[140:141], v[2:3], v[10:11], -v[12:13]
	ds_load_b128 v[2:5], v1 offset:800
	scratch_load_b128 v[10:13], off, off offset:368
	v_add_f64_e32 v[132:133], v[132:133], v[116:117]
	v_add_f64_e32 v[134:135], v[134:135], v[118:119]
	ds_load_b128 v[116:119], v1 offset:816
	v_fma_f64 v[130:131], v[130:131], v[14:15], v[136:137]
	v_fma_f64 v[128:129], v[128:129], v[14:15], -v[16:17]
	scratch_load_b128 v[14:17], off, off offset:384
	s_wait_loadcnt_dscnt 0xa01
	v_mul_f64_e32 v[142:143], v[2:3], v[20:21]
	v_mul_f64_e32 v[20:21], v[4:5], v[20:21]
	s_wait_loadcnt_dscnt 0x900
	v_mul_f64_e32 v[136:137], v[116:117], v[24:25]
	v_mul_f64_e32 v[24:25], v[118:119], v[24:25]
	v_add_f64_e32 v[132:133], v[132:133], v[140:141]
	v_add_f64_e32 v[134:135], v[134:135], v[138:139]
	v_fma_f64 v[138:139], v[4:5], v[18:19], v[142:143]
	v_fma_f64 v[140:141], v[2:3], v[18:19], -v[20:21]
	ds_load_b128 v[2:5], v1 offset:832
	scratch_load_b128 v[18:21], off, off offset:400
	v_fma_f64 v[118:119], v[118:119], v[22:23], v[136:137]
	v_fma_f64 v[116:117], v[116:117], v[22:23], -v[24:25]
	scratch_load_b128 v[22:25], off, off offset:416
	v_add_f64_e32 v[132:133], v[132:133], v[128:129]
	v_add_f64_e32 v[134:135], v[134:135], v[130:131]
	ds_load_b128 v[128:131], v1 offset:848
	s_wait_loadcnt_dscnt 0xa01
	v_mul_f64_e32 v[142:143], v[2:3], v[28:29]
	v_mul_f64_e32 v[28:29], v[4:5], v[28:29]
	s_wait_loadcnt_dscnt 0x900
	v_mul_f64_e32 v[136:137], v[128:129], v[32:33]
	v_mul_f64_e32 v[32:33], v[130:131], v[32:33]
	v_add_f64_e32 v[132:133], v[132:133], v[140:141]
	v_add_f64_e32 v[134:135], v[134:135], v[138:139]
	v_fma_f64 v[138:139], v[4:5], v[26:27], v[142:143]
	v_fma_f64 v[140:141], v[2:3], v[26:27], -v[28:29]
	ds_load_b128 v[2:5], v1 offset:864
	scratch_load_b128 v[26:29], off, off offset:432
	v_fma_f64 v[130:131], v[130:131], v[30:31], v[136:137]
	v_fma_f64 v[128:129], v[128:129], v[30:31], -v[32:33]
	scratch_load_b128 v[30:33], off, off offset:448
	v_add_f64_e32 v[132:133], v[132:133], v[116:117]
	v_add_f64_e32 v[134:135], v[134:135], v[118:119]
	ds_load_b128 v[116:119], v1 offset:880
	s_wait_loadcnt_dscnt 0xa01
	v_mul_f64_e32 v[142:143], v[2:3], v[110:111]
	v_mul_f64_e32 v[110:111], v[4:5], v[110:111]
	s_wait_loadcnt_dscnt 0x800
	v_mul_f64_e32 v[136:137], v[116:117], v[126:127]
	v_add_f64_e32 v[132:133], v[132:133], v[140:141]
	v_add_f64_e32 v[134:135], v[134:135], v[138:139]
	v_mul_f64_e32 v[138:139], v[118:119], v[126:127]
	v_fma_f64 v[140:141], v[4:5], v[108:109], v[142:143]
	v_fma_f64 v[142:143], v[2:3], v[108:109], -v[110:111]
	ds_load_b128 v[2:5], v1 offset:896
	scratch_load_b128 v[108:111], off, off offset:464
	v_fma_f64 v[118:119], v[118:119], v[124:125], v[136:137]
	v_add_f64_e32 v[132:133], v[132:133], v[128:129]
	v_add_f64_e32 v[130:131], v[134:135], v[130:131]
	ds_load_b128 v[126:129], v1 offset:912
	v_fma_f64 v[124:125], v[116:117], v[124:125], -v[138:139]
	s_wait_loadcnt_dscnt 0x801
	v_mul_f64_e32 v[134:135], v[2:3], v[114:115]
	v_mul_f64_e32 v[144:145], v[4:5], v[114:115]
	scratch_load_b128 v[114:117], off, off offset:480
	s_wait_loadcnt_dscnt 0x800
	v_mul_f64_e32 v[138:139], v[126:127], v[8:9]
	v_mul_f64_e32 v[8:9], v[128:129], v[8:9]
	v_add_f64_e32 v[132:133], v[132:133], v[142:143]
	v_add_f64_e32 v[130:131], v[130:131], v[140:141]
	v_fma_f64 v[140:141], v[4:5], v[112:113], v[134:135]
	v_fma_f64 v[112:113], v[2:3], v[112:113], -v[144:145]
	ds_load_b128 v[2:5], v1 offset:928
	ds_load_b128 v[134:137], v1 offset:944
	v_fma_f64 v[128:129], v[128:129], v[6:7], v[138:139]
	v_fma_f64 v[126:127], v[126:127], v[6:7], -v[8:9]
	scratch_load_b128 v[6:9], off, off offset:512
	v_add_f64_e32 v[124:125], v[132:133], v[124:125]
	v_add_f64_e32 v[118:119], v[130:131], v[118:119]
	scratch_load_b128 v[130:133], off, off offset:496
	s_wait_loadcnt_dscnt 0x901
	v_mul_f64_e32 v[142:143], v[2:3], v[12:13]
	v_mul_f64_e32 v[12:13], v[4:5], v[12:13]
	s_wait_loadcnt_dscnt 0x800
	v_mul_f64_e32 v[138:139], v[134:135], v[16:17]
	v_mul_f64_e32 v[16:17], v[136:137], v[16:17]
	v_add_f64_e32 v[112:113], v[124:125], v[112:113]
	v_add_f64_e32 v[118:119], v[118:119], v[140:141]
	v_fma_f64 v[140:141], v[4:5], v[10:11], v[142:143]
	v_fma_f64 v[142:143], v[2:3], v[10:11], -v[12:13]
	ds_load_b128 v[2:5], v1 offset:960
	scratch_load_b128 v[10:13], off, off offset:528
	v_fma_f64 v[136:137], v[136:137], v[14:15], v[138:139]
	v_fma_f64 v[134:135], v[134:135], v[14:15], -v[16:17]
	scratch_load_b128 v[14:17], off, off offset:544
	v_add_f64_e32 v[112:113], v[112:113], v[126:127]
	v_add_f64_e32 v[118:119], v[118:119], v[128:129]
	ds_load_b128 v[124:127], v1 offset:976
	s_wait_loadcnt_dscnt 0x901
	v_mul_f64_e32 v[128:129], v[2:3], v[20:21]
	v_mul_f64_e32 v[20:21], v[4:5], v[20:21]
	s_wait_loadcnt_dscnt 0x800
	v_mul_f64_e32 v[138:139], v[124:125], v[24:25]
	v_mul_f64_e32 v[24:25], v[126:127], v[24:25]
	v_add_f64_e32 v[112:113], v[112:113], v[142:143]
	v_add_f64_e32 v[118:119], v[118:119], v[140:141]
	v_fma_f64 v[128:129], v[4:5], v[18:19], v[128:129]
	v_fma_f64 v[140:141], v[2:3], v[18:19], -v[20:21]
	ds_load_b128 v[2:5], v1 offset:992
	scratch_load_b128 v[18:21], off, off offset:560
	v_fma_f64 v[126:127], v[126:127], v[22:23], v[138:139]
	v_fma_f64 v[124:125], v[124:125], v[22:23], -v[24:25]
	scratch_load_b128 v[22:25], off, off offset:576
	v_add_f64_e32 v[112:113], v[112:113], v[134:135]
	v_add_f64_e32 v[118:119], v[118:119], v[136:137]
	ds_load_b128 v[134:137], v1 offset:1008
	s_wait_loadcnt_dscnt 0x901
	v_mul_f64_e32 v[142:143], v[2:3], v[28:29]
	v_mul_f64_e32 v[28:29], v[4:5], v[28:29]
	v_add_f64_e32 v[112:113], v[112:113], v[140:141]
	v_add_f64_e32 v[118:119], v[118:119], v[128:129]
	s_wait_loadcnt_dscnt 0x800
	v_mul_f64_e32 v[128:129], v[134:135], v[32:33]
	v_mul_f64_e32 v[32:33], v[136:137], v[32:33]
	v_fma_f64 v[138:139], v[4:5], v[26:27], v[142:143]
	v_fma_f64 v[140:141], v[2:3], v[26:27], -v[28:29]
	ds_load_b128 v[2:5], v1 offset:1024
	ds_load_b128 v[26:29], v1 offset:1040
	v_add_f64_e32 v[112:113], v[112:113], v[124:125]
	v_add_f64_e32 v[118:119], v[118:119], v[126:127]
	s_wait_loadcnt_dscnt 0x701
	v_mul_f64_e32 v[124:125], v[2:3], v[110:111]
	v_mul_f64_e32 v[110:111], v[4:5], v[110:111]
	v_fma_f64 v[126:127], v[136:137], v[30:31], v[128:129]
	v_fma_f64 v[30:31], v[134:135], v[30:31], -v[32:33]
	v_add_f64_e32 v[32:33], v[112:113], v[140:141]
	v_add_f64_e32 v[112:113], v[118:119], v[138:139]
	s_wait_loadcnt_dscnt 0x600
	v_mul_f64_e32 v[118:119], v[26:27], v[116:117]
	v_mul_f64_e32 v[116:117], v[28:29], v[116:117]
	v_fma_f64 v[124:125], v[4:5], v[108:109], v[124:125]
	v_fma_f64 v[108:109], v[2:3], v[108:109], -v[110:111]
	v_add_f64_e32 v[110:111], v[32:33], v[30:31]
	v_add_f64_e32 v[112:113], v[112:113], v[126:127]
	ds_load_b128 v[2:5], v1 offset:1056
	ds_load_b128 v[30:33], v1 offset:1072
	v_fma_f64 v[28:29], v[28:29], v[114:115], v[118:119]
	v_fma_f64 v[26:27], v[26:27], v[114:115], -v[116:117]
	s_wait_loadcnt_dscnt 0x401
	v_mul_f64_e32 v[126:127], v[2:3], v[132:133]
	v_mul_f64_e32 v[128:129], v[4:5], v[132:133]
	v_add_f64_e32 v[108:109], v[110:111], v[108:109]
	v_add_f64_e32 v[110:111], v[112:113], v[124:125]
	s_wait_dscnt 0x0
	v_mul_f64_e32 v[112:113], v[30:31], v[8:9]
	v_mul_f64_e32 v[8:9], v[32:33], v[8:9]
	v_fma_f64 v[114:115], v[4:5], v[130:131], v[126:127]
	v_fma_f64 v[116:117], v[2:3], v[130:131], -v[128:129]
	v_add_f64_e32 v[108:109], v[108:109], v[26:27]
	v_add_f64_e32 v[110:111], v[110:111], v[28:29]
	ds_load_b128 v[2:5], v1 offset:1088
	ds_load_b128 v[26:29], v1 offset:1104
	v_fma_f64 v[32:33], v[32:33], v[6:7], v[112:113]
	v_fma_f64 v[6:7], v[30:31], v[6:7], -v[8:9]
	s_wait_loadcnt_dscnt 0x301
	v_mul_f64_e32 v[118:119], v[2:3], v[12:13]
	v_mul_f64_e32 v[12:13], v[4:5], v[12:13]
	v_add_f64_e32 v[8:9], v[108:109], v[116:117]
	v_add_f64_e32 v[30:31], v[110:111], v[114:115]
	s_wait_loadcnt_dscnt 0x200
	v_mul_f64_e32 v[108:109], v[26:27], v[16:17]
	v_mul_f64_e32 v[16:17], v[28:29], v[16:17]
	v_fma_f64 v[110:111], v[4:5], v[10:11], v[118:119]
	v_fma_f64 v[10:11], v[2:3], v[10:11], -v[12:13]
	v_add_f64_e32 v[12:13], v[8:9], v[6:7]
	v_add_f64_e32 v[30:31], v[30:31], v[32:33]
	ds_load_b128 v[2:5], v1 offset:1120
	ds_load_b128 v[6:9], v1 offset:1136
	v_fma_f64 v[28:29], v[28:29], v[14:15], v[108:109]
	v_fma_f64 v[14:15], v[26:27], v[14:15], -v[16:17]
	s_wait_loadcnt_dscnt 0x101
	v_mul_f64_e32 v[32:33], v[2:3], v[20:21]
	v_mul_f64_e32 v[20:21], v[4:5], v[20:21]
	s_wait_loadcnt_dscnt 0x0
	v_mul_f64_e32 v[16:17], v[6:7], v[24:25]
	v_mul_f64_e32 v[24:25], v[8:9], v[24:25]
	v_add_f64_e32 v[10:11], v[12:13], v[10:11]
	v_add_f64_e32 v[12:13], v[30:31], v[110:111]
	v_fma_f64 v[4:5], v[4:5], v[18:19], v[32:33]
	v_fma_f64 v[1:2], v[2:3], v[18:19], -v[20:21]
	v_fma_f64 v[8:9], v[8:9], v[22:23], v[16:17]
	v_fma_f64 v[6:7], v[6:7], v[22:23], -v[24:25]
	v_add_f64_e32 v[10:11], v[10:11], v[14:15]
	v_add_f64_e32 v[12:13], v[12:13], v[28:29]
	s_delay_alu instid0(VALU_DEP_2) | instskip(NEXT) | instid1(VALU_DEP_2)
	v_add_f64_e32 v[1:2], v[10:11], v[1:2]
	v_add_f64_e32 v[3:4], v[12:13], v[4:5]
	s_delay_alu instid0(VALU_DEP_2) | instskip(NEXT) | instid1(VALU_DEP_2)
	;; [unrolled: 3-line block ×3, first 2 shown]
	v_add_f64_e64 v[1:2], v[120:121], -v[1:2]
	v_add_f64_e64 v[3:4], v[122:123], -v[3:4]
	scratch_store_b128 off, v[1:4], off offset:160
	v_cmpx_lt_u32_e32 8, v0
	s_cbranch_execz .LBB99_213
; %bb.212:
	scratch_load_b128 v[1:4], off, s28
	v_mov_b32_e32 v5, 0
	s_delay_alu instid0(VALU_DEP_1)
	v_dual_mov_b32 v6, v5 :: v_dual_mov_b32 v7, v5
	v_mov_b32_e32 v8, v5
	scratch_store_b128 off, v[5:8], off offset:144
	s_wait_loadcnt 0x0
	ds_store_b128 v34, v[1:4]
.LBB99_213:
	s_wait_alu 0xfffe
	s_or_b32 exec_lo, exec_lo, s0
	s_wait_storecnt_dscnt 0x0
	s_barrier_signal -1
	s_barrier_wait -1
	global_inv scope:SCOPE_SE
	s_clause 0x7
	scratch_load_b128 v[2:5], off, off offset:160
	scratch_load_b128 v[6:9], off, off offset:176
	;; [unrolled: 1-line block ×8, first 2 shown]
	v_mov_b32_e32 v1, 0
	s_mov_b32 s0, exec_lo
	ds_load_b128 v[108:111], v1 offset:720
	s_clause 0x1
	scratch_load_b128 v[112:115], off, off offset:288
	scratch_load_b128 v[116:119], off, off offset:144
	ds_load_b128 v[120:123], v1 offset:736
	scratch_load_b128 v[124:127], off, off offset:304
	s_wait_loadcnt_dscnt 0xa01
	v_mul_f64_e32 v[128:129], v[110:111], v[4:5]
	v_mul_f64_e32 v[4:5], v[108:109], v[4:5]
	s_delay_alu instid0(VALU_DEP_2) | instskip(NEXT) | instid1(VALU_DEP_2)
	v_fma_f64 v[134:135], v[108:109], v[2:3], -v[128:129]
	v_fma_f64 v[136:137], v[110:111], v[2:3], v[4:5]
	ds_load_b128 v[2:5], v1 offset:752
	s_wait_loadcnt_dscnt 0x901
	v_mul_f64_e32 v[132:133], v[120:121], v[8:9]
	v_mul_f64_e32 v[8:9], v[122:123], v[8:9]
	scratch_load_b128 v[108:111], off, off offset:320
	ds_load_b128 v[128:131], v1 offset:768
	s_wait_loadcnt_dscnt 0x901
	v_mul_f64_e32 v[138:139], v[2:3], v[12:13]
	v_mul_f64_e32 v[12:13], v[4:5], v[12:13]
	v_fma_f64 v[122:123], v[122:123], v[6:7], v[132:133]
	v_fma_f64 v[120:121], v[120:121], v[6:7], -v[8:9]
	v_add_f64_e32 v[132:133], 0, v[134:135]
	v_add_f64_e32 v[134:135], 0, v[136:137]
	scratch_load_b128 v[6:9], off, off offset:336
	v_fma_f64 v[138:139], v[4:5], v[10:11], v[138:139]
	v_fma_f64 v[140:141], v[2:3], v[10:11], -v[12:13]
	ds_load_b128 v[2:5], v1 offset:784
	s_wait_loadcnt_dscnt 0x901
	v_mul_f64_e32 v[136:137], v[128:129], v[16:17]
	v_mul_f64_e32 v[16:17], v[130:131], v[16:17]
	scratch_load_b128 v[10:13], off, off offset:352
	v_add_f64_e32 v[132:133], v[132:133], v[120:121]
	v_add_f64_e32 v[134:135], v[134:135], v[122:123]
	s_wait_loadcnt_dscnt 0x900
	v_mul_f64_e32 v[142:143], v[2:3], v[20:21]
	v_mul_f64_e32 v[20:21], v[4:5], v[20:21]
	ds_load_b128 v[120:123], v1 offset:800
	v_fma_f64 v[130:131], v[130:131], v[14:15], v[136:137]
	v_fma_f64 v[128:129], v[128:129], v[14:15], -v[16:17]
	scratch_load_b128 v[14:17], off, off offset:368
	v_add_f64_e32 v[132:133], v[132:133], v[140:141]
	v_add_f64_e32 v[134:135], v[134:135], v[138:139]
	v_fma_f64 v[138:139], v[4:5], v[18:19], v[142:143]
	v_fma_f64 v[140:141], v[2:3], v[18:19], -v[20:21]
	ds_load_b128 v[2:5], v1 offset:816
	s_wait_loadcnt_dscnt 0x901
	v_mul_f64_e32 v[136:137], v[120:121], v[24:25]
	v_mul_f64_e32 v[24:25], v[122:123], v[24:25]
	scratch_load_b128 v[18:21], off, off offset:384
	s_wait_loadcnt_dscnt 0x900
	v_mul_f64_e32 v[142:143], v[2:3], v[28:29]
	v_mul_f64_e32 v[28:29], v[4:5], v[28:29]
	v_add_f64_e32 v[132:133], v[132:133], v[128:129]
	v_add_f64_e32 v[134:135], v[134:135], v[130:131]
	ds_load_b128 v[128:131], v1 offset:832
	v_fma_f64 v[122:123], v[122:123], v[22:23], v[136:137]
	v_fma_f64 v[120:121], v[120:121], v[22:23], -v[24:25]
	scratch_load_b128 v[22:25], off, off offset:400
	v_add_f64_e32 v[132:133], v[132:133], v[140:141]
	v_add_f64_e32 v[134:135], v[134:135], v[138:139]
	v_fma_f64 v[138:139], v[4:5], v[26:27], v[142:143]
	v_fma_f64 v[140:141], v[2:3], v[26:27], -v[28:29]
	ds_load_b128 v[2:5], v1 offset:848
	s_wait_loadcnt_dscnt 0x901
	v_mul_f64_e32 v[136:137], v[128:129], v[32:33]
	v_mul_f64_e32 v[32:33], v[130:131], v[32:33]
	scratch_load_b128 v[26:29], off, off offset:416
	s_wait_loadcnt_dscnt 0x900
	v_mul_f64_e32 v[142:143], v[2:3], v[114:115]
	v_mul_f64_e32 v[114:115], v[4:5], v[114:115]
	v_add_f64_e32 v[132:133], v[132:133], v[120:121]
	v_add_f64_e32 v[134:135], v[134:135], v[122:123]
	ds_load_b128 v[120:123], v1 offset:864
	v_fma_f64 v[130:131], v[130:131], v[30:31], v[136:137]
	v_fma_f64 v[128:129], v[128:129], v[30:31], -v[32:33]
	scratch_load_b128 v[30:33], off, off offset:432
	v_add_f64_e32 v[132:133], v[132:133], v[140:141]
	v_add_f64_e32 v[134:135], v[134:135], v[138:139]
	v_fma_f64 v[140:141], v[4:5], v[112:113], v[142:143]
	v_fma_f64 v[142:143], v[2:3], v[112:113], -v[114:115]
	ds_load_b128 v[2:5], v1 offset:880
	s_wait_loadcnt_dscnt 0x801
	v_mul_f64_e32 v[136:137], v[120:121], v[126:127]
	v_mul_f64_e32 v[138:139], v[122:123], v[126:127]
	scratch_load_b128 v[112:115], off, off offset:448
	v_add_f64_e32 v[132:133], v[132:133], v[128:129]
	v_add_f64_e32 v[130:131], v[134:135], v[130:131]
	ds_load_b128 v[126:129], v1 offset:896
	v_fma_f64 v[136:137], v[122:123], v[124:125], v[136:137]
	v_fma_f64 v[124:125], v[120:121], v[124:125], -v[138:139]
	scratch_load_b128 v[120:123], off, off offset:464
	s_wait_loadcnt_dscnt 0x901
	v_mul_f64_e32 v[134:135], v[2:3], v[110:111]
	v_mul_f64_e32 v[110:111], v[4:5], v[110:111]
	v_add_f64_e32 v[132:133], v[132:133], v[142:143]
	v_add_f64_e32 v[130:131], v[130:131], v[140:141]
	s_delay_alu instid0(VALU_DEP_4) | instskip(NEXT) | instid1(VALU_DEP_4)
	v_fma_f64 v[134:135], v[4:5], v[108:109], v[134:135]
	v_fma_f64 v[140:141], v[2:3], v[108:109], -v[110:111]
	ds_load_b128 v[2:5], v1 offset:912
	s_wait_loadcnt_dscnt 0x801
	v_mul_f64_e32 v[138:139], v[126:127], v[8:9]
	v_mul_f64_e32 v[8:9], v[128:129], v[8:9]
	scratch_load_b128 v[108:111], off, off offset:480
	s_wait_loadcnt_dscnt 0x800
	v_mul_f64_e32 v[142:143], v[2:3], v[12:13]
	v_add_f64_e32 v[124:125], v[132:133], v[124:125]
	v_add_f64_e32 v[136:137], v[130:131], v[136:137]
	v_mul_f64_e32 v[12:13], v[4:5], v[12:13]
	ds_load_b128 v[130:133], v1 offset:928
	v_fma_f64 v[128:129], v[128:129], v[6:7], v[138:139]
	v_fma_f64 v[126:127], v[126:127], v[6:7], -v[8:9]
	scratch_load_b128 v[6:9], off, off offset:496
	v_fma_f64 v[138:139], v[4:5], v[10:11], v[142:143]
	v_add_f64_e32 v[124:125], v[124:125], v[140:141]
	v_add_f64_e32 v[134:135], v[136:137], v[134:135]
	v_fma_f64 v[140:141], v[2:3], v[10:11], -v[12:13]
	ds_load_b128 v[2:5], v1 offset:944
	s_wait_loadcnt_dscnt 0x801
	v_mul_f64_e32 v[136:137], v[130:131], v[16:17]
	v_mul_f64_e32 v[16:17], v[132:133], v[16:17]
	scratch_load_b128 v[10:13], off, off offset:512
	v_add_f64_e32 v[142:143], v[124:125], v[126:127]
	v_add_f64_e32 v[128:129], v[134:135], v[128:129]
	s_wait_loadcnt_dscnt 0x800
	v_mul_f64_e32 v[134:135], v[2:3], v[20:21]
	v_mul_f64_e32 v[20:21], v[4:5], v[20:21]
	v_fma_f64 v[132:133], v[132:133], v[14:15], v[136:137]
	v_fma_f64 v[130:131], v[130:131], v[14:15], -v[16:17]
	ds_load_b128 v[124:127], v1 offset:960
	scratch_load_b128 v[14:17], off, off offset:528
	v_add_f64_e32 v[136:137], v[142:143], v[140:141]
	v_add_f64_e32 v[128:129], v[128:129], v[138:139]
	v_fma_f64 v[134:135], v[4:5], v[18:19], v[134:135]
	v_fma_f64 v[140:141], v[2:3], v[18:19], -v[20:21]
	ds_load_b128 v[2:5], v1 offset:976
	s_wait_loadcnt_dscnt 0x801
	v_mul_f64_e32 v[138:139], v[124:125], v[24:25]
	v_mul_f64_e32 v[24:25], v[126:127], v[24:25]
	scratch_load_b128 v[18:21], off, off offset:544
	s_wait_loadcnt_dscnt 0x800
	v_mul_f64_e32 v[142:143], v[2:3], v[28:29]
	v_mul_f64_e32 v[28:29], v[4:5], v[28:29]
	v_add_f64_e32 v[136:137], v[136:137], v[130:131]
	v_add_f64_e32 v[132:133], v[128:129], v[132:133]
	ds_load_b128 v[128:131], v1 offset:992
	v_fma_f64 v[126:127], v[126:127], v[22:23], v[138:139]
	v_fma_f64 v[124:125], v[124:125], v[22:23], -v[24:25]
	scratch_load_b128 v[22:25], off, off offset:560
	v_fma_f64 v[138:139], v[4:5], v[26:27], v[142:143]
	v_add_f64_e32 v[136:137], v[136:137], v[140:141]
	v_add_f64_e32 v[132:133], v[132:133], v[134:135]
	v_fma_f64 v[140:141], v[2:3], v[26:27], -v[28:29]
	ds_load_b128 v[2:5], v1 offset:1008
	s_wait_loadcnt_dscnt 0x801
	v_mul_f64_e32 v[134:135], v[128:129], v[32:33]
	v_mul_f64_e32 v[32:33], v[130:131], v[32:33]
	scratch_load_b128 v[26:29], off, off offset:576
	s_wait_loadcnt_dscnt 0x800
	v_mul_f64_e32 v[142:143], v[2:3], v[114:115]
	v_mul_f64_e32 v[114:115], v[4:5], v[114:115]
	v_add_f64_e32 v[136:137], v[136:137], v[124:125]
	v_add_f64_e32 v[132:133], v[132:133], v[126:127]
	ds_load_b128 v[124:127], v1 offset:1024
	v_fma_f64 v[130:131], v[130:131], v[30:31], v[134:135]
	v_fma_f64 v[30:31], v[128:129], v[30:31], -v[32:33]
	v_fma_f64 v[134:135], v[4:5], v[112:113], v[142:143]
	v_fma_f64 v[112:113], v[2:3], v[112:113], -v[114:115]
	v_add_f64_e32 v[32:33], v[136:137], v[140:141]
	v_add_f64_e32 v[128:129], v[132:133], v[138:139]
	s_wait_loadcnt_dscnt 0x700
	v_mul_f64_e32 v[132:133], v[124:125], v[122:123]
	v_mul_f64_e32 v[122:123], v[126:127], v[122:123]
	s_delay_alu instid0(VALU_DEP_4) | instskip(NEXT) | instid1(VALU_DEP_4)
	v_add_f64_e32 v[114:115], v[32:33], v[30:31]
	v_add_f64_e32 v[128:129], v[128:129], v[130:131]
	ds_load_b128 v[2:5], v1 offset:1040
	ds_load_b128 v[30:33], v1 offset:1056
	v_fma_f64 v[126:127], v[126:127], v[120:121], v[132:133]
	v_fma_f64 v[120:121], v[124:125], v[120:121], -v[122:123]
	s_wait_loadcnt_dscnt 0x601
	v_mul_f64_e32 v[130:131], v[2:3], v[110:111]
	v_mul_f64_e32 v[110:111], v[4:5], v[110:111]
	s_wait_loadcnt_dscnt 0x500
	v_mul_f64_e32 v[122:123], v[30:31], v[8:9]
	v_mul_f64_e32 v[8:9], v[32:33], v[8:9]
	v_add_f64_e32 v[112:113], v[114:115], v[112:113]
	v_add_f64_e32 v[114:115], v[128:129], v[134:135]
	v_fma_f64 v[124:125], v[4:5], v[108:109], v[130:131]
	v_fma_f64 v[128:129], v[2:3], v[108:109], -v[110:111]
	ds_load_b128 v[2:5], v1 offset:1072
	ds_load_b128 v[108:111], v1 offset:1088
	v_fma_f64 v[32:33], v[32:33], v[6:7], v[122:123]
	v_fma_f64 v[6:7], v[30:31], v[6:7], -v[8:9]
	v_add_f64_e32 v[112:113], v[112:113], v[120:121]
	v_add_f64_e32 v[114:115], v[114:115], v[126:127]
	s_wait_loadcnt_dscnt 0x401
	v_mul_f64_e32 v[120:121], v[2:3], v[12:13]
	v_mul_f64_e32 v[12:13], v[4:5], v[12:13]
	s_delay_alu instid0(VALU_DEP_4) | instskip(NEXT) | instid1(VALU_DEP_4)
	v_add_f64_e32 v[8:9], v[112:113], v[128:129]
	v_add_f64_e32 v[30:31], v[114:115], v[124:125]
	s_wait_loadcnt_dscnt 0x300
	v_mul_f64_e32 v[112:113], v[108:109], v[16:17]
	v_mul_f64_e32 v[16:17], v[110:111], v[16:17]
	v_fma_f64 v[114:115], v[4:5], v[10:11], v[120:121]
	v_fma_f64 v[10:11], v[2:3], v[10:11], -v[12:13]
	v_add_f64_e32 v[12:13], v[8:9], v[6:7]
	v_add_f64_e32 v[30:31], v[30:31], v[32:33]
	ds_load_b128 v[2:5], v1 offset:1104
	ds_load_b128 v[6:9], v1 offset:1120
	v_fma_f64 v[110:111], v[110:111], v[14:15], v[112:113]
	v_fma_f64 v[14:15], v[108:109], v[14:15], -v[16:17]
	s_wait_loadcnt_dscnt 0x201
	v_mul_f64_e32 v[32:33], v[2:3], v[20:21]
	v_mul_f64_e32 v[20:21], v[4:5], v[20:21]
	s_wait_loadcnt_dscnt 0x100
	v_mul_f64_e32 v[16:17], v[6:7], v[24:25]
	v_mul_f64_e32 v[24:25], v[8:9], v[24:25]
	v_add_f64_e32 v[10:11], v[12:13], v[10:11]
	v_add_f64_e32 v[12:13], v[30:31], v[114:115]
	v_fma_f64 v[30:31], v[4:5], v[18:19], v[32:33]
	v_fma_f64 v[18:19], v[2:3], v[18:19], -v[20:21]
	ds_load_b128 v[2:5], v1 offset:1136
	v_fma_f64 v[8:9], v[8:9], v[22:23], v[16:17]
	v_fma_f64 v[6:7], v[6:7], v[22:23], -v[24:25]
	v_add_f64_e32 v[10:11], v[10:11], v[14:15]
	v_add_f64_e32 v[12:13], v[12:13], v[110:111]
	s_wait_loadcnt_dscnt 0x0
	v_mul_f64_e32 v[14:15], v[2:3], v[28:29]
	v_mul_f64_e32 v[20:21], v[4:5], v[28:29]
	s_delay_alu instid0(VALU_DEP_4) | instskip(NEXT) | instid1(VALU_DEP_4)
	v_add_f64_e32 v[10:11], v[10:11], v[18:19]
	v_add_f64_e32 v[12:13], v[12:13], v[30:31]
	s_delay_alu instid0(VALU_DEP_4) | instskip(NEXT) | instid1(VALU_DEP_4)
	v_fma_f64 v[4:5], v[4:5], v[26:27], v[14:15]
	v_fma_f64 v[2:3], v[2:3], v[26:27], -v[20:21]
	s_delay_alu instid0(VALU_DEP_4) | instskip(NEXT) | instid1(VALU_DEP_4)
	v_add_f64_e32 v[6:7], v[10:11], v[6:7]
	v_add_f64_e32 v[8:9], v[12:13], v[8:9]
	s_delay_alu instid0(VALU_DEP_2) | instskip(NEXT) | instid1(VALU_DEP_2)
	v_add_f64_e32 v[2:3], v[6:7], v[2:3]
	v_add_f64_e32 v[4:5], v[8:9], v[4:5]
	s_delay_alu instid0(VALU_DEP_2) | instskip(NEXT) | instid1(VALU_DEP_2)
	v_add_f64_e64 v[2:3], v[116:117], -v[2:3]
	v_add_f64_e64 v[4:5], v[118:119], -v[4:5]
	scratch_store_b128 off, v[2:5], off offset:144
	v_cmpx_lt_u32_e32 7, v0
	s_cbranch_execz .LBB99_215
; %bb.214:
	scratch_load_b128 v[5:8], off, s5
	v_dual_mov_b32 v2, v1 :: v_dual_mov_b32 v3, v1
	v_mov_b32_e32 v4, v1
	scratch_store_b128 off, v[1:4], off offset:128
	s_wait_loadcnt 0x0
	ds_store_b128 v34, v[5:8]
.LBB99_215:
	s_wait_alu 0xfffe
	s_or_b32 exec_lo, exec_lo, s0
	s_wait_storecnt_dscnt 0x0
	s_barrier_signal -1
	s_barrier_wait -1
	global_inv scope:SCOPE_SE
	s_clause 0x8
	scratch_load_b128 v[2:5], off, off offset:144
	scratch_load_b128 v[6:9], off, off offset:160
	;; [unrolled: 1-line block ×9, first 2 shown]
	ds_load_b128 v[112:115], v1 offset:704
	ds_load_b128 v[116:119], v1 offset:720
	s_clause 0x1
	scratch_load_b128 v[120:123], off, off offset:128
	scratch_load_b128 v[124:127], off, off offset:288
	s_mov_b32 s0, exec_lo
	s_wait_loadcnt_dscnt 0xa01
	v_mul_f64_e32 v[128:129], v[114:115], v[4:5]
	v_mul_f64_e32 v[4:5], v[112:113], v[4:5]
	s_wait_loadcnt_dscnt 0x900
	v_mul_f64_e32 v[132:133], v[116:117], v[8:9]
	v_mul_f64_e32 v[8:9], v[118:119], v[8:9]
	s_delay_alu instid0(VALU_DEP_4) | instskip(NEXT) | instid1(VALU_DEP_4)
	v_fma_f64 v[134:135], v[112:113], v[2:3], -v[128:129]
	v_fma_f64 v[136:137], v[114:115], v[2:3], v[4:5]
	ds_load_b128 v[2:5], v1 offset:736
	ds_load_b128 v[128:131], v1 offset:752
	scratch_load_b128 v[112:115], off, off offset:304
	v_fma_f64 v[118:119], v[118:119], v[6:7], v[132:133]
	v_fma_f64 v[116:117], v[116:117], v[6:7], -v[8:9]
	scratch_load_b128 v[6:9], off, off offset:320
	s_wait_loadcnt_dscnt 0xa01
	v_mul_f64_e32 v[138:139], v[2:3], v[12:13]
	v_mul_f64_e32 v[12:13], v[4:5], v[12:13]
	v_add_f64_e32 v[132:133], 0, v[134:135]
	v_add_f64_e32 v[134:135], 0, v[136:137]
	s_wait_loadcnt_dscnt 0x900
	v_mul_f64_e32 v[136:137], v[128:129], v[16:17]
	v_mul_f64_e32 v[16:17], v[130:131], v[16:17]
	v_fma_f64 v[138:139], v[4:5], v[10:11], v[138:139]
	v_fma_f64 v[140:141], v[2:3], v[10:11], -v[12:13]
	ds_load_b128 v[2:5], v1 offset:768
	scratch_load_b128 v[10:13], off, off offset:336
	v_add_f64_e32 v[132:133], v[132:133], v[116:117]
	v_add_f64_e32 v[134:135], v[134:135], v[118:119]
	ds_load_b128 v[116:119], v1 offset:784
	v_fma_f64 v[130:131], v[130:131], v[14:15], v[136:137]
	v_fma_f64 v[128:129], v[128:129], v[14:15], -v[16:17]
	scratch_load_b128 v[14:17], off, off offset:352
	s_wait_loadcnt_dscnt 0xa01
	v_mul_f64_e32 v[142:143], v[2:3], v[20:21]
	v_mul_f64_e32 v[20:21], v[4:5], v[20:21]
	s_wait_loadcnt_dscnt 0x900
	v_mul_f64_e32 v[136:137], v[116:117], v[24:25]
	v_mul_f64_e32 v[24:25], v[118:119], v[24:25]
	v_add_f64_e32 v[132:133], v[132:133], v[140:141]
	v_add_f64_e32 v[134:135], v[134:135], v[138:139]
	v_fma_f64 v[138:139], v[4:5], v[18:19], v[142:143]
	v_fma_f64 v[140:141], v[2:3], v[18:19], -v[20:21]
	ds_load_b128 v[2:5], v1 offset:800
	scratch_load_b128 v[18:21], off, off offset:368
	v_fma_f64 v[118:119], v[118:119], v[22:23], v[136:137]
	v_fma_f64 v[116:117], v[116:117], v[22:23], -v[24:25]
	scratch_load_b128 v[22:25], off, off offset:384
	v_add_f64_e32 v[132:133], v[132:133], v[128:129]
	v_add_f64_e32 v[134:135], v[134:135], v[130:131]
	ds_load_b128 v[128:131], v1 offset:816
	s_wait_loadcnt_dscnt 0xa01
	v_mul_f64_e32 v[142:143], v[2:3], v[28:29]
	v_mul_f64_e32 v[28:29], v[4:5], v[28:29]
	s_wait_loadcnt_dscnt 0x900
	v_mul_f64_e32 v[136:137], v[128:129], v[32:33]
	v_mul_f64_e32 v[32:33], v[130:131], v[32:33]
	v_add_f64_e32 v[132:133], v[132:133], v[140:141]
	v_add_f64_e32 v[134:135], v[134:135], v[138:139]
	v_fma_f64 v[138:139], v[4:5], v[26:27], v[142:143]
	v_fma_f64 v[140:141], v[2:3], v[26:27], -v[28:29]
	ds_load_b128 v[2:5], v1 offset:832
	scratch_load_b128 v[26:29], off, off offset:400
	v_fma_f64 v[130:131], v[130:131], v[30:31], v[136:137]
	v_fma_f64 v[128:129], v[128:129], v[30:31], -v[32:33]
	scratch_load_b128 v[30:33], off, off offset:416
	v_add_f64_e32 v[132:133], v[132:133], v[116:117]
	v_add_f64_e32 v[134:135], v[134:135], v[118:119]
	ds_load_b128 v[116:119], v1 offset:848
	s_wait_loadcnt_dscnt 0xa01
	v_mul_f64_e32 v[142:143], v[2:3], v[110:111]
	v_mul_f64_e32 v[110:111], v[4:5], v[110:111]
	s_wait_loadcnt_dscnt 0x800
	v_mul_f64_e32 v[136:137], v[116:117], v[126:127]
	v_add_f64_e32 v[132:133], v[132:133], v[140:141]
	v_add_f64_e32 v[134:135], v[134:135], v[138:139]
	v_mul_f64_e32 v[138:139], v[118:119], v[126:127]
	v_fma_f64 v[140:141], v[4:5], v[108:109], v[142:143]
	v_fma_f64 v[142:143], v[2:3], v[108:109], -v[110:111]
	ds_load_b128 v[2:5], v1 offset:864
	scratch_load_b128 v[108:111], off, off offset:432
	v_fma_f64 v[118:119], v[118:119], v[124:125], v[136:137]
	v_add_f64_e32 v[132:133], v[132:133], v[128:129]
	v_add_f64_e32 v[130:131], v[134:135], v[130:131]
	ds_load_b128 v[126:129], v1 offset:880
	v_fma_f64 v[124:125], v[116:117], v[124:125], -v[138:139]
	s_wait_loadcnt_dscnt 0x801
	v_mul_f64_e32 v[134:135], v[2:3], v[114:115]
	v_mul_f64_e32 v[144:145], v[4:5], v[114:115]
	scratch_load_b128 v[114:117], off, off offset:448
	s_wait_loadcnt_dscnt 0x800
	v_mul_f64_e32 v[138:139], v[126:127], v[8:9]
	v_mul_f64_e32 v[8:9], v[128:129], v[8:9]
	v_add_f64_e32 v[132:133], v[132:133], v[142:143]
	v_add_f64_e32 v[130:131], v[130:131], v[140:141]
	v_fma_f64 v[140:141], v[4:5], v[112:113], v[134:135]
	v_fma_f64 v[112:113], v[2:3], v[112:113], -v[144:145]
	ds_load_b128 v[2:5], v1 offset:896
	ds_load_b128 v[134:137], v1 offset:912
	v_fma_f64 v[128:129], v[128:129], v[6:7], v[138:139]
	v_fma_f64 v[126:127], v[126:127], v[6:7], -v[8:9]
	scratch_load_b128 v[6:9], off, off offset:480
	v_add_f64_e32 v[124:125], v[132:133], v[124:125]
	v_add_f64_e32 v[118:119], v[130:131], v[118:119]
	scratch_load_b128 v[130:133], off, off offset:464
	s_wait_loadcnt_dscnt 0x901
	v_mul_f64_e32 v[142:143], v[2:3], v[12:13]
	v_mul_f64_e32 v[12:13], v[4:5], v[12:13]
	s_wait_loadcnt_dscnt 0x800
	v_mul_f64_e32 v[138:139], v[134:135], v[16:17]
	v_mul_f64_e32 v[16:17], v[136:137], v[16:17]
	v_add_f64_e32 v[112:113], v[124:125], v[112:113]
	v_add_f64_e32 v[118:119], v[118:119], v[140:141]
	v_fma_f64 v[140:141], v[4:5], v[10:11], v[142:143]
	v_fma_f64 v[142:143], v[2:3], v[10:11], -v[12:13]
	ds_load_b128 v[2:5], v1 offset:928
	scratch_load_b128 v[10:13], off, off offset:496
	v_fma_f64 v[136:137], v[136:137], v[14:15], v[138:139]
	v_fma_f64 v[134:135], v[134:135], v[14:15], -v[16:17]
	scratch_load_b128 v[14:17], off, off offset:512
	v_add_f64_e32 v[112:113], v[112:113], v[126:127]
	v_add_f64_e32 v[118:119], v[118:119], v[128:129]
	ds_load_b128 v[124:127], v1 offset:944
	s_wait_loadcnt_dscnt 0x901
	v_mul_f64_e32 v[128:129], v[2:3], v[20:21]
	v_mul_f64_e32 v[20:21], v[4:5], v[20:21]
	s_wait_loadcnt_dscnt 0x800
	v_mul_f64_e32 v[138:139], v[124:125], v[24:25]
	v_mul_f64_e32 v[24:25], v[126:127], v[24:25]
	v_add_f64_e32 v[112:113], v[112:113], v[142:143]
	v_add_f64_e32 v[118:119], v[118:119], v[140:141]
	v_fma_f64 v[128:129], v[4:5], v[18:19], v[128:129]
	v_fma_f64 v[140:141], v[2:3], v[18:19], -v[20:21]
	ds_load_b128 v[2:5], v1 offset:960
	scratch_load_b128 v[18:21], off, off offset:528
	v_fma_f64 v[126:127], v[126:127], v[22:23], v[138:139]
	v_fma_f64 v[124:125], v[124:125], v[22:23], -v[24:25]
	scratch_load_b128 v[22:25], off, off offset:544
	v_add_f64_e32 v[112:113], v[112:113], v[134:135]
	v_add_f64_e32 v[118:119], v[118:119], v[136:137]
	ds_load_b128 v[134:137], v1 offset:976
	s_wait_loadcnt_dscnt 0x901
	v_mul_f64_e32 v[142:143], v[2:3], v[28:29]
	v_mul_f64_e32 v[28:29], v[4:5], v[28:29]
	v_add_f64_e32 v[112:113], v[112:113], v[140:141]
	v_add_f64_e32 v[118:119], v[118:119], v[128:129]
	s_wait_loadcnt_dscnt 0x800
	v_mul_f64_e32 v[128:129], v[134:135], v[32:33]
	v_mul_f64_e32 v[32:33], v[136:137], v[32:33]
	v_fma_f64 v[138:139], v[4:5], v[26:27], v[142:143]
	v_fma_f64 v[140:141], v[2:3], v[26:27], -v[28:29]
	ds_load_b128 v[2:5], v1 offset:992
	scratch_load_b128 v[26:29], off, off offset:560
	v_add_f64_e32 v[112:113], v[112:113], v[124:125]
	v_add_f64_e32 v[118:119], v[118:119], v[126:127]
	ds_load_b128 v[124:127], v1 offset:1008
	s_wait_loadcnt_dscnt 0x801
	v_mul_f64_e32 v[142:143], v[2:3], v[110:111]
	v_mul_f64_e32 v[110:111], v[4:5], v[110:111]
	v_fma_f64 v[128:129], v[136:137], v[30:31], v[128:129]
	v_fma_f64 v[134:135], v[134:135], v[30:31], -v[32:33]
	scratch_load_b128 v[30:33], off, off offset:576
	s_wait_loadcnt_dscnt 0x800
	v_mul_f64_e32 v[136:137], v[124:125], v[116:117]
	v_add_f64_e32 v[112:113], v[112:113], v[140:141]
	v_add_f64_e32 v[118:119], v[118:119], v[138:139]
	v_mul_f64_e32 v[116:117], v[126:127], v[116:117]
	v_fma_f64 v[138:139], v[4:5], v[108:109], v[142:143]
	v_fma_f64 v[140:141], v[2:3], v[108:109], -v[110:111]
	ds_load_b128 v[2:5], v1 offset:1024
	ds_load_b128 v[108:111], v1 offset:1040
	v_fma_f64 v[126:127], v[126:127], v[114:115], v[136:137]
	v_add_f64_e32 v[112:113], v[112:113], v[134:135]
	v_add_f64_e32 v[118:119], v[118:119], v[128:129]
	v_fma_f64 v[114:115], v[124:125], v[114:115], -v[116:117]
	s_wait_loadcnt_dscnt 0x601
	v_mul_f64_e32 v[128:129], v[2:3], v[132:133]
	v_mul_f64_e32 v[132:133], v[4:5], v[132:133]
	v_add_f64_e32 v[112:113], v[112:113], v[140:141]
	v_add_f64_e32 v[116:117], v[118:119], v[138:139]
	s_wait_dscnt 0x0
	v_mul_f64_e32 v[118:119], v[108:109], v[8:9]
	v_mul_f64_e32 v[8:9], v[110:111], v[8:9]
	v_fma_f64 v[124:125], v[4:5], v[130:131], v[128:129]
	v_fma_f64 v[128:129], v[2:3], v[130:131], -v[132:133]
	v_add_f64_e32 v[130:131], v[112:113], v[114:115]
	v_add_f64_e32 v[116:117], v[116:117], v[126:127]
	ds_load_b128 v[2:5], v1 offset:1056
	ds_load_b128 v[112:115], v1 offset:1072
	v_fma_f64 v[110:111], v[110:111], v[6:7], v[118:119]
	v_fma_f64 v[6:7], v[108:109], v[6:7], -v[8:9]
	s_wait_loadcnt_dscnt 0x501
	v_mul_f64_e32 v[126:127], v[2:3], v[12:13]
	v_mul_f64_e32 v[12:13], v[4:5], v[12:13]
	v_add_f64_e32 v[8:9], v[130:131], v[128:129]
	v_add_f64_e32 v[108:109], v[116:117], v[124:125]
	s_wait_loadcnt_dscnt 0x400
	v_mul_f64_e32 v[116:117], v[112:113], v[16:17]
	v_mul_f64_e32 v[16:17], v[114:115], v[16:17]
	v_fma_f64 v[118:119], v[4:5], v[10:11], v[126:127]
	v_fma_f64 v[10:11], v[2:3], v[10:11], -v[12:13]
	v_add_f64_e32 v[12:13], v[8:9], v[6:7]
	v_add_f64_e32 v[108:109], v[108:109], v[110:111]
	ds_load_b128 v[2:5], v1 offset:1088
	ds_load_b128 v[6:9], v1 offset:1104
	v_fma_f64 v[114:115], v[114:115], v[14:15], v[116:117]
	v_fma_f64 v[14:15], v[112:113], v[14:15], -v[16:17]
	s_wait_loadcnt_dscnt 0x301
	v_mul_f64_e32 v[110:111], v[2:3], v[20:21]
	v_mul_f64_e32 v[20:21], v[4:5], v[20:21]
	s_wait_loadcnt_dscnt 0x200
	v_mul_f64_e32 v[16:17], v[6:7], v[24:25]
	v_mul_f64_e32 v[24:25], v[8:9], v[24:25]
	v_add_f64_e32 v[10:11], v[12:13], v[10:11]
	v_add_f64_e32 v[12:13], v[108:109], v[118:119]
	v_fma_f64 v[108:109], v[4:5], v[18:19], v[110:111]
	v_fma_f64 v[18:19], v[2:3], v[18:19], -v[20:21]
	v_fma_f64 v[8:9], v[8:9], v[22:23], v[16:17]
	v_fma_f64 v[6:7], v[6:7], v[22:23], -v[24:25]
	v_add_f64_e32 v[14:15], v[10:11], v[14:15]
	v_add_f64_e32 v[20:21], v[12:13], v[114:115]
	ds_load_b128 v[2:5], v1 offset:1120
	ds_load_b128 v[10:13], v1 offset:1136
	s_wait_loadcnt_dscnt 0x101
	v_mul_f64_e32 v[110:111], v[2:3], v[28:29]
	v_mul_f64_e32 v[28:29], v[4:5], v[28:29]
	v_add_f64_e32 v[14:15], v[14:15], v[18:19]
	v_add_f64_e32 v[16:17], v[20:21], v[108:109]
	s_wait_loadcnt_dscnt 0x0
	v_mul_f64_e32 v[18:19], v[10:11], v[32:33]
	v_mul_f64_e32 v[20:21], v[12:13], v[32:33]
	v_fma_f64 v[4:5], v[4:5], v[26:27], v[110:111]
	v_fma_f64 v[1:2], v[2:3], v[26:27], -v[28:29]
	v_add_f64_e32 v[6:7], v[14:15], v[6:7]
	v_add_f64_e32 v[8:9], v[16:17], v[8:9]
	v_fma_f64 v[12:13], v[12:13], v[30:31], v[18:19]
	v_fma_f64 v[10:11], v[10:11], v[30:31], -v[20:21]
	s_delay_alu instid0(VALU_DEP_4) | instskip(NEXT) | instid1(VALU_DEP_4)
	v_add_f64_e32 v[1:2], v[6:7], v[1:2]
	v_add_f64_e32 v[3:4], v[8:9], v[4:5]
	s_delay_alu instid0(VALU_DEP_2) | instskip(NEXT) | instid1(VALU_DEP_2)
	v_add_f64_e32 v[1:2], v[1:2], v[10:11]
	v_add_f64_e32 v[3:4], v[3:4], v[12:13]
	s_delay_alu instid0(VALU_DEP_2) | instskip(NEXT) | instid1(VALU_DEP_2)
	v_add_f64_e64 v[1:2], v[120:121], -v[1:2]
	v_add_f64_e64 v[3:4], v[122:123], -v[3:4]
	scratch_store_b128 off, v[1:4], off offset:128
	v_cmpx_lt_u32_e32 6, v0
	s_cbranch_execz .LBB99_217
; %bb.216:
	scratch_load_b128 v[1:4], off, s27
	v_mov_b32_e32 v5, 0
	s_delay_alu instid0(VALU_DEP_1)
	v_dual_mov_b32 v6, v5 :: v_dual_mov_b32 v7, v5
	v_mov_b32_e32 v8, v5
	scratch_store_b128 off, v[5:8], off offset:112
	s_wait_loadcnt 0x0
	ds_store_b128 v34, v[1:4]
.LBB99_217:
	s_wait_alu 0xfffe
	s_or_b32 exec_lo, exec_lo, s0
	s_wait_storecnt_dscnt 0x0
	s_barrier_signal -1
	s_barrier_wait -1
	global_inv scope:SCOPE_SE
	s_clause 0x7
	scratch_load_b128 v[2:5], off, off offset:128
	scratch_load_b128 v[6:9], off, off offset:144
	scratch_load_b128 v[10:13], off, off offset:160
	scratch_load_b128 v[14:17], off, off offset:176
	scratch_load_b128 v[18:21], off, off offset:192
	scratch_load_b128 v[22:25], off, off offset:208
	scratch_load_b128 v[26:29], off, off offset:224
	scratch_load_b128 v[30:33], off, off offset:240
	v_mov_b32_e32 v1, 0
	s_mov_b32 s0, exec_lo
	ds_load_b128 v[108:111], v1 offset:688
	s_clause 0x1
	scratch_load_b128 v[112:115], off, off offset:256
	scratch_load_b128 v[116:119], off, off offset:112
	ds_load_b128 v[120:123], v1 offset:704
	scratch_load_b128 v[124:127], off, off offset:272
	s_wait_loadcnt_dscnt 0xa01
	v_mul_f64_e32 v[128:129], v[110:111], v[4:5]
	v_mul_f64_e32 v[4:5], v[108:109], v[4:5]
	s_delay_alu instid0(VALU_DEP_2) | instskip(NEXT) | instid1(VALU_DEP_2)
	v_fma_f64 v[134:135], v[108:109], v[2:3], -v[128:129]
	v_fma_f64 v[136:137], v[110:111], v[2:3], v[4:5]
	ds_load_b128 v[2:5], v1 offset:720
	s_wait_loadcnt_dscnt 0x901
	v_mul_f64_e32 v[132:133], v[120:121], v[8:9]
	v_mul_f64_e32 v[8:9], v[122:123], v[8:9]
	scratch_load_b128 v[108:111], off, off offset:288
	ds_load_b128 v[128:131], v1 offset:736
	s_wait_loadcnt_dscnt 0x901
	v_mul_f64_e32 v[138:139], v[2:3], v[12:13]
	v_mul_f64_e32 v[12:13], v[4:5], v[12:13]
	v_fma_f64 v[122:123], v[122:123], v[6:7], v[132:133]
	v_fma_f64 v[120:121], v[120:121], v[6:7], -v[8:9]
	v_add_f64_e32 v[132:133], 0, v[134:135]
	v_add_f64_e32 v[134:135], 0, v[136:137]
	scratch_load_b128 v[6:9], off, off offset:304
	v_fma_f64 v[138:139], v[4:5], v[10:11], v[138:139]
	v_fma_f64 v[140:141], v[2:3], v[10:11], -v[12:13]
	ds_load_b128 v[2:5], v1 offset:752
	s_wait_loadcnt_dscnt 0x901
	v_mul_f64_e32 v[136:137], v[128:129], v[16:17]
	v_mul_f64_e32 v[16:17], v[130:131], v[16:17]
	scratch_load_b128 v[10:13], off, off offset:320
	v_add_f64_e32 v[132:133], v[132:133], v[120:121]
	v_add_f64_e32 v[134:135], v[134:135], v[122:123]
	s_wait_loadcnt_dscnt 0x900
	v_mul_f64_e32 v[142:143], v[2:3], v[20:21]
	v_mul_f64_e32 v[20:21], v[4:5], v[20:21]
	ds_load_b128 v[120:123], v1 offset:768
	v_fma_f64 v[130:131], v[130:131], v[14:15], v[136:137]
	v_fma_f64 v[128:129], v[128:129], v[14:15], -v[16:17]
	scratch_load_b128 v[14:17], off, off offset:336
	v_add_f64_e32 v[132:133], v[132:133], v[140:141]
	v_add_f64_e32 v[134:135], v[134:135], v[138:139]
	v_fma_f64 v[138:139], v[4:5], v[18:19], v[142:143]
	v_fma_f64 v[140:141], v[2:3], v[18:19], -v[20:21]
	ds_load_b128 v[2:5], v1 offset:784
	s_wait_loadcnt_dscnt 0x901
	v_mul_f64_e32 v[136:137], v[120:121], v[24:25]
	v_mul_f64_e32 v[24:25], v[122:123], v[24:25]
	scratch_load_b128 v[18:21], off, off offset:352
	s_wait_loadcnt_dscnt 0x900
	v_mul_f64_e32 v[142:143], v[2:3], v[28:29]
	v_mul_f64_e32 v[28:29], v[4:5], v[28:29]
	v_add_f64_e32 v[132:133], v[132:133], v[128:129]
	v_add_f64_e32 v[134:135], v[134:135], v[130:131]
	ds_load_b128 v[128:131], v1 offset:800
	v_fma_f64 v[122:123], v[122:123], v[22:23], v[136:137]
	v_fma_f64 v[120:121], v[120:121], v[22:23], -v[24:25]
	scratch_load_b128 v[22:25], off, off offset:368
	v_add_f64_e32 v[132:133], v[132:133], v[140:141]
	v_add_f64_e32 v[134:135], v[134:135], v[138:139]
	v_fma_f64 v[138:139], v[4:5], v[26:27], v[142:143]
	v_fma_f64 v[140:141], v[2:3], v[26:27], -v[28:29]
	ds_load_b128 v[2:5], v1 offset:816
	s_wait_loadcnt_dscnt 0x901
	v_mul_f64_e32 v[136:137], v[128:129], v[32:33]
	v_mul_f64_e32 v[32:33], v[130:131], v[32:33]
	scratch_load_b128 v[26:29], off, off offset:384
	s_wait_loadcnt_dscnt 0x900
	v_mul_f64_e32 v[142:143], v[2:3], v[114:115]
	v_mul_f64_e32 v[114:115], v[4:5], v[114:115]
	v_add_f64_e32 v[132:133], v[132:133], v[120:121]
	v_add_f64_e32 v[134:135], v[134:135], v[122:123]
	ds_load_b128 v[120:123], v1 offset:832
	v_fma_f64 v[130:131], v[130:131], v[30:31], v[136:137]
	v_fma_f64 v[128:129], v[128:129], v[30:31], -v[32:33]
	scratch_load_b128 v[30:33], off, off offset:400
	v_add_f64_e32 v[132:133], v[132:133], v[140:141]
	v_add_f64_e32 v[134:135], v[134:135], v[138:139]
	v_fma_f64 v[140:141], v[4:5], v[112:113], v[142:143]
	v_fma_f64 v[142:143], v[2:3], v[112:113], -v[114:115]
	ds_load_b128 v[2:5], v1 offset:848
	s_wait_loadcnt_dscnt 0x801
	v_mul_f64_e32 v[136:137], v[120:121], v[126:127]
	v_mul_f64_e32 v[138:139], v[122:123], v[126:127]
	scratch_load_b128 v[112:115], off, off offset:416
	v_add_f64_e32 v[132:133], v[132:133], v[128:129]
	v_add_f64_e32 v[130:131], v[134:135], v[130:131]
	ds_load_b128 v[126:129], v1 offset:864
	v_fma_f64 v[136:137], v[122:123], v[124:125], v[136:137]
	v_fma_f64 v[124:125], v[120:121], v[124:125], -v[138:139]
	scratch_load_b128 v[120:123], off, off offset:432
	s_wait_loadcnt_dscnt 0x901
	v_mul_f64_e32 v[134:135], v[2:3], v[110:111]
	v_mul_f64_e32 v[110:111], v[4:5], v[110:111]
	v_add_f64_e32 v[132:133], v[132:133], v[142:143]
	v_add_f64_e32 v[130:131], v[130:131], v[140:141]
	s_delay_alu instid0(VALU_DEP_4) | instskip(NEXT) | instid1(VALU_DEP_4)
	v_fma_f64 v[134:135], v[4:5], v[108:109], v[134:135]
	v_fma_f64 v[140:141], v[2:3], v[108:109], -v[110:111]
	ds_load_b128 v[2:5], v1 offset:880
	s_wait_loadcnt_dscnt 0x801
	v_mul_f64_e32 v[138:139], v[126:127], v[8:9]
	v_mul_f64_e32 v[8:9], v[128:129], v[8:9]
	scratch_load_b128 v[108:111], off, off offset:448
	s_wait_loadcnt_dscnt 0x800
	v_mul_f64_e32 v[142:143], v[2:3], v[12:13]
	v_add_f64_e32 v[124:125], v[132:133], v[124:125]
	v_add_f64_e32 v[136:137], v[130:131], v[136:137]
	v_mul_f64_e32 v[12:13], v[4:5], v[12:13]
	ds_load_b128 v[130:133], v1 offset:896
	v_fma_f64 v[128:129], v[128:129], v[6:7], v[138:139]
	v_fma_f64 v[126:127], v[126:127], v[6:7], -v[8:9]
	scratch_load_b128 v[6:9], off, off offset:464
	v_fma_f64 v[138:139], v[4:5], v[10:11], v[142:143]
	v_add_f64_e32 v[124:125], v[124:125], v[140:141]
	v_add_f64_e32 v[134:135], v[136:137], v[134:135]
	v_fma_f64 v[140:141], v[2:3], v[10:11], -v[12:13]
	ds_load_b128 v[2:5], v1 offset:912
	s_wait_loadcnt_dscnt 0x801
	v_mul_f64_e32 v[136:137], v[130:131], v[16:17]
	v_mul_f64_e32 v[16:17], v[132:133], v[16:17]
	scratch_load_b128 v[10:13], off, off offset:480
	v_add_f64_e32 v[142:143], v[124:125], v[126:127]
	v_add_f64_e32 v[128:129], v[134:135], v[128:129]
	s_wait_loadcnt_dscnt 0x800
	v_mul_f64_e32 v[134:135], v[2:3], v[20:21]
	v_mul_f64_e32 v[20:21], v[4:5], v[20:21]
	v_fma_f64 v[132:133], v[132:133], v[14:15], v[136:137]
	v_fma_f64 v[130:131], v[130:131], v[14:15], -v[16:17]
	ds_load_b128 v[124:127], v1 offset:928
	scratch_load_b128 v[14:17], off, off offset:496
	v_add_f64_e32 v[136:137], v[142:143], v[140:141]
	v_add_f64_e32 v[128:129], v[128:129], v[138:139]
	v_fma_f64 v[134:135], v[4:5], v[18:19], v[134:135]
	v_fma_f64 v[140:141], v[2:3], v[18:19], -v[20:21]
	ds_load_b128 v[2:5], v1 offset:944
	s_wait_loadcnt_dscnt 0x801
	v_mul_f64_e32 v[138:139], v[124:125], v[24:25]
	v_mul_f64_e32 v[24:25], v[126:127], v[24:25]
	scratch_load_b128 v[18:21], off, off offset:512
	s_wait_loadcnt_dscnt 0x800
	v_mul_f64_e32 v[142:143], v[2:3], v[28:29]
	v_mul_f64_e32 v[28:29], v[4:5], v[28:29]
	v_add_f64_e32 v[136:137], v[136:137], v[130:131]
	v_add_f64_e32 v[132:133], v[128:129], v[132:133]
	ds_load_b128 v[128:131], v1 offset:960
	v_fma_f64 v[126:127], v[126:127], v[22:23], v[138:139]
	v_fma_f64 v[124:125], v[124:125], v[22:23], -v[24:25]
	scratch_load_b128 v[22:25], off, off offset:528
	v_fma_f64 v[138:139], v[4:5], v[26:27], v[142:143]
	v_add_f64_e32 v[136:137], v[136:137], v[140:141]
	v_add_f64_e32 v[132:133], v[132:133], v[134:135]
	v_fma_f64 v[140:141], v[2:3], v[26:27], -v[28:29]
	ds_load_b128 v[2:5], v1 offset:976
	s_wait_loadcnt_dscnt 0x801
	v_mul_f64_e32 v[134:135], v[128:129], v[32:33]
	v_mul_f64_e32 v[32:33], v[130:131], v[32:33]
	scratch_load_b128 v[26:29], off, off offset:544
	s_wait_loadcnt_dscnt 0x800
	v_mul_f64_e32 v[142:143], v[2:3], v[114:115]
	v_mul_f64_e32 v[114:115], v[4:5], v[114:115]
	v_add_f64_e32 v[136:137], v[136:137], v[124:125]
	v_add_f64_e32 v[132:133], v[132:133], v[126:127]
	ds_load_b128 v[124:127], v1 offset:992
	v_fma_f64 v[130:131], v[130:131], v[30:31], v[134:135]
	v_fma_f64 v[128:129], v[128:129], v[30:31], -v[32:33]
	scratch_load_b128 v[30:33], off, off offset:560
	v_add_f64_e32 v[134:135], v[136:137], v[140:141]
	v_add_f64_e32 v[132:133], v[132:133], v[138:139]
	v_fma_f64 v[138:139], v[4:5], v[112:113], v[142:143]
	v_fma_f64 v[140:141], v[2:3], v[112:113], -v[114:115]
	ds_load_b128 v[2:5], v1 offset:1008
	s_wait_loadcnt_dscnt 0x801
	v_mul_f64_e32 v[136:137], v[124:125], v[122:123]
	v_mul_f64_e32 v[122:123], v[126:127], v[122:123]
	scratch_load_b128 v[112:115], off, off offset:576
	s_wait_loadcnt_dscnt 0x800
	v_mul_f64_e32 v[142:143], v[2:3], v[110:111]
	v_mul_f64_e32 v[110:111], v[4:5], v[110:111]
	v_add_f64_e32 v[134:135], v[134:135], v[128:129]
	v_add_f64_e32 v[132:133], v[132:133], v[130:131]
	ds_load_b128 v[128:131], v1 offset:1024
	v_fma_f64 v[126:127], v[126:127], v[120:121], v[136:137]
	v_fma_f64 v[120:121], v[124:125], v[120:121], -v[122:123]
	v_fma_f64 v[136:137], v[2:3], v[108:109], -v[110:111]
	v_add_f64_e32 v[122:123], v[134:135], v[140:141]
	v_add_f64_e32 v[124:125], v[132:133], v[138:139]
	s_wait_loadcnt_dscnt 0x700
	v_mul_f64_e32 v[132:133], v[128:129], v[8:9]
	v_mul_f64_e32 v[8:9], v[130:131], v[8:9]
	v_fma_f64 v[134:135], v[4:5], v[108:109], v[142:143]
	ds_load_b128 v[2:5], v1 offset:1040
	ds_load_b128 v[108:111], v1 offset:1056
	v_add_f64_e32 v[120:121], v[122:123], v[120:121]
	v_add_f64_e32 v[122:123], v[124:125], v[126:127]
	s_wait_loadcnt_dscnt 0x601
	v_mul_f64_e32 v[124:125], v[2:3], v[12:13]
	v_mul_f64_e32 v[12:13], v[4:5], v[12:13]
	v_fma_f64 v[126:127], v[130:131], v[6:7], v[132:133]
	v_fma_f64 v[6:7], v[128:129], v[6:7], -v[8:9]
	v_add_f64_e32 v[8:9], v[120:121], v[136:137]
	v_add_f64_e32 v[120:121], v[122:123], v[134:135]
	s_wait_loadcnt_dscnt 0x500
	v_mul_f64_e32 v[122:123], v[108:109], v[16:17]
	v_mul_f64_e32 v[16:17], v[110:111], v[16:17]
	v_fma_f64 v[124:125], v[4:5], v[10:11], v[124:125]
	v_fma_f64 v[10:11], v[2:3], v[10:11], -v[12:13]
	v_add_f64_e32 v[12:13], v[8:9], v[6:7]
	v_add_f64_e32 v[120:121], v[120:121], v[126:127]
	ds_load_b128 v[2:5], v1 offset:1072
	ds_load_b128 v[6:9], v1 offset:1088
	v_fma_f64 v[110:111], v[110:111], v[14:15], v[122:123]
	v_fma_f64 v[14:15], v[108:109], v[14:15], -v[16:17]
	s_wait_loadcnt_dscnt 0x401
	v_mul_f64_e32 v[126:127], v[2:3], v[20:21]
	v_mul_f64_e32 v[20:21], v[4:5], v[20:21]
	s_wait_loadcnt_dscnt 0x300
	v_mul_f64_e32 v[16:17], v[6:7], v[24:25]
	v_mul_f64_e32 v[24:25], v[8:9], v[24:25]
	v_add_f64_e32 v[10:11], v[12:13], v[10:11]
	v_add_f64_e32 v[12:13], v[120:121], v[124:125]
	v_fma_f64 v[108:109], v[4:5], v[18:19], v[126:127]
	v_fma_f64 v[18:19], v[2:3], v[18:19], -v[20:21]
	v_fma_f64 v[8:9], v[8:9], v[22:23], v[16:17]
	v_fma_f64 v[6:7], v[6:7], v[22:23], -v[24:25]
	v_add_f64_e32 v[14:15], v[10:11], v[14:15]
	v_add_f64_e32 v[20:21], v[12:13], v[110:111]
	ds_load_b128 v[2:5], v1 offset:1104
	ds_load_b128 v[10:13], v1 offset:1120
	s_wait_loadcnt_dscnt 0x201
	v_mul_f64_e32 v[110:111], v[2:3], v[28:29]
	v_mul_f64_e32 v[28:29], v[4:5], v[28:29]
	v_add_f64_e32 v[14:15], v[14:15], v[18:19]
	v_add_f64_e32 v[16:17], v[20:21], v[108:109]
	s_wait_loadcnt_dscnt 0x100
	v_mul_f64_e32 v[18:19], v[10:11], v[32:33]
	v_mul_f64_e32 v[20:21], v[12:13], v[32:33]
	v_fma_f64 v[22:23], v[4:5], v[26:27], v[110:111]
	v_fma_f64 v[24:25], v[2:3], v[26:27], -v[28:29]
	ds_load_b128 v[2:5], v1 offset:1136
	v_add_f64_e32 v[6:7], v[14:15], v[6:7]
	v_add_f64_e32 v[8:9], v[16:17], v[8:9]
	v_fma_f64 v[12:13], v[12:13], v[30:31], v[18:19]
	v_fma_f64 v[10:11], v[10:11], v[30:31], -v[20:21]
	s_wait_loadcnt_dscnt 0x0
	v_mul_f64_e32 v[14:15], v[2:3], v[114:115]
	v_mul_f64_e32 v[16:17], v[4:5], v[114:115]
	v_add_f64_e32 v[6:7], v[6:7], v[24:25]
	v_add_f64_e32 v[8:9], v[8:9], v[22:23]
	s_delay_alu instid0(VALU_DEP_4) | instskip(NEXT) | instid1(VALU_DEP_4)
	v_fma_f64 v[4:5], v[4:5], v[112:113], v[14:15]
	v_fma_f64 v[2:3], v[2:3], v[112:113], -v[16:17]
	s_delay_alu instid0(VALU_DEP_4) | instskip(NEXT) | instid1(VALU_DEP_4)
	v_add_f64_e32 v[6:7], v[6:7], v[10:11]
	v_add_f64_e32 v[8:9], v[8:9], v[12:13]
	s_delay_alu instid0(VALU_DEP_2) | instskip(NEXT) | instid1(VALU_DEP_2)
	v_add_f64_e32 v[2:3], v[6:7], v[2:3]
	v_add_f64_e32 v[4:5], v[8:9], v[4:5]
	s_delay_alu instid0(VALU_DEP_2) | instskip(NEXT) | instid1(VALU_DEP_2)
	v_add_f64_e64 v[2:3], v[116:117], -v[2:3]
	v_add_f64_e64 v[4:5], v[118:119], -v[4:5]
	scratch_store_b128 off, v[2:5], off offset:112
	v_cmpx_lt_u32_e32 5, v0
	s_cbranch_execz .LBB99_219
; %bb.218:
	scratch_load_b128 v[5:8], off, s4
	v_dual_mov_b32 v2, v1 :: v_dual_mov_b32 v3, v1
	v_mov_b32_e32 v4, v1
	scratch_store_b128 off, v[1:4], off offset:96
	s_wait_loadcnt 0x0
	ds_store_b128 v34, v[5:8]
.LBB99_219:
	s_wait_alu 0xfffe
	s_or_b32 exec_lo, exec_lo, s0
	s_wait_storecnt_dscnt 0x0
	s_barrier_signal -1
	s_barrier_wait -1
	global_inv scope:SCOPE_SE
	s_clause 0x8
	scratch_load_b128 v[2:5], off, off offset:112
	scratch_load_b128 v[6:9], off, off offset:128
	;; [unrolled: 1-line block ×9, first 2 shown]
	ds_load_b128 v[112:115], v1 offset:672
	ds_load_b128 v[116:119], v1 offset:688
	s_clause 0x1
	scratch_load_b128 v[120:123], off, off offset:96
	scratch_load_b128 v[124:127], off, off offset:256
	s_mov_b32 s0, exec_lo
	s_wait_loadcnt_dscnt 0xa01
	v_mul_f64_e32 v[128:129], v[114:115], v[4:5]
	v_mul_f64_e32 v[4:5], v[112:113], v[4:5]
	s_wait_loadcnt_dscnt 0x900
	v_mul_f64_e32 v[132:133], v[116:117], v[8:9]
	v_mul_f64_e32 v[8:9], v[118:119], v[8:9]
	s_delay_alu instid0(VALU_DEP_4) | instskip(NEXT) | instid1(VALU_DEP_4)
	v_fma_f64 v[134:135], v[112:113], v[2:3], -v[128:129]
	v_fma_f64 v[136:137], v[114:115], v[2:3], v[4:5]
	ds_load_b128 v[2:5], v1 offset:704
	ds_load_b128 v[128:131], v1 offset:720
	scratch_load_b128 v[112:115], off, off offset:272
	v_fma_f64 v[118:119], v[118:119], v[6:7], v[132:133]
	v_fma_f64 v[116:117], v[116:117], v[6:7], -v[8:9]
	scratch_load_b128 v[6:9], off, off offset:288
	s_wait_loadcnt_dscnt 0xa01
	v_mul_f64_e32 v[138:139], v[2:3], v[12:13]
	v_mul_f64_e32 v[12:13], v[4:5], v[12:13]
	v_add_f64_e32 v[132:133], 0, v[134:135]
	v_add_f64_e32 v[134:135], 0, v[136:137]
	s_wait_loadcnt_dscnt 0x900
	v_mul_f64_e32 v[136:137], v[128:129], v[16:17]
	v_mul_f64_e32 v[16:17], v[130:131], v[16:17]
	v_fma_f64 v[138:139], v[4:5], v[10:11], v[138:139]
	v_fma_f64 v[140:141], v[2:3], v[10:11], -v[12:13]
	ds_load_b128 v[2:5], v1 offset:736
	scratch_load_b128 v[10:13], off, off offset:304
	v_add_f64_e32 v[132:133], v[132:133], v[116:117]
	v_add_f64_e32 v[134:135], v[134:135], v[118:119]
	ds_load_b128 v[116:119], v1 offset:752
	v_fma_f64 v[130:131], v[130:131], v[14:15], v[136:137]
	v_fma_f64 v[128:129], v[128:129], v[14:15], -v[16:17]
	scratch_load_b128 v[14:17], off, off offset:320
	s_wait_loadcnt_dscnt 0xa01
	v_mul_f64_e32 v[142:143], v[2:3], v[20:21]
	v_mul_f64_e32 v[20:21], v[4:5], v[20:21]
	s_wait_loadcnt_dscnt 0x900
	v_mul_f64_e32 v[136:137], v[116:117], v[24:25]
	v_mul_f64_e32 v[24:25], v[118:119], v[24:25]
	v_add_f64_e32 v[132:133], v[132:133], v[140:141]
	v_add_f64_e32 v[134:135], v[134:135], v[138:139]
	v_fma_f64 v[138:139], v[4:5], v[18:19], v[142:143]
	v_fma_f64 v[140:141], v[2:3], v[18:19], -v[20:21]
	ds_load_b128 v[2:5], v1 offset:768
	scratch_load_b128 v[18:21], off, off offset:336
	v_fma_f64 v[118:119], v[118:119], v[22:23], v[136:137]
	v_fma_f64 v[116:117], v[116:117], v[22:23], -v[24:25]
	scratch_load_b128 v[22:25], off, off offset:352
	v_add_f64_e32 v[132:133], v[132:133], v[128:129]
	v_add_f64_e32 v[134:135], v[134:135], v[130:131]
	ds_load_b128 v[128:131], v1 offset:784
	s_wait_loadcnt_dscnt 0xa01
	v_mul_f64_e32 v[142:143], v[2:3], v[28:29]
	v_mul_f64_e32 v[28:29], v[4:5], v[28:29]
	s_wait_loadcnt_dscnt 0x900
	v_mul_f64_e32 v[136:137], v[128:129], v[32:33]
	v_mul_f64_e32 v[32:33], v[130:131], v[32:33]
	v_add_f64_e32 v[132:133], v[132:133], v[140:141]
	v_add_f64_e32 v[134:135], v[134:135], v[138:139]
	v_fma_f64 v[138:139], v[4:5], v[26:27], v[142:143]
	v_fma_f64 v[140:141], v[2:3], v[26:27], -v[28:29]
	ds_load_b128 v[2:5], v1 offset:800
	scratch_load_b128 v[26:29], off, off offset:368
	v_fma_f64 v[130:131], v[130:131], v[30:31], v[136:137]
	v_fma_f64 v[128:129], v[128:129], v[30:31], -v[32:33]
	scratch_load_b128 v[30:33], off, off offset:384
	v_add_f64_e32 v[132:133], v[132:133], v[116:117]
	v_add_f64_e32 v[134:135], v[134:135], v[118:119]
	ds_load_b128 v[116:119], v1 offset:816
	s_wait_loadcnt_dscnt 0xa01
	v_mul_f64_e32 v[142:143], v[2:3], v[110:111]
	v_mul_f64_e32 v[110:111], v[4:5], v[110:111]
	s_wait_loadcnt_dscnt 0x800
	v_mul_f64_e32 v[136:137], v[116:117], v[126:127]
	v_add_f64_e32 v[132:133], v[132:133], v[140:141]
	v_add_f64_e32 v[134:135], v[134:135], v[138:139]
	v_mul_f64_e32 v[138:139], v[118:119], v[126:127]
	v_fma_f64 v[140:141], v[4:5], v[108:109], v[142:143]
	v_fma_f64 v[142:143], v[2:3], v[108:109], -v[110:111]
	ds_load_b128 v[2:5], v1 offset:832
	scratch_load_b128 v[108:111], off, off offset:400
	v_fma_f64 v[118:119], v[118:119], v[124:125], v[136:137]
	v_add_f64_e32 v[132:133], v[132:133], v[128:129]
	v_add_f64_e32 v[130:131], v[134:135], v[130:131]
	ds_load_b128 v[126:129], v1 offset:848
	v_fma_f64 v[124:125], v[116:117], v[124:125], -v[138:139]
	s_wait_loadcnt_dscnt 0x801
	v_mul_f64_e32 v[134:135], v[2:3], v[114:115]
	v_mul_f64_e32 v[144:145], v[4:5], v[114:115]
	scratch_load_b128 v[114:117], off, off offset:416
	s_wait_loadcnt_dscnt 0x800
	v_mul_f64_e32 v[138:139], v[126:127], v[8:9]
	v_mul_f64_e32 v[8:9], v[128:129], v[8:9]
	v_add_f64_e32 v[132:133], v[132:133], v[142:143]
	v_add_f64_e32 v[130:131], v[130:131], v[140:141]
	v_fma_f64 v[140:141], v[4:5], v[112:113], v[134:135]
	v_fma_f64 v[112:113], v[2:3], v[112:113], -v[144:145]
	ds_load_b128 v[2:5], v1 offset:864
	ds_load_b128 v[134:137], v1 offset:880
	v_fma_f64 v[128:129], v[128:129], v[6:7], v[138:139]
	v_fma_f64 v[126:127], v[126:127], v[6:7], -v[8:9]
	scratch_load_b128 v[6:9], off, off offset:448
	v_add_f64_e32 v[124:125], v[132:133], v[124:125]
	v_add_f64_e32 v[118:119], v[130:131], v[118:119]
	scratch_load_b128 v[130:133], off, off offset:432
	s_wait_loadcnt_dscnt 0x901
	v_mul_f64_e32 v[142:143], v[2:3], v[12:13]
	v_mul_f64_e32 v[12:13], v[4:5], v[12:13]
	s_wait_loadcnt_dscnt 0x800
	v_mul_f64_e32 v[138:139], v[134:135], v[16:17]
	v_mul_f64_e32 v[16:17], v[136:137], v[16:17]
	v_add_f64_e32 v[112:113], v[124:125], v[112:113]
	v_add_f64_e32 v[118:119], v[118:119], v[140:141]
	v_fma_f64 v[140:141], v[4:5], v[10:11], v[142:143]
	v_fma_f64 v[142:143], v[2:3], v[10:11], -v[12:13]
	ds_load_b128 v[2:5], v1 offset:896
	scratch_load_b128 v[10:13], off, off offset:464
	v_fma_f64 v[136:137], v[136:137], v[14:15], v[138:139]
	v_fma_f64 v[134:135], v[134:135], v[14:15], -v[16:17]
	scratch_load_b128 v[14:17], off, off offset:480
	v_add_f64_e32 v[112:113], v[112:113], v[126:127]
	v_add_f64_e32 v[118:119], v[118:119], v[128:129]
	ds_load_b128 v[124:127], v1 offset:912
	s_wait_loadcnt_dscnt 0x901
	v_mul_f64_e32 v[128:129], v[2:3], v[20:21]
	v_mul_f64_e32 v[20:21], v[4:5], v[20:21]
	s_wait_loadcnt_dscnt 0x800
	v_mul_f64_e32 v[138:139], v[124:125], v[24:25]
	v_mul_f64_e32 v[24:25], v[126:127], v[24:25]
	v_add_f64_e32 v[112:113], v[112:113], v[142:143]
	v_add_f64_e32 v[118:119], v[118:119], v[140:141]
	v_fma_f64 v[128:129], v[4:5], v[18:19], v[128:129]
	v_fma_f64 v[140:141], v[2:3], v[18:19], -v[20:21]
	ds_load_b128 v[2:5], v1 offset:928
	scratch_load_b128 v[18:21], off, off offset:496
	v_fma_f64 v[126:127], v[126:127], v[22:23], v[138:139]
	v_fma_f64 v[124:125], v[124:125], v[22:23], -v[24:25]
	scratch_load_b128 v[22:25], off, off offset:512
	v_add_f64_e32 v[112:113], v[112:113], v[134:135]
	v_add_f64_e32 v[118:119], v[118:119], v[136:137]
	ds_load_b128 v[134:137], v1 offset:944
	s_wait_loadcnt_dscnt 0x901
	v_mul_f64_e32 v[142:143], v[2:3], v[28:29]
	v_mul_f64_e32 v[28:29], v[4:5], v[28:29]
	v_add_f64_e32 v[112:113], v[112:113], v[140:141]
	v_add_f64_e32 v[118:119], v[118:119], v[128:129]
	s_wait_loadcnt_dscnt 0x800
	v_mul_f64_e32 v[128:129], v[134:135], v[32:33]
	v_mul_f64_e32 v[32:33], v[136:137], v[32:33]
	v_fma_f64 v[138:139], v[4:5], v[26:27], v[142:143]
	v_fma_f64 v[140:141], v[2:3], v[26:27], -v[28:29]
	ds_load_b128 v[2:5], v1 offset:960
	scratch_load_b128 v[26:29], off, off offset:528
	v_add_f64_e32 v[112:113], v[112:113], v[124:125]
	v_add_f64_e32 v[118:119], v[118:119], v[126:127]
	ds_load_b128 v[124:127], v1 offset:976
	s_wait_loadcnt_dscnt 0x801
	v_mul_f64_e32 v[142:143], v[2:3], v[110:111]
	v_mul_f64_e32 v[110:111], v[4:5], v[110:111]
	v_fma_f64 v[128:129], v[136:137], v[30:31], v[128:129]
	v_fma_f64 v[134:135], v[134:135], v[30:31], -v[32:33]
	scratch_load_b128 v[30:33], off, off offset:544
	s_wait_loadcnt_dscnt 0x800
	v_mul_f64_e32 v[136:137], v[124:125], v[116:117]
	v_add_f64_e32 v[112:113], v[112:113], v[140:141]
	v_add_f64_e32 v[118:119], v[118:119], v[138:139]
	v_mul_f64_e32 v[138:139], v[126:127], v[116:117]
	v_fma_f64 v[140:141], v[4:5], v[108:109], v[142:143]
	v_fma_f64 v[142:143], v[2:3], v[108:109], -v[110:111]
	ds_load_b128 v[2:5], v1 offset:992
	scratch_load_b128 v[108:111], off, off offset:560
	v_fma_f64 v[126:127], v[126:127], v[114:115], v[136:137]
	v_add_f64_e32 v[112:113], v[112:113], v[134:135]
	v_add_f64_e32 v[128:129], v[118:119], v[128:129]
	ds_load_b128 v[116:119], v1 offset:1008
	v_fma_f64 v[124:125], v[124:125], v[114:115], -v[138:139]
	s_wait_loadcnt_dscnt 0x701
	v_mul_f64_e32 v[134:135], v[2:3], v[132:133]
	v_mul_f64_e32 v[132:133], v[4:5], v[132:133]
	s_wait_dscnt 0x0
	v_mul_f64_e32 v[138:139], v[116:117], v[8:9]
	v_mul_f64_e32 v[8:9], v[118:119], v[8:9]
	v_add_f64_e32 v[136:137], v[112:113], v[142:143]
	v_add_f64_e32 v[128:129], v[128:129], v[140:141]
	scratch_load_b128 v[112:115], off, off offset:576
	v_fma_f64 v[134:135], v[4:5], v[130:131], v[134:135]
	v_fma_f64 v[130:131], v[2:3], v[130:131], -v[132:133]
	v_fma_f64 v[118:119], v[118:119], v[6:7], v[138:139]
	v_fma_f64 v[6:7], v[116:117], v[6:7], -v[8:9]
	v_add_f64_e32 v[132:133], v[136:137], v[124:125]
	v_add_f64_e32 v[128:129], v[128:129], v[126:127]
	ds_load_b128 v[2:5], v1 offset:1024
	ds_load_b128 v[124:127], v1 offset:1040
	s_wait_loadcnt_dscnt 0x701
	v_mul_f64_e32 v[136:137], v[2:3], v[12:13]
	v_mul_f64_e32 v[12:13], v[4:5], v[12:13]
	v_add_f64_e32 v[8:9], v[132:133], v[130:131]
	v_add_f64_e32 v[116:117], v[128:129], v[134:135]
	s_wait_loadcnt_dscnt 0x600
	v_mul_f64_e32 v[128:129], v[124:125], v[16:17]
	v_mul_f64_e32 v[16:17], v[126:127], v[16:17]
	v_fma_f64 v[130:131], v[4:5], v[10:11], v[136:137]
	v_fma_f64 v[10:11], v[2:3], v[10:11], -v[12:13]
	v_add_f64_e32 v[12:13], v[8:9], v[6:7]
	v_add_f64_e32 v[116:117], v[116:117], v[118:119]
	ds_load_b128 v[2:5], v1 offset:1056
	ds_load_b128 v[6:9], v1 offset:1072
	v_fma_f64 v[126:127], v[126:127], v[14:15], v[128:129]
	v_fma_f64 v[14:15], v[124:125], v[14:15], -v[16:17]
	s_wait_loadcnt_dscnt 0x501
	v_mul_f64_e32 v[118:119], v[2:3], v[20:21]
	v_mul_f64_e32 v[20:21], v[4:5], v[20:21]
	s_wait_loadcnt_dscnt 0x400
	v_mul_f64_e32 v[16:17], v[6:7], v[24:25]
	v_mul_f64_e32 v[24:25], v[8:9], v[24:25]
	v_add_f64_e32 v[10:11], v[12:13], v[10:11]
	v_add_f64_e32 v[12:13], v[116:117], v[130:131]
	v_fma_f64 v[116:117], v[4:5], v[18:19], v[118:119]
	v_fma_f64 v[18:19], v[2:3], v[18:19], -v[20:21]
	v_fma_f64 v[8:9], v[8:9], v[22:23], v[16:17]
	v_fma_f64 v[6:7], v[6:7], v[22:23], -v[24:25]
	v_add_f64_e32 v[14:15], v[10:11], v[14:15]
	v_add_f64_e32 v[20:21], v[12:13], v[126:127]
	ds_load_b128 v[2:5], v1 offset:1088
	ds_load_b128 v[10:13], v1 offset:1104
	s_wait_loadcnt_dscnt 0x301
	v_mul_f64_e32 v[118:119], v[2:3], v[28:29]
	v_mul_f64_e32 v[28:29], v[4:5], v[28:29]
	v_add_f64_e32 v[14:15], v[14:15], v[18:19]
	v_add_f64_e32 v[16:17], v[20:21], v[116:117]
	s_wait_loadcnt_dscnt 0x200
	v_mul_f64_e32 v[18:19], v[10:11], v[32:33]
	v_mul_f64_e32 v[20:21], v[12:13], v[32:33]
	v_fma_f64 v[22:23], v[4:5], v[26:27], v[118:119]
	v_fma_f64 v[24:25], v[2:3], v[26:27], -v[28:29]
	v_add_f64_e32 v[14:15], v[14:15], v[6:7]
	v_add_f64_e32 v[16:17], v[16:17], v[8:9]
	ds_load_b128 v[2:5], v1 offset:1120
	ds_load_b128 v[6:9], v1 offset:1136
	v_fma_f64 v[12:13], v[12:13], v[30:31], v[18:19]
	v_fma_f64 v[10:11], v[10:11], v[30:31], -v[20:21]
	s_wait_loadcnt_dscnt 0x101
	v_mul_f64_e32 v[26:27], v[2:3], v[110:111]
	v_mul_f64_e32 v[28:29], v[4:5], v[110:111]
	v_add_f64_e32 v[14:15], v[14:15], v[24:25]
	v_add_f64_e32 v[16:17], v[16:17], v[22:23]
	s_wait_loadcnt_dscnt 0x0
	v_mul_f64_e32 v[18:19], v[6:7], v[114:115]
	v_mul_f64_e32 v[20:21], v[8:9], v[114:115]
	v_fma_f64 v[4:5], v[4:5], v[108:109], v[26:27]
	v_fma_f64 v[1:2], v[2:3], v[108:109], -v[28:29]
	v_add_f64_e32 v[10:11], v[14:15], v[10:11]
	v_add_f64_e32 v[12:13], v[16:17], v[12:13]
	v_fma_f64 v[8:9], v[8:9], v[112:113], v[18:19]
	v_fma_f64 v[6:7], v[6:7], v[112:113], -v[20:21]
	s_delay_alu instid0(VALU_DEP_4) | instskip(NEXT) | instid1(VALU_DEP_4)
	v_add_f64_e32 v[1:2], v[10:11], v[1:2]
	v_add_f64_e32 v[3:4], v[12:13], v[4:5]
	s_delay_alu instid0(VALU_DEP_2) | instskip(NEXT) | instid1(VALU_DEP_2)
	v_add_f64_e32 v[1:2], v[1:2], v[6:7]
	v_add_f64_e32 v[3:4], v[3:4], v[8:9]
	s_delay_alu instid0(VALU_DEP_2) | instskip(NEXT) | instid1(VALU_DEP_2)
	v_add_f64_e64 v[1:2], v[120:121], -v[1:2]
	v_add_f64_e64 v[3:4], v[122:123], -v[3:4]
	scratch_store_b128 off, v[1:4], off offset:96
	v_cmpx_lt_u32_e32 4, v0
	s_cbranch_execz .LBB99_221
; %bb.220:
	scratch_load_b128 v[1:4], off, s26
	v_mov_b32_e32 v5, 0
	s_delay_alu instid0(VALU_DEP_1)
	v_dual_mov_b32 v6, v5 :: v_dual_mov_b32 v7, v5
	v_mov_b32_e32 v8, v5
	scratch_store_b128 off, v[5:8], off offset:80
	s_wait_loadcnt 0x0
	ds_store_b128 v34, v[1:4]
.LBB99_221:
	s_wait_alu 0xfffe
	s_or_b32 exec_lo, exec_lo, s0
	s_wait_storecnt_dscnt 0x0
	s_barrier_signal -1
	s_barrier_wait -1
	global_inv scope:SCOPE_SE
	s_clause 0x7
	scratch_load_b128 v[2:5], off, off offset:96
	scratch_load_b128 v[6:9], off, off offset:112
	;; [unrolled: 1-line block ×8, first 2 shown]
	v_mov_b32_e32 v1, 0
	s_mov_b32 s0, exec_lo
	ds_load_b128 v[108:111], v1 offset:656
	s_clause 0x1
	scratch_load_b128 v[112:115], off, off offset:224
	scratch_load_b128 v[116:119], off, off offset:80
	ds_load_b128 v[120:123], v1 offset:672
	scratch_load_b128 v[124:127], off, off offset:240
	s_wait_loadcnt_dscnt 0xa01
	v_mul_f64_e32 v[128:129], v[110:111], v[4:5]
	v_mul_f64_e32 v[4:5], v[108:109], v[4:5]
	s_delay_alu instid0(VALU_DEP_2) | instskip(NEXT) | instid1(VALU_DEP_2)
	v_fma_f64 v[134:135], v[108:109], v[2:3], -v[128:129]
	v_fma_f64 v[136:137], v[110:111], v[2:3], v[4:5]
	ds_load_b128 v[2:5], v1 offset:688
	s_wait_loadcnt_dscnt 0x901
	v_mul_f64_e32 v[132:133], v[120:121], v[8:9]
	v_mul_f64_e32 v[8:9], v[122:123], v[8:9]
	scratch_load_b128 v[108:111], off, off offset:256
	ds_load_b128 v[128:131], v1 offset:704
	s_wait_loadcnt_dscnt 0x901
	v_mul_f64_e32 v[138:139], v[2:3], v[12:13]
	v_mul_f64_e32 v[12:13], v[4:5], v[12:13]
	v_fma_f64 v[122:123], v[122:123], v[6:7], v[132:133]
	v_fma_f64 v[120:121], v[120:121], v[6:7], -v[8:9]
	v_add_f64_e32 v[132:133], 0, v[134:135]
	v_add_f64_e32 v[134:135], 0, v[136:137]
	scratch_load_b128 v[6:9], off, off offset:272
	v_fma_f64 v[138:139], v[4:5], v[10:11], v[138:139]
	v_fma_f64 v[140:141], v[2:3], v[10:11], -v[12:13]
	ds_load_b128 v[2:5], v1 offset:720
	s_wait_loadcnt_dscnt 0x901
	v_mul_f64_e32 v[136:137], v[128:129], v[16:17]
	v_mul_f64_e32 v[16:17], v[130:131], v[16:17]
	scratch_load_b128 v[10:13], off, off offset:288
	v_add_f64_e32 v[132:133], v[132:133], v[120:121]
	v_add_f64_e32 v[134:135], v[134:135], v[122:123]
	s_wait_loadcnt_dscnt 0x900
	v_mul_f64_e32 v[142:143], v[2:3], v[20:21]
	v_mul_f64_e32 v[20:21], v[4:5], v[20:21]
	ds_load_b128 v[120:123], v1 offset:736
	v_fma_f64 v[130:131], v[130:131], v[14:15], v[136:137]
	v_fma_f64 v[128:129], v[128:129], v[14:15], -v[16:17]
	scratch_load_b128 v[14:17], off, off offset:304
	v_add_f64_e32 v[132:133], v[132:133], v[140:141]
	v_add_f64_e32 v[134:135], v[134:135], v[138:139]
	v_fma_f64 v[138:139], v[4:5], v[18:19], v[142:143]
	v_fma_f64 v[140:141], v[2:3], v[18:19], -v[20:21]
	ds_load_b128 v[2:5], v1 offset:752
	s_wait_loadcnt_dscnt 0x901
	v_mul_f64_e32 v[136:137], v[120:121], v[24:25]
	v_mul_f64_e32 v[24:25], v[122:123], v[24:25]
	scratch_load_b128 v[18:21], off, off offset:320
	s_wait_loadcnt_dscnt 0x900
	v_mul_f64_e32 v[142:143], v[2:3], v[28:29]
	v_mul_f64_e32 v[28:29], v[4:5], v[28:29]
	v_add_f64_e32 v[132:133], v[132:133], v[128:129]
	v_add_f64_e32 v[134:135], v[134:135], v[130:131]
	ds_load_b128 v[128:131], v1 offset:768
	v_fma_f64 v[122:123], v[122:123], v[22:23], v[136:137]
	v_fma_f64 v[120:121], v[120:121], v[22:23], -v[24:25]
	scratch_load_b128 v[22:25], off, off offset:336
	v_add_f64_e32 v[132:133], v[132:133], v[140:141]
	v_add_f64_e32 v[134:135], v[134:135], v[138:139]
	v_fma_f64 v[138:139], v[4:5], v[26:27], v[142:143]
	v_fma_f64 v[140:141], v[2:3], v[26:27], -v[28:29]
	ds_load_b128 v[2:5], v1 offset:784
	s_wait_loadcnt_dscnt 0x901
	v_mul_f64_e32 v[136:137], v[128:129], v[32:33]
	v_mul_f64_e32 v[32:33], v[130:131], v[32:33]
	scratch_load_b128 v[26:29], off, off offset:352
	s_wait_loadcnt_dscnt 0x900
	v_mul_f64_e32 v[142:143], v[2:3], v[114:115]
	v_mul_f64_e32 v[114:115], v[4:5], v[114:115]
	v_add_f64_e32 v[132:133], v[132:133], v[120:121]
	v_add_f64_e32 v[134:135], v[134:135], v[122:123]
	ds_load_b128 v[120:123], v1 offset:800
	v_fma_f64 v[130:131], v[130:131], v[30:31], v[136:137]
	v_fma_f64 v[128:129], v[128:129], v[30:31], -v[32:33]
	scratch_load_b128 v[30:33], off, off offset:368
	v_add_f64_e32 v[132:133], v[132:133], v[140:141]
	v_add_f64_e32 v[134:135], v[134:135], v[138:139]
	v_fma_f64 v[140:141], v[4:5], v[112:113], v[142:143]
	v_fma_f64 v[142:143], v[2:3], v[112:113], -v[114:115]
	ds_load_b128 v[2:5], v1 offset:816
	s_wait_loadcnt_dscnt 0x801
	v_mul_f64_e32 v[136:137], v[120:121], v[126:127]
	v_mul_f64_e32 v[138:139], v[122:123], v[126:127]
	scratch_load_b128 v[112:115], off, off offset:384
	v_add_f64_e32 v[132:133], v[132:133], v[128:129]
	v_add_f64_e32 v[130:131], v[134:135], v[130:131]
	ds_load_b128 v[126:129], v1 offset:832
	v_fma_f64 v[136:137], v[122:123], v[124:125], v[136:137]
	v_fma_f64 v[124:125], v[120:121], v[124:125], -v[138:139]
	scratch_load_b128 v[120:123], off, off offset:400
	s_wait_loadcnt_dscnt 0x901
	v_mul_f64_e32 v[134:135], v[2:3], v[110:111]
	v_mul_f64_e32 v[110:111], v[4:5], v[110:111]
	v_add_f64_e32 v[132:133], v[132:133], v[142:143]
	v_add_f64_e32 v[130:131], v[130:131], v[140:141]
	s_delay_alu instid0(VALU_DEP_4) | instskip(NEXT) | instid1(VALU_DEP_4)
	v_fma_f64 v[134:135], v[4:5], v[108:109], v[134:135]
	v_fma_f64 v[140:141], v[2:3], v[108:109], -v[110:111]
	ds_load_b128 v[2:5], v1 offset:848
	s_wait_loadcnt_dscnt 0x801
	v_mul_f64_e32 v[138:139], v[126:127], v[8:9]
	v_mul_f64_e32 v[8:9], v[128:129], v[8:9]
	scratch_load_b128 v[108:111], off, off offset:416
	s_wait_loadcnt_dscnt 0x800
	v_mul_f64_e32 v[142:143], v[2:3], v[12:13]
	v_add_f64_e32 v[124:125], v[132:133], v[124:125]
	v_add_f64_e32 v[136:137], v[130:131], v[136:137]
	v_mul_f64_e32 v[12:13], v[4:5], v[12:13]
	ds_load_b128 v[130:133], v1 offset:864
	v_fma_f64 v[128:129], v[128:129], v[6:7], v[138:139]
	v_fma_f64 v[126:127], v[126:127], v[6:7], -v[8:9]
	scratch_load_b128 v[6:9], off, off offset:432
	v_fma_f64 v[138:139], v[4:5], v[10:11], v[142:143]
	v_add_f64_e32 v[124:125], v[124:125], v[140:141]
	v_add_f64_e32 v[134:135], v[136:137], v[134:135]
	v_fma_f64 v[140:141], v[2:3], v[10:11], -v[12:13]
	ds_load_b128 v[2:5], v1 offset:880
	s_wait_loadcnt_dscnt 0x801
	v_mul_f64_e32 v[136:137], v[130:131], v[16:17]
	v_mul_f64_e32 v[16:17], v[132:133], v[16:17]
	scratch_load_b128 v[10:13], off, off offset:448
	v_add_f64_e32 v[142:143], v[124:125], v[126:127]
	v_add_f64_e32 v[128:129], v[134:135], v[128:129]
	s_wait_loadcnt_dscnt 0x800
	v_mul_f64_e32 v[134:135], v[2:3], v[20:21]
	v_mul_f64_e32 v[20:21], v[4:5], v[20:21]
	v_fma_f64 v[132:133], v[132:133], v[14:15], v[136:137]
	v_fma_f64 v[130:131], v[130:131], v[14:15], -v[16:17]
	ds_load_b128 v[124:127], v1 offset:896
	scratch_load_b128 v[14:17], off, off offset:464
	v_add_f64_e32 v[136:137], v[142:143], v[140:141]
	v_add_f64_e32 v[128:129], v[128:129], v[138:139]
	v_fma_f64 v[134:135], v[4:5], v[18:19], v[134:135]
	v_fma_f64 v[140:141], v[2:3], v[18:19], -v[20:21]
	ds_load_b128 v[2:5], v1 offset:912
	s_wait_loadcnt_dscnt 0x801
	v_mul_f64_e32 v[138:139], v[124:125], v[24:25]
	v_mul_f64_e32 v[24:25], v[126:127], v[24:25]
	scratch_load_b128 v[18:21], off, off offset:480
	s_wait_loadcnt_dscnt 0x800
	v_mul_f64_e32 v[142:143], v[2:3], v[28:29]
	v_mul_f64_e32 v[28:29], v[4:5], v[28:29]
	v_add_f64_e32 v[136:137], v[136:137], v[130:131]
	v_add_f64_e32 v[132:133], v[128:129], v[132:133]
	ds_load_b128 v[128:131], v1 offset:928
	v_fma_f64 v[126:127], v[126:127], v[22:23], v[138:139]
	v_fma_f64 v[124:125], v[124:125], v[22:23], -v[24:25]
	scratch_load_b128 v[22:25], off, off offset:496
	v_fma_f64 v[138:139], v[4:5], v[26:27], v[142:143]
	v_add_f64_e32 v[136:137], v[136:137], v[140:141]
	v_add_f64_e32 v[132:133], v[132:133], v[134:135]
	v_fma_f64 v[140:141], v[2:3], v[26:27], -v[28:29]
	ds_load_b128 v[2:5], v1 offset:944
	s_wait_loadcnt_dscnt 0x801
	v_mul_f64_e32 v[134:135], v[128:129], v[32:33]
	v_mul_f64_e32 v[32:33], v[130:131], v[32:33]
	scratch_load_b128 v[26:29], off, off offset:512
	s_wait_loadcnt_dscnt 0x800
	v_mul_f64_e32 v[142:143], v[2:3], v[114:115]
	v_mul_f64_e32 v[114:115], v[4:5], v[114:115]
	v_add_f64_e32 v[136:137], v[136:137], v[124:125]
	v_add_f64_e32 v[132:133], v[132:133], v[126:127]
	ds_load_b128 v[124:127], v1 offset:960
	v_fma_f64 v[130:131], v[130:131], v[30:31], v[134:135]
	v_fma_f64 v[128:129], v[128:129], v[30:31], -v[32:33]
	scratch_load_b128 v[30:33], off, off offset:528
	v_add_f64_e32 v[134:135], v[136:137], v[140:141]
	v_add_f64_e32 v[132:133], v[132:133], v[138:139]
	v_fma_f64 v[138:139], v[4:5], v[112:113], v[142:143]
	v_fma_f64 v[140:141], v[2:3], v[112:113], -v[114:115]
	ds_load_b128 v[2:5], v1 offset:976
	s_wait_loadcnt_dscnt 0x801
	v_mul_f64_e32 v[136:137], v[124:125], v[122:123]
	v_mul_f64_e32 v[122:123], v[126:127], v[122:123]
	scratch_load_b128 v[112:115], off, off offset:544
	s_wait_loadcnt_dscnt 0x800
	v_mul_f64_e32 v[142:143], v[2:3], v[110:111]
	v_mul_f64_e32 v[110:111], v[4:5], v[110:111]
	v_add_f64_e32 v[134:135], v[134:135], v[128:129]
	v_add_f64_e32 v[132:133], v[132:133], v[130:131]
	ds_load_b128 v[128:131], v1 offset:992
	v_fma_f64 v[126:127], v[126:127], v[120:121], v[136:137]
	v_fma_f64 v[124:125], v[124:125], v[120:121], -v[122:123]
	scratch_load_b128 v[120:123], off, off offset:560
	v_add_f64_e32 v[134:135], v[134:135], v[140:141]
	v_add_f64_e32 v[132:133], v[132:133], v[138:139]
	v_fma_f64 v[138:139], v[4:5], v[108:109], v[142:143]
	v_fma_f64 v[140:141], v[2:3], v[108:109], -v[110:111]
	ds_load_b128 v[2:5], v1 offset:1008
	s_wait_loadcnt_dscnt 0x801
	v_mul_f64_e32 v[136:137], v[128:129], v[8:9]
	v_mul_f64_e32 v[8:9], v[130:131], v[8:9]
	scratch_load_b128 v[108:111], off, off offset:576
	s_wait_loadcnt_dscnt 0x800
	v_mul_f64_e32 v[142:143], v[2:3], v[12:13]
	v_mul_f64_e32 v[12:13], v[4:5], v[12:13]
	v_add_f64_e32 v[134:135], v[134:135], v[124:125]
	v_add_f64_e32 v[132:133], v[132:133], v[126:127]
	ds_load_b128 v[124:127], v1 offset:1024
	v_fma_f64 v[130:131], v[130:131], v[6:7], v[136:137]
	v_fma_f64 v[6:7], v[128:129], v[6:7], -v[8:9]
	v_add_f64_e32 v[8:9], v[134:135], v[140:141]
	v_add_f64_e32 v[128:129], v[132:133], v[138:139]
	s_wait_loadcnt_dscnt 0x700
	v_mul_f64_e32 v[132:133], v[124:125], v[16:17]
	v_mul_f64_e32 v[16:17], v[126:127], v[16:17]
	v_fma_f64 v[134:135], v[4:5], v[10:11], v[142:143]
	v_fma_f64 v[10:11], v[2:3], v[10:11], -v[12:13]
	v_add_f64_e32 v[12:13], v[8:9], v[6:7]
	v_add_f64_e32 v[128:129], v[128:129], v[130:131]
	ds_load_b128 v[2:5], v1 offset:1040
	ds_load_b128 v[6:9], v1 offset:1056
	v_fma_f64 v[126:127], v[126:127], v[14:15], v[132:133]
	v_fma_f64 v[14:15], v[124:125], v[14:15], -v[16:17]
	s_wait_loadcnt_dscnt 0x601
	v_mul_f64_e32 v[130:131], v[2:3], v[20:21]
	v_mul_f64_e32 v[20:21], v[4:5], v[20:21]
	s_wait_loadcnt_dscnt 0x500
	v_mul_f64_e32 v[16:17], v[6:7], v[24:25]
	v_mul_f64_e32 v[24:25], v[8:9], v[24:25]
	v_add_f64_e32 v[10:11], v[12:13], v[10:11]
	v_add_f64_e32 v[12:13], v[128:129], v[134:135]
	v_fma_f64 v[124:125], v[4:5], v[18:19], v[130:131]
	v_fma_f64 v[18:19], v[2:3], v[18:19], -v[20:21]
	v_fma_f64 v[8:9], v[8:9], v[22:23], v[16:17]
	v_fma_f64 v[6:7], v[6:7], v[22:23], -v[24:25]
	v_add_f64_e32 v[14:15], v[10:11], v[14:15]
	v_add_f64_e32 v[20:21], v[12:13], v[126:127]
	ds_load_b128 v[2:5], v1 offset:1072
	ds_load_b128 v[10:13], v1 offset:1088
	s_wait_loadcnt_dscnt 0x401
	v_mul_f64_e32 v[126:127], v[2:3], v[28:29]
	v_mul_f64_e32 v[28:29], v[4:5], v[28:29]
	v_add_f64_e32 v[14:15], v[14:15], v[18:19]
	v_add_f64_e32 v[16:17], v[20:21], v[124:125]
	s_wait_loadcnt_dscnt 0x300
	v_mul_f64_e32 v[18:19], v[10:11], v[32:33]
	v_mul_f64_e32 v[20:21], v[12:13], v[32:33]
	v_fma_f64 v[22:23], v[4:5], v[26:27], v[126:127]
	v_fma_f64 v[24:25], v[2:3], v[26:27], -v[28:29]
	v_add_f64_e32 v[14:15], v[14:15], v[6:7]
	v_add_f64_e32 v[16:17], v[16:17], v[8:9]
	ds_load_b128 v[2:5], v1 offset:1104
	ds_load_b128 v[6:9], v1 offset:1120
	v_fma_f64 v[12:13], v[12:13], v[30:31], v[18:19]
	v_fma_f64 v[10:11], v[10:11], v[30:31], -v[20:21]
	s_wait_loadcnt_dscnt 0x201
	v_mul_f64_e32 v[26:27], v[2:3], v[114:115]
	v_mul_f64_e32 v[28:29], v[4:5], v[114:115]
	s_wait_loadcnt_dscnt 0x100
	v_mul_f64_e32 v[18:19], v[6:7], v[122:123]
	v_mul_f64_e32 v[20:21], v[8:9], v[122:123]
	v_add_f64_e32 v[14:15], v[14:15], v[24:25]
	v_add_f64_e32 v[16:17], v[16:17], v[22:23]
	v_fma_f64 v[22:23], v[4:5], v[112:113], v[26:27]
	v_fma_f64 v[24:25], v[2:3], v[112:113], -v[28:29]
	ds_load_b128 v[2:5], v1 offset:1136
	v_fma_f64 v[8:9], v[8:9], v[120:121], v[18:19]
	v_fma_f64 v[6:7], v[6:7], v[120:121], -v[20:21]
	v_add_f64_e32 v[10:11], v[14:15], v[10:11]
	v_add_f64_e32 v[12:13], v[16:17], v[12:13]
	s_wait_loadcnt_dscnt 0x0
	v_mul_f64_e32 v[14:15], v[2:3], v[110:111]
	v_mul_f64_e32 v[16:17], v[4:5], v[110:111]
	s_delay_alu instid0(VALU_DEP_4) | instskip(NEXT) | instid1(VALU_DEP_4)
	v_add_f64_e32 v[10:11], v[10:11], v[24:25]
	v_add_f64_e32 v[12:13], v[12:13], v[22:23]
	s_delay_alu instid0(VALU_DEP_4) | instskip(NEXT) | instid1(VALU_DEP_4)
	v_fma_f64 v[4:5], v[4:5], v[108:109], v[14:15]
	v_fma_f64 v[2:3], v[2:3], v[108:109], -v[16:17]
	s_delay_alu instid0(VALU_DEP_4) | instskip(NEXT) | instid1(VALU_DEP_4)
	v_add_f64_e32 v[6:7], v[10:11], v[6:7]
	v_add_f64_e32 v[8:9], v[12:13], v[8:9]
	s_delay_alu instid0(VALU_DEP_2) | instskip(NEXT) | instid1(VALU_DEP_2)
	v_add_f64_e32 v[2:3], v[6:7], v[2:3]
	v_add_f64_e32 v[4:5], v[8:9], v[4:5]
	s_delay_alu instid0(VALU_DEP_2) | instskip(NEXT) | instid1(VALU_DEP_2)
	v_add_f64_e64 v[2:3], v[116:117], -v[2:3]
	v_add_f64_e64 v[4:5], v[118:119], -v[4:5]
	scratch_store_b128 off, v[2:5], off offset:80
	v_cmpx_lt_u32_e32 3, v0
	s_cbranch_execz .LBB99_223
; %bb.222:
	scratch_load_b128 v[5:8], off, s25
	v_dual_mov_b32 v2, v1 :: v_dual_mov_b32 v3, v1
	v_mov_b32_e32 v4, v1
	scratch_store_b128 off, v[1:4], off offset:64
	s_wait_loadcnt 0x0
	ds_store_b128 v34, v[5:8]
.LBB99_223:
	s_wait_alu 0xfffe
	s_or_b32 exec_lo, exec_lo, s0
	s_wait_storecnt_dscnt 0x0
	s_barrier_signal -1
	s_barrier_wait -1
	global_inv scope:SCOPE_SE
	s_clause 0x8
	scratch_load_b128 v[2:5], off, off offset:80
	scratch_load_b128 v[6:9], off, off offset:96
	;; [unrolled: 1-line block ×9, first 2 shown]
	ds_load_b128 v[112:115], v1 offset:640
	ds_load_b128 v[116:119], v1 offset:656
	s_clause 0x1
	scratch_load_b128 v[120:123], off, off offset:64
	scratch_load_b128 v[124:127], off, off offset:224
	s_mov_b32 s0, exec_lo
	s_wait_loadcnt_dscnt 0xa01
	v_mul_f64_e32 v[128:129], v[114:115], v[4:5]
	v_mul_f64_e32 v[4:5], v[112:113], v[4:5]
	s_wait_loadcnt_dscnt 0x900
	v_mul_f64_e32 v[132:133], v[116:117], v[8:9]
	v_mul_f64_e32 v[8:9], v[118:119], v[8:9]
	s_delay_alu instid0(VALU_DEP_4) | instskip(NEXT) | instid1(VALU_DEP_4)
	v_fma_f64 v[134:135], v[112:113], v[2:3], -v[128:129]
	v_fma_f64 v[136:137], v[114:115], v[2:3], v[4:5]
	ds_load_b128 v[2:5], v1 offset:672
	ds_load_b128 v[128:131], v1 offset:688
	scratch_load_b128 v[112:115], off, off offset:240
	v_fma_f64 v[118:119], v[118:119], v[6:7], v[132:133]
	v_fma_f64 v[116:117], v[116:117], v[6:7], -v[8:9]
	scratch_load_b128 v[6:9], off, off offset:256
	s_wait_loadcnt_dscnt 0xa01
	v_mul_f64_e32 v[138:139], v[2:3], v[12:13]
	v_mul_f64_e32 v[12:13], v[4:5], v[12:13]
	v_add_f64_e32 v[132:133], 0, v[134:135]
	v_add_f64_e32 v[134:135], 0, v[136:137]
	s_wait_loadcnt_dscnt 0x900
	v_mul_f64_e32 v[136:137], v[128:129], v[16:17]
	v_mul_f64_e32 v[16:17], v[130:131], v[16:17]
	v_fma_f64 v[138:139], v[4:5], v[10:11], v[138:139]
	v_fma_f64 v[140:141], v[2:3], v[10:11], -v[12:13]
	ds_load_b128 v[2:5], v1 offset:704
	scratch_load_b128 v[10:13], off, off offset:272
	v_add_f64_e32 v[132:133], v[132:133], v[116:117]
	v_add_f64_e32 v[134:135], v[134:135], v[118:119]
	ds_load_b128 v[116:119], v1 offset:720
	v_fma_f64 v[130:131], v[130:131], v[14:15], v[136:137]
	v_fma_f64 v[128:129], v[128:129], v[14:15], -v[16:17]
	scratch_load_b128 v[14:17], off, off offset:288
	s_wait_loadcnt_dscnt 0xa01
	v_mul_f64_e32 v[142:143], v[2:3], v[20:21]
	v_mul_f64_e32 v[20:21], v[4:5], v[20:21]
	s_wait_loadcnt_dscnt 0x900
	v_mul_f64_e32 v[136:137], v[116:117], v[24:25]
	v_mul_f64_e32 v[24:25], v[118:119], v[24:25]
	v_add_f64_e32 v[132:133], v[132:133], v[140:141]
	v_add_f64_e32 v[134:135], v[134:135], v[138:139]
	v_fma_f64 v[138:139], v[4:5], v[18:19], v[142:143]
	v_fma_f64 v[140:141], v[2:3], v[18:19], -v[20:21]
	ds_load_b128 v[2:5], v1 offset:736
	scratch_load_b128 v[18:21], off, off offset:304
	v_fma_f64 v[118:119], v[118:119], v[22:23], v[136:137]
	v_fma_f64 v[116:117], v[116:117], v[22:23], -v[24:25]
	scratch_load_b128 v[22:25], off, off offset:320
	v_add_f64_e32 v[132:133], v[132:133], v[128:129]
	v_add_f64_e32 v[134:135], v[134:135], v[130:131]
	ds_load_b128 v[128:131], v1 offset:752
	s_wait_loadcnt_dscnt 0xa01
	v_mul_f64_e32 v[142:143], v[2:3], v[28:29]
	v_mul_f64_e32 v[28:29], v[4:5], v[28:29]
	s_wait_loadcnt_dscnt 0x900
	v_mul_f64_e32 v[136:137], v[128:129], v[32:33]
	v_mul_f64_e32 v[32:33], v[130:131], v[32:33]
	v_add_f64_e32 v[132:133], v[132:133], v[140:141]
	v_add_f64_e32 v[134:135], v[134:135], v[138:139]
	v_fma_f64 v[138:139], v[4:5], v[26:27], v[142:143]
	v_fma_f64 v[140:141], v[2:3], v[26:27], -v[28:29]
	ds_load_b128 v[2:5], v1 offset:768
	scratch_load_b128 v[26:29], off, off offset:336
	v_fma_f64 v[130:131], v[130:131], v[30:31], v[136:137]
	v_fma_f64 v[128:129], v[128:129], v[30:31], -v[32:33]
	scratch_load_b128 v[30:33], off, off offset:352
	v_add_f64_e32 v[132:133], v[132:133], v[116:117]
	v_add_f64_e32 v[134:135], v[134:135], v[118:119]
	ds_load_b128 v[116:119], v1 offset:784
	s_wait_loadcnt_dscnt 0xa01
	v_mul_f64_e32 v[142:143], v[2:3], v[110:111]
	v_mul_f64_e32 v[110:111], v[4:5], v[110:111]
	s_wait_loadcnt_dscnt 0x800
	v_mul_f64_e32 v[136:137], v[116:117], v[126:127]
	v_add_f64_e32 v[132:133], v[132:133], v[140:141]
	v_add_f64_e32 v[134:135], v[134:135], v[138:139]
	v_mul_f64_e32 v[138:139], v[118:119], v[126:127]
	v_fma_f64 v[140:141], v[4:5], v[108:109], v[142:143]
	v_fma_f64 v[142:143], v[2:3], v[108:109], -v[110:111]
	ds_load_b128 v[2:5], v1 offset:800
	scratch_load_b128 v[108:111], off, off offset:368
	v_fma_f64 v[118:119], v[118:119], v[124:125], v[136:137]
	v_add_f64_e32 v[132:133], v[132:133], v[128:129]
	v_add_f64_e32 v[130:131], v[134:135], v[130:131]
	ds_load_b128 v[126:129], v1 offset:816
	v_fma_f64 v[124:125], v[116:117], v[124:125], -v[138:139]
	s_wait_loadcnt_dscnt 0x801
	v_mul_f64_e32 v[134:135], v[2:3], v[114:115]
	v_mul_f64_e32 v[144:145], v[4:5], v[114:115]
	scratch_load_b128 v[114:117], off, off offset:384
	s_wait_loadcnt_dscnt 0x800
	v_mul_f64_e32 v[138:139], v[126:127], v[8:9]
	v_mul_f64_e32 v[8:9], v[128:129], v[8:9]
	v_add_f64_e32 v[132:133], v[132:133], v[142:143]
	v_add_f64_e32 v[130:131], v[130:131], v[140:141]
	v_fma_f64 v[140:141], v[4:5], v[112:113], v[134:135]
	v_fma_f64 v[112:113], v[2:3], v[112:113], -v[144:145]
	ds_load_b128 v[2:5], v1 offset:832
	ds_load_b128 v[134:137], v1 offset:848
	v_fma_f64 v[128:129], v[128:129], v[6:7], v[138:139]
	v_fma_f64 v[126:127], v[126:127], v[6:7], -v[8:9]
	scratch_load_b128 v[6:9], off, off offset:416
	v_add_f64_e32 v[124:125], v[132:133], v[124:125]
	v_add_f64_e32 v[118:119], v[130:131], v[118:119]
	scratch_load_b128 v[130:133], off, off offset:400
	s_wait_loadcnt_dscnt 0x901
	v_mul_f64_e32 v[142:143], v[2:3], v[12:13]
	v_mul_f64_e32 v[12:13], v[4:5], v[12:13]
	s_wait_loadcnt_dscnt 0x800
	v_mul_f64_e32 v[138:139], v[134:135], v[16:17]
	v_mul_f64_e32 v[16:17], v[136:137], v[16:17]
	v_add_f64_e32 v[112:113], v[124:125], v[112:113]
	v_add_f64_e32 v[118:119], v[118:119], v[140:141]
	v_fma_f64 v[140:141], v[4:5], v[10:11], v[142:143]
	v_fma_f64 v[142:143], v[2:3], v[10:11], -v[12:13]
	ds_load_b128 v[2:5], v1 offset:864
	scratch_load_b128 v[10:13], off, off offset:432
	v_fma_f64 v[136:137], v[136:137], v[14:15], v[138:139]
	v_fma_f64 v[134:135], v[134:135], v[14:15], -v[16:17]
	scratch_load_b128 v[14:17], off, off offset:448
	v_add_f64_e32 v[112:113], v[112:113], v[126:127]
	v_add_f64_e32 v[118:119], v[118:119], v[128:129]
	ds_load_b128 v[124:127], v1 offset:880
	s_wait_loadcnt_dscnt 0x901
	v_mul_f64_e32 v[128:129], v[2:3], v[20:21]
	v_mul_f64_e32 v[20:21], v[4:5], v[20:21]
	s_wait_loadcnt_dscnt 0x800
	v_mul_f64_e32 v[138:139], v[124:125], v[24:25]
	v_mul_f64_e32 v[24:25], v[126:127], v[24:25]
	v_add_f64_e32 v[112:113], v[112:113], v[142:143]
	v_add_f64_e32 v[118:119], v[118:119], v[140:141]
	v_fma_f64 v[128:129], v[4:5], v[18:19], v[128:129]
	v_fma_f64 v[140:141], v[2:3], v[18:19], -v[20:21]
	ds_load_b128 v[2:5], v1 offset:896
	scratch_load_b128 v[18:21], off, off offset:464
	v_fma_f64 v[126:127], v[126:127], v[22:23], v[138:139]
	v_fma_f64 v[124:125], v[124:125], v[22:23], -v[24:25]
	scratch_load_b128 v[22:25], off, off offset:480
	v_add_f64_e32 v[112:113], v[112:113], v[134:135]
	v_add_f64_e32 v[118:119], v[118:119], v[136:137]
	ds_load_b128 v[134:137], v1 offset:912
	s_wait_loadcnt_dscnt 0x901
	v_mul_f64_e32 v[142:143], v[2:3], v[28:29]
	v_mul_f64_e32 v[28:29], v[4:5], v[28:29]
	v_add_f64_e32 v[112:113], v[112:113], v[140:141]
	v_add_f64_e32 v[118:119], v[118:119], v[128:129]
	s_wait_loadcnt_dscnt 0x800
	v_mul_f64_e32 v[128:129], v[134:135], v[32:33]
	v_mul_f64_e32 v[32:33], v[136:137], v[32:33]
	v_fma_f64 v[138:139], v[4:5], v[26:27], v[142:143]
	v_fma_f64 v[140:141], v[2:3], v[26:27], -v[28:29]
	ds_load_b128 v[2:5], v1 offset:928
	scratch_load_b128 v[26:29], off, off offset:496
	v_add_f64_e32 v[112:113], v[112:113], v[124:125]
	v_add_f64_e32 v[118:119], v[118:119], v[126:127]
	ds_load_b128 v[124:127], v1 offset:944
	s_wait_loadcnt_dscnt 0x801
	v_mul_f64_e32 v[142:143], v[2:3], v[110:111]
	v_mul_f64_e32 v[110:111], v[4:5], v[110:111]
	v_fma_f64 v[128:129], v[136:137], v[30:31], v[128:129]
	v_fma_f64 v[134:135], v[134:135], v[30:31], -v[32:33]
	scratch_load_b128 v[30:33], off, off offset:512
	s_wait_loadcnt_dscnt 0x800
	v_mul_f64_e32 v[136:137], v[124:125], v[116:117]
	v_add_f64_e32 v[112:113], v[112:113], v[140:141]
	v_add_f64_e32 v[118:119], v[118:119], v[138:139]
	v_mul_f64_e32 v[138:139], v[126:127], v[116:117]
	v_fma_f64 v[140:141], v[4:5], v[108:109], v[142:143]
	v_fma_f64 v[142:143], v[2:3], v[108:109], -v[110:111]
	ds_load_b128 v[2:5], v1 offset:960
	scratch_load_b128 v[108:111], off, off offset:528
	v_fma_f64 v[126:127], v[126:127], v[114:115], v[136:137]
	v_add_f64_e32 v[112:113], v[112:113], v[134:135]
	v_add_f64_e32 v[128:129], v[118:119], v[128:129]
	ds_load_b128 v[116:119], v1 offset:976
	v_fma_f64 v[124:125], v[124:125], v[114:115], -v[138:139]
	s_wait_loadcnt_dscnt 0x701
	v_mul_f64_e32 v[134:135], v[2:3], v[132:133]
	v_mul_f64_e32 v[132:133], v[4:5], v[132:133]
	s_wait_dscnt 0x0
	v_mul_f64_e32 v[138:139], v[116:117], v[8:9]
	v_mul_f64_e32 v[8:9], v[118:119], v[8:9]
	v_add_f64_e32 v[136:137], v[112:113], v[142:143]
	v_add_f64_e32 v[128:129], v[128:129], v[140:141]
	scratch_load_b128 v[112:115], off, off offset:544
	v_fma_f64 v[134:135], v[4:5], v[130:131], v[134:135]
	v_fma_f64 v[132:133], v[2:3], v[130:131], -v[132:133]
	ds_load_b128 v[2:5], v1 offset:992
	v_fma_f64 v[118:119], v[118:119], v[6:7], v[138:139]
	v_fma_f64 v[116:117], v[116:117], v[6:7], -v[8:9]
	scratch_load_b128 v[6:9], off, off offset:576
	v_add_f64_e32 v[136:137], v[136:137], v[124:125]
	v_add_f64_e32 v[140:141], v[128:129], v[126:127]
	scratch_load_b128 v[124:127], off, off offset:560
	ds_load_b128 v[128:131], v1 offset:1008
	s_wait_loadcnt_dscnt 0x901
	v_mul_f64_e32 v[142:143], v[2:3], v[12:13]
	v_mul_f64_e32 v[12:13], v[4:5], v[12:13]
	v_add_f64_e32 v[132:133], v[136:137], v[132:133]
	v_add_f64_e32 v[134:135], v[140:141], v[134:135]
	s_wait_loadcnt_dscnt 0x800
	v_mul_f64_e32 v[136:137], v[128:129], v[16:17]
	v_mul_f64_e32 v[16:17], v[130:131], v[16:17]
	v_fma_f64 v[138:139], v[4:5], v[10:11], v[142:143]
	v_fma_f64 v[140:141], v[2:3], v[10:11], -v[12:13]
	ds_load_b128 v[2:5], v1 offset:1024
	ds_load_b128 v[10:13], v1 offset:1040
	v_add_f64_e32 v[116:117], v[132:133], v[116:117]
	v_add_f64_e32 v[118:119], v[134:135], v[118:119]
	s_wait_loadcnt_dscnt 0x701
	v_mul_f64_e32 v[132:133], v[2:3], v[20:21]
	v_mul_f64_e32 v[20:21], v[4:5], v[20:21]
	v_fma_f64 v[130:131], v[130:131], v[14:15], v[136:137]
	v_fma_f64 v[14:15], v[128:129], v[14:15], -v[16:17]
	v_add_f64_e32 v[16:17], v[116:117], v[140:141]
	v_add_f64_e32 v[116:117], v[118:119], v[138:139]
	s_wait_loadcnt_dscnt 0x600
	v_mul_f64_e32 v[118:119], v[10:11], v[24:25]
	v_mul_f64_e32 v[24:25], v[12:13], v[24:25]
	v_fma_f64 v[128:129], v[4:5], v[18:19], v[132:133]
	v_fma_f64 v[18:19], v[2:3], v[18:19], -v[20:21]
	v_add_f64_e32 v[20:21], v[16:17], v[14:15]
	v_add_f64_e32 v[116:117], v[116:117], v[130:131]
	ds_load_b128 v[2:5], v1 offset:1056
	ds_load_b128 v[14:17], v1 offset:1072
	v_fma_f64 v[12:13], v[12:13], v[22:23], v[118:119]
	v_fma_f64 v[10:11], v[10:11], v[22:23], -v[24:25]
	s_wait_loadcnt_dscnt 0x501
	v_mul_f64_e32 v[130:131], v[2:3], v[28:29]
	v_mul_f64_e32 v[28:29], v[4:5], v[28:29]
	s_wait_loadcnt_dscnt 0x400
	v_mul_f64_e32 v[22:23], v[14:15], v[32:33]
	v_mul_f64_e32 v[24:25], v[16:17], v[32:33]
	v_add_f64_e32 v[18:19], v[20:21], v[18:19]
	v_add_f64_e32 v[20:21], v[116:117], v[128:129]
	v_fma_f64 v[32:33], v[4:5], v[26:27], v[130:131]
	v_fma_f64 v[26:27], v[2:3], v[26:27], -v[28:29]
	v_fma_f64 v[16:17], v[16:17], v[30:31], v[22:23]
	v_fma_f64 v[14:15], v[14:15], v[30:31], -v[24:25]
	v_add_f64_e32 v[18:19], v[18:19], v[10:11]
	v_add_f64_e32 v[20:21], v[20:21], v[12:13]
	ds_load_b128 v[2:5], v1 offset:1088
	ds_load_b128 v[10:13], v1 offset:1104
	s_wait_loadcnt_dscnt 0x301
	v_mul_f64_e32 v[28:29], v[2:3], v[110:111]
	v_mul_f64_e32 v[110:111], v[4:5], v[110:111]
	v_add_f64_e32 v[18:19], v[18:19], v[26:27]
	v_add_f64_e32 v[20:21], v[20:21], v[32:33]
	s_wait_loadcnt_dscnt 0x200
	v_mul_f64_e32 v[22:23], v[10:11], v[114:115]
	v_mul_f64_e32 v[24:25], v[12:13], v[114:115]
	v_fma_f64 v[26:27], v[4:5], v[108:109], v[28:29]
	v_fma_f64 v[28:29], v[2:3], v[108:109], -v[110:111]
	v_add_f64_e32 v[18:19], v[18:19], v[14:15]
	v_add_f64_e32 v[20:21], v[20:21], v[16:17]
	ds_load_b128 v[2:5], v1 offset:1120
	ds_load_b128 v[14:17], v1 offset:1136
	v_fma_f64 v[12:13], v[12:13], v[112:113], v[22:23]
	v_fma_f64 v[10:11], v[10:11], v[112:113], -v[24:25]
	s_wait_loadcnt_dscnt 0x1
	v_mul_f64_e32 v[30:31], v[2:3], v[126:127]
	v_mul_f64_e32 v[32:33], v[4:5], v[126:127]
	s_wait_dscnt 0x0
	v_mul_f64_e32 v[22:23], v[14:15], v[8:9]
	v_mul_f64_e32 v[8:9], v[16:17], v[8:9]
	v_add_f64_e32 v[18:19], v[18:19], v[28:29]
	v_add_f64_e32 v[20:21], v[20:21], v[26:27]
	v_fma_f64 v[4:5], v[4:5], v[124:125], v[30:31]
	v_fma_f64 v[1:2], v[2:3], v[124:125], -v[32:33]
	v_fma_f64 v[16:17], v[16:17], v[6:7], v[22:23]
	v_fma_f64 v[6:7], v[14:15], v[6:7], -v[8:9]
	v_add_f64_e32 v[10:11], v[18:19], v[10:11]
	v_add_f64_e32 v[12:13], v[20:21], v[12:13]
	s_delay_alu instid0(VALU_DEP_2) | instskip(NEXT) | instid1(VALU_DEP_2)
	v_add_f64_e32 v[1:2], v[10:11], v[1:2]
	v_add_f64_e32 v[3:4], v[12:13], v[4:5]
	s_delay_alu instid0(VALU_DEP_2) | instskip(NEXT) | instid1(VALU_DEP_2)
	;; [unrolled: 3-line block ×3, first 2 shown]
	v_add_f64_e64 v[1:2], v[120:121], -v[1:2]
	v_add_f64_e64 v[3:4], v[122:123], -v[3:4]
	scratch_store_b128 off, v[1:4], off offset:64
	v_cmpx_lt_u32_e32 2, v0
	s_cbranch_execz .LBB99_225
; %bb.224:
	scratch_load_b128 v[1:4], off, s43
	v_mov_b32_e32 v5, 0
	s_delay_alu instid0(VALU_DEP_1)
	v_dual_mov_b32 v6, v5 :: v_dual_mov_b32 v7, v5
	v_mov_b32_e32 v8, v5
	scratch_store_b128 off, v[5:8], off offset:48
	s_wait_loadcnt 0x0
	ds_store_b128 v34, v[1:4]
.LBB99_225:
	s_wait_alu 0xfffe
	s_or_b32 exec_lo, exec_lo, s0
	s_wait_storecnt_dscnt 0x0
	s_barrier_signal -1
	s_barrier_wait -1
	global_inv scope:SCOPE_SE
	s_clause 0x7
	scratch_load_b128 v[2:5], off, off offset:64
	scratch_load_b128 v[6:9], off, off offset:80
	;; [unrolled: 1-line block ×8, first 2 shown]
	v_mov_b32_e32 v1, 0
	s_mov_b32 s0, exec_lo
	ds_load_b128 v[108:111], v1 offset:624
	s_clause 0x1
	scratch_load_b128 v[112:115], off, off offset:192
	scratch_load_b128 v[116:119], off, off offset:48
	ds_load_b128 v[120:123], v1 offset:640
	scratch_load_b128 v[124:127], off, off offset:208
	s_wait_loadcnt_dscnt 0xa01
	v_mul_f64_e32 v[128:129], v[110:111], v[4:5]
	v_mul_f64_e32 v[4:5], v[108:109], v[4:5]
	s_delay_alu instid0(VALU_DEP_2) | instskip(NEXT) | instid1(VALU_DEP_2)
	v_fma_f64 v[134:135], v[108:109], v[2:3], -v[128:129]
	v_fma_f64 v[136:137], v[110:111], v[2:3], v[4:5]
	ds_load_b128 v[2:5], v1 offset:656
	s_wait_loadcnt_dscnt 0x901
	v_mul_f64_e32 v[132:133], v[120:121], v[8:9]
	v_mul_f64_e32 v[8:9], v[122:123], v[8:9]
	scratch_load_b128 v[108:111], off, off offset:224
	ds_load_b128 v[128:131], v1 offset:672
	s_wait_loadcnt_dscnt 0x901
	v_mul_f64_e32 v[138:139], v[2:3], v[12:13]
	v_mul_f64_e32 v[12:13], v[4:5], v[12:13]
	v_fma_f64 v[122:123], v[122:123], v[6:7], v[132:133]
	v_fma_f64 v[120:121], v[120:121], v[6:7], -v[8:9]
	v_add_f64_e32 v[132:133], 0, v[134:135]
	v_add_f64_e32 v[134:135], 0, v[136:137]
	scratch_load_b128 v[6:9], off, off offset:240
	v_fma_f64 v[138:139], v[4:5], v[10:11], v[138:139]
	v_fma_f64 v[140:141], v[2:3], v[10:11], -v[12:13]
	ds_load_b128 v[2:5], v1 offset:688
	s_wait_loadcnt_dscnt 0x901
	v_mul_f64_e32 v[136:137], v[128:129], v[16:17]
	v_mul_f64_e32 v[16:17], v[130:131], v[16:17]
	scratch_load_b128 v[10:13], off, off offset:256
	v_add_f64_e32 v[132:133], v[132:133], v[120:121]
	v_add_f64_e32 v[134:135], v[134:135], v[122:123]
	s_wait_loadcnt_dscnt 0x900
	v_mul_f64_e32 v[142:143], v[2:3], v[20:21]
	v_mul_f64_e32 v[20:21], v[4:5], v[20:21]
	ds_load_b128 v[120:123], v1 offset:704
	v_fma_f64 v[130:131], v[130:131], v[14:15], v[136:137]
	v_fma_f64 v[128:129], v[128:129], v[14:15], -v[16:17]
	scratch_load_b128 v[14:17], off, off offset:272
	v_add_f64_e32 v[132:133], v[132:133], v[140:141]
	v_add_f64_e32 v[134:135], v[134:135], v[138:139]
	v_fma_f64 v[138:139], v[4:5], v[18:19], v[142:143]
	v_fma_f64 v[140:141], v[2:3], v[18:19], -v[20:21]
	ds_load_b128 v[2:5], v1 offset:720
	s_wait_loadcnt_dscnt 0x901
	v_mul_f64_e32 v[136:137], v[120:121], v[24:25]
	v_mul_f64_e32 v[24:25], v[122:123], v[24:25]
	scratch_load_b128 v[18:21], off, off offset:288
	s_wait_loadcnt_dscnt 0x900
	v_mul_f64_e32 v[142:143], v[2:3], v[28:29]
	v_mul_f64_e32 v[28:29], v[4:5], v[28:29]
	v_add_f64_e32 v[132:133], v[132:133], v[128:129]
	v_add_f64_e32 v[134:135], v[134:135], v[130:131]
	ds_load_b128 v[128:131], v1 offset:736
	v_fma_f64 v[122:123], v[122:123], v[22:23], v[136:137]
	v_fma_f64 v[120:121], v[120:121], v[22:23], -v[24:25]
	scratch_load_b128 v[22:25], off, off offset:304
	v_add_f64_e32 v[132:133], v[132:133], v[140:141]
	v_add_f64_e32 v[134:135], v[134:135], v[138:139]
	v_fma_f64 v[138:139], v[4:5], v[26:27], v[142:143]
	v_fma_f64 v[140:141], v[2:3], v[26:27], -v[28:29]
	ds_load_b128 v[2:5], v1 offset:752
	s_wait_loadcnt_dscnt 0x901
	v_mul_f64_e32 v[136:137], v[128:129], v[32:33]
	v_mul_f64_e32 v[32:33], v[130:131], v[32:33]
	scratch_load_b128 v[26:29], off, off offset:320
	s_wait_loadcnt_dscnt 0x900
	v_mul_f64_e32 v[142:143], v[2:3], v[114:115]
	v_mul_f64_e32 v[114:115], v[4:5], v[114:115]
	v_add_f64_e32 v[132:133], v[132:133], v[120:121]
	v_add_f64_e32 v[134:135], v[134:135], v[122:123]
	ds_load_b128 v[120:123], v1 offset:768
	v_fma_f64 v[130:131], v[130:131], v[30:31], v[136:137]
	v_fma_f64 v[128:129], v[128:129], v[30:31], -v[32:33]
	scratch_load_b128 v[30:33], off, off offset:336
	v_add_f64_e32 v[132:133], v[132:133], v[140:141]
	v_add_f64_e32 v[134:135], v[134:135], v[138:139]
	v_fma_f64 v[140:141], v[4:5], v[112:113], v[142:143]
	v_fma_f64 v[142:143], v[2:3], v[112:113], -v[114:115]
	ds_load_b128 v[2:5], v1 offset:784
	s_wait_loadcnt_dscnt 0x801
	v_mul_f64_e32 v[136:137], v[120:121], v[126:127]
	v_mul_f64_e32 v[138:139], v[122:123], v[126:127]
	scratch_load_b128 v[112:115], off, off offset:352
	v_add_f64_e32 v[132:133], v[132:133], v[128:129]
	v_add_f64_e32 v[130:131], v[134:135], v[130:131]
	ds_load_b128 v[126:129], v1 offset:800
	v_fma_f64 v[136:137], v[122:123], v[124:125], v[136:137]
	v_fma_f64 v[124:125], v[120:121], v[124:125], -v[138:139]
	scratch_load_b128 v[120:123], off, off offset:368
	s_wait_loadcnt_dscnt 0x901
	v_mul_f64_e32 v[134:135], v[2:3], v[110:111]
	v_mul_f64_e32 v[110:111], v[4:5], v[110:111]
	v_add_f64_e32 v[132:133], v[132:133], v[142:143]
	v_add_f64_e32 v[130:131], v[130:131], v[140:141]
	s_delay_alu instid0(VALU_DEP_4) | instskip(NEXT) | instid1(VALU_DEP_4)
	v_fma_f64 v[134:135], v[4:5], v[108:109], v[134:135]
	v_fma_f64 v[140:141], v[2:3], v[108:109], -v[110:111]
	ds_load_b128 v[2:5], v1 offset:816
	s_wait_loadcnt_dscnt 0x801
	v_mul_f64_e32 v[138:139], v[126:127], v[8:9]
	v_mul_f64_e32 v[8:9], v[128:129], v[8:9]
	scratch_load_b128 v[108:111], off, off offset:384
	s_wait_loadcnt_dscnt 0x800
	v_mul_f64_e32 v[142:143], v[2:3], v[12:13]
	v_add_f64_e32 v[124:125], v[132:133], v[124:125]
	v_add_f64_e32 v[136:137], v[130:131], v[136:137]
	v_mul_f64_e32 v[12:13], v[4:5], v[12:13]
	ds_load_b128 v[130:133], v1 offset:832
	v_fma_f64 v[128:129], v[128:129], v[6:7], v[138:139]
	v_fma_f64 v[126:127], v[126:127], v[6:7], -v[8:9]
	scratch_load_b128 v[6:9], off, off offset:400
	v_fma_f64 v[138:139], v[4:5], v[10:11], v[142:143]
	v_add_f64_e32 v[124:125], v[124:125], v[140:141]
	v_add_f64_e32 v[134:135], v[136:137], v[134:135]
	v_fma_f64 v[140:141], v[2:3], v[10:11], -v[12:13]
	ds_load_b128 v[2:5], v1 offset:848
	s_wait_loadcnt_dscnt 0x801
	v_mul_f64_e32 v[136:137], v[130:131], v[16:17]
	v_mul_f64_e32 v[16:17], v[132:133], v[16:17]
	scratch_load_b128 v[10:13], off, off offset:416
	v_add_f64_e32 v[142:143], v[124:125], v[126:127]
	v_add_f64_e32 v[128:129], v[134:135], v[128:129]
	s_wait_loadcnt_dscnt 0x800
	v_mul_f64_e32 v[134:135], v[2:3], v[20:21]
	v_mul_f64_e32 v[20:21], v[4:5], v[20:21]
	v_fma_f64 v[132:133], v[132:133], v[14:15], v[136:137]
	v_fma_f64 v[130:131], v[130:131], v[14:15], -v[16:17]
	ds_load_b128 v[124:127], v1 offset:864
	scratch_load_b128 v[14:17], off, off offset:432
	v_add_f64_e32 v[136:137], v[142:143], v[140:141]
	v_add_f64_e32 v[128:129], v[128:129], v[138:139]
	v_fma_f64 v[134:135], v[4:5], v[18:19], v[134:135]
	v_fma_f64 v[140:141], v[2:3], v[18:19], -v[20:21]
	ds_load_b128 v[2:5], v1 offset:880
	s_wait_loadcnt_dscnt 0x801
	v_mul_f64_e32 v[138:139], v[124:125], v[24:25]
	v_mul_f64_e32 v[24:25], v[126:127], v[24:25]
	scratch_load_b128 v[18:21], off, off offset:448
	s_wait_loadcnt_dscnt 0x800
	v_mul_f64_e32 v[142:143], v[2:3], v[28:29]
	v_mul_f64_e32 v[28:29], v[4:5], v[28:29]
	v_add_f64_e32 v[136:137], v[136:137], v[130:131]
	v_add_f64_e32 v[132:133], v[128:129], v[132:133]
	ds_load_b128 v[128:131], v1 offset:896
	v_fma_f64 v[126:127], v[126:127], v[22:23], v[138:139]
	v_fma_f64 v[124:125], v[124:125], v[22:23], -v[24:25]
	scratch_load_b128 v[22:25], off, off offset:464
	v_fma_f64 v[138:139], v[4:5], v[26:27], v[142:143]
	v_add_f64_e32 v[136:137], v[136:137], v[140:141]
	v_add_f64_e32 v[132:133], v[132:133], v[134:135]
	v_fma_f64 v[140:141], v[2:3], v[26:27], -v[28:29]
	ds_load_b128 v[2:5], v1 offset:912
	s_wait_loadcnt_dscnt 0x801
	v_mul_f64_e32 v[134:135], v[128:129], v[32:33]
	v_mul_f64_e32 v[32:33], v[130:131], v[32:33]
	scratch_load_b128 v[26:29], off, off offset:480
	s_wait_loadcnt_dscnt 0x800
	v_mul_f64_e32 v[142:143], v[2:3], v[114:115]
	v_mul_f64_e32 v[114:115], v[4:5], v[114:115]
	v_add_f64_e32 v[136:137], v[136:137], v[124:125]
	v_add_f64_e32 v[132:133], v[132:133], v[126:127]
	ds_load_b128 v[124:127], v1 offset:928
	v_fma_f64 v[130:131], v[130:131], v[30:31], v[134:135]
	v_fma_f64 v[128:129], v[128:129], v[30:31], -v[32:33]
	scratch_load_b128 v[30:33], off, off offset:496
	v_add_f64_e32 v[134:135], v[136:137], v[140:141]
	v_add_f64_e32 v[132:133], v[132:133], v[138:139]
	v_fma_f64 v[138:139], v[4:5], v[112:113], v[142:143]
	v_fma_f64 v[140:141], v[2:3], v[112:113], -v[114:115]
	ds_load_b128 v[2:5], v1 offset:944
	s_wait_loadcnt_dscnt 0x801
	v_mul_f64_e32 v[136:137], v[124:125], v[122:123]
	v_mul_f64_e32 v[122:123], v[126:127], v[122:123]
	scratch_load_b128 v[112:115], off, off offset:512
	s_wait_loadcnt_dscnt 0x800
	v_mul_f64_e32 v[142:143], v[2:3], v[110:111]
	v_mul_f64_e32 v[110:111], v[4:5], v[110:111]
	v_add_f64_e32 v[134:135], v[134:135], v[128:129]
	v_add_f64_e32 v[132:133], v[132:133], v[130:131]
	ds_load_b128 v[128:131], v1 offset:960
	v_fma_f64 v[126:127], v[126:127], v[120:121], v[136:137]
	v_fma_f64 v[124:125], v[124:125], v[120:121], -v[122:123]
	scratch_load_b128 v[120:123], off, off offset:528
	v_add_f64_e32 v[134:135], v[134:135], v[140:141]
	v_add_f64_e32 v[132:133], v[132:133], v[138:139]
	v_fma_f64 v[138:139], v[4:5], v[108:109], v[142:143]
	;; [unrolled: 18-line block ×3, first 2 shown]
	v_fma_f64 v[140:141], v[2:3], v[10:11], -v[12:13]
	ds_load_b128 v[2:5], v1 offset:1008
	s_wait_loadcnt_dscnt 0x801
	v_mul_f64_e32 v[136:137], v[124:125], v[16:17]
	v_mul_f64_e32 v[16:17], v[126:127], v[16:17]
	scratch_load_b128 v[10:13], off, off offset:576
	s_wait_loadcnt_dscnt 0x800
	v_mul_f64_e32 v[142:143], v[2:3], v[20:21]
	v_mul_f64_e32 v[20:21], v[4:5], v[20:21]
	v_add_f64_e32 v[134:135], v[134:135], v[128:129]
	v_add_f64_e32 v[132:133], v[132:133], v[130:131]
	ds_load_b128 v[128:131], v1 offset:1024
	v_fma_f64 v[126:127], v[126:127], v[14:15], v[136:137]
	v_fma_f64 v[14:15], v[124:125], v[14:15], -v[16:17]
	v_add_f64_e32 v[16:17], v[134:135], v[140:141]
	v_add_f64_e32 v[124:125], v[132:133], v[138:139]
	s_wait_loadcnt_dscnt 0x700
	v_mul_f64_e32 v[132:133], v[128:129], v[24:25]
	v_mul_f64_e32 v[24:25], v[130:131], v[24:25]
	v_fma_f64 v[134:135], v[4:5], v[18:19], v[142:143]
	v_fma_f64 v[18:19], v[2:3], v[18:19], -v[20:21]
	v_add_f64_e32 v[20:21], v[16:17], v[14:15]
	v_add_f64_e32 v[124:125], v[124:125], v[126:127]
	ds_load_b128 v[2:5], v1 offset:1040
	ds_load_b128 v[14:17], v1 offset:1056
	v_fma_f64 v[130:131], v[130:131], v[22:23], v[132:133]
	v_fma_f64 v[22:23], v[128:129], v[22:23], -v[24:25]
	s_wait_loadcnt_dscnt 0x601
	v_mul_f64_e32 v[126:127], v[2:3], v[28:29]
	v_mul_f64_e32 v[28:29], v[4:5], v[28:29]
	s_wait_loadcnt_dscnt 0x500
	v_mul_f64_e32 v[24:25], v[14:15], v[32:33]
	v_mul_f64_e32 v[32:33], v[16:17], v[32:33]
	v_add_f64_e32 v[18:19], v[20:21], v[18:19]
	v_add_f64_e32 v[20:21], v[124:125], v[134:135]
	v_fma_f64 v[124:125], v[4:5], v[26:27], v[126:127]
	v_fma_f64 v[26:27], v[2:3], v[26:27], -v[28:29]
	v_fma_f64 v[16:17], v[16:17], v[30:31], v[24:25]
	v_fma_f64 v[14:15], v[14:15], v[30:31], -v[32:33]
	v_add_f64_e32 v[22:23], v[18:19], v[22:23]
	v_add_f64_e32 v[28:29], v[20:21], v[130:131]
	ds_load_b128 v[2:5], v1 offset:1072
	ds_load_b128 v[18:21], v1 offset:1088
	s_wait_loadcnt_dscnt 0x401
	v_mul_f64_e32 v[126:127], v[2:3], v[114:115]
	v_mul_f64_e32 v[114:115], v[4:5], v[114:115]
	v_add_f64_e32 v[22:23], v[22:23], v[26:27]
	v_add_f64_e32 v[24:25], v[28:29], v[124:125]
	s_wait_loadcnt_dscnt 0x300
	v_mul_f64_e32 v[26:27], v[18:19], v[122:123]
	v_mul_f64_e32 v[28:29], v[20:21], v[122:123]
	v_fma_f64 v[30:31], v[4:5], v[112:113], v[126:127]
	v_fma_f64 v[32:33], v[2:3], v[112:113], -v[114:115]
	v_add_f64_e32 v[22:23], v[22:23], v[14:15]
	v_add_f64_e32 v[24:25], v[24:25], v[16:17]
	ds_load_b128 v[2:5], v1 offset:1104
	ds_load_b128 v[14:17], v1 offset:1120
	v_fma_f64 v[20:21], v[20:21], v[120:121], v[26:27]
	v_fma_f64 v[18:19], v[18:19], v[120:121], -v[28:29]
	s_wait_loadcnt_dscnt 0x201
	v_mul_f64_e32 v[112:113], v[2:3], v[110:111]
	v_mul_f64_e32 v[110:111], v[4:5], v[110:111]
	s_wait_loadcnt_dscnt 0x100
	v_mul_f64_e32 v[26:27], v[14:15], v[8:9]
	v_mul_f64_e32 v[8:9], v[16:17], v[8:9]
	v_add_f64_e32 v[22:23], v[22:23], v[32:33]
	v_add_f64_e32 v[24:25], v[24:25], v[30:31]
	v_fma_f64 v[28:29], v[4:5], v[108:109], v[112:113]
	v_fma_f64 v[30:31], v[2:3], v[108:109], -v[110:111]
	ds_load_b128 v[2:5], v1 offset:1136
	v_fma_f64 v[16:17], v[16:17], v[6:7], v[26:27]
	v_fma_f64 v[6:7], v[14:15], v[6:7], -v[8:9]
	v_add_f64_e32 v[18:19], v[22:23], v[18:19]
	v_add_f64_e32 v[20:21], v[24:25], v[20:21]
	s_wait_loadcnt_dscnt 0x0
	v_mul_f64_e32 v[22:23], v[2:3], v[12:13]
	v_mul_f64_e32 v[12:13], v[4:5], v[12:13]
	s_delay_alu instid0(VALU_DEP_4) | instskip(NEXT) | instid1(VALU_DEP_4)
	v_add_f64_e32 v[8:9], v[18:19], v[30:31]
	v_add_f64_e32 v[14:15], v[20:21], v[28:29]
	s_delay_alu instid0(VALU_DEP_4) | instskip(NEXT) | instid1(VALU_DEP_4)
	v_fma_f64 v[4:5], v[4:5], v[10:11], v[22:23]
	v_fma_f64 v[2:3], v[2:3], v[10:11], -v[12:13]
	s_delay_alu instid0(VALU_DEP_4) | instskip(NEXT) | instid1(VALU_DEP_4)
	v_add_f64_e32 v[6:7], v[8:9], v[6:7]
	v_add_f64_e32 v[8:9], v[14:15], v[16:17]
	s_delay_alu instid0(VALU_DEP_2) | instskip(NEXT) | instid1(VALU_DEP_2)
	v_add_f64_e32 v[2:3], v[6:7], v[2:3]
	v_add_f64_e32 v[4:5], v[8:9], v[4:5]
	s_delay_alu instid0(VALU_DEP_2) | instskip(NEXT) | instid1(VALU_DEP_2)
	v_add_f64_e64 v[2:3], v[116:117], -v[2:3]
	v_add_f64_e64 v[4:5], v[118:119], -v[4:5]
	scratch_store_b128 off, v[2:5], off offset:48
	v_cmpx_lt_u32_e32 1, v0
	s_cbranch_execz .LBB99_227
; %bb.226:
	scratch_load_b128 v[5:8], off, s44
	v_dual_mov_b32 v2, v1 :: v_dual_mov_b32 v3, v1
	v_mov_b32_e32 v4, v1
	scratch_store_b128 off, v[1:4], off offset:32
	s_wait_loadcnt 0x0
	ds_store_b128 v34, v[5:8]
.LBB99_227:
	s_wait_alu 0xfffe
	s_or_b32 exec_lo, exec_lo, s0
	s_wait_storecnt_dscnt 0x0
	s_barrier_signal -1
	s_barrier_wait -1
	global_inv scope:SCOPE_SE
	s_clause 0x8
	scratch_load_b128 v[2:5], off, off offset:48
	scratch_load_b128 v[6:9], off, off offset:64
	;; [unrolled: 1-line block ×9, first 2 shown]
	ds_load_b128 v[112:115], v1 offset:608
	ds_load_b128 v[116:119], v1 offset:624
	s_clause 0x1
	scratch_load_b128 v[120:123], off, off offset:32
	scratch_load_b128 v[124:127], off, off offset:192
	s_mov_b32 s0, exec_lo
	s_wait_loadcnt_dscnt 0xa01
	v_mul_f64_e32 v[128:129], v[114:115], v[4:5]
	v_mul_f64_e32 v[4:5], v[112:113], v[4:5]
	s_wait_loadcnt_dscnt 0x900
	v_mul_f64_e32 v[132:133], v[116:117], v[8:9]
	v_mul_f64_e32 v[8:9], v[118:119], v[8:9]
	s_delay_alu instid0(VALU_DEP_4) | instskip(NEXT) | instid1(VALU_DEP_4)
	v_fma_f64 v[134:135], v[112:113], v[2:3], -v[128:129]
	v_fma_f64 v[136:137], v[114:115], v[2:3], v[4:5]
	ds_load_b128 v[2:5], v1 offset:640
	ds_load_b128 v[128:131], v1 offset:656
	scratch_load_b128 v[112:115], off, off offset:208
	v_fma_f64 v[118:119], v[118:119], v[6:7], v[132:133]
	v_fma_f64 v[116:117], v[116:117], v[6:7], -v[8:9]
	scratch_load_b128 v[6:9], off, off offset:224
	s_wait_loadcnt_dscnt 0xa01
	v_mul_f64_e32 v[138:139], v[2:3], v[12:13]
	v_mul_f64_e32 v[12:13], v[4:5], v[12:13]
	v_add_f64_e32 v[132:133], 0, v[134:135]
	v_add_f64_e32 v[134:135], 0, v[136:137]
	s_wait_loadcnt_dscnt 0x900
	v_mul_f64_e32 v[136:137], v[128:129], v[16:17]
	v_mul_f64_e32 v[16:17], v[130:131], v[16:17]
	v_fma_f64 v[138:139], v[4:5], v[10:11], v[138:139]
	v_fma_f64 v[140:141], v[2:3], v[10:11], -v[12:13]
	ds_load_b128 v[2:5], v1 offset:672
	scratch_load_b128 v[10:13], off, off offset:240
	v_add_f64_e32 v[132:133], v[132:133], v[116:117]
	v_add_f64_e32 v[134:135], v[134:135], v[118:119]
	ds_load_b128 v[116:119], v1 offset:688
	v_fma_f64 v[130:131], v[130:131], v[14:15], v[136:137]
	v_fma_f64 v[128:129], v[128:129], v[14:15], -v[16:17]
	scratch_load_b128 v[14:17], off, off offset:256
	s_wait_loadcnt_dscnt 0xa01
	v_mul_f64_e32 v[142:143], v[2:3], v[20:21]
	v_mul_f64_e32 v[20:21], v[4:5], v[20:21]
	s_wait_loadcnt_dscnt 0x900
	v_mul_f64_e32 v[136:137], v[116:117], v[24:25]
	v_mul_f64_e32 v[24:25], v[118:119], v[24:25]
	v_add_f64_e32 v[132:133], v[132:133], v[140:141]
	v_add_f64_e32 v[134:135], v[134:135], v[138:139]
	v_fma_f64 v[138:139], v[4:5], v[18:19], v[142:143]
	v_fma_f64 v[140:141], v[2:3], v[18:19], -v[20:21]
	ds_load_b128 v[2:5], v1 offset:704
	scratch_load_b128 v[18:21], off, off offset:272
	v_fma_f64 v[118:119], v[118:119], v[22:23], v[136:137]
	v_fma_f64 v[116:117], v[116:117], v[22:23], -v[24:25]
	scratch_load_b128 v[22:25], off, off offset:288
	v_add_f64_e32 v[132:133], v[132:133], v[128:129]
	v_add_f64_e32 v[134:135], v[134:135], v[130:131]
	ds_load_b128 v[128:131], v1 offset:720
	s_wait_loadcnt_dscnt 0xa01
	v_mul_f64_e32 v[142:143], v[2:3], v[28:29]
	v_mul_f64_e32 v[28:29], v[4:5], v[28:29]
	s_wait_loadcnt_dscnt 0x900
	v_mul_f64_e32 v[136:137], v[128:129], v[32:33]
	v_mul_f64_e32 v[32:33], v[130:131], v[32:33]
	v_add_f64_e32 v[132:133], v[132:133], v[140:141]
	v_add_f64_e32 v[134:135], v[134:135], v[138:139]
	v_fma_f64 v[138:139], v[4:5], v[26:27], v[142:143]
	v_fma_f64 v[140:141], v[2:3], v[26:27], -v[28:29]
	ds_load_b128 v[2:5], v1 offset:736
	scratch_load_b128 v[26:29], off, off offset:304
	v_fma_f64 v[130:131], v[130:131], v[30:31], v[136:137]
	v_fma_f64 v[128:129], v[128:129], v[30:31], -v[32:33]
	scratch_load_b128 v[30:33], off, off offset:320
	v_add_f64_e32 v[132:133], v[132:133], v[116:117]
	v_add_f64_e32 v[134:135], v[134:135], v[118:119]
	ds_load_b128 v[116:119], v1 offset:752
	s_wait_loadcnt_dscnt 0xa01
	v_mul_f64_e32 v[142:143], v[2:3], v[110:111]
	v_mul_f64_e32 v[110:111], v[4:5], v[110:111]
	s_wait_loadcnt_dscnt 0x800
	v_mul_f64_e32 v[136:137], v[116:117], v[126:127]
	v_add_f64_e32 v[132:133], v[132:133], v[140:141]
	v_add_f64_e32 v[134:135], v[134:135], v[138:139]
	v_mul_f64_e32 v[138:139], v[118:119], v[126:127]
	v_fma_f64 v[140:141], v[4:5], v[108:109], v[142:143]
	v_fma_f64 v[142:143], v[2:3], v[108:109], -v[110:111]
	ds_load_b128 v[2:5], v1 offset:768
	scratch_load_b128 v[108:111], off, off offset:336
	v_fma_f64 v[118:119], v[118:119], v[124:125], v[136:137]
	v_add_f64_e32 v[132:133], v[132:133], v[128:129]
	v_add_f64_e32 v[130:131], v[134:135], v[130:131]
	ds_load_b128 v[126:129], v1 offset:784
	v_fma_f64 v[124:125], v[116:117], v[124:125], -v[138:139]
	s_wait_loadcnt_dscnt 0x801
	v_mul_f64_e32 v[134:135], v[2:3], v[114:115]
	v_mul_f64_e32 v[144:145], v[4:5], v[114:115]
	scratch_load_b128 v[114:117], off, off offset:352
	s_wait_loadcnt_dscnt 0x800
	v_mul_f64_e32 v[138:139], v[126:127], v[8:9]
	v_mul_f64_e32 v[8:9], v[128:129], v[8:9]
	v_add_f64_e32 v[132:133], v[132:133], v[142:143]
	v_add_f64_e32 v[130:131], v[130:131], v[140:141]
	v_fma_f64 v[140:141], v[4:5], v[112:113], v[134:135]
	v_fma_f64 v[112:113], v[2:3], v[112:113], -v[144:145]
	ds_load_b128 v[2:5], v1 offset:800
	ds_load_b128 v[134:137], v1 offset:816
	v_fma_f64 v[128:129], v[128:129], v[6:7], v[138:139]
	v_fma_f64 v[126:127], v[126:127], v[6:7], -v[8:9]
	scratch_load_b128 v[6:9], off, off offset:384
	v_add_f64_e32 v[124:125], v[132:133], v[124:125]
	v_add_f64_e32 v[118:119], v[130:131], v[118:119]
	scratch_load_b128 v[130:133], off, off offset:368
	s_wait_loadcnt_dscnt 0x901
	v_mul_f64_e32 v[142:143], v[2:3], v[12:13]
	v_mul_f64_e32 v[12:13], v[4:5], v[12:13]
	s_wait_loadcnt_dscnt 0x800
	v_mul_f64_e32 v[138:139], v[134:135], v[16:17]
	v_mul_f64_e32 v[16:17], v[136:137], v[16:17]
	v_add_f64_e32 v[112:113], v[124:125], v[112:113]
	v_add_f64_e32 v[118:119], v[118:119], v[140:141]
	v_fma_f64 v[140:141], v[4:5], v[10:11], v[142:143]
	v_fma_f64 v[142:143], v[2:3], v[10:11], -v[12:13]
	ds_load_b128 v[2:5], v1 offset:832
	scratch_load_b128 v[10:13], off, off offset:400
	v_fma_f64 v[136:137], v[136:137], v[14:15], v[138:139]
	v_fma_f64 v[134:135], v[134:135], v[14:15], -v[16:17]
	scratch_load_b128 v[14:17], off, off offset:416
	v_add_f64_e32 v[112:113], v[112:113], v[126:127]
	v_add_f64_e32 v[118:119], v[118:119], v[128:129]
	ds_load_b128 v[124:127], v1 offset:848
	s_wait_loadcnt_dscnt 0x901
	v_mul_f64_e32 v[128:129], v[2:3], v[20:21]
	v_mul_f64_e32 v[20:21], v[4:5], v[20:21]
	s_wait_loadcnt_dscnt 0x800
	v_mul_f64_e32 v[138:139], v[124:125], v[24:25]
	v_mul_f64_e32 v[24:25], v[126:127], v[24:25]
	v_add_f64_e32 v[112:113], v[112:113], v[142:143]
	v_add_f64_e32 v[118:119], v[118:119], v[140:141]
	v_fma_f64 v[128:129], v[4:5], v[18:19], v[128:129]
	v_fma_f64 v[140:141], v[2:3], v[18:19], -v[20:21]
	ds_load_b128 v[2:5], v1 offset:864
	scratch_load_b128 v[18:21], off, off offset:432
	v_fma_f64 v[126:127], v[126:127], v[22:23], v[138:139]
	v_fma_f64 v[124:125], v[124:125], v[22:23], -v[24:25]
	scratch_load_b128 v[22:25], off, off offset:448
	v_add_f64_e32 v[112:113], v[112:113], v[134:135]
	v_add_f64_e32 v[118:119], v[118:119], v[136:137]
	ds_load_b128 v[134:137], v1 offset:880
	s_wait_loadcnt_dscnt 0x901
	v_mul_f64_e32 v[142:143], v[2:3], v[28:29]
	v_mul_f64_e32 v[28:29], v[4:5], v[28:29]
	v_add_f64_e32 v[112:113], v[112:113], v[140:141]
	v_add_f64_e32 v[118:119], v[118:119], v[128:129]
	s_wait_loadcnt_dscnt 0x800
	v_mul_f64_e32 v[128:129], v[134:135], v[32:33]
	v_mul_f64_e32 v[32:33], v[136:137], v[32:33]
	v_fma_f64 v[138:139], v[4:5], v[26:27], v[142:143]
	v_fma_f64 v[140:141], v[2:3], v[26:27], -v[28:29]
	ds_load_b128 v[2:5], v1 offset:896
	scratch_load_b128 v[26:29], off, off offset:464
	v_add_f64_e32 v[112:113], v[112:113], v[124:125]
	v_add_f64_e32 v[118:119], v[118:119], v[126:127]
	ds_load_b128 v[124:127], v1 offset:912
	s_wait_loadcnt_dscnt 0x801
	v_mul_f64_e32 v[142:143], v[2:3], v[110:111]
	v_mul_f64_e32 v[110:111], v[4:5], v[110:111]
	v_fma_f64 v[128:129], v[136:137], v[30:31], v[128:129]
	v_fma_f64 v[134:135], v[134:135], v[30:31], -v[32:33]
	scratch_load_b128 v[30:33], off, off offset:480
	s_wait_loadcnt_dscnt 0x800
	v_mul_f64_e32 v[136:137], v[124:125], v[116:117]
	v_add_f64_e32 v[112:113], v[112:113], v[140:141]
	v_add_f64_e32 v[118:119], v[118:119], v[138:139]
	v_mul_f64_e32 v[138:139], v[126:127], v[116:117]
	v_fma_f64 v[140:141], v[4:5], v[108:109], v[142:143]
	v_fma_f64 v[142:143], v[2:3], v[108:109], -v[110:111]
	ds_load_b128 v[2:5], v1 offset:928
	scratch_load_b128 v[108:111], off, off offset:496
	v_fma_f64 v[126:127], v[126:127], v[114:115], v[136:137]
	v_add_f64_e32 v[112:113], v[112:113], v[134:135]
	v_add_f64_e32 v[128:129], v[118:119], v[128:129]
	ds_load_b128 v[116:119], v1 offset:944
	v_fma_f64 v[124:125], v[124:125], v[114:115], -v[138:139]
	s_wait_loadcnt_dscnt 0x701
	v_mul_f64_e32 v[134:135], v[2:3], v[132:133]
	v_mul_f64_e32 v[132:133], v[4:5], v[132:133]
	s_wait_dscnt 0x0
	v_mul_f64_e32 v[138:139], v[116:117], v[8:9]
	v_mul_f64_e32 v[8:9], v[118:119], v[8:9]
	v_add_f64_e32 v[136:137], v[112:113], v[142:143]
	v_add_f64_e32 v[128:129], v[128:129], v[140:141]
	scratch_load_b128 v[112:115], off, off offset:512
	v_fma_f64 v[134:135], v[4:5], v[130:131], v[134:135]
	v_fma_f64 v[132:133], v[2:3], v[130:131], -v[132:133]
	ds_load_b128 v[2:5], v1 offset:960
	v_fma_f64 v[118:119], v[118:119], v[6:7], v[138:139]
	v_fma_f64 v[116:117], v[116:117], v[6:7], -v[8:9]
	scratch_load_b128 v[6:9], off, off offset:544
	v_add_f64_e32 v[136:137], v[136:137], v[124:125]
	v_add_f64_e32 v[140:141], v[128:129], v[126:127]
	scratch_load_b128 v[124:127], off, off offset:528
	ds_load_b128 v[128:131], v1 offset:976
	s_wait_loadcnt_dscnt 0x901
	v_mul_f64_e32 v[142:143], v[2:3], v[12:13]
	v_mul_f64_e32 v[12:13], v[4:5], v[12:13]
	v_add_f64_e32 v[132:133], v[136:137], v[132:133]
	v_add_f64_e32 v[134:135], v[140:141], v[134:135]
	s_wait_loadcnt_dscnt 0x800
	v_mul_f64_e32 v[136:137], v[128:129], v[16:17]
	v_mul_f64_e32 v[16:17], v[130:131], v[16:17]
	v_fma_f64 v[138:139], v[4:5], v[10:11], v[142:143]
	v_fma_f64 v[140:141], v[2:3], v[10:11], -v[12:13]
	ds_load_b128 v[2:5], v1 offset:992
	scratch_load_b128 v[10:13], off, off offset:560
	v_add_f64_e32 v[132:133], v[132:133], v[116:117]
	v_add_f64_e32 v[134:135], v[134:135], v[118:119]
	ds_load_b128 v[116:119], v1 offset:1008
	s_wait_loadcnt_dscnt 0x801
	v_mul_f64_e32 v[142:143], v[2:3], v[20:21]
	v_mul_f64_e32 v[20:21], v[4:5], v[20:21]
	v_fma_f64 v[130:131], v[130:131], v[14:15], v[136:137]
	v_fma_f64 v[128:129], v[128:129], v[14:15], -v[16:17]
	scratch_load_b128 v[14:17], off, off offset:576
	s_wait_loadcnt_dscnt 0x800
	v_mul_f64_e32 v[136:137], v[116:117], v[24:25]
	v_mul_f64_e32 v[24:25], v[118:119], v[24:25]
	v_add_f64_e32 v[132:133], v[132:133], v[140:141]
	v_add_f64_e32 v[134:135], v[134:135], v[138:139]
	v_fma_f64 v[138:139], v[4:5], v[18:19], v[142:143]
	v_fma_f64 v[140:141], v[2:3], v[18:19], -v[20:21]
	ds_load_b128 v[2:5], v1 offset:1024
	ds_load_b128 v[18:21], v1 offset:1040
	v_fma_f64 v[118:119], v[118:119], v[22:23], v[136:137]
	v_fma_f64 v[22:23], v[116:117], v[22:23], -v[24:25]
	v_add_f64_e32 v[128:129], v[132:133], v[128:129]
	v_add_f64_e32 v[130:131], v[134:135], v[130:131]
	s_wait_loadcnt_dscnt 0x701
	v_mul_f64_e32 v[132:133], v[2:3], v[28:29]
	v_mul_f64_e32 v[28:29], v[4:5], v[28:29]
	s_delay_alu instid0(VALU_DEP_4) | instskip(NEXT) | instid1(VALU_DEP_4)
	v_add_f64_e32 v[24:25], v[128:129], v[140:141]
	v_add_f64_e32 v[116:117], v[130:131], v[138:139]
	s_wait_loadcnt_dscnt 0x600
	v_mul_f64_e32 v[128:129], v[18:19], v[32:33]
	v_mul_f64_e32 v[32:33], v[20:21], v[32:33]
	v_fma_f64 v[130:131], v[4:5], v[26:27], v[132:133]
	v_fma_f64 v[26:27], v[2:3], v[26:27], -v[28:29]
	v_add_f64_e32 v[28:29], v[24:25], v[22:23]
	v_add_f64_e32 v[116:117], v[116:117], v[118:119]
	ds_load_b128 v[2:5], v1 offset:1056
	ds_load_b128 v[22:25], v1 offset:1072
	v_fma_f64 v[20:21], v[20:21], v[30:31], v[128:129]
	v_fma_f64 v[18:19], v[18:19], v[30:31], -v[32:33]
	s_wait_loadcnt_dscnt 0x501
	v_mul_f64_e32 v[118:119], v[2:3], v[110:111]
	v_mul_f64_e32 v[110:111], v[4:5], v[110:111]
	v_add_f64_e32 v[26:27], v[28:29], v[26:27]
	v_add_f64_e32 v[28:29], v[116:117], v[130:131]
	s_wait_loadcnt_dscnt 0x400
	v_mul_f64_e32 v[30:31], v[22:23], v[114:115]
	v_mul_f64_e32 v[32:33], v[24:25], v[114:115]
	v_fma_f64 v[114:115], v[4:5], v[108:109], v[118:119]
	v_fma_f64 v[108:109], v[2:3], v[108:109], -v[110:111]
	v_add_f64_e32 v[26:27], v[26:27], v[18:19]
	v_add_f64_e32 v[28:29], v[28:29], v[20:21]
	ds_load_b128 v[2:5], v1 offset:1088
	ds_load_b128 v[18:21], v1 offset:1104
	v_fma_f64 v[24:25], v[24:25], v[112:113], v[30:31]
	v_fma_f64 v[22:23], v[22:23], v[112:113], -v[32:33]
	s_wait_loadcnt_dscnt 0x201
	v_mul_f64_e32 v[110:111], v[2:3], v[126:127]
	v_mul_f64_e32 v[116:117], v[4:5], v[126:127]
	s_wait_dscnt 0x0
	v_mul_f64_e32 v[30:31], v[18:19], v[8:9]
	v_mul_f64_e32 v[8:9], v[20:21], v[8:9]
	v_add_f64_e32 v[26:27], v[26:27], v[108:109]
	v_add_f64_e32 v[28:29], v[28:29], v[114:115]
	v_fma_f64 v[32:33], v[4:5], v[124:125], v[110:111]
	v_fma_f64 v[108:109], v[2:3], v[124:125], -v[116:117]
	v_fma_f64 v[20:21], v[20:21], v[6:7], v[30:31]
	v_fma_f64 v[6:7], v[18:19], v[6:7], -v[8:9]
	v_add_f64_e32 v[26:27], v[26:27], v[22:23]
	v_add_f64_e32 v[28:29], v[28:29], v[24:25]
	ds_load_b128 v[2:5], v1 offset:1120
	ds_load_b128 v[22:25], v1 offset:1136
	s_wait_loadcnt_dscnt 0x101
	v_mul_f64_e32 v[110:111], v[2:3], v[12:13]
	v_mul_f64_e32 v[12:13], v[4:5], v[12:13]
	v_add_f64_e32 v[8:9], v[26:27], v[108:109]
	v_add_f64_e32 v[18:19], v[28:29], v[32:33]
	s_wait_loadcnt_dscnt 0x0
	v_mul_f64_e32 v[26:27], v[22:23], v[16:17]
	v_mul_f64_e32 v[16:17], v[24:25], v[16:17]
	v_fma_f64 v[4:5], v[4:5], v[10:11], v[110:111]
	v_fma_f64 v[1:2], v[2:3], v[10:11], -v[12:13]
	v_add_f64_e32 v[6:7], v[8:9], v[6:7]
	v_add_f64_e32 v[8:9], v[18:19], v[20:21]
	v_fma_f64 v[10:11], v[24:25], v[14:15], v[26:27]
	v_fma_f64 v[12:13], v[22:23], v[14:15], -v[16:17]
	s_delay_alu instid0(VALU_DEP_4) | instskip(NEXT) | instid1(VALU_DEP_4)
	v_add_f64_e32 v[1:2], v[6:7], v[1:2]
	v_add_f64_e32 v[3:4], v[8:9], v[4:5]
	s_delay_alu instid0(VALU_DEP_2) | instskip(NEXT) | instid1(VALU_DEP_2)
	v_add_f64_e32 v[1:2], v[1:2], v[12:13]
	v_add_f64_e32 v[3:4], v[3:4], v[10:11]
	s_delay_alu instid0(VALU_DEP_2) | instskip(NEXT) | instid1(VALU_DEP_2)
	v_add_f64_e64 v[1:2], v[120:121], -v[1:2]
	v_add_f64_e64 v[3:4], v[122:123], -v[3:4]
	scratch_store_b128 off, v[1:4], off offset:32
	v_cmpx_ne_u32_e32 0, v0
	s_cbranch_execz .LBB99_229
; %bb.228:
	scratch_load_b128 v[0:3], off, off offset:16
	v_mov_b32_e32 v4, 0
	s_delay_alu instid0(VALU_DEP_1)
	v_dual_mov_b32 v5, v4 :: v_dual_mov_b32 v6, v4
	v_mov_b32_e32 v7, v4
	scratch_store_b128 off, v[4:7], off offset:16
	s_wait_loadcnt 0x0
	ds_store_b128 v34, v[0:3]
.LBB99_229:
	s_wait_alu 0xfffe
	s_or_b32 exec_lo, exec_lo, s0
	s_wait_storecnt_dscnt 0x0
	s_barrier_signal -1
	s_barrier_wait -1
	global_inv scope:SCOPE_SE
	s_clause 0x7
	scratch_load_b128 v[0:3], off, off offset:32
	scratch_load_b128 v[4:7], off, off offset:48
	;; [unrolled: 1-line block ×8, first 2 shown]
	v_mov_b32_e32 v108, 0
	s_and_b32 vcc_lo, exec_lo, s12
	ds_load_b128 v[109:112], v108 offset:592
	s_clause 0x1
	scratch_load_b128 v[32:35], off, off offset:160
	scratch_load_b128 v[113:116], off, off offset:16
	ds_load_b128 v[117:120], v108 offset:608
	scratch_load_b128 v[121:124], off, off offset:176
	s_wait_loadcnt_dscnt 0xa01
	v_mul_f64_e32 v[125:126], v[111:112], v[2:3]
	v_mul_f64_e32 v[2:3], v[109:110], v[2:3]
	s_delay_alu instid0(VALU_DEP_2) | instskip(NEXT) | instid1(VALU_DEP_2)
	v_fma_f64 v[131:132], v[109:110], v[0:1], -v[125:126]
	v_fma_f64 v[133:134], v[111:112], v[0:1], v[2:3]
	ds_load_b128 v[0:3], v108 offset:624
	s_wait_loadcnt_dscnt 0x901
	v_mul_f64_e32 v[129:130], v[117:118], v[6:7]
	v_mul_f64_e32 v[6:7], v[119:120], v[6:7]
	scratch_load_b128 v[109:112], off, off offset:192
	ds_load_b128 v[125:128], v108 offset:640
	s_wait_loadcnt_dscnt 0x901
	v_mul_f64_e32 v[135:136], v[0:1], v[10:11]
	v_mul_f64_e32 v[10:11], v[2:3], v[10:11]
	v_fma_f64 v[119:120], v[119:120], v[4:5], v[129:130]
	v_fma_f64 v[117:118], v[117:118], v[4:5], -v[6:7]
	v_add_f64_e32 v[129:130], 0, v[131:132]
	v_add_f64_e32 v[131:132], 0, v[133:134]
	scratch_load_b128 v[4:7], off, off offset:208
	v_fma_f64 v[135:136], v[2:3], v[8:9], v[135:136]
	v_fma_f64 v[137:138], v[0:1], v[8:9], -v[10:11]
	ds_load_b128 v[0:3], v108 offset:656
	s_wait_loadcnt_dscnt 0x901
	v_mul_f64_e32 v[133:134], v[125:126], v[14:15]
	v_mul_f64_e32 v[14:15], v[127:128], v[14:15]
	scratch_load_b128 v[8:11], off, off offset:224
	v_add_f64_e32 v[129:130], v[129:130], v[117:118]
	v_add_f64_e32 v[131:132], v[131:132], v[119:120]
	s_wait_loadcnt_dscnt 0x900
	v_mul_f64_e32 v[139:140], v[0:1], v[18:19]
	v_mul_f64_e32 v[18:19], v[2:3], v[18:19]
	ds_load_b128 v[117:120], v108 offset:672
	v_fma_f64 v[127:128], v[127:128], v[12:13], v[133:134]
	v_fma_f64 v[125:126], v[125:126], v[12:13], -v[14:15]
	scratch_load_b128 v[12:15], off, off offset:240
	v_add_f64_e32 v[129:130], v[129:130], v[137:138]
	v_add_f64_e32 v[131:132], v[131:132], v[135:136]
	v_fma_f64 v[135:136], v[2:3], v[16:17], v[139:140]
	v_fma_f64 v[137:138], v[0:1], v[16:17], -v[18:19]
	ds_load_b128 v[0:3], v108 offset:688
	s_wait_loadcnt_dscnt 0x901
	v_mul_f64_e32 v[133:134], v[117:118], v[22:23]
	v_mul_f64_e32 v[22:23], v[119:120], v[22:23]
	scratch_load_b128 v[16:19], off, off offset:256
	s_wait_loadcnt_dscnt 0x900
	v_mul_f64_e32 v[139:140], v[0:1], v[26:27]
	v_mul_f64_e32 v[26:27], v[2:3], v[26:27]
	v_add_f64_e32 v[129:130], v[129:130], v[125:126]
	v_add_f64_e32 v[131:132], v[131:132], v[127:128]
	ds_load_b128 v[125:128], v108 offset:704
	v_fma_f64 v[119:120], v[119:120], v[20:21], v[133:134]
	v_fma_f64 v[117:118], v[117:118], v[20:21], -v[22:23]
	scratch_load_b128 v[20:23], off, off offset:272
	v_add_f64_e32 v[129:130], v[129:130], v[137:138]
	v_add_f64_e32 v[131:132], v[131:132], v[135:136]
	v_fma_f64 v[135:136], v[2:3], v[24:25], v[139:140]
	v_fma_f64 v[137:138], v[0:1], v[24:25], -v[26:27]
	ds_load_b128 v[0:3], v108 offset:720
	s_wait_loadcnt_dscnt 0x901
	v_mul_f64_e32 v[133:134], v[125:126], v[30:31]
	v_mul_f64_e32 v[30:31], v[127:128], v[30:31]
	scratch_load_b128 v[24:27], off, off offset:288
	s_wait_loadcnt_dscnt 0x900
	v_mul_f64_e32 v[139:140], v[0:1], v[34:35]
	v_mul_f64_e32 v[34:35], v[2:3], v[34:35]
	v_add_f64_e32 v[129:130], v[129:130], v[117:118]
	v_add_f64_e32 v[131:132], v[131:132], v[119:120]
	ds_load_b128 v[117:120], v108 offset:736
	v_fma_f64 v[127:128], v[127:128], v[28:29], v[133:134]
	v_fma_f64 v[125:126], v[125:126], v[28:29], -v[30:31]
	scratch_load_b128 v[28:31], off, off offset:304
	v_add_f64_e32 v[129:130], v[129:130], v[137:138]
	v_add_f64_e32 v[131:132], v[131:132], v[135:136]
	v_fma_f64 v[137:138], v[2:3], v[32:33], v[139:140]
	v_fma_f64 v[139:140], v[0:1], v[32:33], -v[34:35]
	ds_load_b128 v[0:3], v108 offset:752
	s_wait_loadcnt_dscnt 0x801
	v_mul_f64_e32 v[133:134], v[117:118], v[123:124]
	v_mul_f64_e32 v[135:136], v[119:120], v[123:124]
	scratch_load_b128 v[32:35], off, off offset:320
	v_add_f64_e32 v[129:130], v[129:130], v[125:126]
	v_add_f64_e32 v[127:128], v[131:132], v[127:128]
	ds_load_b128 v[123:126], v108 offset:768
	v_fma_f64 v[133:134], v[119:120], v[121:122], v[133:134]
	v_fma_f64 v[121:122], v[117:118], v[121:122], -v[135:136]
	scratch_load_b128 v[117:120], off, off offset:336
	s_wait_loadcnt_dscnt 0x901
	v_mul_f64_e32 v[131:132], v[0:1], v[111:112]
	v_mul_f64_e32 v[111:112], v[2:3], v[111:112]
	v_add_f64_e32 v[129:130], v[129:130], v[139:140]
	v_add_f64_e32 v[127:128], v[127:128], v[137:138]
	s_delay_alu instid0(VALU_DEP_4) | instskip(NEXT) | instid1(VALU_DEP_4)
	v_fma_f64 v[131:132], v[2:3], v[109:110], v[131:132]
	v_fma_f64 v[137:138], v[0:1], v[109:110], -v[111:112]
	ds_load_b128 v[0:3], v108 offset:784
	s_wait_loadcnt_dscnt 0x801
	v_mul_f64_e32 v[135:136], v[123:124], v[6:7]
	v_mul_f64_e32 v[6:7], v[125:126], v[6:7]
	scratch_load_b128 v[109:112], off, off offset:352
	s_wait_loadcnt_dscnt 0x800
	v_mul_f64_e32 v[139:140], v[0:1], v[10:11]
	v_add_f64_e32 v[121:122], v[129:130], v[121:122]
	v_add_f64_e32 v[133:134], v[127:128], v[133:134]
	v_mul_f64_e32 v[10:11], v[2:3], v[10:11]
	ds_load_b128 v[127:130], v108 offset:800
	v_fma_f64 v[125:126], v[125:126], v[4:5], v[135:136]
	v_fma_f64 v[123:124], v[123:124], v[4:5], -v[6:7]
	scratch_load_b128 v[4:7], off, off offset:368
	v_fma_f64 v[135:136], v[2:3], v[8:9], v[139:140]
	v_add_f64_e32 v[121:122], v[121:122], v[137:138]
	v_add_f64_e32 v[131:132], v[133:134], v[131:132]
	v_fma_f64 v[137:138], v[0:1], v[8:9], -v[10:11]
	ds_load_b128 v[0:3], v108 offset:816
	s_wait_loadcnt_dscnt 0x801
	v_mul_f64_e32 v[133:134], v[127:128], v[14:15]
	v_mul_f64_e32 v[14:15], v[129:130], v[14:15]
	scratch_load_b128 v[8:11], off, off offset:384
	v_add_f64_e32 v[139:140], v[121:122], v[123:124]
	v_add_f64_e32 v[125:126], v[131:132], v[125:126]
	s_wait_loadcnt_dscnt 0x800
	v_mul_f64_e32 v[131:132], v[0:1], v[18:19]
	v_mul_f64_e32 v[18:19], v[2:3], v[18:19]
	v_fma_f64 v[129:130], v[129:130], v[12:13], v[133:134]
	v_fma_f64 v[127:128], v[127:128], v[12:13], -v[14:15]
	ds_load_b128 v[121:124], v108 offset:832
	scratch_load_b128 v[12:15], off, off offset:400
	v_add_f64_e32 v[133:134], v[139:140], v[137:138]
	v_add_f64_e32 v[125:126], v[125:126], v[135:136]
	v_fma_f64 v[131:132], v[2:3], v[16:17], v[131:132]
	v_fma_f64 v[137:138], v[0:1], v[16:17], -v[18:19]
	ds_load_b128 v[0:3], v108 offset:848
	s_wait_loadcnt_dscnt 0x801
	v_mul_f64_e32 v[135:136], v[121:122], v[22:23]
	v_mul_f64_e32 v[22:23], v[123:124], v[22:23]
	scratch_load_b128 v[16:19], off, off offset:416
	s_wait_loadcnt_dscnt 0x800
	v_mul_f64_e32 v[139:140], v[0:1], v[26:27]
	v_mul_f64_e32 v[26:27], v[2:3], v[26:27]
	v_add_f64_e32 v[133:134], v[133:134], v[127:128]
	v_add_f64_e32 v[129:130], v[125:126], v[129:130]
	ds_load_b128 v[125:128], v108 offset:864
	v_fma_f64 v[123:124], v[123:124], v[20:21], v[135:136]
	v_fma_f64 v[121:122], v[121:122], v[20:21], -v[22:23]
	scratch_load_b128 v[20:23], off, off offset:432
	v_fma_f64 v[135:136], v[2:3], v[24:25], v[139:140]
	v_add_f64_e32 v[133:134], v[133:134], v[137:138]
	v_add_f64_e32 v[129:130], v[129:130], v[131:132]
	v_fma_f64 v[137:138], v[0:1], v[24:25], -v[26:27]
	ds_load_b128 v[0:3], v108 offset:880
	s_wait_loadcnt_dscnt 0x801
	v_mul_f64_e32 v[131:132], v[125:126], v[30:31]
	v_mul_f64_e32 v[30:31], v[127:128], v[30:31]
	scratch_load_b128 v[24:27], off, off offset:448
	s_wait_loadcnt_dscnt 0x800
	v_mul_f64_e32 v[139:140], v[0:1], v[34:35]
	v_mul_f64_e32 v[34:35], v[2:3], v[34:35]
	v_add_f64_e32 v[133:134], v[133:134], v[121:122]
	v_add_f64_e32 v[129:130], v[129:130], v[123:124]
	ds_load_b128 v[121:124], v108 offset:896
	v_fma_f64 v[127:128], v[127:128], v[28:29], v[131:132]
	v_fma_f64 v[125:126], v[125:126], v[28:29], -v[30:31]
	scratch_load_b128 v[28:31], off, off offset:464
	v_add_f64_e32 v[131:132], v[133:134], v[137:138]
	v_add_f64_e32 v[129:130], v[129:130], v[135:136]
	v_fma_f64 v[135:136], v[2:3], v[32:33], v[139:140]
	v_fma_f64 v[137:138], v[0:1], v[32:33], -v[34:35]
	ds_load_b128 v[0:3], v108 offset:912
	s_wait_loadcnt_dscnt 0x801
	v_mul_f64_e32 v[133:134], v[121:122], v[119:120]
	v_mul_f64_e32 v[119:120], v[123:124], v[119:120]
	scratch_load_b128 v[32:35], off, off offset:480
	s_wait_loadcnt_dscnt 0x800
	v_mul_f64_e32 v[139:140], v[0:1], v[111:112]
	v_mul_f64_e32 v[111:112], v[2:3], v[111:112]
	v_add_f64_e32 v[131:132], v[131:132], v[125:126]
	v_add_f64_e32 v[129:130], v[129:130], v[127:128]
	ds_load_b128 v[125:128], v108 offset:928
	v_fma_f64 v[123:124], v[123:124], v[117:118], v[133:134]
	v_fma_f64 v[121:122], v[121:122], v[117:118], -v[119:120]
	scratch_load_b128 v[117:120], off, off offset:496
	v_add_f64_e32 v[131:132], v[131:132], v[137:138]
	v_add_f64_e32 v[129:130], v[129:130], v[135:136]
	v_fma_f64 v[135:136], v[2:3], v[109:110], v[139:140]
	;; [unrolled: 18-line block ×4, first 2 shown]
	v_fma_f64 v[137:138], v[0:1], v[16:17], -v[18:19]
	ds_load_b128 v[0:3], v108 offset:1008
	s_wait_loadcnt_dscnt 0x801
	v_mul_f64_e32 v[133:134], v[125:126], v[22:23]
	v_mul_f64_e32 v[22:23], v[127:128], v[22:23]
	scratch_load_b128 v[16:19], off, off offset:576
	s_wait_loadcnt_dscnt 0x800
	v_mul_f64_e32 v[139:140], v[0:1], v[26:27]
	v_mul_f64_e32 v[26:27], v[2:3], v[26:27]
	v_add_f64_e32 v[131:132], v[131:132], v[121:122]
	v_add_f64_e32 v[129:130], v[129:130], v[123:124]
	ds_load_b128 v[121:124], v108 offset:1024
	v_fma_f64 v[127:128], v[127:128], v[20:21], v[133:134]
	v_fma_f64 v[20:21], v[125:126], v[20:21], -v[22:23]
	v_add_f64_e32 v[22:23], v[131:132], v[137:138]
	v_add_f64_e32 v[125:126], v[129:130], v[135:136]
	s_wait_loadcnt_dscnt 0x700
	v_mul_f64_e32 v[129:130], v[121:122], v[30:31]
	v_mul_f64_e32 v[30:31], v[123:124], v[30:31]
	v_fma_f64 v[131:132], v[2:3], v[24:25], v[139:140]
	v_fma_f64 v[24:25], v[0:1], v[24:25], -v[26:27]
	v_add_f64_e32 v[26:27], v[22:23], v[20:21]
	v_add_f64_e32 v[125:126], v[125:126], v[127:128]
	ds_load_b128 v[0:3], v108 offset:1040
	ds_load_b128 v[20:23], v108 offset:1056
	v_fma_f64 v[123:124], v[123:124], v[28:29], v[129:130]
	v_fma_f64 v[28:29], v[121:122], v[28:29], -v[30:31]
	s_wait_loadcnt_dscnt 0x601
	v_mul_f64_e32 v[127:128], v[0:1], v[34:35]
	v_mul_f64_e32 v[34:35], v[2:3], v[34:35]
	s_wait_loadcnt_dscnt 0x500
	v_mul_f64_e32 v[30:31], v[20:21], v[119:120]
	v_mul_f64_e32 v[119:120], v[22:23], v[119:120]
	v_add_f64_e32 v[24:25], v[26:27], v[24:25]
	v_add_f64_e32 v[26:27], v[125:126], v[131:132]
	v_fma_f64 v[121:122], v[2:3], v[32:33], v[127:128]
	v_fma_f64 v[32:33], v[0:1], v[32:33], -v[34:35]
	v_fma_f64 v[22:23], v[22:23], v[117:118], v[30:31]
	v_fma_f64 v[20:21], v[20:21], v[117:118], -v[119:120]
	v_add_f64_e32 v[28:29], v[24:25], v[28:29]
	v_add_f64_e32 v[34:35], v[26:27], v[123:124]
	ds_load_b128 v[0:3], v108 offset:1072
	ds_load_b128 v[24:27], v108 offset:1088
	s_wait_loadcnt_dscnt 0x401
	v_mul_f64_e32 v[123:124], v[0:1], v[111:112]
	v_mul_f64_e32 v[111:112], v[2:3], v[111:112]
	v_add_f64_e32 v[28:29], v[28:29], v[32:33]
	v_add_f64_e32 v[30:31], v[34:35], v[121:122]
	s_wait_loadcnt_dscnt 0x300
	v_mul_f64_e32 v[32:33], v[24:25], v[6:7]
	v_mul_f64_e32 v[6:7], v[26:27], v[6:7]
	v_fma_f64 v[34:35], v[2:3], v[109:110], v[123:124]
	v_fma_f64 v[109:110], v[0:1], v[109:110], -v[111:112]
	v_add_f64_e32 v[28:29], v[28:29], v[20:21]
	v_add_f64_e32 v[30:31], v[30:31], v[22:23]
	ds_load_b128 v[0:3], v108 offset:1104
	ds_load_b128 v[20:23], v108 offset:1120
	v_fma_f64 v[26:27], v[26:27], v[4:5], v[32:33]
	v_fma_f64 v[4:5], v[24:25], v[4:5], -v[6:7]
	s_wait_loadcnt_dscnt 0x201
	v_mul_f64_e32 v[111:112], v[0:1], v[10:11]
	v_mul_f64_e32 v[10:11], v[2:3], v[10:11]
	v_add_f64_e32 v[6:7], v[28:29], v[109:110]
	v_add_f64_e32 v[24:25], v[30:31], v[34:35]
	s_wait_loadcnt_dscnt 0x100
	v_mul_f64_e32 v[28:29], v[20:21], v[14:15]
	v_mul_f64_e32 v[14:15], v[22:23], v[14:15]
	v_fma_f64 v[30:31], v[2:3], v[8:9], v[111:112]
	v_fma_f64 v[8:9], v[0:1], v[8:9], -v[10:11]
	ds_load_b128 v[0:3], v108 offset:1136
	v_add_f64_e32 v[4:5], v[6:7], v[4:5]
	v_add_f64_e32 v[6:7], v[24:25], v[26:27]
	v_fma_f64 v[22:23], v[22:23], v[12:13], v[28:29]
	v_fma_f64 v[12:13], v[20:21], v[12:13], -v[14:15]
	s_wait_loadcnt_dscnt 0x0
	v_mul_f64_e32 v[10:11], v[0:1], v[18:19]
	v_mul_f64_e32 v[18:19], v[2:3], v[18:19]
	v_add_f64_e32 v[4:5], v[4:5], v[8:9]
	v_add_f64_e32 v[6:7], v[6:7], v[30:31]
	s_delay_alu instid0(VALU_DEP_4) | instskip(NEXT) | instid1(VALU_DEP_4)
	v_fma_f64 v[2:3], v[2:3], v[16:17], v[10:11]
	v_fma_f64 v[0:1], v[0:1], v[16:17], -v[18:19]
	s_delay_alu instid0(VALU_DEP_4) | instskip(NEXT) | instid1(VALU_DEP_4)
	v_add_f64_e32 v[4:5], v[4:5], v[12:13]
	v_add_f64_e32 v[6:7], v[6:7], v[22:23]
	s_delay_alu instid0(VALU_DEP_2) | instskip(NEXT) | instid1(VALU_DEP_2)
	v_add_f64_e32 v[0:1], v[4:5], v[0:1]
	v_add_f64_e32 v[2:3], v[6:7], v[2:3]
	s_delay_alu instid0(VALU_DEP_2) | instskip(NEXT) | instid1(VALU_DEP_2)
	v_add_f64_e64 v[0:1], v[113:114], -v[0:1]
	v_add_f64_e64 v[2:3], v[115:116], -v[2:3]
	scratch_store_b128 off, v[0:3], off offset:16
	s_wait_alu 0xfffe
	s_cbranch_vccz .LBB99_300
; %bb.230:
	global_load_b32 v0, v108, s[2:3] offset:136
	s_wait_loadcnt 0x0
	v_cmp_ne_u32_e32 vcc_lo, 35, v0
	s_cbranch_vccz .LBB99_232
; %bb.231:
	v_lshlrev_b32_e32 v0, 4, v0
	s_delay_alu instid0(VALU_DEP_1)
	v_add_nc_u32_e32 v8, 16, v0
	s_clause 0x1
	scratch_load_b128 v[0:3], v8, off offset:-16
	scratch_load_b128 v[4:7], off, s42
	s_wait_loadcnt 0x1
	scratch_store_b128 off, v[0:3], s42
	s_wait_loadcnt 0x0
	scratch_store_b128 v8, v[4:7], off offset:-16
.LBB99_232:
	v_mov_b32_e32 v0, 0
	global_load_b32 v1, v0, s[2:3] offset:132
	s_wait_loadcnt 0x0
	v_cmp_eq_u32_e32 vcc_lo, 34, v1
	s_cbranch_vccnz .LBB99_234
; %bb.233:
	v_lshlrev_b32_e32 v1, 4, v1
	s_delay_alu instid0(VALU_DEP_1)
	v_add_nc_u32_e32 v9, 16, v1
	s_clause 0x1
	scratch_load_b128 v[1:4], v9, off offset:-16
	scratch_load_b128 v[5:8], off, s23
	s_wait_loadcnt 0x1
	scratch_store_b128 off, v[1:4], s23
	s_wait_loadcnt 0x0
	scratch_store_b128 v9, v[5:8], off offset:-16
.LBB99_234:
	global_load_b32 v0, v0, s[2:3] offset:128
	s_wait_loadcnt 0x0
	v_cmp_eq_u32_e32 vcc_lo, 33, v0
	s_cbranch_vccnz .LBB99_236
; %bb.235:
	v_lshlrev_b32_e32 v0, 4, v0
	s_delay_alu instid0(VALU_DEP_1)
	v_add_nc_u32_e32 v8, 16, v0
	s_clause 0x1
	scratch_load_b128 v[0:3], v8, off offset:-16
	scratch_load_b128 v[4:7], off, s41
	s_wait_loadcnt 0x1
	scratch_store_b128 off, v[0:3], s41
	s_wait_loadcnt 0x0
	scratch_store_b128 v8, v[4:7], off offset:-16
.LBB99_236:
	v_mov_b32_e32 v0, 0
	global_load_b32 v1, v0, s[2:3] offset:124
	s_wait_loadcnt 0x0
	v_cmp_eq_u32_e32 vcc_lo, 32, v1
	s_cbranch_vccnz .LBB99_238
; %bb.237:
	v_lshlrev_b32_e32 v1, 4, v1
	s_delay_alu instid0(VALU_DEP_1)
	v_add_nc_u32_e32 v9, 16, v1
	s_clause 0x1
	scratch_load_b128 v[1:4], v9, off offset:-16
	scratch_load_b128 v[5:8], off, s22
	s_wait_loadcnt 0x1
	scratch_store_b128 off, v[1:4], s22
	s_wait_loadcnt 0x0
	scratch_store_b128 v9, v[5:8], off offset:-16
.LBB99_238:
	global_load_b32 v0, v0, s[2:3] offset:120
	s_wait_loadcnt 0x0
	v_cmp_eq_u32_e32 vcc_lo, 31, v0
	s_cbranch_vccnz .LBB99_240
; %bb.239:
	v_lshlrev_b32_e32 v0, 4, v0
	s_delay_alu instid0(VALU_DEP_1)
	v_add_nc_u32_e32 v8, 16, v0
	s_clause 0x1
	scratch_load_b128 v[0:3], v8, off offset:-16
	scratch_load_b128 v[4:7], off, s40
	s_wait_loadcnt 0x1
	scratch_store_b128 off, v[0:3], s40
	s_wait_loadcnt 0x0
	scratch_store_b128 v8, v[4:7], off offset:-16
.LBB99_240:
	;; [unrolled: 33-line block ×16, first 2 shown]
	v_mov_b32_e32 v0, 0
	global_load_b32 v1, v0, s[2:3] offset:4
	s_wait_loadcnt 0x0
	v_cmp_eq_u32_e32 vcc_lo, 2, v1
	s_cbranch_vccnz .LBB99_298
; %bb.297:
	v_lshlrev_b32_e32 v1, 4, v1
	s_delay_alu instid0(VALU_DEP_1)
	v_add_nc_u32_e32 v9, 16, v1
	s_clause 0x1
	scratch_load_b128 v[1:4], v9, off offset:-16
	scratch_load_b128 v[5:8], off, s44
	s_wait_loadcnt 0x1
	scratch_store_b128 off, v[1:4], s44
	s_wait_loadcnt 0x0
	scratch_store_b128 v9, v[5:8], off offset:-16
.LBB99_298:
	global_load_b32 v0, v0, s[2:3]
	s_wait_loadcnt 0x0
	v_cmp_eq_u32_e32 vcc_lo, 1, v0
	s_cbranch_vccnz .LBB99_300
; %bb.299:
	v_lshlrev_b32_e32 v0, 4, v0
	s_delay_alu instid0(VALU_DEP_1)
	v_add_nc_u32_e32 v8, 16, v0
	scratch_load_b128 v[0:3], v8, off offset:-16
	scratch_load_b128 v[4:7], off, off offset:16
	s_wait_loadcnt 0x1
	scratch_store_b128 off, v[0:3], off offset:16
	s_wait_loadcnt 0x0
	scratch_store_b128 v8, v[4:7], off offset:-16
.LBB99_300:
	scratch_load_b128 v[0:3], off, off offset:16
	s_wait_loadcnt 0x0
	flat_store_b128 v[36:37], v[0:3]
	scratch_load_b128 v[0:3], off, s44
	s_wait_loadcnt 0x0
	flat_store_b128 v[38:39], v[0:3]
	scratch_load_b128 v[0:3], off, s43
	;; [unrolled: 3-line block ×35, first 2 shown]
	s_wait_loadcnt 0x0
	flat_store_b128 v[106:107], v[0:3]
	s_nop 0
	s_sendmsg sendmsg(MSG_DEALLOC_VGPRS)
	s_endpgm
	.section	.rodata,"a",@progbits
	.p2align	6, 0x0
	.amdhsa_kernel _ZN9rocsolver6v33100L18getri_kernel_smallILi36E19rocblas_complex_numIdEPKPS3_EEvT1_iilPiilS8_bb
		.amdhsa_group_segment_fixed_size 1160
		.amdhsa_private_segment_fixed_size 608
		.amdhsa_kernarg_size 60
		.amdhsa_user_sgpr_count 2
		.amdhsa_user_sgpr_dispatch_ptr 0
		.amdhsa_user_sgpr_queue_ptr 0
		.amdhsa_user_sgpr_kernarg_segment_ptr 1
		.amdhsa_user_sgpr_dispatch_id 0
		.amdhsa_user_sgpr_private_segment_size 0
		.amdhsa_wavefront_size32 1
		.amdhsa_uses_dynamic_stack 0
		.amdhsa_enable_private_segment 1
		.amdhsa_system_sgpr_workgroup_id_x 1
		.amdhsa_system_sgpr_workgroup_id_y 0
		.amdhsa_system_sgpr_workgroup_id_z 0
		.amdhsa_system_sgpr_workgroup_info 0
		.amdhsa_system_vgpr_workitem_id 0
		.amdhsa_next_free_vgpr 146
		.amdhsa_next_free_sgpr 48
		.amdhsa_reserve_vcc 1
		.amdhsa_float_round_mode_32 0
		.amdhsa_float_round_mode_16_64 0
		.amdhsa_float_denorm_mode_32 3
		.amdhsa_float_denorm_mode_16_64 3
		.amdhsa_fp16_overflow 0
		.amdhsa_workgroup_processor_mode 1
		.amdhsa_memory_ordered 1
		.amdhsa_forward_progress 1
		.amdhsa_inst_pref_size 255
		.amdhsa_round_robin_scheduling 0
		.amdhsa_exception_fp_ieee_invalid_op 0
		.amdhsa_exception_fp_denorm_src 0
		.amdhsa_exception_fp_ieee_div_zero 0
		.amdhsa_exception_fp_ieee_overflow 0
		.amdhsa_exception_fp_ieee_underflow 0
		.amdhsa_exception_fp_ieee_inexact 0
		.amdhsa_exception_int_div_zero 0
	.end_amdhsa_kernel
	.section	.text._ZN9rocsolver6v33100L18getri_kernel_smallILi36E19rocblas_complex_numIdEPKPS3_EEvT1_iilPiilS8_bb,"axG",@progbits,_ZN9rocsolver6v33100L18getri_kernel_smallILi36E19rocblas_complex_numIdEPKPS3_EEvT1_iilPiilS8_bb,comdat
.Lfunc_end99:
	.size	_ZN9rocsolver6v33100L18getri_kernel_smallILi36E19rocblas_complex_numIdEPKPS3_EEvT1_iilPiilS8_bb, .Lfunc_end99-_ZN9rocsolver6v33100L18getri_kernel_smallILi36E19rocblas_complex_numIdEPKPS3_EEvT1_iilPiilS8_bb
                                        ; -- End function
	.set _ZN9rocsolver6v33100L18getri_kernel_smallILi36E19rocblas_complex_numIdEPKPS3_EEvT1_iilPiilS8_bb.num_vgpr, 146
	.set _ZN9rocsolver6v33100L18getri_kernel_smallILi36E19rocblas_complex_numIdEPKPS3_EEvT1_iilPiilS8_bb.num_agpr, 0
	.set _ZN9rocsolver6v33100L18getri_kernel_smallILi36E19rocblas_complex_numIdEPKPS3_EEvT1_iilPiilS8_bb.numbered_sgpr, 48
	.set _ZN9rocsolver6v33100L18getri_kernel_smallILi36E19rocblas_complex_numIdEPKPS3_EEvT1_iilPiilS8_bb.num_named_barrier, 0
	.set _ZN9rocsolver6v33100L18getri_kernel_smallILi36E19rocblas_complex_numIdEPKPS3_EEvT1_iilPiilS8_bb.private_seg_size, 608
	.set _ZN9rocsolver6v33100L18getri_kernel_smallILi36E19rocblas_complex_numIdEPKPS3_EEvT1_iilPiilS8_bb.uses_vcc, 1
	.set _ZN9rocsolver6v33100L18getri_kernel_smallILi36E19rocblas_complex_numIdEPKPS3_EEvT1_iilPiilS8_bb.uses_flat_scratch, 1
	.set _ZN9rocsolver6v33100L18getri_kernel_smallILi36E19rocblas_complex_numIdEPKPS3_EEvT1_iilPiilS8_bb.has_dyn_sized_stack, 0
	.set _ZN9rocsolver6v33100L18getri_kernel_smallILi36E19rocblas_complex_numIdEPKPS3_EEvT1_iilPiilS8_bb.has_recursion, 0
	.set _ZN9rocsolver6v33100L18getri_kernel_smallILi36E19rocblas_complex_numIdEPKPS3_EEvT1_iilPiilS8_bb.has_indirect_call, 0
	.section	.AMDGPU.csdata,"",@progbits
; Kernel info:
; codeLenInByte = 59796
; TotalNumSgprs: 50
; NumVgprs: 146
; ScratchSize: 608
; MemoryBound: 0
; FloatMode: 240
; IeeeMode: 1
; LDSByteSize: 1160 bytes/workgroup (compile time only)
; SGPRBlocks: 0
; VGPRBlocks: 18
; NumSGPRsForWavesPerEU: 50
; NumVGPRsForWavesPerEU: 146
; Occupancy: 9
; WaveLimiterHint : 1
; COMPUTE_PGM_RSRC2:SCRATCH_EN: 1
; COMPUTE_PGM_RSRC2:USER_SGPR: 2
; COMPUTE_PGM_RSRC2:TRAP_HANDLER: 0
; COMPUTE_PGM_RSRC2:TGID_X_EN: 1
; COMPUTE_PGM_RSRC2:TGID_Y_EN: 0
; COMPUTE_PGM_RSRC2:TGID_Z_EN: 0
; COMPUTE_PGM_RSRC2:TIDIG_COMP_CNT: 0
	.section	.text._ZN9rocsolver6v33100L18getri_kernel_smallILi37E19rocblas_complex_numIdEPKPS3_EEvT1_iilPiilS8_bb,"axG",@progbits,_ZN9rocsolver6v33100L18getri_kernel_smallILi37E19rocblas_complex_numIdEPKPS3_EEvT1_iilPiilS8_bb,comdat
	.globl	_ZN9rocsolver6v33100L18getri_kernel_smallILi37E19rocblas_complex_numIdEPKPS3_EEvT1_iilPiilS8_bb ; -- Begin function _ZN9rocsolver6v33100L18getri_kernel_smallILi37E19rocblas_complex_numIdEPKPS3_EEvT1_iilPiilS8_bb
	.p2align	8
	.type	_ZN9rocsolver6v33100L18getri_kernel_smallILi37E19rocblas_complex_numIdEPKPS3_EEvT1_iilPiilS8_bb,@function
_ZN9rocsolver6v33100L18getri_kernel_smallILi37E19rocblas_complex_numIdEPKPS3_EEvT1_iilPiilS8_bb: ; @_ZN9rocsolver6v33100L18getri_kernel_smallILi37E19rocblas_complex_numIdEPKPS3_EEvT1_iilPiilS8_bb
; %bb.0:
	s_mov_b32 s2, exec_lo
	v_cmpx_gt_u32_e32 37, v0
	s_cbranch_execz .LBB100_162
; %bb.1:
	s_clause 0x1
	s_load_b32 s13, s[0:1], 0x38
	s_load_b64 s[2:3], s[0:1], 0x0
	s_mov_b32 s8, ttmp9
	s_load_b128 s[4:7], s[0:1], 0x28
	s_wait_kmcnt 0x0
	s_bitcmp1_b32 s13, 8
	s_cselect_b32 s12, -1, 0
	s_ashr_i32 s9, ttmp9, 31
	s_delay_alu instid0(SALU_CYCLE_1) | instskip(NEXT) | instid1(SALU_CYCLE_1)
	s_lshl_b64 s[10:11], s[8:9], 3
	s_add_nc_u64 s[2:3], s[2:3], s[10:11]
	s_load_b64 s[10:11], s[2:3], 0x0
	s_bfe_u32 s2, s13, 0x10008
	s_delay_alu instid0(SALU_CYCLE_1)
	s_cmp_eq_u32 s2, 0
                                        ; implicit-def: $sgpr2_sgpr3
	s_cbranch_scc1 .LBB100_3
; %bb.2:
	s_load_b96 s[16:18], s[0:1], 0x18
	s_mul_u64 s[2:3], s[4:5], s[8:9]
	s_delay_alu instid0(SALU_CYCLE_1)
	s_lshl_b64 s[2:3], s[2:3], 2
	s_wait_kmcnt 0x0
	s_ashr_i32 s5, s18, 31
	s_mov_b32 s4, s18
	s_add_nc_u64 s[2:3], s[16:17], s[2:3]
	s_lshl_b64 s[4:5], s[4:5], 2
	s_delay_alu instid0(SALU_CYCLE_1)
	s_add_nc_u64 s[2:3], s[2:3], s[4:5]
.LBB100_3:
	s_clause 0x1
	s_load_b64 s[4:5], s[0:1], 0x8
	s_load_b32 s46, s[0:1], 0x38
	v_lshlrev_b32_e32 v13, 4, v0
	s_mov_b32 s45, 32
	s_mov_b32 s44, 48
	;; [unrolled: 1-line block ×3, first 2 shown]
	s_wait_kmcnt 0x0
	s_ashr_i32 s1, s4, 31
	s_mov_b32 s0, s4
	v_add3_u32 v5, s5, s5, v0
	s_lshl_b64 s[0:1], s[0:1], 4
	s_delay_alu instid0(SALU_CYCLE_1)
	s_add_nc_u64 s[0:1], s[10:11], s[0:1]
	s_ashr_i32 s11, s5, 31
	v_add_co_u32 v38, s4, s0, v13
	s_wait_alu 0xf1ff
	v_add_co_ci_u32_e64 v39, null, s1, 0, s4
	s_mov_b32 s10, s5
	v_ashrrev_i32_e32 v6, 31, v5
	s_lshl_b64 s[10:11], s[10:11], 4
	flat_load_b128 v[1:4], v[38:39]
	v_add_co_u32 v40, vcc_lo, v38, s10
	s_delay_alu instid0(VALU_DEP_1) | instskip(SKIP_3) | instid1(VALU_DEP_2)
	v_add_co_ci_u32_e64 v41, null, s11, v39, vcc_lo
	v_lshlrev_b64_e32 v[6:7], 4, v[5:6]
	v_add_nc_u32_e32 v5, s5, v5
	s_movk_i32 s4, 0x50
	v_add_co_u32 v42, vcc_lo, s0, v6
	s_wait_alu 0xfffd
	s_delay_alu instid0(VALU_DEP_3) | instskip(SKIP_1) | instid1(VALU_DEP_1)
	v_add_co_ci_u32_e64 v43, null, s1, v7, vcc_lo
	v_ashrrev_i32_e32 v6, 31, v5
	v_lshlrev_b64_e32 v[6:7], 4, v[5:6]
	v_add_nc_u32_e32 v5, s5, v5
	s_delay_alu instid0(VALU_DEP_2) | instskip(SKIP_1) | instid1(VALU_DEP_3)
	v_add_co_u32 v44, vcc_lo, s0, v6
	s_wait_alu 0xfffd
	v_add_co_ci_u32_e64 v45, null, s1, v7, vcc_lo
	s_delay_alu instid0(VALU_DEP_3) | instskip(NEXT) | instid1(VALU_DEP_1)
	v_ashrrev_i32_e32 v6, 31, v5
	v_lshlrev_b64_e32 v[6:7], 4, v[5:6]
	v_add_nc_u32_e32 v5, s5, v5
	s_delay_alu instid0(VALU_DEP_2) | instskip(SKIP_1) | instid1(VALU_DEP_3)
	v_add_co_u32 v46, vcc_lo, s0, v6
	s_wait_alu 0xfffd
	v_add_co_ci_u32_e64 v47, null, s1, v7, vcc_lo
	s_delay_alu instid0(VALU_DEP_3) | instskip(NEXT) | instid1(VALU_DEP_1)
	;; [unrolled: 8-line block ×20, first 2 shown]
	v_ashrrev_i32_e32 v6, 31, v5
	v_lshlrev_b64_e32 v[6:7], 4, v[5:6]
	s_wait_loadcnt_dscnt 0x0
	scratch_store_b128 off, v[1:4], off offset:16
	flat_load_b128 v[1:4], v[40:41]
	v_add_nc_u32_e32 v5, s5, v5
	v_add_co_u32 v84, vcc_lo, s0, v6
	s_wait_alu 0xfffd
	v_add_co_ci_u32_e64 v85, null, s1, v7, vcc_lo
	s_delay_alu instid0(VALU_DEP_3) | instskip(NEXT) | instid1(VALU_DEP_1)
	v_ashrrev_i32_e32 v6, 31, v5
	v_lshlrev_b64_e32 v[6:7], 4, v[5:6]
	v_add_nc_u32_e32 v5, s5, v5
	s_delay_alu instid0(VALU_DEP_2) | instskip(SKIP_1) | instid1(VALU_DEP_3)
	v_add_co_u32 v86, vcc_lo, s0, v6
	s_wait_alu 0xfffd
	v_add_co_ci_u32_e64 v87, null, s1, v7, vcc_lo
	s_delay_alu instid0(VALU_DEP_3) | instskip(NEXT) | instid1(VALU_DEP_1)
	v_ashrrev_i32_e32 v6, 31, v5
	v_lshlrev_b64_e32 v[6:7], 4, v[5:6]
	v_add_nc_u32_e32 v5, s5, v5
	s_delay_alu instid0(VALU_DEP_2) | instskip(SKIP_1) | instid1(VALU_DEP_3)
	;; [unrolled: 8-line block ×12, first 2 shown]
	v_add_co_u32 v108, vcc_lo, s0, v6
	s_wait_alu 0xfffd
	v_add_co_ci_u32_e64 v109, null, s1, v7, vcc_lo
	s_delay_alu instid0(VALU_DEP_3) | instskip(NEXT) | instid1(VALU_DEP_1)
	v_ashrrev_i32_e32 v6, 31, v5
	v_lshlrev_b64_e32 v[5:6], 4, v[5:6]
	s_delay_alu instid0(VALU_DEP_1) | instskip(SKIP_1) | instid1(VALU_DEP_2)
	v_add_co_u32 v110, vcc_lo, s0, v5
	s_wait_alu 0xfffd
	v_add_co_ci_u32_e64 v111, null, s1, v6, vcc_lo
	s_movk_i32 s0, 0x50
	s_movk_i32 s1, 0x60
	s_wait_alu 0xfffe
	s_add_co_i32 s27, s0, 16
	s_add_co_i32 s5, s1, 16
	s_movk_i32 s0, 0x70
	s_movk_i32 s1, 0x80
	s_wait_alu 0xfffe
	s_add_co_i32 s28, s0, 16
	s_add_co_i32 s10, s1, 16
	;; [unrolled: 5-line block ×16, first 2 shown]
	s_bitcmp0_b32 s46, 0
	s_mov_b32 s1, -1
	s_wait_loadcnt_dscnt 0x0
	scratch_store_b128 off, v[1:4], off offset:32
	flat_load_b128 v[1:4], v[42:43]
	s_wait_loadcnt_dscnt 0x0
	scratch_store_b128 off, v[1:4], off offset:48
	flat_load_b128 v[1:4], v[44:45]
	s_wait_loadcnt_dscnt 0x0
	scratch_store_b128 off, v[1:4], off offset:64
	flat_load_b128 v[1:4], v[46:47]
	s_wait_loadcnt_dscnt 0x0
	scratch_store_b128 off, v[1:4], off offset:80
	flat_load_b128 v[1:4], v[48:49]
	s_wait_loadcnt_dscnt 0x0
	scratch_store_b128 off, v[1:4], off offset:96
	flat_load_b128 v[1:4], v[50:51]
	s_wait_loadcnt_dscnt 0x0
	scratch_store_b128 off, v[1:4], off offset:112
	flat_load_b128 v[1:4], v[52:53]
	s_wait_loadcnt_dscnt 0x0
	scratch_store_b128 off, v[1:4], off offset:128
	flat_load_b128 v[1:4], v[54:55]
	s_wait_loadcnt_dscnt 0x0
	scratch_store_b128 off, v[1:4], off offset:144
	flat_load_b128 v[1:4], v[56:57]
	s_wait_loadcnt_dscnt 0x0
	scratch_store_b128 off, v[1:4], off offset:160
	flat_load_b128 v[1:4], v[58:59]
	s_wait_loadcnt_dscnt 0x0
	scratch_store_b128 off, v[1:4], off offset:176
	flat_load_b128 v[1:4], v[60:61]
	s_wait_loadcnt_dscnt 0x0
	scratch_store_b128 off, v[1:4], off offset:192
	flat_load_b128 v[1:4], v[62:63]
	s_wait_loadcnt_dscnt 0x0
	scratch_store_b128 off, v[1:4], off offset:208
	flat_load_b128 v[1:4], v[64:65]
	s_wait_loadcnt_dscnt 0x0
	scratch_store_b128 off, v[1:4], off offset:224
	flat_load_b128 v[1:4], v[66:67]
	s_wait_loadcnt_dscnt 0x0
	scratch_store_b128 off, v[1:4], off offset:240
	flat_load_b128 v[1:4], v[68:69]
	s_wait_loadcnt_dscnt 0x0
	scratch_store_b128 off, v[1:4], off offset:256
	flat_load_b128 v[1:4], v[70:71]
	s_wait_loadcnt_dscnt 0x0
	scratch_store_b128 off, v[1:4], off offset:272
	flat_load_b128 v[1:4], v[72:73]
	s_wait_loadcnt_dscnt 0x0
	scratch_store_b128 off, v[1:4], off offset:288
	flat_load_b128 v[1:4], v[74:75]
	s_wait_loadcnt_dscnt 0x0
	scratch_store_b128 off, v[1:4], off offset:304
	flat_load_b128 v[1:4], v[76:77]
	s_wait_loadcnt_dscnt 0x0
	scratch_store_b128 off, v[1:4], off offset:320
	flat_load_b128 v[1:4], v[78:79]
	s_wait_loadcnt_dscnt 0x0
	scratch_store_b128 off, v[1:4], off offset:336
	flat_load_b128 v[1:4], v[80:81]
	s_wait_loadcnt_dscnt 0x0
	scratch_store_b128 off, v[1:4], off offset:352
	flat_load_b128 v[1:4], v[82:83]
	s_wait_loadcnt_dscnt 0x0
	scratch_store_b128 off, v[1:4], off offset:368
	flat_load_b128 v[1:4], v[84:85]
	s_wait_loadcnt_dscnt 0x0
	scratch_store_b128 off, v[1:4], off offset:384
	flat_load_b128 v[1:4], v[86:87]
	s_wait_loadcnt_dscnt 0x0
	scratch_store_b128 off, v[1:4], off offset:400
	flat_load_b128 v[1:4], v[88:89]
	s_wait_loadcnt_dscnt 0x0
	scratch_store_b128 off, v[1:4], off offset:416
	flat_load_b128 v[1:4], v[90:91]
	s_wait_loadcnt_dscnt 0x0
	scratch_store_b128 off, v[1:4], off offset:432
	flat_load_b128 v[1:4], v[92:93]
	s_wait_loadcnt_dscnt 0x0
	scratch_store_b128 off, v[1:4], off offset:448
	flat_load_b128 v[1:4], v[94:95]
	s_wait_loadcnt_dscnt 0x0
	scratch_store_b128 off, v[1:4], off offset:464
	flat_load_b128 v[1:4], v[96:97]
	s_wait_loadcnt_dscnt 0x0
	scratch_store_b128 off, v[1:4], off offset:480
	flat_load_b128 v[1:4], v[98:99]
	s_wait_loadcnt_dscnt 0x0
	scratch_store_b128 off, v[1:4], off offset:496
	flat_load_b128 v[1:4], v[100:101]
	s_wait_loadcnt_dscnt 0x0
	scratch_store_b128 off, v[1:4], off offset:512
	flat_load_b128 v[1:4], v[102:103]
	s_wait_loadcnt_dscnt 0x0
	scratch_store_b128 off, v[1:4], off offset:528
	flat_load_b128 v[1:4], v[104:105]
	s_wait_loadcnt_dscnt 0x0
	scratch_store_b128 off, v[1:4], off offset:544
	flat_load_b128 v[1:4], v[106:107]
	s_wait_loadcnt_dscnt 0x0
	scratch_store_b128 off, v[1:4], off offset:560
	flat_load_b128 v[1:4], v[108:109]
	s_wait_loadcnt_dscnt 0x0
	scratch_store_b128 off, v[1:4], off offset:576
	flat_load_b128 v[1:4], v[110:111]
	s_wait_loadcnt_dscnt 0x0
	scratch_store_b128 off, v[1:4], off offset:592
	s_cbranch_scc1 .LBB100_160
; %bb.4:
	v_cmp_eq_u32_e64 s0, 0, v0
	s_and_saveexec_b32 s1, s0
; %bb.5:
	v_mov_b32_e32 v1, 0
	ds_store_b32 v1, v1 offset:1184
; %bb.6:
	s_wait_alu 0xfffe
	s_or_b32 exec_lo, exec_lo, s1
	s_wait_storecnt_dscnt 0x0
	s_barrier_signal -1
	s_barrier_wait -1
	global_inv scope:SCOPE_SE
	scratch_load_b128 v[1:4], v13, off offset:16
	s_wait_loadcnt 0x0
	v_cmp_eq_f64_e32 vcc_lo, 0, v[1:2]
	v_cmp_eq_f64_e64 s1, 0, v[3:4]
	s_and_b32 s1, vcc_lo, s1
	s_wait_alu 0xfffe
	s_and_saveexec_b32 s46, s1
	s_cbranch_execz .LBB100_10
; %bb.7:
	v_mov_b32_e32 v1, 0
	s_mov_b32 s47, 0
	ds_load_b32 v2, v1 offset:1184
	s_wait_dscnt 0x0
	v_readfirstlane_b32 s1, v2
	v_add_nc_u32_e32 v2, 1, v0
	s_cmp_eq_u32 s1, 0
	s_delay_alu instid0(VALU_DEP_1) | instskip(SKIP_1) | instid1(SALU_CYCLE_1)
	v_cmp_gt_i32_e32 vcc_lo, s1, v2
	s_cselect_b32 s48, -1, 0
	s_or_b32 s48, s48, vcc_lo
	s_delay_alu instid0(SALU_CYCLE_1)
	s_and_b32 exec_lo, exec_lo, s48
	s_cbranch_execz .LBB100_10
; %bb.8:
	v_mov_b32_e32 v3, s1
.LBB100_9:                              ; =>This Inner Loop Header: Depth=1
	ds_cmpstore_rtn_b32 v3, v1, v2, v3 offset:1184
	s_wait_dscnt 0x0
	v_cmp_ne_u32_e32 vcc_lo, 0, v3
	v_cmp_le_i32_e64 s1, v3, v2
	s_and_b32 s1, vcc_lo, s1
	s_wait_alu 0xfffe
	s_and_b32 s1, exec_lo, s1
	s_wait_alu 0xfffe
	s_or_b32 s47, s1, s47
	s_delay_alu instid0(SALU_CYCLE_1)
	s_and_not1_b32 exec_lo, exec_lo, s47
	s_cbranch_execnz .LBB100_9
.LBB100_10:
	s_or_b32 exec_lo, exec_lo, s46
	v_mov_b32_e32 v1, 0
	s_barrier_signal -1
	s_barrier_wait -1
	global_inv scope:SCOPE_SE
	ds_load_b32 v2, v1 offset:1184
	s_and_saveexec_b32 s1, s0
	s_cbranch_execz .LBB100_12
; %bb.11:
	s_lshl_b64 s[46:47], s[8:9], 2
	s_delay_alu instid0(SALU_CYCLE_1)
	s_add_nc_u64 s[46:47], s[6:7], s[46:47]
	s_wait_dscnt 0x0
	global_store_b32 v1, v2, s[46:47]
.LBB100_12:
	s_wait_alu 0xfffe
	s_or_b32 exec_lo, exec_lo, s1
	s_wait_dscnt 0x0
	v_cmp_ne_u32_e32 vcc_lo, 0, v2
	s_mov_b32 s1, 0
	s_cbranch_vccnz .LBB100_160
; %bb.13:
	v_add_nc_u32_e32 v14, 16, v13
                                        ; implicit-def: $vgpr1_vgpr2
                                        ; implicit-def: $vgpr9_vgpr10
	scratch_load_b128 v[5:8], v14, off
	s_wait_loadcnt 0x0
	v_cmp_ngt_f64_e64 s1, |v[5:6]|, |v[7:8]|
	s_wait_alu 0xfffe
	s_and_saveexec_b32 s46, s1
	s_delay_alu instid0(SALU_CYCLE_1)
	s_xor_b32 s1, exec_lo, s46
	s_cbranch_execz .LBB100_15
; %bb.14:
	v_div_scale_f64 v[1:2], null, v[7:8], v[7:8], v[5:6]
	v_div_scale_f64 v[11:12], vcc_lo, v[5:6], v[7:8], v[5:6]
	s_delay_alu instid0(VALU_DEP_2) | instskip(NEXT) | instid1(TRANS32_DEP_1)
	v_rcp_f64_e32 v[3:4], v[1:2]
	v_fma_f64 v[9:10], -v[1:2], v[3:4], 1.0
	s_delay_alu instid0(VALU_DEP_1) | instskip(NEXT) | instid1(VALU_DEP_1)
	v_fma_f64 v[3:4], v[3:4], v[9:10], v[3:4]
	v_fma_f64 v[9:10], -v[1:2], v[3:4], 1.0
	s_delay_alu instid0(VALU_DEP_1) | instskip(NEXT) | instid1(VALU_DEP_1)
	v_fma_f64 v[3:4], v[3:4], v[9:10], v[3:4]
	v_mul_f64_e32 v[9:10], v[11:12], v[3:4]
	s_delay_alu instid0(VALU_DEP_1) | instskip(SKIP_1) | instid1(VALU_DEP_1)
	v_fma_f64 v[1:2], -v[1:2], v[9:10], v[11:12]
	s_wait_alu 0xfffd
	v_div_fmas_f64 v[1:2], v[1:2], v[3:4], v[9:10]
	s_delay_alu instid0(VALU_DEP_1) | instskip(NEXT) | instid1(VALU_DEP_1)
	v_div_fixup_f64 v[1:2], v[1:2], v[7:8], v[5:6]
	v_fma_f64 v[3:4], v[5:6], v[1:2], v[7:8]
	s_delay_alu instid0(VALU_DEP_1) | instskip(SKIP_1) | instid1(VALU_DEP_2)
	v_div_scale_f64 v[5:6], null, v[3:4], v[3:4], 1.0
	v_div_scale_f64 v[11:12], vcc_lo, 1.0, v[3:4], 1.0
	v_rcp_f64_e32 v[7:8], v[5:6]
	s_delay_alu instid0(TRANS32_DEP_1) | instskip(NEXT) | instid1(VALU_DEP_1)
	v_fma_f64 v[9:10], -v[5:6], v[7:8], 1.0
	v_fma_f64 v[7:8], v[7:8], v[9:10], v[7:8]
	s_delay_alu instid0(VALU_DEP_1) | instskip(NEXT) | instid1(VALU_DEP_1)
	v_fma_f64 v[9:10], -v[5:6], v[7:8], 1.0
	v_fma_f64 v[7:8], v[7:8], v[9:10], v[7:8]
	s_delay_alu instid0(VALU_DEP_1) | instskip(NEXT) | instid1(VALU_DEP_1)
	v_mul_f64_e32 v[9:10], v[11:12], v[7:8]
	v_fma_f64 v[5:6], -v[5:6], v[9:10], v[11:12]
	s_wait_alu 0xfffd
	s_delay_alu instid0(VALU_DEP_1) | instskip(NEXT) | instid1(VALU_DEP_1)
	v_div_fmas_f64 v[5:6], v[5:6], v[7:8], v[9:10]
	v_div_fixup_f64 v[3:4], v[5:6], v[3:4], 1.0
                                        ; implicit-def: $vgpr5_vgpr6
	s_delay_alu instid0(VALU_DEP_1) | instskip(SKIP_1) | instid1(VALU_DEP_2)
	v_mul_f64_e32 v[1:2], v[1:2], v[3:4]
	v_xor_b32_e32 v4, 0x80000000, v4
	v_xor_b32_e32 v10, 0x80000000, v2
	s_delay_alu instid0(VALU_DEP_3)
	v_mov_b32_e32 v9, v1
.LBB100_15:
	s_wait_alu 0xfffe
	s_and_not1_saveexec_b32 s1, s1
	s_cbranch_execz .LBB100_17
; %bb.16:
	v_div_scale_f64 v[1:2], null, v[5:6], v[5:6], v[7:8]
	v_div_scale_f64 v[11:12], vcc_lo, v[7:8], v[5:6], v[7:8]
	s_delay_alu instid0(VALU_DEP_2) | instskip(NEXT) | instid1(TRANS32_DEP_1)
	v_rcp_f64_e32 v[3:4], v[1:2]
	v_fma_f64 v[9:10], -v[1:2], v[3:4], 1.0
	s_delay_alu instid0(VALU_DEP_1) | instskip(NEXT) | instid1(VALU_DEP_1)
	v_fma_f64 v[3:4], v[3:4], v[9:10], v[3:4]
	v_fma_f64 v[9:10], -v[1:2], v[3:4], 1.0
	s_delay_alu instid0(VALU_DEP_1) | instskip(NEXT) | instid1(VALU_DEP_1)
	v_fma_f64 v[3:4], v[3:4], v[9:10], v[3:4]
	v_mul_f64_e32 v[9:10], v[11:12], v[3:4]
	s_delay_alu instid0(VALU_DEP_1) | instskip(SKIP_1) | instid1(VALU_DEP_1)
	v_fma_f64 v[1:2], -v[1:2], v[9:10], v[11:12]
	s_wait_alu 0xfffd
	v_div_fmas_f64 v[1:2], v[1:2], v[3:4], v[9:10]
	s_delay_alu instid0(VALU_DEP_1) | instskip(NEXT) | instid1(VALU_DEP_1)
	v_div_fixup_f64 v[3:4], v[1:2], v[5:6], v[7:8]
	v_fma_f64 v[1:2], v[7:8], v[3:4], v[5:6]
	s_delay_alu instid0(VALU_DEP_1) | instskip(NEXT) | instid1(VALU_DEP_1)
	v_div_scale_f64 v[5:6], null, v[1:2], v[1:2], 1.0
	v_rcp_f64_e32 v[7:8], v[5:6]
	s_delay_alu instid0(TRANS32_DEP_1) | instskip(NEXT) | instid1(VALU_DEP_1)
	v_fma_f64 v[9:10], -v[5:6], v[7:8], 1.0
	v_fma_f64 v[7:8], v[7:8], v[9:10], v[7:8]
	s_delay_alu instid0(VALU_DEP_1) | instskip(NEXT) | instid1(VALU_DEP_1)
	v_fma_f64 v[9:10], -v[5:6], v[7:8], 1.0
	v_fma_f64 v[7:8], v[7:8], v[9:10], v[7:8]
	v_div_scale_f64 v[9:10], vcc_lo, 1.0, v[1:2], 1.0
	s_delay_alu instid0(VALU_DEP_1) | instskip(NEXT) | instid1(VALU_DEP_1)
	v_mul_f64_e32 v[11:12], v[9:10], v[7:8]
	v_fma_f64 v[5:6], -v[5:6], v[11:12], v[9:10]
	s_wait_alu 0xfffd
	s_delay_alu instid0(VALU_DEP_1) | instskip(NEXT) | instid1(VALU_DEP_1)
	v_div_fmas_f64 v[5:6], v[5:6], v[7:8], v[11:12]
	v_div_fixup_f64 v[1:2], v[5:6], v[1:2], 1.0
	s_delay_alu instid0(VALU_DEP_1)
	v_mul_f64_e64 v[3:4], v[3:4], -v[1:2]
	v_xor_b32_e32 v10, 0x80000000, v2
	v_mov_b32_e32 v9, v1
.LBB100_17:
	s_wait_alu 0xfffe
	s_or_b32 exec_lo, exec_lo, s1
	scratch_store_b128 v14, v[1:4], off
	scratch_load_b128 v[15:18], off, s45
	v_xor_b32_e32 v12, 0x80000000, v4
	v_mov_b32_e32 v11, v3
	v_add_nc_u32_e32 v5, 0x250, v13
	ds_store_b128 v13, v[9:12]
	s_wait_loadcnt 0x0
	ds_store_b128 v13, v[15:18] offset:592
	s_wait_storecnt_dscnt 0x0
	s_barrier_signal -1
	s_barrier_wait -1
	global_inv scope:SCOPE_SE
	s_and_saveexec_b32 s1, s0
	s_cbranch_execz .LBB100_19
; %bb.18:
	scratch_load_b128 v[1:4], v14, off
	ds_load_b128 v[6:9], v5
	v_mov_b32_e32 v10, 0
	ds_load_b128 v[15:18], v10 offset:16
	s_wait_loadcnt_dscnt 0x1
	v_mul_f64_e32 v[10:11], v[6:7], v[3:4]
	v_mul_f64_e32 v[3:4], v[8:9], v[3:4]
	s_delay_alu instid0(VALU_DEP_2) | instskip(NEXT) | instid1(VALU_DEP_2)
	v_fma_f64 v[8:9], v[8:9], v[1:2], v[10:11]
	v_fma_f64 v[1:2], v[6:7], v[1:2], -v[3:4]
	s_delay_alu instid0(VALU_DEP_2) | instskip(NEXT) | instid1(VALU_DEP_2)
	v_add_f64_e32 v[3:4], 0, v[8:9]
	v_add_f64_e32 v[1:2], 0, v[1:2]
	s_wait_dscnt 0x0
	s_delay_alu instid0(VALU_DEP_2) | instskip(NEXT) | instid1(VALU_DEP_2)
	v_mul_f64_e32 v[6:7], v[3:4], v[17:18]
	v_mul_f64_e32 v[8:9], v[1:2], v[17:18]
	s_delay_alu instid0(VALU_DEP_2) | instskip(NEXT) | instid1(VALU_DEP_2)
	v_fma_f64 v[1:2], v[1:2], v[15:16], -v[6:7]
	v_fma_f64 v[3:4], v[3:4], v[15:16], v[8:9]
	scratch_store_b128 off, v[1:4], off offset:32
.LBB100_19:
	s_wait_alu 0xfffe
	s_or_b32 exec_lo, exec_lo, s1
	s_wait_loadcnt 0x0
	s_wait_storecnt 0x0
	s_barrier_signal -1
	s_barrier_wait -1
	global_inv scope:SCOPE_SE
	scratch_load_b128 v[1:4], off, s44
	s_mov_b32 s1, exec_lo
	s_wait_loadcnt 0x0
	ds_store_b128 v5, v[1:4]
	s_wait_dscnt 0x0
	s_barrier_signal -1
	s_barrier_wait -1
	global_inv scope:SCOPE_SE
	v_cmpx_gt_u32_e32 2, v0
	s_cbranch_execz .LBB100_23
; %bb.20:
	scratch_load_b128 v[1:4], v14, off
	ds_load_b128 v[6:9], v5
	s_wait_loadcnt_dscnt 0x0
	v_mul_f64_e32 v[10:11], v[8:9], v[3:4]
	v_mul_f64_e32 v[3:4], v[6:7], v[3:4]
	s_delay_alu instid0(VALU_DEP_2) | instskip(NEXT) | instid1(VALU_DEP_2)
	v_fma_f64 v[6:7], v[6:7], v[1:2], -v[10:11]
	v_fma_f64 v[3:4], v[8:9], v[1:2], v[3:4]
	s_delay_alu instid0(VALU_DEP_2) | instskip(NEXT) | instid1(VALU_DEP_2)
	v_add_f64_e32 v[1:2], 0, v[6:7]
	v_add_f64_e32 v[3:4], 0, v[3:4]
	s_and_saveexec_b32 s46, s0
	s_cbranch_execz .LBB100_22
; %bb.21:
	scratch_load_b128 v[6:9], off, off offset:32
	v_mov_b32_e32 v10, 0
	ds_load_b128 v[15:18], v10 offset:608
	s_wait_loadcnt_dscnt 0x0
	v_mul_f64_e32 v[10:11], v[15:16], v[8:9]
	v_mul_f64_e32 v[8:9], v[17:18], v[8:9]
	s_delay_alu instid0(VALU_DEP_2) | instskip(NEXT) | instid1(VALU_DEP_2)
	v_fma_f64 v[10:11], v[17:18], v[6:7], v[10:11]
	v_fma_f64 v[6:7], v[15:16], v[6:7], -v[8:9]
	s_delay_alu instid0(VALU_DEP_2) | instskip(NEXT) | instid1(VALU_DEP_2)
	v_add_f64_e32 v[3:4], v[3:4], v[10:11]
	v_add_f64_e32 v[1:2], v[1:2], v[6:7]
.LBB100_22:
	s_or_b32 exec_lo, exec_lo, s46
	v_mov_b32_e32 v6, 0
	ds_load_b128 v[6:9], v6 offset:32
	s_wait_dscnt 0x0
	v_mul_f64_e32 v[10:11], v[3:4], v[8:9]
	v_mul_f64_e32 v[8:9], v[1:2], v[8:9]
	s_delay_alu instid0(VALU_DEP_2) | instskip(NEXT) | instid1(VALU_DEP_2)
	v_fma_f64 v[1:2], v[1:2], v[6:7], -v[10:11]
	v_fma_f64 v[3:4], v[3:4], v[6:7], v[8:9]
	scratch_store_b128 off, v[1:4], off offset:48
.LBB100_23:
	s_wait_alu 0xfffe
	s_or_b32 exec_lo, exec_lo, s1
	s_wait_loadcnt 0x0
	s_wait_storecnt 0x0
	s_barrier_signal -1
	s_barrier_wait -1
	global_inv scope:SCOPE_SE
	scratch_load_b128 v[1:4], off, s26
	v_add_nc_u32_e32 v6, -1, v0
	s_mov_b32 s0, exec_lo
	s_wait_loadcnt 0x0
	ds_store_b128 v5, v[1:4]
	s_wait_dscnt 0x0
	s_barrier_signal -1
	s_barrier_wait -1
	global_inv scope:SCOPE_SE
	v_cmpx_gt_u32_e32 3, v0
	s_cbranch_execz .LBB100_27
; %bb.24:
	v_dual_mov_b32 v1, 0 :: v_dual_add_nc_u32 v8, 0x250, v13
	v_mov_b32_e32 v3, 0
	v_dual_mov_b32 v2, 0 :: v_dual_add_nc_u32 v7, -1, v0
	v_mov_b32_e32 v4, 0
	v_or_b32_e32 v9, 8, v14
	s_mov_b32 s1, 0
.LBB100_25:                             ; =>This Inner Loop Header: Depth=1
	scratch_load_b128 v[15:18], v9, off offset:-8
	ds_load_b128 v[19:22], v8
	v_add_nc_u32_e32 v7, 1, v7
	v_add_nc_u32_e32 v8, 16, v8
	v_add_nc_u32_e32 v9, 16, v9
	s_delay_alu instid0(VALU_DEP_3)
	v_cmp_lt_u32_e32 vcc_lo, 1, v7
	s_wait_alu 0xfffe
	s_or_b32 s1, vcc_lo, s1
	s_wait_loadcnt_dscnt 0x0
	v_mul_f64_e32 v[10:11], v[21:22], v[17:18]
	v_mul_f64_e32 v[17:18], v[19:20], v[17:18]
	s_delay_alu instid0(VALU_DEP_2) | instskip(NEXT) | instid1(VALU_DEP_2)
	v_fma_f64 v[10:11], v[19:20], v[15:16], -v[10:11]
	v_fma_f64 v[15:16], v[21:22], v[15:16], v[17:18]
	s_delay_alu instid0(VALU_DEP_2) | instskip(NEXT) | instid1(VALU_DEP_2)
	v_add_f64_e32 v[3:4], v[3:4], v[10:11]
	v_add_f64_e32 v[1:2], v[1:2], v[15:16]
	s_wait_alu 0xfffe
	s_and_not1_b32 exec_lo, exec_lo, s1
	s_cbranch_execnz .LBB100_25
; %bb.26:
	s_or_b32 exec_lo, exec_lo, s1
	v_mov_b32_e32 v7, 0
	ds_load_b128 v[7:10], v7 offset:48
	s_wait_dscnt 0x0
	v_mul_f64_e32 v[11:12], v[1:2], v[9:10]
	v_mul_f64_e32 v[15:16], v[3:4], v[9:10]
	s_delay_alu instid0(VALU_DEP_2) | instskip(NEXT) | instid1(VALU_DEP_2)
	v_fma_f64 v[9:10], v[3:4], v[7:8], -v[11:12]
	v_fma_f64 v[11:12], v[1:2], v[7:8], v[15:16]
	scratch_store_b128 off, v[9:12], off offset:64
.LBB100_27:
	s_wait_alu 0xfffe
	s_or_b32 exec_lo, exec_lo, s0
	s_wait_loadcnt 0x0
	s_wait_storecnt 0x0
	s_barrier_signal -1
	s_barrier_wait -1
	global_inv scope:SCOPE_SE
	scratch_load_b128 v[1:4], off, s4
	s_mov_b32 s0, exec_lo
	s_wait_loadcnt 0x0
	ds_store_b128 v5, v[1:4]
	s_wait_dscnt 0x0
	s_barrier_signal -1
	s_barrier_wait -1
	global_inv scope:SCOPE_SE
	v_cmpx_gt_u32_e32 4, v0
	s_cbranch_execz .LBB100_31
; %bb.28:
	v_dual_mov_b32 v1, 0 :: v_dual_add_nc_u32 v8, 0x250, v13
	v_mov_b32_e32 v3, 0
	v_dual_mov_b32 v2, 0 :: v_dual_add_nc_u32 v7, -1, v0
	v_mov_b32_e32 v4, 0
	v_or_b32_e32 v9, 8, v14
	s_mov_b32 s1, 0
.LBB100_29:                             ; =>This Inner Loop Header: Depth=1
	scratch_load_b128 v[15:18], v9, off offset:-8
	ds_load_b128 v[19:22], v8
	v_add_nc_u32_e32 v7, 1, v7
	v_add_nc_u32_e32 v8, 16, v8
	v_add_nc_u32_e32 v9, 16, v9
	s_delay_alu instid0(VALU_DEP_3)
	v_cmp_lt_u32_e32 vcc_lo, 2, v7
	s_wait_alu 0xfffe
	s_or_b32 s1, vcc_lo, s1
	s_wait_loadcnt_dscnt 0x0
	v_mul_f64_e32 v[10:11], v[21:22], v[17:18]
	v_mul_f64_e32 v[17:18], v[19:20], v[17:18]
	s_delay_alu instid0(VALU_DEP_2) | instskip(NEXT) | instid1(VALU_DEP_2)
	v_fma_f64 v[10:11], v[19:20], v[15:16], -v[10:11]
	v_fma_f64 v[15:16], v[21:22], v[15:16], v[17:18]
	s_delay_alu instid0(VALU_DEP_2) | instskip(NEXT) | instid1(VALU_DEP_2)
	v_add_f64_e32 v[3:4], v[3:4], v[10:11]
	v_add_f64_e32 v[1:2], v[1:2], v[15:16]
	s_wait_alu 0xfffe
	s_and_not1_b32 exec_lo, exec_lo, s1
	s_cbranch_execnz .LBB100_29
; %bb.30:
	s_or_b32 exec_lo, exec_lo, s1
	v_mov_b32_e32 v7, 0
	ds_load_b128 v[7:10], v7 offset:64
	s_wait_dscnt 0x0
	v_mul_f64_e32 v[11:12], v[1:2], v[9:10]
	v_mul_f64_e32 v[15:16], v[3:4], v[9:10]
	s_delay_alu instid0(VALU_DEP_2) | instskip(NEXT) | instid1(VALU_DEP_2)
	v_fma_f64 v[9:10], v[3:4], v[7:8], -v[11:12]
	v_fma_f64 v[11:12], v[1:2], v[7:8], v[15:16]
	scratch_store_b128 off, v[9:12], off offset:80
.LBB100_31:
	s_wait_alu 0xfffe
	s_or_b32 exec_lo, exec_lo, s0
	s_wait_loadcnt 0x0
	s_wait_storecnt 0x0
	s_barrier_signal -1
	s_barrier_wait -1
	global_inv scope:SCOPE_SE
	scratch_load_b128 v[1:4], off, s27
	;; [unrolled: 58-line block ×19, first 2 shown]
	s_mov_b32 s0, exec_lo
	s_wait_loadcnt 0x0
	ds_store_b128 v5, v[1:4]
	s_wait_dscnt 0x0
	s_barrier_signal -1
	s_barrier_wait -1
	global_inv scope:SCOPE_SE
	v_cmpx_gt_u32_e32 22, v0
	s_cbranch_execz .LBB100_103
; %bb.100:
	v_dual_mov_b32 v1, 0 :: v_dual_add_nc_u32 v8, 0x250, v13
	v_mov_b32_e32 v3, 0
	v_dual_mov_b32 v2, 0 :: v_dual_add_nc_u32 v7, -1, v0
	v_mov_b32_e32 v4, 0
	v_or_b32_e32 v9, 8, v14
	s_mov_b32 s1, 0
.LBB100_101:                            ; =>This Inner Loop Header: Depth=1
	scratch_load_b128 v[15:18], v9, off offset:-8
	ds_load_b128 v[19:22], v8
	v_add_nc_u32_e32 v7, 1, v7
	v_add_nc_u32_e32 v8, 16, v8
	v_add_nc_u32_e32 v9, 16, v9
	s_delay_alu instid0(VALU_DEP_3)
	v_cmp_lt_u32_e32 vcc_lo, 20, v7
	s_wait_alu 0xfffe
	s_or_b32 s1, vcc_lo, s1
	s_wait_loadcnt_dscnt 0x0
	v_mul_f64_e32 v[10:11], v[21:22], v[17:18]
	v_mul_f64_e32 v[17:18], v[19:20], v[17:18]
	s_delay_alu instid0(VALU_DEP_2) | instskip(NEXT) | instid1(VALU_DEP_2)
	v_fma_f64 v[10:11], v[19:20], v[15:16], -v[10:11]
	v_fma_f64 v[15:16], v[21:22], v[15:16], v[17:18]
	s_delay_alu instid0(VALU_DEP_2) | instskip(NEXT) | instid1(VALU_DEP_2)
	v_add_f64_e32 v[3:4], v[3:4], v[10:11]
	v_add_f64_e32 v[1:2], v[1:2], v[15:16]
	s_wait_alu 0xfffe
	s_and_not1_b32 exec_lo, exec_lo, s1
	s_cbranch_execnz .LBB100_101
; %bb.102:
	s_or_b32 exec_lo, exec_lo, s1
	v_mov_b32_e32 v7, 0
	ds_load_b128 v[7:10], v7 offset:352
	s_wait_dscnt 0x0
	v_mul_f64_e32 v[11:12], v[1:2], v[9:10]
	v_mul_f64_e32 v[15:16], v[3:4], v[9:10]
	s_delay_alu instid0(VALU_DEP_2) | instskip(NEXT) | instid1(VALU_DEP_2)
	v_fma_f64 v[9:10], v[3:4], v[7:8], -v[11:12]
	v_fma_f64 v[11:12], v[1:2], v[7:8], v[15:16]
	scratch_store_b128 off, v[9:12], off offset:368
.LBB100_103:
	s_wait_alu 0xfffe
	s_or_b32 exec_lo, exec_lo, s0
	s_wait_loadcnt 0x0
	s_wait_storecnt 0x0
	s_barrier_signal -1
	s_barrier_wait -1
	global_inv scope:SCOPE_SE
	scratch_load_b128 v[1:4], off, s37
	s_mov_b32 s0, exec_lo
	s_wait_loadcnt 0x0
	ds_store_b128 v5, v[1:4]
	s_wait_dscnt 0x0
	s_barrier_signal -1
	s_barrier_wait -1
	global_inv scope:SCOPE_SE
	v_cmpx_gt_u32_e32 23, v0
	s_cbranch_execz .LBB100_107
; %bb.104:
	v_dual_mov_b32 v1, 0 :: v_dual_add_nc_u32 v8, 0x250, v13
	v_mov_b32_e32 v3, 0
	v_dual_mov_b32 v2, 0 :: v_dual_add_nc_u32 v7, -1, v0
	v_mov_b32_e32 v4, 0
	v_or_b32_e32 v9, 8, v14
	s_mov_b32 s1, 0
.LBB100_105:                            ; =>This Inner Loop Header: Depth=1
	scratch_load_b128 v[15:18], v9, off offset:-8
	ds_load_b128 v[19:22], v8
	v_add_nc_u32_e32 v7, 1, v7
	v_add_nc_u32_e32 v8, 16, v8
	v_add_nc_u32_e32 v9, 16, v9
	s_delay_alu instid0(VALU_DEP_3)
	v_cmp_lt_u32_e32 vcc_lo, 21, v7
	s_wait_alu 0xfffe
	s_or_b32 s1, vcc_lo, s1
	s_wait_loadcnt_dscnt 0x0
	v_mul_f64_e32 v[10:11], v[21:22], v[17:18]
	v_mul_f64_e32 v[17:18], v[19:20], v[17:18]
	s_delay_alu instid0(VALU_DEP_2) | instskip(NEXT) | instid1(VALU_DEP_2)
	v_fma_f64 v[10:11], v[19:20], v[15:16], -v[10:11]
	v_fma_f64 v[15:16], v[21:22], v[15:16], v[17:18]
	s_delay_alu instid0(VALU_DEP_2) | instskip(NEXT) | instid1(VALU_DEP_2)
	v_add_f64_e32 v[3:4], v[3:4], v[10:11]
	v_add_f64_e32 v[1:2], v[1:2], v[15:16]
	s_wait_alu 0xfffe
	s_and_not1_b32 exec_lo, exec_lo, s1
	s_cbranch_execnz .LBB100_105
; %bb.106:
	s_or_b32 exec_lo, exec_lo, s1
	v_mov_b32_e32 v7, 0
	ds_load_b128 v[7:10], v7 offset:368
	s_wait_dscnt 0x0
	v_mul_f64_e32 v[11:12], v[1:2], v[9:10]
	v_mul_f64_e32 v[15:16], v[3:4], v[9:10]
	s_delay_alu instid0(VALU_DEP_2) | instskip(NEXT) | instid1(VALU_DEP_2)
	v_fma_f64 v[9:10], v[3:4], v[7:8], -v[11:12]
	v_fma_f64 v[11:12], v[1:2], v[7:8], v[15:16]
	scratch_store_b128 off, v[9:12], off offset:384
.LBB100_107:
	s_wait_alu 0xfffe
	s_or_b32 exec_lo, exec_lo, s0
	s_wait_loadcnt 0x0
	s_wait_storecnt 0x0
	s_barrier_signal -1
	s_barrier_wait -1
	global_inv scope:SCOPE_SE
	scratch_load_b128 v[1:4], off, s19
	;; [unrolled: 58-line block ×14, first 2 shown]
	s_mov_b32 s0, exec_lo
	s_wait_loadcnt 0x0
	ds_store_b128 v5, v[1:4]
	s_wait_dscnt 0x0
	s_barrier_signal -1
	s_barrier_wait -1
	global_inv scope:SCOPE_SE
	v_cmpx_ne_u32_e32 36, v0
	s_cbranch_execz .LBB100_159
; %bb.156:
	v_mov_b32_e32 v1, 0
	v_dual_mov_b32 v2, 0 :: v_dual_mov_b32 v3, 0
	v_mov_b32_e32 v4, 0
	v_or_b32_e32 v7, 8, v14
	s_mov_b32 s1, 0
.LBB100_157:                            ; =>This Inner Loop Header: Depth=1
	scratch_load_b128 v[8:11], v7, off offset:-8
	ds_load_b128 v[12:15], v5
	v_add_nc_u32_e32 v6, 1, v6
	v_add_nc_u32_e32 v5, 16, v5
	;; [unrolled: 1-line block ×3, first 2 shown]
	s_delay_alu instid0(VALU_DEP_3)
	v_cmp_lt_u32_e32 vcc_lo, 34, v6
	s_wait_alu 0xfffe
	s_or_b32 s1, vcc_lo, s1
	s_wait_loadcnt_dscnt 0x0
	v_mul_f64_e32 v[16:17], v[14:15], v[10:11]
	v_mul_f64_e32 v[10:11], v[12:13], v[10:11]
	s_delay_alu instid0(VALU_DEP_2) | instskip(NEXT) | instid1(VALU_DEP_2)
	v_fma_f64 v[12:13], v[12:13], v[8:9], -v[16:17]
	v_fma_f64 v[8:9], v[14:15], v[8:9], v[10:11]
	s_delay_alu instid0(VALU_DEP_2) | instskip(NEXT) | instid1(VALU_DEP_2)
	v_add_f64_e32 v[3:4], v[3:4], v[12:13]
	v_add_f64_e32 v[1:2], v[1:2], v[8:9]
	s_wait_alu 0xfffe
	s_and_not1_b32 exec_lo, exec_lo, s1
	s_cbranch_execnz .LBB100_157
; %bb.158:
	s_or_b32 exec_lo, exec_lo, s1
	v_mov_b32_e32 v5, 0
	ds_load_b128 v[5:8], v5 offset:576
	s_wait_dscnt 0x0
	v_mul_f64_e32 v[9:10], v[1:2], v[7:8]
	v_mul_f64_e32 v[7:8], v[3:4], v[7:8]
	s_delay_alu instid0(VALU_DEP_2) | instskip(NEXT) | instid1(VALU_DEP_2)
	v_fma_f64 v[3:4], v[3:4], v[5:6], -v[9:10]
	v_fma_f64 v[5:6], v[1:2], v[5:6], v[7:8]
	scratch_store_b128 off, v[3:6], off offset:592
.LBB100_159:
	s_wait_alu 0xfffe
	s_or_b32 exec_lo, exec_lo, s0
	s_mov_b32 s1, -1
	s_wait_loadcnt 0x0
	s_wait_storecnt 0x0
	s_barrier_signal -1
	s_barrier_wait -1
	global_inv scope:SCOPE_SE
.LBB100_160:
	s_wait_alu 0xfffe
	s_and_b32 vcc_lo, exec_lo, s1
	s_wait_alu 0xfffe
	s_cbranch_vccz .LBB100_162
; %bb.161:
	v_mov_b32_e32 v1, 0
	s_lshl_b64 s[0:1], s[8:9], 2
	s_wait_alu 0xfffe
	s_add_nc_u64 s[0:1], s[6:7], s[0:1]
	global_load_b32 v1, v1, s[0:1]
	s_wait_loadcnt 0x0
	v_cmp_ne_u32_e32 vcc_lo, 0, v1
	s_cbranch_vccz .LBB100_163
.LBB100_162:
	s_nop 0
	s_sendmsg sendmsg(MSG_DEALLOC_VGPRS)
	s_endpgm
.LBB100_163:
	v_lshl_add_u32 v112, v0, 4, 0x250
	s_mov_b32 s0, exec_lo
	v_cmpx_eq_u32_e32 36, v0
	s_cbranch_execz .LBB100_165
; %bb.164:
	scratch_load_b128 v[1:4], off, s43
	v_mov_b32_e32 v5, 0
	s_delay_alu instid0(VALU_DEP_1)
	v_dual_mov_b32 v6, v5 :: v_dual_mov_b32 v7, v5
	v_mov_b32_e32 v8, v5
	scratch_store_b128 off, v[5:8], off offset:576
	s_wait_loadcnt 0x0
	ds_store_b128 v112, v[1:4]
.LBB100_165:
	s_wait_alu 0xfffe
	s_or_b32 exec_lo, exec_lo, s0
	s_wait_storecnt_dscnt 0x0
	s_barrier_signal -1
	s_barrier_wait -1
	global_inv scope:SCOPE_SE
	s_clause 0x1
	scratch_load_b128 v[2:5], off, off offset:592
	scratch_load_b128 v[6:9], off, off offset:576
	v_mov_b32_e32 v1, 0
	s_mov_b32 s0, exec_lo
	ds_load_b128 v[10:13], v1 offset:1168
	s_wait_loadcnt_dscnt 0x100
	v_mul_f64_e32 v[14:15], v[12:13], v[4:5]
	v_mul_f64_e32 v[4:5], v[10:11], v[4:5]
	s_delay_alu instid0(VALU_DEP_2) | instskip(NEXT) | instid1(VALU_DEP_2)
	v_fma_f64 v[10:11], v[10:11], v[2:3], -v[14:15]
	v_fma_f64 v[2:3], v[12:13], v[2:3], v[4:5]
	s_delay_alu instid0(VALU_DEP_2) | instskip(NEXT) | instid1(VALU_DEP_2)
	v_add_f64_e32 v[4:5], 0, v[10:11]
	v_add_f64_e32 v[10:11], 0, v[2:3]
	s_wait_loadcnt 0x0
	s_delay_alu instid0(VALU_DEP_2) | instskip(NEXT) | instid1(VALU_DEP_2)
	v_add_f64_e64 v[2:3], v[6:7], -v[4:5]
	v_add_f64_e64 v[4:5], v[8:9], -v[10:11]
	scratch_store_b128 off, v[2:5], off offset:576
	v_cmpx_lt_u32_e32 34, v0
	s_cbranch_execz .LBB100_167
; %bb.166:
	scratch_load_b128 v[5:8], off, s24
	v_dual_mov_b32 v2, v1 :: v_dual_mov_b32 v3, v1
	v_mov_b32_e32 v4, v1
	scratch_store_b128 off, v[1:4], off offset:560
	s_wait_loadcnt 0x0
	ds_store_b128 v112, v[5:8]
.LBB100_167:
	s_wait_alu 0xfffe
	s_or_b32 exec_lo, exec_lo, s0
	s_wait_storecnt_dscnt 0x0
	s_barrier_signal -1
	s_barrier_wait -1
	global_inv scope:SCOPE_SE
	s_clause 0x2
	scratch_load_b128 v[2:5], off, off offset:576
	scratch_load_b128 v[6:9], off, off offset:592
	;; [unrolled: 1-line block ×3, first 2 shown]
	ds_load_b128 v[14:17], v1 offset:1152
	ds_load_b128 v[18:21], v1 offset:1168
	s_mov_b32 s0, exec_lo
	s_wait_loadcnt_dscnt 0x201
	v_mul_f64_e32 v[22:23], v[16:17], v[4:5]
	v_mul_f64_e32 v[4:5], v[14:15], v[4:5]
	s_wait_loadcnt_dscnt 0x100
	v_mul_f64_e32 v[24:25], v[18:19], v[8:9]
	v_mul_f64_e32 v[8:9], v[20:21], v[8:9]
	s_delay_alu instid0(VALU_DEP_4) | instskip(NEXT) | instid1(VALU_DEP_4)
	v_fma_f64 v[14:15], v[14:15], v[2:3], -v[22:23]
	v_fma_f64 v[1:2], v[16:17], v[2:3], v[4:5]
	s_delay_alu instid0(VALU_DEP_4) | instskip(NEXT) | instid1(VALU_DEP_4)
	v_fma_f64 v[3:4], v[20:21], v[6:7], v[24:25]
	v_fma_f64 v[5:6], v[18:19], v[6:7], -v[8:9]
	s_delay_alu instid0(VALU_DEP_4) | instskip(NEXT) | instid1(VALU_DEP_4)
	v_add_f64_e32 v[7:8], 0, v[14:15]
	v_add_f64_e32 v[1:2], 0, v[1:2]
	s_delay_alu instid0(VALU_DEP_2) | instskip(NEXT) | instid1(VALU_DEP_2)
	v_add_f64_e32 v[5:6], v[7:8], v[5:6]
	v_add_f64_e32 v[3:4], v[1:2], v[3:4]
	s_wait_loadcnt 0x0
	s_delay_alu instid0(VALU_DEP_2) | instskip(NEXT) | instid1(VALU_DEP_2)
	v_add_f64_e64 v[1:2], v[10:11], -v[5:6]
	v_add_f64_e64 v[3:4], v[12:13], -v[3:4]
	scratch_store_b128 off, v[1:4], off offset:560
	v_cmpx_lt_u32_e32 33, v0
	s_cbranch_execz .LBB100_169
; %bb.168:
	scratch_load_b128 v[1:4], off, s42
	v_mov_b32_e32 v5, 0
	s_delay_alu instid0(VALU_DEP_1)
	v_dual_mov_b32 v6, v5 :: v_dual_mov_b32 v7, v5
	v_mov_b32_e32 v8, v5
	scratch_store_b128 off, v[5:8], off offset:544
	s_wait_loadcnt 0x0
	ds_store_b128 v112, v[1:4]
.LBB100_169:
	s_wait_alu 0xfffe
	s_or_b32 exec_lo, exec_lo, s0
	s_wait_storecnt_dscnt 0x0
	s_barrier_signal -1
	s_barrier_wait -1
	global_inv scope:SCOPE_SE
	s_clause 0x3
	scratch_load_b128 v[2:5], off, off offset:560
	scratch_load_b128 v[6:9], off, off offset:576
	;; [unrolled: 1-line block ×4, first 2 shown]
	v_mov_b32_e32 v1, 0
	ds_load_b128 v[18:21], v1 offset:1136
	ds_load_b128 v[22:25], v1 offset:1152
	s_mov_b32 s0, exec_lo
	s_wait_loadcnt_dscnt 0x301
	v_mul_f64_e32 v[26:27], v[20:21], v[4:5]
	v_mul_f64_e32 v[4:5], v[18:19], v[4:5]
	s_wait_loadcnt_dscnt 0x200
	v_mul_f64_e32 v[28:29], v[22:23], v[8:9]
	v_mul_f64_e32 v[8:9], v[24:25], v[8:9]
	s_delay_alu instid0(VALU_DEP_4) | instskip(NEXT) | instid1(VALU_DEP_4)
	v_fma_f64 v[18:19], v[18:19], v[2:3], -v[26:27]
	v_fma_f64 v[20:21], v[20:21], v[2:3], v[4:5]
	ds_load_b128 v[2:5], v1 offset:1168
	v_fma_f64 v[24:25], v[24:25], v[6:7], v[28:29]
	v_fma_f64 v[6:7], v[22:23], v[6:7], -v[8:9]
	s_wait_loadcnt_dscnt 0x100
	v_mul_f64_e32 v[26:27], v[2:3], v[12:13]
	v_mul_f64_e32 v[12:13], v[4:5], v[12:13]
	v_add_f64_e32 v[8:9], 0, v[18:19]
	v_add_f64_e32 v[18:19], 0, v[20:21]
	s_delay_alu instid0(VALU_DEP_4) | instskip(NEXT) | instid1(VALU_DEP_4)
	v_fma_f64 v[4:5], v[4:5], v[10:11], v[26:27]
	v_fma_f64 v[2:3], v[2:3], v[10:11], -v[12:13]
	s_delay_alu instid0(VALU_DEP_4) | instskip(NEXT) | instid1(VALU_DEP_4)
	v_add_f64_e32 v[6:7], v[8:9], v[6:7]
	v_add_f64_e32 v[8:9], v[18:19], v[24:25]
	s_delay_alu instid0(VALU_DEP_2) | instskip(NEXT) | instid1(VALU_DEP_2)
	v_add_f64_e32 v[2:3], v[6:7], v[2:3]
	v_add_f64_e32 v[4:5], v[8:9], v[4:5]
	s_wait_loadcnt 0x0
	s_delay_alu instid0(VALU_DEP_2) | instskip(NEXT) | instid1(VALU_DEP_2)
	v_add_f64_e64 v[2:3], v[14:15], -v[2:3]
	v_add_f64_e64 v[4:5], v[16:17], -v[4:5]
	scratch_store_b128 off, v[2:5], off offset:544
	v_cmpx_lt_u32_e32 32, v0
	s_cbranch_execz .LBB100_171
; %bb.170:
	scratch_load_b128 v[5:8], off, s23
	v_dual_mov_b32 v2, v1 :: v_dual_mov_b32 v3, v1
	v_mov_b32_e32 v4, v1
	scratch_store_b128 off, v[1:4], off offset:528
	s_wait_loadcnt 0x0
	ds_store_b128 v112, v[5:8]
.LBB100_171:
	s_wait_alu 0xfffe
	s_or_b32 exec_lo, exec_lo, s0
	s_wait_storecnt_dscnt 0x0
	s_barrier_signal -1
	s_barrier_wait -1
	global_inv scope:SCOPE_SE
	s_clause 0x4
	scratch_load_b128 v[2:5], off, off offset:544
	scratch_load_b128 v[6:9], off, off offset:560
	;; [unrolled: 1-line block ×5, first 2 shown]
	ds_load_b128 v[22:25], v1 offset:1120
	ds_load_b128 v[26:29], v1 offset:1136
	s_mov_b32 s0, exec_lo
	s_wait_loadcnt_dscnt 0x401
	v_mul_f64_e32 v[30:31], v[24:25], v[4:5]
	v_mul_f64_e32 v[4:5], v[22:23], v[4:5]
	s_wait_loadcnt_dscnt 0x300
	v_mul_f64_e32 v[32:33], v[26:27], v[8:9]
	v_mul_f64_e32 v[8:9], v[28:29], v[8:9]
	s_delay_alu instid0(VALU_DEP_4) | instskip(NEXT) | instid1(VALU_DEP_4)
	v_fma_f64 v[30:31], v[22:23], v[2:3], -v[30:31]
	v_fma_f64 v[34:35], v[24:25], v[2:3], v[4:5]
	ds_load_b128 v[2:5], v1 offset:1152
	ds_load_b128 v[22:25], v1 offset:1168
	v_fma_f64 v[28:29], v[28:29], v[6:7], v[32:33]
	v_fma_f64 v[6:7], v[26:27], v[6:7], -v[8:9]
	s_wait_loadcnt_dscnt 0x201
	v_mul_f64_e32 v[36:37], v[2:3], v[12:13]
	v_mul_f64_e32 v[12:13], v[4:5], v[12:13]
	v_add_f64_e32 v[8:9], 0, v[30:31]
	v_add_f64_e32 v[26:27], 0, v[34:35]
	s_wait_loadcnt_dscnt 0x100
	v_mul_f64_e32 v[30:31], v[22:23], v[16:17]
	v_mul_f64_e32 v[16:17], v[24:25], v[16:17]
	v_fma_f64 v[4:5], v[4:5], v[10:11], v[36:37]
	v_fma_f64 v[1:2], v[2:3], v[10:11], -v[12:13]
	v_add_f64_e32 v[6:7], v[8:9], v[6:7]
	v_add_f64_e32 v[8:9], v[26:27], v[28:29]
	v_fma_f64 v[10:11], v[24:25], v[14:15], v[30:31]
	v_fma_f64 v[12:13], v[22:23], v[14:15], -v[16:17]
	s_delay_alu instid0(VALU_DEP_4) | instskip(NEXT) | instid1(VALU_DEP_4)
	v_add_f64_e32 v[1:2], v[6:7], v[1:2]
	v_add_f64_e32 v[3:4], v[8:9], v[4:5]
	s_delay_alu instid0(VALU_DEP_2) | instskip(NEXT) | instid1(VALU_DEP_2)
	v_add_f64_e32 v[1:2], v[1:2], v[12:13]
	v_add_f64_e32 v[3:4], v[3:4], v[10:11]
	s_wait_loadcnt 0x0
	s_delay_alu instid0(VALU_DEP_2) | instskip(NEXT) | instid1(VALU_DEP_2)
	v_add_f64_e64 v[1:2], v[18:19], -v[1:2]
	v_add_f64_e64 v[3:4], v[20:21], -v[3:4]
	scratch_store_b128 off, v[1:4], off offset:528
	v_cmpx_lt_u32_e32 31, v0
	s_cbranch_execz .LBB100_173
; %bb.172:
	scratch_load_b128 v[1:4], off, s41
	v_mov_b32_e32 v5, 0
	s_delay_alu instid0(VALU_DEP_1)
	v_dual_mov_b32 v6, v5 :: v_dual_mov_b32 v7, v5
	v_mov_b32_e32 v8, v5
	scratch_store_b128 off, v[5:8], off offset:512
	s_wait_loadcnt 0x0
	ds_store_b128 v112, v[1:4]
.LBB100_173:
	s_wait_alu 0xfffe
	s_or_b32 exec_lo, exec_lo, s0
	s_wait_storecnt_dscnt 0x0
	s_barrier_signal -1
	s_barrier_wait -1
	global_inv scope:SCOPE_SE
	s_clause 0x5
	scratch_load_b128 v[2:5], off, off offset:528
	scratch_load_b128 v[6:9], off, off offset:544
	;; [unrolled: 1-line block ×6, first 2 shown]
	v_mov_b32_e32 v1, 0
	ds_load_b128 v[26:29], v1 offset:1104
	ds_load_b128 v[30:33], v1 offset:1120
	s_mov_b32 s0, exec_lo
	s_wait_loadcnt_dscnt 0x501
	v_mul_f64_e32 v[34:35], v[28:29], v[4:5]
	v_mul_f64_e32 v[4:5], v[26:27], v[4:5]
	s_wait_loadcnt_dscnt 0x400
	v_mul_f64_e32 v[36:37], v[30:31], v[8:9]
	v_mul_f64_e32 v[8:9], v[32:33], v[8:9]
	s_delay_alu instid0(VALU_DEP_4) | instskip(NEXT) | instid1(VALU_DEP_4)
	v_fma_f64 v[34:35], v[26:27], v[2:3], -v[34:35]
	v_fma_f64 v[113:114], v[28:29], v[2:3], v[4:5]
	ds_load_b128 v[2:5], v1 offset:1136
	ds_load_b128 v[26:29], v1 offset:1152
	v_fma_f64 v[32:33], v[32:33], v[6:7], v[36:37]
	v_fma_f64 v[6:7], v[30:31], v[6:7], -v[8:9]
	s_wait_loadcnt_dscnt 0x301
	v_mul_f64_e32 v[115:116], v[2:3], v[12:13]
	v_mul_f64_e32 v[12:13], v[4:5], v[12:13]
	v_add_f64_e32 v[8:9], 0, v[34:35]
	v_add_f64_e32 v[30:31], 0, v[113:114]
	s_wait_loadcnt_dscnt 0x200
	v_mul_f64_e32 v[34:35], v[26:27], v[16:17]
	v_mul_f64_e32 v[16:17], v[28:29], v[16:17]
	v_fma_f64 v[36:37], v[4:5], v[10:11], v[115:116]
	v_fma_f64 v[10:11], v[2:3], v[10:11], -v[12:13]
	ds_load_b128 v[2:5], v1 offset:1168
	v_add_f64_e32 v[6:7], v[8:9], v[6:7]
	v_add_f64_e32 v[8:9], v[30:31], v[32:33]
	v_fma_f64 v[28:29], v[28:29], v[14:15], v[34:35]
	v_fma_f64 v[14:15], v[26:27], v[14:15], -v[16:17]
	s_wait_loadcnt_dscnt 0x100
	v_mul_f64_e32 v[12:13], v[2:3], v[20:21]
	v_mul_f64_e32 v[20:21], v[4:5], v[20:21]
	v_add_f64_e32 v[6:7], v[6:7], v[10:11]
	v_add_f64_e32 v[8:9], v[8:9], v[36:37]
	s_delay_alu instid0(VALU_DEP_4) | instskip(NEXT) | instid1(VALU_DEP_4)
	v_fma_f64 v[4:5], v[4:5], v[18:19], v[12:13]
	v_fma_f64 v[2:3], v[2:3], v[18:19], -v[20:21]
	s_delay_alu instid0(VALU_DEP_4) | instskip(NEXT) | instid1(VALU_DEP_4)
	v_add_f64_e32 v[6:7], v[6:7], v[14:15]
	v_add_f64_e32 v[8:9], v[8:9], v[28:29]
	s_delay_alu instid0(VALU_DEP_2) | instskip(NEXT) | instid1(VALU_DEP_2)
	v_add_f64_e32 v[2:3], v[6:7], v[2:3]
	v_add_f64_e32 v[4:5], v[8:9], v[4:5]
	s_wait_loadcnt 0x0
	s_delay_alu instid0(VALU_DEP_2) | instskip(NEXT) | instid1(VALU_DEP_2)
	v_add_f64_e64 v[2:3], v[22:23], -v[2:3]
	v_add_f64_e64 v[4:5], v[24:25], -v[4:5]
	scratch_store_b128 off, v[2:5], off offset:512
	v_cmpx_lt_u32_e32 30, v0
	s_cbranch_execz .LBB100_175
; %bb.174:
	scratch_load_b128 v[5:8], off, s22
	v_dual_mov_b32 v2, v1 :: v_dual_mov_b32 v3, v1
	v_mov_b32_e32 v4, v1
	scratch_store_b128 off, v[1:4], off offset:496
	s_wait_loadcnt 0x0
	ds_store_b128 v112, v[5:8]
.LBB100_175:
	s_wait_alu 0xfffe
	s_or_b32 exec_lo, exec_lo, s0
	s_wait_storecnt_dscnt 0x0
	s_barrier_signal -1
	s_barrier_wait -1
	global_inv scope:SCOPE_SE
	s_clause 0x5
	scratch_load_b128 v[2:5], off, off offset:512
	scratch_load_b128 v[6:9], off, off offset:528
	;; [unrolled: 1-line block ×6, first 2 shown]
	ds_load_b128 v[26:29], v1 offset:1088
	ds_load_b128 v[34:37], v1 offset:1104
	scratch_load_b128 v[30:33], off, off offset:496
	s_mov_b32 s0, exec_lo
	s_wait_loadcnt_dscnt 0x601
	v_mul_f64_e32 v[113:114], v[28:29], v[4:5]
	v_mul_f64_e32 v[4:5], v[26:27], v[4:5]
	s_wait_loadcnt_dscnt 0x500
	v_mul_f64_e32 v[115:116], v[34:35], v[8:9]
	v_mul_f64_e32 v[8:9], v[36:37], v[8:9]
	s_delay_alu instid0(VALU_DEP_4) | instskip(NEXT) | instid1(VALU_DEP_4)
	v_fma_f64 v[113:114], v[26:27], v[2:3], -v[113:114]
	v_fma_f64 v[117:118], v[28:29], v[2:3], v[4:5]
	ds_load_b128 v[2:5], v1 offset:1120
	ds_load_b128 v[26:29], v1 offset:1136
	v_fma_f64 v[36:37], v[36:37], v[6:7], v[115:116]
	v_fma_f64 v[6:7], v[34:35], v[6:7], -v[8:9]
	s_wait_loadcnt_dscnt 0x401
	v_mul_f64_e32 v[119:120], v[2:3], v[12:13]
	v_mul_f64_e32 v[12:13], v[4:5], v[12:13]
	v_add_f64_e32 v[8:9], 0, v[113:114]
	v_add_f64_e32 v[34:35], 0, v[117:118]
	s_wait_loadcnt_dscnt 0x300
	v_mul_f64_e32 v[113:114], v[26:27], v[16:17]
	v_mul_f64_e32 v[16:17], v[28:29], v[16:17]
	v_fma_f64 v[115:116], v[4:5], v[10:11], v[119:120]
	v_fma_f64 v[10:11], v[2:3], v[10:11], -v[12:13]
	v_add_f64_e32 v[12:13], v[8:9], v[6:7]
	v_add_f64_e32 v[34:35], v[34:35], v[36:37]
	ds_load_b128 v[2:5], v1 offset:1152
	ds_load_b128 v[6:9], v1 offset:1168
	v_fma_f64 v[28:29], v[28:29], v[14:15], v[113:114]
	v_fma_f64 v[14:15], v[26:27], v[14:15], -v[16:17]
	s_wait_loadcnt_dscnt 0x201
	v_mul_f64_e32 v[36:37], v[2:3], v[20:21]
	v_mul_f64_e32 v[20:21], v[4:5], v[20:21]
	s_wait_loadcnt_dscnt 0x100
	v_mul_f64_e32 v[16:17], v[6:7], v[24:25]
	v_mul_f64_e32 v[24:25], v[8:9], v[24:25]
	v_add_f64_e32 v[10:11], v[12:13], v[10:11]
	v_add_f64_e32 v[12:13], v[34:35], v[115:116]
	v_fma_f64 v[4:5], v[4:5], v[18:19], v[36:37]
	v_fma_f64 v[1:2], v[2:3], v[18:19], -v[20:21]
	v_fma_f64 v[8:9], v[8:9], v[22:23], v[16:17]
	v_fma_f64 v[6:7], v[6:7], v[22:23], -v[24:25]
	v_add_f64_e32 v[10:11], v[10:11], v[14:15]
	v_add_f64_e32 v[12:13], v[12:13], v[28:29]
	s_delay_alu instid0(VALU_DEP_2) | instskip(NEXT) | instid1(VALU_DEP_2)
	v_add_f64_e32 v[1:2], v[10:11], v[1:2]
	v_add_f64_e32 v[3:4], v[12:13], v[4:5]
	s_delay_alu instid0(VALU_DEP_2) | instskip(NEXT) | instid1(VALU_DEP_2)
	v_add_f64_e32 v[1:2], v[1:2], v[6:7]
	v_add_f64_e32 v[3:4], v[3:4], v[8:9]
	s_wait_loadcnt 0x0
	s_delay_alu instid0(VALU_DEP_2) | instskip(NEXT) | instid1(VALU_DEP_2)
	v_add_f64_e64 v[1:2], v[30:31], -v[1:2]
	v_add_f64_e64 v[3:4], v[32:33], -v[3:4]
	scratch_store_b128 off, v[1:4], off offset:496
	v_cmpx_lt_u32_e32 29, v0
	s_cbranch_execz .LBB100_177
; %bb.176:
	scratch_load_b128 v[1:4], off, s40
	v_mov_b32_e32 v5, 0
	s_delay_alu instid0(VALU_DEP_1)
	v_dual_mov_b32 v6, v5 :: v_dual_mov_b32 v7, v5
	v_mov_b32_e32 v8, v5
	scratch_store_b128 off, v[5:8], off offset:480
	s_wait_loadcnt 0x0
	ds_store_b128 v112, v[1:4]
.LBB100_177:
	s_wait_alu 0xfffe
	s_or_b32 exec_lo, exec_lo, s0
	s_wait_storecnt_dscnt 0x0
	s_barrier_signal -1
	s_barrier_wait -1
	global_inv scope:SCOPE_SE
	s_clause 0x6
	scratch_load_b128 v[2:5], off, off offset:496
	scratch_load_b128 v[6:9], off, off offset:512
	;; [unrolled: 1-line block ×7, first 2 shown]
	v_mov_b32_e32 v1, 0
	scratch_load_b128 v[34:37], off, off offset:480
	s_mov_b32 s0, exec_lo
	ds_load_b128 v[30:33], v1 offset:1072
	ds_load_b128 v[113:116], v1 offset:1088
	s_wait_loadcnt_dscnt 0x701
	v_mul_f64_e32 v[117:118], v[32:33], v[4:5]
	v_mul_f64_e32 v[4:5], v[30:31], v[4:5]
	s_wait_loadcnt_dscnt 0x600
	v_mul_f64_e32 v[119:120], v[113:114], v[8:9]
	v_mul_f64_e32 v[8:9], v[115:116], v[8:9]
	s_delay_alu instid0(VALU_DEP_4) | instskip(NEXT) | instid1(VALU_DEP_4)
	v_fma_f64 v[117:118], v[30:31], v[2:3], -v[117:118]
	v_fma_f64 v[121:122], v[32:33], v[2:3], v[4:5]
	ds_load_b128 v[2:5], v1 offset:1104
	ds_load_b128 v[30:33], v1 offset:1120
	v_fma_f64 v[115:116], v[115:116], v[6:7], v[119:120]
	v_fma_f64 v[6:7], v[113:114], v[6:7], -v[8:9]
	s_wait_loadcnt_dscnt 0x501
	v_mul_f64_e32 v[123:124], v[2:3], v[12:13]
	v_mul_f64_e32 v[12:13], v[4:5], v[12:13]
	v_add_f64_e32 v[8:9], 0, v[117:118]
	v_add_f64_e32 v[113:114], 0, v[121:122]
	s_wait_loadcnt_dscnt 0x400
	v_mul_f64_e32 v[117:118], v[30:31], v[16:17]
	v_mul_f64_e32 v[16:17], v[32:33], v[16:17]
	v_fma_f64 v[119:120], v[4:5], v[10:11], v[123:124]
	v_fma_f64 v[10:11], v[2:3], v[10:11], -v[12:13]
	v_add_f64_e32 v[12:13], v[8:9], v[6:7]
	v_add_f64_e32 v[113:114], v[113:114], v[115:116]
	ds_load_b128 v[2:5], v1 offset:1136
	ds_load_b128 v[6:9], v1 offset:1152
	v_fma_f64 v[32:33], v[32:33], v[14:15], v[117:118]
	v_fma_f64 v[14:15], v[30:31], v[14:15], -v[16:17]
	s_wait_loadcnt_dscnt 0x301
	v_mul_f64_e32 v[115:116], v[2:3], v[20:21]
	v_mul_f64_e32 v[20:21], v[4:5], v[20:21]
	s_wait_loadcnt_dscnt 0x200
	v_mul_f64_e32 v[16:17], v[6:7], v[24:25]
	v_mul_f64_e32 v[24:25], v[8:9], v[24:25]
	v_add_f64_e32 v[10:11], v[12:13], v[10:11]
	v_add_f64_e32 v[12:13], v[113:114], v[119:120]
	v_fma_f64 v[30:31], v[4:5], v[18:19], v[115:116]
	v_fma_f64 v[18:19], v[2:3], v[18:19], -v[20:21]
	ds_load_b128 v[2:5], v1 offset:1168
	v_fma_f64 v[8:9], v[8:9], v[22:23], v[16:17]
	v_fma_f64 v[6:7], v[6:7], v[22:23], -v[24:25]
	v_add_f64_e32 v[10:11], v[10:11], v[14:15]
	v_add_f64_e32 v[12:13], v[12:13], v[32:33]
	s_wait_loadcnt_dscnt 0x100
	v_mul_f64_e32 v[14:15], v[2:3], v[28:29]
	v_mul_f64_e32 v[20:21], v[4:5], v[28:29]
	s_delay_alu instid0(VALU_DEP_4) | instskip(NEXT) | instid1(VALU_DEP_4)
	v_add_f64_e32 v[10:11], v[10:11], v[18:19]
	v_add_f64_e32 v[12:13], v[12:13], v[30:31]
	s_delay_alu instid0(VALU_DEP_4) | instskip(NEXT) | instid1(VALU_DEP_4)
	v_fma_f64 v[4:5], v[4:5], v[26:27], v[14:15]
	v_fma_f64 v[2:3], v[2:3], v[26:27], -v[20:21]
	s_delay_alu instid0(VALU_DEP_4) | instskip(NEXT) | instid1(VALU_DEP_4)
	v_add_f64_e32 v[6:7], v[10:11], v[6:7]
	v_add_f64_e32 v[8:9], v[12:13], v[8:9]
	s_delay_alu instid0(VALU_DEP_2) | instskip(NEXT) | instid1(VALU_DEP_2)
	v_add_f64_e32 v[2:3], v[6:7], v[2:3]
	v_add_f64_e32 v[4:5], v[8:9], v[4:5]
	s_wait_loadcnt 0x0
	s_delay_alu instid0(VALU_DEP_2) | instskip(NEXT) | instid1(VALU_DEP_2)
	v_add_f64_e64 v[2:3], v[34:35], -v[2:3]
	v_add_f64_e64 v[4:5], v[36:37], -v[4:5]
	scratch_store_b128 off, v[2:5], off offset:480
	v_cmpx_lt_u32_e32 28, v0
	s_cbranch_execz .LBB100_179
; %bb.178:
	scratch_load_b128 v[5:8], off, s21
	v_dual_mov_b32 v2, v1 :: v_dual_mov_b32 v3, v1
	v_mov_b32_e32 v4, v1
	scratch_store_b128 off, v[1:4], off offset:464
	s_wait_loadcnt 0x0
	ds_store_b128 v112, v[5:8]
.LBB100_179:
	s_wait_alu 0xfffe
	s_or_b32 exec_lo, exec_lo, s0
	s_wait_storecnt_dscnt 0x0
	s_barrier_signal -1
	s_barrier_wait -1
	global_inv scope:SCOPE_SE
	s_clause 0x7
	scratch_load_b128 v[2:5], off, off offset:480
	scratch_load_b128 v[6:9], off, off offset:496
	;; [unrolled: 1-line block ×8, first 2 shown]
	ds_load_b128 v[34:37], v1 offset:1056
	ds_load_b128 v[113:116], v1 offset:1072
	scratch_load_b128 v[117:120], off, off offset:464
	s_mov_b32 s0, exec_lo
	s_wait_loadcnt_dscnt 0x801
	v_mul_f64_e32 v[121:122], v[36:37], v[4:5]
	v_mul_f64_e32 v[4:5], v[34:35], v[4:5]
	s_wait_loadcnt_dscnt 0x700
	v_mul_f64_e32 v[123:124], v[113:114], v[8:9]
	v_mul_f64_e32 v[8:9], v[115:116], v[8:9]
	s_delay_alu instid0(VALU_DEP_4) | instskip(NEXT) | instid1(VALU_DEP_4)
	v_fma_f64 v[121:122], v[34:35], v[2:3], -v[121:122]
	v_fma_f64 v[125:126], v[36:37], v[2:3], v[4:5]
	ds_load_b128 v[2:5], v1 offset:1088
	ds_load_b128 v[34:37], v1 offset:1104
	v_fma_f64 v[115:116], v[115:116], v[6:7], v[123:124]
	v_fma_f64 v[6:7], v[113:114], v[6:7], -v[8:9]
	s_wait_loadcnt_dscnt 0x601
	v_mul_f64_e32 v[127:128], v[2:3], v[12:13]
	v_mul_f64_e32 v[12:13], v[4:5], v[12:13]
	v_add_f64_e32 v[8:9], 0, v[121:122]
	v_add_f64_e32 v[113:114], 0, v[125:126]
	s_wait_loadcnt_dscnt 0x500
	v_mul_f64_e32 v[121:122], v[34:35], v[16:17]
	v_mul_f64_e32 v[16:17], v[36:37], v[16:17]
	v_fma_f64 v[123:124], v[4:5], v[10:11], v[127:128]
	v_fma_f64 v[10:11], v[2:3], v[10:11], -v[12:13]
	v_add_f64_e32 v[12:13], v[8:9], v[6:7]
	v_add_f64_e32 v[113:114], v[113:114], v[115:116]
	ds_load_b128 v[2:5], v1 offset:1120
	ds_load_b128 v[6:9], v1 offset:1136
	v_fma_f64 v[36:37], v[36:37], v[14:15], v[121:122]
	v_fma_f64 v[14:15], v[34:35], v[14:15], -v[16:17]
	s_wait_loadcnt_dscnt 0x401
	v_mul_f64_e32 v[115:116], v[2:3], v[20:21]
	v_mul_f64_e32 v[20:21], v[4:5], v[20:21]
	s_wait_loadcnt_dscnt 0x300
	v_mul_f64_e32 v[16:17], v[6:7], v[24:25]
	v_mul_f64_e32 v[24:25], v[8:9], v[24:25]
	v_add_f64_e32 v[10:11], v[12:13], v[10:11]
	v_add_f64_e32 v[12:13], v[113:114], v[123:124]
	v_fma_f64 v[34:35], v[4:5], v[18:19], v[115:116]
	v_fma_f64 v[18:19], v[2:3], v[18:19], -v[20:21]
	v_fma_f64 v[8:9], v[8:9], v[22:23], v[16:17]
	v_fma_f64 v[6:7], v[6:7], v[22:23], -v[24:25]
	v_add_f64_e32 v[14:15], v[10:11], v[14:15]
	v_add_f64_e32 v[20:21], v[12:13], v[36:37]
	ds_load_b128 v[2:5], v1 offset:1152
	ds_load_b128 v[10:13], v1 offset:1168
	s_wait_loadcnt_dscnt 0x201
	v_mul_f64_e32 v[36:37], v[2:3], v[28:29]
	v_mul_f64_e32 v[28:29], v[4:5], v[28:29]
	v_add_f64_e32 v[14:15], v[14:15], v[18:19]
	v_add_f64_e32 v[16:17], v[20:21], v[34:35]
	s_wait_loadcnt_dscnt 0x100
	v_mul_f64_e32 v[18:19], v[10:11], v[32:33]
	v_mul_f64_e32 v[20:21], v[12:13], v[32:33]
	v_fma_f64 v[4:5], v[4:5], v[26:27], v[36:37]
	v_fma_f64 v[1:2], v[2:3], v[26:27], -v[28:29]
	v_add_f64_e32 v[6:7], v[14:15], v[6:7]
	v_add_f64_e32 v[8:9], v[16:17], v[8:9]
	v_fma_f64 v[12:13], v[12:13], v[30:31], v[18:19]
	v_fma_f64 v[10:11], v[10:11], v[30:31], -v[20:21]
	s_delay_alu instid0(VALU_DEP_4) | instskip(NEXT) | instid1(VALU_DEP_4)
	v_add_f64_e32 v[1:2], v[6:7], v[1:2]
	v_add_f64_e32 v[3:4], v[8:9], v[4:5]
	s_delay_alu instid0(VALU_DEP_2) | instskip(NEXT) | instid1(VALU_DEP_2)
	v_add_f64_e32 v[1:2], v[1:2], v[10:11]
	v_add_f64_e32 v[3:4], v[3:4], v[12:13]
	s_wait_loadcnt 0x0
	s_delay_alu instid0(VALU_DEP_2) | instskip(NEXT) | instid1(VALU_DEP_2)
	v_add_f64_e64 v[1:2], v[117:118], -v[1:2]
	v_add_f64_e64 v[3:4], v[119:120], -v[3:4]
	scratch_store_b128 off, v[1:4], off offset:464
	v_cmpx_lt_u32_e32 27, v0
	s_cbranch_execz .LBB100_181
; %bb.180:
	scratch_load_b128 v[1:4], off, s39
	v_mov_b32_e32 v5, 0
	s_delay_alu instid0(VALU_DEP_1)
	v_dual_mov_b32 v6, v5 :: v_dual_mov_b32 v7, v5
	v_mov_b32_e32 v8, v5
	scratch_store_b128 off, v[5:8], off offset:448
	s_wait_loadcnt 0x0
	ds_store_b128 v112, v[1:4]
.LBB100_181:
	s_wait_alu 0xfffe
	s_or_b32 exec_lo, exec_lo, s0
	s_wait_storecnt_dscnt 0x0
	s_barrier_signal -1
	s_barrier_wait -1
	global_inv scope:SCOPE_SE
	s_clause 0x7
	scratch_load_b128 v[2:5], off, off offset:464
	scratch_load_b128 v[6:9], off, off offset:480
	;; [unrolled: 1-line block ×8, first 2 shown]
	v_mov_b32_e32 v1, 0
	s_mov_b32 s0, exec_lo
	ds_load_b128 v[34:37], v1 offset:1040
	s_clause 0x1
	scratch_load_b128 v[113:116], off, off offset:592
	scratch_load_b128 v[117:120], off, off offset:448
	ds_load_b128 v[121:124], v1 offset:1056
	s_wait_loadcnt_dscnt 0x901
	v_mul_f64_e32 v[125:126], v[36:37], v[4:5]
	v_mul_f64_e32 v[4:5], v[34:35], v[4:5]
	s_wait_loadcnt_dscnt 0x800
	v_mul_f64_e32 v[127:128], v[121:122], v[8:9]
	v_mul_f64_e32 v[8:9], v[123:124], v[8:9]
	s_delay_alu instid0(VALU_DEP_4) | instskip(NEXT) | instid1(VALU_DEP_4)
	v_fma_f64 v[125:126], v[34:35], v[2:3], -v[125:126]
	v_fma_f64 v[129:130], v[36:37], v[2:3], v[4:5]
	ds_load_b128 v[2:5], v1 offset:1072
	ds_load_b128 v[34:37], v1 offset:1088
	v_fma_f64 v[123:124], v[123:124], v[6:7], v[127:128]
	v_fma_f64 v[6:7], v[121:122], v[6:7], -v[8:9]
	s_wait_loadcnt_dscnt 0x701
	v_mul_f64_e32 v[131:132], v[2:3], v[12:13]
	v_mul_f64_e32 v[12:13], v[4:5], v[12:13]
	v_add_f64_e32 v[8:9], 0, v[125:126]
	v_add_f64_e32 v[121:122], 0, v[129:130]
	s_wait_loadcnt_dscnt 0x600
	v_mul_f64_e32 v[125:126], v[34:35], v[16:17]
	v_mul_f64_e32 v[16:17], v[36:37], v[16:17]
	v_fma_f64 v[127:128], v[4:5], v[10:11], v[131:132]
	v_fma_f64 v[10:11], v[2:3], v[10:11], -v[12:13]
	v_add_f64_e32 v[12:13], v[8:9], v[6:7]
	v_add_f64_e32 v[121:122], v[121:122], v[123:124]
	ds_load_b128 v[2:5], v1 offset:1104
	ds_load_b128 v[6:9], v1 offset:1120
	v_fma_f64 v[36:37], v[36:37], v[14:15], v[125:126]
	v_fma_f64 v[14:15], v[34:35], v[14:15], -v[16:17]
	s_wait_loadcnt_dscnt 0x501
	v_mul_f64_e32 v[123:124], v[2:3], v[20:21]
	v_mul_f64_e32 v[20:21], v[4:5], v[20:21]
	s_wait_loadcnt_dscnt 0x400
	v_mul_f64_e32 v[16:17], v[6:7], v[24:25]
	v_mul_f64_e32 v[24:25], v[8:9], v[24:25]
	v_add_f64_e32 v[10:11], v[12:13], v[10:11]
	v_add_f64_e32 v[12:13], v[121:122], v[127:128]
	v_fma_f64 v[34:35], v[4:5], v[18:19], v[123:124]
	v_fma_f64 v[18:19], v[2:3], v[18:19], -v[20:21]
	v_fma_f64 v[8:9], v[8:9], v[22:23], v[16:17]
	v_fma_f64 v[6:7], v[6:7], v[22:23], -v[24:25]
	v_add_f64_e32 v[14:15], v[10:11], v[14:15]
	v_add_f64_e32 v[20:21], v[12:13], v[36:37]
	ds_load_b128 v[2:5], v1 offset:1136
	ds_load_b128 v[10:13], v1 offset:1152
	s_wait_loadcnt_dscnt 0x301
	v_mul_f64_e32 v[36:37], v[2:3], v[28:29]
	v_mul_f64_e32 v[28:29], v[4:5], v[28:29]
	v_add_f64_e32 v[14:15], v[14:15], v[18:19]
	v_add_f64_e32 v[16:17], v[20:21], v[34:35]
	s_wait_loadcnt_dscnt 0x200
	v_mul_f64_e32 v[18:19], v[10:11], v[32:33]
	v_mul_f64_e32 v[20:21], v[12:13], v[32:33]
	v_fma_f64 v[22:23], v[4:5], v[26:27], v[36:37]
	v_fma_f64 v[24:25], v[2:3], v[26:27], -v[28:29]
	ds_load_b128 v[2:5], v1 offset:1168
	v_add_f64_e32 v[6:7], v[14:15], v[6:7]
	v_add_f64_e32 v[8:9], v[16:17], v[8:9]
	v_fma_f64 v[12:13], v[12:13], v[30:31], v[18:19]
	v_fma_f64 v[10:11], v[10:11], v[30:31], -v[20:21]
	s_wait_loadcnt_dscnt 0x100
	v_mul_f64_e32 v[14:15], v[2:3], v[115:116]
	v_mul_f64_e32 v[16:17], v[4:5], v[115:116]
	v_add_f64_e32 v[6:7], v[6:7], v[24:25]
	v_add_f64_e32 v[8:9], v[8:9], v[22:23]
	s_delay_alu instid0(VALU_DEP_4) | instskip(NEXT) | instid1(VALU_DEP_4)
	v_fma_f64 v[4:5], v[4:5], v[113:114], v[14:15]
	v_fma_f64 v[2:3], v[2:3], v[113:114], -v[16:17]
	s_delay_alu instid0(VALU_DEP_4) | instskip(NEXT) | instid1(VALU_DEP_4)
	v_add_f64_e32 v[6:7], v[6:7], v[10:11]
	v_add_f64_e32 v[8:9], v[8:9], v[12:13]
	s_delay_alu instid0(VALU_DEP_2) | instskip(NEXT) | instid1(VALU_DEP_2)
	v_add_f64_e32 v[2:3], v[6:7], v[2:3]
	v_add_f64_e32 v[4:5], v[8:9], v[4:5]
	s_wait_loadcnt 0x0
	s_delay_alu instid0(VALU_DEP_2) | instskip(NEXT) | instid1(VALU_DEP_2)
	v_add_f64_e64 v[2:3], v[117:118], -v[2:3]
	v_add_f64_e64 v[4:5], v[119:120], -v[4:5]
	scratch_store_b128 off, v[2:5], off offset:448
	v_cmpx_lt_u32_e32 26, v0
	s_cbranch_execz .LBB100_183
; %bb.182:
	scratch_load_b128 v[5:8], off, s20
	v_dual_mov_b32 v2, v1 :: v_dual_mov_b32 v3, v1
	v_mov_b32_e32 v4, v1
	scratch_store_b128 off, v[1:4], off offset:432
	s_wait_loadcnt 0x0
	ds_store_b128 v112, v[5:8]
.LBB100_183:
	s_wait_alu 0xfffe
	s_or_b32 exec_lo, exec_lo, s0
	s_wait_storecnt_dscnt 0x0
	s_barrier_signal -1
	s_barrier_wait -1
	global_inv scope:SCOPE_SE
	s_clause 0x8
	scratch_load_b128 v[2:5], off, off offset:448
	scratch_load_b128 v[6:9], off, off offset:464
	;; [unrolled: 1-line block ×9, first 2 shown]
	ds_load_b128 v[113:116], v1 offset:1024
	ds_load_b128 v[117:120], v1 offset:1040
	s_clause 0x1
	scratch_load_b128 v[121:124], off, off offset:432
	scratch_load_b128 v[125:128], off, off offset:592
	s_mov_b32 s0, exec_lo
	s_wait_loadcnt_dscnt 0xa01
	v_mul_f64_e32 v[129:130], v[115:116], v[4:5]
	v_mul_f64_e32 v[4:5], v[113:114], v[4:5]
	s_wait_loadcnt_dscnt 0x900
	v_mul_f64_e32 v[131:132], v[117:118], v[8:9]
	v_mul_f64_e32 v[8:9], v[119:120], v[8:9]
	s_delay_alu instid0(VALU_DEP_4) | instskip(NEXT) | instid1(VALU_DEP_4)
	v_fma_f64 v[129:130], v[113:114], v[2:3], -v[129:130]
	v_fma_f64 v[133:134], v[115:116], v[2:3], v[4:5]
	ds_load_b128 v[2:5], v1 offset:1056
	ds_load_b128 v[113:116], v1 offset:1072
	v_fma_f64 v[119:120], v[119:120], v[6:7], v[131:132]
	v_fma_f64 v[6:7], v[117:118], v[6:7], -v[8:9]
	s_wait_loadcnt_dscnt 0x801
	v_mul_f64_e32 v[135:136], v[2:3], v[12:13]
	v_mul_f64_e32 v[12:13], v[4:5], v[12:13]
	v_add_f64_e32 v[8:9], 0, v[129:130]
	v_add_f64_e32 v[117:118], 0, v[133:134]
	s_wait_loadcnt_dscnt 0x700
	v_mul_f64_e32 v[129:130], v[113:114], v[16:17]
	v_mul_f64_e32 v[16:17], v[115:116], v[16:17]
	v_fma_f64 v[131:132], v[4:5], v[10:11], v[135:136]
	v_fma_f64 v[10:11], v[2:3], v[10:11], -v[12:13]
	v_add_f64_e32 v[12:13], v[8:9], v[6:7]
	v_add_f64_e32 v[117:118], v[117:118], v[119:120]
	ds_load_b128 v[2:5], v1 offset:1088
	ds_load_b128 v[6:9], v1 offset:1104
	v_fma_f64 v[115:116], v[115:116], v[14:15], v[129:130]
	v_fma_f64 v[14:15], v[113:114], v[14:15], -v[16:17]
	s_wait_loadcnt_dscnt 0x601
	v_mul_f64_e32 v[119:120], v[2:3], v[20:21]
	v_mul_f64_e32 v[20:21], v[4:5], v[20:21]
	s_wait_loadcnt_dscnt 0x500
	v_mul_f64_e32 v[16:17], v[6:7], v[24:25]
	v_mul_f64_e32 v[24:25], v[8:9], v[24:25]
	v_add_f64_e32 v[10:11], v[12:13], v[10:11]
	v_add_f64_e32 v[12:13], v[117:118], v[131:132]
	v_fma_f64 v[113:114], v[4:5], v[18:19], v[119:120]
	v_fma_f64 v[18:19], v[2:3], v[18:19], -v[20:21]
	v_fma_f64 v[8:9], v[8:9], v[22:23], v[16:17]
	v_fma_f64 v[6:7], v[6:7], v[22:23], -v[24:25]
	v_add_f64_e32 v[14:15], v[10:11], v[14:15]
	v_add_f64_e32 v[20:21], v[12:13], v[115:116]
	ds_load_b128 v[2:5], v1 offset:1120
	ds_load_b128 v[10:13], v1 offset:1136
	s_wait_loadcnt_dscnt 0x401
	v_mul_f64_e32 v[115:116], v[2:3], v[28:29]
	v_mul_f64_e32 v[28:29], v[4:5], v[28:29]
	v_add_f64_e32 v[14:15], v[14:15], v[18:19]
	v_add_f64_e32 v[16:17], v[20:21], v[113:114]
	s_wait_loadcnt_dscnt 0x300
	v_mul_f64_e32 v[18:19], v[10:11], v[32:33]
	v_mul_f64_e32 v[20:21], v[12:13], v[32:33]
	v_fma_f64 v[22:23], v[4:5], v[26:27], v[115:116]
	v_fma_f64 v[24:25], v[2:3], v[26:27], -v[28:29]
	v_add_f64_e32 v[14:15], v[14:15], v[6:7]
	v_add_f64_e32 v[16:17], v[16:17], v[8:9]
	ds_load_b128 v[2:5], v1 offset:1152
	ds_load_b128 v[6:9], v1 offset:1168
	v_fma_f64 v[12:13], v[12:13], v[30:31], v[18:19]
	v_fma_f64 v[10:11], v[10:11], v[30:31], -v[20:21]
	s_wait_loadcnt_dscnt 0x201
	v_mul_f64_e32 v[26:27], v[2:3], v[36:37]
	v_mul_f64_e32 v[28:29], v[4:5], v[36:37]
	s_wait_loadcnt_dscnt 0x0
	v_mul_f64_e32 v[18:19], v[6:7], v[127:128]
	v_mul_f64_e32 v[20:21], v[8:9], v[127:128]
	v_add_f64_e32 v[14:15], v[14:15], v[24:25]
	v_add_f64_e32 v[16:17], v[16:17], v[22:23]
	v_fma_f64 v[4:5], v[4:5], v[34:35], v[26:27]
	v_fma_f64 v[1:2], v[2:3], v[34:35], -v[28:29]
	v_fma_f64 v[8:9], v[8:9], v[125:126], v[18:19]
	v_fma_f64 v[6:7], v[6:7], v[125:126], -v[20:21]
	v_add_f64_e32 v[10:11], v[14:15], v[10:11]
	v_add_f64_e32 v[12:13], v[16:17], v[12:13]
	s_delay_alu instid0(VALU_DEP_2) | instskip(NEXT) | instid1(VALU_DEP_2)
	v_add_f64_e32 v[1:2], v[10:11], v[1:2]
	v_add_f64_e32 v[3:4], v[12:13], v[4:5]
	s_delay_alu instid0(VALU_DEP_2) | instskip(NEXT) | instid1(VALU_DEP_2)
	v_add_f64_e32 v[1:2], v[1:2], v[6:7]
	v_add_f64_e32 v[3:4], v[3:4], v[8:9]
	s_delay_alu instid0(VALU_DEP_2) | instskip(NEXT) | instid1(VALU_DEP_2)
	v_add_f64_e64 v[1:2], v[121:122], -v[1:2]
	v_add_f64_e64 v[3:4], v[123:124], -v[3:4]
	scratch_store_b128 off, v[1:4], off offset:432
	v_cmpx_lt_u32_e32 25, v0
	s_cbranch_execz .LBB100_185
; %bb.184:
	scratch_load_b128 v[1:4], off, s38
	v_mov_b32_e32 v5, 0
	s_delay_alu instid0(VALU_DEP_1)
	v_dual_mov_b32 v6, v5 :: v_dual_mov_b32 v7, v5
	v_mov_b32_e32 v8, v5
	scratch_store_b128 off, v[5:8], off offset:416
	s_wait_loadcnt 0x0
	ds_store_b128 v112, v[1:4]
.LBB100_185:
	s_wait_alu 0xfffe
	s_or_b32 exec_lo, exec_lo, s0
	s_wait_storecnt_dscnt 0x0
	s_barrier_signal -1
	s_barrier_wait -1
	global_inv scope:SCOPE_SE
	s_clause 0x7
	scratch_load_b128 v[2:5], off, off offset:432
	scratch_load_b128 v[6:9], off, off offset:448
	;; [unrolled: 1-line block ×8, first 2 shown]
	v_mov_b32_e32 v1, 0
	s_mov_b32 s0, exec_lo
	ds_load_b128 v[34:37], v1 offset:1008
	s_clause 0x1
	scratch_load_b128 v[113:116], off, off offset:560
	scratch_load_b128 v[117:120], off, off offset:416
	ds_load_b128 v[121:124], v1 offset:1024
	scratch_load_b128 v[125:128], off, off offset:576
	s_wait_loadcnt_dscnt 0xa01
	v_mul_f64_e32 v[129:130], v[36:37], v[4:5]
	v_mul_f64_e32 v[4:5], v[34:35], v[4:5]
	s_delay_alu instid0(VALU_DEP_2) | instskip(NEXT) | instid1(VALU_DEP_2)
	v_fma_f64 v[135:136], v[34:35], v[2:3], -v[129:130]
	v_fma_f64 v[137:138], v[36:37], v[2:3], v[4:5]
	ds_load_b128 v[2:5], v1 offset:1040
	s_wait_loadcnt_dscnt 0x901
	v_mul_f64_e32 v[133:134], v[121:122], v[8:9]
	v_mul_f64_e32 v[8:9], v[123:124], v[8:9]
	scratch_load_b128 v[34:37], off, off offset:592
	ds_load_b128 v[129:132], v1 offset:1056
	s_wait_loadcnt_dscnt 0x901
	v_mul_f64_e32 v[139:140], v[2:3], v[12:13]
	v_mul_f64_e32 v[12:13], v[4:5], v[12:13]
	v_fma_f64 v[123:124], v[123:124], v[6:7], v[133:134]
	v_fma_f64 v[6:7], v[121:122], v[6:7], -v[8:9]
	v_add_f64_e32 v[8:9], 0, v[135:136]
	v_add_f64_e32 v[121:122], 0, v[137:138]
	s_wait_loadcnt_dscnt 0x800
	v_mul_f64_e32 v[133:134], v[129:130], v[16:17]
	v_mul_f64_e32 v[16:17], v[131:132], v[16:17]
	v_fma_f64 v[135:136], v[4:5], v[10:11], v[139:140]
	v_fma_f64 v[10:11], v[2:3], v[10:11], -v[12:13]
	v_add_f64_e32 v[12:13], v[8:9], v[6:7]
	v_add_f64_e32 v[121:122], v[121:122], v[123:124]
	ds_load_b128 v[2:5], v1 offset:1072
	ds_load_b128 v[6:9], v1 offset:1088
	v_fma_f64 v[131:132], v[131:132], v[14:15], v[133:134]
	v_fma_f64 v[14:15], v[129:130], v[14:15], -v[16:17]
	s_wait_loadcnt_dscnt 0x701
	v_mul_f64_e32 v[123:124], v[2:3], v[20:21]
	v_mul_f64_e32 v[20:21], v[4:5], v[20:21]
	s_wait_loadcnt_dscnt 0x600
	v_mul_f64_e32 v[16:17], v[6:7], v[24:25]
	v_mul_f64_e32 v[24:25], v[8:9], v[24:25]
	v_add_f64_e32 v[10:11], v[12:13], v[10:11]
	v_add_f64_e32 v[12:13], v[121:122], v[135:136]
	v_fma_f64 v[121:122], v[4:5], v[18:19], v[123:124]
	v_fma_f64 v[18:19], v[2:3], v[18:19], -v[20:21]
	v_fma_f64 v[8:9], v[8:9], v[22:23], v[16:17]
	v_fma_f64 v[6:7], v[6:7], v[22:23], -v[24:25]
	v_add_f64_e32 v[14:15], v[10:11], v[14:15]
	v_add_f64_e32 v[20:21], v[12:13], v[131:132]
	ds_load_b128 v[2:5], v1 offset:1104
	ds_load_b128 v[10:13], v1 offset:1120
	s_wait_loadcnt_dscnt 0x501
	v_mul_f64_e32 v[123:124], v[2:3], v[28:29]
	v_mul_f64_e32 v[28:29], v[4:5], v[28:29]
	v_add_f64_e32 v[14:15], v[14:15], v[18:19]
	v_add_f64_e32 v[16:17], v[20:21], v[121:122]
	s_wait_loadcnt_dscnt 0x400
	v_mul_f64_e32 v[18:19], v[10:11], v[32:33]
	v_mul_f64_e32 v[20:21], v[12:13], v[32:33]
	v_fma_f64 v[22:23], v[4:5], v[26:27], v[123:124]
	v_fma_f64 v[24:25], v[2:3], v[26:27], -v[28:29]
	v_add_f64_e32 v[14:15], v[14:15], v[6:7]
	v_add_f64_e32 v[16:17], v[16:17], v[8:9]
	ds_load_b128 v[2:5], v1 offset:1136
	ds_load_b128 v[6:9], v1 offset:1152
	v_fma_f64 v[12:13], v[12:13], v[30:31], v[18:19]
	v_fma_f64 v[10:11], v[10:11], v[30:31], -v[20:21]
	s_wait_loadcnt_dscnt 0x301
	v_mul_f64_e32 v[26:27], v[2:3], v[115:116]
	v_mul_f64_e32 v[28:29], v[4:5], v[115:116]
	s_wait_loadcnt_dscnt 0x100
	v_mul_f64_e32 v[18:19], v[6:7], v[127:128]
	v_mul_f64_e32 v[20:21], v[8:9], v[127:128]
	v_add_f64_e32 v[14:15], v[14:15], v[24:25]
	v_add_f64_e32 v[16:17], v[16:17], v[22:23]
	v_fma_f64 v[22:23], v[4:5], v[113:114], v[26:27]
	v_fma_f64 v[24:25], v[2:3], v[113:114], -v[28:29]
	ds_load_b128 v[2:5], v1 offset:1168
	v_fma_f64 v[8:9], v[8:9], v[125:126], v[18:19]
	v_fma_f64 v[6:7], v[6:7], v[125:126], -v[20:21]
	v_add_f64_e32 v[10:11], v[14:15], v[10:11]
	v_add_f64_e32 v[12:13], v[16:17], v[12:13]
	s_wait_loadcnt_dscnt 0x0
	v_mul_f64_e32 v[14:15], v[2:3], v[36:37]
	v_mul_f64_e32 v[16:17], v[4:5], v[36:37]
	s_delay_alu instid0(VALU_DEP_4) | instskip(NEXT) | instid1(VALU_DEP_4)
	v_add_f64_e32 v[10:11], v[10:11], v[24:25]
	v_add_f64_e32 v[12:13], v[12:13], v[22:23]
	s_delay_alu instid0(VALU_DEP_4) | instskip(NEXT) | instid1(VALU_DEP_4)
	v_fma_f64 v[4:5], v[4:5], v[34:35], v[14:15]
	v_fma_f64 v[2:3], v[2:3], v[34:35], -v[16:17]
	s_delay_alu instid0(VALU_DEP_4) | instskip(NEXT) | instid1(VALU_DEP_4)
	v_add_f64_e32 v[6:7], v[10:11], v[6:7]
	v_add_f64_e32 v[8:9], v[12:13], v[8:9]
	s_delay_alu instid0(VALU_DEP_2) | instskip(NEXT) | instid1(VALU_DEP_2)
	v_add_f64_e32 v[2:3], v[6:7], v[2:3]
	v_add_f64_e32 v[4:5], v[8:9], v[4:5]
	s_delay_alu instid0(VALU_DEP_2) | instskip(NEXT) | instid1(VALU_DEP_2)
	v_add_f64_e64 v[2:3], v[117:118], -v[2:3]
	v_add_f64_e64 v[4:5], v[119:120], -v[4:5]
	scratch_store_b128 off, v[2:5], off offset:416
	v_cmpx_lt_u32_e32 24, v0
	s_cbranch_execz .LBB100_187
; %bb.186:
	scratch_load_b128 v[5:8], off, s19
	v_dual_mov_b32 v2, v1 :: v_dual_mov_b32 v3, v1
	v_mov_b32_e32 v4, v1
	scratch_store_b128 off, v[1:4], off offset:400
	s_wait_loadcnt 0x0
	ds_store_b128 v112, v[5:8]
.LBB100_187:
	s_wait_alu 0xfffe
	s_or_b32 exec_lo, exec_lo, s0
	s_wait_storecnt_dscnt 0x0
	s_barrier_signal -1
	s_barrier_wait -1
	global_inv scope:SCOPE_SE
	s_clause 0x8
	scratch_load_b128 v[2:5], off, off offset:416
	scratch_load_b128 v[6:9], off, off offset:432
	;; [unrolled: 1-line block ×9, first 2 shown]
	ds_load_b128 v[113:116], v1 offset:992
	ds_load_b128 v[117:120], v1 offset:1008
	s_clause 0x1
	scratch_load_b128 v[121:124], off, off offset:400
	scratch_load_b128 v[125:128], off, off offset:560
	s_mov_b32 s0, exec_lo
	s_wait_loadcnt_dscnt 0xa01
	v_mul_f64_e32 v[129:130], v[115:116], v[4:5]
	v_mul_f64_e32 v[4:5], v[113:114], v[4:5]
	s_wait_loadcnt_dscnt 0x900
	v_mul_f64_e32 v[133:134], v[117:118], v[8:9]
	v_mul_f64_e32 v[8:9], v[119:120], v[8:9]
	s_delay_alu instid0(VALU_DEP_4) | instskip(NEXT) | instid1(VALU_DEP_4)
	v_fma_f64 v[135:136], v[113:114], v[2:3], -v[129:130]
	v_fma_f64 v[137:138], v[115:116], v[2:3], v[4:5]
	ds_load_b128 v[2:5], v1 offset:1024
	ds_load_b128 v[129:132], v1 offset:1040
	scratch_load_b128 v[113:116], off, off offset:576
	v_fma_f64 v[119:120], v[119:120], v[6:7], v[133:134]
	v_fma_f64 v[117:118], v[117:118], v[6:7], -v[8:9]
	scratch_load_b128 v[6:9], off, off offset:592
	s_wait_loadcnt_dscnt 0xa01
	v_mul_f64_e32 v[139:140], v[2:3], v[12:13]
	v_mul_f64_e32 v[12:13], v[4:5], v[12:13]
	v_add_f64_e32 v[133:134], 0, v[135:136]
	v_add_f64_e32 v[135:136], 0, v[137:138]
	s_wait_loadcnt_dscnt 0x900
	v_mul_f64_e32 v[137:138], v[129:130], v[16:17]
	v_mul_f64_e32 v[16:17], v[131:132], v[16:17]
	v_fma_f64 v[139:140], v[4:5], v[10:11], v[139:140]
	v_fma_f64 v[141:142], v[2:3], v[10:11], -v[12:13]
	ds_load_b128 v[2:5], v1 offset:1056
	ds_load_b128 v[10:13], v1 offset:1072
	v_add_f64_e32 v[117:118], v[133:134], v[117:118]
	v_add_f64_e32 v[119:120], v[135:136], v[119:120]
	v_fma_f64 v[131:132], v[131:132], v[14:15], v[137:138]
	v_fma_f64 v[14:15], v[129:130], v[14:15], -v[16:17]
	s_wait_loadcnt_dscnt 0x801
	v_mul_f64_e32 v[133:134], v[2:3], v[20:21]
	v_mul_f64_e32 v[20:21], v[4:5], v[20:21]
	v_add_f64_e32 v[16:17], v[117:118], v[141:142]
	v_add_f64_e32 v[117:118], v[119:120], v[139:140]
	s_wait_loadcnt_dscnt 0x700
	v_mul_f64_e32 v[119:120], v[10:11], v[24:25]
	v_mul_f64_e32 v[24:25], v[12:13], v[24:25]
	v_fma_f64 v[129:130], v[4:5], v[18:19], v[133:134]
	v_fma_f64 v[18:19], v[2:3], v[18:19], -v[20:21]
	v_add_f64_e32 v[20:21], v[16:17], v[14:15]
	v_add_f64_e32 v[117:118], v[117:118], v[131:132]
	ds_load_b128 v[2:5], v1 offset:1088
	ds_load_b128 v[14:17], v1 offset:1104
	v_fma_f64 v[12:13], v[12:13], v[22:23], v[119:120]
	v_fma_f64 v[10:11], v[10:11], v[22:23], -v[24:25]
	s_wait_loadcnt_dscnt 0x601
	v_mul_f64_e32 v[131:132], v[2:3], v[28:29]
	v_mul_f64_e32 v[28:29], v[4:5], v[28:29]
	s_wait_loadcnt_dscnt 0x500
	v_mul_f64_e32 v[22:23], v[14:15], v[32:33]
	v_mul_f64_e32 v[24:25], v[16:17], v[32:33]
	v_add_f64_e32 v[18:19], v[20:21], v[18:19]
	v_add_f64_e32 v[20:21], v[117:118], v[129:130]
	v_fma_f64 v[32:33], v[4:5], v[26:27], v[131:132]
	v_fma_f64 v[26:27], v[2:3], v[26:27], -v[28:29]
	v_fma_f64 v[16:17], v[16:17], v[30:31], v[22:23]
	v_fma_f64 v[14:15], v[14:15], v[30:31], -v[24:25]
	v_add_f64_e32 v[18:19], v[18:19], v[10:11]
	v_add_f64_e32 v[20:21], v[20:21], v[12:13]
	ds_load_b128 v[2:5], v1 offset:1120
	ds_load_b128 v[10:13], v1 offset:1136
	s_wait_loadcnt_dscnt 0x401
	v_mul_f64_e32 v[28:29], v[2:3], v[36:37]
	v_mul_f64_e32 v[36:37], v[4:5], v[36:37]
	s_wait_loadcnt_dscnt 0x200
	v_mul_f64_e32 v[22:23], v[10:11], v[127:128]
	v_mul_f64_e32 v[24:25], v[12:13], v[127:128]
	v_add_f64_e32 v[18:19], v[18:19], v[26:27]
	v_add_f64_e32 v[20:21], v[20:21], v[32:33]
	v_fma_f64 v[26:27], v[4:5], v[34:35], v[28:29]
	v_fma_f64 v[28:29], v[2:3], v[34:35], -v[36:37]
	v_fma_f64 v[12:13], v[12:13], v[125:126], v[22:23]
	v_fma_f64 v[10:11], v[10:11], v[125:126], -v[24:25]
	v_add_f64_e32 v[18:19], v[18:19], v[14:15]
	v_add_f64_e32 v[20:21], v[20:21], v[16:17]
	ds_load_b128 v[2:5], v1 offset:1152
	ds_load_b128 v[14:17], v1 offset:1168
	s_wait_loadcnt_dscnt 0x101
	v_mul_f64_e32 v[30:31], v[2:3], v[115:116]
	v_mul_f64_e32 v[32:33], v[4:5], v[115:116]
	s_wait_loadcnt_dscnt 0x0
	v_mul_f64_e32 v[22:23], v[14:15], v[8:9]
	v_mul_f64_e32 v[8:9], v[16:17], v[8:9]
	v_add_f64_e32 v[18:19], v[18:19], v[28:29]
	v_add_f64_e32 v[20:21], v[20:21], v[26:27]
	v_fma_f64 v[4:5], v[4:5], v[113:114], v[30:31]
	v_fma_f64 v[1:2], v[2:3], v[113:114], -v[32:33]
	v_fma_f64 v[16:17], v[16:17], v[6:7], v[22:23]
	v_fma_f64 v[6:7], v[14:15], v[6:7], -v[8:9]
	v_add_f64_e32 v[10:11], v[18:19], v[10:11]
	v_add_f64_e32 v[12:13], v[20:21], v[12:13]
	s_delay_alu instid0(VALU_DEP_2) | instskip(NEXT) | instid1(VALU_DEP_2)
	v_add_f64_e32 v[1:2], v[10:11], v[1:2]
	v_add_f64_e32 v[3:4], v[12:13], v[4:5]
	s_delay_alu instid0(VALU_DEP_2) | instskip(NEXT) | instid1(VALU_DEP_2)
	;; [unrolled: 3-line block ×3, first 2 shown]
	v_add_f64_e64 v[1:2], v[121:122], -v[1:2]
	v_add_f64_e64 v[3:4], v[123:124], -v[3:4]
	scratch_store_b128 off, v[1:4], off offset:400
	v_cmpx_lt_u32_e32 23, v0
	s_cbranch_execz .LBB100_189
; %bb.188:
	scratch_load_b128 v[1:4], off, s37
	v_mov_b32_e32 v5, 0
	s_delay_alu instid0(VALU_DEP_1)
	v_dual_mov_b32 v6, v5 :: v_dual_mov_b32 v7, v5
	v_mov_b32_e32 v8, v5
	scratch_store_b128 off, v[5:8], off offset:384
	s_wait_loadcnt 0x0
	ds_store_b128 v112, v[1:4]
.LBB100_189:
	s_wait_alu 0xfffe
	s_or_b32 exec_lo, exec_lo, s0
	s_wait_storecnt_dscnt 0x0
	s_barrier_signal -1
	s_barrier_wait -1
	global_inv scope:SCOPE_SE
	s_clause 0x7
	scratch_load_b128 v[2:5], off, off offset:400
	scratch_load_b128 v[6:9], off, off offset:416
	;; [unrolled: 1-line block ×8, first 2 shown]
	v_mov_b32_e32 v1, 0
	s_mov_b32 s0, exec_lo
	ds_load_b128 v[34:37], v1 offset:976
	s_clause 0x1
	scratch_load_b128 v[113:116], off, off offset:528
	scratch_load_b128 v[117:120], off, off offset:384
	ds_load_b128 v[121:124], v1 offset:992
	scratch_load_b128 v[125:128], off, off offset:544
	s_wait_loadcnt_dscnt 0xa01
	v_mul_f64_e32 v[129:130], v[36:37], v[4:5]
	v_mul_f64_e32 v[4:5], v[34:35], v[4:5]
	s_delay_alu instid0(VALU_DEP_2) | instskip(NEXT) | instid1(VALU_DEP_2)
	v_fma_f64 v[135:136], v[34:35], v[2:3], -v[129:130]
	v_fma_f64 v[137:138], v[36:37], v[2:3], v[4:5]
	ds_load_b128 v[2:5], v1 offset:1008
	s_wait_loadcnt_dscnt 0x901
	v_mul_f64_e32 v[133:134], v[121:122], v[8:9]
	v_mul_f64_e32 v[8:9], v[123:124], v[8:9]
	scratch_load_b128 v[34:37], off, off offset:560
	ds_load_b128 v[129:132], v1 offset:1024
	s_wait_loadcnt_dscnt 0x901
	v_mul_f64_e32 v[139:140], v[2:3], v[12:13]
	v_mul_f64_e32 v[12:13], v[4:5], v[12:13]
	v_fma_f64 v[123:124], v[123:124], v[6:7], v[133:134]
	v_fma_f64 v[121:122], v[121:122], v[6:7], -v[8:9]
	v_add_f64_e32 v[133:134], 0, v[135:136]
	v_add_f64_e32 v[135:136], 0, v[137:138]
	scratch_load_b128 v[6:9], off, off offset:576
	v_fma_f64 v[139:140], v[4:5], v[10:11], v[139:140]
	v_fma_f64 v[141:142], v[2:3], v[10:11], -v[12:13]
	ds_load_b128 v[2:5], v1 offset:1040
	s_wait_loadcnt_dscnt 0x901
	v_mul_f64_e32 v[137:138], v[129:130], v[16:17]
	v_mul_f64_e32 v[16:17], v[131:132], v[16:17]
	scratch_load_b128 v[10:13], off, off offset:592
	v_add_f64_e32 v[133:134], v[133:134], v[121:122]
	v_add_f64_e32 v[135:136], v[135:136], v[123:124]
	s_wait_loadcnt_dscnt 0x900
	v_mul_f64_e32 v[143:144], v[2:3], v[20:21]
	v_mul_f64_e32 v[20:21], v[4:5], v[20:21]
	ds_load_b128 v[121:124], v1 offset:1056
	v_fma_f64 v[131:132], v[131:132], v[14:15], v[137:138]
	v_fma_f64 v[14:15], v[129:130], v[14:15], -v[16:17]
	v_add_f64_e32 v[16:17], v[133:134], v[141:142]
	v_add_f64_e32 v[129:130], v[135:136], v[139:140]
	s_wait_loadcnt_dscnt 0x800
	v_mul_f64_e32 v[133:134], v[121:122], v[24:25]
	v_mul_f64_e32 v[24:25], v[123:124], v[24:25]
	v_fma_f64 v[135:136], v[4:5], v[18:19], v[143:144]
	v_fma_f64 v[18:19], v[2:3], v[18:19], -v[20:21]
	v_add_f64_e32 v[20:21], v[16:17], v[14:15]
	v_add_f64_e32 v[129:130], v[129:130], v[131:132]
	ds_load_b128 v[2:5], v1 offset:1072
	ds_load_b128 v[14:17], v1 offset:1088
	v_fma_f64 v[123:124], v[123:124], v[22:23], v[133:134]
	v_fma_f64 v[22:23], v[121:122], v[22:23], -v[24:25]
	s_wait_loadcnt_dscnt 0x701
	v_mul_f64_e32 v[131:132], v[2:3], v[28:29]
	v_mul_f64_e32 v[28:29], v[4:5], v[28:29]
	s_wait_loadcnt_dscnt 0x600
	v_mul_f64_e32 v[24:25], v[14:15], v[32:33]
	v_mul_f64_e32 v[32:33], v[16:17], v[32:33]
	v_add_f64_e32 v[18:19], v[20:21], v[18:19]
	v_add_f64_e32 v[20:21], v[129:130], v[135:136]
	v_fma_f64 v[121:122], v[4:5], v[26:27], v[131:132]
	v_fma_f64 v[26:27], v[2:3], v[26:27], -v[28:29]
	v_fma_f64 v[16:17], v[16:17], v[30:31], v[24:25]
	v_fma_f64 v[14:15], v[14:15], v[30:31], -v[32:33]
	v_add_f64_e32 v[22:23], v[18:19], v[22:23]
	v_add_f64_e32 v[28:29], v[20:21], v[123:124]
	ds_load_b128 v[2:5], v1 offset:1104
	ds_load_b128 v[18:21], v1 offset:1120
	s_wait_loadcnt_dscnt 0x501
	v_mul_f64_e32 v[123:124], v[2:3], v[115:116]
	v_mul_f64_e32 v[115:116], v[4:5], v[115:116]
	v_add_f64_e32 v[22:23], v[22:23], v[26:27]
	v_add_f64_e32 v[24:25], v[28:29], v[121:122]
	s_wait_loadcnt_dscnt 0x300
	v_mul_f64_e32 v[26:27], v[18:19], v[127:128]
	v_mul_f64_e32 v[28:29], v[20:21], v[127:128]
	v_fma_f64 v[30:31], v[4:5], v[113:114], v[123:124]
	v_fma_f64 v[32:33], v[2:3], v[113:114], -v[115:116]
	v_add_f64_e32 v[22:23], v[22:23], v[14:15]
	v_add_f64_e32 v[24:25], v[24:25], v[16:17]
	ds_load_b128 v[2:5], v1 offset:1136
	ds_load_b128 v[14:17], v1 offset:1152
	v_fma_f64 v[20:21], v[20:21], v[125:126], v[26:27]
	v_fma_f64 v[18:19], v[18:19], v[125:126], -v[28:29]
	s_wait_loadcnt_dscnt 0x201
	v_mul_f64_e32 v[113:114], v[2:3], v[36:37]
	v_mul_f64_e32 v[36:37], v[4:5], v[36:37]
	v_add_f64_e32 v[22:23], v[22:23], v[32:33]
	v_add_f64_e32 v[24:25], v[24:25], v[30:31]
	s_wait_loadcnt_dscnt 0x100
	v_mul_f64_e32 v[26:27], v[14:15], v[8:9]
	v_mul_f64_e32 v[8:9], v[16:17], v[8:9]
	v_fma_f64 v[28:29], v[4:5], v[34:35], v[113:114]
	v_fma_f64 v[30:31], v[2:3], v[34:35], -v[36:37]
	ds_load_b128 v[2:5], v1 offset:1168
	v_add_f64_e32 v[18:19], v[22:23], v[18:19]
	v_add_f64_e32 v[20:21], v[24:25], v[20:21]
	s_wait_loadcnt_dscnt 0x0
	v_mul_f64_e32 v[22:23], v[2:3], v[12:13]
	v_mul_f64_e32 v[12:13], v[4:5], v[12:13]
	v_fma_f64 v[16:17], v[16:17], v[6:7], v[26:27]
	v_fma_f64 v[6:7], v[14:15], v[6:7], -v[8:9]
	v_add_f64_e32 v[8:9], v[18:19], v[30:31]
	v_add_f64_e32 v[14:15], v[20:21], v[28:29]
	v_fma_f64 v[4:5], v[4:5], v[10:11], v[22:23]
	v_fma_f64 v[2:3], v[2:3], v[10:11], -v[12:13]
	s_delay_alu instid0(VALU_DEP_4) | instskip(NEXT) | instid1(VALU_DEP_4)
	v_add_f64_e32 v[6:7], v[8:9], v[6:7]
	v_add_f64_e32 v[8:9], v[14:15], v[16:17]
	s_delay_alu instid0(VALU_DEP_2) | instskip(NEXT) | instid1(VALU_DEP_2)
	v_add_f64_e32 v[2:3], v[6:7], v[2:3]
	v_add_f64_e32 v[4:5], v[8:9], v[4:5]
	s_delay_alu instid0(VALU_DEP_2) | instskip(NEXT) | instid1(VALU_DEP_2)
	v_add_f64_e64 v[2:3], v[117:118], -v[2:3]
	v_add_f64_e64 v[4:5], v[119:120], -v[4:5]
	scratch_store_b128 off, v[2:5], off offset:384
	v_cmpx_lt_u32_e32 22, v0
	s_cbranch_execz .LBB100_191
; %bb.190:
	scratch_load_b128 v[5:8], off, s18
	v_dual_mov_b32 v2, v1 :: v_dual_mov_b32 v3, v1
	v_mov_b32_e32 v4, v1
	scratch_store_b128 off, v[1:4], off offset:368
	s_wait_loadcnt 0x0
	ds_store_b128 v112, v[5:8]
.LBB100_191:
	s_wait_alu 0xfffe
	s_or_b32 exec_lo, exec_lo, s0
	s_wait_storecnt_dscnt 0x0
	s_barrier_signal -1
	s_barrier_wait -1
	global_inv scope:SCOPE_SE
	s_clause 0x8
	scratch_load_b128 v[2:5], off, off offset:384
	scratch_load_b128 v[6:9], off, off offset:400
	;; [unrolled: 1-line block ×9, first 2 shown]
	ds_load_b128 v[113:116], v1 offset:960
	ds_load_b128 v[117:120], v1 offset:976
	s_clause 0x1
	scratch_load_b128 v[121:124], off, off offset:368
	scratch_load_b128 v[125:128], off, off offset:528
	s_mov_b32 s0, exec_lo
	s_wait_loadcnt_dscnt 0xa01
	v_mul_f64_e32 v[129:130], v[115:116], v[4:5]
	v_mul_f64_e32 v[4:5], v[113:114], v[4:5]
	s_wait_loadcnt_dscnt 0x900
	v_mul_f64_e32 v[133:134], v[117:118], v[8:9]
	v_mul_f64_e32 v[8:9], v[119:120], v[8:9]
	s_delay_alu instid0(VALU_DEP_4) | instskip(NEXT) | instid1(VALU_DEP_4)
	v_fma_f64 v[135:136], v[113:114], v[2:3], -v[129:130]
	v_fma_f64 v[137:138], v[115:116], v[2:3], v[4:5]
	ds_load_b128 v[2:5], v1 offset:992
	ds_load_b128 v[129:132], v1 offset:1008
	scratch_load_b128 v[113:116], off, off offset:544
	v_fma_f64 v[119:120], v[119:120], v[6:7], v[133:134]
	v_fma_f64 v[117:118], v[117:118], v[6:7], -v[8:9]
	scratch_load_b128 v[6:9], off, off offset:560
	s_wait_loadcnt_dscnt 0xa01
	v_mul_f64_e32 v[139:140], v[2:3], v[12:13]
	v_mul_f64_e32 v[12:13], v[4:5], v[12:13]
	v_add_f64_e32 v[133:134], 0, v[135:136]
	v_add_f64_e32 v[135:136], 0, v[137:138]
	s_wait_loadcnt_dscnt 0x900
	v_mul_f64_e32 v[137:138], v[129:130], v[16:17]
	v_mul_f64_e32 v[16:17], v[131:132], v[16:17]
	v_fma_f64 v[139:140], v[4:5], v[10:11], v[139:140]
	v_fma_f64 v[141:142], v[2:3], v[10:11], -v[12:13]
	ds_load_b128 v[2:5], v1 offset:1024
	scratch_load_b128 v[10:13], off, off offset:576
	v_add_f64_e32 v[133:134], v[133:134], v[117:118]
	v_add_f64_e32 v[135:136], v[135:136], v[119:120]
	ds_load_b128 v[117:120], v1 offset:1040
	v_fma_f64 v[131:132], v[131:132], v[14:15], v[137:138]
	v_fma_f64 v[129:130], v[129:130], v[14:15], -v[16:17]
	scratch_load_b128 v[14:17], off, off offset:592
	s_wait_loadcnt_dscnt 0xa01
	v_mul_f64_e32 v[143:144], v[2:3], v[20:21]
	v_mul_f64_e32 v[20:21], v[4:5], v[20:21]
	s_wait_loadcnt_dscnt 0x900
	v_mul_f64_e32 v[137:138], v[117:118], v[24:25]
	v_mul_f64_e32 v[24:25], v[119:120], v[24:25]
	v_add_f64_e32 v[133:134], v[133:134], v[141:142]
	v_add_f64_e32 v[135:136], v[135:136], v[139:140]
	v_fma_f64 v[139:140], v[4:5], v[18:19], v[143:144]
	v_fma_f64 v[141:142], v[2:3], v[18:19], -v[20:21]
	ds_load_b128 v[2:5], v1 offset:1056
	ds_load_b128 v[18:21], v1 offset:1072
	v_fma_f64 v[119:120], v[119:120], v[22:23], v[137:138]
	v_fma_f64 v[22:23], v[117:118], v[22:23], -v[24:25]
	v_add_f64_e32 v[129:130], v[133:134], v[129:130]
	v_add_f64_e32 v[131:132], v[135:136], v[131:132]
	s_wait_loadcnt_dscnt 0x801
	v_mul_f64_e32 v[133:134], v[2:3], v[28:29]
	v_mul_f64_e32 v[28:29], v[4:5], v[28:29]
	s_delay_alu instid0(VALU_DEP_4) | instskip(NEXT) | instid1(VALU_DEP_4)
	v_add_f64_e32 v[24:25], v[129:130], v[141:142]
	v_add_f64_e32 v[117:118], v[131:132], v[139:140]
	s_wait_loadcnt_dscnt 0x700
	v_mul_f64_e32 v[129:130], v[18:19], v[32:33]
	v_mul_f64_e32 v[32:33], v[20:21], v[32:33]
	v_fma_f64 v[131:132], v[4:5], v[26:27], v[133:134]
	v_fma_f64 v[26:27], v[2:3], v[26:27], -v[28:29]
	v_add_f64_e32 v[28:29], v[24:25], v[22:23]
	v_add_f64_e32 v[117:118], v[117:118], v[119:120]
	ds_load_b128 v[2:5], v1 offset:1088
	ds_load_b128 v[22:25], v1 offset:1104
	v_fma_f64 v[20:21], v[20:21], v[30:31], v[129:130]
	v_fma_f64 v[18:19], v[18:19], v[30:31], -v[32:33]
	s_wait_loadcnt_dscnt 0x601
	v_mul_f64_e32 v[119:120], v[2:3], v[36:37]
	v_mul_f64_e32 v[36:37], v[4:5], v[36:37]
	s_wait_loadcnt_dscnt 0x400
	v_mul_f64_e32 v[30:31], v[22:23], v[127:128]
	v_mul_f64_e32 v[32:33], v[24:25], v[127:128]
	v_add_f64_e32 v[26:27], v[28:29], v[26:27]
	v_add_f64_e32 v[28:29], v[117:118], v[131:132]
	v_fma_f64 v[117:118], v[4:5], v[34:35], v[119:120]
	v_fma_f64 v[34:35], v[2:3], v[34:35], -v[36:37]
	v_fma_f64 v[24:25], v[24:25], v[125:126], v[30:31]
	v_fma_f64 v[22:23], v[22:23], v[125:126], -v[32:33]
	v_add_f64_e32 v[26:27], v[26:27], v[18:19]
	v_add_f64_e32 v[28:29], v[28:29], v[20:21]
	ds_load_b128 v[2:5], v1 offset:1120
	ds_load_b128 v[18:21], v1 offset:1136
	s_wait_loadcnt_dscnt 0x301
	v_mul_f64_e32 v[36:37], v[2:3], v[115:116]
	v_mul_f64_e32 v[115:116], v[4:5], v[115:116]
	s_wait_loadcnt_dscnt 0x200
	v_mul_f64_e32 v[30:31], v[18:19], v[8:9]
	v_mul_f64_e32 v[8:9], v[20:21], v[8:9]
	v_add_f64_e32 v[26:27], v[26:27], v[34:35]
	v_add_f64_e32 v[28:29], v[28:29], v[117:118]
	v_fma_f64 v[32:33], v[4:5], v[113:114], v[36:37]
	v_fma_f64 v[34:35], v[2:3], v[113:114], -v[115:116]
	v_fma_f64 v[20:21], v[20:21], v[6:7], v[30:31]
	v_fma_f64 v[6:7], v[18:19], v[6:7], -v[8:9]
	v_add_f64_e32 v[26:27], v[26:27], v[22:23]
	v_add_f64_e32 v[28:29], v[28:29], v[24:25]
	ds_load_b128 v[2:5], v1 offset:1152
	ds_load_b128 v[22:25], v1 offset:1168
	s_wait_loadcnt_dscnt 0x101
	v_mul_f64_e32 v[36:37], v[2:3], v[12:13]
	v_mul_f64_e32 v[12:13], v[4:5], v[12:13]
	v_add_f64_e32 v[8:9], v[26:27], v[34:35]
	v_add_f64_e32 v[18:19], v[28:29], v[32:33]
	s_wait_loadcnt_dscnt 0x0
	v_mul_f64_e32 v[26:27], v[22:23], v[16:17]
	v_mul_f64_e32 v[16:17], v[24:25], v[16:17]
	v_fma_f64 v[4:5], v[4:5], v[10:11], v[36:37]
	v_fma_f64 v[1:2], v[2:3], v[10:11], -v[12:13]
	v_add_f64_e32 v[6:7], v[8:9], v[6:7]
	v_add_f64_e32 v[8:9], v[18:19], v[20:21]
	v_fma_f64 v[10:11], v[24:25], v[14:15], v[26:27]
	v_fma_f64 v[12:13], v[22:23], v[14:15], -v[16:17]
	s_delay_alu instid0(VALU_DEP_4) | instskip(NEXT) | instid1(VALU_DEP_4)
	v_add_f64_e32 v[1:2], v[6:7], v[1:2]
	v_add_f64_e32 v[3:4], v[8:9], v[4:5]
	s_delay_alu instid0(VALU_DEP_2) | instskip(NEXT) | instid1(VALU_DEP_2)
	v_add_f64_e32 v[1:2], v[1:2], v[12:13]
	v_add_f64_e32 v[3:4], v[3:4], v[10:11]
	s_delay_alu instid0(VALU_DEP_2) | instskip(NEXT) | instid1(VALU_DEP_2)
	v_add_f64_e64 v[1:2], v[121:122], -v[1:2]
	v_add_f64_e64 v[3:4], v[123:124], -v[3:4]
	scratch_store_b128 off, v[1:4], off offset:368
	v_cmpx_lt_u32_e32 21, v0
	s_cbranch_execz .LBB100_193
; %bb.192:
	scratch_load_b128 v[1:4], off, s36
	v_mov_b32_e32 v5, 0
	s_delay_alu instid0(VALU_DEP_1)
	v_dual_mov_b32 v6, v5 :: v_dual_mov_b32 v7, v5
	v_mov_b32_e32 v8, v5
	scratch_store_b128 off, v[5:8], off offset:352
	s_wait_loadcnt 0x0
	ds_store_b128 v112, v[1:4]
.LBB100_193:
	s_wait_alu 0xfffe
	s_or_b32 exec_lo, exec_lo, s0
	s_wait_storecnt_dscnt 0x0
	s_barrier_signal -1
	s_barrier_wait -1
	global_inv scope:SCOPE_SE
	s_clause 0x7
	scratch_load_b128 v[2:5], off, off offset:368
	scratch_load_b128 v[6:9], off, off offset:384
	;; [unrolled: 1-line block ×8, first 2 shown]
	v_mov_b32_e32 v1, 0
	s_mov_b32 s0, exec_lo
	ds_load_b128 v[34:37], v1 offset:944
	s_clause 0x1
	scratch_load_b128 v[113:116], off, off offset:496
	scratch_load_b128 v[117:120], off, off offset:352
	ds_load_b128 v[121:124], v1 offset:960
	scratch_load_b128 v[125:128], off, off offset:512
	s_wait_loadcnt_dscnt 0xa01
	v_mul_f64_e32 v[129:130], v[36:37], v[4:5]
	v_mul_f64_e32 v[4:5], v[34:35], v[4:5]
	s_delay_alu instid0(VALU_DEP_2) | instskip(NEXT) | instid1(VALU_DEP_2)
	v_fma_f64 v[135:136], v[34:35], v[2:3], -v[129:130]
	v_fma_f64 v[137:138], v[36:37], v[2:3], v[4:5]
	ds_load_b128 v[2:5], v1 offset:976
	s_wait_loadcnt_dscnt 0x901
	v_mul_f64_e32 v[133:134], v[121:122], v[8:9]
	v_mul_f64_e32 v[8:9], v[123:124], v[8:9]
	scratch_load_b128 v[34:37], off, off offset:528
	ds_load_b128 v[129:132], v1 offset:992
	s_wait_loadcnt_dscnt 0x901
	v_mul_f64_e32 v[139:140], v[2:3], v[12:13]
	v_mul_f64_e32 v[12:13], v[4:5], v[12:13]
	v_fma_f64 v[123:124], v[123:124], v[6:7], v[133:134]
	v_fma_f64 v[121:122], v[121:122], v[6:7], -v[8:9]
	v_add_f64_e32 v[133:134], 0, v[135:136]
	v_add_f64_e32 v[135:136], 0, v[137:138]
	scratch_load_b128 v[6:9], off, off offset:544
	v_fma_f64 v[139:140], v[4:5], v[10:11], v[139:140]
	v_fma_f64 v[141:142], v[2:3], v[10:11], -v[12:13]
	ds_load_b128 v[2:5], v1 offset:1008
	s_wait_loadcnt_dscnt 0x901
	v_mul_f64_e32 v[137:138], v[129:130], v[16:17]
	v_mul_f64_e32 v[16:17], v[131:132], v[16:17]
	scratch_load_b128 v[10:13], off, off offset:560
	v_add_f64_e32 v[133:134], v[133:134], v[121:122]
	v_add_f64_e32 v[135:136], v[135:136], v[123:124]
	s_wait_loadcnt_dscnt 0x900
	v_mul_f64_e32 v[143:144], v[2:3], v[20:21]
	v_mul_f64_e32 v[20:21], v[4:5], v[20:21]
	ds_load_b128 v[121:124], v1 offset:1024
	v_fma_f64 v[131:132], v[131:132], v[14:15], v[137:138]
	v_fma_f64 v[129:130], v[129:130], v[14:15], -v[16:17]
	scratch_load_b128 v[14:17], off, off offset:576
	v_add_f64_e32 v[133:134], v[133:134], v[141:142]
	v_add_f64_e32 v[135:136], v[135:136], v[139:140]
	v_fma_f64 v[139:140], v[4:5], v[18:19], v[143:144]
	v_fma_f64 v[141:142], v[2:3], v[18:19], -v[20:21]
	ds_load_b128 v[2:5], v1 offset:1040
	s_wait_loadcnt_dscnt 0x901
	v_mul_f64_e32 v[137:138], v[121:122], v[24:25]
	v_mul_f64_e32 v[24:25], v[123:124], v[24:25]
	scratch_load_b128 v[18:21], off, off offset:592
	s_wait_loadcnt_dscnt 0x900
	v_mul_f64_e32 v[143:144], v[2:3], v[28:29]
	v_mul_f64_e32 v[28:29], v[4:5], v[28:29]
	v_add_f64_e32 v[133:134], v[133:134], v[129:130]
	v_add_f64_e32 v[135:136], v[135:136], v[131:132]
	ds_load_b128 v[129:132], v1 offset:1056
	v_fma_f64 v[123:124], v[123:124], v[22:23], v[137:138]
	v_fma_f64 v[22:23], v[121:122], v[22:23], -v[24:25]
	v_add_f64_e32 v[24:25], v[133:134], v[141:142]
	v_add_f64_e32 v[121:122], v[135:136], v[139:140]
	s_wait_loadcnt_dscnt 0x800
	v_mul_f64_e32 v[133:134], v[129:130], v[32:33]
	v_mul_f64_e32 v[32:33], v[131:132], v[32:33]
	v_fma_f64 v[135:136], v[4:5], v[26:27], v[143:144]
	v_fma_f64 v[26:27], v[2:3], v[26:27], -v[28:29]
	v_add_f64_e32 v[28:29], v[24:25], v[22:23]
	v_add_f64_e32 v[121:122], v[121:122], v[123:124]
	ds_load_b128 v[2:5], v1 offset:1072
	ds_load_b128 v[22:25], v1 offset:1088
	v_fma_f64 v[131:132], v[131:132], v[30:31], v[133:134]
	v_fma_f64 v[30:31], v[129:130], v[30:31], -v[32:33]
	s_wait_loadcnt_dscnt 0x701
	v_mul_f64_e32 v[123:124], v[2:3], v[115:116]
	v_mul_f64_e32 v[115:116], v[4:5], v[115:116]
	s_wait_loadcnt_dscnt 0x500
	v_mul_f64_e32 v[32:33], v[22:23], v[127:128]
	v_add_f64_e32 v[26:27], v[28:29], v[26:27]
	v_add_f64_e32 v[28:29], v[121:122], v[135:136]
	v_mul_f64_e32 v[121:122], v[24:25], v[127:128]
	v_fma_f64 v[123:124], v[4:5], v[113:114], v[123:124]
	v_fma_f64 v[113:114], v[2:3], v[113:114], -v[115:116]
	v_fma_f64 v[24:25], v[24:25], v[125:126], v[32:33]
	v_add_f64_e32 v[30:31], v[26:27], v[30:31]
	v_add_f64_e32 v[115:116], v[28:29], v[131:132]
	ds_load_b128 v[2:5], v1 offset:1104
	ds_load_b128 v[26:29], v1 offset:1120
	v_fma_f64 v[22:23], v[22:23], v[125:126], -v[121:122]
	s_wait_loadcnt_dscnt 0x401
	v_mul_f64_e32 v[127:128], v[2:3], v[36:37]
	v_mul_f64_e32 v[36:37], v[4:5], v[36:37]
	v_add_f64_e32 v[30:31], v[30:31], v[113:114]
	v_add_f64_e32 v[32:33], v[115:116], v[123:124]
	s_wait_loadcnt_dscnt 0x300
	v_mul_f64_e32 v[113:114], v[26:27], v[8:9]
	v_mul_f64_e32 v[8:9], v[28:29], v[8:9]
	v_fma_f64 v[115:116], v[4:5], v[34:35], v[127:128]
	v_fma_f64 v[34:35], v[2:3], v[34:35], -v[36:37]
	v_add_f64_e32 v[30:31], v[30:31], v[22:23]
	v_add_f64_e32 v[32:33], v[32:33], v[24:25]
	ds_load_b128 v[2:5], v1 offset:1136
	ds_load_b128 v[22:25], v1 offset:1152
	v_fma_f64 v[28:29], v[28:29], v[6:7], v[113:114]
	v_fma_f64 v[6:7], v[26:27], v[6:7], -v[8:9]
	s_wait_loadcnt_dscnt 0x201
	v_mul_f64_e32 v[36:37], v[2:3], v[12:13]
	v_mul_f64_e32 v[12:13], v[4:5], v[12:13]
	v_add_f64_e32 v[8:9], v[30:31], v[34:35]
	v_add_f64_e32 v[26:27], v[32:33], v[115:116]
	s_wait_loadcnt_dscnt 0x100
	v_mul_f64_e32 v[30:31], v[22:23], v[16:17]
	v_mul_f64_e32 v[16:17], v[24:25], v[16:17]
	v_fma_f64 v[32:33], v[4:5], v[10:11], v[36:37]
	v_fma_f64 v[10:11], v[2:3], v[10:11], -v[12:13]
	ds_load_b128 v[2:5], v1 offset:1168
	v_add_f64_e32 v[6:7], v[8:9], v[6:7]
	v_add_f64_e32 v[8:9], v[26:27], v[28:29]
	v_fma_f64 v[24:25], v[24:25], v[14:15], v[30:31]
	v_fma_f64 v[14:15], v[22:23], v[14:15], -v[16:17]
	s_wait_loadcnt_dscnt 0x0
	v_mul_f64_e32 v[12:13], v[2:3], v[20:21]
	v_mul_f64_e32 v[20:21], v[4:5], v[20:21]
	v_add_f64_e32 v[6:7], v[6:7], v[10:11]
	v_add_f64_e32 v[8:9], v[8:9], v[32:33]
	s_delay_alu instid0(VALU_DEP_4) | instskip(NEXT) | instid1(VALU_DEP_4)
	v_fma_f64 v[4:5], v[4:5], v[18:19], v[12:13]
	v_fma_f64 v[2:3], v[2:3], v[18:19], -v[20:21]
	s_delay_alu instid0(VALU_DEP_4) | instskip(NEXT) | instid1(VALU_DEP_4)
	v_add_f64_e32 v[6:7], v[6:7], v[14:15]
	v_add_f64_e32 v[8:9], v[8:9], v[24:25]
	s_delay_alu instid0(VALU_DEP_2) | instskip(NEXT) | instid1(VALU_DEP_2)
	v_add_f64_e32 v[2:3], v[6:7], v[2:3]
	v_add_f64_e32 v[4:5], v[8:9], v[4:5]
	s_delay_alu instid0(VALU_DEP_2) | instskip(NEXT) | instid1(VALU_DEP_2)
	v_add_f64_e64 v[2:3], v[117:118], -v[2:3]
	v_add_f64_e64 v[4:5], v[119:120], -v[4:5]
	scratch_store_b128 off, v[2:5], off offset:352
	v_cmpx_lt_u32_e32 20, v0
	s_cbranch_execz .LBB100_195
; %bb.194:
	scratch_load_b128 v[5:8], off, s17
	v_dual_mov_b32 v2, v1 :: v_dual_mov_b32 v3, v1
	v_mov_b32_e32 v4, v1
	scratch_store_b128 off, v[1:4], off offset:336
	s_wait_loadcnt 0x0
	ds_store_b128 v112, v[5:8]
.LBB100_195:
	s_wait_alu 0xfffe
	s_or_b32 exec_lo, exec_lo, s0
	s_wait_storecnt_dscnt 0x0
	s_barrier_signal -1
	s_barrier_wait -1
	global_inv scope:SCOPE_SE
	s_clause 0x8
	scratch_load_b128 v[2:5], off, off offset:352
	scratch_load_b128 v[6:9], off, off offset:368
	;; [unrolled: 1-line block ×9, first 2 shown]
	ds_load_b128 v[113:116], v1 offset:928
	ds_load_b128 v[117:120], v1 offset:944
	s_clause 0x1
	scratch_load_b128 v[121:124], off, off offset:336
	scratch_load_b128 v[125:128], off, off offset:496
	s_mov_b32 s0, exec_lo
	s_wait_loadcnt_dscnt 0xa01
	v_mul_f64_e32 v[129:130], v[115:116], v[4:5]
	v_mul_f64_e32 v[4:5], v[113:114], v[4:5]
	s_wait_loadcnt_dscnt 0x900
	v_mul_f64_e32 v[133:134], v[117:118], v[8:9]
	v_mul_f64_e32 v[8:9], v[119:120], v[8:9]
	s_delay_alu instid0(VALU_DEP_4) | instskip(NEXT) | instid1(VALU_DEP_4)
	v_fma_f64 v[135:136], v[113:114], v[2:3], -v[129:130]
	v_fma_f64 v[137:138], v[115:116], v[2:3], v[4:5]
	ds_load_b128 v[2:5], v1 offset:960
	ds_load_b128 v[129:132], v1 offset:976
	scratch_load_b128 v[113:116], off, off offset:512
	v_fma_f64 v[119:120], v[119:120], v[6:7], v[133:134]
	v_fma_f64 v[117:118], v[117:118], v[6:7], -v[8:9]
	scratch_load_b128 v[6:9], off, off offset:528
	s_wait_loadcnt_dscnt 0xa01
	v_mul_f64_e32 v[139:140], v[2:3], v[12:13]
	v_mul_f64_e32 v[12:13], v[4:5], v[12:13]
	v_add_f64_e32 v[133:134], 0, v[135:136]
	v_add_f64_e32 v[135:136], 0, v[137:138]
	s_wait_loadcnt_dscnt 0x900
	v_mul_f64_e32 v[137:138], v[129:130], v[16:17]
	v_mul_f64_e32 v[16:17], v[131:132], v[16:17]
	v_fma_f64 v[139:140], v[4:5], v[10:11], v[139:140]
	v_fma_f64 v[141:142], v[2:3], v[10:11], -v[12:13]
	ds_load_b128 v[2:5], v1 offset:992
	scratch_load_b128 v[10:13], off, off offset:544
	v_add_f64_e32 v[133:134], v[133:134], v[117:118]
	v_add_f64_e32 v[135:136], v[135:136], v[119:120]
	ds_load_b128 v[117:120], v1 offset:1008
	v_fma_f64 v[131:132], v[131:132], v[14:15], v[137:138]
	v_fma_f64 v[129:130], v[129:130], v[14:15], -v[16:17]
	scratch_load_b128 v[14:17], off, off offset:560
	s_wait_loadcnt_dscnt 0xa01
	v_mul_f64_e32 v[143:144], v[2:3], v[20:21]
	v_mul_f64_e32 v[20:21], v[4:5], v[20:21]
	s_wait_loadcnt_dscnt 0x900
	v_mul_f64_e32 v[137:138], v[117:118], v[24:25]
	v_mul_f64_e32 v[24:25], v[119:120], v[24:25]
	v_add_f64_e32 v[133:134], v[133:134], v[141:142]
	v_add_f64_e32 v[135:136], v[135:136], v[139:140]
	v_fma_f64 v[139:140], v[4:5], v[18:19], v[143:144]
	v_fma_f64 v[141:142], v[2:3], v[18:19], -v[20:21]
	ds_load_b128 v[2:5], v1 offset:1024
	scratch_load_b128 v[18:21], off, off offset:576
	v_fma_f64 v[119:120], v[119:120], v[22:23], v[137:138]
	v_fma_f64 v[117:118], v[117:118], v[22:23], -v[24:25]
	scratch_load_b128 v[22:25], off, off offset:592
	v_add_f64_e32 v[133:134], v[133:134], v[129:130]
	v_add_f64_e32 v[135:136], v[135:136], v[131:132]
	ds_load_b128 v[129:132], v1 offset:1040
	s_wait_loadcnt_dscnt 0xa01
	v_mul_f64_e32 v[143:144], v[2:3], v[28:29]
	v_mul_f64_e32 v[28:29], v[4:5], v[28:29]
	s_wait_loadcnt_dscnt 0x900
	v_mul_f64_e32 v[137:138], v[129:130], v[32:33]
	v_mul_f64_e32 v[32:33], v[131:132], v[32:33]
	v_add_f64_e32 v[133:134], v[133:134], v[141:142]
	v_add_f64_e32 v[135:136], v[135:136], v[139:140]
	v_fma_f64 v[139:140], v[4:5], v[26:27], v[143:144]
	v_fma_f64 v[141:142], v[2:3], v[26:27], -v[28:29]
	ds_load_b128 v[2:5], v1 offset:1056
	ds_load_b128 v[26:29], v1 offset:1072
	v_fma_f64 v[131:132], v[131:132], v[30:31], v[137:138]
	v_fma_f64 v[30:31], v[129:130], v[30:31], -v[32:33]
	v_add_f64_e32 v[117:118], v[133:134], v[117:118]
	v_add_f64_e32 v[119:120], v[135:136], v[119:120]
	s_wait_loadcnt_dscnt 0x801
	v_mul_f64_e32 v[133:134], v[2:3], v[36:37]
	v_mul_f64_e32 v[36:37], v[4:5], v[36:37]
	s_delay_alu instid0(VALU_DEP_4) | instskip(NEXT) | instid1(VALU_DEP_4)
	v_add_f64_e32 v[32:33], v[117:118], v[141:142]
	v_add_f64_e32 v[117:118], v[119:120], v[139:140]
	s_wait_loadcnt_dscnt 0x600
	v_mul_f64_e32 v[119:120], v[26:27], v[127:128]
	v_mul_f64_e32 v[127:128], v[28:29], v[127:128]
	v_fma_f64 v[129:130], v[4:5], v[34:35], v[133:134]
	v_fma_f64 v[34:35], v[2:3], v[34:35], -v[36:37]
	v_add_f64_e32 v[36:37], v[32:33], v[30:31]
	v_add_f64_e32 v[117:118], v[117:118], v[131:132]
	ds_load_b128 v[2:5], v1 offset:1088
	ds_load_b128 v[30:33], v1 offset:1104
	v_fma_f64 v[28:29], v[28:29], v[125:126], v[119:120]
	v_fma_f64 v[26:27], v[26:27], v[125:126], -v[127:128]
	s_wait_loadcnt_dscnt 0x501
	v_mul_f64_e32 v[131:132], v[2:3], v[115:116]
	v_mul_f64_e32 v[115:116], v[4:5], v[115:116]
	v_add_f64_e32 v[34:35], v[36:37], v[34:35]
	v_add_f64_e32 v[36:37], v[117:118], v[129:130]
	s_wait_loadcnt_dscnt 0x400
	v_mul_f64_e32 v[117:118], v[30:31], v[8:9]
	v_mul_f64_e32 v[8:9], v[32:33], v[8:9]
	v_fma_f64 v[119:120], v[4:5], v[113:114], v[131:132]
	v_fma_f64 v[113:114], v[2:3], v[113:114], -v[115:116]
	v_add_f64_e32 v[34:35], v[34:35], v[26:27]
	v_add_f64_e32 v[36:37], v[36:37], v[28:29]
	ds_load_b128 v[2:5], v1 offset:1120
	ds_load_b128 v[26:29], v1 offset:1136
	v_fma_f64 v[32:33], v[32:33], v[6:7], v[117:118]
	v_fma_f64 v[6:7], v[30:31], v[6:7], -v[8:9]
	s_wait_loadcnt_dscnt 0x301
	v_mul_f64_e32 v[115:116], v[2:3], v[12:13]
	v_mul_f64_e32 v[12:13], v[4:5], v[12:13]
	v_add_f64_e32 v[8:9], v[34:35], v[113:114]
	v_add_f64_e32 v[30:31], v[36:37], v[119:120]
	s_wait_loadcnt_dscnt 0x200
	v_mul_f64_e32 v[34:35], v[26:27], v[16:17]
	v_mul_f64_e32 v[16:17], v[28:29], v[16:17]
	v_fma_f64 v[36:37], v[4:5], v[10:11], v[115:116]
	v_fma_f64 v[10:11], v[2:3], v[10:11], -v[12:13]
	v_add_f64_e32 v[12:13], v[8:9], v[6:7]
	v_add_f64_e32 v[30:31], v[30:31], v[32:33]
	ds_load_b128 v[2:5], v1 offset:1152
	ds_load_b128 v[6:9], v1 offset:1168
	v_fma_f64 v[28:29], v[28:29], v[14:15], v[34:35]
	v_fma_f64 v[14:15], v[26:27], v[14:15], -v[16:17]
	s_wait_loadcnt_dscnt 0x101
	v_mul_f64_e32 v[32:33], v[2:3], v[20:21]
	v_mul_f64_e32 v[20:21], v[4:5], v[20:21]
	s_wait_loadcnt_dscnt 0x0
	v_mul_f64_e32 v[16:17], v[6:7], v[24:25]
	v_mul_f64_e32 v[24:25], v[8:9], v[24:25]
	v_add_f64_e32 v[10:11], v[12:13], v[10:11]
	v_add_f64_e32 v[12:13], v[30:31], v[36:37]
	v_fma_f64 v[4:5], v[4:5], v[18:19], v[32:33]
	v_fma_f64 v[1:2], v[2:3], v[18:19], -v[20:21]
	v_fma_f64 v[8:9], v[8:9], v[22:23], v[16:17]
	v_fma_f64 v[6:7], v[6:7], v[22:23], -v[24:25]
	v_add_f64_e32 v[10:11], v[10:11], v[14:15]
	v_add_f64_e32 v[12:13], v[12:13], v[28:29]
	s_delay_alu instid0(VALU_DEP_2) | instskip(NEXT) | instid1(VALU_DEP_2)
	v_add_f64_e32 v[1:2], v[10:11], v[1:2]
	v_add_f64_e32 v[3:4], v[12:13], v[4:5]
	s_delay_alu instid0(VALU_DEP_2) | instskip(NEXT) | instid1(VALU_DEP_2)
	v_add_f64_e32 v[1:2], v[1:2], v[6:7]
	v_add_f64_e32 v[3:4], v[3:4], v[8:9]
	s_delay_alu instid0(VALU_DEP_2) | instskip(NEXT) | instid1(VALU_DEP_2)
	v_add_f64_e64 v[1:2], v[121:122], -v[1:2]
	v_add_f64_e64 v[3:4], v[123:124], -v[3:4]
	scratch_store_b128 off, v[1:4], off offset:336
	v_cmpx_lt_u32_e32 19, v0
	s_cbranch_execz .LBB100_197
; %bb.196:
	scratch_load_b128 v[1:4], off, s35
	v_mov_b32_e32 v5, 0
	s_delay_alu instid0(VALU_DEP_1)
	v_dual_mov_b32 v6, v5 :: v_dual_mov_b32 v7, v5
	v_mov_b32_e32 v8, v5
	scratch_store_b128 off, v[5:8], off offset:320
	s_wait_loadcnt 0x0
	ds_store_b128 v112, v[1:4]
.LBB100_197:
	s_wait_alu 0xfffe
	s_or_b32 exec_lo, exec_lo, s0
	s_wait_storecnt_dscnt 0x0
	s_barrier_signal -1
	s_barrier_wait -1
	global_inv scope:SCOPE_SE
	s_clause 0x7
	scratch_load_b128 v[2:5], off, off offset:336
	scratch_load_b128 v[6:9], off, off offset:352
	;; [unrolled: 1-line block ×8, first 2 shown]
	v_mov_b32_e32 v1, 0
	s_mov_b32 s0, exec_lo
	ds_load_b128 v[34:37], v1 offset:912
	s_clause 0x1
	scratch_load_b128 v[113:116], off, off offset:464
	scratch_load_b128 v[117:120], off, off offset:320
	ds_load_b128 v[121:124], v1 offset:928
	scratch_load_b128 v[125:128], off, off offset:480
	s_wait_loadcnt_dscnt 0xa01
	v_mul_f64_e32 v[129:130], v[36:37], v[4:5]
	v_mul_f64_e32 v[4:5], v[34:35], v[4:5]
	s_delay_alu instid0(VALU_DEP_2) | instskip(NEXT) | instid1(VALU_DEP_2)
	v_fma_f64 v[135:136], v[34:35], v[2:3], -v[129:130]
	v_fma_f64 v[137:138], v[36:37], v[2:3], v[4:5]
	ds_load_b128 v[2:5], v1 offset:944
	s_wait_loadcnt_dscnt 0x901
	v_mul_f64_e32 v[133:134], v[121:122], v[8:9]
	v_mul_f64_e32 v[8:9], v[123:124], v[8:9]
	scratch_load_b128 v[34:37], off, off offset:496
	ds_load_b128 v[129:132], v1 offset:960
	s_wait_loadcnt_dscnt 0x901
	v_mul_f64_e32 v[139:140], v[2:3], v[12:13]
	v_mul_f64_e32 v[12:13], v[4:5], v[12:13]
	v_fma_f64 v[123:124], v[123:124], v[6:7], v[133:134]
	v_fma_f64 v[121:122], v[121:122], v[6:7], -v[8:9]
	v_add_f64_e32 v[133:134], 0, v[135:136]
	v_add_f64_e32 v[135:136], 0, v[137:138]
	scratch_load_b128 v[6:9], off, off offset:512
	v_fma_f64 v[139:140], v[4:5], v[10:11], v[139:140]
	v_fma_f64 v[141:142], v[2:3], v[10:11], -v[12:13]
	ds_load_b128 v[2:5], v1 offset:976
	s_wait_loadcnt_dscnt 0x901
	v_mul_f64_e32 v[137:138], v[129:130], v[16:17]
	v_mul_f64_e32 v[16:17], v[131:132], v[16:17]
	scratch_load_b128 v[10:13], off, off offset:528
	v_add_f64_e32 v[133:134], v[133:134], v[121:122]
	v_add_f64_e32 v[135:136], v[135:136], v[123:124]
	s_wait_loadcnt_dscnt 0x900
	v_mul_f64_e32 v[143:144], v[2:3], v[20:21]
	v_mul_f64_e32 v[20:21], v[4:5], v[20:21]
	ds_load_b128 v[121:124], v1 offset:992
	v_fma_f64 v[131:132], v[131:132], v[14:15], v[137:138]
	v_fma_f64 v[129:130], v[129:130], v[14:15], -v[16:17]
	scratch_load_b128 v[14:17], off, off offset:544
	v_add_f64_e32 v[133:134], v[133:134], v[141:142]
	v_add_f64_e32 v[135:136], v[135:136], v[139:140]
	v_fma_f64 v[139:140], v[4:5], v[18:19], v[143:144]
	v_fma_f64 v[141:142], v[2:3], v[18:19], -v[20:21]
	ds_load_b128 v[2:5], v1 offset:1008
	s_wait_loadcnt_dscnt 0x901
	v_mul_f64_e32 v[137:138], v[121:122], v[24:25]
	v_mul_f64_e32 v[24:25], v[123:124], v[24:25]
	scratch_load_b128 v[18:21], off, off offset:560
	s_wait_loadcnt_dscnt 0x900
	v_mul_f64_e32 v[143:144], v[2:3], v[28:29]
	v_mul_f64_e32 v[28:29], v[4:5], v[28:29]
	v_add_f64_e32 v[133:134], v[133:134], v[129:130]
	v_add_f64_e32 v[135:136], v[135:136], v[131:132]
	ds_load_b128 v[129:132], v1 offset:1024
	v_fma_f64 v[123:124], v[123:124], v[22:23], v[137:138]
	v_fma_f64 v[121:122], v[121:122], v[22:23], -v[24:25]
	scratch_load_b128 v[22:25], off, off offset:576
	v_add_f64_e32 v[133:134], v[133:134], v[141:142]
	v_add_f64_e32 v[135:136], v[135:136], v[139:140]
	v_fma_f64 v[139:140], v[4:5], v[26:27], v[143:144]
	v_fma_f64 v[141:142], v[2:3], v[26:27], -v[28:29]
	ds_load_b128 v[2:5], v1 offset:1040
	s_wait_loadcnt_dscnt 0x901
	v_mul_f64_e32 v[137:138], v[129:130], v[32:33]
	v_mul_f64_e32 v[32:33], v[131:132], v[32:33]
	scratch_load_b128 v[26:29], off, off offset:592
	s_wait_loadcnt_dscnt 0x900
	v_mul_f64_e32 v[143:144], v[2:3], v[115:116]
	v_mul_f64_e32 v[115:116], v[4:5], v[115:116]
	v_add_f64_e32 v[133:134], v[133:134], v[121:122]
	v_add_f64_e32 v[135:136], v[135:136], v[123:124]
	ds_load_b128 v[121:124], v1 offset:1056
	v_fma_f64 v[131:132], v[131:132], v[30:31], v[137:138]
	v_fma_f64 v[30:31], v[129:130], v[30:31], -v[32:33]
	v_add_f64_e32 v[32:33], v[133:134], v[141:142]
	v_add_f64_e32 v[129:130], v[135:136], v[139:140]
	s_wait_loadcnt_dscnt 0x700
	v_mul_f64_e32 v[133:134], v[121:122], v[127:128]
	v_mul_f64_e32 v[127:128], v[123:124], v[127:128]
	v_fma_f64 v[135:136], v[4:5], v[113:114], v[143:144]
	v_fma_f64 v[113:114], v[2:3], v[113:114], -v[115:116]
	v_add_f64_e32 v[115:116], v[32:33], v[30:31]
	v_add_f64_e32 v[129:130], v[129:130], v[131:132]
	ds_load_b128 v[2:5], v1 offset:1072
	ds_load_b128 v[30:33], v1 offset:1088
	v_fma_f64 v[123:124], v[123:124], v[125:126], v[133:134]
	v_fma_f64 v[121:122], v[121:122], v[125:126], -v[127:128]
	s_wait_loadcnt_dscnt 0x601
	v_mul_f64_e32 v[131:132], v[2:3], v[36:37]
	v_mul_f64_e32 v[36:37], v[4:5], v[36:37]
	v_add_f64_e32 v[113:114], v[115:116], v[113:114]
	v_add_f64_e32 v[115:116], v[129:130], v[135:136]
	s_wait_loadcnt_dscnt 0x500
	v_mul_f64_e32 v[125:126], v[30:31], v[8:9]
	v_mul_f64_e32 v[8:9], v[32:33], v[8:9]
	v_fma_f64 v[127:128], v[4:5], v[34:35], v[131:132]
	v_fma_f64 v[129:130], v[2:3], v[34:35], -v[36:37]
	ds_load_b128 v[2:5], v1 offset:1104
	ds_load_b128 v[34:37], v1 offset:1120
	v_add_f64_e32 v[113:114], v[113:114], v[121:122]
	v_add_f64_e32 v[115:116], v[115:116], v[123:124]
	s_wait_loadcnt_dscnt 0x401
	v_mul_f64_e32 v[121:122], v[2:3], v[12:13]
	v_mul_f64_e32 v[12:13], v[4:5], v[12:13]
	v_fma_f64 v[32:33], v[32:33], v[6:7], v[125:126]
	v_fma_f64 v[6:7], v[30:31], v[6:7], -v[8:9]
	v_add_f64_e32 v[8:9], v[113:114], v[129:130]
	v_add_f64_e32 v[30:31], v[115:116], v[127:128]
	s_wait_loadcnt_dscnt 0x300
	v_mul_f64_e32 v[113:114], v[34:35], v[16:17]
	v_mul_f64_e32 v[16:17], v[36:37], v[16:17]
	v_fma_f64 v[115:116], v[4:5], v[10:11], v[121:122]
	v_fma_f64 v[10:11], v[2:3], v[10:11], -v[12:13]
	v_add_f64_e32 v[12:13], v[8:9], v[6:7]
	v_add_f64_e32 v[30:31], v[30:31], v[32:33]
	ds_load_b128 v[2:5], v1 offset:1136
	ds_load_b128 v[6:9], v1 offset:1152
	v_fma_f64 v[36:37], v[36:37], v[14:15], v[113:114]
	v_fma_f64 v[14:15], v[34:35], v[14:15], -v[16:17]
	s_wait_loadcnt_dscnt 0x201
	v_mul_f64_e32 v[32:33], v[2:3], v[20:21]
	v_mul_f64_e32 v[20:21], v[4:5], v[20:21]
	s_wait_loadcnt_dscnt 0x100
	v_mul_f64_e32 v[16:17], v[6:7], v[24:25]
	v_mul_f64_e32 v[24:25], v[8:9], v[24:25]
	v_add_f64_e32 v[10:11], v[12:13], v[10:11]
	v_add_f64_e32 v[12:13], v[30:31], v[115:116]
	v_fma_f64 v[30:31], v[4:5], v[18:19], v[32:33]
	v_fma_f64 v[18:19], v[2:3], v[18:19], -v[20:21]
	ds_load_b128 v[2:5], v1 offset:1168
	v_fma_f64 v[8:9], v[8:9], v[22:23], v[16:17]
	v_fma_f64 v[6:7], v[6:7], v[22:23], -v[24:25]
	v_add_f64_e32 v[10:11], v[10:11], v[14:15]
	v_add_f64_e32 v[12:13], v[12:13], v[36:37]
	s_wait_loadcnt_dscnt 0x0
	v_mul_f64_e32 v[14:15], v[2:3], v[28:29]
	v_mul_f64_e32 v[20:21], v[4:5], v[28:29]
	s_delay_alu instid0(VALU_DEP_4) | instskip(NEXT) | instid1(VALU_DEP_4)
	v_add_f64_e32 v[10:11], v[10:11], v[18:19]
	v_add_f64_e32 v[12:13], v[12:13], v[30:31]
	s_delay_alu instid0(VALU_DEP_4) | instskip(NEXT) | instid1(VALU_DEP_4)
	v_fma_f64 v[4:5], v[4:5], v[26:27], v[14:15]
	v_fma_f64 v[2:3], v[2:3], v[26:27], -v[20:21]
	s_delay_alu instid0(VALU_DEP_4) | instskip(NEXT) | instid1(VALU_DEP_4)
	v_add_f64_e32 v[6:7], v[10:11], v[6:7]
	v_add_f64_e32 v[8:9], v[12:13], v[8:9]
	s_delay_alu instid0(VALU_DEP_2) | instskip(NEXT) | instid1(VALU_DEP_2)
	v_add_f64_e32 v[2:3], v[6:7], v[2:3]
	v_add_f64_e32 v[4:5], v[8:9], v[4:5]
	s_delay_alu instid0(VALU_DEP_2) | instskip(NEXT) | instid1(VALU_DEP_2)
	v_add_f64_e64 v[2:3], v[117:118], -v[2:3]
	v_add_f64_e64 v[4:5], v[119:120], -v[4:5]
	scratch_store_b128 off, v[2:5], off offset:320
	v_cmpx_lt_u32_e32 18, v0
	s_cbranch_execz .LBB100_199
; %bb.198:
	scratch_load_b128 v[5:8], off, s16
	v_dual_mov_b32 v2, v1 :: v_dual_mov_b32 v3, v1
	v_mov_b32_e32 v4, v1
	scratch_store_b128 off, v[1:4], off offset:304
	s_wait_loadcnt 0x0
	ds_store_b128 v112, v[5:8]
.LBB100_199:
	s_wait_alu 0xfffe
	s_or_b32 exec_lo, exec_lo, s0
	s_wait_storecnt_dscnt 0x0
	s_barrier_signal -1
	s_barrier_wait -1
	global_inv scope:SCOPE_SE
	s_clause 0x8
	scratch_load_b128 v[2:5], off, off offset:320
	scratch_load_b128 v[6:9], off, off offset:336
	;; [unrolled: 1-line block ×9, first 2 shown]
	ds_load_b128 v[113:116], v1 offset:896
	ds_load_b128 v[117:120], v1 offset:912
	s_clause 0x1
	scratch_load_b128 v[121:124], off, off offset:304
	scratch_load_b128 v[125:128], off, off offset:464
	s_mov_b32 s0, exec_lo
	s_wait_loadcnt_dscnt 0xa01
	v_mul_f64_e32 v[129:130], v[115:116], v[4:5]
	v_mul_f64_e32 v[4:5], v[113:114], v[4:5]
	s_wait_loadcnt_dscnt 0x900
	v_mul_f64_e32 v[133:134], v[117:118], v[8:9]
	v_mul_f64_e32 v[8:9], v[119:120], v[8:9]
	s_delay_alu instid0(VALU_DEP_4) | instskip(NEXT) | instid1(VALU_DEP_4)
	v_fma_f64 v[135:136], v[113:114], v[2:3], -v[129:130]
	v_fma_f64 v[137:138], v[115:116], v[2:3], v[4:5]
	ds_load_b128 v[2:5], v1 offset:928
	ds_load_b128 v[129:132], v1 offset:944
	scratch_load_b128 v[113:116], off, off offset:480
	v_fma_f64 v[119:120], v[119:120], v[6:7], v[133:134]
	v_fma_f64 v[117:118], v[117:118], v[6:7], -v[8:9]
	scratch_load_b128 v[6:9], off, off offset:496
	s_wait_loadcnt_dscnt 0xa01
	v_mul_f64_e32 v[139:140], v[2:3], v[12:13]
	v_mul_f64_e32 v[12:13], v[4:5], v[12:13]
	v_add_f64_e32 v[133:134], 0, v[135:136]
	v_add_f64_e32 v[135:136], 0, v[137:138]
	s_wait_loadcnt_dscnt 0x900
	v_mul_f64_e32 v[137:138], v[129:130], v[16:17]
	v_mul_f64_e32 v[16:17], v[131:132], v[16:17]
	v_fma_f64 v[139:140], v[4:5], v[10:11], v[139:140]
	v_fma_f64 v[141:142], v[2:3], v[10:11], -v[12:13]
	ds_load_b128 v[2:5], v1 offset:960
	scratch_load_b128 v[10:13], off, off offset:512
	v_add_f64_e32 v[133:134], v[133:134], v[117:118]
	v_add_f64_e32 v[135:136], v[135:136], v[119:120]
	ds_load_b128 v[117:120], v1 offset:976
	v_fma_f64 v[131:132], v[131:132], v[14:15], v[137:138]
	v_fma_f64 v[129:130], v[129:130], v[14:15], -v[16:17]
	scratch_load_b128 v[14:17], off, off offset:528
	s_wait_loadcnt_dscnt 0xa01
	v_mul_f64_e32 v[143:144], v[2:3], v[20:21]
	v_mul_f64_e32 v[20:21], v[4:5], v[20:21]
	s_wait_loadcnt_dscnt 0x900
	v_mul_f64_e32 v[137:138], v[117:118], v[24:25]
	v_mul_f64_e32 v[24:25], v[119:120], v[24:25]
	v_add_f64_e32 v[133:134], v[133:134], v[141:142]
	v_add_f64_e32 v[135:136], v[135:136], v[139:140]
	v_fma_f64 v[139:140], v[4:5], v[18:19], v[143:144]
	v_fma_f64 v[141:142], v[2:3], v[18:19], -v[20:21]
	ds_load_b128 v[2:5], v1 offset:992
	scratch_load_b128 v[18:21], off, off offset:544
	v_fma_f64 v[119:120], v[119:120], v[22:23], v[137:138]
	v_fma_f64 v[117:118], v[117:118], v[22:23], -v[24:25]
	scratch_load_b128 v[22:25], off, off offset:560
	v_add_f64_e32 v[133:134], v[133:134], v[129:130]
	v_add_f64_e32 v[135:136], v[135:136], v[131:132]
	ds_load_b128 v[129:132], v1 offset:1008
	s_wait_loadcnt_dscnt 0xa01
	v_mul_f64_e32 v[143:144], v[2:3], v[28:29]
	v_mul_f64_e32 v[28:29], v[4:5], v[28:29]
	s_wait_loadcnt_dscnt 0x900
	v_mul_f64_e32 v[137:138], v[129:130], v[32:33]
	v_mul_f64_e32 v[32:33], v[131:132], v[32:33]
	v_add_f64_e32 v[133:134], v[133:134], v[141:142]
	v_add_f64_e32 v[135:136], v[135:136], v[139:140]
	v_fma_f64 v[139:140], v[4:5], v[26:27], v[143:144]
	v_fma_f64 v[141:142], v[2:3], v[26:27], -v[28:29]
	ds_load_b128 v[2:5], v1 offset:1024
	scratch_load_b128 v[26:29], off, off offset:576
	v_fma_f64 v[131:132], v[131:132], v[30:31], v[137:138]
	v_fma_f64 v[129:130], v[129:130], v[30:31], -v[32:33]
	scratch_load_b128 v[30:33], off, off offset:592
	v_add_f64_e32 v[133:134], v[133:134], v[117:118]
	v_add_f64_e32 v[135:136], v[135:136], v[119:120]
	ds_load_b128 v[117:120], v1 offset:1040
	s_wait_loadcnt_dscnt 0xa01
	v_mul_f64_e32 v[143:144], v[2:3], v[36:37]
	v_mul_f64_e32 v[36:37], v[4:5], v[36:37]
	s_wait_loadcnt_dscnt 0x800
	v_mul_f64_e32 v[137:138], v[117:118], v[127:128]
	v_mul_f64_e32 v[127:128], v[119:120], v[127:128]
	v_add_f64_e32 v[133:134], v[133:134], v[141:142]
	v_add_f64_e32 v[135:136], v[135:136], v[139:140]
	v_fma_f64 v[139:140], v[4:5], v[34:35], v[143:144]
	v_fma_f64 v[141:142], v[2:3], v[34:35], -v[36:37]
	ds_load_b128 v[2:5], v1 offset:1056
	ds_load_b128 v[34:37], v1 offset:1072
	v_fma_f64 v[119:120], v[119:120], v[125:126], v[137:138]
	v_fma_f64 v[117:118], v[117:118], v[125:126], -v[127:128]
	v_add_f64_e32 v[129:130], v[133:134], v[129:130]
	v_add_f64_e32 v[131:132], v[135:136], v[131:132]
	s_wait_loadcnt_dscnt 0x701
	v_mul_f64_e32 v[133:134], v[2:3], v[115:116]
	v_mul_f64_e32 v[115:116], v[4:5], v[115:116]
	s_delay_alu instid0(VALU_DEP_4) | instskip(NEXT) | instid1(VALU_DEP_4)
	v_add_f64_e32 v[125:126], v[129:130], v[141:142]
	v_add_f64_e32 v[127:128], v[131:132], v[139:140]
	s_wait_loadcnt_dscnt 0x600
	v_mul_f64_e32 v[129:130], v[34:35], v[8:9]
	v_mul_f64_e32 v[8:9], v[36:37], v[8:9]
	v_fma_f64 v[131:132], v[4:5], v[113:114], v[133:134]
	v_fma_f64 v[133:134], v[2:3], v[113:114], -v[115:116]
	ds_load_b128 v[2:5], v1 offset:1088
	ds_load_b128 v[113:116], v1 offset:1104
	v_add_f64_e32 v[117:118], v[125:126], v[117:118]
	v_add_f64_e32 v[119:120], v[127:128], v[119:120]
	v_fma_f64 v[36:37], v[36:37], v[6:7], v[129:130]
	s_wait_loadcnt_dscnt 0x501
	v_mul_f64_e32 v[125:126], v[2:3], v[12:13]
	v_mul_f64_e32 v[12:13], v[4:5], v[12:13]
	v_fma_f64 v[6:7], v[34:35], v[6:7], -v[8:9]
	v_add_f64_e32 v[8:9], v[117:118], v[133:134]
	v_add_f64_e32 v[34:35], v[119:120], v[131:132]
	s_wait_loadcnt_dscnt 0x400
	v_mul_f64_e32 v[117:118], v[113:114], v[16:17]
	v_mul_f64_e32 v[16:17], v[115:116], v[16:17]
	v_fma_f64 v[119:120], v[4:5], v[10:11], v[125:126]
	v_fma_f64 v[10:11], v[2:3], v[10:11], -v[12:13]
	v_add_f64_e32 v[12:13], v[8:9], v[6:7]
	v_add_f64_e32 v[34:35], v[34:35], v[36:37]
	ds_load_b128 v[2:5], v1 offset:1120
	ds_load_b128 v[6:9], v1 offset:1136
	v_fma_f64 v[115:116], v[115:116], v[14:15], v[117:118]
	v_fma_f64 v[14:15], v[113:114], v[14:15], -v[16:17]
	s_wait_loadcnt_dscnt 0x301
	v_mul_f64_e32 v[36:37], v[2:3], v[20:21]
	v_mul_f64_e32 v[20:21], v[4:5], v[20:21]
	s_wait_loadcnt_dscnt 0x200
	v_mul_f64_e32 v[16:17], v[6:7], v[24:25]
	v_mul_f64_e32 v[24:25], v[8:9], v[24:25]
	v_add_f64_e32 v[10:11], v[12:13], v[10:11]
	v_add_f64_e32 v[12:13], v[34:35], v[119:120]
	v_fma_f64 v[34:35], v[4:5], v[18:19], v[36:37]
	v_fma_f64 v[18:19], v[2:3], v[18:19], -v[20:21]
	v_fma_f64 v[8:9], v[8:9], v[22:23], v[16:17]
	v_fma_f64 v[6:7], v[6:7], v[22:23], -v[24:25]
	v_add_f64_e32 v[14:15], v[10:11], v[14:15]
	v_add_f64_e32 v[20:21], v[12:13], v[115:116]
	ds_load_b128 v[2:5], v1 offset:1152
	ds_load_b128 v[10:13], v1 offset:1168
	s_wait_loadcnt_dscnt 0x101
	v_mul_f64_e32 v[36:37], v[2:3], v[28:29]
	v_mul_f64_e32 v[28:29], v[4:5], v[28:29]
	v_add_f64_e32 v[14:15], v[14:15], v[18:19]
	v_add_f64_e32 v[16:17], v[20:21], v[34:35]
	s_wait_loadcnt_dscnt 0x0
	v_mul_f64_e32 v[18:19], v[10:11], v[32:33]
	v_mul_f64_e32 v[20:21], v[12:13], v[32:33]
	v_fma_f64 v[4:5], v[4:5], v[26:27], v[36:37]
	v_fma_f64 v[1:2], v[2:3], v[26:27], -v[28:29]
	v_add_f64_e32 v[6:7], v[14:15], v[6:7]
	v_add_f64_e32 v[8:9], v[16:17], v[8:9]
	v_fma_f64 v[12:13], v[12:13], v[30:31], v[18:19]
	v_fma_f64 v[10:11], v[10:11], v[30:31], -v[20:21]
	s_delay_alu instid0(VALU_DEP_4) | instskip(NEXT) | instid1(VALU_DEP_4)
	v_add_f64_e32 v[1:2], v[6:7], v[1:2]
	v_add_f64_e32 v[3:4], v[8:9], v[4:5]
	s_delay_alu instid0(VALU_DEP_2) | instskip(NEXT) | instid1(VALU_DEP_2)
	v_add_f64_e32 v[1:2], v[1:2], v[10:11]
	v_add_f64_e32 v[3:4], v[3:4], v[12:13]
	s_delay_alu instid0(VALU_DEP_2) | instskip(NEXT) | instid1(VALU_DEP_2)
	v_add_f64_e64 v[1:2], v[121:122], -v[1:2]
	v_add_f64_e64 v[3:4], v[123:124], -v[3:4]
	scratch_store_b128 off, v[1:4], off offset:304
	v_cmpx_lt_u32_e32 17, v0
	s_cbranch_execz .LBB100_201
; %bb.200:
	scratch_load_b128 v[1:4], off, s34
	v_mov_b32_e32 v5, 0
	s_delay_alu instid0(VALU_DEP_1)
	v_dual_mov_b32 v6, v5 :: v_dual_mov_b32 v7, v5
	v_mov_b32_e32 v8, v5
	scratch_store_b128 off, v[5:8], off offset:288
	s_wait_loadcnt 0x0
	ds_store_b128 v112, v[1:4]
.LBB100_201:
	s_wait_alu 0xfffe
	s_or_b32 exec_lo, exec_lo, s0
	s_wait_storecnt_dscnt 0x0
	s_barrier_signal -1
	s_barrier_wait -1
	global_inv scope:SCOPE_SE
	s_clause 0x7
	scratch_load_b128 v[2:5], off, off offset:304
	scratch_load_b128 v[6:9], off, off offset:320
	;; [unrolled: 1-line block ×8, first 2 shown]
	v_mov_b32_e32 v1, 0
	s_mov_b32 s0, exec_lo
	ds_load_b128 v[34:37], v1 offset:880
	s_clause 0x1
	scratch_load_b128 v[113:116], off, off offset:432
	scratch_load_b128 v[117:120], off, off offset:288
	ds_load_b128 v[121:124], v1 offset:896
	scratch_load_b128 v[125:128], off, off offset:448
	s_wait_loadcnt_dscnt 0xa01
	v_mul_f64_e32 v[129:130], v[36:37], v[4:5]
	v_mul_f64_e32 v[4:5], v[34:35], v[4:5]
	s_delay_alu instid0(VALU_DEP_2) | instskip(NEXT) | instid1(VALU_DEP_2)
	v_fma_f64 v[135:136], v[34:35], v[2:3], -v[129:130]
	v_fma_f64 v[137:138], v[36:37], v[2:3], v[4:5]
	ds_load_b128 v[2:5], v1 offset:912
	s_wait_loadcnt_dscnt 0x901
	v_mul_f64_e32 v[133:134], v[121:122], v[8:9]
	v_mul_f64_e32 v[8:9], v[123:124], v[8:9]
	scratch_load_b128 v[34:37], off, off offset:464
	ds_load_b128 v[129:132], v1 offset:928
	s_wait_loadcnt_dscnt 0x901
	v_mul_f64_e32 v[139:140], v[2:3], v[12:13]
	v_mul_f64_e32 v[12:13], v[4:5], v[12:13]
	v_fma_f64 v[123:124], v[123:124], v[6:7], v[133:134]
	v_fma_f64 v[121:122], v[121:122], v[6:7], -v[8:9]
	v_add_f64_e32 v[133:134], 0, v[135:136]
	v_add_f64_e32 v[135:136], 0, v[137:138]
	scratch_load_b128 v[6:9], off, off offset:480
	v_fma_f64 v[139:140], v[4:5], v[10:11], v[139:140]
	v_fma_f64 v[141:142], v[2:3], v[10:11], -v[12:13]
	ds_load_b128 v[2:5], v1 offset:944
	s_wait_loadcnt_dscnt 0x901
	v_mul_f64_e32 v[137:138], v[129:130], v[16:17]
	v_mul_f64_e32 v[16:17], v[131:132], v[16:17]
	scratch_load_b128 v[10:13], off, off offset:496
	v_add_f64_e32 v[133:134], v[133:134], v[121:122]
	v_add_f64_e32 v[135:136], v[135:136], v[123:124]
	s_wait_loadcnt_dscnt 0x900
	v_mul_f64_e32 v[143:144], v[2:3], v[20:21]
	v_mul_f64_e32 v[20:21], v[4:5], v[20:21]
	ds_load_b128 v[121:124], v1 offset:960
	v_fma_f64 v[131:132], v[131:132], v[14:15], v[137:138]
	v_fma_f64 v[129:130], v[129:130], v[14:15], -v[16:17]
	scratch_load_b128 v[14:17], off, off offset:512
	v_add_f64_e32 v[133:134], v[133:134], v[141:142]
	v_add_f64_e32 v[135:136], v[135:136], v[139:140]
	v_fma_f64 v[139:140], v[4:5], v[18:19], v[143:144]
	v_fma_f64 v[141:142], v[2:3], v[18:19], -v[20:21]
	ds_load_b128 v[2:5], v1 offset:976
	s_wait_loadcnt_dscnt 0x901
	v_mul_f64_e32 v[137:138], v[121:122], v[24:25]
	v_mul_f64_e32 v[24:25], v[123:124], v[24:25]
	scratch_load_b128 v[18:21], off, off offset:528
	s_wait_loadcnt_dscnt 0x900
	v_mul_f64_e32 v[143:144], v[2:3], v[28:29]
	v_mul_f64_e32 v[28:29], v[4:5], v[28:29]
	v_add_f64_e32 v[133:134], v[133:134], v[129:130]
	v_add_f64_e32 v[135:136], v[135:136], v[131:132]
	ds_load_b128 v[129:132], v1 offset:992
	v_fma_f64 v[123:124], v[123:124], v[22:23], v[137:138]
	v_fma_f64 v[121:122], v[121:122], v[22:23], -v[24:25]
	scratch_load_b128 v[22:25], off, off offset:544
	v_add_f64_e32 v[133:134], v[133:134], v[141:142]
	v_add_f64_e32 v[135:136], v[135:136], v[139:140]
	v_fma_f64 v[139:140], v[4:5], v[26:27], v[143:144]
	v_fma_f64 v[141:142], v[2:3], v[26:27], -v[28:29]
	ds_load_b128 v[2:5], v1 offset:1008
	s_wait_loadcnt_dscnt 0x901
	v_mul_f64_e32 v[137:138], v[129:130], v[32:33]
	v_mul_f64_e32 v[32:33], v[131:132], v[32:33]
	scratch_load_b128 v[26:29], off, off offset:560
	s_wait_loadcnt_dscnt 0x900
	v_mul_f64_e32 v[143:144], v[2:3], v[115:116]
	v_mul_f64_e32 v[115:116], v[4:5], v[115:116]
	v_add_f64_e32 v[133:134], v[133:134], v[121:122]
	v_add_f64_e32 v[135:136], v[135:136], v[123:124]
	ds_load_b128 v[121:124], v1 offset:1024
	v_fma_f64 v[131:132], v[131:132], v[30:31], v[137:138]
	v_fma_f64 v[129:130], v[129:130], v[30:31], -v[32:33]
	scratch_load_b128 v[30:33], off, off offset:576
	v_add_f64_e32 v[133:134], v[133:134], v[141:142]
	v_add_f64_e32 v[135:136], v[135:136], v[139:140]
	v_fma_f64 v[141:142], v[4:5], v[113:114], v[143:144]
	v_fma_f64 v[143:144], v[2:3], v[113:114], -v[115:116]
	ds_load_b128 v[2:5], v1 offset:1040
	s_wait_loadcnt_dscnt 0x801
	v_mul_f64_e32 v[137:138], v[121:122], v[127:128]
	v_mul_f64_e32 v[139:140], v[123:124], v[127:128]
	scratch_load_b128 v[113:116], off, off offset:592
	v_add_f64_e32 v[133:134], v[133:134], v[129:130]
	v_add_f64_e32 v[131:132], v[135:136], v[131:132]
	ds_load_b128 v[127:130], v1 offset:1056
	v_fma_f64 v[123:124], v[123:124], v[125:126], v[137:138]
	v_fma_f64 v[121:122], v[121:122], v[125:126], -v[139:140]
	s_wait_loadcnt_dscnt 0x801
	v_mul_f64_e32 v[135:136], v[2:3], v[36:37]
	v_mul_f64_e32 v[36:37], v[4:5], v[36:37]
	v_add_f64_e32 v[125:126], v[133:134], v[143:144]
	v_add_f64_e32 v[131:132], v[131:132], v[141:142]
	s_delay_alu instid0(VALU_DEP_4) | instskip(NEXT) | instid1(VALU_DEP_4)
	v_fma_f64 v[135:136], v[4:5], v[34:35], v[135:136]
	v_fma_f64 v[137:138], v[2:3], v[34:35], -v[36:37]
	s_wait_loadcnt_dscnt 0x700
	v_mul_f64_e32 v[133:134], v[127:128], v[8:9]
	v_mul_f64_e32 v[8:9], v[129:130], v[8:9]
	ds_load_b128 v[2:5], v1 offset:1072
	ds_load_b128 v[34:37], v1 offset:1088
	v_add_f64_e32 v[121:122], v[125:126], v[121:122]
	v_add_f64_e32 v[123:124], v[131:132], v[123:124]
	s_wait_loadcnt_dscnt 0x601
	v_mul_f64_e32 v[125:126], v[2:3], v[12:13]
	v_mul_f64_e32 v[12:13], v[4:5], v[12:13]
	v_fma_f64 v[129:130], v[129:130], v[6:7], v[133:134]
	v_fma_f64 v[6:7], v[127:128], v[6:7], -v[8:9]
	v_add_f64_e32 v[8:9], v[121:122], v[137:138]
	v_add_f64_e32 v[121:122], v[123:124], v[135:136]
	s_wait_loadcnt_dscnt 0x500
	v_mul_f64_e32 v[123:124], v[34:35], v[16:17]
	v_mul_f64_e32 v[16:17], v[36:37], v[16:17]
	v_fma_f64 v[125:126], v[4:5], v[10:11], v[125:126]
	v_fma_f64 v[10:11], v[2:3], v[10:11], -v[12:13]
	v_add_f64_e32 v[12:13], v[8:9], v[6:7]
	v_add_f64_e32 v[121:122], v[121:122], v[129:130]
	ds_load_b128 v[2:5], v1 offset:1104
	ds_load_b128 v[6:9], v1 offset:1120
	v_fma_f64 v[36:37], v[36:37], v[14:15], v[123:124]
	v_fma_f64 v[14:15], v[34:35], v[14:15], -v[16:17]
	s_wait_loadcnt_dscnt 0x401
	v_mul_f64_e32 v[127:128], v[2:3], v[20:21]
	v_mul_f64_e32 v[20:21], v[4:5], v[20:21]
	s_wait_loadcnt_dscnt 0x300
	v_mul_f64_e32 v[16:17], v[6:7], v[24:25]
	v_mul_f64_e32 v[24:25], v[8:9], v[24:25]
	v_add_f64_e32 v[10:11], v[12:13], v[10:11]
	v_add_f64_e32 v[12:13], v[121:122], v[125:126]
	v_fma_f64 v[34:35], v[4:5], v[18:19], v[127:128]
	v_fma_f64 v[18:19], v[2:3], v[18:19], -v[20:21]
	v_fma_f64 v[8:9], v[8:9], v[22:23], v[16:17]
	v_fma_f64 v[6:7], v[6:7], v[22:23], -v[24:25]
	v_add_f64_e32 v[14:15], v[10:11], v[14:15]
	v_add_f64_e32 v[20:21], v[12:13], v[36:37]
	ds_load_b128 v[2:5], v1 offset:1136
	ds_load_b128 v[10:13], v1 offset:1152
	s_wait_loadcnt_dscnt 0x201
	v_mul_f64_e32 v[36:37], v[2:3], v[28:29]
	v_mul_f64_e32 v[28:29], v[4:5], v[28:29]
	v_add_f64_e32 v[14:15], v[14:15], v[18:19]
	v_add_f64_e32 v[16:17], v[20:21], v[34:35]
	s_wait_loadcnt_dscnt 0x100
	v_mul_f64_e32 v[18:19], v[10:11], v[32:33]
	v_mul_f64_e32 v[20:21], v[12:13], v[32:33]
	v_fma_f64 v[22:23], v[4:5], v[26:27], v[36:37]
	v_fma_f64 v[24:25], v[2:3], v[26:27], -v[28:29]
	ds_load_b128 v[2:5], v1 offset:1168
	v_add_f64_e32 v[6:7], v[14:15], v[6:7]
	v_add_f64_e32 v[8:9], v[16:17], v[8:9]
	v_fma_f64 v[12:13], v[12:13], v[30:31], v[18:19]
	v_fma_f64 v[10:11], v[10:11], v[30:31], -v[20:21]
	s_wait_loadcnt_dscnt 0x0
	v_mul_f64_e32 v[14:15], v[2:3], v[115:116]
	v_mul_f64_e32 v[16:17], v[4:5], v[115:116]
	v_add_f64_e32 v[6:7], v[6:7], v[24:25]
	v_add_f64_e32 v[8:9], v[8:9], v[22:23]
	s_delay_alu instid0(VALU_DEP_4) | instskip(NEXT) | instid1(VALU_DEP_4)
	v_fma_f64 v[4:5], v[4:5], v[113:114], v[14:15]
	v_fma_f64 v[2:3], v[2:3], v[113:114], -v[16:17]
	s_delay_alu instid0(VALU_DEP_4) | instskip(NEXT) | instid1(VALU_DEP_4)
	v_add_f64_e32 v[6:7], v[6:7], v[10:11]
	v_add_f64_e32 v[8:9], v[8:9], v[12:13]
	s_delay_alu instid0(VALU_DEP_2) | instskip(NEXT) | instid1(VALU_DEP_2)
	v_add_f64_e32 v[2:3], v[6:7], v[2:3]
	v_add_f64_e32 v[4:5], v[8:9], v[4:5]
	s_delay_alu instid0(VALU_DEP_2) | instskip(NEXT) | instid1(VALU_DEP_2)
	v_add_f64_e64 v[2:3], v[117:118], -v[2:3]
	v_add_f64_e64 v[4:5], v[119:120], -v[4:5]
	scratch_store_b128 off, v[2:5], off offset:288
	v_cmpx_lt_u32_e32 16, v0
	s_cbranch_execz .LBB100_203
; %bb.202:
	scratch_load_b128 v[5:8], off, s15
	v_dual_mov_b32 v2, v1 :: v_dual_mov_b32 v3, v1
	v_mov_b32_e32 v4, v1
	scratch_store_b128 off, v[1:4], off offset:272
	s_wait_loadcnt 0x0
	ds_store_b128 v112, v[5:8]
.LBB100_203:
	s_wait_alu 0xfffe
	s_or_b32 exec_lo, exec_lo, s0
	s_wait_storecnt_dscnt 0x0
	s_barrier_signal -1
	s_barrier_wait -1
	global_inv scope:SCOPE_SE
	s_clause 0x8
	scratch_load_b128 v[2:5], off, off offset:288
	scratch_load_b128 v[6:9], off, off offset:304
	;; [unrolled: 1-line block ×9, first 2 shown]
	ds_load_b128 v[113:116], v1 offset:864
	ds_load_b128 v[117:120], v1 offset:880
	s_clause 0x1
	scratch_load_b128 v[121:124], off, off offset:272
	scratch_load_b128 v[125:128], off, off offset:432
	s_mov_b32 s0, exec_lo
	s_wait_loadcnt_dscnt 0xa01
	v_mul_f64_e32 v[129:130], v[115:116], v[4:5]
	v_mul_f64_e32 v[4:5], v[113:114], v[4:5]
	s_wait_loadcnt_dscnt 0x900
	v_mul_f64_e32 v[133:134], v[117:118], v[8:9]
	v_mul_f64_e32 v[8:9], v[119:120], v[8:9]
	s_delay_alu instid0(VALU_DEP_4) | instskip(NEXT) | instid1(VALU_DEP_4)
	v_fma_f64 v[135:136], v[113:114], v[2:3], -v[129:130]
	v_fma_f64 v[137:138], v[115:116], v[2:3], v[4:5]
	ds_load_b128 v[2:5], v1 offset:896
	ds_load_b128 v[129:132], v1 offset:912
	scratch_load_b128 v[113:116], off, off offset:448
	v_fma_f64 v[119:120], v[119:120], v[6:7], v[133:134]
	v_fma_f64 v[117:118], v[117:118], v[6:7], -v[8:9]
	scratch_load_b128 v[6:9], off, off offset:464
	s_wait_loadcnt_dscnt 0xa01
	v_mul_f64_e32 v[139:140], v[2:3], v[12:13]
	v_mul_f64_e32 v[12:13], v[4:5], v[12:13]
	v_add_f64_e32 v[133:134], 0, v[135:136]
	v_add_f64_e32 v[135:136], 0, v[137:138]
	s_wait_loadcnt_dscnt 0x900
	v_mul_f64_e32 v[137:138], v[129:130], v[16:17]
	v_mul_f64_e32 v[16:17], v[131:132], v[16:17]
	v_fma_f64 v[139:140], v[4:5], v[10:11], v[139:140]
	v_fma_f64 v[141:142], v[2:3], v[10:11], -v[12:13]
	ds_load_b128 v[2:5], v1 offset:928
	scratch_load_b128 v[10:13], off, off offset:480
	v_add_f64_e32 v[133:134], v[133:134], v[117:118]
	v_add_f64_e32 v[135:136], v[135:136], v[119:120]
	ds_load_b128 v[117:120], v1 offset:944
	v_fma_f64 v[131:132], v[131:132], v[14:15], v[137:138]
	v_fma_f64 v[129:130], v[129:130], v[14:15], -v[16:17]
	scratch_load_b128 v[14:17], off, off offset:496
	s_wait_loadcnt_dscnt 0xa01
	v_mul_f64_e32 v[143:144], v[2:3], v[20:21]
	v_mul_f64_e32 v[20:21], v[4:5], v[20:21]
	s_wait_loadcnt_dscnt 0x900
	v_mul_f64_e32 v[137:138], v[117:118], v[24:25]
	v_mul_f64_e32 v[24:25], v[119:120], v[24:25]
	v_add_f64_e32 v[133:134], v[133:134], v[141:142]
	v_add_f64_e32 v[135:136], v[135:136], v[139:140]
	v_fma_f64 v[139:140], v[4:5], v[18:19], v[143:144]
	v_fma_f64 v[141:142], v[2:3], v[18:19], -v[20:21]
	ds_load_b128 v[2:5], v1 offset:960
	scratch_load_b128 v[18:21], off, off offset:512
	v_fma_f64 v[119:120], v[119:120], v[22:23], v[137:138]
	v_fma_f64 v[117:118], v[117:118], v[22:23], -v[24:25]
	scratch_load_b128 v[22:25], off, off offset:528
	v_add_f64_e32 v[133:134], v[133:134], v[129:130]
	v_add_f64_e32 v[135:136], v[135:136], v[131:132]
	ds_load_b128 v[129:132], v1 offset:976
	s_wait_loadcnt_dscnt 0xa01
	v_mul_f64_e32 v[143:144], v[2:3], v[28:29]
	v_mul_f64_e32 v[28:29], v[4:5], v[28:29]
	s_wait_loadcnt_dscnt 0x900
	v_mul_f64_e32 v[137:138], v[129:130], v[32:33]
	v_mul_f64_e32 v[32:33], v[131:132], v[32:33]
	v_add_f64_e32 v[133:134], v[133:134], v[141:142]
	v_add_f64_e32 v[135:136], v[135:136], v[139:140]
	v_fma_f64 v[139:140], v[4:5], v[26:27], v[143:144]
	v_fma_f64 v[141:142], v[2:3], v[26:27], -v[28:29]
	ds_load_b128 v[2:5], v1 offset:992
	scratch_load_b128 v[26:29], off, off offset:544
	v_fma_f64 v[131:132], v[131:132], v[30:31], v[137:138]
	v_fma_f64 v[129:130], v[129:130], v[30:31], -v[32:33]
	scratch_load_b128 v[30:33], off, off offset:560
	v_add_f64_e32 v[133:134], v[133:134], v[117:118]
	v_add_f64_e32 v[135:136], v[135:136], v[119:120]
	ds_load_b128 v[117:120], v1 offset:1008
	s_wait_loadcnt_dscnt 0xa01
	v_mul_f64_e32 v[143:144], v[2:3], v[36:37]
	v_mul_f64_e32 v[36:37], v[4:5], v[36:37]
	s_wait_loadcnt_dscnt 0x800
	v_mul_f64_e32 v[137:138], v[117:118], v[127:128]
	v_add_f64_e32 v[133:134], v[133:134], v[141:142]
	v_add_f64_e32 v[135:136], v[135:136], v[139:140]
	v_mul_f64_e32 v[139:140], v[119:120], v[127:128]
	v_fma_f64 v[141:142], v[4:5], v[34:35], v[143:144]
	v_fma_f64 v[143:144], v[2:3], v[34:35], -v[36:37]
	ds_load_b128 v[2:5], v1 offset:1024
	scratch_load_b128 v[34:37], off, off offset:576
	v_fma_f64 v[119:120], v[119:120], v[125:126], v[137:138]
	v_add_f64_e32 v[133:134], v[133:134], v[129:130]
	v_add_f64_e32 v[131:132], v[135:136], v[131:132]
	ds_load_b128 v[127:130], v1 offset:1040
	v_fma_f64 v[125:126], v[117:118], v[125:126], -v[139:140]
	s_wait_loadcnt_dscnt 0x801
	v_mul_f64_e32 v[135:136], v[2:3], v[115:116]
	v_mul_f64_e32 v[145:146], v[4:5], v[115:116]
	scratch_load_b128 v[115:118], off, off offset:592
	s_wait_loadcnt_dscnt 0x800
	v_mul_f64_e32 v[137:138], v[127:128], v[8:9]
	v_mul_f64_e32 v[8:9], v[129:130], v[8:9]
	v_add_f64_e32 v[133:134], v[133:134], v[143:144]
	v_add_f64_e32 v[131:132], v[131:132], v[141:142]
	v_fma_f64 v[135:136], v[4:5], v[113:114], v[135:136]
	v_fma_f64 v[113:114], v[2:3], v[113:114], -v[145:146]
	v_fma_f64 v[129:130], v[129:130], v[6:7], v[137:138]
	v_fma_f64 v[6:7], v[127:128], v[6:7], -v[8:9]
	v_add_f64_e32 v[125:126], v[133:134], v[125:126]
	v_add_f64_e32 v[119:120], v[131:132], v[119:120]
	ds_load_b128 v[2:5], v1 offset:1056
	ds_load_b128 v[131:134], v1 offset:1072
	s_wait_loadcnt_dscnt 0x701
	v_mul_f64_e32 v[139:140], v[2:3], v[12:13]
	v_mul_f64_e32 v[12:13], v[4:5], v[12:13]
	v_add_f64_e32 v[8:9], v[125:126], v[113:114]
	v_add_f64_e32 v[113:114], v[119:120], v[135:136]
	s_wait_loadcnt_dscnt 0x600
	v_mul_f64_e32 v[119:120], v[131:132], v[16:17]
	v_mul_f64_e32 v[16:17], v[133:134], v[16:17]
	v_fma_f64 v[125:126], v[4:5], v[10:11], v[139:140]
	v_fma_f64 v[10:11], v[2:3], v[10:11], -v[12:13]
	v_add_f64_e32 v[12:13], v[8:9], v[6:7]
	v_add_f64_e32 v[113:114], v[113:114], v[129:130]
	ds_load_b128 v[2:5], v1 offset:1088
	ds_load_b128 v[6:9], v1 offset:1104
	v_fma_f64 v[119:120], v[133:134], v[14:15], v[119:120]
	v_fma_f64 v[14:15], v[131:132], v[14:15], -v[16:17]
	s_wait_loadcnt_dscnt 0x501
	v_mul_f64_e32 v[127:128], v[2:3], v[20:21]
	v_mul_f64_e32 v[20:21], v[4:5], v[20:21]
	s_wait_loadcnt_dscnt 0x400
	v_mul_f64_e32 v[16:17], v[6:7], v[24:25]
	v_mul_f64_e32 v[24:25], v[8:9], v[24:25]
	v_add_f64_e32 v[10:11], v[12:13], v[10:11]
	v_add_f64_e32 v[12:13], v[113:114], v[125:126]
	v_fma_f64 v[113:114], v[4:5], v[18:19], v[127:128]
	v_fma_f64 v[18:19], v[2:3], v[18:19], -v[20:21]
	v_fma_f64 v[8:9], v[8:9], v[22:23], v[16:17]
	v_fma_f64 v[6:7], v[6:7], v[22:23], -v[24:25]
	v_add_f64_e32 v[14:15], v[10:11], v[14:15]
	v_add_f64_e32 v[20:21], v[12:13], v[119:120]
	ds_load_b128 v[2:5], v1 offset:1120
	ds_load_b128 v[10:13], v1 offset:1136
	s_wait_loadcnt_dscnt 0x301
	v_mul_f64_e32 v[119:120], v[2:3], v[28:29]
	v_mul_f64_e32 v[28:29], v[4:5], v[28:29]
	v_add_f64_e32 v[14:15], v[14:15], v[18:19]
	v_add_f64_e32 v[16:17], v[20:21], v[113:114]
	s_wait_loadcnt_dscnt 0x200
	v_mul_f64_e32 v[18:19], v[10:11], v[32:33]
	v_mul_f64_e32 v[20:21], v[12:13], v[32:33]
	v_fma_f64 v[22:23], v[4:5], v[26:27], v[119:120]
	v_fma_f64 v[24:25], v[2:3], v[26:27], -v[28:29]
	v_add_f64_e32 v[14:15], v[14:15], v[6:7]
	v_add_f64_e32 v[16:17], v[16:17], v[8:9]
	ds_load_b128 v[2:5], v1 offset:1152
	ds_load_b128 v[6:9], v1 offset:1168
	v_fma_f64 v[12:13], v[12:13], v[30:31], v[18:19]
	v_fma_f64 v[10:11], v[10:11], v[30:31], -v[20:21]
	s_wait_loadcnt_dscnt 0x101
	v_mul_f64_e32 v[26:27], v[2:3], v[36:37]
	v_mul_f64_e32 v[28:29], v[4:5], v[36:37]
	s_wait_loadcnt_dscnt 0x0
	v_mul_f64_e32 v[18:19], v[6:7], v[117:118]
	v_add_f64_e32 v[14:15], v[14:15], v[24:25]
	v_add_f64_e32 v[16:17], v[16:17], v[22:23]
	v_mul_f64_e32 v[20:21], v[8:9], v[117:118]
	v_fma_f64 v[4:5], v[4:5], v[34:35], v[26:27]
	v_fma_f64 v[1:2], v[2:3], v[34:35], -v[28:29]
	v_fma_f64 v[8:9], v[8:9], v[115:116], v[18:19]
	v_add_f64_e32 v[10:11], v[14:15], v[10:11]
	v_add_f64_e32 v[12:13], v[16:17], v[12:13]
	v_fma_f64 v[6:7], v[6:7], v[115:116], -v[20:21]
	s_delay_alu instid0(VALU_DEP_3) | instskip(NEXT) | instid1(VALU_DEP_3)
	v_add_f64_e32 v[1:2], v[10:11], v[1:2]
	v_add_f64_e32 v[3:4], v[12:13], v[4:5]
	s_delay_alu instid0(VALU_DEP_2) | instskip(NEXT) | instid1(VALU_DEP_2)
	v_add_f64_e32 v[1:2], v[1:2], v[6:7]
	v_add_f64_e32 v[3:4], v[3:4], v[8:9]
	s_delay_alu instid0(VALU_DEP_2) | instskip(NEXT) | instid1(VALU_DEP_2)
	v_add_f64_e64 v[1:2], v[121:122], -v[1:2]
	v_add_f64_e64 v[3:4], v[123:124], -v[3:4]
	scratch_store_b128 off, v[1:4], off offset:272
	v_cmpx_lt_u32_e32 15, v0
	s_cbranch_execz .LBB100_205
; %bb.204:
	scratch_load_b128 v[1:4], off, s33
	v_mov_b32_e32 v5, 0
	s_delay_alu instid0(VALU_DEP_1)
	v_dual_mov_b32 v6, v5 :: v_dual_mov_b32 v7, v5
	v_mov_b32_e32 v8, v5
	scratch_store_b128 off, v[5:8], off offset:256
	s_wait_loadcnt 0x0
	ds_store_b128 v112, v[1:4]
.LBB100_205:
	s_wait_alu 0xfffe
	s_or_b32 exec_lo, exec_lo, s0
	s_wait_storecnt_dscnt 0x0
	s_barrier_signal -1
	s_barrier_wait -1
	global_inv scope:SCOPE_SE
	s_clause 0x7
	scratch_load_b128 v[2:5], off, off offset:272
	scratch_load_b128 v[6:9], off, off offset:288
	scratch_load_b128 v[10:13], off, off offset:304
	scratch_load_b128 v[14:17], off, off offset:320
	scratch_load_b128 v[18:21], off, off offset:336
	scratch_load_b128 v[22:25], off, off offset:352
	scratch_load_b128 v[26:29], off, off offset:368
	scratch_load_b128 v[30:33], off, off offset:384
	v_mov_b32_e32 v1, 0
	s_mov_b32 s0, exec_lo
	ds_load_b128 v[34:37], v1 offset:848
	s_clause 0x1
	scratch_load_b128 v[113:116], off, off offset:400
	scratch_load_b128 v[117:120], off, off offset:256
	ds_load_b128 v[121:124], v1 offset:864
	scratch_load_b128 v[125:128], off, off offset:416
	s_wait_loadcnt_dscnt 0xa01
	v_mul_f64_e32 v[129:130], v[36:37], v[4:5]
	v_mul_f64_e32 v[4:5], v[34:35], v[4:5]
	s_delay_alu instid0(VALU_DEP_2) | instskip(NEXT) | instid1(VALU_DEP_2)
	v_fma_f64 v[135:136], v[34:35], v[2:3], -v[129:130]
	v_fma_f64 v[137:138], v[36:37], v[2:3], v[4:5]
	ds_load_b128 v[2:5], v1 offset:880
	s_wait_loadcnt_dscnt 0x901
	v_mul_f64_e32 v[133:134], v[121:122], v[8:9]
	v_mul_f64_e32 v[8:9], v[123:124], v[8:9]
	scratch_load_b128 v[34:37], off, off offset:432
	ds_load_b128 v[129:132], v1 offset:896
	s_wait_loadcnt_dscnt 0x901
	v_mul_f64_e32 v[139:140], v[2:3], v[12:13]
	v_mul_f64_e32 v[12:13], v[4:5], v[12:13]
	v_fma_f64 v[123:124], v[123:124], v[6:7], v[133:134]
	v_fma_f64 v[121:122], v[121:122], v[6:7], -v[8:9]
	v_add_f64_e32 v[133:134], 0, v[135:136]
	v_add_f64_e32 v[135:136], 0, v[137:138]
	scratch_load_b128 v[6:9], off, off offset:448
	v_fma_f64 v[139:140], v[4:5], v[10:11], v[139:140]
	v_fma_f64 v[141:142], v[2:3], v[10:11], -v[12:13]
	ds_load_b128 v[2:5], v1 offset:912
	s_wait_loadcnt_dscnt 0x901
	v_mul_f64_e32 v[137:138], v[129:130], v[16:17]
	v_mul_f64_e32 v[16:17], v[131:132], v[16:17]
	scratch_load_b128 v[10:13], off, off offset:464
	v_add_f64_e32 v[133:134], v[133:134], v[121:122]
	v_add_f64_e32 v[135:136], v[135:136], v[123:124]
	s_wait_loadcnt_dscnt 0x900
	v_mul_f64_e32 v[143:144], v[2:3], v[20:21]
	v_mul_f64_e32 v[20:21], v[4:5], v[20:21]
	ds_load_b128 v[121:124], v1 offset:928
	v_fma_f64 v[131:132], v[131:132], v[14:15], v[137:138]
	v_fma_f64 v[129:130], v[129:130], v[14:15], -v[16:17]
	scratch_load_b128 v[14:17], off, off offset:480
	v_add_f64_e32 v[133:134], v[133:134], v[141:142]
	v_add_f64_e32 v[135:136], v[135:136], v[139:140]
	v_fma_f64 v[139:140], v[4:5], v[18:19], v[143:144]
	v_fma_f64 v[141:142], v[2:3], v[18:19], -v[20:21]
	ds_load_b128 v[2:5], v1 offset:944
	s_wait_loadcnt_dscnt 0x901
	v_mul_f64_e32 v[137:138], v[121:122], v[24:25]
	v_mul_f64_e32 v[24:25], v[123:124], v[24:25]
	scratch_load_b128 v[18:21], off, off offset:496
	s_wait_loadcnt_dscnt 0x900
	v_mul_f64_e32 v[143:144], v[2:3], v[28:29]
	v_mul_f64_e32 v[28:29], v[4:5], v[28:29]
	v_add_f64_e32 v[133:134], v[133:134], v[129:130]
	v_add_f64_e32 v[135:136], v[135:136], v[131:132]
	ds_load_b128 v[129:132], v1 offset:960
	v_fma_f64 v[123:124], v[123:124], v[22:23], v[137:138]
	v_fma_f64 v[121:122], v[121:122], v[22:23], -v[24:25]
	scratch_load_b128 v[22:25], off, off offset:512
	v_add_f64_e32 v[133:134], v[133:134], v[141:142]
	v_add_f64_e32 v[135:136], v[135:136], v[139:140]
	v_fma_f64 v[139:140], v[4:5], v[26:27], v[143:144]
	v_fma_f64 v[141:142], v[2:3], v[26:27], -v[28:29]
	ds_load_b128 v[2:5], v1 offset:976
	s_wait_loadcnt_dscnt 0x901
	v_mul_f64_e32 v[137:138], v[129:130], v[32:33]
	v_mul_f64_e32 v[32:33], v[131:132], v[32:33]
	scratch_load_b128 v[26:29], off, off offset:528
	s_wait_loadcnt_dscnt 0x900
	v_mul_f64_e32 v[143:144], v[2:3], v[115:116]
	v_mul_f64_e32 v[115:116], v[4:5], v[115:116]
	v_add_f64_e32 v[133:134], v[133:134], v[121:122]
	v_add_f64_e32 v[135:136], v[135:136], v[123:124]
	ds_load_b128 v[121:124], v1 offset:992
	v_fma_f64 v[131:132], v[131:132], v[30:31], v[137:138]
	v_fma_f64 v[129:130], v[129:130], v[30:31], -v[32:33]
	scratch_load_b128 v[30:33], off, off offset:544
	v_add_f64_e32 v[133:134], v[133:134], v[141:142]
	v_add_f64_e32 v[135:136], v[135:136], v[139:140]
	v_fma_f64 v[141:142], v[4:5], v[113:114], v[143:144]
	v_fma_f64 v[143:144], v[2:3], v[113:114], -v[115:116]
	ds_load_b128 v[2:5], v1 offset:1008
	s_wait_loadcnt_dscnt 0x801
	v_mul_f64_e32 v[137:138], v[121:122], v[127:128]
	v_mul_f64_e32 v[139:140], v[123:124], v[127:128]
	scratch_load_b128 v[113:116], off, off offset:560
	v_add_f64_e32 v[133:134], v[133:134], v[129:130]
	v_add_f64_e32 v[131:132], v[135:136], v[131:132]
	ds_load_b128 v[127:130], v1 offset:1024
	v_fma_f64 v[137:138], v[123:124], v[125:126], v[137:138]
	v_fma_f64 v[125:126], v[121:122], v[125:126], -v[139:140]
	scratch_load_b128 v[121:124], off, off offset:576
	s_wait_loadcnt_dscnt 0x901
	v_mul_f64_e32 v[135:136], v[2:3], v[36:37]
	v_mul_f64_e32 v[36:37], v[4:5], v[36:37]
	v_add_f64_e32 v[133:134], v[133:134], v[143:144]
	v_add_f64_e32 v[131:132], v[131:132], v[141:142]
	s_delay_alu instid0(VALU_DEP_4) | instskip(NEXT) | instid1(VALU_DEP_4)
	v_fma_f64 v[135:136], v[4:5], v[34:35], v[135:136]
	v_fma_f64 v[141:142], v[2:3], v[34:35], -v[36:37]
	ds_load_b128 v[2:5], v1 offset:1040
	s_wait_loadcnt_dscnt 0x801
	v_mul_f64_e32 v[139:140], v[127:128], v[8:9]
	v_mul_f64_e32 v[8:9], v[129:130], v[8:9]
	scratch_load_b128 v[34:37], off, off offset:592
	s_wait_loadcnt_dscnt 0x800
	v_mul_f64_e32 v[143:144], v[2:3], v[12:13]
	v_add_f64_e32 v[125:126], v[133:134], v[125:126]
	v_add_f64_e32 v[137:138], v[131:132], v[137:138]
	v_mul_f64_e32 v[12:13], v[4:5], v[12:13]
	ds_load_b128 v[131:134], v1 offset:1056
	v_fma_f64 v[129:130], v[129:130], v[6:7], v[139:140]
	v_fma_f64 v[6:7], v[127:128], v[6:7], -v[8:9]
	s_wait_loadcnt_dscnt 0x700
	v_mul_f64_e32 v[127:128], v[131:132], v[16:17]
	v_add_f64_e32 v[8:9], v[125:126], v[141:142]
	v_add_f64_e32 v[125:126], v[137:138], v[135:136]
	v_mul_f64_e32 v[16:17], v[133:134], v[16:17]
	v_fma_f64 v[135:136], v[4:5], v[10:11], v[143:144]
	v_fma_f64 v[10:11], v[2:3], v[10:11], -v[12:13]
	v_fma_f64 v[127:128], v[133:134], v[14:15], v[127:128]
	v_add_f64_e32 v[12:13], v[8:9], v[6:7]
	v_add_f64_e32 v[125:126], v[125:126], v[129:130]
	ds_load_b128 v[2:5], v1 offset:1072
	ds_load_b128 v[6:9], v1 offset:1088
	v_fma_f64 v[14:15], v[131:132], v[14:15], -v[16:17]
	s_wait_loadcnt_dscnt 0x601
	v_mul_f64_e32 v[129:130], v[2:3], v[20:21]
	v_mul_f64_e32 v[20:21], v[4:5], v[20:21]
	s_wait_loadcnt_dscnt 0x500
	v_mul_f64_e32 v[16:17], v[6:7], v[24:25]
	v_mul_f64_e32 v[24:25], v[8:9], v[24:25]
	v_add_f64_e32 v[10:11], v[12:13], v[10:11]
	v_add_f64_e32 v[12:13], v[125:126], v[135:136]
	v_fma_f64 v[125:126], v[4:5], v[18:19], v[129:130]
	v_fma_f64 v[18:19], v[2:3], v[18:19], -v[20:21]
	v_fma_f64 v[8:9], v[8:9], v[22:23], v[16:17]
	v_fma_f64 v[6:7], v[6:7], v[22:23], -v[24:25]
	v_add_f64_e32 v[14:15], v[10:11], v[14:15]
	v_add_f64_e32 v[20:21], v[12:13], v[127:128]
	ds_load_b128 v[2:5], v1 offset:1104
	ds_load_b128 v[10:13], v1 offset:1120
	s_wait_loadcnt_dscnt 0x401
	v_mul_f64_e32 v[127:128], v[2:3], v[28:29]
	v_mul_f64_e32 v[28:29], v[4:5], v[28:29]
	v_add_f64_e32 v[14:15], v[14:15], v[18:19]
	v_add_f64_e32 v[16:17], v[20:21], v[125:126]
	s_wait_loadcnt_dscnt 0x300
	v_mul_f64_e32 v[18:19], v[10:11], v[32:33]
	v_mul_f64_e32 v[20:21], v[12:13], v[32:33]
	v_fma_f64 v[22:23], v[4:5], v[26:27], v[127:128]
	v_fma_f64 v[24:25], v[2:3], v[26:27], -v[28:29]
	v_add_f64_e32 v[14:15], v[14:15], v[6:7]
	v_add_f64_e32 v[16:17], v[16:17], v[8:9]
	ds_load_b128 v[2:5], v1 offset:1136
	ds_load_b128 v[6:9], v1 offset:1152
	v_fma_f64 v[12:13], v[12:13], v[30:31], v[18:19]
	v_fma_f64 v[10:11], v[10:11], v[30:31], -v[20:21]
	s_wait_loadcnt_dscnt 0x201
	v_mul_f64_e32 v[26:27], v[2:3], v[115:116]
	v_mul_f64_e32 v[28:29], v[4:5], v[115:116]
	s_wait_loadcnt_dscnt 0x100
	v_mul_f64_e32 v[18:19], v[6:7], v[123:124]
	v_mul_f64_e32 v[20:21], v[8:9], v[123:124]
	v_add_f64_e32 v[14:15], v[14:15], v[24:25]
	v_add_f64_e32 v[16:17], v[16:17], v[22:23]
	v_fma_f64 v[22:23], v[4:5], v[113:114], v[26:27]
	v_fma_f64 v[24:25], v[2:3], v[113:114], -v[28:29]
	ds_load_b128 v[2:5], v1 offset:1168
	v_fma_f64 v[8:9], v[8:9], v[121:122], v[18:19]
	v_fma_f64 v[6:7], v[6:7], v[121:122], -v[20:21]
	v_add_f64_e32 v[10:11], v[14:15], v[10:11]
	v_add_f64_e32 v[12:13], v[16:17], v[12:13]
	s_wait_loadcnt_dscnt 0x0
	v_mul_f64_e32 v[14:15], v[2:3], v[36:37]
	v_mul_f64_e32 v[16:17], v[4:5], v[36:37]
	s_delay_alu instid0(VALU_DEP_4) | instskip(NEXT) | instid1(VALU_DEP_4)
	v_add_f64_e32 v[10:11], v[10:11], v[24:25]
	v_add_f64_e32 v[12:13], v[12:13], v[22:23]
	s_delay_alu instid0(VALU_DEP_4) | instskip(NEXT) | instid1(VALU_DEP_4)
	v_fma_f64 v[4:5], v[4:5], v[34:35], v[14:15]
	v_fma_f64 v[2:3], v[2:3], v[34:35], -v[16:17]
	s_delay_alu instid0(VALU_DEP_4) | instskip(NEXT) | instid1(VALU_DEP_4)
	v_add_f64_e32 v[6:7], v[10:11], v[6:7]
	v_add_f64_e32 v[8:9], v[12:13], v[8:9]
	s_delay_alu instid0(VALU_DEP_2) | instskip(NEXT) | instid1(VALU_DEP_2)
	v_add_f64_e32 v[2:3], v[6:7], v[2:3]
	v_add_f64_e32 v[4:5], v[8:9], v[4:5]
	s_delay_alu instid0(VALU_DEP_2) | instskip(NEXT) | instid1(VALU_DEP_2)
	v_add_f64_e64 v[2:3], v[117:118], -v[2:3]
	v_add_f64_e64 v[4:5], v[119:120], -v[4:5]
	scratch_store_b128 off, v[2:5], off offset:256
	v_cmpx_lt_u32_e32 14, v0
	s_cbranch_execz .LBB100_207
; %bb.206:
	scratch_load_b128 v[5:8], off, s14
	v_dual_mov_b32 v2, v1 :: v_dual_mov_b32 v3, v1
	v_mov_b32_e32 v4, v1
	scratch_store_b128 off, v[1:4], off offset:240
	s_wait_loadcnt 0x0
	ds_store_b128 v112, v[5:8]
.LBB100_207:
	s_wait_alu 0xfffe
	s_or_b32 exec_lo, exec_lo, s0
	s_wait_storecnt_dscnt 0x0
	s_barrier_signal -1
	s_barrier_wait -1
	global_inv scope:SCOPE_SE
	s_clause 0x8
	scratch_load_b128 v[2:5], off, off offset:256
	scratch_load_b128 v[6:9], off, off offset:272
	;; [unrolled: 1-line block ×9, first 2 shown]
	ds_load_b128 v[113:116], v1 offset:832
	ds_load_b128 v[117:120], v1 offset:848
	s_clause 0x1
	scratch_load_b128 v[121:124], off, off offset:240
	scratch_load_b128 v[125:128], off, off offset:400
	s_mov_b32 s0, exec_lo
	s_wait_loadcnt_dscnt 0xa01
	v_mul_f64_e32 v[129:130], v[115:116], v[4:5]
	v_mul_f64_e32 v[4:5], v[113:114], v[4:5]
	s_wait_loadcnt_dscnt 0x900
	v_mul_f64_e32 v[133:134], v[117:118], v[8:9]
	v_mul_f64_e32 v[8:9], v[119:120], v[8:9]
	s_delay_alu instid0(VALU_DEP_4) | instskip(NEXT) | instid1(VALU_DEP_4)
	v_fma_f64 v[135:136], v[113:114], v[2:3], -v[129:130]
	v_fma_f64 v[137:138], v[115:116], v[2:3], v[4:5]
	ds_load_b128 v[2:5], v1 offset:864
	ds_load_b128 v[129:132], v1 offset:880
	scratch_load_b128 v[113:116], off, off offset:416
	v_fma_f64 v[119:120], v[119:120], v[6:7], v[133:134]
	v_fma_f64 v[117:118], v[117:118], v[6:7], -v[8:9]
	scratch_load_b128 v[6:9], off, off offset:432
	s_wait_loadcnt_dscnt 0xa01
	v_mul_f64_e32 v[139:140], v[2:3], v[12:13]
	v_mul_f64_e32 v[12:13], v[4:5], v[12:13]
	v_add_f64_e32 v[133:134], 0, v[135:136]
	v_add_f64_e32 v[135:136], 0, v[137:138]
	s_wait_loadcnt_dscnt 0x900
	v_mul_f64_e32 v[137:138], v[129:130], v[16:17]
	v_mul_f64_e32 v[16:17], v[131:132], v[16:17]
	v_fma_f64 v[139:140], v[4:5], v[10:11], v[139:140]
	v_fma_f64 v[141:142], v[2:3], v[10:11], -v[12:13]
	ds_load_b128 v[2:5], v1 offset:896
	scratch_load_b128 v[10:13], off, off offset:448
	v_add_f64_e32 v[133:134], v[133:134], v[117:118]
	v_add_f64_e32 v[135:136], v[135:136], v[119:120]
	ds_load_b128 v[117:120], v1 offset:912
	v_fma_f64 v[131:132], v[131:132], v[14:15], v[137:138]
	v_fma_f64 v[129:130], v[129:130], v[14:15], -v[16:17]
	scratch_load_b128 v[14:17], off, off offset:464
	s_wait_loadcnt_dscnt 0xa01
	v_mul_f64_e32 v[143:144], v[2:3], v[20:21]
	v_mul_f64_e32 v[20:21], v[4:5], v[20:21]
	s_wait_loadcnt_dscnt 0x900
	v_mul_f64_e32 v[137:138], v[117:118], v[24:25]
	v_mul_f64_e32 v[24:25], v[119:120], v[24:25]
	v_add_f64_e32 v[133:134], v[133:134], v[141:142]
	v_add_f64_e32 v[135:136], v[135:136], v[139:140]
	v_fma_f64 v[139:140], v[4:5], v[18:19], v[143:144]
	v_fma_f64 v[141:142], v[2:3], v[18:19], -v[20:21]
	ds_load_b128 v[2:5], v1 offset:928
	scratch_load_b128 v[18:21], off, off offset:480
	v_fma_f64 v[119:120], v[119:120], v[22:23], v[137:138]
	v_fma_f64 v[117:118], v[117:118], v[22:23], -v[24:25]
	scratch_load_b128 v[22:25], off, off offset:496
	v_add_f64_e32 v[133:134], v[133:134], v[129:130]
	v_add_f64_e32 v[135:136], v[135:136], v[131:132]
	ds_load_b128 v[129:132], v1 offset:944
	s_wait_loadcnt_dscnt 0xa01
	v_mul_f64_e32 v[143:144], v[2:3], v[28:29]
	v_mul_f64_e32 v[28:29], v[4:5], v[28:29]
	s_wait_loadcnt_dscnt 0x900
	v_mul_f64_e32 v[137:138], v[129:130], v[32:33]
	v_mul_f64_e32 v[32:33], v[131:132], v[32:33]
	v_add_f64_e32 v[133:134], v[133:134], v[141:142]
	v_add_f64_e32 v[135:136], v[135:136], v[139:140]
	v_fma_f64 v[139:140], v[4:5], v[26:27], v[143:144]
	v_fma_f64 v[141:142], v[2:3], v[26:27], -v[28:29]
	ds_load_b128 v[2:5], v1 offset:960
	scratch_load_b128 v[26:29], off, off offset:512
	v_fma_f64 v[131:132], v[131:132], v[30:31], v[137:138]
	v_fma_f64 v[129:130], v[129:130], v[30:31], -v[32:33]
	scratch_load_b128 v[30:33], off, off offset:528
	v_add_f64_e32 v[133:134], v[133:134], v[117:118]
	v_add_f64_e32 v[135:136], v[135:136], v[119:120]
	ds_load_b128 v[117:120], v1 offset:976
	s_wait_loadcnt_dscnt 0xa01
	v_mul_f64_e32 v[143:144], v[2:3], v[36:37]
	v_mul_f64_e32 v[36:37], v[4:5], v[36:37]
	s_wait_loadcnt_dscnt 0x800
	v_mul_f64_e32 v[137:138], v[117:118], v[127:128]
	v_add_f64_e32 v[133:134], v[133:134], v[141:142]
	v_add_f64_e32 v[135:136], v[135:136], v[139:140]
	v_mul_f64_e32 v[139:140], v[119:120], v[127:128]
	v_fma_f64 v[141:142], v[4:5], v[34:35], v[143:144]
	v_fma_f64 v[143:144], v[2:3], v[34:35], -v[36:37]
	ds_load_b128 v[2:5], v1 offset:992
	scratch_load_b128 v[34:37], off, off offset:544
	v_fma_f64 v[119:120], v[119:120], v[125:126], v[137:138]
	v_add_f64_e32 v[133:134], v[133:134], v[129:130]
	v_add_f64_e32 v[131:132], v[135:136], v[131:132]
	ds_load_b128 v[127:130], v1 offset:1008
	v_fma_f64 v[125:126], v[117:118], v[125:126], -v[139:140]
	s_wait_loadcnt_dscnt 0x801
	v_mul_f64_e32 v[135:136], v[2:3], v[115:116]
	v_mul_f64_e32 v[145:146], v[4:5], v[115:116]
	scratch_load_b128 v[115:118], off, off offset:560
	s_wait_loadcnt_dscnt 0x800
	v_mul_f64_e32 v[139:140], v[127:128], v[8:9]
	v_mul_f64_e32 v[8:9], v[129:130], v[8:9]
	v_add_f64_e32 v[133:134], v[133:134], v[143:144]
	v_add_f64_e32 v[131:132], v[131:132], v[141:142]
	v_fma_f64 v[141:142], v[4:5], v[113:114], v[135:136]
	v_fma_f64 v[113:114], v[2:3], v[113:114], -v[145:146]
	ds_load_b128 v[2:5], v1 offset:1024
	ds_load_b128 v[135:138], v1 offset:1040
	v_fma_f64 v[129:130], v[129:130], v[6:7], v[139:140]
	v_fma_f64 v[127:128], v[127:128], v[6:7], -v[8:9]
	scratch_load_b128 v[6:9], off, off offset:592
	v_add_f64_e32 v[125:126], v[133:134], v[125:126]
	v_add_f64_e32 v[119:120], v[131:132], v[119:120]
	scratch_load_b128 v[131:134], off, off offset:576
	s_wait_loadcnt_dscnt 0x901
	v_mul_f64_e32 v[143:144], v[2:3], v[12:13]
	v_mul_f64_e32 v[12:13], v[4:5], v[12:13]
	v_add_f64_e32 v[113:114], v[125:126], v[113:114]
	v_add_f64_e32 v[119:120], v[119:120], v[141:142]
	s_wait_loadcnt_dscnt 0x800
	v_mul_f64_e32 v[125:126], v[135:136], v[16:17]
	v_mul_f64_e32 v[16:17], v[137:138], v[16:17]
	v_fma_f64 v[139:140], v[4:5], v[10:11], v[143:144]
	v_fma_f64 v[141:142], v[2:3], v[10:11], -v[12:13]
	ds_load_b128 v[2:5], v1 offset:1056
	ds_load_b128 v[10:13], v1 offset:1072
	v_add_f64_e32 v[113:114], v[113:114], v[127:128]
	v_add_f64_e32 v[119:120], v[119:120], v[129:130]
	s_wait_loadcnt_dscnt 0x701
	v_mul_f64_e32 v[127:128], v[2:3], v[20:21]
	v_mul_f64_e32 v[20:21], v[4:5], v[20:21]
	v_fma_f64 v[125:126], v[137:138], v[14:15], v[125:126]
	v_fma_f64 v[14:15], v[135:136], v[14:15], -v[16:17]
	v_add_f64_e32 v[16:17], v[113:114], v[141:142]
	v_add_f64_e32 v[113:114], v[119:120], v[139:140]
	s_wait_loadcnt_dscnt 0x600
	v_mul_f64_e32 v[119:120], v[10:11], v[24:25]
	v_mul_f64_e32 v[24:25], v[12:13], v[24:25]
	v_fma_f64 v[127:128], v[4:5], v[18:19], v[127:128]
	v_fma_f64 v[18:19], v[2:3], v[18:19], -v[20:21]
	v_add_f64_e32 v[20:21], v[16:17], v[14:15]
	v_add_f64_e32 v[113:114], v[113:114], v[125:126]
	ds_load_b128 v[2:5], v1 offset:1088
	ds_load_b128 v[14:17], v1 offset:1104
	v_fma_f64 v[12:13], v[12:13], v[22:23], v[119:120]
	v_fma_f64 v[10:11], v[10:11], v[22:23], -v[24:25]
	s_wait_loadcnt_dscnt 0x501
	v_mul_f64_e32 v[125:126], v[2:3], v[28:29]
	v_mul_f64_e32 v[28:29], v[4:5], v[28:29]
	s_wait_loadcnt_dscnt 0x400
	v_mul_f64_e32 v[22:23], v[14:15], v[32:33]
	v_mul_f64_e32 v[24:25], v[16:17], v[32:33]
	v_add_f64_e32 v[18:19], v[20:21], v[18:19]
	v_add_f64_e32 v[20:21], v[113:114], v[127:128]
	v_fma_f64 v[32:33], v[4:5], v[26:27], v[125:126]
	v_fma_f64 v[26:27], v[2:3], v[26:27], -v[28:29]
	v_fma_f64 v[16:17], v[16:17], v[30:31], v[22:23]
	v_fma_f64 v[14:15], v[14:15], v[30:31], -v[24:25]
	v_add_f64_e32 v[18:19], v[18:19], v[10:11]
	v_add_f64_e32 v[20:21], v[20:21], v[12:13]
	ds_load_b128 v[2:5], v1 offset:1120
	ds_load_b128 v[10:13], v1 offset:1136
	s_wait_loadcnt_dscnt 0x301
	v_mul_f64_e32 v[28:29], v[2:3], v[36:37]
	v_mul_f64_e32 v[36:37], v[4:5], v[36:37]
	s_wait_loadcnt_dscnt 0x200
	v_mul_f64_e32 v[22:23], v[10:11], v[117:118]
	v_add_f64_e32 v[18:19], v[18:19], v[26:27]
	v_add_f64_e32 v[20:21], v[20:21], v[32:33]
	v_mul_f64_e32 v[24:25], v[12:13], v[117:118]
	v_fma_f64 v[26:27], v[4:5], v[34:35], v[28:29]
	v_fma_f64 v[28:29], v[2:3], v[34:35], -v[36:37]
	v_fma_f64 v[12:13], v[12:13], v[115:116], v[22:23]
	v_add_f64_e32 v[18:19], v[18:19], v[14:15]
	v_add_f64_e32 v[20:21], v[20:21], v[16:17]
	ds_load_b128 v[2:5], v1 offset:1152
	ds_load_b128 v[14:17], v1 offset:1168
	v_fma_f64 v[10:11], v[10:11], v[115:116], -v[24:25]
	s_wait_loadcnt_dscnt 0x1
	v_mul_f64_e32 v[30:31], v[2:3], v[133:134]
	v_mul_f64_e32 v[32:33], v[4:5], v[133:134]
	s_wait_dscnt 0x0
	v_mul_f64_e32 v[22:23], v[14:15], v[8:9]
	v_mul_f64_e32 v[8:9], v[16:17], v[8:9]
	v_add_f64_e32 v[18:19], v[18:19], v[28:29]
	v_add_f64_e32 v[20:21], v[20:21], v[26:27]
	v_fma_f64 v[4:5], v[4:5], v[131:132], v[30:31]
	v_fma_f64 v[1:2], v[2:3], v[131:132], -v[32:33]
	v_fma_f64 v[16:17], v[16:17], v[6:7], v[22:23]
	v_fma_f64 v[6:7], v[14:15], v[6:7], -v[8:9]
	v_add_f64_e32 v[10:11], v[18:19], v[10:11]
	v_add_f64_e32 v[12:13], v[20:21], v[12:13]
	s_delay_alu instid0(VALU_DEP_2) | instskip(NEXT) | instid1(VALU_DEP_2)
	v_add_f64_e32 v[1:2], v[10:11], v[1:2]
	v_add_f64_e32 v[3:4], v[12:13], v[4:5]
	s_delay_alu instid0(VALU_DEP_2) | instskip(NEXT) | instid1(VALU_DEP_2)
	;; [unrolled: 3-line block ×3, first 2 shown]
	v_add_f64_e64 v[1:2], v[121:122], -v[1:2]
	v_add_f64_e64 v[3:4], v[123:124], -v[3:4]
	scratch_store_b128 off, v[1:4], off offset:240
	v_cmpx_lt_u32_e32 13, v0
	s_cbranch_execz .LBB100_209
; %bb.208:
	scratch_load_b128 v[1:4], off, s31
	v_mov_b32_e32 v5, 0
	s_delay_alu instid0(VALU_DEP_1)
	v_dual_mov_b32 v6, v5 :: v_dual_mov_b32 v7, v5
	v_mov_b32_e32 v8, v5
	scratch_store_b128 off, v[5:8], off offset:224
	s_wait_loadcnt 0x0
	ds_store_b128 v112, v[1:4]
.LBB100_209:
	s_wait_alu 0xfffe
	s_or_b32 exec_lo, exec_lo, s0
	s_wait_storecnt_dscnt 0x0
	s_barrier_signal -1
	s_barrier_wait -1
	global_inv scope:SCOPE_SE
	s_clause 0x7
	scratch_load_b128 v[2:5], off, off offset:240
	scratch_load_b128 v[6:9], off, off offset:256
	;; [unrolled: 1-line block ×8, first 2 shown]
	v_mov_b32_e32 v1, 0
	s_mov_b32 s0, exec_lo
	ds_load_b128 v[34:37], v1 offset:816
	s_clause 0x1
	scratch_load_b128 v[113:116], off, off offset:368
	scratch_load_b128 v[117:120], off, off offset:224
	ds_load_b128 v[121:124], v1 offset:832
	scratch_load_b128 v[125:128], off, off offset:384
	s_wait_loadcnt_dscnt 0xa01
	v_mul_f64_e32 v[129:130], v[36:37], v[4:5]
	v_mul_f64_e32 v[4:5], v[34:35], v[4:5]
	s_delay_alu instid0(VALU_DEP_2) | instskip(NEXT) | instid1(VALU_DEP_2)
	v_fma_f64 v[135:136], v[34:35], v[2:3], -v[129:130]
	v_fma_f64 v[137:138], v[36:37], v[2:3], v[4:5]
	ds_load_b128 v[2:5], v1 offset:848
	s_wait_loadcnt_dscnt 0x901
	v_mul_f64_e32 v[133:134], v[121:122], v[8:9]
	v_mul_f64_e32 v[8:9], v[123:124], v[8:9]
	scratch_load_b128 v[34:37], off, off offset:400
	ds_load_b128 v[129:132], v1 offset:864
	s_wait_loadcnt_dscnt 0x901
	v_mul_f64_e32 v[139:140], v[2:3], v[12:13]
	v_mul_f64_e32 v[12:13], v[4:5], v[12:13]
	v_fma_f64 v[123:124], v[123:124], v[6:7], v[133:134]
	v_fma_f64 v[121:122], v[121:122], v[6:7], -v[8:9]
	v_add_f64_e32 v[133:134], 0, v[135:136]
	v_add_f64_e32 v[135:136], 0, v[137:138]
	scratch_load_b128 v[6:9], off, off offset:416
	v_fma_f64 v[139:140], v[4:5], v[10:11], v[139:140]
	v_fma_f64 v[141:142], v[2:3], v[10:11], -v[12:13]
	ds_load_b128 v[2:5], v1 offset:880
	s_wait_loadcnt_dscnt 0x901
	v_mul_f64_e32 v[137:138], v[129:130], v[16:17]
	v_mul_f64_e32 v[16:17], v[131:132], v[16:17]
	scratch_load_b128 v[10:13], off, off offset:432
	v_add_f64_e32 v[133:134], v[133:134], v[121:122]
	v_add_f64_e32 v[135:136], v[135:136], v[123:124]
	s_wait_loadcnt_dscnt 0x900
	v_mul_f64_e32 v[143:144], v[2:3], v[20:21]
	v_mul_f64_e32 v[20:21], v[4:5], v[20:21]
	ds_load_b128 v[121:124], v1 offset:896
	v_fma_f64 v[131:132], v[131:132], v[14:15], v[137:138]
	v_fma_f64 v[129:130], v[129:130], v[14:15], -v[16:17]
	scratch_load_b128 v[14:17], off, off offset:448
	v_add_f64_e32 v[133:134], v[133:134], v[141:142]
	v_add_f64_e32 v[135:136], v[135:136], v[139:140]
	v_fma_f64 v[139:140], v[4:5], v[18:19], v[143:144]
	v_fma_f64 v[141:142], v[2:3], v[18:19], -v[20:21]
	ds_load_b128 v[2:5], v1 offset:912
	s_wait_loadcnt_dscnt 0x901
	v_mul_f64_e32 v[137:138], v[121:122], v[24:25]
	v_mul_f64_e32 v[24:25], v[123:124], v[24:25]
	scratch_load_b128 v[18:21], off, off offset:464
	s_wait_loadcnt_dscnt 0x900
	v_mul_f64_e32 v[143:144], v[2:3], v[28:29]
	v_mul_f64_e32 v[28:29], v[4:5], v[28:29]
	v_add_f64_e32 v[133:134], v[133:134], v[129:130]
	v_add_f64_e32 v[135:136], v[135:136], v[131:132]
	ds_load_b128 v[129:132], v1 offset:928
	v_fma_f64 v[123:124], v[123:124], v[22:23], v[137:138]
	v_fma_f64 v[121:122], v[121:122], v[22:23], -v[24:25]
	scratch_load_b128 v[22:25], off, off offset:480
	v_add_f64_e32 v[133:134], v[133:134], v[141:142]
	v_add_f64_e32 v[135:136], v[135:136], v[139:140]
	v_fma_f64 v[139:140], v[4:5], v[26:27], v[143:144]
	v_fma_f64 v[141:142], v[2:3], v[26:27], -v[28:29]
	ds_load_b128 v[2:5], v1 offset:944
	s_wait_loadcnt_dscnt 0x901
	v_mul_f64_e32 v[137:138], v[129:130], v[32:33]
	v_mul_f64_e32 v[32:33], v[131:132], v[32:33]
	scratch_load_b128 v[26:29], off, off offset:496
	s_wait_loadcnt_dscnt 0x900
	v_mul_f64_e32 v[143:144], v[2:3], v[115:116]
	v_mul_f64_e32 v[115:116], v[4:5], v[115:116]
	v_add_f64_e32 v[133:134], v[133:134], v[121:122]
	v_add_f64_e32 v[135:136], v[135:136], v[123:124]
	ds_load_b128 v[121:124], v1 offset:960
	v_fma_f64 v[131:132], v[131:132], v[30:31], v[137:138]
	v_fma_f64 v[129:130], v[129:130], v[30:31], -v[32:33]
	scratch_load_b128 v[30:33], off, off offset:512
	v_add_f64_e32 v[133:134], v[133:134], v[141:142]
	v_add_f64_e32 v[135:136], v[135:136], v[139:140]
	v_fma_f64 v[141:142], v[4:5], v[113:114], v[143:144]
	v_fma_f64 v[143:144], v[2:3], v[113:114], -v[115:116]
	ds_load_b128 v[2:5], v1 offset:976
	s_wait_loadcnt_dscnt 0x801
	v_mul_f64_e32 v[137:138], v[121:122], v[127:128]
	v_mul_f64_e32 v[139:140], v[123:124], v[127:128]
	scratch_load_b128 v[113:116], off, off offset:528
	v_add_f64_e32 v[133:134], v[133:134], v[129:130]
	v_add_f64_e32 v[131:132], v[135:136], v[131:132]
	ds_load_b128 v[127:130], v1 offset:992
	v_fma_f64 v[137:138], v[123:124], v[125:126], v[137:138]
	v_fma_f64 v[125:126], v[121:122], v[125:126], -v[139:140]
	scratch_load_b128 v[121:124], off, off offset:544
	s_wait_loadcnt_dscnt 0x901
	v_mul_f64_e32 v[135:136], v[2:3], v[36:37]
	v_mul_f64_e32 v[36:37], v[4:5], v[36:37]
	v_add_f64_e32 v[133:134], v[133:134], v[143:144]
	v_add_f64_e32 v[131:132], v[131:132], v[141:142]
	s_delay_alu instid0(VALU_DEP_4) | instskip(NEXT) | instid1(VALU_DEP_4)
	v_fma_f64 v[135:136], v[4:5], v[34:35], v[135:136]
	v_fma_f64 v[141:142], v[2:3], v[34:35], -v[36:37]
	ds_load_b128 v[2:5], v1 offset:1008
	s_wait_loadcnt_dscnt 0x801
	v_mul_f64_e32 v[139:140], v[127:128], v[8:9]
	v_mul_f64_e32 v[8:9], v[129:130], v[8:9]
	scratch_load_b128 v[34:37], off, off offset:560
	s_wait_loadcnt_dscnt 0x800
	v_mul_f64_e32 v[143:144], v[2:3], v[12:13]
	v_add_f64_e32 v[125:126], v[133:134], v[125:126]
	v_add_f64_e32 v[137:138], v[131:132], v[137:138]
	v_mul_f64_e32 v[12:13], v[4:5], v[12:13]
	ds_load_b128 v[131:134], v1 offset:1024
	v_fma_f64 v[129:130], v[129:130], v[6:7], v[139:140]
	v_fma_f64 v[127:128], v[127:128], v[6:7], -v[8:9]
	scratch_load_b128 v[6:9], off, off offset:576
	v_fma_f64 v[139:140], v[4:5], v[10:11], v[143:144]
	v_add_f64_e32 v[125:126], v[125:126], v[141:142]
	v_add_f64_e32 v[135:136], v[137:138], v[135:136]
	v_fma_f64 v[141:142], v[2:3], v[10:11], -v[12:13]
	ds_load_b128 v[2:5], v1 offset:1040
	s_wait_loadcnt_dscnt 0x801
	v_mul_f64_e32 v[137:138], v[131:132], v[16:17]
	v_mul_f64_e32 v[16:17], v[133:134], v[16:17]
	scratch_load_b128 v[10:13], off, off offset:592
	v_add_f64_e32 v[143:144], v[125:126], v[127:128]
	v_add_f64_e32 v[129:130], v[135:136], v[129:130]
	s_wait_loadcnt_dscnt 0x800
	v_mul_f64_e32 v[135:136], v[2:3], v[20:21]
	v_mul_f64_e32 v[20:21], v[4:5], v[20:21]
	v_fma_f64 v[133:134], v[133:134], v[14:15], v[137:138]
	v_fma_f64 v[14:15], v[131:132], v[14:15], -v[16:17]
	ds_load_b128 v[125:128], v1 offset:1056
	s_wait_loadcnt_dscnt 0x700
	v_mul_f64_e32 v[131:132], v[125:126], v[24:25]
	v_mul_f64_e32 v[24:25], v[127:128], v[24:25]
	v_add_f64_e32 v[16:17], v[143:144], v[141:142]
	v_add_f64_e32 v[129:130], v[129:130], v[139:140]
	v_fma_f64 v[135:136], v[4:5], v[18:19], v[135:136]
	v_fma_f64 v[18:19], v[2:3], v[18:19], -v[20:21]
	v_fma_f64 v[127:128], v[127:128], v[22:23], v[131:132]
	v_fma_f64 v[22:23], v[125:126], v[22:23], -v[24:25]
	v_add_f64_e32 v[20:21], v[16:17], v[14:15]
	v_add_f64_e32 v[129:130], v[129:130], v[133:134]
	ds_load_b128 v[2:5], v1 offset:1072
	ds_load_b128 v[14:17], v1 offset:1088
	s_wait_loadcnt_dscnt 0x601
	v_mul_f64_e32 v[133:134], v[2:3], v[28:29]
	v_mul_f64_e32 v[28:29], v[4:5], v[28:29]
	s_wait_loadcnt_dscnt 0x500
	v_mul_f64_e32 v[24:25], v[14:15], v[32:33]
	v_mul_f64_e32 v[32:33], v[16:17], v[32:33]
	v_add_f64_e32 v[18:19], v[20:21], v[18:19]
	v_add_f64_e32 v[20:21], v[129:130], v[135:136]
	v_fma_f64 v[125:126], v[4:5], v[26:27], v[133:134]
	v_fma_f64 v[26:27], v[2:3], v[26:27], -v[28:29]
	v_fma_f64 v[16:17], v[16:17], v[30:31], v[24:25]
	v_fma_f64 v[14:15], v[14:15], v[30:31], -v[32:33]
	v_add_f64_e32 v[22:23], v[18:19], v[22:23]
	v_add_f64_e32 v[28:29], v[20:21], v[127:128]
	ds_load_b128 v[2:5], v1 offset:1104
	ds_load_b128 v[18:21], v1 offset:1120
	s_wait_loadcnt_dscnt 0x401
	v_mul_f64_e32 v[127:128], v[2:3], v[115:116]
	v_mul_f64_e32 v[115:116], v[4:5], v[115:116]
	v_add_f64_e32 v[22:23], v[22:23], v[26:27]
	v_add_f64_e32 v[24:25], v[28:29], v[125:126]
	s_wait_loadcnt_dscnt 0x300
	v_mul_f64_e32 v[26:27], v[18:19], v[123:124]
	v_mul_f64_e32 v[28:29], v[20:21], v[123:124]
	v_fma_f64 v[30:31], v[4:5], v[113:114], v[127:128]
	v_fma_f64 v[32:33], v[2:3], v[113:114], -v[115:116]
	v_add_f64_e32 v[22:23], v[22:23], v[14:15]
	v_add_f64_e32 v[24:25], v[24:25], v[16:17]
	ds_load_b128 v[2:5], v1 offset:1136
	ds_load_b128 v[14:17], v1 offset:1152
	v_fma_f64 v[20:21], v[20:21], v[121:122], v[26:27]
	v_fma_f64 v[18:19], v[18:19], v[121:122], -v[28:29]
	s_wait_loadcnt_dscnt 0x201
	v_mul_f64_e32 v[113:114], v[2:3], v[36:37]
	v_mul_f64_e32 v[36:37], v[4:5], v[36:37]
	s_wait_loadcnt_dscnt 0x100
	v_mul_f64_e32 v[26:27], v[14:15], v[8:9]
	v_mul_f64_e32 v[8:9], v[16:17], v[8:9]
	v_add_f64_e32 v[22:23], v[22:23], v[32:33]
	v_add_f64_e32 v[24:25], v[24:25], v[30:31]
	v_fma_f64 v[28:29], v[4:5], v[34:35], v[113:114]
	v_fma_f64 v[30:31], v[2:3], v[34:35], -v[36:37]
	ds_load_b128 v[2:5], v1 offset:1168
	v_fma_f64 v[16:17], v[16:17], v[6:7], v[26:27]
	v_fma_f64 v[6:7], v[14:15], v[6:7], -v[8:9]
	v_add_f64_e32 v[18:19], v[22:23], v[18:19]
	v_add_f64_e32 v[20:21], v[24:25], v[20:21]
	s_wait_loadcnt_dscnt 0x0
	v_mul_f64_e32 v[22:23], v[2:3], v[12:13]
	v_mul_f64_e32 v[12:13], v[4:5], v[12:13]
	s_delay_alu instid0(VALU_DEP_4) | instskip(NEXT) | instid1(VALU_DEP_4)
	v_add_f64_e32 v[8:9], v[18:19], v[30:31]
	v_add_f64_e32 v[14:15], v[20:21], v[28:29]
	s_delay_alu instid0(VALU_DEP_4) | instskip(NEXT) | instid1(VALU_DEP_4)
	v_fma_f64 v[4:5], v[4:5], v[10:11], v[22:23]
	v_fma_f64 v[2:3], v[2:3], v[10:11], -v[12:13]
	s_delay_alu instid0(VALU_DEP_4) | instskip(NEXT) | instid1(VALU_DEP_4)
	v_add_f64_e32 v[6:7], v[8:9], v[6:7]
	v_add_f64_e32 v[8:9], v[14:15], v[16:17]
	s_delay_alu instid0(VALU_DEP_2) | instskip(NEXT) | instid1(VALU_DEP_2)
	v_add_f64_e32 v[2:3], v[6:7], v[2:3]
	v_add_f64_e32 v[4:5], v[8:9], v[4:5]
	s_delay_alu instid0(VALU_DEP_2) | instskip(NEXT) | instid1(VALU_DEP_2)
	v_add_f64_e64 v[2:3], v[117:118], -v[2:3]
	v_add_f64_e64 v[4:5], v[119:120], -v[4:5]
	scratch_store_b128 off, v[2:5], off offset:224
	v_cmpx_lt_u32_e32 12, v0
	s_cbranch_execz .LBB100_211
; %bb.210:
	scratch_load_b128 v[5:8], off, s13
	v_dual_mov_b32 v2, v1 :: v_dual_mov_b32 v3, v1
	v_mov_b32_e32 v4, v1
	scratch_store_b128 off, v[1:4], off offset:208
	s_wait_loadcnt 0x0
	ds_store_b128 v112, v[5:8]
.LBB100_211:
	s_wait_alu 0xfffe
	s_or_b32 exec_lo, exec_lo, s0
	s_wait_storecnt_dscnt 0x0
	s_barrier_signal -1
	s_barrier_wait -1
	global_inv scope:SCOPE_SE
	s_clause 0x8
	scratch_load_b128 v[2:5], off, off offset:224
	scratch_load_b128 v[6:9], off, off offset:240
	;; [unrolled: 1-line block ×9, first 2 shown]
	ds_load_b128 v[113:116], v1 offset:800
	ds_load_b128 v[117:120], v1 offset:816
	s_clause 0x1
	scratch_load_b128 v[121:124], off, off offset:208
	scratch_load_b128 v[125:128], off, off offset:368
	s_mov_b32 s0, exec_lo
	s_wait_loadcnt_dscnt 0xa01
	v_mul_f64_e32 v[129:130], v[115:116], v[4:5]
	v_mul_f64_e32 v[4:5], v[113:114], v[4:5]
	s_wait_loadcnt_dscnt 0x900
	v_mul_f64_e32 v[133:134], v[117:118], v[8:9]
	v_mul_f64_e32 v[8:9], v[119:120], v[8:9]
	s_delay_alu instid0(VALU_DEP_4) | instskip(NEXT) | instid1(VALU_DEP_4)
	v_fma_f64 v[135:136], v[113:114], v[2:3], -v[129:130]
	v_fma_f64 v[137:138], v[115:116], v[2:3], v[4:5]
	ds_load_b128 v[2:5], v1 offset:832
	ds_load_b128 v[129:132], v1 offset:848
	scratch_load_b128 v[113:116], off, off offset:384
	v_fma_f64 v[119:120], v[119:120], v[6:7], v[133:134]
	v_fma_f64 v[117:118], v[117:118], v[6:7], -v[8:9]
	scratch_load_b128 v[6:9], off, off offset:400
	s_wait_loadcnt_dscnt 0xa01
	v_mul_f64_e32 v[139:140], v[2:3], v[12:13]
	v_mul_f64_e32 v[12:13], v[4:5], v[12:13]
	v_add_f64_e32 v[133:134], 0, v[135:136]
	v_add_f64_e32 v[135:136], 0, v[137:138]
	s_wait_loadcnt_dscnt 0x900
	v_mul_f64_e32 v[137:138], v[129:130], v[16:17]
	v_mul_f64_e32 v[16:17], v[131:132], v[16:17]
	v_fma_f64 v[139:140], v[4:5], v[10:11], v[139:140]
	v_fma_f64 v[141:142], v[2:3], v[10:11], -v[12:13]
	ds_load_b128 v[2:5], v1 offset:864
	scratch_load_b128 v[10:13], off, off offset:416
	v_add_f64_e32 v[133:134], v[133:134], v[117:118]
	v_add_f64_e32 v[135:136], v[135:136], v[119:120]
	ds_load_b128 v[117:120], v1 offset:880
	v_fma_f64 v[131:132], v[131:132], v[14:15], v[137:138]
	v_fma_f64 v[129:130], v[129:130], v[14:15], -v[16:17]
	scratch_load_b128 v[14:17], off, off offset:432
	s_wait_loadcnt_dscnt 0xa01
	v_mul_f64_e32 v[143:144], v[2:3], v[20:21]
	v_mul_f64_e32 v[20:21], v[4:5], v[20:21]
	s_wait_loadcnt_dscnt 0x900
	v_mul_f64_e32 v[137:138], v[117:118], v[24:25]
	v_mul_f64_e32 v[24:25], v[119:120], v[24:25]
	v_add_f64_e32 v[133:134], v[133:134], v[141:142]
	v_add_f64_e32 v[135:136], v[135:136], v[139:140]
	v_fma_f64 v[139:140], v[4:5], v[18:19], v[143:144]
	v_fma_f64 v[141:142], v[2:3], v[18:19], -v[20:21]
	ds_load_b128 v[2:5], v1 offset:896
	scratch_load_b128 v[18:21], off, off offset:448
	v_fma_f64 v[119:120], v[119:120], v[22:23], v[137:138]
	v_fma_f64 v[117:118], v[117:118], v[22:23], -v[24:25]
	scratch_load_b128 v[22:25], off, off offset:464
	v_add_f64_e32 v[133:134], v[133:134], v[129:130]
	v_add_f64_e32 v[135:136], v[135:136], v[131:132]
	ds_load_b128 v[129:132], v1 offset:912
	s_wait_loadcnt_dscnt 0xa01
	v_mul_f64_e32 v[143:144], v[2:3], v[28:29]
	v_mul_f64_e32 v[28:29], v[4:5], v[28:29]
	s_wait_loadcnt_dscnt 0x900
	v_mul_f64_e32 v[137:138], v[129:130], v[32:33]
	v_mul_f64_e32 v[32:33], v[131:132], v[32:33]
	v_add_f64_e32 v[133:134], v[133:134], v[141:142]
	v_add_f64_e32 v[135:136], v[135:136], v[139:140]
	v_fma_f64 v[139:140], v[4:5], v[26:27], v[143:144]
	v_fma_f64 v[141:142], v[2:3], v[26:27], -v[28:29]
	ds_load_b128 v[2:5], v1 offset:928
	scratch_load_b128 v[26:29], off, off offset:480
	v_fma_f64 v[131:132], v[131:132], v[30:31], v[137:138]
	v_fma_f64 v[129:130], v[129:130], v[30:31], -v[32:33]
	scratch_load_b128 v[30:33], off, off offset:496
	v_add_f64_e32 v[133:134], v[133:134], v[117:118]
	v_add_f64_e32 v[135:136], v[135:136], v[119:120]
	ds_load_b128 v[117:120], v1 offset:944
	s_wait_loadcnt_dscnt 0xa01
	v_mul_f64_e32 v[143:144], v[2:3], v[36:37]
	v_mul_f64_e32 v[36:37], v[4:5], v[36:37]
	s_wait_loadcnt_dscnt 0x800
	v_mul_f64_e32 v[137:138], v[117:118], v[127:128]
	v_add_f64_e32 v[133:134], v[133:134], v[141:142]
	v_add_f64_e32 v[135:136], v[135:136], v[139:140]
	v_mul_f64_e32 v[139:140], v[119:120], v[127:128]
	v_fma_f64 v[141:142], v[4:5], v[34:35], v[143:144]
	v_fma_f64 v[143:144], v[2:3], v[34:35], -v[36:37]
	ds_load_b128 v[2:5], v1 offset:960
	scratch_load_b128 v[34:37], off, off offset:512
	v_fma_f64 v[119:120], v[119:120], v[125:126], v[137:138]
	v_add_f64_e32 v[133:134], v[133:134], v[129:130]
	v_add_f64_e32 v[131:132], v[135:136], v[131:132]
	ds_load_b128 v[127:130], v1 offset:976
	v_fma_f64 v[125:126], v[117:118], v[125:126], -v[139:140]
	s_wait_loadcnt_dscnt 0x801
	v_mul_f64_e32 v[135:136], v[2:3], v[115:116]
	v_mul_f64_e32 v[145:146], v[4:5], v[115:116]
	scratch_load_b128 v[115:118], off, off offset:528
	s_wait_loadcnt_dscnt 0x800
	v_mul_f64_e32 v[139:140], v[127:128], v[8:9]
	v_mul_f64_e32 v[8:9], v[129:130], v[8:9]
	v_add_f64_e32 v[133:134], v[133:134], v[143:144]
	v_add_f64_e32 v[131:132], v[131:132], v[141:142]
	v_fma_f64 v[141:142], v[4:5], v[113:114], v[135:136]
	v_fma_f64 v[113:114], v[2:3], v[113:114], -v[145:146]
	ds_load_b128 v[2:5], v1 offset:992
	ds_load_b128 v[135:138], v1 offset:1008
	v_fma_f64 v[129:130], v[129:130], v[6:7], v[139:140]
	v_fma_f64 v[127:128], v[127:128], v[6:7], -v[8:9]
	scratch_load_b128 v[6:9], off, off offset:560
	v_add_f64_e32 v[125:126], v[133:134], v[125:126]
	v_add_f64_e32 v[119:120], v[131:132], v[119:120]
	scratch_load_b128 v[131:134], off, off offset:544
	s_wait_loadcnt_dscnt 0x901
	v_mul_f64_e32 v[143:144], v[2:3], v[12:13]
	v_mul_f64_e32 v[12:13], v[4:5], v[12:13]
	s_wait_loadcnt_dscnt 0x800
	v_mul_f64_e32 v[139:140], v[135:136], v[16:17]
	v_mul_f64_e32 v[16:17], v[137:138], v[16:17]
	v_add_f64_e32 v[113:114], v[125:126], v[113:114]
	v_add_f64_e32 v[119:120], v[119:120], v[141:142]
	v_fma_f64 v[141:142], v[4:5], v[10:11], v[143:144]
	v_fma_f64 v[143:144], v[2:3], v[10:11], -v[12:13]
	ds_load_b128 v[2:5], v1 offset:1024
	scratch_load_b128 v[10:13], off, off offset:576
	v_fma_f64 v[137:138], v[137:138], v[14:15], v[139:140]
	v_fma_f64 v[135:136], v[135:136], v[14:15], -v[16:17]
	scratch_load_b128 v[14:17], off, off offset:592
	v_add_f64_e32 v[113:114], v[113:114], v[127:128]
	v_add_f64_e32 v[119:120], v[119:120], v[129:130]
	ds_load_b128 v[125:128], v1 offset:1040
	s_wait_loadcnt_dscnt 0x901
	v_mul_f64_e32 v[129:130], v[2:3], v[20:21]
	v_mul_f64_e32 v[20:21], v[4:5], v[20:21]
	s_wait_loadcnt_dscnt 0x800
	v_mul_f64_e32 v[139:140], v[125:126], v[24:25]
	v_mul_f64_e32 v[24:25], v[127:128], v[24:25]
	v_add_f64_e32 v[113:114], v[113:114], v[143:144]
	v_add_f64_e32 v[119:120], v[119:120], v[141:142]
	v_fma_f64 v[129:130], v[4:5], v[18:19], v[129:130]
	v_fma_f64 v[141:142], v[2:3], v[18:19], -v[20:21]
	ds_load_b128 v[2:5], v1 offset:1056
	ds_load_b128 v[18:21], v1 offset:1072
	v_fma_f64 v[127:128], v[127:128], v[22:23], v[139:140]
	v_fma_f64 v[22:23], v[125:126], v[22:23], -v[24:25]
	v_add_f64_e32 v[113:114], v[113:114], v[135:136]
	v_add_f64_e32 v[119:120], v[119:120], v[137:138]
	s_wait_loadcnt_dscnt 0x701
	v_mul_f64_e32 v[135:136], v[2:3], v[28:29]
	v_mul_f64_e32 v[28:29], v[4:5], v[28:29]
	s_delay_alu instid0(VALU_DEP_4) | instskip(NEXT) | instid1(VALU_DEP_4)
	v_add_f64_e32 v[24:25], v[113:114], v[141:142]
	v_add_f64_e32 v[113:114], v[119:120], v[129:130]
	s_wait_loadcnt_dscnt 0x600
	v_mul_f64_e32 v[119:120], v[18:19], v[32:33]
	v_mul_f64_e32 v[32:33], v[20:21], v[32:33]
	v_fma_f64 v[125:126], v[4:5], v[26:27], v[135:136]
	v_fma_f64 v[26:27], v[2:3], v[26:27], -v[28:29]
	v_add_f64_e32 v[28:29], v[24:25], v[22:23]
	v_add_f64_e32 v[113:114], v[113:114], v[127:128]
	ds_load_b128 v[2:5], v1 offset:1088
	ds_load_b128 v[22:25], v1 offset:1104
	v_fma_f64 v[20:21], v[20:21], v[30:31], v[119:120]
	v_fma_f64 v[18:19], v[18:19], v[30:31], -v[32:33]
	s_wait_loadcnt_dscnt 0x501
	v_mul_f64_e32 v[127:128], v[2:3], v[36:37]
	v_mul_f64_e32 v[36:37], v[4:5], v[36:37]
	s_wait_loadcnt_dscnt 0x400
	v_mul_f64_e32 v[30:31], v[22:23], v[117:118]
	v_add_f64_e32 v[26:27], v[28:29], v[26:27]
	v_add_f64_e32 v[28:29], v[113:114], v[125:126]
	v_mul_f64_e32 v[32:33], v[24:25], v[117:118]
	v_fma_f64 v[113:114], v[4:5], v[34:35], v[127:128]
	v_fma_f64 v[34:35], v[2:3], v[34:35], -v[36:37]
	v_fma_f64 v[24:25], v[24:25], v[115:116], v[30:31]
	v_add_f64_e32 v[26:27], v[26:27], v[18:19]
	v_add_f64_e32 v[28:29], v[28:29], v[20:21]
	ds_load_b128 v[2:5], v1 offset:1120
	ds_load_b128 v[18:21], v1 offset:1136
	v_fma_f64 v[22:23], v[22:23], v[115:116], -v[32:33]
	s_wait_loadcnt_dscnt 0x201
	v_mul_f64_e32 v[36:37], v[2:3], v[133:134]
	v_mul_f64_e32 v[117:118], v[4:5], v[133:134]
	s_wait_dscnt 0x0
	v_mul_f64_e32 v[30:31], v[18:19], v[8:9]
	v_mul_f64_e32 v[8:9], v[20:21], v[8:9]
	v_add_f64_e32 v[26:27], v[26:27], v[34:35]
	v_add_f64_e32 v[28:29], v[28:29], v[113:114]
	v_fma_f64 v[32:33], v[4:5], v[131:132], v[36:37]
	v_fma_f64 v[34:35], v[2:3], v[131:132], -v[117:118]
	v_fma_f64 v[20:21], v[20:21], v[6:7], v[30:31]
	v_fma_f64 v[6:7], v[18:19], v[6:7], -v[8:9]
	v_add_f64_e32 v[26:27], v[26:27], v[22:23]
	v_add_f64_e32 v[28:29], v[28:29], v[24:25]
	ds_load_b128 v[2:5], v1 offset:1152
	ds_load_b128 v[22:25], v1 offset:1168
	s_wait_loadcnt_dscnt 0x101
	v_mul_f64_e32 v[36:37], v[2:3], v[12:13]
	v_mul_f64_e32 v[12:13], v[4:5], v[12:13]
	v_add_f64_e32 v[8:9], v[26:27], v[34:35]
	v_add_f64_e32 v[18:19], v[28:29], v[32:33]
	s_wait_loadcnt_dscnt 0x0
	v_mul_f64_e32 v[26:27], v[22:23], v[16:17]
	v_mul_f64_e32 v[16:17], v[24:25], v[16:17]
	v_fma_f64 v[4:5], v[4:5], v[10:11], v[36:37]
	v_fma_f64 v[1:2], v[2:3], v[10:11], -v[12:13]
	v_add_f64_e32 v[6:7], v[8:9], v[6:7]
	v_add_f64_e32 v[8:9], v[18:19], v[20:21]
	v_fma_f64 v[10:11], v[24:25], v[14:15], v[26:27]
	v_fma_f64 v[12:13], v[22:23], v[14:15], -v[16:17]
	s_delay_alu instid0(VALU_DEP_4) | instskip(NEXT) | instid1(VALU_DEP_4)
	v_add_f64_e32 v[1:2], v[6:7], v[1:2]
	v_add_f64_e32 v[3:4], v[8:9], v[4:5]
	s_delay_alu instid0(VALU_DEP_2) | instskip(NEXT) | instid1(VALU_DEP_2)
	v_add_f64_e32 v[1:2], v[1:2], v[12:13]
	v_add_f64_e32 v[3:4], v[3:4], v[10:11]
	s_delay_alu instid0(VALU_DEP_2) | instskip(NEXT) | instid1(VALU_DEP_2)
	v_add_f64_e64 v[1:2], v[121:122], -v[1:2]
	v_add_f64_e64 v[3:4], v[123:124], -v[3:4]
	scratch_store_b128 off, v[1:4], off offset:208
	v_cmpx_lt_u32_e32 11, v0
	s_cbranch_execz .LBB100_213
; %bb.212:
	scratch_load_b128 v[1:4], off, s30
	v_mov_b32_e32 v5, 0
	s_delay_alu instid0(VALU_DEP_1)
	v_dual_mov_b32 v6, v5 :: v_dual_mov_b32 v7, v5
	v_mov_b32_e32 v8, v5
	scratch_store_b128 off, v[5:8], off offset:192
	s_wait_loadcnt 0x0
	ds_store_b128 v112, v[1:4]
.LBB100_213:
	s_wait_alu 0xfffe
	s_or_b32 exec_lo, exec_lo, s0
	s_wait_storecnt_dscnt 0x0
	s_barrier_signal -1
	s_barrier_wait -1
	global_inv scope:SCOPE_SE
	s_clause 0x7
	scratch_load_b128 v[2:5], off, off offset:208
	scratch_load_b128 v[6:9], off, off offset:224
	scratch_load_b128 v[10:13], off, off offset:240
	scratch_load_b128 v[14:17], off, off offset:256
	scratch_load_b128 v[18:21], off, off offset:272
	scratch_load_b128 v[22:25], off, off offset:288
	scratch_load_b128 v[26:29], off, off offset:304
	scratch_load_b128 v[30:33], off, off offset:320
	v_mov_b32_e32 v1, 0
	s_mov_b32 s0, exec_lo
	ds_load_b128 v[34:37], v1 offset:784
	s_clause 0x1
	scratch_load_b128 v[113:116], off, off offset:336
	scratch_load_b128 v[117:120], off, off offset:192
	ds_load_b128 v[121:124], v1 offset:800
	scratch_load_b128 v[125:128], off, off offset:352
	s_wait_loadcnt_dscnt 0xa01
	v_mul_f64_e32 v[129:130], v[36:37], v[4:5]
	v_mul_f64_e32 v[4:5], v[34:35], v[4:5]
	s_delay_alu instid0(VALU_DEP_2) | instskip(NEXT) | instid1(VALU_DEP_2)
	v_fma_f64 v[135:136], v[34:35], v[2:3], -v[129:130]
	v_fma_f64 v[137:138], v[36:37], v[2:3], v[4:5]
	ds_load_b128 v[2:5], v1 offset:816
	s_wait_loadcnt_dscnt 0x901
	v_mul_f64_e32 v[133:134], v[121:122], v[8:9]
	v_mul_f64_e32 v[8:9], v[123:124], v[8:9]
	scratch_load_b128 v[34:37], off, off offset:368
	ds_load_b128 v[129:132], v1 offset:832
	s_wait_loadcnt_dscnt 0x901
	v_mul_f64_e32 v[139:140], v[2:3], v[12:13]
	v_mul_f64_e32 v[12:13], v[4:5], v[12:13]
	v_fma_f64 v[123:124], v[123:124], v[6:7], v[133:134]
	v_fma_f64 v[121:122], v[121:122], v[6:7], -v[8:9]
	v_add_f64_e32 v[133:134], 0, v[135:136]
	v_add_f64_e32 v[135:136], 0, v[137:138]
	scratch_load_b128 v[6:9], off, off offset:384
	v_fma_f64 v[139:140], v[4:5], v[10:11], v[139:140]
	v_fma_f64 v[141:142], v[2:3], v[10:11], -v[12:13]
	ds_load_b128 v[2:5], v1 offset:848
	s_wait_loadcnt_dscnt 0x901
	v_mul_f64_e32 v[137:138], v[129:130], v[16:17]
	v_mul_f64_e32 v[16:17], v[131:132], v[16:17]
	scratch_load_b128 v[10:13], off, off offset:400
	v_add_f64_e32 v[133:134], v[133:134], v[121:122]
	v_add_f64_e32 v[135:136], v[135:136], v[123:124]
	s_wait_loadcnt_dscnt 0x900
	v_mul_f64_e32 v[143:144], v[2:3], v[20:21]
	v_mul_f64_e32 v[20:21], v[4:5], v[20:21]
	ds_load_b128 v[121:124], v1 offset:864
	v_fma_f64 v[131:132], v[131:132], v[14:15], v[137:138]
	v_fma_f64 v[129:130], v[129:130], v[14:15], -v[16:17]
	scratch_load_b128 v[14:17], off, off offset:416
	v_add_f64_e32 v[133:134], v[133:134], v[141:142]
	v_add_f64_e32 v[135:136], v[135:136], v[139:140]
	v_fma_f64 v[139:140], v[4:5], v[18:19], v[143:144]
	v_fma_f64 v[141:142], v[2:3], v[18:19], -v[20:21]
	ds_load_b128 v[2:5], v1 offset:880
	s_wait_loadcnt_dscnt 0x901
	v_mul_f64_e32 v[137:138], v[121:122], v[24:25]
	v_mul_f64_e32 v[24:25], v[123:124], v[24:25]
	scratch_load_b128 v[18:21], off, off offset:432
	s_wait_loadcnt_dscnt 0x900
	v_mul_f64_e32 v[143:144], v[2:3], v[28:29]
	v_mul_f64_e32 v[28:29], v[4:5], v[28:29]
	v_add_f64_e32 v[133:134], v[133:134], v[129:130]
	v_add_f64_e32 v[135:136], v[135:136], v[131:132]
	ds_load_b128 v[129:132], v1 offset:896
	v_fma_f64 v[123:124], v[123:124], v[22:23], v[137:138]
	v_fma_f64 v[121:122], v[121:122], v[22:23], -v[24:25]
	scratch_load_b128 v[22:25], off, off offset:448
	v_add_f64_e32 v[133:134], v[133:134], v[141:142]
	v_add_f64_e32 v[135:136], v[135:136], v[139:140]
	v_fma_f64 v[139:140], v[4:5], v[26:27], v[143:144]
	v_fma_f64 v[141:142], v[2:3], v[26:27], -v[28:29]
	ds_load_b128 v[2:5], v1 offset:912
	s_wait_loadcnt_dscnt 0x901
	v_mul_f64_e32 v[137:138], v[129:130], v[32:33]
	v_mul_f64_e32 v[32:33], v[131:132], v[32:33]
	scratch_load_b128 v[26:29], off, off offset:464
	s_wait_loadcnt_dscnt 0x900
	v_mul_f64_e32 v[143:144], v[2:3], v[115:116]
	v_mul_f64_e32 v[115:116], v[4:5], v[115:116]
	v_add_f64_e32 v[133:134], v[133:134], v[121:122]
	v_add_f64_e32 v[135:136], v[135:136], v[123:124]
	ds_load_b128 v[121:124], v1 offset:928
	v_fma_f64 v[131:132], v[131:132], v[30:31], v[137:138]
	v_fma_f64 v[129:130], v[129:130], v[30:31], -v[32:33]
	scratch_load_b128 v[30:33], off, off offset:480
	v_add_f64_e32 v[133:134], v[133:134], v[141:142]
	v_add_f64_e32 v[135:136], v[135:136], v[139:140]
	v_fma_f64 v[141:142], v[4:5], v[113:114], v[143:144]
	v_fma_f64 v[143:144], v[2:3], v[113:114], -v[115:116]
	ds_load_b128 v[2:5], v1 offset:944
	s_wait_loadcnt_dscnt 0x801
	v_mul_f64_e32 v[137:138], v[121:122], v[127:128]
	v_mul_f64_e32 v[139:140], v[123:124], v[127:128]
	scratch_load_b128 v[113:116], off, off offset:496
	v_add_f64_e32 v[133:134], v[133:134], v[129:130]
	v_add_f64_e32 v[131:132], v[135:136], v[131:132]
	ds_load_b128 v[127:130], v1 offset:960
	v_fma_f64 v[137:138], v[123:124], v[125:126], v[137:138]
	v_fma_f64 v[125:126], v[121:122], v[125:126], -v[139:140]
	scratch_load_b128 v[121:124], off, off offset:512
	s_wait_loadcnt_dscnt 0x901
	v_mul_f64_e32 v[135:136], v[2:3], v[36:37]
	v_mul_f64_e32 v[36:37], v[4:5], v[36:37]
	v_add_f64_e32 v[133:134], v[133:134], v[143:144]
	v_add_f64_e32 v[131:132], v[131:132], v[141:142]
	s_delay_alu instid0(VALU_DEP_4) | instskip(NEXT) | instid1(VALU_DEP_4)
	v_fma_f64 v[135:136], v[4:5], v[34:35], v[135:136]
	v_fma_f64 v[141:142], v[2:3], v[34:35], -v[36:37]
	ds_load_b128 v[2:5], v1 offset:976
	s_wait_loadcnt_dscnt 0x801
	v_mul_f64_e32 v[139:140], v[127:128], v[8:9]
	v_mul_f64_e32 v[8:9], v[129:130], v[8:9]
	scratch_load_b128 v[34:37], off, off offset:528
	s_wait_loadcnt_dscnt 0x800
	v_mul_f64_e32 v[143:144], v[2:3], v[12:13]
	v_add_f64_e32 v[125:126], v[133:134], v[125:126]
	v_add_f64_e32 v[137:138], v[131:132], v[137:138]
	v_mul_f64_e32 v[12:13], v[4:5], v[12:13]
	ds_load_b128 v[131:134], v1 offset:992
	v_fma_f64 v[129:130], v[129:130], v[6:7], v[139:140]
	v_fma_f64 v[127:128], v[127:128], v[6:7], -v[8:9]
	scratch_load_b128 v[6:9], off, off offset:544
	v_fma_f64 v[139:140], v[4:5], v[10:11], v[143:144]
	v_add_f64_e32 v[125:126], v[125:126], v[141:142]
	v_add_f64_e32 v[135:136], v[137:138], v[135:136]
	v_fma_f64 v[141:142], v[2:3], v[10:11], -v[12:13]
	ds_load_b128 v[2:5], v1 offset:1008
	s_wait_loadcnt_dscnt 0x801
	v_mul_f64_e32 v[137:138], v[131:132], v[16:17]
	v_mul_f64_e32 v[16:17], v[133:134], v[16:17]
	scratch_load_b128 v[10:13], off, off offset:560
	v_add_f64_e32 v[143:144], v[125:126], v[127:128]
	v_add_f64_e32 v[129:130], v[135:136], v[129:130]
	s_wait_loadcnt_dscnt 0x800
	v_mul_f64_e32 v[135:136], v[2:3], v[20:21]
	v_mul_f64_e32 v[20:21], v[4:5], v[20:21]
	v_fma_f64 v[133:134], v[133:134], v[14:15], v[137:138]
	v_fma_f64 v[131:132], v[131:132], v[14:15], -v[16:17]
	ds_load_b128 v[125:128], v1 offset:1024
	scratch_load_b128 v[14:17], off, off offset:576
	v_add_f64_e32 v[137:138], v[143:144], v[141:142]
	v_add_f64_e32 v[129:130], v[129:130], v[139:140]
	v_fma_f64 v[135:136], v[4:5], v[18:19], v[135:136]
	v_fma_f64 v[141:142], v[2:3], v[18:19], -v[20:21]
	ds_load_b128 v[2:5], v1 offset:1040
	s_wait_loadcnt_dscnt 0x801
	v_mul_f64_e32 v[139:140], v[125:126], v[24:25]
	v_mul_f64_e32 v[24:25], v[127:128], v[24:25]
	scratch_load_b128 v[18:21], off, off offset:592
	s_wait_loadcnt_dscnt 0x800
	v_mul_f64_e32 v[143:144], v[2:3], v[28:29]
	v_mul_f64_e32 v[28:29], v[4:5], v[28:29]
	v_add_f64_e32 v[137:138], v[137:138], v[131:132]
	v_add_f64_e32 v[133:134], v[129:130], v[133:134]
	ds_load_b128 v[129:132], v1 offset:1056
	v_fma_f64 v[127:128], v[127:128], v[22:23], v[139:140]
	v_fma_f64 v[22:23], v[125:126], v[22:23], -v[24:25]
	v_add_f64_e32 v[24:25], v[137:138], v[141:142]
	v_add_f64_e32 v[125:126], v[133:134], v[135:136]
	s_wait_loadcnt_dscnt 0x700
	v_mul_f64_e32 v[133:134], v[129:130], v[32:33]
	v_mul_f64_e32 v[32:33], v[131:132], v[32:33]
	v_fma_f64 v[135:136], v[4:5], v[26:27], v[143:144]
	v_fma_f64 v[26:27], v[2:3], v[26:27], -v[28:29]
	v_add_f64_e32 v[28:29], v[24:25], v[22:23]
	v_add_f64_e32 v[125:126], v[125:126], v[127:128]
	ds_load_b128 v[2:5], v1 offset:1072
	ds_load_b128 v[22:25], v1 offset:1088
	v_fma_f64 v[131:132], v[131:132], v[30:31], v[133:134]
	v_fma_f64 v[30:31], v[129:130], v[30:31], -v[32:33]
	s_wait_loadcnt_dscnt 0x601
	v_mul_f64_e32 v[127:128], v[2:3], v[115:116]
	v_mul_f64_e32 v[115:116], v[4:5], v[115:116]
	s_wait_loadcnt_dscnt 0x500
	v_mul_f64_e32 v[32:33], v[22:23], v[123:124]
	v_mul_f64_e32 v[123:124], v[24:25], v[123:124]
	v_add_f64_e32 v[26:27], v[28:29], v[26:27]
	v_add_f64_e32 v[28:29], v[125:126], v[135:136]
	v_fma_f64 v[125:126], v[4:5], v[113:114], v[127:128]
	v_fma_f64 v[113:114], v[2:3], v[113:114], -v[115:116]
	v_fma_f64 v[24:25], v[24:25], v[121:122], v[32:33]
	v_fma_f64 v[22:23], v[22:23], v[121:122], -v[123:124]
	v_add_f64_e32 v[30:31], v[26:27], v[30:31]
	v_add_f64_e32 v[115:116], v[28:29], v[131:132]
	ds_load_b128 v[2:5], v1 offset:1104
	ds_load_b128 v[26:29], v1 offset:1120
	s_wait_loadcnt_dscnt 0x401
	v_mul_f64_e32 v[127:128], v[2:3], v[36:37]
	v_mul_f64_e32 v[36:37], v[4:5], v[36:37]
	v_add_f64_e32 v[30:31], v[30:31], v[113:114]
	v_add_f64_e32 v[32:33], v[115:116], v[125:126]
	s_wait_loadcnt_dscnt 0x300
	v_mul_f64_e32 v[113:114], v[26:27], v[8:9]
	v_mul_f64_e32 v[8:9], v[28:29], v[8:9]
	v_fma_f64 v[115:116], v[4:5], v[34:35], v[127:128]
	v_fma_f64 v[34:35], v[2:3], v[34:35], -v[36:37]
	v_add_f64_e32 v[30:31], v[30:31], v[22:23]
	v_add_f64_e32 v[32:33], v[32:33], v[24:25]
	ds_load_b128 v[2:5], v1 offset:1136
	ds_load_b128 v[22:25], v1 offset:1152
	v_fma_f64 v[28:29], v[28:29], v[6:7], v[113:114]
	v_fma_f64 v[6:7], v[26:27], v[6:7], -v[8:9]
	s_wait_loadcnt_dscnt 0x201
	v_mul_f64_e32 v[36:37], v[2:3], v[12:13]
	v_mul_f64_e32 v[12:13], v[4:5], v[12:13]
	v_add_f64_e32 v[8:9], v[30:31], v[34:35]
	v_add_f64_e32 v[26:27], v[32:33], v[115:116]
	s_wait_loadcnt_dscnt 0x100
	v_mul_f64_e32 v[30:31], v[22:23], v[16:17]
	v_mul_f64_e32 v[16:17], v[24:25], v[16:17]
	v_fma_f64 v[32:33], v[4:5], v[10:11], v[36:37]
	v_fma_f64 v[10:11], v[2:3], v[10:11], -v[12:13]
	ds_load_b128 v[2:5], v1 offset:1168
	v_add_f64_e32 v[6:7], v[8:9], v[6:7]
	v_add_f64_e32 v[8:9], v[26:27], v[28:29]
	v_fma_f64 v[24:25], v[24:25], v[14:15], v[30:31]
	v_fma_f64 v[14:15], v[22:23], v[14:15], -v[16:17]
	s_wait_loadcnt_dscnt 0x0
	v_mul_f64_e32 v[12:13], v[2:3], v[20:21]
	v_mul_f64_e32 v[20:21], v[4:5], v[20:21]
	v_add_f64_e32 v[6:7], v[6:7], v[10:11]
	v_add_f64_e32 v[8:9], v[8:9], v[32:33]
	s_delay_alu instid0(VALU_DEP_4) | instskip(NEXT) | instid1(VALU_DEP_4)
	v_fma_f64 v[4:5], v[4:5], v[18:19], v[12:13]
	v_fma_f64 v[2:3], v[2:3], v[18:19], -v[20:21]
	s_delay_alu instid0(VALU_DEP_4) | instskip(NEXT) | instid1(VALU_DEP_4)
	v_add_f64_e32 v[6:7], v[6:7], v[14:15]
	v_add_f64_e32 v[8:9], v[8:9], v[24:25]
	s_delay_alu instid0(VALU_DEP_2) | instskip(NEXT) | instid1(VALU_DEP_2)
	v_add_f64_e32 v[2:3], v[6:7], v[2:3]
	v_add_f64_e32 v[4:5], v[8:9], v[4:5]
	s_delay_alu instid0(VALU_DEP_2) | instskip(NEXT) | instid1(VALU_DEP_2)
	v_add_f64_e64 v[2:3], v[117:118], -v[2:3]
	v_add_f64_e64 v[4:5], v[119:120], -v[4:5]
	scratch_store_b128 off, v[2:5], off offset:192
	v_cmpx_lt_u32_e32 10, v0
	s_cbranch_execz .LBB100_215
; %bb.214:
	scratch_load_b128 v[5:8], off, s11
	v_dual_mov_b32 v2, v1 :: v_dual_mov_b32 v3, v1
	v_mov_b32_e32 v4, v1
	scratch_store_b128 off, v[1:4], off offset:176
	s_wait_loadcnt 0x0
	ds_store_b128 v112, v[5:8]
.LBB100_215:
	s_wait_alu 0xfffe
	s_or_b32 exec_lo, exec_lo, s0
	s_wait_storecnt_dscnt 0x0
	s_barrier_signal -1
	s_barrier_wait -1
	global_inv scope:SCOPE_SE
	s_clause 0x8
	scratch_load_b128 v[2:5], off, off offset:192
	scratch_load_b128 v[6:9], off, off offset:208
	;; [unrolled: 1-line block ×9, first 2 shown]
	ds_load_b128 v[113:116], v1 offset:768
	ds_load_b128 v[117:120], v1 offset:784
	s_clause 0x1
	scratch_load_b128 v[121:124], off, off offset:176
	scratch_load_b128 v[125:128], off, off offset:336
	s_mov_b32 s0, exec_lo
	s_wait_loadcnt_dscnt 0xa01
	v_mul_f64_e32 v[129:130], v[115:116], v[4:5]
	v_mul_f64_e32 v[4:5], v[113:114], v[4:5]
	s_wait_loadcnt_dscnt 0x900
	v_mul_f64_e32 v[133:134], v[117:118], v[8:9]
	v_mul_f64_e32 v[8:9], v[119:120], v[8:9]
	s_delay_alu instid0(VALU_DEP_4) | instskip(NEXT) | instid1(VALU_DEP_4)
	v_fma_f64 v[135:136], v[113:114], v[2:3], -v[129:130]
	v_fma_f64 v[137:138], v[115:116], v[2:3], v[4:5]
	ds_load_b128 v[2:5], v1 offset:800
	ds_load_b128 v[129:132], v1 offset:816
	scratch_load_b128 v[113:116], off, off offset:352
	v_fma_f64 v[119:120], v[119:120], v[6:7], v[133:134]
	v_fma_f64 v[117:118], v[117:118], v[6:7], -v[8:9]
	scratch_load_b128 v[6:9], off, off offset:368
	s_wait_loadcnt_dscnt 0xa01
	v_mul_f64_e32 v[139:140], v[2:3], v[12:13]
	v_mul_f64_e32 v[12:13], v[4:5], v[12:13]
	v_add_f64_e32 v[133:134], 0, v[135:136]
	v_add_f64_e32 v[135:136], 0, v[137:138]
	s_wait_loadcnt_dscnt 0x900
	v_mul_f64_e32 v[137:138], v[129:130], v[16:17]
	v_mul_f64_e32 v[16:17], v[131:132], v[16:17]
	v_fma_f64 v[139:140], v[4:5], v[10:11], v[139:140]
	v_fma_f64 v[141:142], v[2:3], v[10:11], -v[12:13]
	ds_load_b128 v[2:5], v1 offset:832
	scratch_load_b128 v[10:13], off, off offset:384
	v_add_f64_e32 v[133:134], v[133:134], v[117:118]
	v_add_f64_e32 v[135:136], v[135:136], v[119:120]
	ds_load_b128 v[117:120], v1 offset:848
	v_fma_f64 v[131:132], v[131:132], v[14:15], v[137:138]
	v_fma_f64 v[129:130], v[129:130], v[14:15], -v[16:17]
	scratch_load_b128 v[14:17], off, off offset:400
	s_wait_loadcnt_dscnt 0xa01
	v_mul_f64_e32 v[143:144], v[2:3], v[20:21]
	v_mul_f64_e32 v[20:21], v[4:5], v[20:21]
	s_wait_loadcnt_dscnt 0x900
	v_mul_f64_e32 v[137:138], v[117:118], v[24:25]
	v_mul_f64_e32 v[24:25], v[119:120], v[24:25]
	v_add_f64_e32 v[133:134], v[133:134], v[141:142]
	v_add_f64_e32 v[135:136], v[135:136], v[139:140]
	v_fma_f64 v[139:140], v[4:5], v[18:19], v[143:144]
	v_fma_f64 v[141:142], v[2:3], v[18:19], -v[20:21]
	ds_load_b128 v[2:5], v1 offset:864
	scratch_load_b128 v[18:21], off, off offset:416
	v_fma_f64 v[119:120], v[119:120], v[22:23], v[137:138]
	v_fma_f64 v[117:118], v[117:118], v[22:23], -v[24:25]
	scratch_load_b128 v[22:25], off, off offset:432
	v_add_f64_e32 v[133:134], v[133:134], v[129:130]
	v_add_f64_e32 v[135:136], v[135:136], v[131:132]
	ds_load_b128 v[129:132], v1 offset:880
	s_wait_loadcnt_dscnt 0xa01
	v_mul_f64_e32 v[143:144], v[2:3], v[28:29]
	v_mul_f64_e32 v[28:29], v[4:5], v[28:29]
	s_wait_loadcnt_dscnt 0x900
	v_mul_f64_e32 v[137:138], v[129:130], v[32:33]
	v_mul_f64_e32 v[32:33], v[131:132], v[32:33]
	v_add_f64_e32 v[133:134], v[133:134], v[141:142]
	v_add_f64_e32 v[135:136], v[135:136], v[139:140]
	v_fma_f64 v[139:140], v[4:5], v[26:27], v[143:144]
	v_fma_f64 v[141:142], v[2:3], v[26:27], -v[28:29]
	ds_load_b128 v[2:5], v1 offset:896
	scratch_load_b128 v[26:29], off, off offset:448
	v_fma_f64 v[131:132], v[131:132], v[30:31], v[137:138]
	v_fma_f64 v[129:130], v[129:130], v[30:31], -v[32:33]
	scratch_load_b128 v[30:33], off, off offset:464
	v_add_f64_e32 v[133:134], v[133:134], v[117:118]
	v_add_f64_e32 v[135:136], v[135:136], v[119:120]
	ds_load_b128 v[117:120], v1 offset:912
	s_wait_loadcnt_dscnt 0xa01
	v_mul_f64_e32 v[143:144], v[2:3], v[36:37]
	v_mul_f64_e32 v[36:37], v[4:5], v[36:37]
	s_wait_loadcnt_dscnt 0x800
	v_mul_f64_e32 v[137:138], v[117:118], v[127:128]
	v_add_f64_e32 v[133:134], v[133:134], v[141:142]
	v_add_f64_e32 v[135:136], v[135:136], v[139:140]
	v_mul_f64_e32 v[139:140], v[119:120], v[127:128]
	v_fma_f64 v[141:142], v[4:5], v[34:35], v[143:144]
	v_fma_f64 v[143:144], v[2:3], v[34:35], -v[36:37]
	ds_load_b128 v[2:5], v1 offset:928
	scratch_load_b128 v[34:37], off, off offset:480
	v_fma_f64 v[119:120], v[119:120], v[125:126], v[137:138]
	v_add_f64_e32 v[133:134], v[133:134], v[129:130]
	v_add_f64_e32 v[131:132], v[135:136], v[131:132]
	ds_load_b128 v[127:130], v1 offset:944
	v_fma_f64 v[125:126], v[117:118], v[125:126], -v[139:140]
	s_wait_loadcnt_dscnt 0x801
	v_mul_f64_e32 v[135:136], v[2:3], v[115:116]
	v_mul_f64_e32 v[145:146], v[4:5], v[115:116]
	scratch_load_b128 v[115:118], off, off offset:496
	s_wait_loadcnt_dscnt 0x800
	v_mul_f64_e32 v[139:140], v[127:128], v[8:9]
	v_mul_f64_e32 v[8:9], v[129:130], v[8:9]
	v_add_f64_e32 v[133:134], v[133:134], v[143:144]
	v_add_f64_e32 v[131:132], v[131:132], v[141:142]
	v_fma_f64 v[141:142], v[4:5], v[113:114], v[135:136]
	v_fma_f64 v[113:114], v[2:3], v[113:114], -v[145:146]
	ds_load_b128 v[2:5], v1 offset:960
	ds_load_b128 v[135:138], v1 offset:976
	v_fma_f64 v[129:130], v[129:130], v[6:7], v[139:140]
	v_fma_f64 v[127:128], v[127:128], v[6:7], -v[8:9]
	scratch_load_b128 v[6:9], off, off offset:528
	v_add_f64_e32 v[125:126], v[133:134], v[125:126]
	v_add_f64_e32 v[119:120], v[131:132], v[119:120]
	scratch_load_b128 v[131:134], off, off offset:512
	s_wait_loadcnt_dscnt 0x901
	v_mul_f64_e32 v[143:144], v[2:3], v[12:13]
	v_mul_f64_e32 v[12:13], v[4:5], v[12:13]
	s_wait_loadcnt_dscnt 0x800
	v_mul_f64_e32 v[139:140], v[135:136], v[16:17]
	v_mul_f64_e32 v[16:17], v[137:138], v[16:17]
	v_add_f64_e32 v[113:114], v[125:126], v[113:114]
	v_add_f64_e32 v[119:120], v[119:120], v[141:142]
	v_fma_f64 v[141:142], v[4:5], v[10:11], v[143:144]
	v_fma_f64 v[143:144], v[2:3], v[10:11], -v[12:13]
	ds_load_b128 v[2:5], v1 offset:992
	scratch_load_b128 v[10:13], off, off offset:544
	v_fma_f64 v[137:138], v[137:138], v[14:15], v[139:140]
	v_fma_f64 v[135:136], v[135:136], v[14:15], -v[16:17]
	scratch_load_b128 v[14:17], off, off offset:560
	v_add_f64_e32 v[113:114], v[113:114], v[127:128]
	v_add_f64_e32 v[119:120], v[119:120], v[129:130]
	ds_load_b128 v[125:128], v1 offset:1008
	s_wait_loadcnt_dscnt 0x901
	v_mul_f64_e32 v[129:130], v[2:3], v[20:21]
	v_mul_f64_e32 v[20:21], v[4:5], v[20:21]
	s_wait_loadcnt_dscnt 0x800
	v_mul_f64_e32 v[139:140], v[125:126], v[24:25]
	v_mul_f64_e32 v[24:25], v[127:128], v[24:25]
	v_add_f64_e32 v[113:114], v[113:114], v[143:144]
	v_add_f64_e32 v[119:120], v[119:120], v[141:142]
	v_fma_f64 v[129:130], v[4:5], v[18:19], v[129:130]
	v_fma_f64 v[141:142], v[2:3], v[18:19], -v[20:21]
	ds_load_b128 v[2:5], v1 offset:1024
	scratch_load_b128 v[18:21], off, off offset:576
	v_fma_f64 v[127:128], v[127:128], v[22:23], v[139:140]
	v_fma_f64 v[125:126], v[125:126], v[22:23], -v[24:25]
	scratch_load_b128 v[22:25], off, off offset:592
	v_add_f64_e32 v[113:114], v[113:114], v[135:136]
	v_add_f64_e32 v[119:120], v[119:120], v[137:138]
	ds_load_b128 v[135:138], v1 offset:1040
	s_wait_loadcnt_dscnt 0x901
	v_mul_f64_e32 v[143:144], v[2:3], v[28:29]
	v_mul_f64_e32 v[28:29], v[4:5], v[28:29]
	v_add_f64_e32 v[113:114], v[113:114], v[141:142]
	v_add_f64_e32 v[119:120], v[119:120], v[129:130]
	s_wait_loadcnt_dscnt 0x800
	v_mul_f64_e32 v[129:130], v[135:136], v[32:33]
	v_mul_f64_e32 v[32:33], v[137:138], v[32:33]
	v_fma_f64 v[139:140], v[4:5], v[26:27], v[143:144]
	v_fma_f64 v[141:142], v[2:3], v[26:27], -v[28:29]
	ds_load_b128 v[2:5], v1 offset:1056
	ds_load_b128 v[26:29], v1 offset:1072
	v_add_f64_e32 v[113:114], v[113:114], v[125:126]
	v_add_f64_e32 v[119:120], v[119:120], v[127:128]
	s_wait_loadcnt_dscnt 0x701
	v_mul_f64_e32 v[125:126], v[2:3], v[36:37]
	v_mul_f64_e32 v[36:37], v[4:5], v[36:37]
	v_fma_f64 v[127:128], v[137:138], v[30:31], v[129:130]
	v_fma_f64 v[30:31], v[135:136], v[30:31], -v[32:33]
	v_add_f64_e32 v[32:33], v[113:114], v[141:142]
	v_add_f64_e32 v[113:114], v[119:120], v[139:140]
	s_wait_loadcnt_dscnt 0x600
	v_mul_f64_e32 v[119:120], v[26:27], v[117:118]
	v_mul_f64_e32 v[117:118], v[28:29], v[117:118]
	v_fma_f64 v[125:126], v[4:5], v[34:35], v[125:126]
	v_fma_f64 v[34:35], v[2:3], v[34:35], -v[36:37]
	v_add_f64_e32 v[36:37], v[32:33], v[30:31]
	v_add_f64_e32 v[113:114], v[113:114], v[127:128]
	ds_load_b128 v[2:5], v1 offset:1088
	ds_load_b128 v[30:33], v1 offset:1104
	v_fma_f64 v[28:29], v[28:29], v[115:116], v[119:120]
	v_fma_f64 v[26:27], v[26:27], v[115:116], -v[117:118]
	s_wait_loadcnt_dscnt 0x401
	v_mul_f64_e32 v[127:128], v[2:3], v[133:134]
	v_mul_f64_e32 v[129:130], v[4:5], v[133:134]
	v_add_f64_e32 v[34:35], v[36:37], v[34:35]
	v_add_f64_e32 v[36:37], v[113:114], v[125:126]
	s_wait_dscnt 0x0
	v_mul_f64_e32 v[113:114], v[30:31], v[8:9]
	v_mul_f64_e32 v[8:9], v[32:33], v[8:9]
	v_fma_f64 v[115:116], v[4:5], v[131:132], v[127:128]
	v_fma_f64 v[117:118], v[2:3], v[131:132], -v[129:130]
	v_add_f64_e32 v[34:35], v[34:35], v[26:27]
	v_add_f64_e32 v[36:37], v[36:37], v[28:29]
	ds_load_b128 v[2:5], v1 offset:1120
	ds_load_b128 v[26:29], v1 offset:1136
	v_fma_f64 v[32:33], v[32:33], v[6:7], v[113:114]
	v_fma_f64 v[6:7], v[30:31], v[6:7], -v[8:9]
	s_wait_loadcnt_dscnt 0x301
	v_mul_f64_e32 v[119:120], v[2:3], v[12:13]
	v_mul_f64_e32 v[12:13], v[4:5], v[12:13]
	v_add_f64_e32 v[8:9], v[34:35], v[117:118]
	v_add_f64_e32 v[30:31], v[36:37], v[115:116]
	s_wait_loadcnt_dscnt 0x200
	v_mul_f64_e32 v[34:35], v[26:27], v[16:17]
	v_mul_f64_e32 v[16:17], v[28:29], v[16:17]
	v_fma_f64 v[36:37], v[4:5], v[10:11], v[119:120]
	v_fma_f64 v[10:11], v[2:3], v[10:11], -v[12:13]
	v_add_f64_e32 v[12:13], v[8:9], v[6:7]
	v_add_f64_e32 v[30:31], v[30:31], v[32:33]
	ds_load_b128 v[2:5], v1 offset:1152
	ds_load_b128 v[6:9], v1 offset:1168
	v_fma_f64 v[28:29], v[28:29], v[14:15], v[34:35]
	v_fma_f64 v[14:15], v[26:27], v[14:15], -v[16:17]
	s_wait_loadcnt_dscnt 0x101
	v_mul_f64_e32 v[32:33], v[2:3], v[20:21]
	v_mul_f64_e32 v[20:21], v[4:5], v[20:21]
	s_wait_loadcnt_dscnt 0x0
	v_mul_f64_e32 v[16:17], v[6:7], v[24:25]
	v_mul_f64_e32 v[24:25], v[8:9], v[24:25]
	v_add_f64_e32 v[10:11], v[12:13], v[10:11]
	v_add_f64_e32 v[12:13], v[30:31], v[36:37]
	v_fma_f64 v[4:5], v[4:5], v[18:19], v[32:33]
	v_fma_f64 v[1:2], v[2:3], v[18:19], -v[20:21]
	v_fma_f64 v[8:9], v[8:9], v[22:23], v[16:17]
	v_fma_f64 v[6:7], v[6:7], v[22:23], -v[24:25]
	v_add_f64_e32 v[10:11], v[10:11], v[14:15]
	v_add_f64_e32 v[12:13], v[12:13], v[28:29]
	s_delay_alu instid0(VALU_DEP_2) | instskip(NEXT) | instid1(VALU_DEP_2)
	v_add_f64_e32 v[1:2], v[10:11], v[1:2]
	v_add_f64_e32 v[3:4], v[12:13], v[4:5]
	s_delay_alu instid0(VALU_DEP_2) | instskip(NEXT) | instid1(VALU_DEP_2)
	;; [unrolled: 3-line block ×3, first 2 shown]
	v_add_f64_e64 v[1:2], v[121:122], -v[1:2]
	v_add_f64_e64 v[3:4], v[123:124], -v[3:4]
	scratch_store_b128 off, v[1:4], off offset:176
	v_cmpx_lt_u32_e32 9, v0
	s_cbranch_execz .LBB100_217
; %bb.216:
	scratch_load_b128 v[1:4], off, s29
	v_mov_b32_e32 v5, 0
	s_delay_alu instid0(VALU_DEP_1)
	v_dual_mov_b32 v6, v5 :: v_dual_mov_b32 v7, v5
	v_mov_b32_e32 v8, v5
	scratch_store_b128 off, v[5:8], off offset:160
	s_wait_loadcnt 0x0
	ds_store_b128 v112, v[1:4]
.LBB100_217:
	s_wait_alu 0xfffe
	s_or_b32 exec_lo, exec_lo, s0
	s_wait_storecnt_dscnt 0x0
	s_barrier_signal -1
	s_barrier_wait -1
	global_inv scope:SCOPE_SE
	s_clause 0x7
	scratch_load_b128 v[2:5], off, off offset:176
	scratch_load_b128 v[6:9], off, off offset:192
	;; [unrolled: 1-line block ×8, first 2 shown]
	v_mov_b32_e32 v1, 0
	s_mov_b32 s0, exec_lo
	ds_load_b128 v[34:37], v1 offset:752
	s_clause 0x1
	scratch_load_b128 v[113:116], off, off offset:304
	scratch_load_b128 v[117:120], off, off offset:160
	ds_load_b128 v[121:124], v1 offset:768
	scratch_load_b128 v[125:128], off, off offset:320
	s_wait_loadcnt_dscnt 0xa01
	v_mul_f64_e32 v[129:130], v[36:37], v[4:5]
	v_mul_f64_e32 v[4:5], v[34:35], v[4:5]
	s_delay_alu instid0(VALU_DEP_2) | instskip(NEXT) | instid1(VALU_DEP_2)
	v_fma_f64 v[135:136], v[34:35], v[2:3], -v[129:130]
	v_fma_f64 v[137:138], v[36:37], v[2:3], v[4:5]
	ds_load_b128 v[2:5], v1 offset:784
	s_wait_loadcnt_dscnt 0x901
	v_mul_f64_e32 v[133:134], v[121:122], v[8:9]
	v_mul_f64_e32 v[8:9], v[123:124], v[8:9]
	scratch_load_b128 v[34:37], off, off offset:336
	ds_load_b128 v[129:132], v1 offset:800
	s_wait_loadcnt_dscnt 0x901
	v_mul_f64_e32 v[139:140], v[2:3], v[12:13]
	v_mul_f64_e32 v[12:13], v[4:5], v[12:13]
	v_fma_f64 v[123:124], v[123:124], v[6:7], v[133:134]
	v_fma_f64 v[121:122], v[121:122], v[6:7], -v[8:9]
	v_add_f64_e32 v[133:134], 0, v[135:136]
	v_add_f64_e32 v[135:136], 0, v[137:138]
	scratch_load_b128 v[6:9], off, off offset:352
	v_fma_f64 v[139:140], v[4:5], v[10:11], v[139:140]
	v_fma_f64 v[141:142], v[2:3], v[10:11], -v[12:13]
	ds_load_b128 v[2:5], v1 offset:816
	s_wait_loadcnt_dscnt 0x901
	v_mul_f64_e32 v[137:138], v[129:130], v[16:17]
	v_mul_f64_e32 v[16:17], v[131:132], v[16:17]
	scratch_load_b128 v[10:13], off, off offset:368
	v_add_f64_e32 v[133:134], v[133:134], v[121:122]
	v_add_f64_e32 v[135:136], v[135:136], v[123:124]
	s_wait_loadcnt_dscnt 0x900
	v_mul_f64_e32 v[143:144], v[2:3], v[20:21]
	v_mul_f64_e32 v[20:21], v[4:5], v[20:21]
	ds_load_b128 v[121:124], v1 offset:832
	v_fma_f64 v[131:132], v[131:132], v[14:15], v[137:138]
	v_fma_f64 v[129:130], v[129:130], v[14:15], -v[16:17]
	scratch_load_b128 v[14:17], off, off offset:384
	v_add_f64_e32 v[133:134], v[133:134], v[141:142]
	v_add_f64_e32 v[135:136], v[135:136], v[139:140]
	v_fma_f64 v[139:140], v[4:5], v[18:19], v[143:144]
	v_fma_f64 v[141:142], v[2:3], v[18:19], -v[20:21]
	ds_load_b128 v[2:5], v1 offset:848
	s_wait_loadcnt_dscnt 0x901
	v_mul_f64_e32 v[137:138], v[121:122], v[24:25]
	v_mul_f64_e32 v[24:25], v[123:124], v[24:25]
	scratch_load_b128 v[18:21], off, off offset:400
	s_wait_loadcnt_dscnt 0x900
	v_mul_f64_e32 v[143:144], v[2:3], v[28:29]
	v_mul_f64_e32 v[28:29], v[4:5], v[28:29]
	v_add_f64_e32 v[133:134], v[133:134], v[129:130]
	v_add_f64_e32 v[135:136], v[135:136], v[131:132]
	ds_load_b128 v[129:132], v1 offset:864
	v_fma_f64 v[123:124], v[123:124], v[22:23], v[137:138]
	v_fma_f64 v[121:122], v[121:122], v[22:23], -v[24:25]
	scratch_load_b128 v[22:25], off, off offset:416
	v_add_f64_e32 v[133:134], v[133:134], v[141:142]
	v_add_f64_e32 v[135:136], v[135:136], v[139:140]
	v_fma_f64 v[139:140], v[4:5], v[26:27], v[143:144]
	v_fma_f64 v[141:142], v[2:3], v[26:27], -v[28:29]
	ds_load_b128 v[2:5], v1 offset:880
	s_wait_loadcnt_dscnt 0x901
	v_mul_f64_e32 v[137:138], v[129:130], v[32:33]
	v_mul_f64_e32 v[32:33], v[131:132], v[32:33]
	scratch_load_b128 v[26:29], off, off offset:432
	s_wait_loadcnt_dscnt 0x900
	v_mul_f64_e32 v[143:144], v[2:3], v[115:116]
	v_mul_f64_e32 v[115:116], v[4:5], v[115:116]
	v_add_f64_e32 v[133:134], v[133:134], v[121:122]
	v_add_f64_e32 v[135:136], v[135:136], v[123:124]
	ds_load_b128 v[121:124], v1 offset:896
	v_fma_f64 v[131:132], v[131:132], v[30:31], v[137:138]
	v_fma_f64 v[129:130], v[129:130], v[30:31], -v[32:33]
	scratch_load_b128 v[30:33], off, off offset:448
	v_add_f64_e32 v[133:134], v[133:134], v[141:142]
	v_add_f64_e32 v[135:136], v[135:136], v[139:140]
	v_fma_f64 v[141:142], v[4:5], v[113:114], v[143:144]
	v_fma_f64 v[143:144], v[2:3], v[113:114], -v[115:116]
	ds_load_b128 v[2:5], v1 offset:912
	s_wait_loadcnt_dscnt 0x801
	v_mul_f64_e32 v[137:138], v[121:122], v[127:128]
	v_mul_f64_e32 v[139:140], v[123:124], v[127:128]
	scratch_load_b128 v[113:116], off, off offset:464
	v_add_f64_e32 v[133:134], v[133:134], v[129:130]
	v_add_f64_e32 v[131:132], v[135:136], v[131:132]
	ds_load_b128 v[127:130], v1 offset:928
	v_fma_f64 v[137:138], v[123:124], v[125:126], v[137:138]
	v_fma_f64 v[125:126], v[121:122], v[125:126], -v[139:140]
	scratch_load_b128 v[121:124], off, off offset:480
	s_wait_loadcnt_dscnt 0x901
	v_mul_f64_e32 v[135:136], v[2:3], v[36:37]
	v_mul_f64_e32 v[36:37], v[4:5], v[36:37]
	v_add_f64_e32 v[133:134], v[133:134], v[143:144]
	v_add_f64_e32 v[131:132], v[131:132], v[141:142]
	s_delay_alu instid0(VALU_DEP_4) | instskip(NEXT) | instid1(VALU_DEP_4)
	v_fma_f64 v[135:136], v[4:5], v[34:35], v[135:136]
	v_fma_f64 v[141:142], v[2:3], v[34:35], -v[36:37]
	ds_load_b128 v[2:5], v1 offset:944
	s_wait_loadcnt_dscnt 0x801
	v_mul_f64_e32 v[139:140], v[127:128], v[8:9]
	v_mul_f64_e32 v[8:9], v[129:130], v[8:9]
	scratch_load_b128 v[34:37], off, off offset:496
	s_wait_loadcnt_dscnt 0x800
	v_mul_f64_e32 v[143:144], v[2:3], v[12:13]
	v_add_f64_e32 v[125:126], v[133:134], v[125:126]
	v_add_f64_e32 v[137:138], v[131:132], v[137:138]
	v_mul_f64_e32 v[12:13], v[4:5], v[12:13]
	ds_load_b128 v[131:134], v1 offset:960
	v_fma_f64 v[129:130], v[129:130], v[6:7], v[139:140]
	v_fma_f64 v[127:128], v[127:128], v[6:7], -v[8:9]
	scratch_load_b128 v[6:9], off, off offset:512
	v_fma_f64 v[139:140], v[4:5], v[10:11], v[143:144]
	v_add_f64_e32 v[125:126], v[125:126], v[141:142]
	v_add_f64_e32 v[135:136], v[137:138], v[135:136]
	v_fma_f64 v[141:142], v[2:3], v[10:11], -v[12:13]
	ds_load_b128 v[2:5], v1 offset:976
	s_wait_loadcnt_dscnt 0x801
	v_mul_f64_e32 v[137:138], v[131:132], v[16:17]
	v_mul_f64_e32 v[16:17], v[133:134], v[16:17]
	scratch_load_b128 v[10:13], off, off offset:528
	v_add_f64_e32 v[143:144], v[125:126], v[127:128]
	v_add_f64_e32 v[129:130], v[135:136], v[129:130]
	s_wait_loadcnt_dscnt 0x800
	v_mul_f64_e32 v[135:136], v[2:3], v[20:21]
	v_mul_f64_e32 v[20:21], v[4:5], v[20:21]
	v_fma_f64 v[133:134], v[133:134], v[14:15], v[137:138]
	v_fma_f64 v[131:132], v[131:132], v[14:15], -v[16:17]
	ds_load_b128 v[125:128], v1 offset:992
	scratch_load_b128 v[14:17], off, off offset:544
	v_add_f64_e32 v[137:138], v[143:144], v[141:142]
	v_add_f64_e32 v[129:130], v[129:130], v[139:140]
	v_fma_f64 v[135:136], v[4:5], v[18:19], v[135:136]
	v_fma_f64 v[141:142], v[2:3], v[18:19], -v[20:21]
	ds_load_b128 v[2:5], v1 offset:1008
	s_wait_loadcnt_dscnt 0x801
	v_mul_f64_e32 v[139:140], v[125:126], v[24:25]
	v_mul_f64_e32 v[24:25], v[127:128], v[24:25]
	scratch_load_b128 v[18:21], off, off offset:560
	s_wait_loadcnt_dscnt 0x800
	v_mul_f64_e32 v[143:144], v[2:3], v[28:29]
	v_mul_f64_e32 v[28:29], v[4:5], v[28:29]
	v_add_f64_e32 v[137:138], v[137:138], v[131:132]
	v_add_f64_e32 v[133:134], v[129:130], v[133:134]
	ds_load_b128 v[129:132], v1 offset:1024
	v_fma_f64 v[127:128], v[127:128], v[22:23], v[139:140]
	v_fma_f64 v[125:126], v[125:126], v[22:23], -v[24:25]
	scratch_load_b128 v[22:25], off, off offset:576
	v_fma_f64 v[139:140], v[4:5], v[26:27], v[143:144]
	v_add_f64_e32 v[137:138], v[137:138], v[141:142]
	v_add_f64_e32 v[133:134], v[133:134], v[135:136]
	v_fma_f64 v[141:142], v[2:3], v[26:27], -v[28:29]
	ds_load_b128 v[2:5], v1 offset:1040
	s_wait_loadcnt_dscnt 0x801
	v_mul_f64_e32 v[135:136], v[129:130], v[32:33]
	v_mul_f64_e32 v[32:33], v[131:132], v[32:33]
	scratch_load_b128 v[26:29], off, off offset:592
	s_wait_loadcnt_dscnt 0x800
	v_mul_f64_e32 v[143:144], v[2:3], v[115:116]
	v_mul_f64_e32 v[115:116], v[4:5], v[115:116]
	v_add_f64_e32 v[137:138], v[137:138], v[125:126]
	v_add_f64_e32 v[133:134], v[133:134], v[127:128]
	ds_load_b128 v[125:128], v1 offset:1056
	v_fma_f64 v[131:132], v[131:132], v[30:31], v[135:136]
	v_fma_f64 v[30:31], v[129:130], v[30:31], -v[32:33]
	v_fma_f64 v[135:136], v[4:5], v[113:114], v[143:144]
	v_fma_f64 v[113:114], v[2:3], v[113:114], -v[115:116]
	v_add_f64_e32 v[32:33], v[137:138], v[141:142]
	v_add_f64_e32 v[129:130], v[133:134], v[139:140]
	s_wait_loadcnt_dscnt 0x700
	v_mul_f64_e32 v[133:134], v[125:126], v[123:124]
	v_mul_f64_e32 v[123:124], v[127:128], v[123:124]
	s_delay_alu instid0(VALU_DEP_4) | instskip(NEXT) | instid1(VALU_DEP_4)
	v_add_f64_e32 v[115:116], v[32:33], v[30:31]
	v_add_f64_e32 v[129:130], v[129:130], v[131:132]
	ds_load_b128 v[2:5], v1 offset:1072
	ds_load_b128 v[30:33], v1 offset:1088
	v_fma_f64 v[127:128], v[127:128], v[121:122], v[133:134]
	v_fma_f64 v[121:122], v[125:126], v[121:122], -v[123:124]
	s_wait_loadcnt_dscnt 0x601
	v_mul_f64_e32 v[131:132], v[2:3], v[36:37]
	v_mul_f64_e32 v[36:37], v[4:5], v[36:37]
	s_wait_loadcnt_dscnt 0x500
	v_mul_f64_e32 v[123:124], v[30:31], v[8:9]
	v_mul_f64_e32 v[8:9], v[32:33], v[8:9]
	v_add_f64_e32 v[113:114], v[115:116], v[113:114]
	v_add_f64_e32 v[115:116], v[129:130], v[135:136]
	v_fma_f64 v[125:126], v[4:5], v[34:35], v[131:132]
	v_fma_f64 v[129:130], v[2:3], v[34:35], -v[36:37]
	ds_load_b128 v[2:5], v1 offset:1104
	ds_load_b128 v[34:37], v1 offset:1120
	v_fma_f64 v[32:33], v[32:33], v[6:7], v[123:124]
	v_fma_f64 v[6:7], v[30:31], v[6:7], -v[8:9]
	v_add_f64_e32 v[113:114], v[113:114], v[121:122]
	v_add_f64_e32 v[115:116], v[115:116], v[127:128]
	s_wait_loadcnt_dscnt 0x401
	v_mul_f64_e32 v[121:122], v[2:3], v[12:13]
	v_mul_f64_e32 v[12:13], v[4:5], v[12:13]
	s_delay_alu instid0(VALU_DEP_4) | instskip(NEXT) | instid1(VALU_DEP_4)
	v_add_f64_e32 v[8:9], v[113:114], v[129:130]
	v_add_f64_e32 v[30:31], v[115:116], v[125:126]
	s_wait_loadcnt_dscnt 0x300
	v_mul_f64_e32 v[113:114], v[34:35], v[16:17]
	v_mul_f64_e32 v[16:17], v[36:37], v[16:17]
	v_fma_f64 v[115:116], v[4:5], v[10:11], v[121:122]
	v_fma_f64 v[10:11], v[2:3], v[10:11], -v[12:13]
	v_add_f64_e32 v[12:13], v[8:9], v[6:7]
	v_add_f64_e32 v[30:31], v[30:31], v[32:33]
	ds_load_b128 v[2:5], v1 offset:1136
	ds_load_b128 v[6:9], v1 offset:1152
	v_fma_f64 v[36:37], v[36:37], v[14:15], v[113:114]
	v_fma_f64 v[14:15], v[34:35], v[14:15], -v[16:17]
	s_wait_loadcnt_dscnt 0x201
	v_mul_f64_e32 v[32:33], v[2:3], v[20:21]
	v_mul_f64_e32 v[20:21], v[4:5], v[20:21]
	s_wait_loadcnt_dscnt 0x100
	v_mul_f64_e32 v[16:17], v[6:7], v[24:25]
	v_mul_f64_e32 v[24:25], v[8:9], v[24:25]
	v_add_f64_e32 v[10:11], v[12:13], v[10:11]
	v_add_f64_e32 v[12:13], v[30:31], v[115:116]
	v_fma_f64 v[30:31], v[4:5], v[18:19], v[32:33]
	v_fma_f64 v[18:19], v[2:3], v[18:19], -v[20:21]
	ds_load_b128 v[2:5], v1 offset:1168
	v_fma_f64 v[8:9], v[8:9], v[22:23], v[16:17]
	v_fma_f64 v[6:7], v[6:7], v[22:23], -v[24:25]
	v_add_f64_e32 v[10:11], v[10:11], v[14:15]
	v_add_f64_e32 v[12:13], v[12:13], v[36:37]
	s_wait_loadcnt_dscnt 0x0
	v_mul_f64_e32 v[14:15], v[2:3], v[28:29]
	v_mul_f64_e32 v[20:21], v[4:5], v[28:29]
	s_delay_alu instid0(VALU_DEP_4) | instskip(NEXT) | instid1(VALU_DEP_4)
	v_add_f64_e32 v[10:11], v[10:11], v[18:19]
	v_add_f64_e32 v[12:13], v[12:13], v[30:31]
	s_delay_alu instid0(VALU_DEP_4) | instskip(NEXT) | instid1(VALU_DEP_4)
	v_fma_f64 v[4:5], v[4:5], v[26:27], v[14:15]
	v_fma_f64 v[2:3], v[2:3], v[26:27], -v[20:21]
	s_delay_alu instid0(VALU_DEP_4) | instskip(NEXT) | instid1(VALU_DEP_4)
	v_add_f64_e32 v[6:7], v[10:11], v[6:7]
	v_add_f64_e32 v[8:9], v[12:13], v[8:9]
	s_delay_alu instid0(VALU_DEP_2) | instskip(NEXT) | instid1(VALU_DEP_2)
	v_add_f64_e32 v[2:3], v[6:7], v[2:3]
	v_add_f64_e32 v[4:5], v[8:9], v[4:5]
	s_delay_alu instid0(VALU_DEP_2) | instskip(NEXT) | instid1(VALU_DEP_2)
	v_add_f64_e64 v[2:3], v[117:118], -v[2:3]
	v_add_f64_e64 v[4:5], v[119:120], -v[4:5]
	scratch_store_b128 off, v[2:5], off offset:160
	v_cmpx_lt_u32_e32 8, v0
	s_cbranch_execz .LBB100_219
; %bb.218:
	scratch_load_b128 v[5:8], off, s10
	v_dual_mov_b32 v2, v1 :: v_dual_mov_b32 v3, v1
	v_mov_b32_e32 v4, v1
	scratch_store_b128 off, v[1:4], off offset:144
	s_wait_loadcnt 0x0
	ds_store_b128 v112, v[5:8]
.LBB100_219:
	s_wait_alu 0xfffe
	s_or_b32 exec_lo, exec_lo, s0
	s_wait_storecnt_dscnt 0x0
	s_barrier_signal -1
	s_barrier_wait -1
	global_inv scope:SCOPE_SE
	s_clause 0x8
	scratch_load_b128 v[2:5], off, off offset:160
	scratch_load_b128 v[6:9], off, off offset:176
	;; [unrolled: 1-line block ×9, first 2 shown]
	ds_load_b128 v[113:116], v1 offset:736
	ds_load_b128 v[117:120], v1 offset:752
	s_clause 0x1
	scratch_load_b128 v[121:124], off, off offset:144
	scratch_load_b128 v[125:128], off, off offset:304
	s_mov_b32 s0, exec_lo
	s_wait_loadcnt_dscnt 0xa01
	v_mul_f64_e32 v[129:130], v[115:116], v[4:5]
	v_mul_f64_e32 v[4:5], v[113:114], v[4:5]
	s_wait_loadcnt_dscnt 0x900
	v_mul_f64_e32 v[133:134], v[117:118], v[8:9]
	v_mul_f64_e32 v[8:9], v[119:120], v[8:9]
	s_delay_alu instid0(VALU_DEP_4) | instskip(NEXT) | instid1(VALU_DEP_4)
	v_fma_f64 v[135:136], v[113:114], v[2:3], -v[129:130]
	v_fma_f64 v[137:138], v[115:116], v[2:3], v[4:5]
	ds_load_b128 v[2:5], v1 offset:768
	ds_load_b128 v[129:132], v1 offset:784
	scratch_load_b128 v[113:116], off, off offset:320
	v_fma_f64 v[119:120], v[119:120], v[6:7], v[133:134]
	v_fma_f64 v[117:118], v[117:118], v[6:7], -v[8:9]
	scratch_load_b128 v[6:9], off, off offset:336
	s_wait_loadcnt_dscnt 0xa01
	v_mul_f64_e32 v[139:140], v[2:3], v[12:13]
	v_mul_f64_e32 v[12:13], v[4:5], v[12:13]
	v_add_f64_e32 v[133:134], 0, v[135:136]
	v_add_f64_e32 v[135:136], 0, v[137:138]
	s_wait_loadcnt_dscnt 0x900
	v_mul_f64_e32 v[137:138], v[129:130], v[16:17]
	v_mul_f64_e32 v[16:17], v[131:132], v[16:17]
	v_fma_f64 v[139:140], v[4:5], v[10:11], v[139:140]
	v_fma_f64 v[141:142], v[2:3], v[10:11], -v[12:13]
	ds_load_b128 v[2:5], v1 offset:800
	scratch_load_b128 v[10:13], off, off offset:352
	v_add_f64_e32 v[133:134], v[133:134], v[117:118]
	v_add_f64_e32 v[135:136], v[135:136], v[119:120]
	ds_load_b128 v[117:120], v1 offset:816
	v_fma_f64 v[131:132], v[131:132], v[14:15], v[137:138]
	v_fma_f64 v[129:130], v[129:130], v[14:15], -v[16:17]
	scratch_load_b128 v[14:17], off, off offset:368
	s_wait_loadcnt_dscnt 0xa01
	v_mul_f64_e32 v[143:144], v[2:3], v[20:21]
	v_mul_f64_e32 v[20:21], v[4:5], v[20:21]
	s_wait_loadcnt_dscnt 0x900
	v_mul_f64_e32 v[137:138], v[117:118], v[24:25]
	v_mul_f64_e32 v[24:25], v[119:120], v[24:25]
	v_add_f64_e32 v[133:134], v[133:134], v[141:142]
	v_add_f64_e32 v[135:136], v[135:136], v[139:140]
	v_fma_f64 v[139:140], v[4:5], v[18:19], v[143:144]
	v_fma_f64 v[141:142], v[2:3], v[18:19], -v[20:21]
	ds_load_b128 v[2:5], v1 offset:832
	scratch_load_b128 v[18:21], off, off offset:384
	v_fma_f64 v[119:120], v[119:120], v[22:23], v[137:138]
	v_fma_f64 v[117:118], v[117:118], v[22:23], -v[24:25]
	scratch_load_b128 v[22:25], off, off offset:400
	v_add_f64_e32 v[133:134], v[133:134], v[129:130]
	v_add_f64_e32 v[135:136], v[135:136], v[131:132]
	ds_load_b128 v[129:132], v1 offset:848
	s_wait_loadcnt_dscnt 0xa01
	v_mul_f64_e32 v[143:144], v[2:3], v[28:29]
	v_mul_f64_e32 v[28:29], v[4:5], v[28:29]
	s_wait_loadcnt_dscnt 0x900
	v_mul_f64_e32 v[137:138], v[129:130], v[32:33]
	v_mul_f64_e32 v[32:33], v[131:132], v[32:33]
	v_add_f64_e32 v[133:134], v[133:134], v[141:142]
	v_add_f64_e32 v[135:136], v[135:136], v[139:140]
	v_fma_f64 v[139:140], v[4:5], v[26:27], v[143:144]
	v_fma_f64 v[141:142], v[2:3], v[26:27], -v[28:29]
	ds_load_b128 v[2:5], v1 offset:864
	scratch_load_b128 v[26:29], off, off offset:416
	v_fma_f64 v[131:132], v[131:132], v[30:31], v[137:138]
	v_fma_f64 v[129:130], v[129:130], v[30:31], -v[32:33]
	scratch_load_b128 v[30:33], off, off offset:432
	v_add_f64_e32 v[133:134], v[133:134], v[117:118]
	v_add_f64_e32 v[135:136], v[135:136], v[119:120]
	ds_load_b128 v[117:120], v1 offset:880
	s_wait_loadcnt_dscnt 0xa01
	v_mul_f64_e32 v[143:144], v[2:3], v[36:37]
	v_mul_f64_e32 v[36:37], v[4:5], v[36:37]
	s_wait_loadcnt_dscnt 0x800
	v_mul_f64_e32 v[137:138], v[117:118], v[127:128]
	v_add_f64_e32 v[133:134], v[133:134], v[141:142]
	v_add_f64_e32 v[135:136], v[135:136], v[139:140]
	v_mul_f64_e32 v[139:140], v[119:120], v[127:128]
	v_fma_f64 v[141:142], v[4:5], v[34:35], v[143:144]
	v_fma_f64 v[143:144], v[2:3], v[34:35], -v[36:37]
	ds_load_b128 v[2:5], v1 offset:896
	scratch_load_b128 v[34:37], off, off offset:448
	v_fma_f64 v[119:120], v[119:120], v[125:126], v[137:138]
	v_add_f64_e32 v[133:134], v[133:134], v[129:130]
	v_add_f64_e32 v[131:132], v[135:136], v[131:132]
	ds_load_b128 v[127:130], v1 offset:912
	v_fma_f64 v[125:126], v[117:118], v[125:126], -v[139:140]
	s_wait_loadcnt_dscnt 0x801
	v_mul_f64_e32 v[135:136], v[2:3], v[115:116]
	v_mul_f64_e32 v[145:146], v[4:5], v[115:116]
	scratch_load_b128 v[115:118], off, off offset:464
	s_wait_loadcnt_dscnt 0x800
	v_mul_f64_e32 v[139:140], v[127:128], v[8:9]
	v_mul_f64_e32 v[8:9], v[129:130], v[8:9]
	v_add_f64_e32 v[133:134], v[133:134], v[143:144]
	v_add_f64_e32 v[131:132], v[131:132], v[141:142]
	v_fma_f64 v[141:142], v[4:5], v[113:114], v[135:136]
	v_fma_f64 v[113:114], v[2:3], v[113:114], -v[145:146]
	ds_load_b128 v[2:5], v1 offset:928
	ds_load_b128 v[135:138], v1 offset:944
	v_fma_f64 v[129:130], v[129:130], v[6:7], v[139:140]
	v_fma_f64 v[127:128], v[127:128], v[6:7], -v[8:9]
	scratch_load_b128 v[6:9], off, off offset:496
	v_add_f64_e32 v[125:126], v[133:134], v[125:126]
	v_add_f64_e32 v[119:120], v[131:132], v[119:120]
	scratch_load_b128 v[131:134], off, off offset:480
	s_wait_loadcnt_dscnt 0x901
	v_mul_f64_e32 v[143:144], v[2:3], v[12:13]
	v_mul_f64_e32 v[12:13], v[4:5], v[12:13]
	s_wait_loadcnt_dscnt 0x800
	v_mul_f64_e32 v[139:140], v[135:136], v[16:17]
	v_mul_f64_e32 v[16:17], v[137:138], v[16:17]
	v_add_f64_e32 v[113:114], v[125:126], v[113:114]
	v_add_f64_e32 v[119:120], v[119:120], v[141:142]
	v_fma_f64 v[141:142], v[4:5], v[10:11], v[143:144]
	v_fma_f64 v[143:144], v[2:3], v[10:11], -v[12:13]
	ds_load_b128 v[2:5], v1 offset:960
	scratch_load_b128 v[10:13], off, off offset:512
	v_fma_f64 v[137:138], v[137:138], v[14:15], v[139:140]
	v_fma_f64 v[135:136], v[135:136], v[14:15], -v[16:17]
	scratch_load_b128 v[14:17], off, off offset:528
	v_add_f64_e32 v[113:114], v[113:114], v[127:128]
	v_add_f64_e32 v[119:120], v[119:120], v[129:130]
	ds_load_b128 v[125:128], v1 offset:976
	s_wait_loadcnt_dscnt 0x901
	v_mul_f64_e32 v[129:130], v[2:3], v[20:21]
	v_mul_f64_e32 v[20:21], v[4:5], v[20:21]
	s_wait_loadcnt_dscnt 0x800
	v_mul_f64_e32 v[139:140], v[125:126], v[24:25]
	v_mul_f64_e32 v[24:25], v[127:128], v[24:25]
	v_add_f64_e32 v[113:114], v[113:114], v[143:144]
	v_add_f64_e32 v[119:120], v[119:120], v[141:142]
	v_fma_f64 v[129:130], v[4:5], v[18:19], v[129:130]
	v_fma_f64 v[141:142], v[2:3], v[18:19], -v[20:21]
	ds_load_b128 v[2:5], v1 offset:992
	scratch_load_b128 v[18:21], off, off offset:544
	v_fma_f64 v[127:128], v[127:128], v[22:23], v[139:140]
	v_fma_f64 v[125:126], v[125:126], v[22:23], -v[24:25]
	scratch_load_b128 v[22:25], off, off offset:560
	v_add_f64_e32 v[113:114], v[113:114], v[135:136]
	v_add_f64_e32 v[119:120], v[119:120], v[137:138]
	ds_load_b128 v[135:138], v1 offset:1008
	s_wait_loadcnt_dscnt 0x901
	v_mul_f64_e32 v[143:144], v[2:3], v[28:29]
	v_mul_f64_e32 v[28:29], v[4:5], v[28:29]
	v_add_f64_e32 v[113:114], v[113:114], v[141:142]
	v_add_f64_e32 v[119:120], v[119:120], v[129:130]
	s_wait_loadcnt_dscnt 0x800
	v_mul_f64_e32 v[129:130], v[135:136], v[32:33]
	v_mul_f64_e32 v[32:33], v[137:138], v[32:33]
	v_fma_f64 v[139:140], v[4:5], v[26:27], v[143:144]
	v_fma_f64 v[141:142], v[2:3], v[26:27], -v[28:29]
	ds_load_b128 v[2:5], v1 offset:1024
	scratch_load_b128 v[26:29], off, off offset:576
	v_add_f64_e32 v[113:114], v[113:114], v[125:126]
	v_add_f64_e32 v[119:120], v[119:120], v[127:128]
	ds_load_b128 v[125:128], v1 offset:1040
	s_wait_loadcnt_dscnt 0x801
	v_mul_f64_e32 v[143:144], v[2:3], v[36:37]
	v_mul_f64_e32 v[36:37], v[4:5], v[36:37]
	v_fma_f64 v[129:130], v[137:138], v[30:31], v[129:130]
	v_fma_f64 v[135:136], v[135:136], v[30:31], -v[32:33]
	scratch_load_b128 v[30:33], off, off offset:592
	s_wait_loadcnt_dscnt 0x800
	v_mul_f64_e32 v[137:138], v[125:126], v[117:118]
	v_add_f64_e32 v[113:114], v[113:114], v[141:142]
	v_add_f64_e32 v[119:120], v[119:120], v[139:140]
	v_mul_f64_e32 v[117:118], v[127:128], v[117:118]
	v_fma_f64 v[139:140], v[4:5], v[34:35], v[143:144]
	v_fma_f64 v[141:142], v[2:3], v[34:35], -v[36:37]
	ds_load_b128 v[2:5], v1 offset:1056
	ds_load_b128 v[34:37], v1 offset:1072
	v_fma_f64 v[127:128], v[127:128], v[115:116], v[137:138]
	v_add_f64_e32 v[113:114], v[113:114], v[135:136]
	v_add_f64_e32 v[119:120], v[119:120], v[129:130]
	v_fma_f64 v[115:116], v[125:126], v[115:116], -v[117:118]
	s_wait_loadcnt_dscnt 0x601
	v_mul_f64_e32 v[129:130], v[2:3], v[133:134]
	v_mul_f64_e32 v[133:134], v[4:5], v[133:134]
	v_add_f64_e32 v[113:114], v[113:114], v[141:142]
	v_add_f64_e32 v[117:118], v[119:120], v[139:140]
	s_wait_dscnt 0x0
	v_mul_f64_e32 v[119:120], v[34:35], v[8:9]
	v_mul_f64_e32 v[8:9], v[36:37], v[8:9]
	v_fma_f64 v[125:126], v[4:5], v[131:132], v[129:130]
	v_fma_f64 v[129:130], v[2:3], v[131:132], -v[133:134]
	v_add_f64_e32 v[131:132], v[113:114], v[115:116]
	v_add_f64_e32 v[117:118], v[117:118], v[127:128]
	ds_load_b128 v[2:5], v1 offset:1088
	ds_load_b128 v[113:116], v1 offset:1104
	v_fma_f64 v[36:37], v[36:37], v[6:7], v[119:120]
	v_fma_f64 v[6:7], v[34:35], v[6:7], -v[8:9]
	s_wait_loadcnt_dscnt 0x501
	v_mul_f64_e32 v[127:128], v[2:3], v[12:13]
	v_mul_f64_e32 v[12:13], v[4:5], v[12:13]
	v_add_f64_e32 v[8:9], v[131:132], v[129:130]
	v_add_f64_e32 v[34:35], v[117:118], v[125:126]
	s_wait_loadcnt_dscnt 0x400
	v_mul_f64_e32 v[117:118], v[113:114], v[16:17]
	v_mul_f64_e32 v[16:17], v[115:116], v[16:17]
	v_fma_f64 v[119:120], v[4:5], v[10:11], v[127:128]
	v_fma_f64 v[10:11], v[2:3], v[10:11], -v[12:13]
	v_add_f64_e32 v[12:13], v[8:9], v[6:7]
	v_add_f64_e32 v[34:35], v[34:35], v[36:37]
	ds_load_b128 v[2:5], v1 offset:1120
	ds_load_b128 v[6:9], v1 offset:1136
	v_fma_f64 v[115:116], v[115:116], v[14:15], v[117:118]
	v_fma_f64 v[14:15], v[113:114], v[14:15], -v[16:17]
	s_wait_loadcnt_dscnt 0x301
	v_mul_f64_e32 v[36:37], v[2:3], v[20:21]
	v_mul_f64_e32 v[20:21], v[4:5], v[20:21]
	s_wait_loadcnt_dscnt 0x200
	v_mul_f64_e32 v[16:17], v[6:7], v[24:25]
	v_mul_f64_e32 v[24:25], v[8:9], v[24:25]
	v_add_f64_e32 v[10:11], v[12:13], v[10:11]
	v_add_f64_e32 v[12:13], v[34:35], v[119:120]
	v_fma_f64 v[34:35], v[4:5], v[18:19], v[36:37]
	v_fma_f64 v[18:19], v[2:3], v[18:19], -v[20:21]
	v_fma_f64 v[8:9], v[8:9], v[22:23], v[16:17]
	v_fma_f64 v[6:7], v[6:7], v[22:23], -v[24:25]
	v_add_f64_e32 v[14:15], v[10:11], v[14:15]
	v_add_f64_e32 v[20:21], v[12:13], v[115:116]
	ds_load_b128 v[2:5], v1 offset:1152
	ds_load_b128 v[10:13], v1 offset:1168
	s_wait_loadcnt_dscnt 0x101
	v_mul_f64_e32 v[36:37], v[2:3], v[28:29]
	v_mul_f64_e32 v[28:29], v[4:5], v[28:29]
	v_add_f64_e32 v[14:15], v[14:15], v[18:19]
	v_add_f64_e32 v[16:17], v[20:21], v[34:35]
	s_wait_loadcnt_dscnt 0x0
	v_mul_f64_e32 v[18:19], v[10:11], v[32:33]
	v_mul_f64_e32 v[20:21], v[12:13], v[32:33]
	v_fma_f64 v[4:5], v[4:5], v[26:27], v[36:37]
	v_fma_f64 v[1:2], v[2:3], v[26:27], -v[28:29]
	v_add_f64_e32 v[6:7], v[14:15], v[6:7]
	v_add_f64_e32 v[8:9], v[16:17], v[8:9]
	v_fma_f64 v[12:13], v[12:13], v[30:31], v[18:19]
	v_fma_f64 v[10:11], v[10:11], v[30:31], -v[20:21]
	s_delay_alu instid0(VALU_DEP_4) | instskip(NEXT) | instid1(VALU_DEP_4)
	v_add_f64_e32 v[1:2], v[6:7], v[1:2]
	v_add_f64_e32 v[3:4], v[8:9], v[4:5]
	s_delay_alu instid0(VALU_DEP_2) | instskip(NEXT) | instid1(VALU_DEP_2)
	v_add_f64_e32 v[1:2], v[1:2], v[10:11]
	v_add_f64_e32 v[3:4], v[3:4], v[12:13]
	s_delay_alu instid0(VALU_DEP_2) | instskip(NEXT) | instid1(VALU_DEP_2)
	v_add_f64_e64 v[1:2], v[121:122], -v[1:2]
	v_add_f64_e64 v[3:4], v[123:124], -v[3:4]
	scratch_store_b128 off, v[1:4], off offset:144
	v_cmpx_lt_u32_e32 7, v0
	s_cbranch_execz .LBB100_221
; %bb.220:
	scratch_load_b128 v[1:4], off, s28
	v_mov_b32_e32 v5, 0
	s_delay_alu instid0(VALU_DEP_1)
	v_dual_mov_b32 v6, v5 :: v_dual_mov_b32 v7, v5
	v_mov_b32_e32 v8, v5
	scratch_store_b128 off, v[5:8], off offset:128
	s_wait_loadcnt 0x0
	ds_store_b128 v112, v[1:4]
.LBB100_221:
	s_wait_alu 0xfffe
	s_or_b32 exec_lo, exec_lo, s0
	s_wait_storecnt_dscnt 0x0
	s_barrier_signal -1
	s_barrier_wait -1
	global_inv scope:SCOPE_SE
	s_clause 0x7
	scratch_load_b128 v[2:5], off, off offset:144
	scratch_load_b128 v[6:9], off, off offset:160
	;; [unrolled: 1-line block ×8, first 2 shown]
	v_mov_b32_e32 v1, 0
	s_mov_b32 s0, exec_lo
	ds_load_b128 v[34:37], v1 offset:720
	s_clause 0x1
	scratch_load_b128 v[113:116], off, off offset:272
	scratch_load_b128 v[117:120], off, off offset:128
	ds_load_b128 v[121:124], v1 offset:736
	scratch_load_b128 v[125:128], off, off offset:288
	s_wait_loadcnt_dscnt 0xa01
	v_mul_f64_e32 v[129:130], v[36:37], v[4:5]
	v_mul_f64_e32 v[4:5], v[34:35], v[4:5]
	s_delay_alu instid0(VALU_DEP_2) | instskip(NEXT) | instid1(VALU_DEP_2)
	v_fma_f64 v[135:136], v[34:35], v[2:3], -v[129:130]
	v_fma_f64 v[137:138], v[36:37], v[2:3], v[4:5]
	ds_load_b128 v[2:5], v1 offset:752
	s_wait_loadcnt_dscnt 0x901
	v_mul_f64_e32 v[133:134], v[121:122], v[8:9]
	v_mul_f64_e32 v[8:9], v[123:124], v[8:9]
	scratch_load_b128 v[34:37], off, off offset:304
	ds_load_b128 v[129:132], v1 offset:768
	s_wait_loadcnt_dscnt 0x901
	v_mul_f64_e32 v[139:140], v[2:3], v[12:13]
	v_mul_f64_e32 v[12:13], v[4:5], v[12:13]
	v_fma_f64 v[123:124], v[123:124], v[6:7], v[133:134]
	v_fma_f64 v[121:122], v[121:122], v[6:7], -v[8:9]
	v_add_f64_e32 v[133:134], 0, v[135:136]
	v_add_f64_e32 v[135:136], 0, v[137:138]
	scratch_load_b128 v[6:9], off, off offset:320
	v_fma_f64 v[139:140], v[4:5], v[10:11], v[139:140]
	v_fma_f64 v[141:142], v[2:3], v[10:11], -v[12:13]
	ds_load_b128 v[2:5], v1 offset:784
	s_wait_loadcnt_dscnt 0x901
	v_mul_f64_e32 v[137:138], v[129:130], v[16:17]
	v_mul_f64_e32 v[16:17], v[131:132], v[16:17]
	scratch_load_b128 v[10:13], off, off offset:336
	v_add_f64_e32 v[133:134], v[133:134], v[121:122]
	v_add_f64_e32 v[135:136], v[135:136], v[123:124]
	s_wait_loadcnt_dscnt 0x900
	v_mul_f64_e32 v[143:144], v[2:3], v[20:21]
	v_mul_f64_e32 v[20:21], v[4:5], v[20:21]
	ds_load_b128 v[121:124], v1 offset:800
	v_fma_f64 v[131:132], v[131:132], v[14:15], v[137:138]
	v_fma_f64 v[129:130], v[129:130], v[14:15], -v[16:17]
	scratch_load_b128 v[14:17], off, off offset:352
	v_add_f64_e32 v[133:134], v[133:134], v[141:142]
	v_add_f64_e32 v[135:136], v[135:136], v[139:140]
	v_fma_f64 v[139:140], v[4:5], v[18:19], v[143:144]
	v_fma_f64 v[141:142], v[2:3], v[18:19], -v[20:21]
	ds_load_b128 v[2:5], v1 offset:816
	s_wait_loadcnt_dscnt 0x901
	v_mul_f64_e32 v[137:138], v[121:122], v[24:25]
	v_mul_f64_e32 v[24:25], v[123:124], v[24:25]
	scratch_load_b128 v[18:21], off, off offset:368
	s_wait_loadcnt_dscnt 0x900
	v_mul_f64_e32 v[143:144], v[2:3], v[28:29]
	v_mul_f64_e32 v[28:29], v[4:5], v[28:29]
	v_add_f64_e32 v[133:134], v[133:134], v[129:130]
	v_add_f64_e32 v[135:136], v[135:136], v[131:132]
	ds_load_b128 v[129:132], v1 offset:832
	v_fma_f64 v[123:124], v[123:124], v[22:23], v[137:138]
	v_fma_f64 v[121:122], v[121:122], v[22:23], -v[24:25]
	scratch_load_b128 v[22:25], off, off offset:384
	v_add_f64_e32 v[133:134], v[133:134], v[141:142]
	v_add_f64_e32 v[135:136], v[135:136], v[139:140]
	v_fma_f64 v[139:140], v[4:5], v[26:27], v[143:144]
	v_fma_f64 v[141:142], v[2:3], v[26:27], -v[28:29]
	ds_load_b128 v[2:5], v1 offset:848
	s_wait_loadcnt_dscnt 0x901
	v_mul_f64_e32 v[137:138], v[129:130], v[32:33]
	v_mul_f64_e32 v[32:33], v[131:132], v[32:33]
	scratch_load_b128 v[26:29], off, off offset:400
	s_wait_loadcnt_dscnt 0x900
	v_mul_f64_e32 v[143:144], v[2:3], v[115:116]
	v_mul_f64_e32 v[115:116], v[4:5], v[115:116]
	v_add_f64_e32 v[133:134], v[133:134], v[121:122]
	v_add_f64_e32 v[135:136], v[135:136], v[123:124]
	ds_load_b128 v[121:124], v1 offset:864
	v_fma_f64 v[131:132], v[131:132], v[30:31], v[137:138]
	v_fma_f64 v[129:130], v[129:130], v[30:31], -v[32:33]
	scratch_load_b128 v[30:33], off, off offset:416
	v_add_f64_e32 v[133:134], v[133:134], v[141:142]
	v_add_f64_e32 v[135:136], v[135:136], v[139:140]
	v_fma_f64 v[141:142], v[4:5], v[113:114], v[143:144]
	v_fma_f64 v[143:144], v[2:3], v[113:114], -v[115:116]
	ds_load_b128 v[2:5], v1 offset:880
	s_wait_loadcnt_dscnt 0x801
	v_mul_f64_e32 v[137:138], v[121:122], v[127:128]
	v_mul_f64_e32 v[139:140], v[123:124], v[127:128]
	scratch_load_b128 v[113:116], off, off offset:432
	v_add_f64_e32 v[133:134], v[133:134], v[129:130]
	v_add_f64_e32 v[131:132], v[135:136], v[131:132]
	ds_load_b128 v[127:130], v1 offset:896
	v_fma_f64 v[137:138], v[123:124], v[125:126], v[137:138]
	v_fma_f64 v[125:126], v[121:122], v[125:126], -v[139:140]
	scratch_load_b128 v[121:124], off, off offset:448
	s_wait_loadcnt_dscnt 0x901
	v_mul_f64_e32 v[135:136], v[2:3], v[36:37]
	v_mul_f64_e32 v[36:37], v[4:5], v[36:37]
	v_add_f64_e32 v[133:134], v[133:134], v[143:144]
	v_add_f64_e32 v[131:132], v[131:132], v[141:142]
	s_delay_alu instid0(VALU_DEP_4) | instskip(NEXT) | instid1(VALU_DEP_4)
	v_fma_f64 v[135:136], v[4:5], v[34:35], v[135:136]
	v_fma_f64 v[141:142], v[2:3], v[34:35], -v[36:37]
	ds_load_b128 v[2:5], v1 offset:912
	s_wait_loadcnt_dscnt 0x801
	v_mul_f64_e32 v[139:140], v[127:128], v[8:9]
	v_mul_f64_e32 v[8:9], v[129:130], v[8:9]
	scratch_load_b128 v[34:37], off, off offset:464
	s_wait_loadcnt_dscnt 0x800
	v_mul_f64_e32 v[143:144], v[2:3], v[12:13]
	v_add_f64_e32 v[125:126], v[133:134], v[125:126]
	v_add_f64_e32 v[137:138], v[131:132], v[137:138]
	v_mul_f64_e32 v[12:13], v[4:5], v[12:13]
	ds_load_b128 v[131:134], v1 offset:928
	v_fma_f64 v[129:130], v[129:130], v[6:7], v[139:140]
	v_fma_f64 v[127:128], v[127:128], v[6:7], -v[8:9]
	scratch_load_b128 v[6:9], off, off offset:480
	v_fma_f64 v[139:140], v[4:5], v[10:11], v[143:144]
	v_add_f64_e32 v[125:126], v[125:126], v[141:142]
	v_add_f64_e32 v[135:136], v[137:138], v[135:136]
	v_fma_f64 v[141:142], v[2:3], v[10:11], -v[12:13]
	ds_load_b128 v[2:5], v1 offset:944
	s_wait_loadcnt_dscnt 0x801
	v_mul_f64_e32 v[137:138], v[131:132], v[16:17]
	v_mul_f64_e32 v[16:17], v[133:134], v[16:17]
	scratch_load_b128 v[10:13], off, off offset:496
	v_add_f64_e32 v[143:144], v[125:126], v[127:128]
	v_add_f64_e32 v[129:130], v[135:136], v[129:130]
	s_wait_loadcnt_dscnt 0x800
	v_mul_f64_e32 v[135:136], v[2:3], v[20:21]
	v_mul_f64_e32 v[20:21], v[4:5], v[20:21]
	v_fma_f64 v[133:134], v[133:134], v[14:15], v[137:138]
	v_fma_f64 v[131:132], v[131:132], v[14:15], -v[16:17]
	ds_load_b128 v[125:128], v1 offset:960
	scratch_load_b128 v[14:17], off, off offset:512
	v_add_f64_e32 v[137:138], v[143:144], v[141:142]
	v_add_f64_e32 v[129:130], v[129:130], v[139:140]
	v_fma_f64 v[135:136], v[4:5], v[18:19], v[135:136]
	v_fma_f64 v[141:142], v[2:3], v[18:19], -v[20:21]
	ds_load_b128 v[2:5], v1 offset:976
	s_wait_loadcnt_dscnt 0x801
	v_mul_f64_e32 v[139:140], v[125:126], v[24:25]
	v_mul_f64_e32 v[24:25], v[127:128], v[24:25]
	scratch_load_b128 v[18:21], off, off offset:528
	s_wait_loadcnt_dscnt 0x800
	v_mul_f64_e32 v[143:144], v[2:3], v[28:29]
	v_mul_f64_e32 v[28:29], v[4:5], v[28:29]
	v_add_f64_e32 v[137:138], v[137:138], v[131:132]
	v_add_f64_e32 v[133:134], v[129:130], v[133:134]
	ds_load_b128 v[129:132], v1 offset:992
	v_fma_f64 v[127:128], v[127:128], v[22:23], v[139:140]
	v_fma_f64 v[125:126], v[125:126], v[22:23], -v[24:25]
	scratch_load_b128 v[22:25], off, off offset:544
	v_fma_f64 v[139:140], v[4:5], v[26:27], v[143:144]
	v_add_f64_e32 v[137:138], v[137:138], v[141:142]
	v_add_f64_e32 v[133:134], v[133:134], v[135:136]
	v_fma_f64 v[141:142], v[2:3], v[26:27], -v[28:29]
	ds_load_b128 v[2:5], v1 offset:1008
	s_wait_loadcnt_dscnt 0x801
	v_mul_f64_e32 v[135:136], v[129:130], v[32:33]
	v_mul_f64_e32 v[32:33], v[131:132], v[32:33]
	scratch_load_b128 v[26:29], off, off offset:560
	s_wait_loadcnt_dscnt 0x800
	v_mul_f64_e32 v[143:144], v[2:3], v[115:116]
	v_mul_f64_e32 v[115:116], v[4:5], v[115:116]
	v_add_f64_e32 v[137:138], v[137:138], v[125:126]
	v_add_f64_e32 v[133:134], v[133:134], v[127:128]
	ds_load_b128 v[125:128], v1 offset:1024
	v_fma_f64 v[131:132], v[131:132], v[30:31], v[135:136]
	v_fma_f64 v[129:130], v[129:130], v[30:31], -v[32:33]
	scratch_load_b128 v[30:33], off, off offset:576
	v_add_f64_e32 v[135:136], v[137:138], v[141:142]
	v_add_f64_e32 v[133:134], v[133:134], v[139:140]
	v_fma_f64 v[139:140], v[4:5], v[113:114], v[143:144]
	v_fma_f64 v[141:142], v[2:3], v[113:114], -v[115:116]
	ds_load_b128 v[2:5], v1 offset:1040
	s_wait_loadcnt_dscnt 0x801
	v_mul_f64_e32 v[137:138], v[125:126], v[123:124]
	v_mul_f64_e32 v[123:124], v[127:128], v[123:124]
	scratch_load_b128 v[113:116], off, off offset:592
	s_wait_loadcnt_dscnt 0x800
	v_mul_f64_e32 v[143:144], v[2:3], v[36:37]
	v_mul_f64_e32 v[36:37], v[4:5], v[36:37]
	v_add_f64_e32 v[135:136], v[135:136], v[129:130]
	v_add_f64_e32 v[133:134], v[133:134], v[131:132]
	ds_load_b128 v[129:132], v1 offset:1056
	v_fma_f64 v[127:128], v[127:128], v[121:122], v[137:138]
	v_fma_f64 v[121:122], v[125:126], v[121:122], -v[123:124]
	v_fma_f64 v[137:138], v[2:3], v[34:35], -v[36:37]
	v_add_f64_e32 v[123:124], v[135:136], v[141:142]
	v_add_f64_e32 v[125:126], v[133:134], v[139:140]
	s_wait_loadcnt_dscnt 0x700
	v_mul_f64_e32 v[133:134], v[129:130], v[8:9]
	v_mul_f64_e32 v[8:9], v[131:132], v[8:9]
	v_fma_f64 v[135:136], v[4:5], v[34:35], v[143:144]
	ds_load_b128 v[2:5], v1 offset:1072
	ds_load_b128 v[34:37], v1 offset:1088
	v_add_f64_e32 v[121:122], v[123:124], v[121:122]
	v_add_f64_e32 v[123:124], v[125:126], v[127:128]
	s_wait_loadcnt_dscnt 0x601
	v_mul_f64_e32 v[125:126], v[2:3], v[12:13]
	v_mul_f64_e32 v[12:13], v[4:5], v[12:13]
	v_fma_f64 v[127:128], v[131:132], v[6:7], v[133:134]
	v_fma_f64 v[6:7], v[129:130], v[6:7], -v[8:9]
	v_add_f64_e32 v[8:9], v[121:122], v[137:138]
	v_add_f64_e32 v[121:122], v[123:124], v[135:136]
	s_wait_loadcnt_dscnt 0x500
	v_mul_f64_e32 v[123:124], v[34:35], v[16:17]
	v_mul_f64_e32 v[16:17], v[36:37], v[16:17]
	v_fma_f64 v[125:126], v[4:5], v[10:11], v[125:126]
	v_fma_f64 v[10:11], v[2:3], v[10:11], -v[12:13]
	v_add_f64_e32 v[12:13], v[8:9], v[6:7]
	v_add_f64_e32 v[121:122], v[121:122], v[127:128]
	ds_load_b128 v[2:5], v1 offset:1104
	ds_load_b128 v[6:9], v1 offset:1120
	v_fma_f64 v[36:37], v[36:37], v[14:15], v[123:124]
	v_fma_f64 v[14:15], v[34:35], v[14:15], -v[16:17]
	s_wait_loadcnt_dscnt 0x401
	v_mul_f64_e32 v[127:128], v[2:3], v[20:21]
	v_mul_f64_e32 v[20:21], v[4:5], v[20:21]
	s_wait_loadcnt_dscnt 0x300
	v_mul_f64_e32 v[16:17], v[6:7], v[24:25]
	v_mul_f64_e32 v[24:25], v[8:9], v[24:25]
	v_add_f64_e32 v[10:11], v[12:13], v[10:11]
	v_add_f64_e32 v[12:13], v[121:122], v[125:126]
	v_fma_f64 v[34:35], v[4:5], v[18:19], v[127:128]
	v_fma_f64 v[18:19], v[2:3], v[18:19], -v[20:21]
	v_fma_f64 v[8:9], v[8:9], v[22:23], v[16:17]
	v_fma_f64 v[6:7], v[6:7], v[22:23], -v[24:25]
	v_add_f64_e32 v[14:15], v[10:11], v[14:15]
	v_add_f64_e32 v[20:21], v[12:13], v[36:37]
	ds_load_b128 v[2:5], v1 offset:1136
	ds_load_b128 v[10:13], v1 offset:1152
	s_wait_loadcnt_dscnt 0x201
	v_mul_f64_e32 v[36:37], v[2:3], v[28:29]
	v_mul_f64_e32 v[28:29], v[4:5], v[28:29]
	v_add_f64_e32 v[14:15], v[14:15], v[18:19]
	v_add_f64_e32 v[16:17], v[20:21], v[34:35]
	s_wait_loadcnt_dscnt 0x100
	v_mul_f64_e32 v[18:19], v[10:11], v[32:33]
	v_mul_f64_e32 v[20:21], v[12:13], v[32:33]
	v_fma_f64 v[22:23], v[4:5], v[26:27], v[36:37]
	v_fma_f64 v[24:25], v[2:3], v[26:27], -v[28:29]
	ds_load_b128 v[2:5], v1 offset:1168
	v_add_f64_e32 v[6:7], v[14:15], v[6:7]
	v_add_f64_e32 v[8:9], v[16:17], v[8:9]
	v_fma_f64 v[12:13], v[12:13], v[30:31], v[18:19]
	v_fma_f64 v[10:11], v[10:11], v[30:31], -v[20:21]
	s_wait_loadcnt_dscnt 0x0
	v_mul_f64_e32 v[14:15], v[2:3], v[115:116]
	v_mul_f64_e32 v[16:17], v[4:5], v[115:116]
	v_add_f64_e32 v[6:7], v[6:7], v[24:25]
	v_add_f64_e32 v[8:9], v[8:9], v[22:23]
	s_delay_alu instid0(VALU_DEP_4) | instskip(NEXT) | instid1(VALU_DEP_4)
	v_fma_f64 v[4:5], v[4:5], v[113:114], v[14:15]
	v_fma_f64 v[2:3], v[2:3], v[113:114], -v[16:17]
	s_delay_alu instid0(VALU_DEP_4) | instskip(NEXT) | instid1(VALU_DEP_4)
	v_add_f64_e32 v[6:7], v[6:7], v[10:11]
	v_add_f64_e32 v[8:9], v[8:9], v[12:13]
	s_delay_alu instid0(VALU_DEP_2) | instskip(NEXT) | instid1(VALU_DEP_2)
	v_add_f64_e32 v[2:3], v[6:7], v[2:3]
	v_add_f64_e32 v[4:5], v[8:9], v[4:5]
	s_delay_alu instid0(VALU_DEP_2) | instskip(NEXT) | instid1(VALU_DEP_2)
	v_add_f64_e64 v[2:3], v[117:118], -v[2:3]
	v_add_f64_e64 v[4:5], v[119:120], -v[4:5]
	scratch_store_b128 off, v[2:5], off offset:128
	v_cmpx_lt_u32_e32 6, v0
	s_cbranch_execz .LBB100_223
; %bb.222:
	scratch_load_b128 v[5:8], off, s5
	v_dual_mov_b32 v2, v1 :: v_dual_mov_b32 v3, v1
	v_mov_b32_e32 v4, v1
	scratch_store_b128 off, v[1:4], off offset:112
	s_wait_loadcnt 0x0
	ds_store_b128 v112, v[5:8]
.LBB100_223:
	s_wait_alu 0xfffe
	s_or_b32 exec_lo, exec_lo, s0
	s_wait_storecnt_dscnt 0x0
	s_barrier_signal -1
	s_barrier_wait -1
	global_inv scope:SCOPE_SE
	s_clause 0x8
	scratch_load_b128 v[2:5], off, off offset:128
	scratch_load_b128 v[6:9], off, off offset:144
	scratch_load_b128 v[10:13], off, off offset:160
	scratch_load_b128 v[14:17], off, off offset:176
	scratch_load_b128 v[18:21], off, off offset:192
	scratch_load_b128 v[22:25], off, off offset:208
	scratch_load_b128 v[26:29], off, off offset:224
	scratch_load_b128 v[30:33], off, off offset:240
	scratch_load_b128 v[34:37], off, off offset:256
	ds_load_b128 v[113:116], v1 offset:704
	ds_load_b128 v[117:120], v1 offset:720
	s_clause 0x1
	scratch_load_b128 v[121:124], off, off offset:112
	scratch_load_b128 v[125:128], off, off offset:272
	s_mov_b32 s0, exec_lo
	s_wait_loadcnt_dscnt 0xa01
	v_mul_f64_e32 v[129:130], v[115:116], v[4:5]
	v_mul_f64_e32 v[4:5], v[113:114], v[4:5]
	s_wait_loadcnt_dscnt 0x900
	v_mul_f64_e32 v[133:134], v[117:118], v[8:9]
	v_mul_f64_e32 v[8:9], v[119:120], v[8:9]
	s_delay_alu instid0(VALU_DEP_4) | instskip(NEXT) | instid1(VALU_DEP_4)
	v_fma_f64 v[135:136], v[113:114], v[2:3], -v[129:130]
	v_fma_f64 v[137:138], v[115:116], v[2:3], v[4:5]
	ds_load_b128 v[2:5], v1 offset:736
	ds_load_b128 v[129:132], v1 offset:752
	scratch_load_b128 v[113:116], off, off offset:288
	v_fma_f64 v[119:120], v[119:120], v[6:7], v[133:134]
	v_fma_f64 v[117:118], v[117:118], v[6:7], -v[8:9]
	scratch_load_b128 v[6:9], off, off offset:304
	s_wait_loadcnt_dscnt 0xa01
	v_mul_f64_e32 v[139:140], v[2:3], v[12:13]
	v_mul_f64_e32 v[12:13], v[4:5], v[12:13]
	v_add_f64_e32 v[133:134], 0, v[135:136]
	v_add_f64_e32 v[135:136], 0, v[137:138]
	s_wait_loadcnt_dscnt 0x900
	v_mul_f64_e32 v[137:138], v[129:130], v[16:17]
	v_mul_f64_e32 v[16:17], v[131:132], v[16:17]
	v_fma_f64 v[139:140], v[4:5], v[10:11], v[139:140]
	v_fma_f64 v[141:142], v[2:3], v[10:11], -v[12:13]
	ds_load_b128 v[2:5], v1 offset:768
	scratch_load_b128 v[10:13], off, off offset:320
	v_add_f64_e32 v[133:134], v[133:134], v[117:118]
	v_add_f64_e32 v[135:136], v[135:136], v[119:120]
	ds_load_b128 v[117:120], v1 offset:784
	v_fma_f64 v[131:132], v[131:132], v[14:15], v[137:138]
	v_fma_f64 v[129:130], v[129:130], v[14:15], -v[16:17]
	scratch_load_b128 v[14:17], off, off offset:336
	s_wait_loadcnt_dscnt 0xa01
	v_mul_f64_e32 v[143:144], v[2:3], v[20:21]
	v_mul_f64_e32 v[20:21], v[4:5], v[20:21]
	s_wait_loadcnt_dscnt 0x900
	v_mul_f64_e32 v[137:138], v[117:118], v[24:25]
	v_mul_f64_e32 v[24:25], v[119:120], v[24:25]
	v_add_f64_e32 v[133:134], v[133:134], v[141:142]
	v_add_f64_e32 v[135:136], v[135:136], v[139:140]
	v_fma_f64 v[139:140], v[4:5], v[18:19], v[143:144]
	v_fma_f64 v[141:142], v[2:3], v[18:19], -v[20:21]
	ds_load_b128 v[2:5], v1 offset:800
	scratch_load_b128 v[18:21], off, off offset:352
	v_fma_f64 v[119:120], v[119:120], v[22:23], v[137:138]
	v_fma_f64 v[117:118], v[117:118], v[22:23], -v[24:25]
	scratch_load_b128 v[22:25], off, off offset:368
	v_add_f64_e32 v[133:134], v[133:134], v[129:130]
	v_add_f64_e32 v[135:136], v[135:136], v[131:132]
	ds_load_b128 v[129:132], v1 offset:816
	s_wait_loadcnt_dscnt 0xa01
	v_mul_f64_e32 v[143:144], v[2:3], v[28:29]
	v_mul_f64_e32 v[28:29], v[4:5], v[28:29]
	s_wait_loadcnt_dscnt 0x900
	v_mul_f64_e32 v[137:138], v[129:130], v[32:33]
	v_mul_f64_e32 v[32:33], v[131:132], v[32:33]
	v_add_f64_e32 v[133:134], v[133:134], v[141:142]
	v_add_f64_e32 v[135:136], v[135:136], v[139:140]
	v_fma_f64 v[139:140], v[4:5], v[26:27], v[143:144]
	v_fma_f64 v[141:142], v[2:3], v[26:27], -v[28:29]
	ds_load_b128 v[2:5], v1 offset:832
	scratch_load_b128 v[26:29], off, off offset:384
	v_fma_f64 v[131:132], v[131:132], v[30:31], v[137:138]
	v_fma_f64 v[129:130], v[129:130], v[30:31], -v[32:33]
	scratch_load_b128 v[30:33], off, off offset:400
	v_add_f64_e32 v[133:134], v[133:134], v[117:118]
	v_add_f64_e32 v[135:136], v[135:136], v[119:120]
	ds_load_b128 v[117:120], v1 offset:848
	s_wait_loadcnt_dscnt 0xa01
	v_mul_f64_e32 v[143:144], v[2:3], v[36:37]
	v_mul_f64_e32 v[36:37], v[4:5], v[36:37]
	s_wait_loadcnt_dscnt 0x800
	v_mul_f64_e32 v[137:138], v[117:118], v[127:128]
	v_add_f64_e32 v[133:134], v[133:134], v[141:142]
	v_add_f64_e32 v[135:136], v[135:136], v[139:140]
	v_mul_f64_e32 v[139:140], v[119:120], v[127:128]
	v_fma_f64 v[141:142], v[4:5], v[34:35], v[143:144]
	v_fma_f64 v[143:144], v[2:3], v[34:35], -v[36:37]
	ds_load_b128 v[2:5], v1 offset:864
	scratch_load_b128 v[34:37], off, off offset:416
	v_fma_f64 v[119:120], v[119:120], v[125:126], v[137:138]
	v_add_f64_e32 v[133:134], v[133:134], v[129:130]
	v_add_f64_e32 v[131:132], v[135:136], v[131:132]
	ds_load_b128 v[127:130], v1 offset:880
	v_fma_f64 v[125:126], v[117:118], v[125:126], -v[139:140]
	s_wait_loadcnt_dscnt 0x801
	v_mul_f64_e32 v[135:136], v[2:3], v[115:116]
	v_mul_f64_e32 v[145:146], v[4:5], v[115:116]
	scratch_load_b128 v[115:118], off, off offset:432
	s_wait_loadcnt_dscnt 0x800
	v_mul_f64_e32 v[139:140], v[127:128], v[8:9]
	v_mul_f64_e32 v[8:9], v[129:130], v[8:9]
	v_add_f64_e32 v[133:134], v[133:134], v[143:144]
	v_add_f64_e32 v[131:132], v[131:132], v[141:142]
	v_fma_f64 v[141:142], v[4:5], v[113:114], v[135:136]
	v_fma_f64 v[113:114], v[2:3], v[113:114], -v[145:146]
	ds_load_b128 v[2:5], v1 offset:896
	ds_load_b128 v[135:138], v1 offset:912
	v_fma_f64 v[129:130], v[129:130], v[6:7], v[139:140]
	v_fma_f64 v[127:128], v[127:128], v[6:7], -v[8:9]
	scratch_load_b128 v[6:9], off, off offset:464
	v_add_f64_e32 v[125:126], v[133:134], v[125:126]
	v_add_f64_e32 v[119:120], v[131:132], v[119:120]
	scratch_load_b128 v[131:134], off, off offset:448
	s_wait_loadcnt_dscnt 0x901
	v_mul_f64_e32 v[143:144], v[2:3], v[12:13]
	v_mul_f64_e32 v[12:13], v[4:5], v[12:13]
	s_wait_loadcnt_dscnt 0x800
	v_mul_f64_e32 v[139:140], v[135:136], v[16:17]
	v_mul_f64_e32 v[16:17], v[137:138], v[16:17]
	v_add_f64_e32 v[113:114], v[125:126], v[113:114]
	v_add_f64_e32 v[119:120], v[119:120], v[141:142]
	v_fma_f64 v[141:142], v[4:5], v[10:11], v[143:144]
	v_fma_f64 v[143:144], v[2:3], v[10:11], -v[12:13]
	ds_load_b128 v[2:5], v1 offset:928
	scratch_load_b128 v[10:13], off, off offset:480
	v_fma_f64 v[137:138], v[137:138], v[14:15], v[139:140]
	v_fma_f64 v[135:136], v[135:136], v[14:15], -v[16:17]
	scratch_load_b128 v[14:17], off, off offset:496
	v_add_f64_e32 v[113:114], v[113:114], v[127:128]
	v_add_f64_e32 v[119:120], v[119:120], v[129:130]
	ds_load_b128 v[125:128], v1 offset:944
	s_wait_loadcnt_dscnt 0x901
	v_mul_f64_e32 v[129:130], v[2:3], v[20:21]
	v_mul_f64_e32 v[20:21], v[4:5], v[20:21]
	s_wait_loadcnt_dscnt 0x800
	v_mul_f64_e32 v[139:140], v[125:126], v[24:25]
	v_mul_f64_e32 v[24:25], v[127:128], v[24:25]
	v_add_f64_e32 v[113:114], v[113:114], v[143:144]
	v_add_f64_e32 v[119:120], v[119:120], v[141:142]
	v_fma_f64 v[129:130], v[4:5], v[18:19], v[129:130]
	v_fma_f64 v[141:142], v[2:3], v[18:19], -v[20:21]
	ds_load_b128 v[2:5], v1 offset:960
	scratch_load_b128 v[18:21], off, off offset:512
	v_fma_f64 v[127:128], v[127:128], v[22:23], v[139:140]
	v_fma_f64 v[125:126], v[125:126], v[22:23], -v[24:25]
	scratch_load_b128 v[22:25], off, off offset:528
	v_add_f64_e32 v[113:114], v[113:114], v[135:136]
	v_add_f64_e32 v[119:120], v[119:120], v[137:138]
	ds_load_b128 v[135:138], v1 offset:976
	s_wait_loadcnt_dscnt 0x901
	v_mul_f64_e32 v[143:144], v[2:3], v[28:29]
	v_mul_f64_e32 v[28:29], v[4:5], v[28:29]
	v_add_f64_e32 v[113:114], v[113:114], v[141:142]
	v_add_f64_e32 v[119:120], v[119:120], v[129:130]
	s_wait_loadcnt_dscnt 0x800
	v_mul_f64_e32 v[129:130], v[135:136], v[32:33]
	v_mul_f64_e32 v[32:33], v[137:138], v[32:33]
	v_fma_f64 v[139:140], v[4:5], v[26:27], v[143:144]
	v_fma_f64 v[141:142], v[2:3], v[26:27], -v[28:29]
	ds_load_b128 v[2:5], v1 offset:992
	scratch_load_b128 v[26:29], off, off offset:544
	v_add_f64_e32 v[113:114], v[113:114], v[125:126]
	v_add_f64_e32 v[119:120], v[119:120], v[127:128]
	ds_load_b128 v[125:128], v1 offset:1008
	s_wait_loadcnt_dscnt 0x801
	v_mul_f64_e32 v[143:144], v[2:3], v[36:37]
	v_mul_f64_e32 v[36:37], v[4:5], v[36:37]
	v_fma_f64 v[129:130], v[137:138], v[30:31], v[129:130]
	v_fma_f64 v[135:136], v[135:136], v[30:31], -v[32:33]
	scratch_load_b128 v[30:33], off, off offset:560
	s_wait_loadcnt_dscnt 0x800
	v_mul_f64_e32 v[137:138], v[125:126], v[117:118]
	v_add_f64_e32 v[113:114], v[113:114], v[141:142]
	v_add_f64_e32 v[119:120], v[119:120], v[139:140]
	v_mul_f64_e32 v[139:140], v[127:128], v[117:118]
	v_fma_f64 v[141:142], v[4:5], v[34:35], v[143:144]
	v_fma_f64 v[143:144], v[2:3], v[34:35], -v[36:37]
	ds_load_b128 v[2:5], v1 offset:1024
	scratch_load_b128 v[34:37], off, off offset:576
	v_fma_f64 v[127:128], v[127:128], v[115:116], v[137:138]
	v_add_f64_e32 v[113:114], v[113:114], v[135:136]
	v_add_f64_e32 v[129:130], v[119:120], v[129:130]
	ds_load_b128 v[117:120], v1 offset:1040
	v_fma_f64 v[125:126], v[125:126], v[115:116], -v[139:140]
	s_wait_loadcnt_dscnt 0x701
	v_mul_f64_e32 v[135:136], v[2:3], v[133:134]
	v_mul_f64_e32 v[133:134], v[4:5], v[133:134]
	s_wait_dscnt 0x0
	v_mul_f64_e32 v[139:140], v[117:118], v[8:9]
	v_mul_f64_e32 v[8:9], v[119:120], v[8:9]
	v_add_f64_e32 v[137:138], v[113:114], v[143:144]
	v_add_f64_e32 v[129:130], v[129:130], v[141:142]
	scratch_load_b128 v[113:116], off, off offset:592
	v_fma_f64 v[135:136], v[4:5], v[131:132], v[135:136]
	v_fma_f64 v[131:132], v[2:3], v[131:132], -v[133:134]
	v_fma_f64 v[119:120], v[119:120], v[6:7], v[139:140]
	v_fma_f64 v[6:7], v[117:118], v[6:7], -v[8:9]
	v_add_f64_e32 v[133:134], v[137:138], v[125:126]
	v_add_f64_e32 v[129:130], v[129:130], v[127:128]
	ds_load_b128 v[2:5], v1 offset:1056
	ds_load_b128 v[125:128], v1 offset:1072
	s_wait_loadcnt_dscnt 0x701
	v_mul_f64_e32 v[137:138], v[2:3], v[12:13]
	v_mul_f64_e32 v[12:13], v[4:5], v[12:13]
	v_add_f64_e32 v[8:9], v[133:134], v[131:132]
	v_add_f64_e32 v[117:118], v[129:130], v[135:136]
	s_wait_loadcnt_dscnt 0x600
	v_mul_f64_e32 v[129:130], v[125:126], v[16:17]
	v_mul_f64_e32 v[16:17], v[127:128], v[16:17]
	v_fma_f64 v[131:132], v[4:5], v[10:11], v[137:138]
	v_fma_f64 v[10:11], v[2:3], v[10:11], -v[12:13]
	v_add_f64_e32 v[12:13], v[8:9], v[6:7]
	v_add_f64_e32 v[117:118], v[117:118], v[119:120]
	ds_load_b128 v[2:5], v1 offset:1088
	ds_load_b128 v[6:9], v1 offset:1104
	v_fma_f64 v[127:128], v[127:128], v[14:15], v[129:130]
	v_fma_f64 v[14:15], v[125:126], v[14:15], -v[16:17]
	s_wait_loadcnt_dscnt 0x501
	v_mul_f64_e32 v[119:120], v[2:3], v[20:21]
	v_mul_f64_e32 v[20:21], v[4:5], v[20:21]
	s_wait_loadcnt_dscnt 0x400
	v_mul_f64_e32 v[16:17], v[6:7], v[24:25]
	v_mul_f64_e32 v[24:25], v[8:9], v[24:25]
	v_add_f64_e32 v[10:11], v[12:13], v[10:11]
	v_add_f64_e32 v[12:13], v[117:118], v[131:132]
	v_fma_f64 v[117:118], v[4:5], v[18:19], v[119:120]
	v_fma_f64 v[18:19], v[2:3], v[18:19], -v[20:21]
	v_fma_f64 v[8:9], v[8:9], v[22:23], v[16:17]
	v_fma_f64 v[6:7], v[6:7], v[22:23], -v[24:25]
	v_add_f64_e32 v[14:15], v[10:11], v[14:15]
	v_add_f64_e32 v[20:21], v[12:13], v[127:128]
	ds_load_b128 v[2:5], v1 offset:1120
	ds_load_b128 v[10:13], v1 offset:1136
	s_wait_loadcnt_dscnt 0x301
	v_mul_f64_e32 v[119:120], v[2:3], v[28:29]
	v_mul_f64_e32 v[28:29], v[4:5], v[28:29]
	v_add_f64_e32 v[14:15], v[14:15], v[18:19]
	v_add_f64_e32 v[16:17], v[20:21], v[117:118]
	s_wait_loadcnt_dscnt 0x200
	v_mul_f64_e32 v[18:19], v[10:11], v[32:33]
	v_mul_f64_e32 v[20:21], v[12:13], v[32:33]
	v_fma_f64 v[22:23], v[4:5], v[26:27], v[119:120]
	v_fma_f64 v[24:25], v[2:3], v[26:27], -v[28:29]
	v_add_f64_e32 v[14:15], v[14:15], v[6:7]
	v_add_f64_e32 v[16:17], v[16:17], v[8:9]
	ds_load_b128 v[2:5], v1 offset:1152
	ds_load_b128 v[6:9], v1 offset:1168
	v_fma_f64 v[12:13], v[12:13], v[30:31], v[18:19]
	v_fma_f64 v[10:11], v[10:11], v[30:31], -v[20:21]
	s_wait_loadcnt_dscnt 0x101
	v_mul_f64_e32 v[26:27], v[2:3], v[36:37]
	v_mul_f64_e32 v[28:29], v[4:5], v[36:37]
	v_add_f64_e32 v[14:15], v[14:15], v[24:25]
	v_add_f64_e32 v[16:17], v[16:17], v[22:23]
	s_wait_loadcnt_dscnt 0x0
	v_mul_f64_e32 v[18:19], v[6:7], v[115:116]
	v_mul_f64_e32 v[20:21], v[8:9], v[115:116]
	v_fma_f64 v[4:5], v[4:5], v[34:35], v[26:27]
	v_fma_f64 v[1:2], v[2:3], v[34:35], -v[28:29]
	v_add_f64_e32 v[10:11], v[14:15], v[10:11]
	v_add_f64_e32 v[12:13], v[16:17], v[12:13]
	v_fma_f64 v[8:9], v[8:9], v[113:114], v[18:19]
	v_fma_f64 v[6:7], v[6:7], v[113:114], -v[20:21]
	s_delay_alu instid0(VALU_DEP_4) | instskip(NEXT) | instid1(VALU_DEP_4)
	v_add_f64_e32 v[1:2], v[10:11], v[1:2]
	v_add_f64_e32 v[3:4], v[12:13], v[4:5]
	s_delay_alu instid0(VALU_DEP_2) | instskip(NEXT) | instid1(VALU_DEP_2)
	v_add_f64_e32 v[1:2], v[1:2], v[6:7]
	v_add_f64_e32 v[3:4], v[3:4], v[8:9]
	s_delay_alu instid0(VALU_DEP_2) | instskip(NEXT) | instid1(VALU_DEP_2)
	v_add_f64_e64 v[1:2], v[121:122], -v[1:2]
	v_add_f64_e64 v[3:4], v[123:124], -v[3:4]
	scratch_store_b128 off, v[1:4], off offset:112
	v_cmpx_lt_u32_e32 5, v0
	s_cbranch_execz .LBB100_225
; %bb.224:
	scratch_load_b128 v[1:4], off, s27
	v_mov_b32_e32 v5, 0
	s_delay_alu instid0(VALU_DEP_1)
	v_dual_mov_b32 v6, v5 :: v_dual_mov_b32 v7, v5
	v_mov_b32_e32 v8, v5
	scratch_store_b128 off, v[5:8], off offset:96
	s_wait_loadcnt 0x0
	ds_store_b128 v112, v[1:4]
.LBB100_225:
	s_wait_alu 0xfffe
	s_or_b32 exec_lo, exec_lo, s0
	s_wait_storecnt_dscnt 0x0
	s_barrier_signal -1
	s_barrier_wait -1
	global_inv scope:SCOPE_SE
	s_clause 0x7
	scratch_load_b128 v[2:5], off, off offset:112
	scratch_load_b128 v[6:9], off, off offset:128
	scratch_load_b128 v[10:13], off, off offset:144
	scratch_load_b128 v[14:17], off, off offset:160
	scratch_load_b128 v[18:21], off, off offset:176
	scratch_load_b128 v[22:25], off, off offset:192
	scratch_load_b128 v[26:29], off, off offset:208
	scratch_load_b128 v[30:33], off, off offset:224
	v_mov_b32_e32 v1, 0
	s_mov_b32 s0, exec_lo
	ds_load_b128 v[34:37], v1 offset:688
	s_clause 0x1
	scratch_load_b128 v[113:116], off, off offset:240
	scratch_load_b128 v[117:120], off, off offset:96
	ds_load_b128 v[121:124], v1 offset:704
	scratch_load_b128 v[125:128], off, off offset:256
	s_wait_loadcnt_dscnt 0xa01
	v_mul_f64_e32 v[129:130], v[36:37], v[4:5]
	v_mul_f64_e32 v[4:5], v[34:35], v[4:5]
	s_delay_alu instid0(VALU_DEP_2) | instskip(NEXT) | instid1(VALU_DEP_2)
	v_fma_f64 v[135:136], v[34:35], v[2:3], -v[129:130]
	v_fma_f64 v[137:138], v[36:37], v[2:3], v[4:5]
	ds_load_b128 v[2:5], v1 offset:720
	s_wait_loadcnt_dscnt 0x901
	v_mul_f64_e32 v[133:134], v[121:122], v[8:9]
	v_mul_f64_e32 v[8:9], v[123:124], v[8:9]
	scratch_load_b128 v[34:37], off, off offset:272
	ds_load_b128 v[129:132], v1 offset:736
	s_wait_loadcnt_dscnt 0x901
	v_mul_f64_e32 v[139:140], v[2:3], v[12:13]
	v_mul_f64_e32 v[12:13], v[4:5], v[12:13]
	v_fma_f64 v[123:124], v[123:124], v[6:7], v[133:134]
	v_fma_f64 v[121:122], v[121:122], v[6:7], -v[8:9]
	v_add_f64_e32 v[133:134], 0, v[135:136]
	v_add_f64_e32 v[135:136], 0, v[137:138]
	scratch_load_b128 v[6:9], off, off offset:288
	v_fma_f64 v[139:140], v[4:5], v[10:11], v[139:140]
	v_fma_f64 v[141:142], v[2:3], v[10:11], -v[12:13]
	ds_load_b128 v[2:5], v1 offset:752
	s_wait_loadcnt_dscnt 0x901
	v_mul_f64_e32 v[137:138], v[129:130], v[16:17]
	v_mul_f64_e32 v[16:17], v[131:132], v[16:17]
	scratch_load_b128 v[10:13], off, off offset:304
	v_add_f64_e32 v[133:134], v[133:134], v[121:122]
	v_add_f64_e32 v[135:136], v[135:136], v[123:124]
	s_wait_loadcnt_dscnt 0x900
	v_mul_f64_e32 v[143:144], v[2:3], v[20:21]
	v_mul_f64_e32 v[20:21], v[4:5], v[20:21]
	ds_load_b128 v[121:124], v1 offset:768
	v_fma_f64 v[131:132], v[131:132], v[14:15], v[137:138]
	v_fma_f64 v[129:130], v[129:130], v[14:15], -v[16:17]
	scratch_load_b128 v[14:17], off, off offset:320
	v_add_f64_e32 v[133:134], v[133:134], v[141:142]
	v_add_f64_e32 v[135:136], v[135:136], v[139:140]
	v_fma_f64 v[139:140], v[4:5], v[18:19], v[143:144]
	v_fma_f64 v[141:142], v[2:3], v[18:19], -v[20:21]
	ds_load_b128 v[2:5], v1 offset:784
	s_wait_loadcnt_dscnt 0x901
	v_mul_f64_e32 v[137:138], v[121:122], v[24:25]
	v_mul_f64_e32 v[24:25], v[123:124], v[24:25]
	scratch_load_b128 v[18:21], off, off offset:336
	s_wait_loadcnt_dscnt 0x900
	v_mul_f64_e32 v[143:144], v[2:3], v[28:29]
	v_mul_f64_e32 v[28:29], v[4:5], v[28:29]
	v_add_f64_e32 v[133:134], v[133:134], v[129:130]
	v_add_f64_e32 v[135:136], v[135:136], v[131:132]
	ds_load_b128 v[129:132], v1 offset:800
	v_fma_f64 v[123:124], v[123:124], v[22:23], v[137:138]
	v_fma_f64 v[121:122], v[121:122], v[22:23], -v[24:25]
	scratch_load_b128 v[22:25], off, off offset:352
	v_add_f64_e32 v[133:134], v[133:134], v[141:142]
	v_add_f64_e32 v[135:136], v[135:136], v[139:140]
	v_fma_f64 v[139:140], v[4:5], v[26:27], v[143:144]
	v_fma_f64 v[141:142], v[2:3], v[26:27], -v[28:29]
	ds_load_b128 v[2:5], v1 offset:816
	s_wait_loadcnt_dscnt 0x901
	v_mul_f64_e32 v[137:138], v[129:130], v[32:33]
	v_mul_f64_e32 v[32:33], v[131:132], v[32:33]
	scratch_load_b128 v[26:29], off, off offset:368
	s_wait_loadcnt_dscnt 0x900
	v_mul_f64_e32 v[143:144], v[2:3], v[115:116]
	v_mul_f64_e32 v[115:116], v[4:5], v[115:116]
	v_add_f64_e32 v[133:134], v[133:134], v[121:122]
	v_add_f64_e32 v[135:136], v[135:136], v[123:124]
	ds_load_b128 v[121:124], v1 offset:832
	v_fma_f64 v[131:132], v[131:132], v[30:31], v[137:138]
	v_fma_f64 v[129:130], v[129:130], v[30:31], -v[32:33]
	scratch_load_b128 v[30:33], off, off offset:384
	v_add_f64_e32 v[133:134], v[133:134], v[141:142]
	v_add_f64_e32 v[135:136], v[135:136], v[139:140]
	v_fma_f64 v[141:142], v[4:5], v[113:114], v[143:144]
	v_fma_f64 v[143:144], v[2:3], v[113:114], -v[115:116]
	ds_load_b128 v[2:5], v1 offset:848
	s_wait_loadcnt_dscnt 0x801
	v_mul_f64_e32 v[137:138], v[121:122], v[127:128]
	v_mul_f64_e32 v[139:140], v[123:124], v[127:128]
	scratch_load_b128 v[113:116], off, off offset:400
	v_add_f64_e32 v[133:134], v[133:134], v[129:130]
	v_add_f64_e32 v[131:132], v[135:136], v[131:132]
	ds_load_b128 v[127:130], v1 offset:864
	v_fma_f64 v[137:138], v[123:124], v[125:126], v[137:138]
	v_fma_f64 v[125:126], v[121:122], v[125:126], -v[139:140]
	scratch_load_b128 v[121:124], off, off offset:416
	s_wait_loadcnt_dscnt 0x901
	v_mul_f64_e32 v[135:136], v[2:3], v[36:37]
	v_mul_f64_e32 v[36:37], v[4:5], v[36:37]
	v_add_f64_e32 v[133:134], v[133:134], v[143:144]
	v_add_f64_e32 v[131:132], v[131:132], v[141:142]
	s_delay_alu instid0(VALU_DEP_4) | instskip(NEXT) | instid1(VALU_DEP_4)
	v_fma_f64 v[135:136], v[4:5], v[34:35], v[135:136]
	v_fma_f64 v[141:142], v[2:3], v[34:35], -v[36:37]
	ds_load_b128 v[2:5], v1 offset:880
	s_wait_loadcnt_dscnt 0x801
	v_mul_f64_e32 v[139:140], v[127:128], v[8:9]
	v_mul_f64_e32 v[8:9], v[129:130], v[8:9]
	scratch_load_b128 v[34:37], off, off offset:432
	s_wait_loadcnt_dscnt 0x800
	v_mul_f64_e32 v[143:144], v[2:3], v[12:13]
	v_add_f64_e32 v[125:126], v[133:134], v[125:126]
	v_add_f64_e32 v[137:138], v[131:132], v[137:138]
	v_mul_f64_e32 v[12:13], v[4:5], v[12:13]
	ds_load_b128 v[131:134], v1 offset:896
	v_fma_f64 v[129:130], v[129:130], v[6:7], v[139:140]
	v_fma_f64 v[127:128], v[127:128], v[6:7], -v[8:9]
	scratch_load_b128 v[6:9], off, off offset:448
	v_fma_f64 v[139:140], v[4:5], v[10:11], v[143:144]
	v_add_f64_e32 v[125:126], v[125:126], v[141:142]
	v_add_f64_e32 v[135:136], v[137:138], v[135:136]
	v_fma_f64 v[141:142], v[2:3], v[10:11], -v[12:13]
	ds_load_b128 v[2:5], v1 offset:912
	s_wait_loadcnt_dscnt 0x801
	v_mul_f64_e32 v[137:138], v[131:132], v[16:17]
	v_mul_f64_e32 v[16:17], v[133:134], v[16:17]
	scratch_load_b128 v[10:13], off, off offset:464
	v_add_f64_e32 v[143:144], v[125:126], v[127:128]
	v_add_f64_e32 v[129:130], v[135:136], v[129:130]
	s_wait_loadcnt_dscnt 0x800
	v_mul_f64_e32 v[135:136], v[2:3], v[20:21]
	v_mul_f64_e32 v[20:21], v[4:5], v[20:21]
	v_fma_f64 v[133:134], v[133:134], v[14:15], v[137:138]
	v_fma_f64 v[131:132], v[131:132], v[14:15], -v[16:17]
	ds_load_b128 v[125:128], v1 offset:928
	scratch_load_b128 v[14:17], off, off offset:480
	v_add_f64_e32 v[137:138], v[143:144], v[141:142]
	v_add_f64_e32 v[129:130], v[129:130], v[139:140]
	v_fma_f64 v[135:136], v[4:5], v[18:19], v[135:136]
	v_fma_f64 v[141:142], v[2:3], v[18:19], -v[20:21]
	ds_load_b128 v[2:5], v1 offset:944
	s_wait_loadcnt_dscnt 0x801
	v_mul_f64_e32 v[139:140], v[125:126], v[24:25]
	v_mul_f64_e32 v[24:25], v[127:128], v[24:25]
	scratch_load_b128 v[18:21], off, off offset:496
	s_wait_loadcnt_dscnt 0x800
	v_mul_f64_e32 v[143:144], v[2:3], v[28:29]
	v_mul_f64_e32 v[28:29], v[4:5], v[28:29]
	v_add_f64_e32 v[137:138], v[137:138], v[131:132]
	v_add_f64_e32 v[133:134], v[129:130], v[133:134]
	ds_load_b128 v[129:132], v1 offset:960
	v_fma_f64 v[127:128], v[127:128], v[22:23], v[139:140]
	v_fma_f64 v[125:126], v[125:126], v[22:23], -v[24:25]
	scratch_load_b128 v[22:25], off, off offset:512
	v_fma_f64 v[139:140], v[4:5], v[26:27], v[143:144]
	v_add_f64_e32 v[137:138], v[137:138], v[141:142]
	v_add_f64_e32 v[133:134], v[133:134], v[135:136]
	v_fma_f64 v[141:142], v[2:3], v[26:27], -v[28:29]
	ds_load_b128 v[2:5], v1 offset:976
	s_wait_loadcnt_dscnt 0x801
	v_mul_f64_e32 v[135:136], v[129:130], v[32:33]
	v_mul_f64_e32 v[32:33], v[131:132], v[32:33]
	scratch_load_b128 v[26:29], off, off offset:528
	s_wait_loadcnt_dscnt 0x800
	v_mul_f64_e32 v[143:144], v[2:3], v[115:116]
	v_mul_f64_e32 v[115:116], v[4:5], v[115:116]
	v_add_f64_e32 v[137:138], v[137:138], v[125:126]
	v_add_f64_e32 v[133:134], v[133:134], v[127:128]
	ds_load_b128 v[125:128], v1 offset:992
	v_fma_f64 v[131:132], v[131:132], v[30:31], v[135:136]
	v_fma_f64 v[129:130], v[129:130], v[30:31], -v[32:33]
	scratch_load_b128 v[30:33], off, off offset:544
	v_add_f64_e32 v[135:136], v[137:138], v[141:142]
	v_add_f64_e32 v[133:134], v[133:134], v[139:140]
	v_fma_f64 v[139:140], v[4:5], v[113:114], v[143:144]
	v_fma_f64 v[141:142], v[2:3], v[113:114], -v[115:116]
	ds_load_b128 v[2:5], v1 offset:1008
	s_wait_loadcnt_dscnt 0x801
	v_mul_f64_e32 v[137:138], v[125:126], v[123:124]
	v_mul_f64_e32 v[123:124], v[127:128], v[123:124]
	scratch_load_b128 v[113:116], off, off offset:560
	s_wait_loadcnt_dscnt 0x800
	v_mul_f64_e32 v[143:144], v[2:3], v[36:37]
	v_mul_f64_e32 v[36:37], v[4:5], v[36:37]
	v_add_f64_e32 v[135:136], v[135:136], v[129:130]
	v_add_f64_e32 v[133:134], v[133:134], v[131:132]
	ds_load_b128 v[129:132], v1 offset:1024
	v_fma_f64 v[127:128], v[127:128], v[121:122], v[137:138]
	v_fma_f64 v[125:126], v[125:126], v[121:122], -v[123:124]
	scratch_load_b128 v[121:124], off, off offset:576
	v_add_f64_e32 v[135:136], v[135:136], v[141:142]
	v_add_f64_e32 v[133:134], v[133:134], v[139:140]
	v_fma_f64 v[139:140], v[4:5], v[34:35], v[143:144]
	v_fma_f64 v[141:142], v[2:3], v[34:35], -v[36:37]
	ds_load_b128 v[2:5], v1 offset:1040
	s_wait_loadcnt_dscnt 0x801
	v_mul_f64_e32 v[137:138], v[129:130], v[8:9]
	v_mul_f64_e32 v[8:9], v[131:132], v[8:9]
	scratch_load_b128 v[34:37], off, off offset:592
	s_wait_loadcnt_dscnt 0x800
	v_mul_f64_e32 v[143:144], v[2:3], v[12:13]
	v_mul_f64_e32 v[12:13], v[4:5], v[12:13]
	v_add_f64_e32 v[135:136], v[135:136], v[125:126]
	v_add_f64_e32 v[133:134], v[133:134], v[127:128]
	ds_load_b128 v[125:128], v1 offset:1056
	v_fma_f64 v[131:132], v[131:132], v[6:7], v[137:138]
	v_fma_f64 v[6:7], v[129:130], v[6:7], -v[8:9]
	v_add_f64_e32 v[8:9], v[135:136], v[141:142]
	v_add_f64_e32 v[129:130], v[133:134], v[139:140]
	s_wait_loadcnt_dscnt 0x700
	v_mul_f64_e32 v[133:134], v[125:126], v[16:17]
	v_mul_f64_e32 v[16:17], v[127:128], v[16:17]
	v_fma_f64 v[135:136], v[4:5], v[10:11], v[143:144]
	v_fma_f64 v[10:11], v[2:3], v[10:11], -v[12:13]
	v_add_f64_e32 v[12:13], v[8:9], v[6:7]
	v_add_f64_e32 v[129:130], v[129:130], v[131:132]
	ds_load_b128 v[2:5], v1 offset:1072
	ds_load_b128 v[6:9], v1 offset:1088
	v_fma_f64 v[127:128], v[127:128], v[14:15], v[133:134]
	v_fma_f64 v[14:15], v[125:126], v[14:15], -v[16:17]
	s_wait_loadcnt_dscnt 0x601
	v_mul_f64_e32 v[131:132], v[2:3], v[20:21]
	v_mul_f64_e32 v[20:21], v[4:5], v[20:21]
	s_wait_loadcnt_dscnt 0x500
	v_mul_f64_e32 v[16:17], v[6:7], v[24:25]
	v_mul_f64_e32 v[24:25], v[8:9], v[24:25]
	v_add_f64_e32 v[10:11], v[12:13], v[10:11]
	v_add_f64_e32 v[12:13], v[129:130], v[135:136]
	v_fma_f64 v[125:126], v[4:5], v[18:19], v[131:132]
	v_fma_f64 v[18:19], v[2:3], v[18:19], -v[20:21]
	v_fma_f64 v[8:9], v[8:9], v[22:23], v[16:17]
	v_fma_f64 v[6:7], v[6:7], v[22:23], -v[24:25]
	v_add_f64_e32 v[14:15], v[10:11], v[14:15]
	v_add_f64_e32 v[20:21], v[12:13], v[127:128]
	ds_load_b128 v[2:5], v1 offset:1104
	ds_load_b128 v[10:13], v1 offset:1120
	s_wait_loadcnt_dscnt 0x401
	v_mul_f64_e32 v[127:128], v[2:3], v[28:29]
	v_mul_f64_e32 v[28:29], v[4:5], v[28:29]
	v_add_f64_e32 v[14:15], v[14:15], v[18:19]
	v_add_f64_e32 v[16:17], v[20:21], v[125:126]
	s_wait_loadcnt_dscnt 0x300
	v_mul_f64_e32 v[18:19], v[10:11], v[32:33]
	v_mul_f64_e32 v[20:21], v[12:13], v[32:33]
	v_fma_f64 v[22:23], v[4:5], v[26:27], v[127:128]
	v_fma_f64 v[24:25], v[2:3], v[26:27], -v[28:29]
	v_add_f64_e32 v[14:15], v[14:15], v[6:7]
	v_add_f64_e32 v[16:17], v[16:17], v[8:9]
	ds_load_b128 v[2:5], v1 offset:1136
	ds_load_b128 v[6:9], v1 offset:1152
	v_fma_f64 v[12:13], v[12:13], v[30:31], v[18:19]
	v_fma_f64 v[10:11], v[10:11], v[30:31], -v[20:21]
	s_wait_loadcnt_dscnt 0x201
	v_mul_f64_e32 v[26:27], v[2:3], v[115:116]
	v_mul_f64_e32 v[28:29], v[4:5], v[115:116]
	s_wait_loadcnt_dscnt 0x100
	v_mul_f64_e32 v[18:19], v[6:7], v[123:124]
	v_mul_f64_e32 v[20:21], v[8:9], v[123:124]
	v_add_f64_e32 v[14:15], v[14:15], v[24:25]
	v_add_f64_e32 v[16:17], v[16:17], v[22:23]
	v_fma_f64 v[22:23], v[4:5], v[113:114], v[26:27]
	v_fma_f64 v[24:25], v[2:3], v[113:114], -v[28:29]
	ds_load_b128 v[2:5], v1 offset:1168
	v_fma_f64 v[8:9], v[8:9], v[121:122], v[18:19]
	v_fma_f64 v[6:7], v[6:7], v[121:122], -v[20:21]
	v_add_f64_e32 v[10:11], v[14:15], v[10:11]
	v_add_f64_e32 v[12:13], v[16:17], v[12:13]
	s_wait_loadcnt_dscnt 0x0
	v_mul_f64_e32 v[14:15], v[2:3], v[36:37]
	v_mul_f64_e32 v[16:17], v[4:5], v[36:37]
	s_delay_alu instid0(VALU_DEP_4) | instskip(NEXT) | instid1(VALU_DEP_4)
	v_add_f64_e32 v[10:11], v[10:11], v[24:25]
	v_add_f64_e32 v[12:13], v[12:13], v[22:23]
	s_delay_alu instid0(VALU_DEP_4) | instskip(NEXT) | instid1(VALU_DEP_4)
	v_fma_f64 v[4:5], v[4:5], v[34:35], v[14:15]
	v_fma_f64 v[2:3], v[2:3], v[34:35], -v[16:17]
	s_delay_alu instid0(VALU_DEP_4) | instskip(NEXT) | instid1(VALU_DEP_4)
	v_add_f64_e32 v[6:7], v[10:11], v[6:7]
	v_add_f64_e32 v[8:9], v[12:13], v[8:9]
	s_delay_alu instid0(VALU_DEP_2) | instskip(NEXT) | instid1(VALU_DEP_2)
	v_add_f64_e32 v[2:3], v[6:7], v[2:3]
	v_add_f64_e32 v[4:5], v[8:9], v[4:5]
	s_delay_alu instid0(VALU_DEP_2) | instskip(NEXT) | instid1(VALU_DEP_2)
	v_add_f64_e64 v[2:3], v[117:118], -v[2:3]
	v_add_f64_e64 v[4:5], v[119:120], -v[4:5]
	scratch_store_b128 off, v[2:5], off offset:96
	v_cmpx_lt_u32_e32 4, v0
	s_cbranch_execz .LBB100_227
; %bb.226:
	scratch_load_b128 v[5:8], off, s4
	v_dual_mov_b32 v2, v1 :: v_dual_mov_b32 v3, v1
	v_mov_b32_e32 v4, v1
	scratch_store_b128 off, v[1:4], off offset:80
	s_wait_loadcnt 0x0
	ds_store_b128 v112, v[5:8]
.LBB100_227:
	s_wait_alu 0xfffe
	s_or_b32 exec_lo, exec_lo, s0
	s_wait_storecnt_dscnt 0x0
	s_barrier_signal -1
	s_barrier_wait -1
	global_inv scope:SCOPE_SE
	s_clause 0x8
	scratch_load_b128 v[2:5], off, off offset:96
	scratch_load_b128 v[6:9], off, off offset:112
	;; [unrolled: 1-line block ×9, first 2 shown]
	ds_load_b128 v[113:116], v1 offset:672
	ds_load_b128 v[117:120], v1 offset:688
	s_clause 0x1
	scratch_load_b128 v[121:124], off, off offset:80
	scratch_load_b128 v[125:128], off, off offset:240
	s_mov_b32 s0, exec_lo
	s_wait_loadcnt_dscnt 0xa01
	v_mul_f64_e32 v[129:130], v[115:116], v[4:5]
	v_mul_f64_e32 v[4:5], v[113:114], v[4:5]
	s_wait_loadcnt_dscnt 0x900
	v_mul_f64_e32 v[133:134], v[117:118], v[8:9]
	v_mul_f64_e32 v[8:9], v[119:120], v[8:9]
	s_delay_alu instid0(VALU_DEP_4) | instskip(NEXT) | instid1(VALU_DEP_4)
	v_fma_f64 v[135:136], v[113:114], v[2:3], -v[129:130]
	v_fma_f64 v[137:138], v[115:116], v[2:3], v[4:5]
	ds_load_b128 v[2:5], v1 offset:704
	ds_load_b128 v[129:132], v1 offset:720
	scratch_load_b128 v[113:116], off, off offset:256
	v_fma_f64 v[119:120], v[119:120], v[6:7], v[133:134]
	v_fma_f64 v[117:118], v[117:118], v[6:7], -v[8:9]
	scratch_load_b128 v[6:9], off, off offset:272
	s_wait_loadcnt_dscnt 0xa01
	v_mul_f64_e32 v[139:140], v[2:3], v[12:13]
	v_mul_f64_e32 v[12:13], v[4:5], v[12:13]
	v_add_f64_e32 v[133:134], 0, v[135:136]
	v_add_f64_e32 v[135:136], 0, v[137:138]
	s_wait_loadcnt_dscnt 0x900
	v_mul_f64_e32 v[137:138], v[129:130], v[16:17]
	v_mul_f64_e32 v[16:17], v[131:132], v[16:17]
	v_fma_f64 v[139:140], v[4:5], v[10:11], v[139:140]
	v_fma_f64 v[141:142], v[2:3], v[10:11], -v[12:13]
	ds_load_b128 v[2:5], v1 offset:736
	scratch_load_b128 v[10:13], off, off offset:288
	v_add_f64_e32 v[133:134], v[133:134], v[117:118]
	v_add_f64_e32 v[135:136], v[135:136], v[119:120]
	ds_load_b128 v[117:120], v1 offset:752
	v_fma_f64 v[131:132], v[131:132], v[14:15], v[137:138]
	v_fma_f64 v[129:130], v[129:130], v[14:15], -v[16:17]
	scratch_load_b128 v[14:17], off, off offset:304
	s_wait_loadcnt_dscnt 0xa01
	v_mul_f64_e32 v[143:144], v[2:3], v[20:21]
	v_mul_f64_e32 v[20:21], v[4:5], v[20:21]
	s_wait_loadcnt_dscnt 0x900
	v_mul_f64_e32 v[137:138], v[117:118], v[24:25]
	v_mul_f64_e32 v[24:25], v[119:120], v[24:25]
	v_add_f64_e32 v[133:134], v[133:134], v[141:142]
	v_add_f64_e32 v[135:136], v[135:136], v[139:140]
	v_fma_f64 v[139:140], v[4:5], v[18:19], v[143:144]
	v_fma_f64 v[141:142], v[2:3], v[18:19], -v[20:21]
	ds_load_b128 v[2:5], v1 offset:768
	scratch_load_b128 v[18:21], off, off offset:320
	v_fma_f64 v[119:120], v[119:120], v[22:23], v[137:138]
	v_fma_f64 v[117:118], v[117:118], v[22:23], -v[24:25]
	scratch_load_b128 v[22:25], off, off offset:336
	v_add_f64_e32 v[133:134], v[133:134], v[129:130]
	v_add_f64_e32 v[135:136], v[135:136], v[131:132]
	ds_load_b128 v[129:132], v1 offset:784
	s_wait_loadcnt_dscnt 0xa01
	v_mul_f64_e32 v[143:144], v[2:3], v[28:29]
	v_mul_f64_e32 v[28:29], v[4:5], v[28:29]
	s_wait_loadcnt_dscnt 0x900
	v_mul_f64_e32 v[137:138], v[129:130], v[32:33]
	v_mul_f64_e32 v[32:33], v[131:132], v[32:33]
	v_add_f64_e32 v[133:134], v[133:134], v[141:142]
	v_add_f64_e32 v[135:136], v[135:136], v[139:140]
	v_fma_f64 v[139:140], v[4:5], v[26:27], v[143:144]
	v_fma_f64 v[141:142], v[2:3], v[26:27], -v[28:29]
	ds_load_b128 v[2:5], v1 offset:800
	scratch_load_b128 v[26:29], off, off offset:352
	v_fma_f64 v[131:132], v[131:132], v[30:31], v[137:138]
	v_fma_f64 v[129:130], v[129:130], v[30:31], -v[32:33]
	scratch_load_b128 v[30:33], off, off offset:368
	v_add_f64_e32 v[133:134], v[133:134], v[117:118]
	v_add_f64_e32 v[135:136], v[135:136], v[119:120]
	ds_load_b128 v[117:120], v1 offset:816
	s_wait_loadcnt_dscnt 0xa01
	v_mul_f64_e32 v[143:144], v[2:3], v[36:37]
	v_mul_f64_e32 v[36:37], v[4:5], v[36:37]
	s_wait_loadcnt_dscnt 0x800
	v_mul_f64_e32 v[137:138], v[117:118], v[127:128]
	v_add_f64_e32 v[133:134], v[133:134], v[141:142]
	v_add_f64_e32 v[135:136], v[135:136], v[139:140]
	v_mul_f64_e32 v[139:140], v[119:120], v[127:128]
	v_fma_f64 v[141:142], v[4:5], v[34:35], v[143:144]
	v_fma_f64 v[143:144], v[2:3], v[34:35], -v[36:37]
	ds_load_b128 v[2:5], v1 offset:832
	scratch_load_b128 v[34:37], off, off offset:384
	v_fma_f64 v[119:120], v[119:120], v[125:126], v[137:138]
	v_add_f64_e32 v[133:134], v[133:134], v[129:130]
	v_add_f64_e32 v[131:132], v[135:136], v[131:132]
	ds_load_b128 v[127:130], v1 offset:848
	v_fma_f64 v[125:126], v[117:118], v[125:126], -v[139:140]
	s_wait_loadcnt_dscnt 0x801
	v_mul_f64_e32 v[135:136], v[2:3], v[115:116]
	v_mul_f64_e32 v[145:146], v[4:5], v[115:116]
	scratch_load_b128 v[115:118], off, off offset:400
	s_wait_loadcnt_dscnt 0x800
	v_mul_f64_e32 v[139:140], v[127:128], v[8:9]
	v_mul_f64_e32 v[8:9], v[129:130], v[8:9]
	v_add_f64_e32 v[133:134], v[133:134], v[143:144]
	v_add_f64_e32 v[131:132], v[131:132], v[141:142]
	v_fma_f64 v[141:142], v[4:5], v[113:114], v[135:136]
	v_fma_f64 v[113:114], v[2:3], v[113:114], -v[145:146]
	ds_load_b128 v[2:5], v1 offset:864
	ds_load_b128 v[135:138], v1 offset:880
	v_fma_f64 v[129:130], v[129:130], v[6:7], v[139:140]
	v_fma_f64 v[127:128], v[127:128], v[6:7], -v[8:9]
	scratch_load_b128 v[6:9], off, off offset:432
	v_add_f64_e32 v[125:126], v[133:134], v[125:126]
	v_add_f64_e32 v[119:120], v[131:132], v[119:120]
	scratch_load_b128 v[131:134], off, off offset:416
	s_wait_loadcnt_dscnt 0x901
	v_mul_f64_e32 v[143:144], v[2:3], v[12:13]
	v_mul_f64_e32 v[12:13], v[4:5], v[12:13]
	s_wait_loadcnt_dscnt 0x800
	v_mul_f64_e32 v[139:140], v[135:136], v[16:17]
	v_mul_f64_e32 v[16:17], v[137:138], v[16:17]
	v_add_f64_e32 v[113:114], v[125:126], v[113:114]
	v_add_f64_e32 v[119:120], v[119:120], v[141:142]
	v_fma_f64 v[141:142], v[4:5], v[10:11], v[143:144]
	v_fma_f64 v[143:144], v[2:3], v[10:11], -v[12:13]
	ds_load_b128 v[2:5], v1 offset:896
	scratch_load_b128 v[10:13], off, off offset:448
	v_fma_f64 v[137:138], v[137:138], v[14:15], v[139:140]
	v_fma_f64 v[135:136], v[135:136], v[14:15], -v[16:17]
	scratch_load_b128 v[14:17], off, off offset:464
	v_add_f64_e32 v[113:114], v[113:114], v[127:128]
	v_add_f64_e32 v[119:120], v[119:120], v[129:130]
	ds_load_b128 v[125:128], v1 offset:912
	s_wait_loadcnt_dscnt 0x901
	v_mul_f64_e32 v[129:130], v[2:3], v[20:21]
	v_mul_f64_e32 v[20:21], v[4:5], v[20:21]
	s_wait_loadcnt_dscnt 0x800
	v_mul_f64_e32 v[139:140], v[125:126], v[24:25]
	v_mul_f64_e32 v[24:25], v[127:128], v[24:25]
	v_add_f64_e32 v[113:114], v[113:114], v[143:144]
	v_add_f64_e32 v[119:120], v[119:120], v[141:142]
	v_fma_f64 v[129:130], v[4:5], v[18:19], v[129:130]
	v_fma_f64 v[141:142], v[2:3], v[18:19], -v[20:21]
	ds_load_b128 v[2:5], v1 offset:928
	scratch_load_b128 v[18:21], off, off offset:480
	v_fma_f64 v[127:128], v[127:128], v[22:23], v[139:140]
	v_fma_f64 v[125:126], v[125:126], v[22:23], -v[24:25]
	scratch_load_b128 v[22:25], off, off offset:496
	v_add_f64_e32 v[113:114], v[113:114], v[135:136]
	v_add_f64_e32 v[119:120], v[119:120], v[137:138]
	ds_load_b128 v[135:138], v1 offset:944
	s_wait_loadcnt_dscnt 0x901
	v_mul_f64_e32 v[143:144], v[2:3], v[28:29]
	v_mul_f64_e32 v[28:29], v[4:5], v[28:29]
	v_add_f64_e32 v[113:114], v[113:114], v[141:142]
	v_add_f64_e32 v[119:120], v[119:120], v[129:130]
	s_wait_loadcnt_dscnt 0x800
	v_mul_f64_e32 v[129:130], v[135:136], v[32:33]
	v_mul_f64_e32 v[32:33], v[137:138], v[32:33]
	v_fma_f64 v[139:140], v[4:5], v[26:27], v[143:144]
	v_fma_f64 v[141:142], v[2:3], v[26:27], -v[28:29]
	ds_load_b128 v[2:5], v1 offset:960
	scratch_load_b128 v[26:29], off, off offset:512
	v_add_f64_e32 v[113:114], v[113:114], v[125:126]
	v_add_f64_e32 v[119:120], v[119:120], v[127:128]
	ds_load_b128 v[125:128], v1 offset:976
	s_wait_loadcnt_dscnt 0x801
	v_mul_f64_e32 v[143:144], v[2:3], v[36:37]
	v_mul_f64_e32 v[36:37], v[4:5], v[36:37]
	v_fma_f64 v[129:130], v[137:138], v[30:31], v[129:130]
	v_fma_f64 v[135:136], v[135:136], v[30:31], -v[32:33]
	scratch_load_b128 v[30:33], off, off offset:528
	s_wait_loadcnt_dscnt 0x800
	v_mul_f64_e32 v[137:138], v[125:126], v[117:118]
	v_add_f64_e32 v[113:114], v[113:114], v[141:142]
	v_add_f64_e32 v[119:120], v[119:120], v[139:140]
	v_mul_f64_e32 v[139:140], v[127:128], v[117:118]
	v_fma_f64 v[141:142], v[4:5], v[34:35], v[143:144]
	v_fma_f64 v[143:144], v[2:3], v[34:35], -v[36:37]
	ds_load_b128 v[2:5], v1 offset:992
	scratch_load_b128 v[34:37], off, off offset:544
	v_fma_f64 v[127:128], v[127:128], v[115:116], v[137:138]
	v_add_f64_e32 v[113:114], v[113:114], v[135:136]
	v_add_f64_e32 v[129:130], v[119:120], v[129:130]
	ds_load_b128 v[117:120], v1 offset:1008
	v_fma_f64 v[125:126], v[125:126], v[115:116], -v[139:140]
	s_wait_loadcnt_dscnt 0x701
	v_mul_f64_e32 v[135:136], v[2:3], v[133:134]
	v_mul_f64_e32 v[133:134], v[4:5], v[133:134]
	s_wait_dscnt 0x0
	v_mul_f64_e32 v[139:140], v[117:118], v[8:9]
	v_mul_f64_e32 v[8:9], v[119:120], v[8:9]
	v_add_f64_e32 v[137:138], v[113:114], v[143:144]
	v_add_f64_e32 v[129:130], v[129:130], v[141:142]
	scratch_load_b128 v[113:116], off, off offset:560
	v_fma_f64 v[135:136], v[4:5], v[131:132], v[135:136]
	v_fma_f64 v[133:134], v[2:3], v[131:132], -v[133:134]
	ds_load_b128 v[2:5], v1 offset:1024
	v_fma_f64 v[119:120], v[119:120], v[6:7], v[139:140]
	v_fma_f64 v[117:118], v[117:118], v[6:7], -v[8:9]
	scratch_load_b128 v[6:9], off, off offset:592
	v_add_f64_e32 v[137:138], v[137:138], v[125:126]
	v_add_f64_e32 v[141:142], v[129:130], v[127:128]
	scratch_load_b128 v[125:128], off, off offset:576
	ds_load_b128 v[129:132], v1 offset:1040
	s_wait_loadcnt_dscnt 0x901
	v_mul_f64_e32 v[143:144], v[2:3], v[12:13]
	v_mul_f64_e32 v[12:13], v[4:5], v[12:13]
	v_add_f64_e32 v[133:134], v[137:138], v[133:134]
	v_add_f64_e32 v[135:136], v[141:142], v[135:136]
	s_wait_loadcnt_dscnt 0x800
	v_mul_f64_e32 v[137:138], v[129:130], v[16:17]
	v_mul_f64_e32 v[16:17], v[131:132], v[16:17]
	v_fma_f64 v[139:140], v[4:5], v[10:11], v[143:144]
	v_fma_f64 v[141:142], v[2:3], v[10:11], -v[12:13]
	ds_load_b128 v[2:5], v1 offset:1056
	ds_load_b128 v[10:13], v1 offset:1072
	v_add_f64_e32 v[117:118], v[133:134], v[117:118]
	v_add_f64_e32 v[119:120], v[135:136], v[119:120]
	s_wait_loadcnt_dscnt 0x701
	v_mul_f64_e32 v[133:134], v[2:3], v[20:21]
	v_mul_f64_e32 v[20:21], v[4:5], v[20:21]
	v_fma_f64 v[131:132], v[131:132], v[14:15], v[137:138]
	v_fma_f64 v[14:15], v[129:130], v[14:15], -v[16:17]
	v_add_f64_e32 v[16:17], v[117:118], v[141:142]
	v_add_f64_e32 v[117:118], v[119:120], v[139:140]
	s_wait_loadcnt_dscnt 0x600
	v_mul_f64_e32 v[119:120], v[10:11], v[24:25]
	v_mul_f64_e32 v[24:25], v[12:13], v[24:25]
	v_fma_f64 v[129:130], v[4:5], v[18:19], v[133:134]
	v_fma_f64 v[18:19], v[2:3], v[18:19], -v[20:21]
	v_add_f64_e32 v[20:21], v[16:17], v[14:15]
	v_add_f64_e32 v[117:118], v[117:118], v[131:132]
	ds_load_b128 v[2:5], v1 offset:1088
	ds_load_b128 v[14:17], v1 offset:1104
	v_fma_f64 v[12:13], v[12:13], v[22:23], v[119:120]
	v_fma_f64 v[10:11], v[10:11], v[22:23], -v[24:25]
	s_wait_loadcnt_dscnt 0x501
	v_mul_f64_e32 v[131:132], v[2:3], v[28:29]
	v_mul_f64_e32 v[28:29], v[4:5], v[28:29]
	s_wait_loadcnt_dscnt 0x400
	v_mul_f64_e32 v[22:23], v[14:15], v[32:33]
	v_mul_f64_e32 v[24:25], v[16:17], v[32:33]
	v_add_f64_e32 v[18:19], v[20:21], v[18:19]
	v_add_f64_e32 v[20:21], v[117:118], v[129:130]
	v_fma_f64 v[32:33], v[4:5], v[26:27], v[131:132]
	v_fma_f64 v[26:27], v[2:3], v[26:27], -v[28:29]
	v_fma_f64 v[16:17], v[16:17], v[30:31], v[22:23]
	v_fma_f64 v[14:15], v[14:15], v[30:31], -v[24:25]
	v_add_f64_e32 v[18:19], v[18:19], v[10:11]
	v_add_f64_e32 v[20:21], v[20:21], v[12:13]
	ds_load_b128 v[2:5], v1 offset:1120
	ds_load_b128 v[10:13], v1 offset:1136
	s_wait_loadcnt_dscnt 0x301
	v_mul_f64_e32 v[28:29], v[2:3], v[36:37]
	v_mul_f64_e32 v[36:37], v[4:5], v[36:37]
	v_add_f64_e32 v[18:19], v[18:19], v[26:27]
	v_add_f64_e32 v[20:21], v[20:21], v[32:33]
	s_wait_loadcnt_dscnt 0x200
	v_mul_f64_e32 v[22:23], v[10:11], v[115:116]
	v_mul_f64_e32 v[24:25], v[12:13], v[115:116]
	v_fma_f64 v[26:27], v[4:5], v[34:35], v[28:29]
	v_fma_f64 v[28:29], v[2:3], v[34:35], -v[36:37]
	v_add_f64_e32 v[18:19], v[18:19], v[14:15]
	v_add_f64_e32 v[20:21], v[20:21], v[16:17]
	ds_load_b128 v[2:5], v1 offset:1152
	ds_load_b128 v[14:17], v1 offset:1168
	v_fma_f64 v[12:13], v[12:13], v[113:114], v[22:23]
	v_fma_f64 v[10:11], v[10:11], v[113:114], -v[24:25]
	s_wait_loadcnt_dscnt 0x1
	v_mul_f64_e32 v[30:31], v[2:3], v[127:128]
	v_mul_f64_e32 v[32:33], v[4:5], v[127:128]
	s_wait_dscnt 0x0
	v_mul_f64_e32 v[22:23], v[14:15], v[8:9]
	v_mul_f64_e32 v[8:9], v[16:17], v[8:9]
	v_add_f64_e32 v[18:19], v[18:19], v[28:29]
	v_add_f64_e32 v[20:21], v[20:21], v[26:27]
	v_fma_f64 v[4:5], v[4:5], v[125:126], v[30:31]
	v_fma_f64 v[1:2], v[2:3], v[125:126], -v[32:33]
	v_fma_f64 v[16:17], v[16:17], v[6:7], v[22:23]
	v_fma_f64 v[6:7], v[14:15], v[6:7], -v[8:9]
	v_add_f64_e32 v[10:11], v[18:19], v[10:11]
	v_add_f64_e32 v[12:13], v[20:21], v[12:13]
	s_delay_alu instid0(VALU_DEP_2) | instskip(NEXT) | instid1(VALU_DEP_2)
	v_add_f64_e32 v[1:2], v[10:11], v[1:2]
	v_add_f64_e32 v[3:4], v[12:13], v[4:5]
	s_delay_alu instid0(VALU_DEP_2) | instskip(NEXT) | instid1(VALU_DEP_2)
	;; [unrolled: 3-line block ×3, first 2 shown]
	v_add_f64_e64 v[1:2], v[121:122], -v[1:2]
	v_add_f64_e64 v[3:4], v[123:124], -v[3:4]
	scratch_store_b128 off, v[1:4], off offset:80
	v_cmpx_lt_u32_e32 3, v0
	s_cbranch_execz .LBB100_229
; %bb.228:
	scratch_load_b128 v[1:4], off, s26
	v_mov_b32_e32 v5, 0
	s_delay_alu instid0(VALU_DEP_1)
	v_dual_mov_b32 v6, v5 :: v_dual_mov_b32 v7, v5
	v_mov_b32_e32 v8, v5
	scratch_store_b128 off, v[5:8], off offset:64
	s_wait_loadcnt 0x0
	ds_store_b128 v112, v[1:4]
.LBB100_229:
	s_wait_alu 0xfffe
	s_or_b32 exec_lo, exec_lo, s0
	s_wait_storecnt_dscnt 0x0
	s_barrier_signal -1
	s_barrier_wait -1
	global_inv scope:SCOPE_SE
	s_clause 0x7
	scratch_load_b128 v[2:5], off, off offset:80
	scratch_load_b128 v[6:9], off, off offset:96
	;; [unrolled: 1-line block ×8, first 2 shown]
	v_mov_b32_e32 v1, 0
	s_mov_b32 s0, exec_lo
	ds_load_b128 v[34:37], v1 offset:656
	s_clause 0x1
	scratch_load_b128 v[113:116], off, off offset:208
	scratch_load_b128 v[117:120], off, off offset:64
	ds_load_b128 v[121:124], v1 offset:672
	scratch_load_b128 v[125:128], off, off offset:224
	s_wait_loadcnt_dscnt 0xa01
	v_mul_f64_e32 v[129:130], v[36:37], v[4:5]
	v_mul_f64_e32 v[4:5], v[34:35], v[4:5]
	s_delay_alu instid0(VALU_DEP_2) | instskip(NEXT) | instid1(VALU_DEP_2)
	v_fma_f64 v[135:136], v[34:35], v[2:3], -v[129:130]
	v_fma_f64 v[137:138], v[36:37], v[2:3], v[4:5]
	ds_load_b128 v[2:5], v1 offset:688
	s_wait_loadcnt_dscnt 0x901
	v_mul_f64_e32 v[133:134], v[121:122], v[8:9]
	v_mul_f64_e32 v[8:9], v[123:124], v[8:9]
	scratch_load_b128 v[34:37], off, off offset:240
	ds_load_b128 v[129:132], v1 offset:704
	s_wait_loadcnt_dscnt 0x901
	v_mul_f64_e32 v[139:140], v[2:3], v[12:13]
	v_mul_f64_e32 v[12:13], v[4:5], v[12:13]
	v_fma_f64 v[123:124], v[123:124], v[6:7], v[133:134]
	v_fma_f64 v[121:122], v[121:122], v[6:7], -v[8:9]
	v_add_f64_e32 v[133:134], 0, v[135:136]
	v_add_f64_e32 v[135:136], 0, v[137:138]
	scratch_load_b128 v[6:9], off, off offset:256
	v_fma_f64 v[139:140], v[4:5], v[10:11], v[139:140]
	v_fma_f64 v[141:142], v[2:3], v[10:11], -v[12:13]
	ds_load_b128 v[2:5], v1 offset:720
	s_wait_loadcnt_dscnt 0x901
	v_mul_f64_e32 v[137:138], v[129:130], v[16:17]
	v_mul_f64_e32 v[16:17], v[131:132], v[16:17]
	scratch_load_b128 v[10:13], off, off offset:272
	v_add_f64_e32 v[133:134], v[133:134], v[121:122]
	v_add_f64_e32 v[135:136], v[135:136], v[123:124]
	s_wait_loadcnt_dscnt 0x900
	v_mul_f64_e32 v[143:144], v[2:3], v[20:21]
	v_mul_f64_e32 v[20:21], v[4:5], v[20:21]
	ds_load_b128 v[121:124], v1 offset:736
	v_fma_f64 v[131:132], v[131:132], v[14:15], v[137:138]
	v_fma_f64 v[129:130], v[129:130], v[14:15], -v[16:17]
	scratch_load_b128 v[14:17], off, off offset:288
	v_add_f64_e32 v[133:134], v[133:134], v[141:142]
	v_add_f64_e32 v[135:136], v[135:136], v[139:140]
	v_fma_f64 v[139:140], v[4:5], v[18:19], v[143:144]
	v_fma_f64 v[141:142], v[2:3], v[18:19], -v[20:21]
	ds_load_b128 v[2:5], v1 offset:752
	s_wait_loadcnt_dscnt 0x901
	v_mul_f64_e32 v[137:138], v[121:122], v[24:25]
	v_mul_f64_e32 v[24:25], v[123:124], v[24:25]
	scratch_load_b128 v[18:21], off, off offset:304
	s_wait_loadcnt_dscnt 0x900
	v_mul_f64_e32 v[143:144], v[2:3], v[28:29]
	v_mul_f64_e32 v[28:29], v[4:5], v[28:29]
	v_add_f64_e32 v[133:134], v[133:134], v[129:130]
	v_add_f64_e32 v[135:136], v[135:136], v[131:132]
	ds_load_b128 v[129:132], v1 offset:768
	v_fma_f64 v[123:124], v[123:124], v[22:23], v[137:138]
	v_fma_f64 v[121:122], v[121:122], v[22:23], -v[24:25]
	scratch_load_b128 v[22:25], off, off offset:320
	v_add_f64_e32 v[133:134], v[133:134], v[141:142]
	v_add_f64_e32 v[135:136], v[135:136], v[139:140]
	v_fma_f64 v[139:140], v[4:5], v[26:27], v[143:144]
	v_fma_f64 v[141:142], v[2:3], v[26:27], -v[28:29]
	ds_load_b128 v[2:5], v1 offset:784
	s_wait_loadcnt_dscnt 0x901
	v_mul_f64_e32 v[137:138], v[129:130], v[32:33]
	v_mul_f64_e32 v[32:33], v[131:132], v[32:33]
	scratch_load_b128 v[26:29], off, off offset:336
	s_wait_loadcnt_dscnt 0x900
	v_mul_f64_e32 v[143:144], v[2:3], v[115:116]
	v_mul_f64_e32 v[115:116], v[4:5], v[115:116]
	v_add_f64_e32 v[133:134], v[133:134], v[121:122]
	v_add_f64_e32 v[135:136], v[135:136], v[123:124]
	ds_load_b128 v[121:124], v1 offset:800
	v_fma_f64 v[131:132], v[131:132], v[30:31], v[137:138]
	v_fma_f64 v[129:130], v[129:130], v[30:31], -v[32:33]
	scratch_load_b128 v[30:33], off, off offset:352
	v_add_f64_e32 v[133:134], v[133:134], v[141:142]
	v_add_f64_e32 v[135:136], v[135:136], v[139:140]
	v_fma_f64 v[141:142], v[4:5], v[113:114], v[143:144]
	v_fma_f64 v[143:144], v[2:3], v[113:114], -v[115:116]
	ds_load_b128 v[2:5], v1 offset:816
	s_wait_loadcnt_dscnt 0x801
	v_mul_f64_e32 v[137:138], v[121:122], v[127:128]
	v_mul_f64_e32 v[139:140], v[123:124], v[127:128]
	scratch_load_b128 v[113:116], off, off offset:368
	v_add_f64_e32 v[133:134], v[133:134], v[129:130]
	v_add_f64_e32 v[131:132], v[135:136], v[131:132]
	ds_load_b128 v[127:130], v1 offset:832
	v_fma_f64 v[137:138], v[123:124], v[125:126], v[137:138]
	v_fma_f64 v[125:126], v[121:122], v[125:126], -v[139:140]
	scratch_load_b128 v[121:124], off, off offset:384
	s_wait_loadcnt_dscnt 0x901
	v_mul_f64_e32 v[135:136], v[2:3], v[36:37]
	v_mul_f64_e32 v[36:37], v[4:5], v[36:37]
	v_add_f64_e32 v[133:134], v[133:134], v[143:144]
	v_add_f64_e32 v[131:132], v[131:132], v[141:142]
	s_delay_alu instid0(VALU_DEP_4) | instskip(NEXT) | instid1(VALU_DEP_4)
	v_fma_f64 v[135:136], v[4:5], v[34:35], v[135:136]
	v_fma_f64 v[141:142], v[2:3], v[34:35], -v[36:37]
	ds_load_b128 v[2:5], v1 offset:848
	s_wait_loadcnt_dscnt 0x801
	v_mul_f64_e32 v[139:140], v[127:128], v[8:9]
	v_mul_f64_e32 v[8:9], v[129:130], v[8:9]
	scratch_load_b128 v[34:37], off, off offset:400
	s_wait_loadcnt_dscnt 0x800
	v_mul_f64_e32 v[143:144], v[2:3], v[12:13]
	v_add_f64_e32 v[125:126], v[133:134], v[125:126]
	v_add_f64_e32 v[137:138], v[131:132], v[137:138]
	v_mul_f64_e32 v[12:13], v[4:5], v[12:13]
	ds_load_b128 v[131:134], v1 offset:864
	v_fma_f64 v[129:130], v[129:130], v[6:7], v[139:140]
	v_fma_f64 v[127:128], v[127:128], v[6:7], -v[8:9]
	scratch_load_b128 v[6:9], off, off offset:416
	v_fma_f64 v[139:140], v[4:5], v[10:11], v[143:144]
	v_add_f64_e32 v[125:126], v[125:126], v[141:142]
	v_add_f64_e32 v[135:136], v[137:138], v[135:136]
	v_fma_f64 v[141:142], v[2:3], v[10:11], -v[12:13]
	ds_load_b128 v[2:5], v1 offset:880
	s_wait_loadcnt_dscnt 0x801
	v_mul_f64_e32 v[137:138], v[131:132], v[16:17]
	v_mul_f64_e32 v[16:17], v[133:134], v[16:17]
	scratch_load_b128 v[10:13], off, off offset:432
	v_add_f64_e32 v[143:144], v[125:126], v[127:128]
	v_add_f64_e32 v[129:130], v[135:136], v[129:130]
	s_wait_loadcnt_dscnt 0x800
	v_mul_f64_e32 v[135:136], v[2:3], v[20:21]
	v_mul_f64_e32 v[20:21], v[4:5], v[20:21]
	v_fma_f64 v[133:134], v[133:134], v[14:15], v[137:138]
	v_fma_f64 v[131:132], v[131:132], v[14:15], -v[16:17]
	ds_load_b128 v[125:128], v1 offset:896
	scratch_load_b128 v[14:17], off, off offset:448
	v_add_f64_e32 v[137:138], v[143:144], v[141:142]
	v_add_f64_e32 v[129:130], v[129:130], v[139:140]
	v_fma_f64 v[135:136], v[4:5], v[18:19], v[135:136]
	v_fma_f64 v[141:142], v[2:3], v[18:19], -v[20:21]
	ds_load_b128 v[2:5], v1 offset:912
	s_wait_loadcnt_dscnt 0x801
	v_mul_f64_e32 v[139:140], v[125:126], v[24:25]
	v_mul_f64_e32 v[24:25], v[127:128], v[24:25]
	scratch_load_b128 v[18:21], off, off offset:464
	s_wait_loadcnt_dscnt 0x800
	v_mul_f64_e32 v[143:144], v[2:3], v[28:29]
	v_mul_f64_e32 v[28:29], v[4:5], v[28:29]
	v_add_f64_e32 v[137:138], v[137:138], v[131:132]
	v_add_f64_e32 v[133:134], v[129:130], v[133:134]
	ds_load_b128 v[129:132], v1 offset:928
	v_fma_f64 v[127:128], v[127:128], v[22:23], v[139:140]
	v_fma_f64 v[125:126], v[125:126], v[22:23], -v[24:25]
	scratch_load_b128 v[22:25], off, off offset:480
	v_fma_f64 v[139:140], v[4:5], v[26:27], v[143:144]
	v_add_f64_e32 v[137:138], v[137:138], v[141:142]
	v_add_f64_e32 v[133:134], v[133:134], v[135:136]
	v_fma_f64 v[141:142], v[2:3], v[26:27], -v[28:29]
	ds_load_b128 v[2:5], v1 offset:944
	s_wait_loadcnt_dscnt 0x801
	v_mul_f64_e32 v[135:136], v[129:130], v[32:33]
	v_mul_f64_e32 v[32:33], v[131:132], v[32:33]
	scratch_load_b128 v[26:29], off, off offset:496
	s_wait_loadcnt_dscnt 0x800
	v_mul_f64_e32 v[143:144], v[2:3], v[115:116]
	v_mul_f64_e32 v[115:116], v[4:5], v[115:116]
	v_add_f64_e32 v[137:138], v[137:138], v[125:126]
	v_add_f64_e32 v[133:134], v[133:134], v[127:128]
	ds_load_b128 v[125:128], v1 offset:960
	v_fma_f64 v[131:132], v[131:132], v[30:31], v[135:136]
	v_fma_f64 v[129:130], v[129:130], v[30:31], -v[32:33]
	scratch_load_b128 v[30:33], off, off offset:512
	v_add_f64_e32 v[135:136], v[137:138], v[141:142]
	v_add_f64_e32 v[133:134], v[133:134], v[139:140]
	v_fma_f64 v[139:140], v[4:5], v[113:114], v[143:144]
	v_fma_f64 v[141:142], v[2:3], v[113:114], -v[115:116]
	ds_load_b128 v[2:5], v1 offset:976
	s_wait_loadcnt_dscnt 0x801
	v_mul_f64_e32 v[137:138], v[125:126], v[123:124]
	v_mul_f64_e32 v[123:124], v[127:128], v[123:124]
	scratch_load_b128 v[113:116], off, off offset:528
	s_wait_loadcnt_dscnt 0x800
	v_mul_f64_e32 v[143:144], v[2:3], v[36:37]
	v_mul_f64_e32 v[36:37], v[4:5], v[36:37]
	v_add_f64_e32 v[135:136], v[135:136], v[129:130]
	v_add_f64_e32 v[133:134], v[133:134], v[131:132]
	ds_load_b128 v[129:132], v1 offset:992
	v_fma_f64 v[127:128], v[127:128], v[121:122], v[137:138]
	v_fma_f64 v[125:126], v[125:126], v[121:122], -v[123:124]
	scratch_load_b128 v[121:124], off, off offset:544
	v_add_f64_e32 v[135:136], v[135:136], v[141:142]
	v_add_f64_e32 v[133:134], v[133:134], v[139:140]
	v_fma_f64 v[139:140], v[4:5], v[34:35], v[143:144]
	;; [unrolled: 18-line block ×3, first 2 shown]
	v_fma_f64 v[141:142], v[2:3], v[10:11], -v[12:13]
	ds_load_b128 v[2:5], v1 offset:1040
	s_wait_loadcnt_dscnt 0x801
	v_mul_f64_e32 v[137:138], v[125:126], v[16:17]
	v_mul_f64_e32 v[16:17], v[127:128], v[16:17]
	scratch_load_b128 v[10:13], off, off offset:592
	s_wait_loadcnt_dscnt 0x800
	v_mul_f64_e32 v[143:144], v[2:3], v[20:21]
	v_mul_f64_e32 v[20:21], v[4:5], v[20:21]
	v_add_f64_e32 v[135:136], v[135:136], v[129:130]
	v_add_f64_e32 v[133:134], v[133:134], v[131:132]
	ds_load_b128 v[129:132], v1 offset:1056
	v_fma_f64 v[127:128], v[127:128], v[14:15], v[137:138]
	v_fma_f64 v[14:15], v[125:126], v[14:15], -v[16:17]
	v_add_f64_e32 v[16:17], v[135:136], v[141:142]
	v_add_f64_e32 v[125:126], v[133:134], v[139:140]
	s_wait_loadcnt_dscnt 0x700
	v_mul_f64_e32 v[133:134], v[129:130], v[24:25]
	v_mul_f64_e32 v[24:25], v[131:132], v[24:25]
	v_fma_f64 v[135:136], v[4:5], v[18:19], v[143:144]
	v_fma_f64 v[18:19], v[2:3], v[18:19], -v[20:21]
	v_add_f64_e32 v[20:21], v[16:17], v[14:15]
	v_add_f64_e32 v[125:126], v[125:126], v[127:128]
	ds_load_b128 v[2:5], v1 offset:1072
	ds_load_b128 v[14:17], v1 offset:1088
	v_fma_f64 v[131:132], v[131:132], v[22:23], v[133:134]
	v_fma_f64 v[22:23], v[129:130], v[22:23], -v[24:25]
	s_wait_loadcnt_dscnt 0x601
	v_mul_f64_e32 v[127:128], v[2:3], v[28:29]
	v_mul_f64_e32 v[28:29], v[4:5], v[28:29]
	s_wait_loadcnt_dscnt 0x500
	v_mul_f64_e32 v[24:25], v[14:15], v[32:33]
	v_mul_f64_e32 v[32:33], v[16:17], v[32:33]
	v_add_f64_e32 v[18:19], v[20:21], v[18:19]
	v_add_f64_e32 v[20:21], v[125:126], v[135:136]
	v_fma_f64 v[125:126], v[4:5], v[26:27], v[127:128]
	v_fma_f64 v[26:27], v[2:3], v[26:27], -v[28:29]
	v_fma_f64 v[16:17], v[16:17], v[30:31], v[24:25]
	v_fma_f64 v[14:15], v[14:15], v[30:31], -v[32:33]
	v_add_f64_e32 v[22:23], v[18:19], v[22:23]
	v_add_f64_e32 v[28:29], v[20:21], v[131:132]
	ds_load_b128 v[2:5], v1 offset:1104
	ds_load_b128 v[18:21], v1 offset:1120
	s_wait_loadcnt_dscnt 0x401
	v_mul_f64_e32 v[127:128], v[2:3], v[115:116]
	v_mul_f64_e32 v[115:116], v[4:5], v[115:116]
	v_add_f64_e32 v[22:23], v[22:23], v[26:27]
	v_add_f64_e32 v[24:25], v[28:29], v[125:126]
	s_wait_loadcnt_dscnt 0x300
	v_mul_f64_e32 v[26:27], v[18:19], v[123:124]
	v_mul_f64_e32 v[28:29], v[20:21], v[123:124]
	v_fma_f64 v[30:31], v[4:5], v[113:114], v[127:128]
	v_fma_f64 v[32:33], v[2:3], v[113:114], -v[115:116]
	v_add_f64_e32 v[22:23], v[22:23], v[14:15]
	v_add_f64_e32 v[24:25], v[24:25], v[16:17]
	ds_load_b128 v[2:5], v1 offset:1136
	ds_load_b128 v[14:17], v1 offset:1152
	v_fma_f64 v[20:21], v[20:21], v[121:122], v[26:27]
	v_fma_f64 v[18:19], v[18:19], v[121:122], -v[28:29]
	s_wait_loadcnt_dscnt 0x201
	v_mul_f64_e32 v[113:114], v[2:3], v[36:37]
	v_mul_f64_e32 v[36:37], v[4:5], v[36:37]
	s_wait_loadcnt_dscnt 0x100
	v_mul_f64_e32 v[26:27], v[14:15], v[8:9]
	v_mul_f64_e32 v[8:9], v[16:17], v[8:9]
	v_add_f64_e32 v[22:23], v[22:23], v[32:33]
	v_add_f64_e32 v[24:25], v[24:25], v[30:31]
	v_fma_f64 v[28:29], v[4:5], v[34:35], v[113:114]
	v_fma_f64 v[30:31], v[2:3], v[34:35], -v[36:37]
	ds_load_b128 v[2:5], v1 offset:1168
	v_fma_f64 v[16:17], v[16:17], v[6:7], v[26:27]
	v_fma_f64 v[6:7], v[14:15], v[6:7], -v[8:9]
	v_add_f64_e32 v[18:19], v[22:23], v[18:19]
	v_add_f64_e32 v[20:21], v[24:25], v[20:21]
	s_wait_loadcnt_dscnt 0x0
	v_mul_f64_e32 v[22:23], v[2:3], v[12:13]
	v_mul_f64_e32 v[12:13], v[4:5], v[12:13]
	s_delay_alu instid0(VALU_DEP_4) | instskip(NEXT) | instid1(VALU_DEP_4)
	v_add_f64_e32 v[8:9], v[18:19], v[30:31]
	v_add_f64_e32 v[14:15], v[20:21], v[28:29]
	s_delay_alu instid0(VALU_DEP_4) | instskip(NEXT) | instid1(VALU_DEP_4)
	v_fma_f64 v[4:5], v[4:5], v[10:11], v[22:23]
	v_fma_f64 v[2:3], v[2:3], v[10:11], -v[12:13]
	s_delay_alu instid0(VALU_DEP_4) | instskip(NEXT) | instid1(VALU_DEP_4)
	v_add_f64_e32 v[6:7], v[8:9], v[6:7]
	v_add_f64_e32 v[8:9], v[14:15], v[16:17]
	s_delay_alu instid0(VALU_DEP_2) | instskip(NEXT) | instid1(VALU_DEP_2)
	v_add_f64_e32 v[2:3], v[6:7], v[2:3]
	v_add_f64_e32 v[4:5], v[8:9], v[4:5]
	s_delay_alu instid0(VALU_DEP_2) | instskip(NEXT) | instid1(VALU_DEP_2)
	v_add_f64_e64 v[2:3], v[117:118], -v[2:3]
	v_add_f64_e64 v[4:5], v[119:120], -v[4:5]
	scratch_store_b128 off, v[2:5], off offset:64
	v_cmpx_lt_u32_e32 2, v0
	s_cbranch_execz .LBB100_231
; %bb.230:
	scratch_load_b128 v[5:8], off, s44
	v_dual_mov_b32 v2, v1 :: v_dual_mov_b32 v3, v1
	v_mov_b32_e32 v4, v1
	scratch_store_b128 off, v[1:4], off offset:48
	s_wait_loadcnt 0x0
	ds_store_b128 v112, v[5:8]
.LBB100_231:
	s_wait_alu 0xfffe
	s_or_b32 exec_lo, exec_lo, s0
	s_wait_storecnt_dscnt 0x0
	s_barrier_signal -1
	s_barrier_wait -1
	global_inv scope:SCOPE_SE
	s_clause 0x8
	scratch_load_b128 v[2:5], off, off offset:64
	scratch_load_b128 v[6:9], off, off offset:80
	;; [unrolled: 1-line block ×9, first 2 shown]
	ds_load_b128 v[113:116], v1 offset:640
	ds_load_b128 v[117:120], v1 offset:656
	s_clause 0x1
	scratch_load_b128 v[121:124], off, off offset:48
	scratch_load_b128 v[125:128], off, off offset:208
	s_mov_b32 s0, exec_lo
	s_wait_loadcnt_dscnt 0xa01
	v_mul_f64_e32 v[129:130], v[115:116], v[4:5]
	v_mul_f64_e32 v[4:5], v[113:114], v[4:5]
	s_wait_loadcnt_dscnt 0x900
	v_mul_f64_e32 v[133:134], v[117:118], v[8:9]
	v_mul_f64_e32 v[8:9], v[119:120], v[8:9]
	s_delay_alu instid0(VALU_DEP_4) | instskip(NEXT) | instid1(VALU_DEP_4)
	v_fma_f64 v[135:136], v[113:114], v[2:3], -v[129:130]
	v_fma_f64 v[137:138], v[115:116], v[2:3], v[4:5]
	ds_load_b128 v[2:5], v1 offset:672
	ds_load_b128 v[129:132], v1 offset:688
	scratch_load_b128 v[113:116], off, off offset:224
	v_fma_f64 v[119:120], v[119:120], v[6:7], v[133:134]
	v_fma_f64 v[117:118], v[117:118], v[6:7], -v[8:9]
	scratch_load_b128 v[6:9], off, off offset:240
	s_wait_loadcnt_dscnt 0xa01
	v_mul_f64_e32 v[139:140], v[2:3], v[12:13]
	v_mul_f64_e32 v[12:13], v[4:5], v[12:13]
	v_add_f64_e32 v[133:134], 0, v[135:136]
	v_add_f64_e32 v[135:136], 0, v[137:138]
	s_wait_loadcnt_dscnt 0x900
	v_mul_f64_e32 v[137:138], v[129:130], v[16:17]
	v_mul_f64_e32 v[16:17], v[131:132], v[16:17]
	v_fma_f64 v[139:140], v[4:5], v[10:11], v[139:140]
	v_fma_f64 v[141:142], v[2:3], v[10:11], -v[12:13]
	ds_load_b128 v[2:5], v1 offset:704
	scratch_load_b128 v[10:13], off, off offset:256
	v_add_f64_e32 v[133:134], v[133:134], v[117:118]
	v_add_f64_e32 v[135:136], v[135:136], v[119:120]
	ds_load_b128 v[117:120], v1 offset:720
	v_fma_f64 v[131:132], v[131:132], v[14:15], v[137:138]
	v_fma_f64 v[129:130], v[129:130], v[14:15], -v[16:17]
	scratch_load_b128 v[14:17], off, off offset:272
	s_wait_loadcnt_dscnt 0xa01
	v_mul_f64_e32 v[143:144], v[2:3], v[20:21]
	v_mul_f64_e32 v[20:21], v[4:5], v[20:21]
	s_wait_loadcnt_dscnt 0x900
	v_mul_f64_e32 v[137:138], v[117:118], v[24:25]
	v_mul_f64_e32 v[24:25], v[119:120], v[24:25]
	v_add_f64_e32 v[133:134], v[133:134], v[141:142]
	v_add_f64_e32 v[135:136], v[135:136], v[139:140]
	v_fma_f64 v[139:140], v[4:5], v[18:19], v[143:144]
	v_fma_f64 v[141:142], v[2:3], v[18:19], -v[20:21]
	ds_load_b128 v[2:5], v1 offset:736
	scratch_load_b128 v[18:21], off, off offset:288
	v_fma_f64 v[119:120], v[119:120], v[22:23], v[137:138]
	v_fma_f64 v[117:118], v[117:118], v[22:23], -v[24:25]
	scratch_load_b128 v[22:25], off, off offset:304
	v_add_f64_e32 v[133:134], v[133:134], v[129:130]
	v_add_f64_e32 v[135:136], v[135:136], v[131:132]
	ds_load_b128 v[129:132], v1 offset:752
	s_wait_loadcnt_dscnt 0xa01
	v_mul_f64_e32 v[143:144], v[2:3], v[28:29]
	v_mul_f64_e32 v[28:29], v[4:5], v[28:29]
	s_wait_loadcnt_dscnt 0x900
	v_mul_f64_e32 v[137:138], v[129:130], v[32:33]
	v_mul_f64_e32 v[32:33], v[131:132], v[32:33]
	v_add_f64_e32 v[133:134], v[133:134], v[141:142]
	v_add_f64_e32 v[135:136], v[135:136], v[139:140]
	v_fma_f64 v[139:140], v[4:5], v[26:27], v[143:144]
	v_fma_f64 v[141:142], v[2:3], v[26:27], -v[28:29]
	ds_load_b128 v[2:5], v1 offset:768
	scratch_load_b128 v[26:29], off, off offset:320
	v_fma_f64 v[131:132], v[131:132], v[30:31], v[137:138]
	v_fma_f64 v[129:130], v[129:130], v[30:31], -v[32:33]
	scratch_load_b128 v[30:33], off, off offset:336
	v_add_f64_e32 v[133:134], v[133:134], v[117:118]
	v_add_f64_e32 v[135:136], v[135:136], v[119:120]
	ds_load_b128 v[117:120], v1 offset:784
	s_wait_loadcnt_dscnt 0xa01
	v_mul_f64_e32 v[143:144], v[2:3], v[36:37]
	v_mul_f64_e32 v[36:37], v[4:5], v[36:37]
	s_wait_loadcnt_dscnt 0x800
	v_mul_f64_e32 v[137:138], v[117:118], v[127:128]
	v_add_f64_e32 v[133:134], v[133:134], v[141:142]
	v_add_f64_e32 v[135:136], v[135:136], v[139:140]
	v_mul_f64_e32 v[139:140], v[119:120], v[127:128]
	v_fma_f64 v[141:142], v[4:5], v[34:35], v[143:144]
	v_fma_f64 v[143:144], v[2:3], v[34:35], -v[36:37]
	ds_load_b128 v[2:5], v1 offset:800
	scratch_load_b128 v[34:37], off, off offset:352
	v_fma_f64 v[119:120], v[119:120], v[125:126], v[137:138]
	v_add_f64_e32 v[133:134], v[133:134], v[129:130]
	v_add_f64_e32 v[131:132], v[135:136], v[131:132]
	ds_load_b128 v[127:130], v1 offset:816
	v_fma_f64 v[125:126], v[117:118], v[125:126], -v[139:140]
	s_wait_loadcnt_dscnt 0x801
	v_mul_f64_e32 v[135:136], v[2:3], v[115:116]
	v_mul_f64_e32 v[145:146], v[4:5], v[115:116]
	scratch_load_b128 v[115:118], off, off offset:368
	s_wait_loadcnt_dscnt 0x800
	v_mul_f64_e32 v[139:140], v[127:128], v[8:9]
	v_mul_f64_e32 v[8:9], v[129:130], v[8:9]
	v_add_f64_e32 v[133:134], v[133:134], v[143:144]
	v_add_f64_e32 v[131:132], v[131:132], v[141:142]
	v_fma_f64 v[141:142], v[4:5], v[113:114], v[135:136]
	v_fma_f64 v[113:114], v[2:3], v[113:114], -v[145:146]
	ds_load_b128 v[2:5], v1 offset:832
	ds_load_b128 v[135:138], v1 offset:848
	v_fma_f64 v[129:130], v[129:130], v[6:7], v[139:140]
	v_fma_f64 v[127:128], v[127:128], v[6:7], -v[8:9]
	scratch_load_b128 v[6:9], off, off offset:400
	v_add_f64_e32 v[125:126], v[133:134], v[125:126]
	v_add_f64_e32 v[119:120], v[131:132], v[119:120]
	scratch_load_b128 v[131:134], off, off offset:384
	s_wait_loadcnt_dscnt 0x901
	v_mul_f64_e32 v[143:144], v[2:3], v[12:13]
	v_mul_f64_e32 v[12:13], v[4:5], v[12:13]
	s_wait_loadcnt_dscnt 0x800
	v_mul_f64_e32 v[139:140], v[135:136], v[16:17]
	v_mul_f64_e32 v[16:17], v[137:138], v[16:17]
	v_add_f64_e32 v[113:114], v[125:126], v[113:114]
	v_add_f64_e32 v[119:120], v[119:120], v[141:142]
	v_fma_f64 v[141:142], v[4:5], v[10:11], v[143:144]
	v_fma_f64 v[143:144], v[2:3], v[10:11], -v[12:13]
	ds_load_b128 v[2:5], v1 offset:864
	scratch_load_b128 v[10:13], off, off offset:416
	v_fma_f64 v[137:138], v[137:138], v[14:15], v[139:140]
	v_fma_f64 v[135:136], v[135:136], v[14:15], -v[16:17]
	scratch_load_b128 v[14:17], off, off offset:432
	v_add_f64_e32 v[113:114], v[113:114], v[127:128]
	v_add_f64_e32 v[119:120], v[119:120], v[129:130]
	ds_load_b128 v[125:128], v1 offset:880
	s_wait_loadcnt_dscnt 0x901
	v_mul_f64_e32 v[129:130], v[2:3], v[20:21]
	v_mul_f64_e32 v[20:21], v[4:5], v[20:21]
	s_wait_loadcnt_dscnt 0x800
	v_mul_f64_e32 v[139:140], v[125:126], v[24:25]
	v_mul_f64_e32 v[24:25], v[127:128], v[24:25]
	v_add_f64_e32 v[113:114], v[113:114], v[143:144]
	v_add_f64_e32 v[119:120], v[119:120], v[141:142]
	v_fma_f64 v[129:130], v[4:5], v[18:19], v[129:130]
	v_fma_f64 v[141:142], v[2:3], v[18:19], -v[20:21]
	ds_load_b128 v[2:5], v1 offset:896
	scratch_load_b128 v[18:21], off, off offset:448
	v_fma_f64 v[127:128], v[127:128], v[22:23], v[139:140]
	v_fma_f64 v[125:126], v[125:126], v[22:23], -v[24:25]
	scratch_load_b128 v[22:25], off, off offset:464
	v_add_f64_e32 v[113:114], v[113:114], v[135:136]
	v_add_f64_e32 v[119:120], v[119:120], v[137:138]
	ds_load_b128 v[135:138], v1 offset:912
	s_wait_loadcnt_dscnt 0x901
	v_mul_f64_e32 v[143:144], v[2:3], v[28:29]
	v_mul_f64_e32 v[28:29], v[4:5], v[28:29]
	v_add_f64_e32 v[113:114], v[113:114], v[141:142]
	v_add_f64_e32 v[119:120], v[119:120], v[129:130]
	s_wait_loadcnt_dscnt 0x800
	v_mul_f64_e32 v[129:130], v[135:136], v[32:33]
	v_mul_f64_e32 v[32:33], v[137:138], v[32:33]
	v_fma_f64 v[139:140], v[4:5], v[26:27], v[143:144]
	v_fma_f64 v[141:142], v[2:3], v[26:27], -v[28:29]
	ds_load_b128 v[2:5], v1 offset:928
	scratch_load_b128 v[26:29], off, off offset:480
	v_add_f64_e32 v[113:114], v[113:114], v[125:126]
	v_add_f64_e32 v[119:120], v[119:120], v[127:128]
	ds_load_b128 v[125:128], v1 offset:944
	s_wait_loadcnt_dscnt 0x801
	v_mul_f64_e32 v[143:144], v[2:3], v[36:37]
	v_mul_f64_e32 v[36:37], v[4:5], v[36:37]
	v_fma_f64 v[129:130], v[137:138], v[30:31], v[129:130]
	v_fma_f64 v[135:136], v[135:136], v[30:31], -v[32:33]
	scratch_load_b128 v[30:33], off, off offset:496
	s_wait_loadcnt_dscnt 0x800
	v_mul_f64_e32 v[137:138], v[125:126], v[117:118]
	v_add_f64_e32 v[113:114], v[113:114], v[141:142]
	v_add_f64_e32 v[119:120], v[119:120], v[139:140]
	v_mul_f64_e32 v[139:140], v[127:128], v[117:118]
	v_fma_f64 v[141:142], v[4:5], v[34:35], v[143:144]
	v_fma_f64 v[143:144], v[2:3], v[34:35], -v[36:37]
	ds_load_b128 v[2:5], v1 offset:960
	scratch_load_b128 v[34:37], off, off offset:512
	v_fma_f64 v[127:128], v[127:128], v[115:116], v[137:138]
	v_add_f64_e32 v[113:114], v[113:114], v[135:136]
	v_add_f64_e32 v[129:130], v[119:120], v[129:130]
	ds_load_b128 v[117:120], v1 offset:976
	v_fma_f64 v[125:126], v[125:126], v[115:116], -v[139:140]
	s_wait_loadcnt_dscnt 0x701
	v_mul_f64_e32 v[135:136], v[2:3], v[133:134]
	v_mul_f64_e32 v[133:134], v[4:5], v[133:134]
	s_wait_dscnt 0x0
	v_mul_f64_e32 v[139:140], v[117:118], v[8:9]
	v_mul_f64_e32 v[8:9], v[119:120], v[8:9]
	v_add_f64_e32 v[137:138], v[113:114], v[143:144]
	v_add_f64_e32 v[129:130], v[129:130], v[141:142]
	scratch_load_b128 v[113:116], off, off offset:528
	v_fma_f64 v[135:136], v[4:5], v[131:132], v[135:136]
	v_fma_f64 v[133:134], v[2:3], v[131:132], -v[133:134]
	ds_load_b128 v[2:5], v1 offset:992
	v_fma_f64 v[119:120], v[119:120], v[6:7], v[139:140]
	v_fma_f64 v[117:118], v[117:118], v[6:7], -v[8:9]
	scratch_load_b128 v[6:9], off, off offset:560
	v_add_f64_e32 v[137:138], v[137:138], v[125:126]
	v_add_f64_e32 v[141:142], v[129:130], v[127:128]
	scratch_load_b128 v[125:128], off, off offset:544
	ds_load_b128 v[129:132], v1 offset:1008
	s_wait_loadcnt_dscnt 0x901
	v_mul_f64_e32 v[143:144], v[2:3], v[12:13]
	v_mul_f64_e32 v[12:13], v[4:5], v[12:13]
	v_add_f64_e32 v[133:134], v[137:138], v[133:134]
	v_add_f64_e32 v[135:136], v[141:142], v[135:136]
	s_wait_loadcnt_dscnt 0x800
	v_mul_f64_e32 v[137:138], v[129:130], v[16:17]
	v_mul_f64_e32 v[16:17], v[131:132], v[16:17]
	v_fma_f64 v[139:140], v[4:5], v[10:11], v[143:144]
	v_fma_f64 v[141:142], v[2:3], v[10:11], -v[12:13]
	ds_load_b128 v[2:5], v1 offset:1024
	scratch_load_b128 v[10:13], off, off offset:576
	v_add_f64_e32 v[133:134], v[133:134], v[117:118]
	v_add_f64_e32 v[135:136], v[135:136], v[119:120]
	ds_load_b128 v[117:120], v1 offset:1040
	s_wait_loadcnt_dscnt 0x801
	v_mul_f64_e32 v[143:144], v[2:3], v[20:21]
	v_mul_f64_e32 v[20:21], v[4:5], v[20:21]
	v_fma_f64 v[131:132], v[131:132], v[14:15], v[137:138]
	v_fma_f64 v[129:130], v[129:130], v[14:15], -v[16:17]
	scratch_load_b128 v[14:17], off, off offset:592
	s_wait_loadcnt_dscnt 0x800
	v_mul_f64_e32 v[137:138], v[117:118], v[24:25]
	v_mul_f64_e32 v[24:25], v[119:120], v[24:25]
	v_add_f64_e32 v[133:134], v[133:134], v[141:142]
	v_add_f64_e32 v[135:136], v[135:136], v[139:140]
	v_fma_f64 v[139:140], v[4:5], v[18:19], v[143:144]
	v_fma_f64 v[141:142], v[2:3], v[18:19], -v[20:21]
	ds_load_b128 v[2:5], v1 offset:1056
	ds_load_b128 v[18:21], v1 offset:1072
	v_fma_f64 v[119:120], v[119:120], v[22:23], v[137:138]
	v_fma_f64 v[22:23], v[117:118], v[22:23], -v[24:25]
	v_add_f64_e32 v[129:130], v[133:134], v[129:130]
	v_add_f64_e32 v[131:132], v[135:136], v[131:132]
	s_wait_loadcnt_dscnt 0x701
	v_mul_f64_e32 v[133:134], v[2:3], v[28:29]
	v_mul_f64_e32 v[28:29], v[4:5], v[28:29]
	s_delay_alu instid0(VALU_DEP_4) | instskip(NEXT) | instid1(VALU_DEP_4)
	v_add_f64_e32 v[24:25], v[129:130], v[141:142]
	v_add_f64_e32 v[117:118], v[131:132], v[139:140]
	s_wait_loadcnt_dscnt 0x600
	v_mul_f64_e32 v[129:130], v[18:19], v[32:33]
	v_mul_f64_e32 v[32:33], v[20:21], v[32:33]
	v_fma_f64 v[131:132], v[4:5], v[26:27], v[133:134]
	v_fma_f64 v[26:27], v[2:3], v[26:27], -v[28:29]
	v_add_f64_e32 v[28:29], v[24:25], v[22:23]
	v_add_f64_e32 v[117:118], v[117:118], v[119:120]
	ds_load_b128 v[2:5], v1 offset:1088
	ds_load_b128 v[22:25], v1 offset:1104
	v_fma_f64 v[20:21], v[20:21], v[30:31], v[129:130]
	v_fma_f64 v[18:19], v[18:19], v[30:31], -v[32:33]
	s_wait_loadcnt_dscnt 0x501
	v_mul_f64_e32 v[119:120], v[2:3], v[36:37]
	v_mul_f64_e32 v[36:37], v[4:5], v[36:37]
	v_add_f64_e32 v[26:27], v[28:29], v[26:27]
	v_add_f64_e32 v[28:29], v[117:118], v[131:132]
	s_wait_loadcnt_dscnt 0x400
	v_mul_f64_e32 v[30:31], v[22:23], v[115:116]
	v_mul_f64_e32 v[32:33], v[24:25], v[115:116]
	v_fma_f64 v[115:116], v[4:5], v[34:35], v[119:120]
	v_fma_f64 v[34:35], v[2:3], v[34:35], -v[36:37]
	v_add_f64_e32 v[26:27], v[26:27], v[18:19]
	v_add_f64_e32 v[28:29], v[28:29], v[20:21]
	ds_load_b128 v[2:5], v1 offset:1120
	ds_load_b128 v[18:21], v1 offset:1136
	v_fma_f64 v[24:25], v[24:25], v[113:114], v[30:31]
	v_fma_f64 v[22:23], v[22:23], v[113:114], -v[32:33]
	s_wait_loadcnt_dscnt 0x201
	v_mul_f64_e32 v[36:37], v[2:3], v[127:128]
	v_mul_f64_e32 v[117:118], v[4:5], v[127:128]
	s_wait_dscnt 0x0
	v_mul_f64_e32 v[30:31], v[18:19], v[8:9]
	v_mul_f64_e32 v[8:9], v[20:21], v[8:9]
	v_add_f64_e32 v[26:27], v[26:27], v[34:35]
	v_add_f64_e32 v[28:29], v[28:29], v[115:116]
	v_fma_f64 v[32:33], v[4:5], v[125:126], v[36:37]
	v_fma_f64 v[34:35], v[2:3], v[125:126], -v[117:118]
	v_fma_f64 v[20:21], v[20:21], v[6:7], v[30:31]
	v_fma_f64 v[6:7], v[18:19], v[6:7], -v[8:9]
	v_add_f64_e32 v[26:27], v[26:27], v[22:23]
	v_add_f64_e32 v[28:29], v[28:29], v[24:25]
	ds_load_b128 v[2:5], v1 offset:1152
	ds_load_b128 v[22:25], v1 offset:1168
	s_wait_loadcnt_dscnt 0x101
	v_mul_f64_e32 v[36:37], v[2:3], v[12:13]
	v_mul_f64_e32 v[12:13], v[4:5], v[12:13]
	v_add_f64_e32 v[8:9], v[26:27], v[34:35]
	v_add_f64_e32 v[18:19], v[28:29], v[32:33]
	s_wait_loadcnt_dscnt 0x0
	v_mul_f64_e32 v[26:27], v[22:23], v[16:17]
	v_mul_f64_e32 v[16:17], v[24:25], v[16:17]
	v_fma_f64 v[4:5], v[4:5], v[10:11], v[36:37]
	v_fma_f64 v[1:2], v[2:3], v[10:11], -v[12:13]
	v_add_f64_e32 v[6:7], v[8:9], v[6:7]
	v_add_f64_e32 v[8:9], v[18:19], v[20:21]
	v_fma_f64 v[10:11], v[24:25], v[14:15], v[26:27]
	v_fma_f64 v[12:13], v[22:23], v[14:15], -v[16:17]
	s_delay_alu instid0(VALU_DEP_4) | instskip(NEXT) | instid1(VALU_DEP_4)
	v_add_f64_e32 v[1:2], v[6:7], v[1:2]
	v_add_f64_e32 v[3:4], v[8:9], v[4:5]
	s_delay_alu instid0(VALU_DEP_2) | instskip(NEXT) | instid1(VALU_DEP_2)
	v_add_f64_e32 v[1:2], v[1:2], v[12:13]
	v_add_f64_e32 v[3:4], v[3:4], v[10:11]
	s_delay_alu instid0(VALU_DEP_2) | instskip(NEXT) | instid1(VALU_DEP_2)
	v_add_f64_e64 v[1:2], v[121:122], -v[1:2]
	v_add_f64_e64 v[3:4], v[123:124], -v[3:4]
	scratch_store_b128 off, v[1:4], off offset:48
	v_cmpx_lt_u32_e32 1, v0
	s_cbranch_execz .LBB100_233
; %bb.232:
	scratch_load_b128 v[1:4], off, s45
	v_mov_b32_e32 v5, 0
	s_delay_alu instid0(VALU_DEP_1)
	v_dual_mov_b32 v6, v5 :: v_dual_mov_b32 v7, v5
	v_mov_b32_e32 v8, v5
	scratch_store_b128 off, v[5:8], off offset:32
	s_wait_loadcnt 0x0
	ds_store_b128 v112, v[1:4]
.LBB100_233:
	s_wait_alu 0xfffe
	s_or_b32 exec_lo, exec_lo, s0
	s_wait_storecnt_dscnt 0x0
	s_barrier_signal -1
	s_barrier_wait -1
	global_inv scope:SCOPE_SE
	s_clause 0x7
	scratch_load_b128 v[2:5], off, off offset:48
	scratch_load_b128 v[6:9], off, off offset:64
	;; [unrolled: 1-line block ×8, first 2 shown]
	v_mov_b32_e32 v1, 0
	s_mov_b32 s0, exec_lo
	ds_load_b128 v[113:116], v1 offset:624
	s_clause 0x1
	scratch_load_b128 v[34:37], off, off offset:176
	scratch_load_b128 v[117:120], off, off offset:32
	ds_load_b128 v[121:124], v1 offset:640
	scratch_load_b128 v[125:128], off, off offset:192
	s_wait_loadcnt_dscnt 0xa01
	v_mul_f64_e32 v[129:130], v[115:116], v[4:5]
	v_mul_f64_e32 v[4:5], v[113:114], v[4:5]
	s_delay_alu instid0(VALU_DEP_2) | instskip(NEXT) | instid1(VALU_DEP_2)
	v_fma_f64 v[135:136], v[113:114], v[2:3], -v[129:130]
	v_fma_f64 v[137:138], v[115:116], v[2:3], v[4:5]
	ds_load_b128 v[2:5], v1 offset:656
	s_wait_loadcnt_dscnt 0x901
	v_mul_f64_e32 v[133:134], v[121:122], v[8:9]
	v_mul_f64_e32 v[8:9], v[123:124], v[8:9]
	scratch_load_b128 v[113:116], off, off offset:208
	ds_load_b128 v[129:132], v1 offset:672
	s_wait_loadcnt_dscnt 0x901
	v_mul_f64_e32 v[139:140], v[2:3], v[12:13]
	v_mul_f64_e32 v[12:13], v[4:5], v[12:13]
	v_fma_f64 v[123:124], v[123:124], v[6:7], v[133:134]
	v_fma_f64 v[121:122], v[121:122], v[6:7], -v[8:9]
	v_add_f64_e32 v[133:134], 0, v[135:136]
	v_add_f64_e32 v[135:136], 0, v[137:138]
	scratch_load_b128 v[6:9], off, off offset:224
	v_fma_f64 v[139:140], v[4:5], v[10:11], v[139:140]
	v_fma_f64 v[141:142], v[2:3], v[10:11], -v[12:13]
	ds_load_b128 v[2:5], v1 offset:688
	s_wait_loadcnt_dscnt 0x901
	v_mul_f64_e32 v[137:138], v[129:130], v[16:17]
	v_mul_f64_e32 v[16:17], v[131:132], v[16:17]
	scratch_load_b128 v[10:13], off, off offset:240
	v_add_f64_e32 v[133:134], v[133:134], v[121:122]
	v_add_f64_e32 v[135:136], v[135:136], v[123:124]
	s_wait_loadcnt_dscnt 0x900
	v_mul_f64_e32 v[143:144], v[2:3], v[20:21]
	v_mul_f64_e32 v[20:21], v[4:5], v[20:21]
	ds_load_b128 v[121:124], v1 offset:704
	v_fma_f64 v[131:132], v[131:132], v[14:15], v[137:138]
	v_fma_f64 v[129:130], v[129:130], v[14:15], -v[16:17]
	scratch_load_b128 v[14:17], off, off offset:256
	v_add_f64_e32 v[133:134], v[133:134], v[141:142]
	v_add_f64_e32 v[135:136], v[135:136], v[139:140]
	v_fma_f64 v[139:140], v[4:5], v[18:19], v[143:144]
	v_fma_f64 v[141:142], v[2:3], v[18:19], -v[20:21]
	ds_load_b128 v[2:5], v1 offset:720
	s_wait_loadcnt_dscnt 0x901
	v_mul_f64_e32 v[137:138], v[121:122], v[24:25]
	v_mul_f64_e32 v[24:25], v[123:124], v[24:25]
	scratch_load_b128 v[18:21], off, off offset:272
	s_wait_loadcnt_dscnt 0x900
	v_mul_f64_e32 v[143:144], v[2:3], v[28:29]
	v_mul_f64_e32 v[28:29], v[4:5], v[28:29]
	v_add_f64_e32 v[133:134], v[133:134], v[129:130]
	v_add_f64_e32 v[135:136], v[135:136], v[131:132]
	ds_load_b128 v[129:132], v1 offset:736
	v_fma_f64 v[123:124], v[123:124], v[22:23], v[137:138]
	v_fma_f64 v[121:122], v[121:122], v[22:23], -v[24:25]
	scratch_load_b128 v[22:25], off, off offset:288
	v_add_f64_e32 v[133:134], v[133:134], v[141:142]
	v_add_f64_e32 v[135:136], v[135:136], v[139:140]
	v_fma_f64 v[139:140], v[4:5], v[26:27], v[143:144]
	v_fma_f64 v[141:142], v[2:3], v[26:27], -v[28:29]
	ds_load_b128 v[2:5], v1 offset:752
	s_wait_loadcnt_dscnt 0x901
	v_mul_f64_e32 v[137:138], v[129:130], v[32:33]
	v_mul_f64_e32 v[32:33], v[131:132], v[32:33]
	scratch_load_b128 v[26:29], off, off offset:304
	s_wait_loadcnt_dscnt 0x900
	v_mul_f64_e32 v[143:144], v[2:3], v[36:37]
	v_mul_f64_e32 v[36:37], v[4:5], v[36:37]
	v_add_f64_e32 v[133:134], v[133:134], v[121:122]
	v_add_f64_e32 v[135:136], v[135:136], v[123:124]
	ds_load_b128 v[121:124], v1 offset:768
	v_fma_f64 v[131:132], v[131:132], v[30:31], v[137:138]
	v_fma_f64 v[129:130], v[129:130], v[30:31], -v[32:33]
	scratch_load_b128 v[30:33], off, off offset:320
	v_add_f64_e32 v[133:134], v[133:134], v[141:142]
	v_add_f64_e32 v[135:136], v[135:136], v[139:140]
	v_fma_f64 v[141:142], v[4:5], v[34:35], v[143:144]
	v_fma_f64 v[143:144], v[2:3], v[34:35], -v[36:37]
	ds_load_b128 v[2:5], v1 offset:784
	s_wait_loadcnt_dscnt 0x801
	v_mul_f64_e32 v[137:138], v[121:122], v[127:128]
	v_mul_f64_e32 v[139:140], v[123:124], v[127:128]
	scratch_load_b128 v[34:37], off, off offset:336
	v_add_f64_e32 v[133:134], v[133:134], v[129:130]
	v_add_f64_e32 v[131:132], v[135:136], v[131:132]
	ds_load_b128 v[127:130], v1 offset:800
	v_fma_f64 v[137:138], v[123:124], v[125:126], v[137:138]
	v_fma_f64 v[125:126], v[121:122], v[125:126], -v[139:140]
	scratch_load_b128 v[121:124], off, off offset:352
	s_wait_loadcnt_dscnt 0x901
	v_mul_f64_e32 v[135:136], v[2:3], v[115:116]
	v_mul_f64_e32 v[115:116], v[4:5], v[115:116]
	v_add_f64_e32 v[133:134], v[133:134], v[143:144]
	v_add_f64_e32 v[131:132], v[131:132], v[141:142]
	s_delay_alu instid0(VALU_DEP_4) | instskip(NEXT) | instid1(VALU_DEP_4)
	v_fma_f64 v[135:136], v[4:5], v[113:114], v[135:136]
	v_fma_f64 v[141:142], v[2:3], v[113:114], -v[115:116]
	ds_load_b128 v[2:5], v1 offset:816
	s_wait_loadcnt_dscnt 0x801
	v_mul_f64_e32 v[139:140], v[127:128], v[8:9]
	v_mul_f64_e32 v[8:9], v[129:130], v[8:9]
	scratch_load_b128 v[113:116], off, off offset:368
	s_wait_loadcnt_dscnt 0x800
	v_mul_f64_e32 v[143:144], v[2:3], v[12:13]
	v_add_f64_e32 v[125:126], v[133:134], v[125:126]
	v_add_f64_e32 v[137:138], v[131:132], v[137:138]
	v_mul_f64_e32 v[12:13], v[4:5], v[12:13]
	ds_load_b128 v[131:134], v1 offset:832
	v_fma_f64 v[129:130], v[129:130], v[6:7], v[139:140]
	v_fma_f64 v[127:128], v[127:128], v[6:7], -v[8:9]
	scratch_load_b128 v[6:9], off, off offset:384
	v_fma_f64 v[139:140], v[4:5], v[10:11], v[143:144]
	v_add_f64_e32 v[125:126], v[125:126], v[141:142]
	v_add_f64_e32 v[135:136], v[137:138], v[135:136]
	v_fma_f64 v[141:142], v[2:3], v[10:11], -v[12:13]
	ds_load_b128 v[2:5], v1 offset:848
	s_wait_loadcnt_dscnt 0x801
	v_mul_f64_e32 v[137:138], v[131:132], v[16:17]
	v_mul_f64_e32 v[16:17], v[133:134], v[16:17]
	scratch_load_b128 v[10:13], off, off offset:400
	v_add_f64_e32 v[143:144], v[125:126], v[127:128]
	v_add_f64_e32 v[129:130], v[135:136], v[129:130]
	s_wait_loadcnt_dscnt 0x800
	v_mul_f64_e32 v[135:136], v[2:3], v[20:21]
	v_mul_f64_e32 v[20:21], v[4:5], v[20:21]
	v_fma_f64 v[133:134], v[133:134], v[14:15], v[137:138]
	v_fma_f64 v[131:132], v[131:132], v[14:15], -v[16:17]
	ds_load_b128 v[125:128], v1 offset:864
	scratch_load_b128 v[14:17], off, off offset:416
	v_add_f64_e32 v[137:138], v[143:144], v[141:142]
	v_add_f64_e32 v[129:130], v[129:130], v[139:140]
	v_fma_f64 v[135:136], v[4:5], v[18:19], v[135:136]
	v_fma_f64 v[141:142], v[2:3], v[18:19], -v[20:21]
	ds_load_b128 v[2:5], v1 offset:880
	s_wait_loadcnt_dscnt 0x801
	v_mul_f64_e32 v[139:140], v[125:126], v[24:25]
	v_mul_f64_e32 v[24:25], v[127:128], v[24:25]
	scratch_load_b128 v[18:21], off, off offset:432
	s_wait_loadcnt_dscnt 0x800
	v_mul_f64_e32 v[143:144], v[2:3], v[28:29]
	v_mul_f64_e32 v[28:29], v[4:5], v[28:29]
	v_add_f64_e32 v[137:138], v[137:138], v[131:132]
	v_add_f64_e32 v[133:134], v[129:130], v[133:134]
	ds_load_b128 v[129:132], v1 offset:896
	v_fma_f64 v[127:128], v[127:128], v[22:23], v[139:140]
	v_fma_f64 v[125:126], v[125:126], v[22:23], -v[24:25]
	scratch_load_b128 v[22:25], off, off offset:448
	v_fma_f64 v[139:140], v[4:5], v[26:27], v[143:144]
	v_add_f64_e32 v[137:138], v[137:138], v[141:142]
	v_add_f64_e32 v[133:134], v[133:134], v[135:136]
	v_fma_f64 v[141:142], v[2:3], v[26:27], -v[28:29]
	ds_load_b128 v[2:5], v1 offset:912
	s_wait_loadcnt_dscnt 0x801
	v_mul_f64_e32 v[135:136], v[129:130], v[32:33]
	v_mul_f64_e32 v[32:33], v[131:132], v[32:33]
	scratch_load_b128 v[26:29], off, off offset:464
	s_wait_loadcnt_dscnt 0x800
	v_mul_f64_e32 v[143:144], v[2:3], v[36:37]
	v_mul_f64_e32 v[36:37], v[4:5], v[36:37]
	v_add_f64_e32 v[137:138], v[137:138], v[125:126]
	v_add_f64_e32 v[133:134], v[133:134], v[127:128]
	ds_load_b128 v[125:128], v1 offset:928
	v_fma_f64 v[131:132], v[131:132], v[30:31], v[135:136]
	v_fma_f64 v[129:130], v[129:130], v[30:31], -v[32:33]
	scratch_load_b128 v[30:33], off, off offset:480
	v_add_f64_e32 v[135:136], v[137:138], v[141:142]
	v_add_f64_e32 v[133:134], v[133:134], v[139:140]
	v_fma_f64 v[139:140], v[4:5], v[34:35], v[143:144]
	v_fma_f64 v[141:142], v[2:3], v[34:35], -v[36:37]
	ds_load_b128 v[2:5], v1 offset:944
	s_wait_loadcnt_dscnt 0x801
	v_mul_f64_e32 v[137:138], v[125:126], v[123:124]
	v_mul_f64_e32 v[123:124], v[127:128], v[123:124]
	scratch_load_b128 v[34:37], off, off offset:496
	s_wait_loadcnt_dscnt 0x800
	v_mul_f64_e32 v[143:144], v[2:3], v[115:116]
	v_mul_f64_e32 v[115:116], v[4:5], v[115:116]
	v_add_f64_e32 v[135:136], v[135:136], v[129:130]
	v_add_f64_e32 v[133:134], v[133:134], v[131:132]
	ds_load_b128 v[129:132], v1 offset:960
	v_fma_f64 v[127:128], v[127:128], v[121:122], v[137:138]
	v_fma_f64 v[125:126], v[125:126], v[121:122], -v[123:124]
	scratch_load_b128 v[121:124], off, off offset:512
	v_add_f64_e32 v[135:136], v[135:136], v[141:142]
	v_add_f64_e32 v[133:134], v[133:134], v[139:140]
	v_fma_f64 v[139:140], v[4:5], v[113:114], v[143:144]
	;; [unrolled: 18-line block ×4, first 2 shown]
	v_fma_f64 v[141:142], v[2:3], v[18:19], -v[20:21]
	ds_load_b128 v[2:5], v1 offset:1040
	s_wait_loadcnt_dscnt 0x801
	v_mul_f64_e32 v[137:138], v[129:130], v[24:25]
	v_mul_f64_e32 v[24:25], v[131:132], v[24:25]
	scratch_load_b128 v[18:21], off, off offset:592
	s_wait_loadcnt_dscnt 0x800
	v_mul_f64_e32 v[143:144], v[2:3], v[28:29]
	v_mul_f64_e32 v[28:29], v[4:5], v[28:29]
	v_add_f64_e32 v[135:136], v[135:136], v[125:126]
	v_add_f64_e32 v[133:134], v[133:134], v[127:128]
	ds_load_b128 v[125:128], v1 offset:1056
	v_fma_f64 v[131:132], v[131:132], v[22:23], v[137:138]
	v_fma_f64 v[22:23], v[129:130], v[22:23], -v[24:25]
	v_add_f64_e32 v[24:25], v[135:136], v[141:142]
	v_add_f64_e32 v[129:130], v[133:134], v[139:140]
	s_wait_loadcnt_dscnt 0x700
	v_mul_f64_e32 v[133:134], v[125:126], v[32:33]
	v_mul_f64_e32 v[32:33], v[127:128], v[32:33]
	v_fma_f64 v[135:136], v[4:5], v[26:27], v[143:144]
	v_fma_f64 v[26:27], v[2:3], v[26:27], -v[28:29]
	v_add_f64_e32 v[28:29], v[24:25], v[22:23]
	v_add_f64_e32 v[129:130], v[129:130], v[131:132]
	ds_load_b128 v[2:5], v1 offset:1072
	ds_load_b128 v[22:25], v1 offset:1088
	v_fma_f64 v[127:128], v[127:128], v[30:31], v[133:134]
	v_fma_f64 v[30:31], v[125:126], v[30:31], -v[32:33]
	s_wait_loadcnt_dscnt 0x601
	v_mul_f64_e32 v[131:132], v[2:3], v[36:37]
	v_mul_f64_e32 v[36:37], v[4:5], v[36:37]
	s_wait_loadcnt_dscnt 0x500
	v_mul_f64_e32 v[32:33], v[22:23], v[123:124]
	v_mul_f64_e32 v[123:124], v[24:25], v[123:124]
	v_add_f64_e32 v[26:27], v[28:29], v[26:27]
	v_add_f64_e32 v[28:29], v[129:130], v[135:136]
	v_fma_f64 v[125:126], v[4:5], v[34:35], v[131:132]
	v_fma_f64 v[34:35], v[2:3], v[34:35], -v[36:37]
	v_fma_f64 v[24:25], v[24:25], v[121:122], v[32:33]
	v_fma_f64 v[22:23], v[22:23], v[121:122], -v[123:124]
	v_add_f64_e32 v[30:31], v[26:27], v[30:31]
	v_add_f64_e32 v[36:37], v[28:29], v[127:128]
	ds_load_b128 v[2:5], v1 offset:1104
	ds_load_b128 v[26:29], v1 offset:1120
	s_wait_loadcnt_dscnt 0x401
	v_mul_f64_e32 v[127:128], v[2:3], v[115:116]
	v_mul_f64_e32 v[115:116], v[4:5], v[115:116]
	v_add_f64_e32 v[30:31], v[30:31], v[34:35]
	v_add_f64_e32 v[32:33], v[36:37], v[125:126]
	s_wait_loadcnt_dscnt 0x300
	v_mul_f64_e32 v[34:35], v[26:27], v[8:9]
	v_mul_f64_e32 v[8:9], v[28:29], v[8:9]
	v_fma_f64 v[36:37], v[4:5], v[113:114], v[127:128]
	v_fma_f64 v[113:114], v[2:3], v[113:114], -v[115:116]
	v_add_f64_e32 v[30:31], v[30:31], v[22:23]
	v_add_f64_e32 v[32:33], v[32:33], v[24:25]
	ds_load_b128 v[2:5], v1 offset:1136
	ds_load_b128 v[22:25], v1 offset:1152
	v_fma_f64 v[28:29], v[28:29], v[6:7], v[34:35]
	v_fma_f64 v[6:7], v[26:27], v[6:7], -v[8:9]
	s_wait_loadcnt_dscnt 0x201
	v_mul_f64_e32 v[115:116], v[2:3], v[12:13]
	v_mul_f64_e32 v[12:13], v[4:5], v[12:13]
	v_add_f64_e32 v[8:9], v[30:31], v[113:114]
	v_add_f64_e32 v[26:27], v[32:33], v[36:37]
	s_wait_loadcnt_dscnt 0x100
	v_mul_f64_e32 v[30:31], v[22:23], v[16:17]
	v_mul_f64_e32 v[16:17], v[24:25], v[16:17]
	v_fma_f64 v[32:33], v[4:5], v[10:11], v[115:116]
	v_fma_f64 v[10:11], v[2:3], v[10:11], -v[12:13]
	ds_load_b128 v[2:5], v1 offset:1168
	v_add_f64_e32 v[6:7], v[8:9], v[6:7]
	v_add_f64_e32 v[8:9], v[26:27], v[28:29]
	v_fma_f64 v[24:25], v[24:25], v[14:15], v[30:31]
	v_fma_f64 v[14:15], v[22:23], v[14:15], -v[16:17]
	s_wait_loadcnt_dscnt 0x0
	v_mul_f64_e32 v[12:13], v[2:3], v[20:21]
	v_mul_f64_e32 v[20:21], v[4:5], v[20:21]
	v_add_f64_e32 v[6:7], v[6:7], v[10:11]
	v_add_f64_e32 v[8:9], v[8:9], v[32:33]
	s_delay_alu instid0(VALU_DEP_4) | instskip(NEXT) | instid1(VALU_DEP_4)
	v_fma_f64 v[4:5], v[4:5], v[18:19], v[12:13]
	v_fma_f64 v[2:3], v[2:3], v[18:19], -v[20:21]
	s_delay_alu instid0(VALU_DEP_4) | instskip(NEXT) | instid1(VALU_DEP_4)
	v_add_f64_e32 v[6:7], v[6:7], v[14:15]
	v_add_f64_e32 v[8:9], v[8:9], v[24:25]
	s_delay_alu instid0(VALU_DEP_2) | instskip(NEXT) | instid1(VALU_DEP_2)
	v_add_f64_e32 v[2:3], v[6:7], v[2:3]
	v_add_f64_e32 v[4:5], v[8:9], v[4:5]
	s_delay_alu instid0(VALU_DEP_2) | instskip(NEXT) | instid1(VALU_DEP_2)
	v_add_f64_e64 v[2:3], v[117:118], -v[2:3]
	v_add_f64_e64 v[4:5], v[119:120], -v[4:5]
	scratch_store_b128 off, v[2:5], off offset:32
	v_cmpx_ne_u32_e32 0, v0
	s_cbranch_execz .LBB100_235
; %bb.234:
	scratch_load_b128 v[5:8], off, off offset:16
	v_dual_mov_b32 v2, v1 :: v_dual_mov_b32 v3, v1
	v_mov_b32_e32 v4, v1
	scratch_store_b128 off, v[1:4], off offset:16
	s_wait_loadcnt 0x0
	ds_store_b128 v112, v[5:8]
.LBB100_235:
	s_wait_alu 0xfffe
	s_or_b32 exec_lo, exec_lo, s0
	s_wait_storecnt_dscnt 0x0
	s_barrier_signal -1
	s_barrier_wait -1
	global_inv scope:SCOPE_SE
	s_clause 0x8
	scratch_load_b128 v[2:5], off, off offset:32
	scratch_load_b128 v[6:9], off, off offset:48
	;; [unrolled: 1-line block ×9, first 2 shown]
	ds_load_b128 v[112:115], v1 offset:608
	ds_load_b128 v[116:119], v1 offset:624
	s_clause 0x1
	scratch_load_b128 v[120:123], off, off offset:16
	scratch_load_b128 v[124:127], off, off offset:176
	s_and_b32 vcc_lo, exec_lo, s12
	s_wait_loadcnt_dscnt 0xa01
	v_mul_f64_e32 v[128:129], v[114:115], v[4:5]
	v_mul_f64_e32 v[4:5], v[112:113], v[4:5]
	s_wait_loadcnt_dscnt 0x900
	v_mul_f64_e32 v[132:133], v[116:117], v[8:9]
	v_mul_f64_e32 v[8:9], v[118:119], v[8:9]
	s_delay_alu instid0(VALU_DEP_4) | instskip(NEXT) | instid1(VALU_DEP_4)
	v_fma_f64 v[134:135], v[112:113], v[2:3], -v[128:129]
	v_fma_f64 v[136:137], v[114:115], v[2:3], v[4:5]
	ds_load_b128 v[2:5], v1 offset:640
	ds_load_b128 v[128:131], v1 offset:656
	scratch_load_b128 v[112:115], off, off offset:192
	v_fma_f64 v[118:119], v[118:119], v[6:7], v[132:133]
	v_fma_f64 v[116:117], v[116:117], v[6:7], -v[8:9]
	scratch_load_b128 v[6:9], off, off offset:208
	s_wait_loadcnt_dscnt 0xa01
	v_mul_f64_e32 v[138:139], v[2:3], v[12:13]
	v_mul_f64_e32 v[12:13], v[4:5], v[12:13]
	v_add_f64_e32 v[132:133], 0, v[134:135]
	v_add_f64_e32 v[134:135], 0, v[136:137]
	s_wait_loadcnt_dscnt 0x900
	v_mul_f64_e32 v[136:137], v[128:129], v[16:17]
	v_mul_f64_e32 v[16:17], v[130:131], v[16:17]
	v_fma_f64 v[138:139], v[4:5], v[10:11], v[138:139]
	v_fma_f64 v[140:141], v[2:3], v[10:11], -v[12:13]
	ds_load_b128 v[2:5], v1 offset:672
	scratch_load_b128 v[10:13], off, off offset:224
	v_add_f64_e32 v[132:133], v[132:133], v[116:117]
	v_add_f64_e32 v[134:135], v[134:135], v[118:119]
	ds_load_b128 v[116:119], v1 offset:688
	v_fma_f64 v[130:131], v[130:131], v[14:15], v[136:137]
	v_fma_f64 v[128:129], v[128:129], v[14:15], -v[16:17]
	scratch_load_b128 v[14:17], off, off offset:240
	s_wait_loadcnt_dscnt 0xa01
	v_mul_f64_e32 v[142:143], v[2:3], v[20:21]
	v_mul_f64_e32 v[20:21], v[4:5], v[20:21]
	s_wait_loadcnt_dscnt 0x900
	v_mul_f64_e32 v[136:137], v[116:117], v[24:25]
	v_mul_f64_e32 v[24:25], v[118:119], v[24:25]
	v_add_f64_e32 v[132:133], v[132:133], v[140:141]
	v_add_f64_e32 v[134:135], v[134:135], v[138:139]
	v_fma_f64 v[138:139], v[4:5], v[18:19], v[142:143]
	v_fma_f64 v[140:141], v[2:3], v[18:19], -v[20:21]
	ds_load_b128 v[2:5], v1 offset:704
	scratch_load_b128 v[18:21], off, off offset:256
	v_fma_f64 v[118:119], v[118:119], v[22:23], v[136:137]
	v_fma_f64 v[116:117], v[116:117], v[22:23], -v[24:25]
	scratch_load_b128 v[22:25], off, off offset:272
	v_add_f64_e32 v[132:133], v[132:133], v[128:129]
	v_add_f64_e32 v[134:135], v[134:135], v[130:131]
	ds_load_b128 v[128:131], v1 offset:720
	s_wait_loadcnt_dscnt 0xa01
	v_mul_f64_e32 v[142:143], v[2:3], v[28:29]
	v_mul_f64_e32 v[28:29], v[4:5], v[28:29]
	s_wait_loadcnt_dscnt 0x900
	v_mul_f64_e32 v[136:137], v[128:129], v[32:33]
	v_mul_f64_e32 v[32:33], v[130:131], v[32:33]
	v_add_f64_e32 v[132:133], v[132:133], v[140:141]
	v_add_f64_e32 v[134:135], v[134:135], v[138:139]
	v_fma_f64 v[138:139], v[4:5], v[26:27], v[142:143]
	v_fma_f64 v[140:141], v[2:3], v[26:27], -v[28:29]
	ds_load_b128 v[2:5], v1 offset:736
	scratch_load_b128 v[26:29], off, off offset:288
	v_fma_f64 v[130:131], v[130:131], v[30:31], v[136:137]
	v_fma_f64 v[128:129], v[128:129], v[30:31], -v[32:33]
	scratch_load_b128 v[30:33], off, off offset:304
	v_add_f64_e32 v[132:133], v[132:133], v[116:117]
	v_add_f64_e32 v[134:135], v[134:135], v[118:119]
	ds_load_b128 v[116:119], v1 offset:752
	s_wait_loadcnt_dscnt 0xa01
	v_mul_f64_e32 v[142:143], v[2:3], v[36:37]
	v_mul_f64_e32 v[36:37], v[4:5], v[36:37]
	s_wait_loadcnt_dscnt 0x800
	v_mul_f64_e32 v[136:137], v[116:117], v[126:127]
	v_add_f64_e32 v[132:133], v[132:133], v[140:141]
	v_add_f64_e32 v[134:135], v[134:135], v[138:139]
	v_mul_f64_e32 v[138:139], v[118:119], v[126:127]
	v_fma_f64 v[140:141], v[4:5], v[34:35], v[142:143]
	v_fma_f64 v[142:143], v[2:3], v[34:35], -v[36:37]
	ds_load_b128 v[2:5], v1 offset:768
	scratch_load_b128 v[34:37], off, off offset:320
	v_fma_f64 v[118:119], v[118:119], v[124:125], v[136:137]
	v_add_f64_e32 v[132:133], v[132:133], v[128:129]
	v_add_f64_e32 v[130:131], v[134:135], v[130:131]
	ds_load_b128 v[126:129], v1 offset:784
	v_fma_f64 v[124:125], v[116:117], v[124:125], -v[138:139]
	s_wait_loadcnt_dscnt 0x801
	v_mul_f64_e32 v[134:135], v[2:3], v[114:115]
	v_mul_f64_e32 v[144:145], v[4:5], v[114:115]
	scratch_load_b128 v[114:117], off, off offset:336
	s_wait_loadcnt_dscnt 0x800
	v_mul_f64_e32 v[138:139], v[126:127], v[8:9]
	v_mul_f64_e32 v[8:9], v[128:129], v[8:9]
	v_add_f64_e32 v[132:133], v[132:133], v[142:143]
	v_add_f64_e32 v[130:131], v[130:131], v[140:141]
	v_fma_f64 v[140:141], v[4:5], v[112:113], v[134:135]
	v_fma_f64 v[112:113], v[2:3], v[112:113], -v[144:145]
	ds_load_b128 v[2:5], v1 offset:800
	ds_load_b128 v[134:137], v1 offset:816
	v_fma_f64 v[128:129], v[128:129], v[6:7], v[138:139]
	v_fma_f64 v[126:127], v[126:127], v[6:7], -v[8:9]
	scratch_load_b128 v[6:9], off, off offset:368
	v_add_f64_e32 v[124:125], v[132:133], v[124:125]
	v_add_f64_e32 v[118:119], v[130:131], v[118:119]
	scratch_load_b128 v[130:133], off, off offset:352
	s_wait_loadcnt_dscnt 0x901
	v_mul_f64_e32 v[142:143], v[2:3], v[12:13]
	v_mul_f64_e32 v[12:13], v[4:5], v[12:13]
	s_wait_loadcnt_dscnt 0x800
	v_mul_f64_e32 v[138:139], v[134:135], v[16:17]
	v_mul_f64_e32 v[16:17], v[136:137], v[16:17]
	v_add_f64_e32 v[112:113], v[124:125], v[112:113]
	v_add_f64_e32 v[118:119], v[118:119], v[140:141]
	v_fma_f64 v[140:141], v[4:5], v[10:11], v[142:143]
	v_fma_f64 v[142:143], v[2:3], v[10:11], -v[12:13]
	ds_load_b128 v[2:5], v1 offset:832
	scratch_load_b128 v[10:13], off, off offset:384
	v_fma_f64 v[136:137], v[136:137], v[14:15], v[138:139]
	v_fma_f64 v[134:135], v[134:135], v[14:15], -v[16:17]
	scratch_load_b128 v[14:17], off, off offset:400
	v_add_f64_e32 v[112:113], v[112:113], v[126:127]
	v_add_f64_e32 v[118:119], v[118:119], v[128:129]
	ds_load_b128 v[124:127], v1 offset:848
	s_wait_loadcnt_dscnt 0x901
	v_mul_f64_e32 v[128:129], v[2:3], v[20:21]
	v_mul_f64_e32 v[20:21], v[4:5], v[20:21]
	s_wait_loadcnt_dscnt 0x800
	v_mul_f64_e32 v[138:139], v[124:125], v[24:25]
	v_mul_f64_e32 v[24:25], v[126:127], v[24:25]
	v_add_f64_e32 v[112:113], v[112:113], v[142:143]
	v_add_f64_e32 v[118:119], v[118:119], v[140:141]
	v_fma_f64 v[128:129], v[4:5], v[18:19], v[128:129]
	v_fma_f64 v[140:141], v[2:3], v[18:19], -v[20:21]
	ds_load_b128 v[2:5], v1 offset:864
	scratch_load_b128 v[18:21], off, off offset:416
	v_fma_f64 v[126:127], v[126:127], v[22:23], v[138:139]
	v_fma_f64 v[124:125], v[124:125], v[22:23], -v[24:25]
	scratch_load_b128 v[22:25], off, off offset:432
	v_add_f64_e32 v[112:113], v[112:113], v[134:135]
	v_add_f64_e32 v[118:119], v[118:119], v[136:137]
	ds_load_b128 v[134:137], v1 offset:880
	s_wait_loadcnt_dscnt 0x901
	v_mul_f64_e32 v[142:143], v[2:3], v[28:29]
	v_mul_f64_e32 v[28:29], v[4:5], v[28:29]
	v_add_f64_e32 v[112:113], v[112:113], v[140:141]
	v_add_f64_e32 v[118:119], v[118:119], v[128:129]
	s_wait_loadcnt_dscnt 0x800
	v_mul_f64_e32 v[128:129], v[134:135], v[32:33]
	v_mul_f64_e32 v[32:33], v[136:137], v[32:33]
	v_fma_f64 v[138:139], v[4:5], v[26:27], v[142:143]
	v_fma_f64 v[140:141], v[2:3], v[26:27], -v[28:29]
	ds_load_b128 v[2:5], v1 offset:896
	scratch_load_b128 v[26:29], off, off offset:448
	v_add_f64_e32 v[112:113], v[112:113], v[124:125]
	v_add_f64_e32 v[118:119], v[118:119], v[126:127]
	ds_load_b128 v[124:127], v1 offset:912
	s_wait_loadcnt_dscnt 0x801
	v_mul_f64_e32 v[142:143], v[2:3], v[36:37]
	v_mul_f64_e32 v[36:37], v[4:5], v[36:37]
	v_fma_f64 v[128:129], v[136:137], v[30:31], v[128:129]
	v_fma_f64 v[134:135], v[134:135], v[30:31], -v[32:33]
	scratch_load_b128 v[30:33], off, off offset:464
	s_wait_loadcnt_dscnt 0x800
	v_mul_f64_e32 v[136:137], v[124:125], v[116:117]
	v_add_f64_e32 v[112:113], v[112:113], v[140:141]
	v_add_f64_e32 v[118:119], v[118:119], v[138:139]
	v_mul_f64_e32 v[138:139], v[126:127], v[116:117]
	v_fma_f64 v[140:141], v[4:5], v[34:35], v[142:143]
	v_fma_f64 v[142:143], v[2:3], v[34:35], -v[36:37]
	ds_load_b128 v[2:5], v1 offset:928
	scratch_load_b128 v[34:37], off, off offset:480
	v_fma_f64 v[126:127], v[126:127], v[114:115], v[136:137]
	v_add_f64_e32 v[112:113], v[112:113], v[134:135]
	v_add_f64_e32 v[128:129], v[118:119], v[128:129]
	ds_load_b128 v[116:119], v1 offset:944
	v_fma_f64 v[124:125], v[124:125], v[114:115], -v[138:139]
	s_wait_loadcnt_dscnt 0x701
	v_mul_f64_e32 v[134:135], v[2:3], v[132:133]
	v_mul_f64_e32 v[132:133], v[4:5], v[132:133]
	s_wait_dscnt 0x0
	v_mul_f64_e32 v[138:139], v[116:117], v[8:9]
	v_mul_f64_e32 v[8:9], v[118:119], v[8:9]
	v_add_f64_e32 v[136:137], v[112:113], v[142:143]
	v_add_f64_e32 v[128:129], v[128:129], v[140:141]
	scratch_load_b128 v[112:115], off, off offset:496
	v_fma_f64 v[134:135], v[4:5], v[130:131], v[134:135]
	v_fma_f64 v[132:133], v[2:3], v[130:131], -v[132:133]
	ds_load_b128 v[2:5], v1 offset:960
	v_fma_f64 v[118:119], v[118:119], v[6:7], v[138:139]
	v_fma_f64 v[116:117], v[116:117], v[6:7], -v[8:9]
	scratch_load_b128 v[6:9], off, off offset:528
	v_add_f64_e32 v[136:137], v[136:137], v[124:125]
	v_add_f64_e32 v[140:141], v[128:129], v[126:127]
	scratch_load_b128 v[124:127], off, off offset:512
	ds_load_b128 v[128:131], v1 offset:976
	s_wait_loadcnt_dscnt 0x901
	v_mul_f64_e32 v[142:143], v[2:3], v[12:13]
	v_mul_f64_e32 v[12:13], v[4:5], v[12:13]
	v_add_f64_e32 v[132:133], v[136:137], v[132:133]
	v_add_f64_e32 v[134:135], v[140:141], v[134:135]
	s_wait_loadcnt_dscnt 0x800
	v_mul_f64_e32 v[136:137], v[128:129], v[16:17]
	v_mul_f64_e32 v[16:17], v[130:131], v[16:17]
	v_fma_f64 v[138:139], v[4:5], v[10:11], v[142:143]
	v_fma_f64 v[140:141], v[2:3], v[10:11], -v[12:13]
	ds_load_b128 v[2:5], v1 offset:992
	scratch_load_b128 v[10:13], off, off offset:544
	v_add_f64_e32 v[132:133], v[132:133], v[116:117]
	v_add_f64_e32 v[134:135], v[134:135], v[118:119]
	ds_load_b128 v[116:119], v1 offset:1008
	s_wait_loadcnt_dscnt 0x801
	v_mul_f64_e32 v[142:143], v[2:3], v[20:21]
	v_mul_f64_e32 v[20:21], v[4:5], v[20:21]
	v_fma_f64 v[130:131], v[130:131], v[14:15], v[136:137]
	v_fma_f64 v[128:129], v[128:129], v[14:15], -v[16:17]
	scratch_load_b128 v[14:17], off, off offset:560
	s_wait_loadcnt_dscnt 0x800
	v_mul_f64_e32 v[136:137], v[116:117], v[24:25]
	v_mul_f64_e32 v[24:25], v[118:119], v[24:25]
	v_add_f64_e32 v[132:133], v[132:133], v[140:141]
	v_add_f64_e32 v[134:135], v[134:135], v[138:139]
	v_fma_f64 v[138:139], v[4:5], v[18:19], v[142:143]
	v_fma_f64 v[140:141], v[2:3], v[18:19], -v[20:21]
	ds_load_b128 v[2:5], v1 offset:1024
	scratch_load_b128 v[18:21], off, off offset:576
	v_fma_f64 v[118:119], v[118:119], v[22:23], v[136:137]
	v_fma_f64 v[116:117], v[116:117], v[22:23], -v[24:25]
	scratch_load_b128 v[22:25], off, off offset:592
	v_add_f64_e32 v[132:133], v[132:133], v[128:129]
	v_add_f64_e32 v[134:135], v[134:135], v[130:131]
	ds_load_b128 v[128:131], v1 offset:1040
	s_wait_loadcnt_dscnt 0x901
	v_mul_f64_e32 v[142:143], v[2:3], v[28:29]
	v_mul_f64_e32 v[28:29], v[4:5], v[28:29]
	s_wait_loadcnt_dscnt 0x800
	v_mul_f64_e32 v[136:137], v[128:129], v[32:33]
	v_mul_f64_e32 v[32:33], v[130:131], v[32:33]
	v_add_f64_e32 v[132:133], v[132:133], v[140:141]
	v_add_f64_e32 v[134:135], v[134:135], v[138:139]
	v_fma_f64 v[138:139], v[4:5], v[26:27], v[142:143]
	v_fma_f64 v[140:141], v[2:3], v[26:27], -v[28:29]
	ds_load_b128 v[2:5], v1 offset:1056
	ds_load_b128 v[26:29], v1 offset:1072
	v_fma_f64 v[130:131], v[130:131], v[30:31], v[136:137]
	v_fma_f64 v[30:31], v[128:129], v[30:31], -v[32:33]
	v_add_f64_e32 v[116:117], v[132:133], v[116:117]
	v_add_f64_e32 v[118:119], v[134:135], v[118:119]
	s_wait_loadcnt_dscnt 0x701
	v_mul_f64_e32 v[132:133], v[2:3], v[36:37]
	v_mul_f64_e32 v[36:37], v[4:5], v[36:37]
	s_delay_alu instid0(VALU_DEP_4) | instskip(NEXT) | instid1(VALU_DEP_4)
	v_add_f64_e32 v[32:33], v[116:117], v[140:141]
	v_add_f64_e32 v[116:117], v[118:119], v[138:139]
	s_delay_alu instid0(VALU_DEP_4) | instskip(NEXT) | instid1(VALU_DEP_4)
	v_fma_f64 v[128:129], v[4:5], v[34:35], v[132:133]
	v_fma_f64 v[34:35], v[2:3], v[34:35], -v[36:37]
	s_wait_loadcnt_dscnt 0x600
	v_mul_f64_e32 v[118:119], v[26:27], v[114:115]
	v_mul_f64_e32 v[114:115], v[28:29], v[114:115]
	v_add_f64_e32 v[36:37], v[32:33], v[30:31]
	v_add_f64_e32 v[116:117], v[116:117], v[130:131]
	ds_load_b128 v[2:5], v1 offset:1088
	ds_load_b128 v[30:33], v1 offset:1104
	v_fma_f64 v[28:29], v[28:29], v[112:113], v[118:119]
	v_fma_f64 v[26:27], v[26:27], v[112:113], -v[114:115]
	s_wait_loadcnt_dscnt 0x401
	v_mul_f64_e32 v[130:131], v[2:3], v[126:127]
	v_mul_f64_e32 v[126:127], v[4:5], v[126:127]
	s_wait_dscnt 0x0
	v_mul_f64_e32 v[112:113], v[30:31], v[8:9]
	v_mul_f64_e32 v[8:9], v[32:33], v[8:9]
	v_add_f64_e32 v[34:35], v[36:37], v[34:35]
	v_add_f64_e32 v[36:37], v[116:117], v[128:129]
	v_fma_f64 v[114:115], v[4:5], v[124:125], v[130:131]
	v_fma_f64 v[116:117], v[2:3], v[124:125], -v[126:127]
	v_fma_f64 v[32:33], v[32:33], v[6:7], v[112:113]
	v_fma_f64 v[6:7], v[30:31], v[6:7], -v[8:9]
	v_add_f64_e32 v[34:35], v[34:35], v[26:27]
	v_add_f64_e32 v[36:37], v[36:37], v[28:29]
	ds_load_b128 v[2:5], v1 offset:1120
	ds_load_b128 v[26:29], v1 offset:1136
	s_wait_loadcnt_dscnt 0x301
	v_mul_f64_e32 v[118:119], v[2:3], v[12:13]
	v_mul_f64_e32 v[12:13], v[4:5], v[12:13]
	v_add_f64_e32 v[8:9], v[34:35], v[116:117]
	v_add_f64_e32 v[30:31], v[36:37], v[114:115]
	s_wait_loadcnt_dscnt 0x200
	v_mul_f64_e32 v[34:35], v[26:27], v[16:17]
	v_mul_f64_e32 v[16:17], v[28:29], v[16:17]
	v_fma_f64 v[36:37], v[4:5], v[10:11], v[118:119]
	v_fma_f64 v[10:11], v[2:3], v[10:11], -v[12:13]
	v_add_f64_e32 v[12:13], v[8:9], v[6:7]
	v_add_f64_e32 v[30:31], v[30:31], v[32:33]
	ds_load_b128 v[2:5], v1 offset:1152
	ds_load_b128 v[6:9], v1 offset:1168
	v_fma_f64 v[28:29], v[28:29], v[14:15], v[34:35]
	v_fma_f64 v[14:15], v[26:27], v[14:15], -v[16:17]
	s_wait_loadcnt_dscnt 0x101
	v_mul_f64_e32 v[0:1], v[2:3], v[20:21]
	v_mul_f64_e32 v[20:21], v[4:5], v[20:21]
	s_wait_loadcnt_dscnt 0x0
	v_mul_f64_e32 v[16:17], v[6:7], v[24:25]
	v_mul_f64_e32 v[24:25], v[8:9], v[24:25]
	v_add_f64_e32 v[10:11], v[12:13], v[10:11]
	v_add_f64_e32 v[12:13], v[30:31], v[36:37]
	v_fma_f64 v[0:1], v[4:5], v[18:19], v[0:1]
	v_fma_f64 v[2:3], v[2:3], v[18:19], -v[20:21]
	v_fma_f64 v[8:9], v[8:9], v[22:23], v[16:17]
	v_fma_f64 v[6:7], v[6:7], v[22:23], -v[24:25]
	v_add_f64_e32 v[4:5], v[10:11], v[14:15]
	v_add_f64_e32 v[10:11], v[12:13], v[28:29]
	s_delay_alu instid0(VALU_DEP_2) | instskip(NEXT) | instid1(VALU_DEP_2)
	v_add_f64_e32 v[2:3], v[4:5], v[2:3]
	v_add_f64_e32 v[0:1], v[10:11], v[0:1]
	s_delay_alu instid0(VALU_DEP_2) | instskip(NEXT) | instid1(VALU_DEP_2)
	v_add_f64_e32 v[2:3], v[2:3], v[6:7]
	v_add_f64_e32 v[4:5], v[0:1], v[8:9]
	s_delay_alu instid0(VALU_DEP_2) | instskip(NEXT) | instid1(VALU_DEP_2)
	v_add_f64_e64 v[0:1], v[120:121], -v[2:3]
	v_add_f64_e64 v[2:3], v[122:123], -v[4:5]
	scratch_store_b128 off, v[0:3], off offset:16
	s_wait_alu 0xfffe
	s_cbranch_vccz .LBB100_308
; %bb.236:
	v_mov_b32_e32 v0, 0
	global_load_b32 v1, v0, s[2:3] offset:140
	s_wait_loadcnt 0x0
	v_cmp_ne_u32_e32 vcc_lo, 36, v1
	s_cbranch_vccz .LBB100_238
; %bb.237:
	v_lshlrev_b32_e32 v1, 4, v1
	s_delay_alu instid0(VALU_DEP_1)
	v_add_nc_u32_e32 v9, 16, v1
	s_clause 0x1
	scratch_load_b128 v[1:4], v9, off offset:-16
	scratch_load_b128 v[5:8], off, s43
	s_wait_loadcnt 0x1
	scratch_store_b128 off, v[1:4], s43
	s_wait_loadcnt 0x0
	scratch_store_b128 v9, v[5:8], off offset:-16
.LBB100_238:
	global_load_b32 v0, v0, s[2:3] offset:136
	s_wait_loadcnt 0x0
	v_cmp_eq_u32_e32 vcc_lo, 35, v0
	s_cbranch_vccnz .LBB100_240
; %bb.239:
	v_lshlrev_b32_e32 v0, 4, v0
	s_delay_alu instid0(VALU_DEP_1)
	v_add_nc_u32_e32 v8, 16, v0
	s_clause 0x1
	scratch_load_b128 v[0:3], v8, off offset:-16
	scratch_load_b128 v[4:7], off, s24
	s_wait_loadcnt 0x1
	scratch_store_b128 off, v[0:3], s24
	s_wait_loadcnt 0x0
	scratch_store_b128 v8, v[4:7], off offset:-16
.LBB100_240:
	v_mov_b32_e32 v0, 0
	global_load_b32 v1, v0, s[2:3] offset:132
	s_wait_loadcnt 0x0
	v_cmp_eq_u32_e32 vcc_lo, 34, v1
	s_cbranch_vccnz .LBB100_242
; %bb.241:
	v_lshlrev_b32_e32 v1, 4, v1
	s_delay_alu instid0(VALU_DEP_1)
	v_add_nc_u32_e32 v9, 16, v1
	s_clause 0x1
	scratch_load_b128 v[1:4], v9, off offset:-16
	scratch_load_b128 v[5:8], off, s42
	s_wait_loadcnt 0x1
	scratch_store_b128 off, v[1:4], s42
	s_wait_loadcnt 0x0
	scratch_store_b128 v9, v[5:8], off offset:-16
.LBB100_242:
	global_load_b32 v0, v0, s[2:3] offset:128
	s_wait_loadcnt 0x0
	v_cmp_eq_u32_e32 vcc_lo, 33, v0
	s_cbranch_vccnz .LBB100_244
; %bb.243:
	v_lshlrev_b32_e32 v0, 4, v0
	s_delay_alu instid0(VALU_DEP_1)
	v_add_nc_u32_e32 v8, 16, v0
	s_clause 0x1
	scratch_load_b128 v[0:3], v8, off offset:-16
	scratch_load_b128 v[4:7], off, s23
	s_wait_loadcnt 0x1
	scratch_store_b128 off, v[0:3], s23
	s_wait_loadcnt 0x0
	scratch_store_b128 v8, v[4:7], off offset:-16
.LBB100_244:
	v_mov_b32_e32 v0, 0
	global_load_b32 v1, v0, s[2:3] offset:124
	s_wait_loadcnt 0x0
	v_cmp_eq_u32_e32 vcc_lo, 32, v1
	s_cbranch_vccnz .LBB100_246
; %bb.245:
	v_lshlrev_b32_e32 v1, 4, v1
	s_delay_alu instid0(VALU_DEP_1)
	v_add_nc_u32_e32 v9, 16, v1
	s_clause 0x1
	scratch_load_b128 v[1:4], v9, off offset:-16
	scratch_load_b128 v[5:8], off, s41
	s_wait_loadcnt 0x1
	scratch_store_b128 off, v[1:4], s41
	s_wait_loadcnt 0x0
	scratch_store_b128 v9, v[5:8], off offset:-16
.LBB100_246:
	global_load_b32 v0, v0, s[2:3] offset:120
	s_wait_loadcnt 0x0
	v_cmp_eq_u32_e32 vcc_lo, 31, v0
	s_cbranch_vccnz .LBB100_248
; %bb.247:
	v_lshlrev_b32_e32 v0, 4, v0
	s_delay_alu instid0(VALU_DEP_1)
	v_add_nc_u32_e32 v8, 16, v0
	s_clause 0x1
	scratch_load_b128 v[0:3], v8, off offset:-16
	scratch_load_b128 v[4:7], off, s22
	s_wait_loadcnt 0x1
	scratch_store_b128 off, v[0:3], s22
	s_wait_loadcnt 0x0
	scratch_store_b128 v8, v[4:7], off offset:-16
.LBB100_248:
	v_mov_b32_e32 v0, 0
	global_load_b32 v1, v0, s[2:3] offset:116
	s_wait_loadcnt 0x0
	v_cmp_eq_u32_e32 vcc_lo, 30, v1
	s_cbranch_vccnz .LBB100_250
; %bb.249:
	v_lshlrev_b32_e32 v1, 4, v1
	s_delay_alu instid0(VALU_DEP_1)
	v_add_nc_u32_e32 v9, 16, v1
	s_clause 0x1
	scratch_load_b128 v[1:4], v9, off offset:-16
	scratch_load_b128 v[5:8], off, s40
	s_wait_loadcnt 0x1
	scratch_store_b128 off, v[1:4], s40
	s_wait_loadcnt 0x0
	scratch_store_b128 v9, v[5:8], off offset:-16
.LBB100_250:
	global_load_b32 v0, v0, s[2:3] offset:112
	s_wait_loadcnt 0x0
	v_cmp_eq_u32_e32 vcc_lo, 29, v0
	s_cbranch_vccnz .LBB100_252
; %bb.251:
	v_lshlrev_b32_e32 v0, 4, v0
	s_delay_alu instid0(VALU_DEP_1)
	v_add_nc_u32_e32 v8, 16, v0
	s_clause 0x1
	scratch_load_b128 v[0:3], v8, off offset:-16
	scratch_load_b128 v[4:7], off, s21
	s_wait_loadcnt 0x1
	scratch_store_b128 off, v[0:3], s21
	s_wait_loadcnt 0x0
	scratch_store_b128 v8, v[4:7], off offset:-16
.LBB100_252:
	v_mov_b32_e32 v0, 0
	global_load_b32 v1, v0, s[2:3] offset:108
	s_wait_loadcnt 0x0
	v_cmp_eq_u32_e32 vcc_lo, 28, v1
	s_cbranch_vccnz .LBB100_254
; %bb.253:
	v_lshlrev_b32_e32 v1, 4, v1
	s_delay_alu instid0(VALU_DEP_1)
	v_add_nc_u32_e32 v9, 16, v1
	s_clause 0x1
	scratch_load_b128 v[1:4], v9, off offset:-16
	scratch_load_b128 v[5:8], off, s39
	s_wait_loadcnt 0x1
	scratch_store_b128 off, v[1:4], s39
	s_wait_loadcnt 0x0
	scratch_store_b128 v9, v[5:8], off offset:-16
.LBB100_254:
	global_load_b32 v0, v0, s[2:3] offset:104
	s_wait_loadcnt 0x0
	v_cmp_eq_u32_e32 vcc_lo, 27, v0
	s_cbranch_vccnz .LBB100_256
; %bb.255:
	v_lshlrev_b32_e32 v0, 4, v0
	s_delay_alu instid0(VALU_DEP_1)
	v_add_nc_u32_e32 v8, 16, v0
	s_clause 0x1
	scratch_load_b128 v[0:3], v8, off offset:-16
	scratch_load_b128 v[4:7], off, s20
	s_wait_loadcnt 0x1
	scratch_store_b128 off, v[0:3], s20
	s_wait_loadcnt 0x0
	scratch_store_b128 v8, v[4:7], off offset:-16
.LBB100_256:
	v_mov_b32_e32 v0, 0
	global_load_b32 v1, v0, s[2:3] offset:100
	s_wait_loadcnt 0x0
	v_cmp_eq_u32_e32 vcc_lo, 26, v1
	s_cbranch_vccnz .LBB100_258
; %bb.257:
	v_lshlrev_b32_e32 v1, 4, v1
	s_delay_alu instid0(VALU_DEP_1)
	v_add_nc_u32_e32 v9, 16, v1
	s_clause 0x1
	scratch_load_b128 v[1:4], v9, off offset:-16
	scratch_load_b128 v[5:8], off, s38
	s_wait_loadcnt 0x1
	scratch_store_b128 off, v[1:4], s38
	s_wait_loadcnt 0x0
	scratch_store_b128 v9, v[5:8], off offset:-16
.LBB100_258:
	global_load_b32 v0, v0, s[2:3] offset:96
	s_wait_loadcnt 0x0
	v_cmp_eq_u32_e32 vcc_lo, 25, v0
	s_cbranch_vccnz .LBB100_260
; %bb.259:
	v_lshlrev_b32_e32 v0, 4, v0
	s_delay_alu instid0(VALU_DEP_1)
	v_add_nc_u32_e32 v8, 16, v0
	s_clause 0x1
	scratch_load_b128 v[0:3], v8, off offset:-16
	scratch_load_b128 v[4:7], off, s19
	s_wait_loadcnt 0x1
	scratch_store_b128 off, v[0:3], s19
	s_wait_loadcnt 0x0
	scratch_store_b128 v8, v[4:7], off offset:-16
.LBB100_260:
	v_mov_b32_e32 v0, 0
	global_load_b32 v1, v0, s[2:3] offset:92
	s_wait_loadcnt 0x0
	v_cmp_eq_u32_e32 vcc_lo, 24, v1
	s_cbranch_vccnz .LBB100_262
; %bb.261:
	v_lshlrev_b32_e32 v1, 4, v1
	s_delay_alu instid0(VALU_DEP_1)
	v_add_nc_u32_e32 v9, 16, v1
	s_clause 0x1
	scratch_load_b128 v[1:4], v9, off offset:-16
	scratch_load_b128 v[5:8], off, s37
	s_wait_loadcnt 0x1
	scratch_store_b128 off, v[1:4], s37
	s_wait_loadcnt 0x0
	scratch_store_b128 v9, v[5:8], off offset:-16
.LBB100_262:
	global_load_b32 v0, v0, s[2:3] offset:88
	s_wait_loadcnt 0x0
	v_cmp_eq_u32_e32 vcc_lo, 23, v0
	s_cbranch_vccnz .LBB100_264
; %bb.263:
	v_lshlrev_b32_e32 v0, 4, v0
	s_delay_alu instid0(VALU_DEP_1)
	v_add_nc_u32_e32 v8, 16, v0
	s_clause 0x1
	scratch_load_b128 v[0:3], v8, off offset:-16
	scratch_load_b128 v[4:7], off, s18
	s_wait_loadcnt 0x1
	scratch_store_b128 off, v[0:3], s18
	s_wait_loadcnt 0x0
	scratch_store_b128 v8, v[4:7], off offset:-16
.LBB100_264:
	v_mov_b32_e32 v0, 0
	global_load_b32 v1, v0, s[2:3] offset:84
	s_wait_loadcnt 0x0
	v_cmp_eq_u32_e32 vcc_lo, 22, v1
	s_cbranch_vccnz .LBB100_266
; %bb.265:
	v_lshlrev_b32_e32 v1, 4, v1
	s_delay_alu instid0(VALU_DEP_1)
	v_add_nc_u32_e32 v9, 16, v1
	s_clause 0x1
	scratch_load_b128 v[1:4], v9, off offset:-16
	scratch_load_b128 v[5:8], off, s36
	s_wait_loadcnt 0x1
	scratch_store_b128 off, v[1:4], s36
	s_wait_loadcnt 0x0
	scratch_store_b128 v9, v[5:8], off offset:-16
.LBB100_266:
	global_load_b32 v0, v0, s[2:3] offset:80
	s_wait_loadcnt 0x0
	v_cmp_eq_u32_e32 vcc_lo, 21, v0
	s_cbranch_vccnz .LBB100_268
; %bb.267:
	v_lshlrev_b32_e32 v0, 4, v0
	s_delay_alu instid0(VALU_DEP_1)
	v_add_nc_u32_e32 v8, 16, v0
	s_clause 0x1
	scratch_load_b128 v[0:3], v8, off offset:-16
	scratch_load_b128 v[4:7], off, s17
	s_wait_loadcnt 0x1
	scratch_store_b128 off, v[0:3], s17
	s_wait_loadcnt 0x0
	scratch_store_b128 v8, v[4:7], off offset:-16
.LBB100_268:
	v_mov_b32_e32 v0, 0
	global_load_b32 v1, v0, s[2:3] offset:76
	s_wait_loadcnt 0x0
	v_cmp_eq_u32_e32 vcc_lo, 20, v1
	s_cbranch_vccnz .LBB100_270
; %bb.269:
	v_lshlrev_b32_e32 v1, 4, v1
	s_delay_alu instid0(VALU_DEP_1)
	v_add_nc_u32_e32 v9, 16, v1
	s_clause 0x1
	scratch_load_b128 v[1:4], v9, off offset:-16
	scratch_load_b128 v[5:8], off, s35
	s_wait_loadcnt 0x1
	scratch_store_b128 off, v[1:4], s35
	s_wait_loadcnt 0x0
	scratch_store_b128 v9, v[5:8], off offset:-16
.LBB100_270:
	global_load_b32 v0, v0, s[2:3] offset:72
	s_wait_loadcnt 0x0
	v_cmp_eq_u32_e32 vcc_lo, 19, v0
	s_cbranch_vccnz .LBB100_272
; %bb.271:
	v_lshlrev_b32_e32 v0, 4, v0
	s_delay_alu instid0(VALU_DEP_1)
	v_add_nc_u32_e32 v8, 16, v0
	s_clause 0x1
	scratch_load_b128 v[0:3], v8, off offset:-16
	scratch_load_b128 v[4:7], off, s16
	s_wait_loadcnt 0x1
	scratch_store_b128 off, v[0:3], s16
	s_wait_loadcnt 0x0
	scratch_store_b128 v8, v[4:7], off offset:-16
.LBB100_272:
	v_mov_b32_e32 v0, 0
	global_load_b32 v1, v0, s[2:3] offset:68
	s_wait_loadcnt 0x0
	v_cmp_eq_u32_e32 vcc_lo, 18, v1
	s_cbranch_vccnz .LBB100_274
; %bb.273:
	v_lshlrev_b32_e32 v1, 4, v1
	s_delay_alu instid0(VALU_DEP_1)
	v_add_nc_u32_e32 v9, 16, v1
	s_clause 0x1
	scratch_load_b128 v[1:4], v9, off offset:-16
	scratch_load_b128 v[5:8], off, s34
	s_wait_loadcnt 0x1
	scratch_store_b128 off, v[1:4], s34
	s_wait_loadcnt 0x0
	scratch_store_b128 v9, v[5:8], off offset:-16
.LBB100_274:
	global_load_b32 v0, v0, s[2:3] offset:64
	s_wait_loadcnt 0x0
	v_cmp_eq_u32_e32 vcc_lo, 17, v0
	s_cbranch_vccnz .LBB100_276
; %bb.275:
	v_lshlrev_b32_e32 v0, 4, v0
	s_delay_alu instid0(VALU_DEP_1)
	v_add_nc_u32_e32 v8, 16, v0
	s_clause 0x1
	scratch_load_b128 v[0:3], v8, off offset:-16
	scratch_load_b128 v[4:7], off, s15
	s_wait_loadcnt 0x1
	scratch_store_b128 off, v[0:3], s15
	s_wait_loadcnt 0x0
	scratch_store_b128 v8, v[4:7], off offset:-16
.LBB100_276:
	v_mov_b32_e32 v0, 0
	global_load_b32 v1, v0, s[2:3] offset:60
	s_wait_loadcnt 0x0
	v_cmp_eq_u32_e32 vcc_lo, 16, v1
	s_cbranch_vccnz .LBB100_278
; %bb.277:
	v_lshlrev_b32_e32 v1, 4, v1
	s_delay_alu instid0(VALU_DEP_1)
	v_add_nc_u32_e32 v9, 16, v1
	s_clause 0x1
	scratch_load_b128 v[1:4], v9, off offset:-16
	scratch_load_b128 v[5:8], off, s33
	s_wait_loadcnt 0x1
	scratch_store_b128 off, v[1:4], s33
	s_wait_loadcnt 0x0
	scratch_store_b128 v9, v[5:8], off offset:-16
.LBB100_278:
	global_load_b32 v0, v0, s[2:3] offset:56
	s_wait_loadcnt 0x0
	v_cmp_eq_u32_e32 vcc_lo, 15, v0
	s_cbranch_vccnz .LBB100_280
; %bb.279:
	v_lshlrev_b32_e32 v0, 4, v0
	s_delay_alu instid0(VALU_DEP_1)
	v_add_nc_u32_e32 v8, 16, v0
	s_clause 0x1
	scratch_load_b128 v[0:3], v8, off offset:-16
	scratch_load_b128 v[4:7], off, s14
	s_wait_loadcnt 0x1
	scratch_store_b128 off, v[0:3], s14
	s_wait_loadcnt 0x0
	scratch_store_b128 v8, v[4:7], off offset:-16
.LBB100_280:
	v_mov_b32_e32 v0, 0
	global_load_b32 v1, v0, s[2:3] offset:52
	s_wait_loadcnt 0x0
	v_cmp_eq_u32_e32 vcc_lo, 14, v1
	s_cbranch_vccnz .LBB100_282
; %bb.281:
	v_lshlrev_b32_e32 v1, 4, v1
	s_delay_alu instid0(VALU_DEP_1)
	v_add_nc_u32_e32 v9, 16, v1
	s_clause 0x1
	scratch_load_b128 v[1:4], v9, off offset:-16
	scratch_load_b128 v[5:8], off, s31
	s_wait_loadcnt 0x1
	scratch_store_b128 off, v[1:4], s31
	s_wait_loadcnt 0x0
	scratch_store_b128 v9, v[5:8], off offset:-16
.LBB100_282:
	global_load_b32 v0, v0, s[2:3] offset:48
	s_wait_loadcnt 0x0
	v_cmp_eq_u32_e32 vcc_lo, 13, v0
	s_cbranch_vccnz .LBB100_284
; %bb.283:
	v_lshlrev_b32_e32 v0, 4, v0
	s_delay_alu instid0(VALU_DEP_1)
	v_add_nc_u32_e32 v8, 16, v0
	s_clause 0x1
	scratch_load_b128 v[0:3], v8, off offset:-16
	scratch_load_b128 v[4:7], off, s13
	s_wait_loadcnt 0x1
	scratch_store_b128 off, v[0:3], s13
	s_wait_loadcnt 0x0
	scratch_store_b128 v8, v[4:7], off offset:-16
.LBB100_284:
	v_mov_b32_e32 v0, 0
	global_load_b32 v1, v0, s[2:3] offset:44
	s_wait_loadcnt 0x0
	v_cmp_eq_u32_e32 vcc_lo, 12, v1
	s_cbranch_vccnz .LBB100_286
; %bb.285:
	v_lshlrev_b32_e32 v1, 4, v1
	s_delay_alu instid0(VALU_DEP_1)
	v_add_nc_u32_e32 v9, 16, v1
	s_clause 0x1
	scratch_load_b128 v[1:4], v9, off offset:-16
	scratch_load_b128 v[5:8], off, s30
	s_wait_loadcnt 0x1
	scratch_store_b128 off, v[1:4], s30
	s_wait_loadcnt 0x0
	scratch_store_b128 v9, v[5:8], off offset:-16
.LBB100_286:
	global_load_b32 v0, v0, s[2:3] offset:40
	s_wait_loadcnt 0x0
	v_cmp_eq_u32_e32 vcc_lo, 11, v0
	s_cbranch_vccnz .LBB100_288
; %bb.287:
	v_lshlrev_b32_e32 v0, 4, v0
	s_delay_alu instid0(VALU_DEP_1)
	v_add_nc_u32_e32 v8, 16, v0
	s_clause 0x1
	scratch_load_b128 v[0:3], v8, off offset:-16
	scratch_load_b128 v[4:7], off, s11
	s_wait_loadcnt 0x1
	scratch_store_b128 off, v[0:3], s11
	s_wait_loadcnt 0x0
	scratch_store_b128 v8, v[4:7], off offset:-16
.LBB100_288:
	v_mov_b32_e32 v0, 0
	global_load_b32 v1, v0, s[2:3] offset:36
	s_wait_loadcnt 0x0
	v_cmp_eq_u32_e32 vcc_lo, 10, v1
	s_cbranch_vccnz .LBB100_290
; %bb.289:
	v_lshlrev_b32_e32 v1, 4, v1
	s_delay_alu instid0(VALU_DEP_1)
	v_add_nc_u32_e32 v9, 16, v1
	s_clause 0x1
	scratch_load_b128 v[1:4], v9, off offset:-16
	scratch_load_b128 v[5:8], off, s29
	s_wait_loadcnt 0x1
	scratch_store_b128 off, v[1:4], s29
	s_wait_loadcnt 0x0
	scratch_store_b128 v9, v[5:8], off offset:-16
.LBB100_290:
	global_load_b32 v0, v0, s[2:3] offset:32
	s_wait_loadcnt 0x0
	v_cmp_eq_u32_e32 vcc_lo, 9, v0
	s_cbranch_vccnz .LBB100_292
; %bb.291:
	v_lshlrev_b32_e32 v0, 4, v0
	s_delay_alu instid0(VALU_DEP_1)
	v_add_nc_u32_e32 v8, 16, v0
	s_clause 0x1
	scratch_load_b128 v[0:3], v8, off offset:-16
	scratch_load_b128 v[4:7], off, s10
	s_wait_loadcnt 0x1
	scratch_store_b128 off, v[0:3], s10
	s_wait_loadcnt 0x0
	scratch_store_b128 v8, v[4:7], off offset:-16
.LBB100_292:
	v_mov_b32_e32 v0, 0
	global_load_b32 v1, v0, s[2:3] offset:28
	s_wait_loadcnt 0x0
	v_cmp_eq_u32_e32 vcc_lo, 8, v1
	s_cbranch_vccnz .LBB100_294
; %bb.293:
	v_lshlrev_b32_e32 v1, 4, v1
	s_delay_alu instid0(VALU_DEP_1)
	v_add_nc_u32_e32 v9, 16, v1
	s_clause 0x1
	scratch_load_b128 v[1:4], v9, off offset:-16
	scratch_load_b128 v[5:8], off, s28
	s_wait_loadcnt 0x1
	scratch_store_b128 off, v[1:4], s28
	s_wait_loadcnt 0x0
	scratch_store_b128 v9, v[5:8], off offset:-16
.LBB100_294:
	global_load_b32 v0, v0, s[2:3] offset:24
	s_wait_loadcnt 0x0
	v_cmp_eq_u32_e32 vcc_lo, 7, v0
	s_cbranch_vccnz .LBB100_296
; %bb.295:
	v_lshlrev_b32_e32 v0, 4, v0
	s_delay_alu instid0(VALU_DEP_1)
	v_add_nc_u32_e32 v8, 16, v0
	s_clause 0x1
	scratch_load_b128 v[0:3], v8, off offset:-16
	scratch_load_b128 v[4:7], off, s5
	s_wait_loadcnt 0x1
	scratch_store_b128 off, v[0:3], s5
	s_wait_loadcnt 0x0
	scratch_store_b128 v8, v[4:7], off offset:-16
.LBB100_296:
	v_mov_b32_e32 v0, 0
	global_load_b32 v1, v0, s[2:3] offset:20
	s_wait_loadcnt 0x0
	v_cmp_eq_u32_e32 vcc_lo, 6, v1
	s_cbranch_vccnz .LBB100_298
; %bb.297:
	v_lshlrev_b32_e32 v1, 4, v1
	s_delay_alu instid0(VALU_DEP_1)
	v_add_nc_u32_e32 v9, 16, v1
	s_clause 0x1
	scratch_load_b128 v[1:4], v9, off offset:-16
	scratch_load_b128 v[5:8], off, s27
	s_wait_loadcnt 0x1
	scratch_store_b128 off, v[1:4], s27
	s_wait_loadcnt 0x0
	scratch_store_b128 v9, v[5:8], off offset:-16
.LBB100_298:
	global_load_b32 v0, v0, s[2:3] offset:16
	s_wait_loadcnt 0x0
	v_cmp_eq_u32_e32 vcc_lo, 5, v0
	s_cbranch_vccnz .LBB100_300
; %bb.299:
	v_lshlrev_b32_e32 v0, 4, v0
	s_delay_alu instid0(VALU_DEP_1)
	v_add_nc_u32_e32 v8, 16, v0
	s_clause 0x1
	scratch_load_b128 v[0:3], v8, off offset:-16
	scratch_load_b128 v[4:7], off, s4
	s_wait_loadcnt 0x1
	scratch_store_b128 off, v[0:3], s4
	s_wait_loadcnt 0x0
	scratch_store_b128 v8, v[4:7], off offset:-16
.LBB100_300:
	v_mov_b32_e32 v0, 0
	global_load_b32 v1, v0, s[2:3] offset:12
	s_wait_loadcnt 0x0
	v_cmp_eq_u32_e32 vcc_lo, 4, v1
	s_cbranch_vccnz .LBB100_302
; %bb.301:
	v_lshlrev_b32_e32 v1, 4, v1
	s_delay_alu instid0(VALU_DEP_1)
	v_add_nc_u32_e32 v9, 16, v1
	s_clause 0x1
	scratch_load_b128 v[1:4], v9, off offset:-16
	scratch_load_b128 v[5:8], off, s26
	s_wait_loadcnt 0x1
	scratch_store_b128 off, v[1:4], s26
	s_wait_loadcnt 0x0
	scratch_store_b128 v9, v[5:8], off offset:-16
.LBB100_302:
	global_load_b32 v0, v0, s[2:3] offset:8
	s_wait_loadcnt 0x0
	v_cmp_eq_u32_e32 vcc_lo, 3, v0
	s_cbranch_vccnz .LBB100_304
; %bb.303:
	v_lshlrev_b32_e32 v0, 4, v0
	s_delay_alu instid0(VALU_DEP_1)
	v_add_nc_u32_e32 v8, 16, v0
	s_clause 0x1
	scratch_load_b128 v[0:3], v8, off offset:-16
	scratch_load_b128 v[4:7], off, s44
	s_wait_loadcnt 0x1
	scratch_store_b128 off, v[0:3], s44
	s_wait_loadcnt 0x0
	scratch_store_b128 v8, v[4:7], off offset:-16
.LBB100_304:
	v_mov_b32_e32 v0, 0
	global_load_b32 v1, v0, s[2:3] offset:4
	s_wait_loadcnt 0x0
	v_cmp_eq_u32_e32 vcc_lo, 2, v1
	s_cbranch_vccnz .LBB100_306
; %bb.305:
	v_lshlrev_b32_e32 v1, 4, v1
	s_delay_alu instid0(VALU_DEP_1)
	v_add_nc_u32_e32 v9, 16, v1
	s_clause 0x1
	scratch_load_b128 v[1:4], v9, off offset:-16
	scratch_load_b128 v[5:8], off, s45
	s_wait_loadcnt 0x1
	scratch_store_b128 off, v[1:4], s45
	s_wait_loadcnt 0x0
	scratch_store_b128 v9, v[5:8], off offset:-16
.LBB100_306:
	global_load_b32 v0, v0, s[2:3]
	s_wait_loadcnt 0x0
	v_cmp_eq_u32_e32 vcc_lo, 1, v0
	s_cbranch_vccnz .LBB100_308
; %bb.307:
	v_lshlrev_b32_e32 v0, 4, v0
	s_delay_alu instid0(VALU_DEP_1)
	v_add_nc_u32_e32 v8, 16, v0
	scratch_load_b128 v[0:3], v8, off offset:-16
	scratch_load_b128 v[4:7], off, off offset:16
	s_wait_loadcnt 0x1
	scratch_store_b128 off, v[0:3], off offset:16
	s_wait_loadcnt 0x0
	scratch_store_b128 v8, v[4:7], off offset:-16
.LBB100_308:
	scratch_load_b128 v[0:3], off, off offset:16
	s_wait_loadcnt 0x0
	flat_store_b128 v[38:39], v[0:3]
	scratch_load_b128 v[0:3], off, s45
	s_wait_loadcnt 0x0
	flat_store_b128 v[40:41], v[0:3]
	scratch_load_b128 v[0:3], off, s44
	;; [unrolled: 3-line block ×36, first 2 shown]
	s_wait_loadcnt 0x0
	flat_store_b128 v[110:111], v[0:3]
	s_nop 0
	s_sendmsg sendmsg(MSG_DEALLOC_VGPRS)
	s_endpgm
	.section	.rodata,"a",@progbits
	.p2align	6, 0x0
	.amdhsa_kernel _ZN9rocsolver6v33100L18getri_kernel_smallILi37E19rocblas_complex_numIdEPKPS3_EEvT1_iilPiilS8_bb
		.amdhsa_group_segment_fixed_size 1192
		.amdhsa_private_segment_fixed_size 624
		.amdhsa_kernarg_size 60
		.amdhsa_user_sgpr_count 2
		.amdhsa_user_sgpr_dispatch_ptr 0
		.amdhsa_user_sgpr_queue_ptr 0
		.amdhsa_user_sgpr_kernarg_segment_ptr 1
		.amdhsa_user_sgpr_dispatch_id 0
		.amdhsa_user_sgpr_private_segment_size 0
		.amdhsa_wavefront_size32 1
		.amdhsa_uses_dynamic_stack 0
		.amdhsa_enable_private_segment 1
		.amdhsa_system_sgpr_workgroup_id_x 1
		.amdhsa_system_sgpr_workgroup_id_y 0
		.amdhsa_system_sgpr_workgroup_id_z 0
		.amdhsa_system_sgpr_workgroup_info 0
		.amdhsa_system_vgpr_workitem_id 0
		.amdhsa_next_free_vgpr 147
		.amdhsa_next_free_sgpr 49
		.amdhsa_reserve_vcc 1
		.amdhsa_float_round_mode_32 0
		.amdhsa_float_round_mode_16_64 0
		.amdhsa_float_denorm_mode_32 3
		.amdhsa_float_denorm_mode_16_64 3
		.amdhsa_fp16_overflow 0
		.amdhsa_workgroup_processor_mode 1
		.amdhsa_memory_ordered 1
		.amdhsa_forward_progress 1
		.amdhsa_inst_pref_size 255
		.amdhsa_round_robin_scheduling 0
		.amdhsa_exception_fp_ieee_invalid_op 0
		.amdhsa_exception_fp_denorm_src 0
		.amdhsa_exception_fp_ieee_div_zero 0
		.amdhsa_exception_fp_ieee_overflow 0
		.amdhsa_exception_fp_ieee_underflow 0
		.amdhsa_exception_fp_ieee_inexact 0
		.amdhsa_exception_int_div_zero 0
	.end_amdhsa_kernel
	.section	.text._ZN9rocsolver6v33100L18getri_kernel_smallILi37E19rocblas_complex_numIdEPKPS3_EEvT1_iilPiilS8_bb,"axG",@progbits,_ZN9rocsolver6v33100L18getri_kernel_smallILi37E19rocblas_complex_numIdEPKPS3_EEvT1_iilPiilS8_bb,comdat
.Lfunc_end100:
	.size	_ZN9rocsolver6v33100L18getri_kernel_smallILi37E19rocblas_complex_numIdEPKPS3_EEvT1_iilPiilS8_bb, .Lfunc_end100-_ZN9rocsolver6v33100L18getri_kernel_smallILi37E19rocblas_complex_numIdEPKPS3_EEvT1_iilPiilS8_bb
                                        ; -- End function
	.set _ZN9rocsolver6v33100L18getri_kernel_smallILi37E19rocblas_complex_numIdEPKPS3_EEvT1_iilPiilS8_bb.num_vgpr, 147
	.set _ZN9rocsolver6v33100L18getri_kernel_smallILi37E19rocblas_complex_numIdEPKPS3_EEvT1_iilPiilS8_bb.num_agpr, 0
	.set _ZN9rocsolver6v33100L18getri_kernel_smallILi37E19rocblas_complex_numIdEPKPS3_EEvT1_iilPiilS8_bb.numbered_sgpr, 49
	.set _ZN9rocsolver6v33100L18getri_kernel_smallILi37E19rocblas_complex_numIdEPKPS3_EEvT1_iilPiilS8_bb.num_named_barrier, 0
	.set _ZN9rocsolver6v33100L18getri_kernel_smallILi37E19rocblas_complex_numIdEPKPS3_EEvT1_iilPiilS8_bb.private_seg_size, 624
	.set _ZN9rocsolver6v33100L18getri_kernel_smallILi37E19rocblas_complex_numIdEPKPS3_EEvT1_iilPiilS8_bb.uses_vcc, 1
	.set _ZN9rocsolver6v33100L18getri_kernel_smallILi37E19rocblas_complex_numIdEPKPS3_EEvT1_iilPiilS8_bb.uses_flat_scratch, 1
	.set _ZN9rocsolver6v33100L18getri_kernel_smallILi37E19rocblas_complex_numIdEPKPS3_EEvT1_iilPiilS8_bb.has_dyn_sized_stack, 0
	.set _ZN9rocsolver6v33100L18getri_kernel_smallILi37E19rocblas_complex_numIdEPKPS3_EEvT1_iilPiilS8_bb.has_recursion, 0
	.set _ZN9rocsolver6v33100L18getri_kernel_smallILi37E19rocblas_complex_numIdEPKPS3_EEvT1_iilPiilS8_bb.has_indirect_call, 0
	.section	.AMDGPU.csdata,"",@progbits
; Kernel info:
; codeLenInByte = 62472
; TotalNumSgprs: 51
; NumVgprs: 147
; ScratchSize: 624
; MemoryBound: 0
; FloatMode: 240
; IeeeMode: 1
; LDSByteSize: 1192 bytes/workgroup (compile time only)
; SGPRBlocks: 0
; VGPRBlocks: 18
; NumSGPRsForWavesPerEU: 51
; NumVGPRsForWavesPerEU: 147
; Occupancy: 9
; WaveLimiterHint : 1
; COMPUTE_PGM_RSRC2:SCRATCH_EN: 1
; COMPUTE_PGM_RSRC2:USER_SGPR: 2
; COMPUTE_PGM_RSRC2:TRAP_HANDLER: 0
; COMPUTE_PGM_RSRC2:TGID_X_EN: 1
; COMPUTE_PGM_RSRC2:TGID_Y_EN: 0
; COMPUTE_PGM_RSRC2:TGID_Z_EN: 0
; COMPUTE_PGM_RSRC2:TIDIG_COMP_CNT: 0
	.section	.text._ZN9rocsolver6v33100L18getri_kernel_smallILi38E19rocblas_complex_numIdEPKPS3_EEvT1_iilPiilS8_bb,"axG",@progbits,_ZN9rocsolver6v33100L18getri_kernel_smallILi38E19rocblas_complex_numIdEPKPS3_EEvT1_iilPiilS8_bb,comdat
	.globl	_ZN9rocsolver6v33100L18getri_kernel_smallILi38E19rocblas_complex_numIdEPKPS3_EEvT1_iilPiilS8_bb ; -- Begin function _ZN9rocsolver6v33100L18getri_kernel_smallILi38E19rocblas_complex_numIdEPKPS3_EEvT1_iilPiilS8_bb
	.p2align	8
	.type	_ZN9rocsolver6v33100L18getri_kernel_smallILi38E19rocblas_complex_numIdEPKPS3_EEvT1_iilPiilS8_bb,@function
_ZN9rocsolver6v33100L18getri_kernel_smallILi38E19rocblas_complex_numIdEPKPS3_EEvT1_iilPiilS8_bb: ; @_ZN9rocsolver6v33100L18getri_kernel_smallILi38E19rocblas_complex_numIdEPKPS3_EEvT1_iilPiilS8_bb
; %bb.0:
	s_mov_b32 s2, exec_lo
	v_cmpx_gt_u32_e32 38, v0
	s_cbranch_execz .LBB101_166
; %bb.1:
	s_clause 0x1
	s_load_b32 s13, s[0:1], 0x38
	s_load_b64 s[2:3], s[0:1], 0x0
	s_mov_b32 s8, ttmp9
	s_load_b128 s[4:7], s[0:1], 0x28
	s_wait_kmcnt 0x0
	s_bitcmp1_b32 s13, 8
	s_cselect_b32 s12, -1, 0
	s_ashr_i32 s9, ttmp9, 31
	s_delay_alu instid0(SALU_CYCLE_1) | instskip(NEXT) | instid1(SALU_CYCLE_1)
	s_lshl_b64 s[10:11], s[8:9], 3
	s_add_nc_u64 s[2:3], s[2:3], s[10:11]
	s_load_b64 s[10:11], s[2:3], 0x0
	s_bfe_u32 s2, s13, 0x10008
	s_delay_alu instid0(SALU_CYCLE_1)
	s_cmp_eq_u32 s2, 0
                                        ; implicit-def: $sgpr2_sgpr3
	s_cbranch_scc1 .LBB101_3
; %bb.2:
	s_load_b96 s[16:18], s[0:1], 0x18
	s_mul_u64 s[2:3], s[4:5], s[8:9]
	s_delay_alu instid0(SALU_CYCLE_1)
	s_lshl_b64 s[2:3], s[2:3], 2
	s_wait_kmcnt 0x0
	s_ashr_i32 s5, s18, 31
	s_mov_b32 s4, s18
	s_add_nc_u64 s[2:3], s[16:17], s[2:3]
	s_lshl_b64 s[4:5], s[4:5], 2
	s_delay_alu instid0(SALU_CYCLE_1)
	s_add_nc_u64 s[2:3], s[2:3], s[4:5]
.LBB101_3:
	s_clause 0x1
	s_load_b64 s[4:5], s[0:1], 0x8
	s_load_b32 s47, s[0:1], 0x38
	v_lshlrev_b32_e32 v13, 4, v0
	s_mov_b32 s46, 32
	s_mov_b32 s45, 48
	;; [unrolled: 1-line block ×3, first 2 shown]
	s_movk_i32 s27, 0x50
	s_wait_kmcnt 0x0
	s_ashr_i32 s1, s4, 31
	s_mov_b32 s0, s4
	v_add3_u32 v5, s5, s5, v0
	s_lshl_b64 s[0:1], s[0:1], 4
	s_delay_alu instid0(SALU_CYCLE_1)
	s_add_nc_u64 s[0:1], s[10:11], s[0:1]
	s_ashr_i32 s11, s5, 31
	v_add_co_u32 v38, s4, s0, v13
	s_wait_alu 0xf1ff
	v_add_co_ci_u32_e64 v39, null, s1, 0, s4
	s_mov_b32 s10, s5
	v_ashrrev_i32_e32 v6, 31, v5
	s_lshl_b64 s[10:11], s[10:11], 4
	flat_load_b128 v[1:4], v[38:39]
	v_add_co_u32 v40, vcc_lo, v38, s10
	s_delay_alu instid0(VALU_DEP_1) | instskip(SKIP_2) | instid1(VALU_DEP_2)
	v_add_co_ci_u32_e64 v41, null, s11, v39, vcc_lo
	v_lshlrev_b64_e32 v[6:7], 4, v[5:6]
	v_add_nc_u32_e32 v5, s5, v5
	v_add_co_u32 v42, vcc_lo, s0, v6
	s_wait_alu 0xfffd
	s_delay_alu instid0(VALU_DEP_3) | instskip(NEXT) | instid1(VALU_DEP_3)
	v_add_co_ci_u32_e64 v43, null, s1, v7, vcc_lo
	v_ashrrev_i32_e32 v6, 31, v5
	s_delay_alu instid0(VALU_DEP_1) | instskip(SKIP_1) | instid1(VALU_DEP_2)
	v_lshlrev_b64_e32 v[6:7], 4, v[5:6]
	v_add_nc_u32_e32 v5, s5, v5
	v_add_co_u32 v44, vcc_lo, s0, v6
	s_wait_alu 0xfffd
	s_delay_alu instid0(VALU_DEP_3) | instskip(NEXT) | instid1(VALU_DEP_3)
	v_add_co_ci_u32_e64 v45, null, s1, v7, vcc_lo
	v_ashrrev_i32_e32 v6, 31, v5
	s_delay_alu instid0(VALU_DEP_1) | instskip(SKIP_1) | instid1(VALU_DEP_2)
	;; [unrolled: 8-line block ×20, first 2 shown]
	v_lshlrev_b64_e32 v[6:7], 4, v[5:6]
	v_add_nc_u32_e32 v5, s5, v5
	v_add_co_u32 v82, vcc_lo, s0, v6
	s_wait_alu 0xfffd
	s_delay_alu instid0(VALU_DEP_3) | instskip(NEXT) | instid1(VALU_DEP_3)
	v_add_co_ci_u32_e64 v83, null, s1, v7, vcc_lo
	v_ashrrev_i32_e32 v6, 31, v5
	s_delay_alu instid0(VALU_DEP_1)
	v_lshlrev_b64_e32 v[6:7], 4, v[5:6]
	s_wait_loadcnt_dscnt 0x0
	scratch_store_b128 off, v[1:4], off offset:16
	flat_load_b128 v[1:4], v[40:41]
	v_add_nc_u32_e32 v5, s5, v5
	v_add_co_u32 v84, vcc_lo, s0, v6
	s_wait_alu 0xfffd
	v_add_co_ci_u32_e64 v85, null, s1, v7, vcc_lo
	s_delay_alu instid0(VALU_DEP_3) | instskip(NEXT) | instid1(VALU_DEP_1)
	v_ashrrev_i32_e32 v6, 31, v5
	v_lshlrev_b64_e32 v[6:7], 4, v[5:6]
	v_add_nc_u32_e32 v5, s5, v5
	s_delay_alu instid0(VALU_DEP_2) | instskip(SKIP_1) | instid1(VALU_DEP_3)
	v_add_co_u32 v86, vcc_lo, s0, v6
	s_wait_alu 0xfffd
	v_add_co_ci_u32_e64 v87, null, s1, v7, vcc_lo
	s_delay_alu instid0(VALU_DEP_3) | instskip(NEXT) | instid1(VALU_DEP_1)
	v_ashrrev_i32_e32 v6, 31, v5
	v_lshlrev_b64_e32 v[6:7], 4, v[5:6]
	v_add_nc_u32_e32 v5, s5, v5
	s_delay_alu instid0(VALU_DEP_2) | instskip(SKIP_1) | instid1(VALU_DEP_3)
	;; [unrolled: 8-line block ×13, first 2 shown]
	v_add_co_u32 v110, vcc_lo, s0, v6
	s_wait_alu 0xfffd
	v_add_co_ci_u32_e64 v111, null, s1, v7, vcc_lo
	s_delay_alu instid0(VALU_DEP_3) | instskip(NEXT) | instid1(VALU_DEP_1)
	v_ashrrev_i32_e32 v6, 31, v5
	v_lshlrev_b64_e32 v[5:6], 4, v[5:6]
	s_delay_alu instid0(VALU_DEP_1) | instskip(SKIP_1) | instid1(VALU_DEP_2)
	v_add_co_u32 v112, vcc_lo, s0, v5
	s_wait_alu 0xfffd
	v_add_co_ci_u32_e64 v113, null, s1, v6, vcc_lo
	s_movk_i32 s0, 0x50
	s_movk_i32 s1, 0x70
	s_wait_alu 0xfffe
	s_add_co_i32 s4, s0, 16
	s_movk_i32 s0, 0x60
	s_add_co_i32 s5, s1, 16
	s_wait_alu 0xfffe
	s_add_co_i32 s28, s0, 16
	s_movk_i32 s0, 0x80
	s_movk_i32 s1, 0x90
	s_wait_alu 0xfffe
	s_add_co_i32 s29, s0, 16
	s_add_co_i32 s10, s1, 16
	s_movk_i32 s0, 0xa0
	s_movk_i32 s1, 0xb0
	s_wait_alu 0xfffe
	s_add_co_i32 s30, s0, 16
	;; [unrolled: 5-line block ×15, first 2 shown]
	s_add_co_i32 s25, s1, 16
	s_bitcmp0_b32 s47, 0
	s_mov_b32 s1, -1
	s_wait_loadcnt_dscnt 0x0
	scratch_store_b128 off, v[1:4], off offset:32
	flat_load_b128 v[1:4], v[42:43]
	s_wait_loadcnt_dscnt 0x0
	scratch_store_b128 off, v[1:4], off offset:48
	flat_load_b128 v[1:4], v[44:45]
	;; [unrolled: 3-line block ×36, first 2 shown]
	s_wait_loadcnt_dscnt 0x0
	scratch_store_b128 off, v[1:4], off offset:608
	s_cbranch_scc1 .LBB101_164
; %bb.4:
	v_cmp_eq_u32_e64 s0, 0, v0
	s_and_saveexec_b32 s1, s0
; %bb.5:
	v_mov_b32_e32 v1, 0
	ds_store_b32 v1, v1 offset:1216
; %bb.6:
	s_wait_alu 0xfffe
	s_or_b32 exec_lo, exec_lo, s1
	s_wait_storecnt_dscnt 0x0
	s_barrier_signal -1
	s_barrier_wait -1
	global_inv scope:SCOPE_SE
	scratch_load_b128 v[1:4], v13, off offset:16
	s_wait_loadcnt 0x0
	v_cmp_eq_f64_e32 vcc_lo, 0, v[1:2]
	v_cmp_eq_f64_e64 s1, 0, v[3:4]
	s_and_b32 s1, vcc_lo, s1
	s_wait_alu 0xfffe
	s_and_saveexec_b32 s47, s1
	s_cbranch_execz .LBB101_10
; %bb.7:
	v_mov_b32_e32 v1, 0
	s_mov_b32 s48, 0
	ds_load_b32 v2, v1 offset:1216
	s_wait_dscnt 0x0
	v_readfirstlane_b32 s1, v2
	v_add_nc_u32_e32 v2, 1, v0
	s_cmp_eq_u32 s1, 0
	s_delay_alu instid0(VALU_DEP_1) | instskip(SKIP_1) | instid1(SALU_CYCLE_1)
	v_cmp_gt_i32_e32 vcc_lo, s1, v2
	s_cselect_b32 s49, -1, 0
	s_or_b32 s49, s49, vcc_lo
	s_delay_alu instid0(SALU_CYCLE_1)
	s_and_b32 exec_lo, exec_lo, s49
	s_cbranch_execz .LBB101_10
; %bb.8:
	v_mov_b32_e32 v3, s1
.LBB101_9:                              ; =>This Inner Loop Header: Depth=1
	ds_cmpstore_rtn_b32 v3, v1, v2, v3 offset:1216
	s_wait_dscnt 0x0
	v_cmp_ne_u32_e32 vcc_lo, 0, v3
	v_cmp_le_i32_e64 s1, v3, v2
	s_and_b32 s1, vcc_lo, s1
	s_wait_alu 0xfffe
	s_and_b32 s1, exec_lo, s1
	s_wait_alu 0xfffe
	s_or_b32 s48, s1, s48
	s_delay_alu instid0(SALU_CYCLE_1)
	s_and_not1_b32 exec_lo, exec_lo, s48
	s_cbranch_execnz .LBB101_9
.LBB101_10:
	s_or_b32 exec_lo, exec_lo, s47
	v_mov_b32_e32 v1, 0
	s_barrier_signal -1
	s_barrier_wait -1
	global_inv scope:SCOPE_SE
	ds_load_b32 v2, v1 offset:1216
	s_and_saveexec_b32 s1, s0
	s_cbranch_execz .LBB101_12
; %bb.11:
	s_lshl_b64 s[48:49], s[8:9], 2
	s_delay_alu instid0(SALU_CYCLE_1)
	s_add_nc_u64 s[48:49], s[6:7], s[48:49]
	s_wait_dscnt 0x0
	global_store_b32 v1, v2, s[48:49]
.LBB101_12:
	s_wait_alu 0xfffe
	s_or_b32 exec_lo, exec_lo, s1
	s_wait_dscnt 0x0
	v_cmp_ne_u32_e32 vcc_lo, 0, v2
	s_mov_b32 s1, 0
	s_cbranch_vccnz .LBB101_164
; %bb.13:
	v_add_nc_u32_e32 v14, 16, v13
                                        ; implicit-def: $vgpr1_vgpr2
                                        ; implicit-def: $vgpr9_vgpr10
	scratch_load_b128 v[5:8], v14, off
	s_wait_loadcnt 0x0
	v_cmp_ngt_f64_e64 s1, |v[5:6]|, |v[7:8]|
	s_wait_alu 0xfffe
	s_and_saveexec_b32 s47, s1
	s_delay_alu instid0(SALU_CYCLE_1)
	s_xor_b32 s1, exec_lo, s47
	s_cbranch_execz .LBB101_15
; %bb.14:
	v_div_scale_f64 v[1:2], null, v[7:8], v[7:8], v[5:6]
	v_div_scale_f64 v[11:12], vcc_lo, v[5:6], v[7:8], v[5:6]
	s_delay_alu instid0(VALU_DEP_2) | instskip(NEXT) | instid1(TRANS32_DEP_1)
	v_rcp_f64_e32 v[3:4], v[1:2]
	v_fma_f64 v[9:10], -v[1:2], v[3:4], 1.0
	s_delay_alu instid0(VALU_DEP_1) | instskip(NEXT) | instid1(VALU_DEP_1)
	v_fma_f64 v[3:4], v[3:4], v[9:10], v[3:4]
	v_fma_f64 v[9:10], -v[1:2], v[3:4], 1.0
	s_delay_alu instid0(VALU_DEP_1) | instskip(NEXT) | instid1(VALU_DEP_1)
	v_fma_f64 v[3:4], v[3:4], v[9:10], v[3:4]
	v_mul_f64_e32 v[9:10], v[11:12], v[3:4]
	s_delay_alu instid0(VALU_DEP_1) | instskip(SKIP_1) | instid1(VALU_DEP_1)
	v_fma_f64 v[1:2], -v[1:2], v[9:10], v[11:12]
	s_wait_alu 0xfffd
	v_div_fmas_f64 v[1:2], v[1:2], v[3:4], v[9:10]
	s_delay_alu instid0(VALU_DEP_1) | instskip(NEXT) | instid1(VALU_DEP_1)
	v_div_fixup_f64 v[1:2], v[1:2], v[7:8], v[5:6]
	v_fma_f64 v[3:4], v[5:6], v[1:2], v[7:8]
	s_delay_alu instid0(VALU_DEP_1) | instskip(SKIP_1) | instid1(VALU_DEP_2)
	v_div_scale_f64 v[5:6], null, v[3:4], v[3:4], 1.0
	v_div_scale_f64 v[11:12], vcc_lo, 1.0, v[3:4], 1.0
	v_rcp_f64_e32 v[7:8], v[5:6]
	s_delay_alu instid0(TRANS32_DEP_1) | instskip(NEXT) | instid1(VALU_DEP_1)
	v_fma_f64 v[9:10], -v[5:6], v[7:8], 1.0
	v_fma_f64 v[7:8], v[7:8], v[9:10], v[7:8]
	s_delay_alu instid0(VALU_DEP_1) | instskip(NEXT) | instid1(VALU_DEP_1)
	v_fma_f64 v[9:10], -v[5:6], v[7:8], 1.0
	v_fma_f64 v[7:8], v[7:8], v[9:10], v[7:8]
	s_delay_alu instid0(VALU_DEP_1) | instskip(NEXT) | instid1(VALU_DEP_1)
	v_mul_f64_e32 v[9:10], v[11:12], v[7:8]
	v_fma_f64 v[5:6], -v[5:6], v[9:10], v[11:12]
	s_wait_alu 0xfffd
	s_delay_alu instid0(VALU_DEP_1) | instskip(NEXT) | instid1(VALU_DEP_1)
	v_div_fmas_f64 v[5:6], v[5:6], v[7:8], v[9:10]
	v_div_fixup_f64 v[3:4], v[5:6], v[3:4], 1.0
                                        ; implicit-def: $vgpr5_vgpr6
	s_delay_alu instid0(VALU_DEP_1) | instskip(SKIP_1) | instid1(VALU_DEP_2)
	v_mul_f64_e32 v[1:2], v[1:2], v[3:4]
	v_xor_b32_e32 v4, 0x80000000, v4
	v_xor_b32_e32 v10, 0x80000000, v2
	s_delay_alu instid0(VALU_DEP_3)
	v_mov_b32_e32 v9, v1
.LBB101_15:
	s_wait_alu 0xfffe
	s_and_not1_saveexec_b32 s1, s1
	s_cbranch_execz .LBB101_17
; %bb.16:
	v_div_scale_f64 v[1:2], null, v[5:6], v[5:6], v[7:8]
	v_div_scale_f64 v[11:12], vcc_lo, v[7:8], v[5:6], v[7:8]
	s_delay_alu instid0(VALU_DEP_2) | instskip(NEXT) | instid1(TRANS32_DEP_1)
	v_rcp_f64_e32 v[3:4], v[1:2]
	v_fma_f64 v[9:10], -v[1:2], v[3:4], 1.0
	s_delay_alu instid0(VALU_DEP_1) | instskip(NEXT) | instid1(VALU_DEP_1)
	v_fma_f64 v[3:4], v[3:4], v[9:10], v[3:4]
	v_fma_f64 v[9:10], -v[1:2], v[3:4], 1.0
	s_delay_alu instid0(VALU_DEP_1) | instskip(NEXT) | instid1(VALU_DEP_1)
	v_fma_f64 v[3:4], v[3:4], v[9:10], v[3:4]
	v_mul_f64_e32 v[9:10], v[11:12], v[3:4]
	s_delay_alu instid0(VALU_DEP_1) | instskip(SKIP_1) | instid1(VALU_DEP_1)
	v_fma_f64 v[1:2], -v[1:2], v[9:10], v[11:12]
	s_wait_alu 0xfffd
	v_div_fmas_f64 v[1:2], v[1:2], v[3:4], v[9:10]
	s_delay_alu instid0(VALU_DEP_1) | instskip(NEXT) | instid1(VALU_DEP_1)
	v_div_fixup_f64 v[3:4], v[1:2], v[5:6], v[7:8]
	v_fma_f64 v[1:2], v[7:8], v[3:4], v[5:6]
	s_delay_alu instid0(VALU_DEP_1) | instskip(NEXT) | instid1(VALU_DEP_1)
	v_div_scale_f64 v[5:6], null, v[1:2], v[1:2], 1.0
	v_rcp_f64_e32 v[7:8], v[5:6]
	s_delay_alu instid0(TRANS32_DEP_1) | instskip(NEXT) | instid1(VALU_DEP_1)
	v_fma_f64 v[9:10], -v[5:6], v[7:8], 1.0
	v_fma_f64 v[7:8], v[7:8], v[9:10], v[7:8]
	s_delay_alu instid0(VALU_DEP_1) | instskip(NEXT) | instid1(VALU_DEP_1)
	v_fma_f64 v[9:10], -v[5:6], v[7:8], 1.0
	v_fma_f64 v[7:8], v[7:8], v[9:10], v[7:8]
	v_div_scale_f64 v[9:10], vcc_lo, 1.0, v[1:2], 1.0
	s_delay_alu instid0(VALU_DEP_1) | instskip(NEXT) | instid1(VALU_DEP_1)
	v_mul_f64_e32 v[11:12], v[9:10], v[7:8]
	v_fma_f64 v[5:6], -v[5:6], v[11:12], v[9:10]
	s_wait_alu 0xfffd
	s_delay_alu instid0(VALU_DEP_1) | instskip(NEXT) | instid1(VALU_DEP_1)
	v_div_fmas_f64 v[5:6], v[5:6], v[7:8], v[11:12]
	v_div_fixup_f64 v[1:2], v[5:6], v[1:2], 1.0
	s_delay_alu instid0(VALU_DEP_1)
	v_mul_f64_e64 v[3:4], v[3:4], -v[1:2]
	v_xor_b32_e32 v10, 0x80000000, v2
	v_mov_b32_e32 v9, v1
.LBB101_17:
	s_wait_alu 0xfffe
	s_or_b32 exec_lo, exec_lo, s1
	scratch_store_b128 v14, v[1:4], off
	scratch_load_b128 v[15:18], off, s46
	v_xor_b32_e32 v12, 0x80000000, v4
	v_mov_b32_e32 v11, v3
	v_add_nc_u32_e32 v5, 0x260, v13
	ds_store_b128 v13, v[9:12]
	s_wait_loadcnt 0x0
	ds_store_b128 v13, v[15:18] offset:608
	s_wait_storecnt_dscnt 0x0
	s_barrier_signal -1
	s_barrier_wait -1
	global_inv scope:SCOPE_SE
	s_and_saveexec_b32 s1, s0
	s_cbranch_execz .LBB101_19
; %bb.18:
	scratch_load_b128 v[1:4], v14, off
	ds_load_b128 v[6:9], v5
	v_mov_b32_e32 v10, 0
	ds_load_b128 v[15:18], v10 offset:16
	s_wait_loadcnt_dscnt 0x1
	v_mul_f64_e32 v[10:11], v[6:7], v[3:4]
	v_mul_f64_e32 v[3:4], v[8:9], v[3:4]
	s_delay_alu instid0(VALU_DEP_2) | instskip(NEXT) | instid1(VALU_DEP_2)
	v_fma_f64 v[8:9], v[8:9], v[1:2], v[10:11]
	v_fma_f64 v[1:2], v[6:7], v[1:2], -v[3:4]
	s_delay_alu instid0(VALU_DEP_2) | instskip(NEXT) | instid1(VALU_DEP_2)
	v_add_f64_e32 v[3:4], 0, v[8:9]
	v_add_f64_e32 v[1:2], 0, v[1:2]
	s_wait_dscnt 0x0
	s_delay_alu instid0(VALU_DEP_2) | instskip(NEXT) | instid1(VALU_DEP_2)
	v_mul_f64_e32 v[6:7], v[3:4], v[17:18]
	v_mul_f64_e32 v[8:9], v[1:2], v[17:18]
	s_delay_alu instid0(VALU_DEP_2) | instskip(NEXT) | instid1(VALU_DEP_2)
	v_fma_f64 v[1:2], v[1:2], v[15:16], -v[6:7]
	v_fma_f64 v[3:4], v[3:4], v[15:16], v[8:9]
	scratch_store_b128 off, v[1:4], off offset:32
.LBB101_19:
	s_wait_alu 0xfffe
	s_or_b32 exec_lo, exec_lo, s1
	s_wait_loadcnt 0x0
	s_wait_storecnt 0x0
	s_barrier_signal -1
	s_barrier_wait -1
	global_inv scope:SCOPE_SE
	scratch_load_b128 v[1:4], off, s45
	s_mov_b32 s1, exec_lo
	s_wait_loadcnt 0x0
	ds_store_b128 v5, v[1:4]
	s_wait_dscnt 0x0
	s_barrier_signal -1
	s_barrier_wait -1
	global_inv scope:SCOPE_SE
	v_cmpx_gt_u32_e32 2, v0
	s_cbranch_execz .LBB101_23
; %bb.20:
	scratch_load_b128 v[1:4], v14, off
	ds_load_b128 v[6:9], v5
	s_wait_loadcnt_dscnt 0x0
	v_mul_f64_e32 v[10:11], v[8:9], v[3:4]
	v_mul_f64_e32 v[3:4], v[6:7], v[3:4]
	s_delay_alu instid0(VALU_DEP_2) | instskip(NEXT) | instid1(VALU_DEP_2)
	v_fma_f64 v[6:7], v[6:7], v[1:2], -v[10:11]
	v_fma_f64 v[3:4], v[8:9], v[1:2], v[3:4]
	s_delay_alu instid0(VALU_DEP_2) | instskip(NEXT) | instid1(VALU_DEP_2)
	v_add_f64_e32 v[1:2], 0, v[6:7]
	v_add_f64_e32 v[3:4], 0, v[3:4]
	s_and_saveexec_b32 s47, s0
	s_cbranch_execz .LBB101_22
; %bb.21:
	scratch_load_b128 v[6:9], off, off offset:32
	v_mov_b32_e32 v10, 0
	ds_load_b128 v[15:18], v10 offset:624
	s_wait_loadcnt_dscnt 0x0
	v_mul_f64_e32 v[10:11], v[15:16], v[8:9]
	v_mul_f64_e32 v[8:9], v[17:18], v[8:9]
	s_delay_alu instid0(VALU_DEP_2) | instskip(NEXT) | instid1(VALU_DEP_2)
	v_fma_f64 v[10:11], v[17:18], v[6:7], v[10:11]
	v_fma_f64 v[6:7], v[15:16], v[6:7], -v[8:9]
	s_delay_alu instid0(VALU_DEP_2) | instskip(NEXT) | instid1(VALU_DEP_2)
	v_add_f64_e32 v[3:4], v[3:4], v[10:11]
	v_add_f64_e32 v[1:2], v[1:2], v[6:7]
.LBB101_22:
	s_or_b32 exec_lo, exec_lo, s47
	v_mov_b32_e32 v6, 0
	ds_load_b128 v[6:9], v6 offset:32
	s_wait_dscnt 0x0
	v_mul_f64_e32 v[10:11], v[3:4], v[8:9]
	v_mul_f64_e32 v[8:9], v[1:2], v[8:9]
	s_delay_alu instid0(VALU_DEP_2) | instskip(NEXT) | instid1(VALU_DEP_2)
	v_fma_f64 v[1:2], v[1:2], v[6:7], -v[10:11]
	v_fma_f64 v[3:4], v[3:4], v[6:7], v[8:9]
	scratch_store_b128 off, v[1:4], off offset:48
.LBB101_23:
	s_wait_alu 0xfffe
	s_or_b32 exec_lo, exec_lo, s1
	s_wait_loadcnt 0x0
	s_wait_storecnt 0x0
	s_barrier_signal -1
	s_barrier_wait -1
	global_inv scope:SCOPE_SE
	scratch_load_b128 v[1:4], off, s26
	v_add_nc_u32_e32 v6, -1, v0
	s_mov_b32 s0, exec_lo
	s_wait_loadcnt 0x0
	ds_store_b128 v5, v[1:4]
	s_wait_dscnt 0x0
	s_barrier_signal -1
	s_barrier_wait -1
	global_inv scope:SCOPE_SE
	v_cmpx_gt_u32_e32 3, v0
	s_cbranch_execz .LBB101_27
; %bb.24:
	v_dual_mov_b32 v1, 0 :: v_dual_add_nc_u32 v8, 0x260, v13
	v_mov_b32_e32 v3, 0
	v_dual_mov_b32 v2, 0 :: v_dual_add_nc_u32 v7, -1, v0
	v_mov_b32_e32 v4, 0
	v_or_b32_e32 v9, 8, v14
	s_mov_b32 s1, 0
.LBB101_25:                             ; =>This Inner Loop Header: Depth=1
	scratch_load_b128 v[15:18], v9, off offset:-8
	ds_load_b128 v[19:22], v8
	v_add_nc_u32_e32 v7, 1, v7
	v_add_nc_u32_e32 v8, 16, v8
	v_add_nc_u32_e32 v9, 16, v9
	s_delay_alu instid0(VALU_DEP_3)
	v_cmp_lt_u32_e32 vcc_lo, 1, v7
	s_wait_alu 0xfffe
	s_or_b32 s1, vcc_lo, s1
	s_wait_loadcnt_dscnt 0x0
	v_mul_f64_e32 v[10:11], v[21:22], v[17:18]
	v_mul_f64_e32 v[17:18], v[19:20], v[17:18]
	s_delay_alu instid0(VALU_DEP_2) | instskip(NEXT) | instid1(VALU_DEP_2)
	v_fma_f64 v[10:11], v[19:20], v[15:16], -v[10:11]
	v_fma_f64 v[15:16], v[21:22], v[15:16], v[17:18]
	s_delay_alu instid0(VALU_DEP_2) | instskip(NEXT) | instid1(VALU_DEP_2)
	v_add_f64_e32 v[3:4], v[3:4], v[10:11]
	v_add_f64_e32 v[1:2], v[1:2], v[15:16]
	s_wait_alu 0xfffe
	s_and_not1_b32 exec_lo, exec_lo, s1
	s_cbranch_execnz .LBB101_25
; %bb.26:
	s_or_b32 exec_lo, exec_lo, s1
	v_mov_b32_e32 v7, 0
	ds_load_b128 v[7:10], v7 offset:48
	s_wait_dscnt 0x0
	v_mul_f64_e32 v[11:12], v[1:2], v[9:10]
	v_mul_f64_e32 v[15:16], v[3:4], v[9:10]
	s_delay_alu instid0(VALU_DEP_2) | instskip(NEXT) | instid1(VALU_DEP_2)
	v_fma_f64 v[9:10], v[3:4], v[7:8], -v[11:12]
	v_fma_f64 v[11:12], v[1:2], v[7:8], v[15:16]
	scratch_store_b128 off, v[9:12], off offset:64
.LBB101_27:
	s_wait_alu 0xfffe
	s_or_b32 exec_lo, exec_lo, s0
	s_wait_loadcnt 0x0
	s_wait_storecnt 0x0
	s_barrier_signal -1
	s_barrier_wait -1
	global_inv scope:SCOPE_SE
	scratch_load_b128 v[1:4], off, s27
	s_mov_b32 s0, exec_lo
	s_wait_loadcnt 0x0
	ds_store_b128 v5, v[1:4]
	s_wait_dscnt 0x0
	s_barrier_signal -1
	s_barrier_wait -1
	global_inv scope:SCOPE_SE
	v_cmpx_gt_u32_e32 4, v0
	s_cbranch_execz .LBB101_31
; %bb.28:
	v_dual_mov_b32 v1, 0 :: v_dual_add_nc_u32 v8, 0x260, v13
	v_mov_b32_e32 v3, 0
	v_dual_mov_b32 v2, 0 :: v_dual_add_nc_u32 v7, -1, v0
	v_mov_b32_e32 v4, 0
	v_or_b32_e32 v9, 8, v14
	s_mov_b32 s1, 0
.LBB101_29:                             ; =>This Inner Loop Header: Depth=1
	scratch_load_b128 v[15:18], v9, off offset:-8
	ds_load_b128 v[19:22], v8
	v_add_nc_u32_e32 v7, 1, v7
	v_add_nc_u32_e32 v8, 16, v8
	v_add_nc_u32_e32 v9, 16, v9
	s_delay_alu instid0(VALU_DEP_3)
	v_cmp_lt_u32_e32 vcc_lo, 2, v7
	s_wait_alu 0xfffe
	s_or_b32 s1, vcc_lo, s1
	s_wait_loadcnt_dscnt 0x0
	v_mul_f64_e32 v[10:11], v[21:22], v[17:18]
	v_mul_f64_e32 v[17:18], v[19:20], v[17:18]
	s_delay_alu instid0(VALU_DEP_2) | instskip(NEXT) | instid1(VALU_DEP_2)
	v_fma_f64 v[10:11], v[19:20], v[15:16], -v[10:11]
	v_fma_f64 v[15:16], v[21:22], v[15:16], v[17:18]
	s_delay_alu instid0(VALU_DEP_2) | instskip(NEXT) | instid1(VALU_DEP_2)
	v_add_f64_e32 v[3:4], v[3:4], v[10:11]
	v_add_f64_e32 v[1:2], v[1:2], v[15:16]
	s_wait_alu 0xfffe
	s_and_not1_b32 exec_lo, exec_lo, s1
	s_cbranch_execnz .LBB101_29
; %bb.30:
	s_or_b32 exec_lo, exec_lo, s1
	v_mov_b32_e32 v7, 0
	ds_load_b128 v[7:10], v7 offset:64
	s_wait_dscnt 0x0
	v_mul_f64_e32 v[11:12], v[1:2], v[9:10]
	v_mul_f64_e32 v[15:16], v[3:4], v[9:10]
	s_delay_alu instid0(VALU_DEP_2) | instskip(NEXT) | instid1(VALU_DEP_2)
	v_fma_f64 v[9:10], v[3:4], v[7:8], -v[11:12]
	v_fma_f64 v[11:12], v[1:2], v[7:8], v[15:16]
	scratch_store_b128 off, v[9:12], off offset:80
.LBB101_31:
	s_wait_alu 0xfffe
	s_or_b32 exec_lo, exec_lo, s0
	s_wait_loadcnt 0x0
	s_wait_storecnt 0x0
	s_barrier_signal -1
	s_barrier_wait -1
	global_inv scope:SCOPE_SE
	scratch_load_b128 v[1:4], off, s4
	;; [unrolled: 58-line block ×19, first 2 shown]
	s_mov_b32 s0, exec_lo
	s_wait_loadcnt 0x0
	ds_store_b128 v5, v[1:4]
	s_wait_dscnt 0x0
	s_barrier_signal -1
	s_barrier_wait -1
	global_inv scope:SCOPE_SE
	v_cmpx_gt_u32_e32 22, v0
	s_cbranch_execz .LBB101_103
; %bb.100:
	v_dual_mov_b32 v1, 0 :: v_dual_add_nc_u32 v8, 0x260, v13
	v_mov_b32_e32 v3, 0
	v_dual_mov_b32 v2, 0 :: v_dual_add_nc_u32 v7, -1, v0
	v_mov_b32_e32 v4, 0
	v_or_b32_e32 v9, 8, v14
	s_mov_b32 s1, 0
.LBB101_101:                            ; =>This Inner Loop Header: Depth=1
	scratch_load_b128 v[15:18], v9, off offset:-8
	ds_load_b128 v[19:22], v8
	v_add_nc_u32_e32 v7, 1, v7
	v_add_nc_u32_e32 v8, 16, v8
	v_add_nc_u32_e32 v9, 16, v9
	s_delay_alu instid0(VALU_DEP_3)
	v_cmp_lt_u32_e32 vcc_lo, 20, v7
	s_wait_alu 0xfffe
	s_or_b32 s1, vcc_lo, s1
	s_wait_loadcnt_dscnt 0x0
	v_mul_f64_e32 v[10:11], v[21:22], v[17:18]
	v_mul_f64_e32 v[17:18], v[19:20], v[17:18]
	s_delay_alu instid0(VALU_DEP_2) | instskip(NEXT) | instid1(VALU_DEP_2)
	v_fma_f64 v[10:11], v[19:20], v[15:16], -v[10:11]
	v_fma_f64 v[15:16], v[21:22], v[15:16], v[17:18]
	s_delay_alu instid0(VALU_DEP_2) | instskip(NEXT) | instid1(VALU_DEP_2)
	v_add_f64_e32 v[3:4], v[3:4], v[10:11]
	v_add_f64_e32 v[1:2], v[1:2], v[15:16]
	s_wait_alu 0xfffe
	s_and_not1_b32 exec_lo, exec_lo, s1
	s_cbranch_execnz .LBB101_101
; %bb.102:
	s_or_b32 exec_lo, exec_lo, s1
	v_mov_b32_e32 v7, 0
	ds_load_b128 v[7:10], v7 offset:352
	s_wait_dscnt 0x0
	v_mul_f64_e32 v[11:12], v[1:2], v[9:10]
	v_mul_f64_e32 v[15:16], v[3:4], v[9:10]
	s_delay_alu instid0(VALU_DEP_2) | instskip(NEXT) | instid1(VALU_DEP_2)
	v_fma_f64 v[9:10], v[3:4], v[7:8], -v[11:12]
	v_fma_f64 v[11:12], v[1:2], v[7:8], v[15:16]
	scratch_store_b128 off, v[9:12], off offset:368
.LBB101_103:
	s_wait_alu 0xfffe
	s_or_b32 exec_lo, exec_lo, s0
	s_wait_loadcnt 0x0
	s_wait_storecnt 0x0
	s_barrier_signal -1
	s_barrier_wait -1
	global_inv scope:SCOPE_SE
	scratch_load_b128 v[1:4], off, s18
	s_mov_b32 s0, exec_lo
	s_wait_loadcnt 0x0
	ds_store_b128 v5, v[1:4]
	s_wait_dscnt 0x0
	s_barrier_signal -1
	s_barrier_wait -1
	global_inv scope:SCOPE_SE
	v_cmpx_gt_u32_e32 23, v0
	s_cbranch_execz .LBB101_107
; %bb.104:
	v_dual_mov_b32 v1, 0 :: v_dual_add_nc_u32 v8, 0x260, v13
	v_mov_b32_e32 v3, 0
	v_dual_mov_b32 v2, 0 :: v_dual_add_nc_u32 v7, -1, v0
	v_mov_b32_e32 v4, 0
	v_or_b32_e32 v9, 8, v14
	s_mov_b32 s1, 0
.LBB101_105:                            ; =>This Inner Loop Header: Depth=1
	scratch_load_b128 v[15:18], v9, off offset:-8
	ds_load_b128 v[19:22], v8
	v_add_nc_u32_e32 v7, 1, v7
	v_add_nc_u32_e32 v8, 16, v8
	v_add_nc_u32_e32 v9, 16, v9
	s_delay_alu instid0(VALU_DEP_3)
	v_cmp_lt_u32_e32 vcc_lo, 21, v7
	s_wait_alu 0xfffe
	s_or_b32 s1, vcc_lo, s1
	s_wait_loadcnt_dscnt 0x0
	v_mul_f64_e32 v[10:11], v[21:22], v[17:18]
	v_mul_f64_e32 v[17:18], v[19:20], v[17:18]
	s_delay_alu instid0(VALU_DEP_2) | instskip(NEXT) | instid1(VALU_DEP_2)
	v_fma_f64 v[10:11], v[19:20], v[15:16], -v[10:11]
	v_fma_f64 v[15:16], v[21:22], v[15:16], v[17:18]
	s_delay_alu instid0(VALU_DEP_2) | instskip(NEXT) | instid1(VALU_DEP_2)
	v_add_f64_e32 v[3:4], v[3:4], v[10:11]
	v_add_f64_e32 v[1:2], v[1:2], v[15:16]
	s_wait_alu 0xfffe
	s_and_not1_b32 exec_lo, exec_lo, s1
	s_cbranch_execnz .LBB101_105
; %bb.106:
	s_or_b32 exec_lo, exec_lo, s1
	v_mov_b32_e32 v7, 0
	ds_load_b128 v[7:10], v7 offset:368
	s_wait_dscnt 0x0
	v_mul_f64_e32 v[11:12], v[1:2], v[9:10]
	v_mul_f64_e32 v[15:16], v[3:4], v[9:10]
	s_delay_alu instid0(VALU_DEP_2) | instskip(NEXT) | instid1(VALU_DEP_2)
	v_fma_f64 v[9:10], v[3:4], v[7:8], -v[11:12]
	v_fma_f64 v[11:12], v[1:2], v[7:8], v[15:16]
	scratch_store_b128 off, v[9:12], off offset:384
.LBB101_107:
	s_wait_alu 0xfffe
	s_or_b32 exec_lo, exec_lo, s0
	s_wait_loadcnt 0x0
	s_wait_storecnt 0x0
	s_barrier_signal -1
	s_barrier_wait -1
	global_inv scope:SCOPE_SE
	scratch_load_b128 v[1:4], off, s38
	;; [unrolled: 58-line block ×15, first 2 shown]
	s_mov_b32 s0, exec_lo
	s_wait_loadcnt 0x0
	ds_store_b128 v5, v[1:4]
	s_wait_dscnt 0x0
	s_barrier_signal -1
	s_barrier_wait -1
	global_inv scope:SCOPE_SE
	v_cmpx_ne_u32_e32 37, v0
	s_cbranch_execz .LBB101_163
; %bb.160:
	v_mov_b32_e32 v1, 0
	v_dual_mov_b32 v2, 0 :: v_dual_mov_b32 v3, 0
	v_mov_b32_e32 v4, 0
	v_or_b32_e32 v7, 8, v14
	s_mov_b32 s1, 0
.LBB101_161:                            ; =>This Inner Loop Header: Depth=1
	scratch_load_b128 v[8:11], v7, off offset:-8
	ds_load_b128 v[12:15], v5
	v_add_nc_u32_e32 v6, 1, v6
	v_add_nc_u32_e32 v5, 16, v5
	;; [unrolled: 1-line block ×3, first 2 shown]
	s_delay_alu instid0(VALU_DEP_3)
	v_cmp_lt_u32_e32 vcc_lo, 35, v6
	s_wait_alu 0xfffe
	s_or_b32 s1, vcc_lo, s1
	s_wait_loadcnt_dscnt 0x0
	v_mul_f64_e32 v[16:17], v[14:15], v[10:11]
	v_mul_f64_e32 v[10:11], v[12:13], v[10:11]
	s_delay_alu instid0(VALU_DEP_2) | instskip(NEXT) | instid1(VALU_DEP_2)
	v_fma_f64 v[12:13], v[12:13], v[8:9], -v[16:17]
	v_fma_f64 v[8:9], v[14:15], v[8:9], v[10:11]
	s_delay_alu instid0(VALU_DEP_2) | instskip(NEXT) | instid1(VALU_DEP_2)
	v_add_f64_e32 v[3:4], v[3:4], v[12:13]
	v_add_f64_e32 v[1:2], v[1:2], v[8:9]
	s_wait_alu 0xfffe
	s_and_not1_b32 exec_lo, exec_lo, s1
	s_cbranch_execnz .LBB101_161
; %bb.162:
	s_or_b32 exec_lo, exec_lo, s1
	v_mov_b32_e32 v5, 0
	ds_load_b128 v[5:8], v5 offset:592
	s_wait_dscnt 0x0
	v_mul_f64_e32 v[9:10], v[1:2], v[7:8]
	v_mul_f64_e32 v[7:8], v[3:4], v[7:8]
	s_delay_alu instid0(VALU_DEP_2) | instskip(NEXT) | instid1(VALU_DEP_2)
	v_fma_f64 v[3:4], v[3:4], v[5:6], -v[9:10]
	v_fma_f64 v[5:6], v[1:2], v[5:6], v[7:8]
	scratch_store_b128 off, v[3:6], off offset:608
.LBB101_163:
	s_wait_alu 0xfffe
	s_or_b32 exec_lo, exec_lo, s0
	s_mov_b32 s1, -1
	s_wait_loadcnt 0x0
	s_wait_storecnt 0x0
	s_barrier_signal -1
	s_barrier_wait -1
	global_inv scope:SCOPE_SE
.LBB101_164:
	s_wait_alu 0xfffe
	s_and_b32 vcc_lo, exec_lo, s1
	s_wait_alu 0xfffe
	s_cbranch_vccz .LBB101_166
; %bb.165:
	v_mov_b32_e32 v1, 0
	s_lshl_b64 s[0:1], s[8:9], 2
	s_wait_alu 0xfffe
	s_add_nc_u64 s[0:1], s[6:7], s[0:1]
	global_load_b32 v1, v1, s[0:1]
	s_wait_loadcnt 0x0
	v_cmp_ne_u32_e32 vcc_lo, 0, v1
	s_cbranch_vccz .LBB101_167
.LBB101_166:
	s_nop 0
	s_sendmsg sendmsg(MSG_DEALLOC_VGPRS)
	s_endpgm
.LBB101_167:
	v_lshl_add_u32 v114, v0, 4, 0x260
	s_mov_b32 s0, exec_lo
	v_cmpx_eq_u32_e32 37, v0
	s_cbranch_execz .LBB101_169
; %bb.168:
	scratch_load_b128 v[1:4], off, s44
	v_mov_b32_e32 v5, 0
	s_delay_alu instid0(VALU_DEP_1)
	v_dual_mov_b32 v6, v5 :: v_dual_mov_b32 v7, v5
	v_mov_b32_e32 v8, v5
	scratch_store_b128 off, v[5:8], off offset:592
	s_wait_loadcnt 0x0
	ds_store_b128 v114, v[1:4]
.LBB101_169:
	s_wait_alu 0xfffe
	s_or_b32 exec_lo, exec_lo, s0
	s_wait_storecnt_dscnt 0x0
	s_barrier_signal -1
	s_barrier_wait -1
	global_inv scope:SCOPE_SE
	s_clause 0x1
	scratch_load_b128 v[2:5], off, off offset:608
	scratch_load_b128 v[6:9], off, off offset:592
	v_mov_b32_e32 v1, 0
	s_mov_b32 s0, exec_lo
	ds_load_b128 v[10:13], v1 offset:1200
	s_wait_loadcnt_dscnt 0x100
	v_mul_f64_e32 v[14:15], v[12:13], v[4:5]
	v_mul_f64_e32 v[4:5], v[10:11], v[4:5]
	s_delay_alu instid0(VALU_DEP_2) | instskip(NEXT) | instid1(VALU_DEP_2)
	v_fma_f64 v[10:11], v[10:11], v[2:3], -v[14:15]
	v_fma_f64 v[2:3], v[12:13], v[2:3], v[4:5]
	s_delay_alu instid0(VALU_DEP_2) | instskip(NEXT) | instid1(VALU_DEP_2)
	v_add_f64_e32 v[4:5], 0, v[10:11]
	v_add_f64_e32 v[10:11], 0, v[2:3]
	s_wait_loadcnt 0x0
	s_delay_alu instid0(VALU_DEP_2) | instskip(NEXT) | instid1(VALU_DEP_2)
	v_add_f64_e64 v[2:3], v[6:7], -v[4:5]
	v_add_f64_e64 v[4:5], v[8:9], -v[10:11]
	scratch_store_b128 off, v[2:5], off offset:592
	v_cmpx_lt_u32_e32 35, v0
	s_cbranch_execz .LBB101_171
; %bb.170:
	scratch_load_b128 v[5:8], off, s24
	v_dual_mov_b32 v2, v1 :: v_dual_mov_b32 v3, v1
	v_mov_b32_e32 v4, v1
	scratch_store_b128 off, v[1:4], off offset:576
	s_wait_loadcnt 0x0
	ds_store_b128 v114, v[5:8]
.LBB101_171:
	s_wait_alu 0xfffe
	s_or_b32 exec_lo, exec_lo, s0
	s_wait_storecnt_dscnt 0x0
	s_barrier_signal -1
	s_barrier_wait -1
	global_inv scope:SCOPE_SE
	s_clause 0x2
	scratch_load_b128 v[2:5], off, off offset:592
	scratch_load_b128 v[6:9], off, off offset:608
	;; [unrolled: 1-line block ×3, first 2 shown]
	ds_load_b128 v[14:17], v1 offset:1184
	ds_load_b128 v[18:21], v1 offset:1200
	s_mov_b32 s0, exec_lo
	s_wait_loadcnt_dscnt 0x201
	v_mul_f64_e32 v[22:23], v[16:17], v[4:5]
	v_mul_f64_e32 v[4:5], v[14:15], v[4:5]
	s_wait_loadcnt_dscnt 0x100
	v_mul_f64_e32 v[24:25], v[18:19], v[8:9]
	v_mul_f64_e32 v[8:9], v[20:21], v[8:9]
	s_delay_alu instid0(VALU_DEP_4) | instskip(NEXT) | instid1(VALU_DEP_4)
	v_fma_f64 v[14:15], v[14:15], v[2:3], -v[22:23]
	v_fma_f64 v[1:2], v[16:17], v[2:3], v[4:5]
	s_delay_alu instid0(VALU_DEP_4) | instskip(NEXT) | instid1(VALU_DEP_4)
	v_fma_f64 v[3:4], v[20:21], v[6:7], v[24:25]
	v_fma_f64 v[5:6], v[18:19], v[6:7], -v[8:9]
	s_delay_alu instid0(VALU_DEP_4) | instskip(NEXT) | instid1(VALU_DEP_4)
	v_add_f64_e32 v[7:8], 0, v[14:15]
	v_add_f64_e32 v[1:2], 0, v[1:2]
	s_delay_alu instid0(VALU_DEP_2) | instskip(NEXT) | instid1(VALU_DEP_2)
	v_add_f64_e32 v[5:6], v[7:8], v[5:6]
	v_add_f64_e32 v[3:4], v[1:2], v[3:4]
	s_wait_loadcnt 0x0
	s_delay_alu instid0(VALU_DEP_2) | instskip(NEXT) | instid1(VALU_DEP_2)
	v_add_f64_e64 v[1:2], v[10:11], -v[5:6]
	v_add_f64_e64 v[3:4], v[12:13], -v[3:4]
	scratch_store_b128 off, v[1:4], off offset:576
	v_cmpx_lt_u32_e32 34, v0
	s_cbranch_execz .LBB101_173
; %bb.172:
	scratch_load_b128 v[1:4], off, s43
	v_mov_b32_e32 v5, 0
	s_delay_alu instid0(VALU_DEP_1)
	v_dual_mov_b32 v6, v5 :: v_dual_mov_b32 v7, v5
	v_mov_b32_e32 v8, v5
	scratch_store_b128 off, v[5:8], off offset:560
	s_wait_loadcnt 0x0
	ds_store_b128 v114, v[1:4]
.LBB101_173:
	s_wait_alu 0xfffe
	s_or_b32 exec_lo, exec_lo, s0
	s_wait_storecnt_dscnt 0x0
	s_barrier_signal -1
	s_barrier_wait -1
	global_inv scope:SCOPE_SE
	s_clause 0x3
	scratch_load_b128 v[2:5], off, off offset:576
	scratch_load_b128 v[6:9], off, off offset:592
	scratch_load_b128 v[10:13], off, off offset:608
	scratch_load_b128 v[14:17], off, off offset:560
	v_mov_b32_e32 v1, 0
	ds_load_b128 v[18:21], v1 offset:1168
	ds_load_b128 v[22:25], v1 offset:1184
	s_mov_b32 s0, exec_lo
	s_wait_loadcnt_dscnt 0x301
	v_mul_f64_e32 v[26:27], v[20:21], v[4:5]
	v_mul_f64_e32 v[4:5], v[18:19], v[4:5]
	s_wait_loadcnt_dscnt 0x200
	v_mul_f64_e32 v[28:29], v[22:23], v[8:9]
	v_mul_f64_e32 v[8:9], v[24:25], v[8:9]
	s_delay_alu instid0(VALU_DEP_4) | instskip(NEXT) | instid1(VALU_DEP_4)
	v_fma_f64 v[18:19], v[18:19], v[2:3], -v[26:27]
	v_fma_f64 v[20:21], v[20:21], v[2:3], v[4:5]
	ds_load_b128 v[2:5], v1 offset:1200
	v_fma_f64 v[24:25], v[24:25], v[6:7], v[28:29]
	v_fma_f64 v[6:7], v[22:23], v[6:7], -v[8:9]
	s_wait_loadcnt_dscnt 0x100
	v_mul_f64_e32 v[26:27], v[2:3], v[12:13]
	v_mul_f64_e32 v[12:13], v[4:5], v[12:13]
	v_add_f64_e32 v[8:9], 0, v[18:19]
	v_add_f64_e32 v[18:19], 0, v[20:21]
	s_delay_alu instid0(VALU_DEP_4) | instskip(NEXT) | instid1(VALU_DEP_4)
	v_fma_f64 v[4:5], v[4:5], v[10:11], v[26:27]
	v_fma_f64 v[2:3], v[2:3], v[10:11], -v[12:13]
	s_delay_alu instid0(VALU_DEP_4) | instskip(NEXT) | instid1(VALU_DEP_4)
	v_add_f64_e32 v[6:7], v[8:9], v[6:7]
	v_add_f64_e32 v[8:9], v[18:19], v[24:25]
	s_delay_alu instid0(VALU_DEP_2) | instskip(NEXT) | instid1(VALU_DEP_2)
	v_add_f64_e32 v[2:3], v[6:7], v[2:3]
	v_add_f64_e32 v[4:5], v[8:9], v[4:5]
	s_wait_loadcnt 0x0
	s_delay_alu instid0(VALU_DEP_2) | instskip(NEXT) | instid1(VALU_DEP_2)
	v_add_f64_e64 v[2:3], v[14:15], -v[2:3]
	v_add_f64_e64 v[4:5], v[16:17], -v[4:5]
	scratch_store_b128 off, v[2:5], off offset:560
	v_cmpx_lt_u32_e32 33, v0
	s_cbranch_execz .LBB101_175
; %bb.174:
	scratch_load_b128 v[5:8], off, s23
	v_dual_mov_b32 v2, v1 :: v_dual_mov_b32 v3, v1
	v_mov_b32_e32 v4, v1
	scratch_store_b128 off, v[1:4], off offset:544
	s_wait_loadcnt 0x0
	ds_store_b128 v114, v[5:8]
.LBB101_175:
	s_wait_alu 0xfffe
	s_or_b32 exec_lo, exec_lo, s0
	s_wait_storecnt_dscnt 0x0
	s_barrier_signal -1
	s_barrier_wait -1
	global_inv scope:SCOPE_SE
	s_clause 0x4
	scratch_load_b128 v[2:5], off, off offset:560
	scratch_load_b128 v[6:9], off, off offset:576
	;; [unrolled: 1-line block ×5, first 2 shown]
	ds_load_b128 v[22:25], v1 offset:1152
	ds_load_b128 v[26:29], v1 offset:1168
	s_mov_b32 s0, exec_lo
	s_wait_loadcnt_dscnt 0x401
	v_mul_f64_e32 v[30:31], v[24:25], v[4:5]
	v_mul_f64_e32 v[4:5], v[22:23], v[4:5]
	s_wait_loadcnt_dscnt 0x300
	v_mul_f64_e32 v[32:33], v[26:27], v[8:9]
	v_mul_f64_e32 v[8:9], v[28:29], v[8:9]
	s_delay_alu instid0(VALU_DEP_4) | instskip(NEXT) | instid1(VALU_DEP_4)
	v_fma_f64 v[30:31], v[22:23], v[2:3], -v[30:31]
	v_fma_f64 v[34:35], v[24:25], v[2:3], v[4:5]
	ds_load_b128 v[2:5], v1 offset:1184
	ds_load_b128 v[22:25], v1 offset:1200
	v_fma_f64 v[28:29], v[28:29], v[6:7], v[32:33]
	v_fma_f64 v[6:7], v[26:27], v[6:7], -v[8:9]
	s_wait_loadcnt_dscnt 0x201
	v_mul_f64_e32 v[36:37], v[2:3], v[12:13]
	v_mul_f64_e32 v[12:13], v[4:5], v[12:13]
	v_add_f64_e32 v[8:9], 0, v[30:31]
	v_add_f64_e32 v[26:27], 0, v[34:35]
	s_wait_loadcnt_dscnt 0x100
	v_mul_f64_e32 v[30:31], v[22:23], v[16:17]
	v_mul_f64_e32 v[16:17], v[24:25], v[16:17]
	v_fma_f64 v[4:5], v[4:5], v[10:11], v[36:37]
	v_fma_f64 v[1:2], v[2:3], v[10:11], -v[12:13]
	v_add_f64_e32 v[6:7], v[8:9], v[6:7]
	v_add_f64_e32 v[8:9], v[26:27], v[28:29]
	v_fma_f64 v[10:11], v[24:25], v[14:15], v[30:31]
	v_fma_f64 v[12:13], v[22:23], v[14:15], -v[16:17]
	s_delay_alu instid0(VALU_DEP_4) | instskip(NEXT) | instid1(VALU_DEP_4)
	v_add_f64_e32 v[1:2], v[6:7], v[1:2]
	v_add_f64_e32 v[3:4], v[8:9], v[4:5]
	s_delay_alu instid0(VALU_DEP_2) | instskip(NEXT) | instid1(VALU_DEP_2)
	v_add_f64_e32 v[1:2], v[1:2], v[12:13]
	v_add_f64_e32 v[3:4], v[3:4], v[10:11]
	s_wait_loadcnt 0x0
	s_delay_alu instid0(VALU_DEP_2) | instskip(NEXT) | instid1(VALU_DEP_2)
	v_add_f64_e64 v[1:2], v[18:19], -v[1:2]
	v_add_f64_e64 v[3:4], v[20:21], -v[3:4]
	scratch_store_b128 off, v[1:4], off offset:544
	v_cmpx_lt_u32_e32 32, v0
	s_cbranch_execz .LBB101_177
; %bb.176:
	scratch_load_b128 v[1:4], off, s42
	v_mov_b32_e32 v5, 0
	s_delay_alu instid0(VALU_DEP_1)
	v_dual_mov_b32 v6, v5 :: v_dual_mov_b32 v7, v5
	v_mov_b32_e32 v8, v5
	scratch_store_b128 off, v[5:8], off offset:528
	s_wait_loadcnt 0x0
	ds_store_b128 v114, v[1:4]
.LBB101_177:
	s_wait_alu 0xfffe
	s_or_b32 exec_lo, exec_lo, s0
	s_wait_storecnt_dscnt 0x0
	s_barrier_signal -1
	s_barrier_wait -1
	global_inv scope:SCOPE_SE
	s_clause 0x5
	scratch_load_b128 v[2:5], off, off offset:544
	scratch_load_b128 v[6:9], off, off offset:560
	;; [unrolled: 1-line block ×6, first 2 shown]
	v_mov_b32_e32 v1, 0
	ds_load_b128 v[26:29], v1 offset:1136
	ds_load_b128 v[30:33], v1 offset:1152
	s_mov_b32 s0, exec_lo
	s_wait_loadcnt_dscnt 0x501
	v_mul_f64_e32 v[34:35], v[28:29], v[4:5]
	v_mul_f64_e32 v[4:5], v[26:27], v[4:5]
	s_wait_loadcnt_dscnt 0x400
	v_mul_f64_e32 v[36:37], v[30:31], v[8:9]
	v_mul_f64_e32 v[8:9], v[32:33], v[8:9]
	s_delay_alu instid0(VALU_DEP_4) | instskip(NEXT) | instid1(VALU_DEP_4)
	v_fma_f64 v[34:35], v[26:27], v[2:3], -v[34:35]
	v_fma_f64 v[115:116], v[28:29], v[2:3], v[4:5]
	ds_load_b128 v[2:5], v1 offset:1168
	ds_load_b128 v[26:29], v1 offset:1184
	v_fma_f64 v[32:33], v[32:33], v[6:7], v[36:37]
	v_fma_f64 v[6:7], v[30:31], v[6:7], -v[8:9]
	s_wait_loadcnt_dscnt 0x301
	v_mul_f64_e32 v[117:118], v[2:3], v[12:13]
	v_mul_f64_e32 v[12:13], v[4:5], v[12:13]
	v_add_f64_e32 v[8:9], 0, v[34:35]
	v_add_f64_e32 v[30:31], 0, v[115:116]
	s_wait_loadcnt_dscnt 0x200
	v_mul_f64_e32 v[34:35], v[26:27], v[16:17]
	v_mul_f64_e32 v[16:17], v[28:29], v[16:17]
	v_fma_f64 v[36:37], v[4:5], v[10:11], v[117:118]
	v_fma_f64 v[10:11], v[2:3], v[10:11], -v[12:13]
	ds_load_b128 v[2:5], v1 offset:1200
	v_add_f64_e32 v[6:7], v[8:9], v[6:7]
	v_add_f64_e32 v[8:9], v[30:31], v[32:33]
	v_fma_f64 v[28:29], v[28:29], v[14:15], v[34:35]
	v_fma_f64 v[14:15], v[26:27], v[14:15], -v[16:17]
	s_wait_loadcnt_dscnt 0x100
	v_mul_f64_e32 v[12:13], v[2:3], v[20:21]
	v_mul_f64_e32 v[20:21], v[4:5], v[20:21]
	v_add_f64_e32 v[6:7], v[6:7], v[10:11]
	v_add_f64_e32 v[8:9], v[8:9], v[36:37]
	s_delay_alu instid0(VALU_DEP_4) | instskip(NEXT) | instid1(VALU_DEP_4)
	v_fma_f64 v[4:5], v[4:5], v[18:19], v[12:13]
	v_fma_f64 v[2:3], v[2:3], v[18:19], -v[20:21]
	s_delay_alu instid0(VALU_DEP_4) | instskip(NEXT) | instid1(VALU_DEP_4)
	v_add_f64_e32 v[6:7], v[6:7], v[14:15]
	v_add_f64_e32 v[8:9], v[8:9], v[28:29]
	s_delay_alu instid0(VALU_DEP_2) | instskip(NEXT) | instid1(VALU_DEP_2)
	v_add_f64_e32 v[2:3], v[6:7], v[2:3]
	v_add_f64_e32 v[4:5], v[8:9], v[4:5]
	s_wait_loadcnt 0x0
	s_delay_alu instid0(VALU_DEP_2) | instskip(NEXT) | instid1(VALU_DEP_2)
	v_add_f64_e64 v[2:3], v[22:23], -v[2:3]
	v_add_f64_e64 v[4:5], v[24:25], -v[4:5]
	scratch_store_b128 off, v[2:5], off offset:528
	v_cmpx_lt_u32_e32 31, v0
	s_cbranch_execz .LBB101_179
; %bb.178:
	scratch_load_b128 v[5:8], off, s22
	v_dual_mov_b32 v2, v1 :: v_dual_mov_b32 v3, v1
	v_mov_b32_e32 v4, v1
	scratch_store_b128 off, v[1:4], off offset:512
	s_wait_loadcnt 0x0
	ds_store_b128 v114, v[5:8]
.LBB101_179:
	s_wait_alu 0xfffe
	s_or_b32 exec_lo, exec_lo, s0
	s_wait_storecnt_dscnt 0x0
	s_barrier_signal -1
	s_barrier_wait -1
	global_inv scope:SCOPE_SE
	s_clause 0x5
	scratch_load_b128 v[2:5], off, off offset:528
	scratch_load_b128 v[6:9], off, off offset:544
	;; [unrolled: 1-line block ×6, first 2 shown]
	ds_load_b128 v[26:29], v1 offset:1120
	ds_load_b128 v[34:37], v1 offset:1136
	scratch_load_b128 v[30:33], off, off offset:512
	s_mov_b32 s0, exec_lo
	s_wait_loadcnt_dscnt 0x601
	v_mul_f64_e32 v[115:116], v[28:29], v[4:5]
	v_mul_f64_e32 v[4:5], v[26:27], v[4:5]
	s_wait_loadcnt_dscnt 0x500
	v_mul_f64_e32 v[117:118], v[34:35], v[8:9]
	v_mul_f64_e32 v[8:9], v[36:37], v[8:9]
	s_delay_alu instid0(VALU_DEP_4) | instskip(NEXT) | instid1(VALU_DEP_4)
	v_fma_f64 v[115:116], v[26:27], v[2:3], -v[115:116]
	v_fma_f64 v[119:120], v[28:29], v[2:3], v[4:5]
	ds_load_b128 v[2:5], v1 offset:1152
	ds_load_b128 v[26:29], v1 offset:1168
	v_fma_f64 v[36:37], v[36:37], v[6:7], v[117:118]
	v_fma_f64 v[6:7], v[34:35], v[6:7], -v[8:9]
	s_wait_loadcnt_dscnt 0x401
	v_mul_f64_e32 v[121:122], v[2:3], v[12:13]
	v_mul_f64_e32 v[12:13], v[4:5], v[12:13]
	v_add_f64_e32 v[8:9], 0, v[115:116]
	v_add_f64_e32 v[34:35], 0, v[119:120]
	s_wait_loadcnt_dscnt 0x300
	v_mul_f64_e32 v[115:116], v[26:27], v[16:17]
	v_mul_f64_e32 v[16:17], v[28:29], v[16:17]
	v_fma_f64 v[117:118], v[4:5], v[10:11], v[121:122]
	v_fma_f64 v[10:11], v[2:3], v[10:11], -v[12:13]
	v_add_f64_e32 v[12:13], v[8:9], v[6:7]
	v_add_f64_e32 v[34:35], v[34:35], v[36:37]
	ds_load_b128 v[2:5], v1 offset:1184
	ds_load_b128 v[6:9], v1 offset:1200
	v_fma_f64 v[28:29], v[28:29], v[14:15], v[115:116]
	v_fma_f64 v[14:15], v[26:27], v[14:15], -v[16:17]
	s_wait_loadcnt_dscnt 0x201
	v_mul_f64_e32 v[36:37], v[2:3], v[20:21]
	v_mul_f64_e32 v[20:21], v[4:5], v[20:21]
	s_wait_loadcnt_dscnt 0x100
	v_mul_f64_e32 v[16:17], v[6:7], v[24:25]
	v_mul_f64_e32 v[24:25], v[8:9], v[24:25]
	v_add_f64_e32 v[10:11], v[12:13], v[10:11]
	v_add_f64_e32 v[12:13], v[34:35], v[117:118]
	v_fma_f64 v[4:5], v[4:5], v[18:19], v[36:37]
	v_fma_f64 v[1:2], v[2:3], v[18:19], -v[20:21]
	v_fma_f64 v[8:9], v[8:9], v[22:23], v[16:17]
	v_fma_f64 v[6:7], v[6:7], v[22:23], -v[24:25]
	v_add_f64_e32 v[10:11], v[10:11], v[14:15]
	v_add_f64_e32 v[12:13], v[12:13], v[28:29]
	s_delay_alu instid0(VALU_DEP_2) | instskip(NEXT) | instid1(VALU_DEP_2)
	v_add_f64_e32 v[1:2], v[10:11], v[1:2]
	v_add_f64_e32 v[3:4], v[12:13], v[4:5]
	s_delay_alu instid0(VALU_DEP_2) | instskip(NEXT) | instid1(VALU_DEP_2)
	v_add_f64_e32 v[1:2], v[1:2], v[6:7]
	v_add_f64_e32 v[3:4], v[3:4], v[8:9]
	s_wait_loadcnt 0x0
	s_delay_alu instid0(VALU_DEP_2) | instskip(NEXT) | instid1(VALU_DEP_2)
	v_add_f64_e64 v[1:2], v[30:31], -v[1:2]
	v_add_f64_e64 v[3:4], v[32:33], -v[3:4]
	scratch_store_b128 off, v[1:4], off offset:512
	v_cmpx_lt_u32_e32 30, v0
	s_cbranch_execz .LBB101_181
; %bb.180:
	scratch_load_b128 v[1:4], off, s41
	v_mov_b32_e32 v5, 0
	s_delay_alu instid0(VALU_DEP_1)
	v_dual_mov_b32 v6, v5 :: v_dual_mov_b32 v7, v5
	v_mov_b32_e32 v8, v5
	scratch_store_b128 off, v[5:8], off offset:496
	s_wait_loadcnt 0x0
	ds_store_b128 v114, v[1:4]
.LBB101_181:
	s_wait_alu 0xfffe
	s_or_b32 exec_lo, exec_lo, s0
	s_wait_storecnt_dscnt 0x0
	s_barrier_signal -1
	s_barrier_wait -1
	global_inv scope:SCOPE_SE
	s_clause 0x6
	scratch_load_b128 v[2:5], off, off offset:512
	scratch_load_b128 v[6:9], off, off offset:528
	;; [unrolled: 1-line block ×7, first 2 shown]
	v_mov_b32_e32 v1, 0
	scratch_load_b128 v[34:37], off, off offset:496
	s_mov_b32 s0, exec_lo
	ds_load_b128 v[30:33], v1 offset:1104
	ds_load_b128 v[115:118], v1 offset:1120
	s_wait_loadcnt_dscnt 0x701
	v_mul_f64_e32 v[119:120], v[32:33], v[4:5]
	v_mul_f64_e32 v[4:5], v[30:31], v[4:5]
	s_wait_loadcnt_dscnt 0x600
	v_mul_f64_e32 v[121:122], v[115:116], v[8:9]
	v_mul_f64_e32 v[8:9], v[117:118], v[8:9]
	s_delay_alu instid0(VALU_DEP_4) | instskip(NEXT) | instid1(VALU_DEP_4)
	v_fma_f64 v[119:120], v[30:31], v[2:3], -v[119:120]
	v_fma_f64 v[123:124], v[32:33], v[2:3], v[4:5]
	ds_load_b128 v[2:5], v1 offset:1136
	ds_load_b128 v[30:33], v1 offset:1152
	v_fma_f64 v[117:118], v[117:118], v[6:7], v[121:122]
	v_fma_f64 v[6:7], v[115:116], v[6:7], -v[8:9]
	s_wait_loadcnt_dscnt 0x501
	v_mul_f64_e32 v[125:126], v[2:3], v[12:13]
	v_mul_f64_e32 v[12:13], v[4:5], v[12:13]
	v_add_f64_e32 v[8:9], 0, v[119:120]
	v_add_f64_e32 v[115:116], 0, v[123:124]
	s_wait_loadcnt_dscnt 0x400
	v_mul_f64_e32 v[119:120], v[30:31], v[16:17]
	v_mul_f64_e32 v[16:17], v[32:33], v[16:17]
	v_fma_f64 v[121:122], v[4:5], v[10:11], v[125:126]
	v_fma_f64 v[10:11], v[2:3], v[10:11], -v[12:13]
	v_add_f64_e32 v[12:13], v[8:9], v[6:7]
	v_add_f64_e32 v[115:116], v[115:116], v[117:118]
	ds_load_b128 v[2:5], v1 offset:1168
	ds_load_b128 v[6:9], v1 offset:1184
	v_fma_f64 v[32:33], v[32:33], v[14:15], v[119:120]
	v_fma_f64 v[14:15], v[30:31], v[14:15], -v[16:17]
	s_wait_loadcnt_dscnt 0x301
	v_mul_f64_e32 v[117:118], v[2:3], v[20:21]
	v_mul_f64_e32 v[20:21], v[4:5], v[20:21]
	s_wait_loadcnt_dscnt 0x200
	v_mul_f64_e32 v[16:17], v[6:7], v[24:25]
	v_mul_f64_e32 v[24:25], v[8:9], v[24:25]
	v_add_f64_e32 v[10:11], v[12:13], v[10:11]
	v_add_f64_e32 v[12:13], v[115:116], v[121:122]
	v_fma_f64 v[30:31], v[4:5], v[18:19], v[117:118]
	v_fma_f64 v[18:19], v[2:3], v[18:19], -v[20:21]
	ds_load_b128 v[2:5], v1 offset:1200
	v_fma_f64 v[8:9], v[8:9], v[22:23], v[16:17]
	v_fma_f64 v[6:7], v[6:7], v[22:23], -v[24:25]
	v_add_f64_e32 v[10:11], v[10:11], v[14:15]
	v_add_f64_e32 v[12:13], v[12:13], v[32:33]
	s_wait_loadcnt_dscnt 0x100
	v_mul_f64_e32 v[14:15], v[2:3], v[28:29]
	v_mul_f64_e32 v[20:21], v[4:5], v[28:29]
	s_delay_alu instid0(VALU_DEP_4) | instskip(NEXT) | instid1(VALU_DEP_4)
	v_add_f64_e32 v[10:11], v[10:11], v[18:19]
	v_add_f64_e32 v[12:13], v[12:13], v[30:31]
	s_delay_alu instid0(VALU_DEP_4) | instskip(NEXT) | instid1(VALU_DEP_4)
	v_fma_f64 v[4:5], v[4:5], v[26:27], v[14:15]
	v_fma_f64 v[2:3], v[2:3], v[26:27], -v[20:21]
	s_delay_alu instid0(VALU_DEP_4) | instskip(NEXT) | instid1(VALU_DEP_4)
	v_add_f64_e32 v[6:7], v[10:11], v[6:7]
	v_add_f64_e32 v[8:9], v[12:13], v[8:9]
	s_delay_alu instid0(VALU_DEP_2) | instskip(NEXT) | instid1(VALU_DEP_2)
	v_add_f64_e32 v[2:3], v[6:7], v[2:3]
	v_add_f64_e32 v[4:5], v[8:9], v[4:5]
	s_wait_loadcnt 0x0
	s_delay_alu instid0(VALU_DEP_2) | instskip(NEXT) | instid1(VALU_DEP_2)
	v_add_f64_e64 v[2:3], v[34:35], -v[2:3]
	v_add_f64_e64 v[4:5], v[36:37], -v[4:5]
	scratch_store_b128 off, v[2:5], off offset:496
	v_cmpx_lt_u32_e32 29, v0
	s_cbranch_execz .LBB101_183
; %bb.182:
	scratch_load_b128 v[5:8], off, s21
	v_dual_mov_b32 v2, v1 :: v_dual_mov_b32 v3, v1
	v_mov_b32_e32 v4, v1
	scratch_store_b128 off, v[1:4], off offset:480
	s_wait_loadcnt 0x0
	ds_store_b128 v114, v[5:8]
.LBB101_183:
	s_wait_alu 0xfffe
	s_or_b32 exec_lo, exec_lo, s0
	s_wait_storecnt_dscnt 0x0
	s_barrier_signal -1
	s_barrier_wait -1
	global_inv scope:SCOPE_SE
	s_clause 0x7
	scratch_load_b128 v[2:5], off, off offset:496
	scratch_load_b128 v[6:9], off, off offset:512
	;; [unrolled: 1-line block ×8, first 2 shown]
	ds_load_b128 v[34:37], v1 offset:1088
	ds_load_b128 v[115:118], v1 offset:1104
	scratch_load_b128 v[119:122], off, off offset:480
	s_mov_b32 s0, exec_lo
	s_wait_loadcnt_dscnt 0x801
	v_mul_f64_e32 v[123:124], v[36:37], v[4:5]
	v_mul_f64_e32 v[4:5], v[34:35], v[4:5]
	s_wait_loadcnt_dscnt 0x700
	v_mul_f64_e32 v[125:126], v[115:116], v[8:9]
	v_mul_f64_e32 v[8:9], v[117:118], v[8:9]
	s_delay_alu instid0(VALU_DEP_4) | instskip(NEXT) | instid1(VALU_DEP_4)
	v_fma_f64 v[123:124], v[34:35], v[2:3], -v[123:124]
	v_fma_f64 v[127:128], v[36:37], v[2:3], v[4:5]
	ds_load_b128 v[2:5], v1 offset:1120
	ds_load_b128 v[34:37], v1 offset:1136
	v_fma_f64 v[117:118], v[117:118], v[6:7], v[125:126]
	v_fma_f64 v[6:7], v[115:116], v[6:7], -v[8:9]
	s_wait_loadcnt_dscnt 0x601
	v_mul_f64_e32 v[129:130], v[2:3], v[12:13]
	v_mul_f64_e32 v[12:13], v[4:5], v[12:13]
	v_add_f64_e32 v[8:9], 0, v[123:124]
	v_add_f64_e32 v[115:116], 0, v[127:128]
	s_wait_loadcnt_dscnt 0x500
	v_mul_f64_e32 v[123:124], v[34:35], v[16:17]
	v_mul_f64_e32 v[16:17], v[36:37], v[16:17]
	v_fma_f64 v[125:126], v[4:5], v[10:11], v[129:130]
	v_fma_f64 v[10:11], v[2:3], v[10:11], -v[12:13]
	v_add_f64_e32 v[12:13], v[8:9], v[6:7]
	v_add_f64_e32 v[115:116], v[115:116], v[117:118]
	ds_load_b128 v[2:5], v1 offset:1152
	ds_load_b128 v[6:9], v1 offset:1168
	v_fma_f64 v[36:37], v[36:37], v[14:15], v[123:124]
	v_fma_f64 v[14:15], v[34:35], v[14:15], -v[16:17]
	s_wait_loadcnt_dscnt 0x401
	v_mul_f64_e32 v[117:118], v[2:3], v[20:21]
	v_mul_f64_e32 v[20:21], v[4:5], v[20:21]
	s_wait_loadcnt_dscnt 0x300
	v_mul_f64_e32 v[16:17], v[6:7], v[24:25]
	v_mul_f64_e32 v[24:25], v[8:9], v[24:25]
	v_add_f64_e32 v[10:11], v[12:13], v[10:11]
	v_add_f64_e32 v[12:13], v[115:116], v[125:126]
	v_fma_f64 v[34:35], v[4:5], v[18:19], v[117:118]
	v_fma_f64 v[18:19], v[2:3], v[18:19], -v[20:21]
	v_fma_f64 v[8:9], v[8:9], v[22:23], v[16:17]
	v_fma_f64 v[6:7], v[6:7], v[22:23], -v[24:25]
	v_add_f64_e32 v[14:15], v[10:11], v[14:15]
	v_add_f64_e32 v[20:21], v[12:13], v[36:37]
	ds_load_b128 v[2:5], v1 offset:1184
	ds_load_b128 v[10:13], v1 offset:1200
	s_wait_loadcnt_dscnt 0x201
	v_mul_f64_e32 v[36:37], v[2:3], v[28:29]
	v_mul_f64_e32 v[28:29], v[4:5], v[28:29]
	v_add_f64_e32 v[14:15], v[14:15], v[18:19]
	v_add_f64_e32 v[16:17], v[20:21], v[34:35]
	s_wait_loadcnt_dscnt 0x100
	v_mul_f64_e32 v[18:19], v[10:11], v[32:33]
	v_mul_f64_e32 v[20:21], v[12:13], v[32:33]
	v_fma_f64 v[4:5], v[4:5], v[26:27], v[36:37]
	v_fma_f64 v[1:2], v[2:3], v[26:27], -v[28:29]
	v_add_f64_e32 v[6:7], v[14:15], v[6:7]
	v_add_f64_e32 v[8:9], v[16:17], v[8:9]
	v_fma_f64 v[12:13], v[12:13], v[30:31], v[18:19]
	v_fma_f64 v[10:11], v[10:11], v[30:31], -v[20:21]
	s_delay_alu instid0(VALU_DEP_4) | instskip(NEXT) | instid1(VALU_DEP_4)
	v_add_f64_e32 v[1:2], v[6:7], v[1:2]
	v_add_f64_e32 v[3:4], v[8:9], v[4:5]
	s_delay_alu instid0(VALU_DEP_2) | instskip(NEXT) | instid1(VALU_DEP_2)
	v_add_f64_e32 v[1:2], v[1:2], v[10:11]
	v_add_f64_e32 v[3:4], v[3:4], v[12:13]
	s_wait_loadcnt 0x0
	s_delay_alu instid0(VALU_DEP_2) | instskip(NEXT) | instid1(VALU_DEP_2)
	v_add_f64_e64 v[1:2], v[119:120], -v[1:2]
	v_add_f64_e64 v[3:4], v[121:122], -v[3:4]
	scratch_store_b128 off, v[1:4], off offset:480
	v_cmpx_lt_u32_e32 28, v0
	s_cbranch_execz .LBB101_185
; %bb.184:
	scratch_load_b128 v[1:4], off, s40
	v_mov_b32_e32 v5, 0
	s_delay_alu instid0(VALU_DEP_1)
	v_dual_mov_b32 v6, v5 :: v_dual_mov_b32 v7, v5
	v_mov_b32_e32 v8, v5
	scratch_store_b128 off, v[5:8], off offset:464
	s_wait_loadcnt 0x0
	ds_store_b128 v114, v[1:4]
.LBB101_185:
	s_wait_alu 0xfffe
	s_or_b32 exec_lo, exec_lo, s0
	s_wait_storecnt_dscnt 0x0
	s_barrier_signal -1
	s_barrier_wait -1
	global_inv scope:SCOPE_SE
	s_clause 0x7
	scratch_load_b128 v[2:5], off, off offset:480
	scratch_load_b128 v[6:9], off, off offset:496
	;; [unrolled: 1-line block ×8, first 2 shown]
	v_mov_b32_e32 v1, 0
	s_mov_b32 s0, exec_lo
	ds_load_b128 v[34:37], v1 offset:1072
	s_clause 0x1
	scratch_load_b128 v[115:118], off, off offset:608
	scratch_load_b128 v[119:122], off, off offset:464
	ds_load_b128 v[123:126], v1 offset:1088
	s_wait_loadcnt_dscnt 0x901
	v_mul_f64_e32 v[127:128], v[36:37], v[4:5]
	v_mul_f64_e32 v[4:5], v[34:35], v[4:5]
	s_wait_loadcnt_dscnt 0x800
	v_mul_f64_e32 v[129:130], v[123:124], v[8:9]
	v_mul_f64_e32 v[8:9], v[125:126], v[8:9]
	s_delay_alu instid0(VALU_DEP_4) | instskip(NEXT) | instid1(VALU_DEP_4)
	v_fma_f64 v[127:128], v[34:35], v[2:3], -v[127:128]
	v_fma_f64 v[131:132], v[36:37], v[2:3], v[4:5]
	ds_load_b128 v[2:5], v1 offset:1104
	ds_load_b128 v[34:37], v1 offset:1120
	v_fma_f64 v[125:126], v[125:126], v[6:7], v[129:130]
	v_fma_f64 v[6:7], v[123:124], v[6:7], -v[8:9]
	s_wait_loadcnt_dscnt 0x701
	v_mul_f64_e32 v[133:134], v[2:3], v[12:13]
	v_mul_f64_e32 v[12:13], v[4:5], v[12:13]
	v_add_f64_e32 v[8:9], 0, v[127:128]
	v_add_f64_e32 v[123:124], 0, v[131:132]
	s_wait_loadcnt_dscnt 0x600
	v_mul_f64_e32 v[127:128], v[34:35], v[16:17]
	v_mul_f64_e32 v[16:17], v[36:37], v[16:17]
	v_fma_f64 v[129:130], v[4:5], v[10:11], v[133:134]
	v_fma_f64 v[10:11], v[2:3], v[10:11], -v[12:13]
	v_add_f64_e32 v[12:13], v[8:9], v[6:7]
	v_add_f64_e32 v[123:124], v[123:124], v[125:126]
	ds_load_b128 v[2:5], v1 offset:1136
	ds_load_b128 v[6:9], v1 offset:1152
	v_fma_f64 v[36:37], v[36:37], v[14:15], v[127:128]
	v_fma_f64 v[14:15], v[34:35], v[14:15], -v[16:17]
	s_wait_loadcnt_dscnt 0x501
	v_mul_f64_e32 v[125:126], v[2:3], v[20:21]
	v_mul_f64_e32 v[20:21], v[4:5], v[20:21]
	s_wait_loadcnt_dscnt 0x400
	v_mul_f64_e32 v[16:17], v[6:7], v[24:25]
	v_mul_f64_e32 v[24:25], v[8:9], v[24:25]
	v_add_f64_e32 v[10:11], v[12:13], v[10:11]
	v_add_f64_e32 v[12:13], v[123:124], v[129:130]
	v_fma_f64 v[34:35], v[4:5], v[18:19], v[125:126]
	v_fma_f64 v[18:19], v[2:3], v[18:19], -v[20:21]
	v_fma_f64 v[8:9], v[8:9], v[22:23], v[16:17]
	v_fma_f64 v[6:7], v[6:7], v[22:23], -v[24:25]
	v_add_f64_e32 v[14:15], v[10:11], v[14:15]
	v_add_f64_e32 v[20:21], v[12:13], v[36:37]
	ds_load_b128 v[2:5], v1 offset:1168
	ds_load_b128 v[10:13], v1 offset:1184
	s_wait_loadcnt_dscnt 0x301
	v_mul_f64_e32 v[36:37], v[2:3], v[28:29]
	v_mul_f64_e32 v[28:29], v[4:5], v[28:29]
	v_add_f64_e32 v[14:15], v[14:15], v[18:19]
	v_add_f64_e32 v[16:17], v[20:21], v[34:35]
	s_wait_loadcnt_dscnt 0x200
	v_mul_f64_e32 v[18:19], v[10:11], v[32:33]
	v_mul_f64_e32 v[20:21], v[12:13], v[32:33]
	v_fma_f64 v[22:23], v[4:5], v[26:27], v[36:37]
	v_fma_f64 v[24:25], v[2:3], v[26:27], -v[28:29]
	ds_load_b128 v[2:5], v1 offset:1200
	v_add_f64_e32 v[6:7], v[14:15], v[6:7]
	v_add_f64_e32 v[8:9], v[16:17], v[8:9]
	v_fma_f64 v[12:13], v[12:13], v[30:31], v[18:19]
	v_fma_f64 v[10:11], v[10:11], v[30:31], -v[20:21]
	s_wait_loadcnt_dscnt 0x100
	v_mul_f64_e32 v[14:15], v[2:3], v[117:118]
	v_mul_f64_e32 v[16:17], v[4:5], v[117:118]
	v_add_f64_e32 v[6:7], v[6:7], v[24:25]
	v_add_f64_e32 v[8:9], v[8:9], v[22:23]
	s_delay_alu instid0(VALU_DEP_4) | instskip(NEXT) | instid1(VALU_DEP_4)
	v_fma_f64 v[4:5], v[4:5], v[115:116], v[14:15]
	v_fma_f64 v[2:3], v[2:3], v[115:116], -v[16:17]
	s_delay_alu instid0(VALU_DEP_4) | instskip(NEXT) | instid1(VALU_DEP_4)
	v_add_f64_e32 v[6:7], v[6:7], v[10:11]
	v_add_f64_e32 v[8:9], v[8:9], v[12:13]
	s_delay_alu instid0(VALU_DEP_2) | instskip(NEXT) | instid1(VALU_DEP_2)
	v_add_f64_e32 v[2:3], v[6:7], v[2:3]
	v_add_f64_e32 v[4:5], v[8:9], v[4:5]
	s_wait_loadcnt 0x0
	s_delay_alu instid0(VALU_DEP_2) | instskip(NEXT) | instid1(VALU_DEP_2)
	v_add_f64_e64 v[2:3], v[119:120], -v[2:3]
	v_add_f64_e64 v[4:5], v[121:122], -v[4:5]
	scratch_store_b128 off, v[2:5], off offset:464
	v_cmpx_lt_u32_e32 27, v0
	s_cbranch_execz .LBB101_187
; %bb.186:
	scratch_load_b128 v[5:8], off, s20
	v_dual_mov_b32 v2, v1 :: v_dual_mov_b32 v3, v1
	v_mov_b32_e32 v4, v1
	scratch_store_b128 off, v[1:4], off offset:448
	s_wait_loadcnt 0x0
	ds_store_b128 v114, v[5:8]
.LBB101_187:
	s_wait_alu 0xfffe
	s_or_b32 exec_lo, exec_lo, s0
	s_wait_storecnt_dscnt 0x0
	s_barrier_signal -1
	s_barrier_wait -1
	global_inv scope:SCOPE_SE
	s_clause 0x8
	scratch_load_b128 v[2:5], off, off offset:464
	scratch_load_b128 v[6:9], off, off offset:480
	;; [unrolled: 1-line block ×9, first 2 shown]
	ds_load_b128 v[115:118], v1 offset:1056
	ds_load_b128 v[119:122], v1 offset:1072
	s_clause 0x1
	scratch_load_b128 v[123:126], off, off offset:448
	scratch_load_b128 v[127:130], off, off offset:608
	s_mov_b32 s0, exec_lo
	s_wait_loadcnt_dscnt 0xa01
	v_mul_f64_e32 v[131:132], v[117:118], v[4:5]
	v_mul_f64_e32 v[4:5], v[115:116], v[4:5]
	s_wait_loadcnt_dscnt 0x900
	v_mul_f64_e32 v[133:134], v[119:120], v[8:9]
	v_mul_f64_e32 v[8:9], v[121:122], v[8:9]
	s_delay_alu instid0(VALU_DEP_4) | instskip(NEXT) | instid1(VALU_DEP_4)
	v_fma_f64 v[131:132], v[115:116], v[2:3], -v[131:132]
	v_fma_f64 v[135:136], v[117:118], v[2:3], v[4:5]
	ds_load_b128 v[2:5], v1 offset:1088
	ds_load_b128 v[115:118], v1 offset:1104
	v_fma_f64 v[121:122], v[121:122], v[6:7], v[133:134]
	v_fma_f64 v[6:7], v[119:120], v[6:7], -v[8:9]
	s_wait_loadcnt_dscnt 0x801
	v_mul_f64_e32 v[137:138], v[2:3], v[12:13]
	v_mul_f64_e32 v[12:13], v[4:5], v[12:13]
	v_add_f64_e32 v[8:9], 0, v[131:132]
	v_add_f64_e32 v[119:120], 0, v[135:136]
	s_wait_loadcnt_dscnt 0x700
	v_mul_f64_e32 v[131:132], v[115:116], v[16:17]
	v_mul_f64_e32 v[16:17], v[117:118], v[16:17]
	v_fma_f64 v[133:134], v[4:5], v[10:11], v[137:138]
	v_fma_f64 v[10:11], v[2:3], v[10:11], -v[12:13]
	v_add_f64_e32 v[12:13], v[8:9], v[6:7]
	v_add_f64_e32 v[119:120], v[119:120], v[121:122]
	ds_load_b128 v[2:5], v1 offset:1120
	ds_load_b128 v[6:9], v1 offset:1136
	v_fma_f64 v[117:118], v[117:118], v[14:15], v[131:132]
	v_fma_f64 v[14:15], v[115:116], v[14:15], -v[16:17]
	s_wait_loadcnt_dscnt 0x601
	v_mul_f64_e32 v[121:122], v[2:3], v[20:21]
	v_mul_f64_e32 v[20:21], v[4:5], v[20:21]
	s_wait_loadcnt_dscnt 0x500
	v_mul_f64_e32 v[16:17], v[6:7], v[24:25]
	v_mul_f64_e32 v[24:25], v[8:9], v[24:25]
	v_add_f64_e32 v[10:11], v[12:13], v[10:11]
	v_add_f64_e32 v[12:13], v[119:120], v[133:134]
	v_fma_f64 v[115:116], v[4:5], v[18:19], v[121:122]
	v_fma_f64 v[18:19], v[2:3], v[18:19], -v[20:21]
	v_fma_f64 v[8:9], v[8:9], v[22:23], v[16:17]
	v_fma_f64 v[6:7], v[6:7], v[22:23], -v[24:25]
	v_add_f64_e32 v[14:15], v[10:11], v[14:15]
	v_add_f64_e32 v[20:21], v[12:13], v[117:118]
	ds_load_b128 v[2:5], v1 offset:1152
	ds_load_b128 v[10:13], v1 offset:1168
	s_wait_loadcnt_dscnt 0x401
	v_mul_f64_e32 v[117:118], v[2:3], v[28:29]
	v_mul_f64_e32 v[28:29], v[4:5], v[28:29]
	v_add_f64_e32 v[14:15], v[14:15], v[18:19]
	v_add_f64_e32 v[16:17], v[20:21], v[115:116]
	s_wait_loadcnt_dscnt 0x300
	v_mul_f64_e32 v[18:19], v[10:11], v[32:33]
	v_mul_f64_e32 v[20:21], v[12:13], v[32:33]
	v_fma_f64 v[22:23], v[4:5], v[26:27], v[117:118]
	v_fma_f64 v[24:25], v[2:3], v[26:27], -v[28:29]
	v_add_f64_e32 v[14:15], v[14:15], v[6:7]
	v_add_f64_e32 v[16:17], v[16:17], v[8:9]
	ds_load_b128 v[2:5], v1 offset:1184
	ds_load_b128 v[6:9], v1 offset:1200
	v_fma_f64 v[12:13], v[12:13], v[30:31], v[18:19]
	v_fma_f64 v[10:11], v[10:11], v[30:31], -v[20:21]
	s_wait_loadcnt_dscnt 0x201
	v_mul_f64_e32 v[26:27], v[2:3], v[36:37]
	v_mul_f64_e32 v[28:29], v[4:5], v[36:37]
	s_wait_loadcnt_dscnt 0x0
	v_mul_f64_e32 v[18:19], v[6:7], v[129:130]
	v_mul_f64_e32 v[20:21], v[8:9], v[129:130]
	v_add_f64_e32 v[14:15], v[14:15], v[24:25]
	v_add_f64_e32 v[16:17], v[16:17], v[22:23]
	v_fma_f64 v[4:5], v[4:5], v[34:35], v[26:27]
	v_fma_f64 v[1:2], v[2:3], v[34:35], -v[28:29]
	v_fma_f64 v[8:9], v[8:9], v[127:128], v[18:19]
	v_fma_f64 v[6:7], v[6:7], v[127:128], -v[20:21]
	v_add_f64_e32 v[10:11], v[14:15], v[10:11]
	v_add_f64_e32 v[12:13], v[16:17], v[12:13]
	s_delay_alu instid0(VALU_DEP_2) | instskip(NEXT) | instid1(VALU_DEP_2)
	v_add_f64_e32 v[1:2], v[10:11], v[1:2]
	v_add_f64_e32 v[3:4], v[12:13], v[4:5]
	s_delay_alu instid0(VALU_DEP_2) | instskip(NEXT) | instid1(VALU_DEP_2)
	;; [unrolled: 3-line block ×3, first 2 shown]
	v_add_f64_e64 v[1:2], v[123:124], -v[1:2]
	v_add_f64_e64 v[3:4], v[125:126], -v[3:4]
	scratch_store_b128 off, v[1:4], off offset:448
	v_cmpx_lt_u32_e32 26, v0
	s_cbranch_execz .LBB101_189
; %bb.188:
	scratch_load_b128 v[1:4], off, s39
	v_mov_b32_e32 v5, 0
	s_delay_alu instid0(VALU_DEP_1)
	v_dual_mov_b32 v6, v5 :: v_dual_mov_b32 v7, v5
	v_mov_b32_e32 v8, v5
	scratch_store_b128 off, v[5:8], off offset:432
	s_wait_loadcnt 0x0
	ds_store_b128 v114, v[1:4]
.LBB101_189:
	s_wait_alu 0xfffe
	s_or_b32 exec_lo, exec_lo, s0
	s_wait_storecnt_dscnt 0x0
	s_barrier_signal -1
	s_barrier_wait -1
	global_inv scope:SCOPE_SE
	s_clause 0x7
	scratch_load_b128 v[2:5], off, off offset:448
	scratch_load_b128 v[6:9], off, off offset:464
	;; [unrolled: 1-line block ×8, first 2 shown]
	v_mov_b32_e32 v1, 0
	s_mov_b32 s0, exec_lo
	ds_load_b128 v[34:37], v1 offset:1040
	s_clause 0x1
	scratch_load_b128 v[115:118], off, off offset:576
	scratch_load_b128 v[119:122], off, off offset:432
	ds_load_b128 v[123:126], v1 offset:1056
	scratch_load_b128 v[127:130], off, off offset:592
	s_wait_loadcnt_dscnt 0xa01
	v_mul_f64_e32 v[131:132], v[36:37], v[4:5]
	v_mul_f64_e32 v[4:5], v[34:35], v[4:5]
	s_delay_alu instid0(VALU_DEP_2) | instskip(NEXT) | instid1(VALU_DEP_2)
	v_fma_f64 v[137:138], v[34:35], v[2:3], -v[131:132]
	v_fma_f64 v[139:140], v[36:37], v[2:3], v[4:5]
	ds_load_b128 v[2:5], v1 offset:1072
	s_wait_loadcnt_dscnt 0x901
	v_mul_f64_e32 v[135:136], v[123:124], v[8:9]
	v_mul_f64_e32 v[8:9], v[125:126], v[8:9]
	scratch_load_b128 v[34:37], off, off offset:608
	ds_load_b128 v[131:134], v1 offset:1088
	s_wait_loadcnt_dscnt 0x901
	v_mul_f64_e32 v[141:142], v[2:3], v[12:13]
	v_mul_f64_e32 v[12:13], v[4:5], v[12:13]
	v_fma_f64 v[125:126], v[125:126], v[6:7], v[135:136]
	v_fma_f64 v[6:7], v[123:124], v[6:7], -v[8:9]
	v_add_f64_e32 v[8:9], 0, v[137:138]
	v_add_f64_e32 v[123:124], 0, v[139:140]
	s_wait_loadcnt_dscnt 0x800
	v_mul_f64_e32 v[135:136], v[131:132], v[16:17]
	v_mul_f64_e32 v[16:17], v[133:134], v[16:17]
	v_fma_f64 v[137:138], v[4:5], v[10:11], v[141:142]
	v_fma_f64 v[10:11], v[2:3], v[10:11], -v[12:13]
	v_add_f64_e32 v[12:13], v[8:9], v[6:7]
	v_add_f64_e32 v[123:124], v[123:124], v[125:126]
	ds_load_b128 v[2:5], v1 offset:1104
	ds_load_b128 v[6:9], v1 offset:1120
	v_fma_f64 v[133:134], v[133:134], v[14:15], v[135:136]
	v_fma_f64 v[14:15], v[131:132], v[14:15], -v[16:17]
	s_wait_loadcnt_dscnt 0x701
	v_mul_f64_e32 v[125:126], v[2:3], v[20:21]
	v_mul_f64_e32 v[20:21], v[4:5], v[20:21]
	s_wait_loadcnt_dscnt 0x600
	v_mul_f64_e32 v[16:17], v[6:7], v[24:25]
	v_mul_f64_e32 v[24:25], v[8:9], v[24:25]
	v_add_f64_e32 v[10:11], v[12:13], v[10:11]
	v_add_f64_e32 v[12:13], v[123:124], v[137:138]
	v_fma_f64 v[123:124], v[4:5], v[18:19], v[125:126]
	v_fma_f64 v[18:19], v[2:3], v[18:19], -v[20:21]
	v_fma_f64 v[8:9], v[8:9], v[22:23], v[16:17]
	v_fma_f64 v[6:7], v[6:7], v[22:23], -v[24:25]
	v_add_f64_e32 v[14:15], v[10:11], v[14:15]
	v_add_f64_e32 v[20:21], v[12:13], v[133:134]
	ds_load_b128 v[2:5], v1 offset:1136
	ds_load_b128 v[10:13], v1 offset:1152
	s_wait_loadcnt_dscnt 0x501
	v_mul_f64_e32 v[125:126], v[2:3], v[28:29]
	v_mul_f64_e32 v[28:29], v[4:5], v[28:29]
	v_add_f64_e32 v[14:15], v[14:15], v[18:19]
	v_add_f64_e32 v[16:17], v[20:21], v[123:124]
	s_wait_loadcnt_dscnt 0x400
	v_mul_f64_e32 v[18:19], v[10:11], v[32:33]
	v_mul_f64_e32 v[20:21], v[12:13], v[32:33]
	v_fma_f64 v[22:23], v[4:5], v[26:27], v[125:126]
	v_fma_f64 v[24:25], v[2:3], v[26:27], -v[28:29]
	v_add_f64_e32 v[14:15], v[14:15], v[6:7]
	v_add_f64_e32 v[16:17], v[16:17], v[8:9]
	ds_load_b128 v[2:5], v1 offset:1168
	ds_load_b128 v[6:9], v1 offset:1184
	v_fma_f64 v[12:13], v[12:13], v[30:31], v[18:19]
	v_fma_f64 v[10:11], v[10:11], v[30:31], -v[20:21]
	s_wait_loadcnt_dscnt 0x301
	v_mul_f64_e32 v[26:27], v[2:3], v[117:118]
	v_mul_f64_e32 v[28:29], v[4:5], v[117:118]
	s_wait_loadcnt_dscnt 0x100
	v_mul_f64_e32 v[18:19], v[6:7], v[129:130]
	v_mul_f64_e32 v[20:21], v[8:9], v[129:130]
	v_add_f64_e32 v[14:15], v[14:15], v[24:25]
	v_add_f64_e32 v[16:17], v[16:17], v[22:23]
	v_fma_f64 v[22:23], v[4:5], v[115:116], v[26:27]
	v_fma_f64 v[24:25], v[2:3], v[115:116], -v[28:29]
	ds_load_b128 v[2:5], v1 offset:1200
	v_fma_f64 v[8:9], v[8:9], v[127:128], v[18:19]
	v_fma_f64 v[6:7], v[6:7], v[127:128], -v[20:21]
	v_add_f64_e32 v[10:11], v[14:15], v[10:11]
	v_add_f64_e32 v[12:13], v[16:17], v[12:13]
	s_wait_loadcnt_dscnt 0x0
	v_mul_f64_e32 v[14:15], v[2:3], v[36:37]
	v_mul_f64_e32 v[16:17], v[4:5], v[36:37]
	s_delay_alu instid0(VALU_DEP_4) | instskip(NEXT) | instid1(VALU_DEP_4)
	v_add_f64_e32 v[10:11], v[10:11], v[24:25]
	v_add_f64_e32 v[12:13], v[12:13], v[22:23]
	s_delay_alu instid0(VALU_DEP_4) | instskip(NEXT) | instid1(VALU_DEP_4)
	v_fma_f64 v[4:5], v[4:5], v[34:35], v[14:15]
	v_fma_f64 v[2:3], v[2:3], v[34:35], -v[16:17]
	s_delay_alu instid0(VALU_DEP_4) | instskip(NEXT) | instid1(VALU_DEP_4)
	v_add_f64_e32 v[6:7], v[10:11], v[6:7]
	v_add_f64_e32 v[8:9], v[12:13], v[8:9]
	s_delay_alu instid0(VALU_DEP_2) | instskip(NEXT) | instid1(VALU_DEP_2)
	v_add_f64_e32 v[2:3], v[6:7], v[2:3]
	v_add_f64_e32 v[4:5], v[8:9], v[4:5]
	s_delay_alu instid0(VALU_DEP_2) | instskip(NEXT) | instid1(VALU_DEP_2)
	v_add_f64_e64 v[2:3], v[119:120], -v[2:3]
	v_add_f64_e64 v[4:5], v[121:122], -v[4:5]
	scratch_store_b128 off, v[2:5], off offset:432
	v_cmpx_lt_u32_e32 25, v0
	s_cbranch_execz .LBB101_191
; %bb.190:
	scratch_load_b128 v[5:8], off, s19
	v_dual_mov_b32 v2, v1 :: v_dual_mov_b32 v3, v1
	v_mov_b32_e32 v4, v1
	scratch_store_b128 off, v[1:4], off offset:416
	s_wait_loadcnt 0x0
	ds_store_b128 v114, v[5:8]
.LBB101_191:
	s_wait_alu 0xfffe
	s_or_b32 exec_lo, exec_lo, s0
	s_wait_storecnt_dscnt 0x0
	s_barrier_signal -1
	s_barrier_wait -1
	global_inv scope:SCOPE_SE
	s_clause 0x8
	scratch_load_b128 v[2:5], off, off offset:432
	scratch_load_b128 v[6:9], off, off offset:448
	scratch_load_b128 v[10:13], off, off offset:464
	scratch_load_b128 v[14:17], off, off offset:480
	scratch_load_b128 v[18:21], off, off offset:496
	scratch_load_b128 v[22:25], off, off offset:512
	scratch_load_b128 v[26:29], off, off offset:528
	scratch_load_b128 v[30:33], off, off offset:544
	scratch_load_b128 v[34:37], off, off offset:560
	ds_load_b128 v[115:118], v1 offset:1024
	ds_load_b128 v[119:122], v1 offset:1040
	s_clause 0x1
	scratch_load_b128 v[123:126], off, off offset:416
	scratch_load_b128 v[127:130], off, off offset:576
	s_mov_b32 s0, exec_lo
	s_wait_loadcnt_dscnt 0xa01
	v_mul_f64_e32 v[131:132], v[117:118], v[4:5]
	v_mul_f64_e32 v[4:5], v[115:116], v[4:5]
	s_wait_loadcnt_dscnt 0x900
	v_mul_f64_e32 v[135:136], v[119:120], v[8:9]
	v_mul_f64_e32 v[8:9], v[121:122], v[8:9]
	s_delay_alu instid0(VALU_DEP_4) | instskip(NEXT) | instid1(VALU_DEP_4)
	v_fma_f64 v[137:138], v[115:116], v[2:3], -v[131:132]
	v_fma_f64 v[139:140], v[117:118], v[2:3], v[4:5]
	ds_load_b128 v[2:5], v1 offset:1056
	ds_load_b128 v[131:134], v1 offset:1072
	scratch_load_b128 v[115:118], off, off offset:592
	v_fma_f64 v[121:122], v[121:122], v[6:7], v[135:136]
	v_fma_f64 v[119:120], v[119:120], v[6:7], -v[8:9]
	scratch_load_b128 v[6:9], off, off offset:608
	s_wait_loadcnt_dscnt 0xa01
	v_mul_f64_e32 v[141:142], v[2:3], v[12:13]
	v_mul_f64_e32 v[12:13], v[4:5], v[12:13]
	v_add_f64_e32 v[135:136], 0, v[137:138]
	v_add_f64_e32 v[137:138], 0, v[139:140]
	s_wait_loadcnt_dscnt 0x900
	v_mul_f64_e32 v[139:140], v[131:132], v[16:17]
	v_mul_f64_e32 v[16:17], v[133:134], v[16:17]
	v_fma_f64 v[141:142], v[4:5], v[10:11], v[141:142]
	v_fma_f64 v[143:144], v[2:3], v[10:11], -v[12:13]
	ds_load_b128 v[2:5], v1 offset:1088
	ds_load_b128 v[10:13], v1 offset:1104
	v_add_f64_e32 v[119:120], v[135:136], v[119:120]
	v_add_f64_e32 v[121:122], v[137:138], v[121:122]
	v_fma_f64 v[133:134], v[133:134], v[14:15], v[139:140]
	v_fma_f64 v[14:15], v[131:132], v[14:15], -v[16:17]
	s_wait_loadcnt_dscnt 0x801
	v_mul_f64_e32 v[135:136], v[2:3], v[20:21]
	v_mul_f64_e32 v[20:21], v[4:5], v[20:21]
	v_add_f64_e32 v[16:17], v[119:120], v[143:144]
	v_add_f64_e32 v[119:120], v[121:122], v[141:142]
	s_wait_loadcnt_dscnt 0x700
	v_mul_f64_e32 v[121:122], v[10:11], v[24:25]
	v_mul_f64_e32 v[24:25], v[12:13], v[24:25]
	v_fma_f64 v[131:132], v[4:5], v[18:19], v[135:136]
	v_fma_f64 v[18:19], v[2:3], v[18:19], -v[20:21]
	v_add_f64_e32 v[20:21], v[16:17], v[14:15]
	v_add_f64_e32 v[119:120], v[119:120], v[133:134]
	ds_load_b128 v[2:5], v1 offset:1120
	ds_load_b128 v[14:17], v1 offset:1136
	v_fma_f64 v[12:13], v[12:13], v[22:23], v[121:122]
	v_fma_f64 v[10:11], v[10:11], v[22:23], -v[24:25]
	s_wait_loadcnt_dscnt 0x601
	v_mul_f64_e32 v[133:134], v[2:3], v[28:29]
	v_mul_f64_e32 v[28:29], v[4:5], v[28:29]
	s_wait_loadcnt_dscnt 0x500
	v_mul_f64_e32 v[22:23], v[14:15], v[32:33]
	v_mul_f64_e32 v[24:25], v[16:17], v[32:33]
	v_add_f64_e32 v[18:19], v[20:21], v[18:19]
	v_add_f64_e32 v[20:21], v[119:120], v[131:132]
	v_fma_f64 v[32:33], v[4:5], v[26:27], v[133:134]
	v_fma_f64 v[26:27], v[2:3], v[26:27], -v[28:29]
	v_fma_f64 v[16:17], v[16:17], v[30:31], v[22:23]
	v_fma_f64 v[14:15], v[14:15], v[30:31], -v[24:25]
	v_add_f64_e32 v[18:19], v[18:19], v[10:11]
	v_add_f64_e32 v[20:21], v[20:21], v[12:13]
	ds_load_b128 v[2:5], v1 offset:1152
	ds_load_b128 v[10:13], v1 offset:1168
	s_wait_loadcnt_dscnt 0x401
	v_mul_f64_e32 v[28:29], v[2:3], v[36:37]
	v_mul_f64_e32 v[36:37], v[4:5], v[36:37]
	s_wait_loadcnt_dscnt 0x200
	v_mul_f64_e32 v[22:23], v[10:11], v[129:130]
	v_mul_f64_e32 v[24:25], v[12:13], v[129:130]
	v_add_f64_e32 v[18:19], v[18:19], v[26:27]
	v_add_f64_e32 v[20:21], v[20:21], v[32:33]
	v_fma_f64 v[26:27], v[4:5], v[34:35], v[28:29]
	v_fma_f64 v[28:29], v[2:3], v[34:35], -v[36:37]
	v_fma_f64 v[12:13], v[12:13], v[127:128], v[22:23]
	v_fma_f64 v[10:11], v[10:11], v[127:128], -v[24:25]
	v_add_f64_e32 v[18:19], v[18:19], v[14:15]
	v_add_f64_e32 v[20:21], v[20:21], v[16:17]
	ds_load_b128 v[2:5], v1 offset:1184
	ds_load_b128 v[14:17], v1 offset:1200
	s_wait_loadcnt_dscnt 0x101
	v_mul_f64_e32 v[30:31], v[2:3], v[117:118]
	v_mul_f64_e32 v[32:33], v[4:5], v[117:118]
	s_wait_loadcnt_dscnt 0x0
	v_mul_f64_e32 v[22:23], v[14:15], v[8:9]
	v_mul_f64_e32 v[8:9], v[16:17], v[8:9]
	v_add_f64_e32 v[18:19], v[18:19], v[28:29]
	v_add_f64_e32 v[20:21], v[20:21], v[26:27]
	v_fma_f64 v[4:5], v[4:5], v[115:116], v[30:31]
	v_fma_f64 v[1:2], v[2:3], v[115:116], -v[32:33]
	v_fma_f64 v[16:17], v[16:17], v[6:7], v[22:23]
	v_fma_f64 v[6:7], v[14:15], v[6:7], -v[8:9]
	v_add_f64_e32 v[10:11], v[18:19], v[10:11]
	v_add_f64_e32 v[12:13], v[20:21], v[12:13]
	s_delay_alu instid0(VALU_DEP_2) | instskip(NEXT) | instid1(VALU_DEP_2)
	v_add_f64_e32 v[1:2], v[10:11], v[1:2]
	v_add_f64_e32 v[3:4], v[12:13], v[4:5]
	s_delay_alu instid0(VALU_DEP_2) | instskip(NEXT) | instid1(VALU_DEP_2)
	;; [unrolled: 3-line block ×3, first 2 shown]
	v_add_f64_e64 v[1:2], v[123:124], -v[1:2]
	v_add_f64_e64 v[3:4], v[125:126], -v[3:4]
	scratch_store_b128 off, v[1:4], off offset:416
	v_cmpx_lt_u32_e32 24, v0
	s_cbranch_execz .LBB101_193
; %bb.192:
	scratch_load_b128 v[1:4], off, s38
	v_mov_b32_e32 v5, 0
	s_delay_alu instid0(VALU_DEP_1)
	v_dual_mov_b32 v6, v5 :: v_dual_mov_b32 v7, v5
	v_mov_b32_e32 v8, v5
	scratch_store_b128 off, v[5:8], off offset:400
	s_wait_loadcnt 0x0
	ds_store_b128 v114, v[1:4]
.LBB101_193:
	s_wait_alu 0xfffe
	s_or_b32 exec_lo, exec_lo, s0
	s_wait_storecnt_dscnt 0x0
	s_barrier_signal -1
	s_barrier_wait -1
	global_inv scope:SCOPE_SE
	s_clause 0x7
	scratch_load_b128 v[2:5], off, off offset:416
	scratch_load_b128 v[6:9], off, off offset:432
	;; [unrolled: 1-line block ×8, first 2 shown]
	v_mov_b32_e32 v1, 0
	s_mov_b32 s0, exec_lo
	ds_load_b128 v[34:37], v1 offset:1008
	s_clause 0x1
	scratch_load_b128 v[115:118], off, off offset:544
	scratch_load_b128 v[119:122], off, off offset:400
	ds_load_b128 v[123:126], v1 offset:1024
	scratch_load_b128 v[127:130], off, off offset:560
	s_wait_loadcnt_dscnt 0xa01
	v_mul_f64_e32 v[131:132], v[36:37], v[4:5]
	v_mul_f64_e32 v[4:5], v[34:35], v[4:5]
	s_delay_alu instid0(VALU_DEP_2) | instskip(NEXT) | instid1(VALU_DEP_2)
	v_fma_f64 v[137:138], v[34:35], v[2:3], -v[131:132]
	v_fma_f64 v[139:140], v[36:37], v[2:3], v[4:5]
	ds_load_b128 v[2:5], v1 offset:1040
	s_wait_loadcnt_dscnt 0x901
	v_mul_f64_e32 v[135:136], v[123:124], v[8:9]
	v_mul_f64_e32 v[8:9], v[125:126], v[8:9]
	scratch_load_b128 v[34:37], off, off offset:576
	ds_load_b128 v[131:134], v1 offset:1056
	s_wait_loadcnt_dscnt 0x901
	v_mul_f64_e32 v[141:142], v[2:3], v[12:13]
	v_mul_f64_e32 v[12:13], v[4:5], v[12:13]
	v_fma_f64 v[125:126], v[125:126], v[6:7], v[135:136]
	v_fma_f64 v[123:124], v[123:124], v[6:7], -v[8:9]
	v_add_f64_e32 v[135:136], 0, v[137:138]
	v_add_f64_e32 v[137:138], 0, v[139:140]
	scratch_load_b128 v[6:9], off, off offset:592
	v_fma_f64 v[141:142], v[4:5], v[10:11], v[141:142]
	v_fma_f64 v[143:144], v[2:3], v[10:11], -v[12:13]
	ds_load_b128 v[2:5], v1 offset:1072
	s_wait_loadcnt_dscnt 0x901
	v_mul_f64_e32 v[139:140], v[131:132], v[16:17]
	v_mul_f64_e32 v[16:17], v[133:134], v[16:17]
	scratch_load_b128 v[10:13], off, off offset:608
	v_add_f64_e32 v[135:136], v[135:136], v[123:124]
	v_add_f64_e32 v[137:138], v[137:138], v[125:126]
	s_wait_loadcnt_dscnt 0x900
	v_mul_f64_e32 v[145:146], v[2:3], v[20:21]
	v_mul_f64_e32 v[20:21], v[4:5], v[20:21]
	ds_load_b128 v[123:126], v1 offset:1088
	v_fma_f64 v[133:134], v[133:134], v[14:15], v[139:140]
	v_fma_f64 v[14:15], v[131:132], v[14:15], -v[16:17]
	v_add_f64_e32 v[16:17], v[135:136], v[143:144]
	v_add_f64_e32 v[131:132], v[137:138], v[141:142]
	s_wait_loadcnt_dscnt 0x800
	v_mul_f64_e32 v[135:136], v[123:124], v[24:25]
	v_mul_f64_e32 v[24:25], v[125:126], v[24:25]
	v_fma_f64 v[137:138], v[4:5], v[18:19], v[145:146]
	v_fma_f64 v[18:19], v[2:3], v[18:19], -v[20:21]
	v_add_f64_e32 v[20:21], v[16:17], v[14:15]
	v_add_f64_e32 v[131:132], v[131:132], v[133:134]
	ds_load_b128 v[2:5], v1 offset:1104
	ds_load_b128 v[14:17], v1 offset:1120
	v_fma_f64 v[125:126], v[125:126], v[22:23], v[135:136]
	v_fma_f64 v[22:23], v[123:124], v[22:23], -v[24:25]
	s_wait_loadcnt_dscnt 0x701
	v_mul_f64_e32 v[133:134], v[2:3], v[28:29]
	v_mul_f64_e32 v[28:29], v[4:5], v[28:29]
	s_wait_loadcnt_dscnt 0x600
	v_mul_f64_e32 v[24:25], v[14:15], v[32:33]
	v_mul_f64_e32 v[32:33], v[16:17], v[32:33]
	v_add_f64_e32 v[18:19], v[20:21], v[18:19]
	v_add_f64_e32 v[20:21], v[131:132], v[137:138]
	v_fma_f64 v[123:124], v[4:5], v[26:27], v[133:134]
	v_fma_f64 v[26:27], v[2:3], v[26:27], -v[28:29]
	v_fma_f64 v[16:17], v[16:17], v[30:31], v[24:25]
	v_fma_f64 v[14:15], v[14:15], v[30:31], -v[32:33]
	v_add_f64_e32 v[22:23], v[18:19], v[22:23]
	v_add_f64_e32 v[28:29], v[20:21], v[125:126]
	ds_load_b128 v[2:5], v1 offset:1136
	ds_load_b128 v[18:21], v1 offset:1152
	s_wait_loadcnt_dscnt 0x501
	v_mul_f64_e32 v[125:126], v[2:3], v[117:118]
	v_mul_f64_e32 v[117:118], v[4:5], v[117:118]
	v_add_f64_e32 v[22:23], v[22:23], v[26:27]
	v_add_f64_e32 v[24:25], v[28:29], v[123:124]
	s_wait_loadcnt_dscnt 0x300
	v_mul_f64_e32 v[26:27], v[18:19], v[129:130]
	v_mul_f64_e32 v[28:29], v[20:21], v[129:130]
	v_fma_f64 v[30:31], v[4:5], v[115:116], v[125:126]
	v_fma_f64 v[32:33], v[2:3], v[115:116], -v[117:118]
	v_add_f64_e32 v[22:23], v[22:23], v[14:15]
	v_add_f64_e32 v[24:25], v[24:25], v[16:17]
	ds_load_b128 v[2:5], v1 offset:1168
	ds_load_b128 v[14:17], v1 offset:1184
	v_fma_f64 v[20:21], v[20:21], v[127:128], v[26:27]
	v_fma_f64 v[18:19], v[18:19], v[127:128], -v[28:29]
	s_wait_loadcnt_dscnt 0x201
	v_mul_f64_e32 v[115:116], v[2:3], v[36:37]
	v_mul_f64_e32 v[36:37], v[4:5], v[36:37]
	v_add_f64_e32 v[22:23], v[22:23], v[32:33]
	v_add_f64_e32 v[24:25], v[24:25], v[30:31]
	s_wait_loadcnt_dscnt 0x100
	v_mul_f64_e32 v[26:27], v[14:15], v[8:9]
	v_mul_f64_e32 v[8:9], v[16:17], v[8:9]
	v_fma_f64 v[28:29], v[4:5], v[34:35], v[115:116]
	v_fma_f64 v[30:31], v[2:3], v[34:35], -v[36:37]
	ds_load_b128 v[2:5], v1 offset:1200
	v_add_f64_e32 v[18:19], v[22:23], v[18:19]
	v_add_f64_e32 v[20:21], v[24:25], v[20:21]
	s_wait_loadcnt_dscnt 0x0
	v_mul_f64_e32 v[22:23], v[2:3], v[12:13]
	v_mul_f64_e32 v[12:13], v[4:5], v[12:13]
	v_fma_f64 v[16:17], v[16:17], v[6:7], v[26:27]
	v_fma_f64 v[6:7], v[14:15], v[6:7], -v[8:9]
	v_add_f64_e32 v[8:9], v[18:19], v[30:31]
	v_add_f64_e32 v[14:15], v[20:21], v[28:29]
	v_fma_f64 v[4:5], v[4:5], v[10:11], v[22:23]
	v_fma_f64 v[2:3], v[2:3], v[10:11], -v[12:13]
	s_delay_alu instid0(VALU_DEP_4) | instskip(NEXT) | instid1(VALU_DEP_4)
	v_add_f64_e32 v[6:7], v[8:9], v[6:7]
	v_add_f64_e32 v[8:9], v[14:15], v[16:17]
	s_delay_alu instid0(VALU_DEP_2) | instskip(NEXT) | instid1(VALU_DEP_2)
	v_add_f64_e32 v[2:3], v[6:7], v[2:3]
	v_add_f64_e32 v[4:5], v[8:9], v[4:5]
	s_delay_alu instid0(VALU_DEP_2) | instskip(NEXT) | instid1(VALU_DEP_2)
	v_add_f64_e64 v[2:3], v[119:120], -v[2:3]
	v_add_f64_e64 v[4:5], v[121:122], -v[4:5]
	scratch_store_b128 off, v[2:5], off offset:400
	v_cmpx_lt_u32_e32 23, v0
	s_cbranch_execz .LBB101_195
; %bb.194:
	scratch_load_b128 v[5:8], off, s18
	v_dual_mov_b32 v2, v1 :: v_dual_mov_b32 v3, v1
	v_mov_b32_e32 v4, v1
	scratch_store_b128 off, v[1:4], off offset:384
	s_wait_loadcnt 0x0
	ds_store_b128 v114, v[5:8]
.LBB101_195:
	s_wait_alu 0xfffe
	s_or_b32 exec_lo, exec_lo, s0
	s_wait_storecnt_dscnt 0x0
	s_barrier_signal -1
	s_barrier_wait -1
	global_inv scope:SCOPE_SE
	s_clause 0x8
	scratch_load_b128 v[2:5], off, off offset:400
	scratch_load_b128 v[6:9], off, off offset:416
	;; [unrolled: 1-line block ×9, first 2 shown]
	ds_load_b128 v[115:118], v1 offset:992
	ds_load_b128 v[119:122], v1 offset:1008
	s_clause 0x1
	scratch_load_b128 v[123:126], off, off offset:384
	scratch_load_b128 v[127:130], off, off offset:544
	s_mov_b32 s0, exec_lo
	s_wait_loadcnt_dscnt 0xa01
	v_mul_f64_e32 v[131:132], v[117:118], v[4:5]
	v_mul_f64_e32 v[4:5], v[115:116], v[4:5]
	s_wait_loadcnt_dscnt 0x900
	v_mul_f64_e32 v[135:136], v[119:120], v[8:9]
	v_mul_f64_e32 v[8:9], v[121:122], v[8:9]
	s_delay_alu instid0(VALU_DEP_4) | instskip(NEXT) | instid1(VALU_DEP_4)
	v_fma_f64 v[137:138], v[115:116], v[2:3], -v[131:132]
	v_fma_f64 v[139:140], v[117:118], v[2:3], v[4:5]
	ds_load_b128 v[2:5], v1 offset:1024
	ds_load_b128 v[131:134], v1 offset:1040
	scratch_load_b128 v[115:118], off, off offset:560
	v_fma_f64 v[121:122], v[121:122], v[6:7], v[135:136]
	v_fma_f64 v[119:120], v[119:120], v[6:7], -v[8:9]
	scratch_load_b128 v[6:9], off, off offset:576
	s_wait_loadcnt_dscnt 0xa01
	v_mul_f64_e32 v[141:142], v[2:3], v[12:13]
	v_mul_f64_e32 v[12:13], v[4:5], v[12:13]
	v_add_f64_e32 v[135:136], 0, v[137:138]
	v_add_f64_e32 v[137:138], 0, v[139:140]
	s_wait_loadcnt_dscnt 0x900
	v_mul_f64_e32 v[139:140], v[131:132], v[16:17]
	v_mul_f64_e32 v[16:17], v[133:134], v[16:17]
	v_fma_f64 v[141:142], v[4:5], v[10:11], v[141:142]
	v_fma_f64 v[143:144], v[2:3], v[10:11], -v[12:13]
	ds_load_b128 v[2:5], v1 offset:1056
	scratch_load_b128 v[10:13], off, off offset:592
	v_add_f64_e32 v[135:136], v[135:136], v[119:120]
	v_add_f64_e32 v[137:138], v[137:138], v[121:122]
	ds_load_b128 v[119:122], v1 offset:1072
	v_fma_f64 v[133:134], v[133:134], v[14:15], v[139:140]
	v_fma_f64 v[131:132], v[131:132], v[14:15], -v[16:17]
	scratch_load_b128 v[14:17], off, off offset:608
	s_wait_loadcnt_dscnt 0xa01
	v_mul_f64_e32 v[145:146], v[2:3], v[20:21]
	v_mul_f64_e32 v[20:21], v[4:5], v[20:21]
	s_wait_loadcnt_dscnt 0x900
	v_mul_f64_e32 v[139:140], v[119:120], v[24:25]
	v_mul_f64_e32 v[24:25], v[121:122], v[24:25]
	v_add_f64_e32 v[135:136], v[135:136], v[143:144]
	v_add_f64_e32 v[137:138], v[137:138], v[141:142]
	v_fma_f64 v[141:142], v[4:5], v[18:19], v[145:146]
	v_fma_f64 v[143:144], v[2:3], v[18:19], -v[20:21]
	ds_load_b128 v[2:5], v1 offset:1088
	ds_load_b128 v[18:21], v1 offset:1104
	v_fma_f64 v[121:122], v[121:122], v[22:23], v[139:140]
	v_fma_f64 v[22:23], v[119:120], v[22:23], -v[24:25]
	v_add_f64_e32 v[131:132], v[135:136], v[131:132]
	v_add_f64_e32 v[133:134], v[137:138], v[133:134]
	s_wait_loadcnt_dscnt 0x801
	v_mul_f64_e32 v[135:136], v[2:3], v[28:29]
	v_mul_f64_e32 v[28:29], v[4:5], v[28:29]
	s_delay_alu instid0(VALU_DEP_4) | instskip(NEXT) | instid1(VALU_DEP_4)
	v_add_f64_e32 v[24:25], v[131:132], v[143:144]
	v_add_f64_e32 v[119:120], v[133:134], v[141:142]
	s_wait_loadcnt_dscnt 0x700
	v_mul_f64_e32 v[131:132], v[18:19], v[32:33]
	v_mul_f64_e32 v[32:33], v[20:21], v[32:33]
	v_fma_f64 v[133:134], v[4:5], v[26:27], v[135:136]
	v_fma_f64 v[26:27], v[2:3], v[26:27], -v[28:29]
	v_add_f64_e32 v[28:29], v[24:25], v[22:23]
	v_add_f64_e32 v[119:120], v[119:120], v[121:122]
	ds_load_b128 v[2:5], v1 offset:1120
	ds_load_b128 v[22:25], v1 offset:1136
	v_fma_f64 v[20:21], v[20:21], v[30:31], v[131:132]
	v_fma_f64 v[18:19], v[18:19], v[30:31], -v[32:33]
	s_wait_loadcnt_dscnt 0x601
	v_mul_f64_e32 v[121:122], v[2:3], v[36:37]
	v_mul_f64_e32 v[36:37], v[4:5], v[36:37]
	s_wait_loadcnt_dscnt 0x400
	v_mul_f64_e32 v[30:31], v[22:23], v[129:130]
	v_mul_f64_e32 v[32:33], v[24:25], v[129:130]
	v_add_f64_e32 v[26:27], v[28:29], v[26:27]
	v_add_f64_e32 v[28:29], v[119:120], v[133:134]
	v_fma_f64 v[119:120], v[4:5], v[34:35], v[121:122]
	v_fma_f64 v[34:35], v[2:3], v[34:35], -v[36:37]
	v_fma_f64 v[24:25], v[24:25], v[127:128], v[30:31]
	v_fma_f64 v[22:23], v[22:23], v[127:128], -v[32:33]
	v_add_f64_e32 v[26:27], v[26:27], v[18:19]
	v_add_f64_e32 v[28:29], v[28:29], v[20:21]
	ds_load_b128 v[2:5], v1 offset:1152
	ds_load_b128 v[18:21], v1 offset:1168
	s_wait_loadcnt_dscnt 0x301
	v_mul_f64_e32 v[36:37], v[2:3], v[117:118]
	v_mul_f64_e32 v[117:118], v[4:5], v[117:118]
	s_wait_loadcnt_dscnt 0x200
	v_mul_f64_e32 v[30:31], v[18:19], v[8:9]
	v_mul_f64_e32 v[8:9], v[20:21], v[8:9]
	v_add_f64_e32 v[26:27], v[26:27], v[34:35]
	v_add_f64_e32 v[28:29], v[28:29], v[119:120]
	v_fma_f64 v[32:33], v[4:5], v[115:116], v[36:37]
	v_fma_f64 v[34:35], v[2:3], v[115:116], -v[117:118]
	v_fma_f64 v[20:21], v[20:21], v[6:7], v[30:31]
	v_fma_f64 v[6:7], v[18:19], v[6:7], -v[8:9]
	v_add_f64_e32 v[26:27], v[26:27], v[22:23]
	v_add_f64_e32 v[28:29], v[28:29], v[24:25]
	ds_load_b128 v[2:5], v1 offset:1184
	ds_load_b128 v[22:25], v1 offset:1200
	s_wait_loadcnt_dscnt 0x101
	v_mul_f64_e32 v[36:37], v[2:3], v[12:13]
	v_mul_f64_e32 v[12:13], v[4:5], v[12:13]
	v_add_f64_e32 v[8:9], v[26:27], v[34:35]
	v_add_f64_e32 v[18:19], v[28:29], v[32:33]
	s_wait_loadcnt_dscnt 0x0
	v_mul_f64_e32 v[26:27], v[22:23], v[16:17]
	v_mul_f64_e32 v[16:17], v[24:25], v[16:17]
	v_fma_f64 v[4:5], v[4:5], v[10:11], v[36:37]
	v_fma_f64 v[1:2], v[2:3], v[10:11], -v[12:13]
	v_add_f64_e32 v[6:7], v[8:9], v[6:7]
	v_add_f64_e32 v[8:9], v[18:19], v[20:21]
	v_fma_f64 v[10:11], v[24:25], v[14:15], v[26:27]
	v_fma_f64 v[12:13], v[22:23], v[14:15], -v[16:17]
	s_delay_alu instid0(VALU_DEP_4) | instskip(NEXT) | instid1(VALU_DEP_4)
	v_add_f64_e32 v[1:2], v[6:7], v[1:2]
	v_add_f64_e32 v[3:4], v[8:9], v[4:5]
	s_delay_alu instid0(VALU_DEP_2) | instskip(NEXT) | instid1(VALU_DEP_2)
	v_add_f64_e32 v[1:2], v[1:2], v[12:13]
	v_add_f64_e32 v[3:4], v[3:4], v[10:11]
	s_delay_alu instid0(VALU_DEP_2) | instskip(NEXT) | instid1(VALU_DEP_2)
	v_add_f64_e64 v[1:2], v[123:124], -v[1:2]
	v_add_f64_e64 v[3:4], v[125:126], -v[3:4]
	scratch_store_b128 off, v[1:4], off offset:384
	v_cmpx_lt_u32_e32 22, v0
	s_cbranch_execz .LBB101_197
; %bb.196:
	scratch_load_b128 v[1:4], off, s37
	v_mov_b32_e32 v5, 0
	s_delay_alu instid0(VALU_DEP_1)
	v_dual_mov_b32 v6, v5 :: v_dual_mov_b32 v7, v5
	v_mov_b32_e32 v8, v5
	scratch_store_b128 off, v[5:8], off offset:368
	s_wait_loadcnt 0x0
	ds_store_b128 v114, v[1:4]
.LBB101_197:
	s_wait_alu 0xfffe
	s_or_b32 exec_lo, exec_lo, s0
	s_wait_storecnt_dscnt 0x0
	s_barrier_signal -1
	s_barrier_wait -1
	global_inv scope:SCOPE_SE
	s_clause 0x7
	scratch_load_b128 v[2:5], off, off offset:384
	scratch_load_b128 v[6:9], off, off offset:400
	;; [unrolled: 1-line block ×8, first 2 shown]
	v_mov_b32_e32 v1, 0
	s_mov_b32 s0, exec_lo
	ds_load_b128 v[34:37], v1 offset:976
	s_clause 0x1
	scratch_load_b128 v[115:118], off, off offset:512
	scratch_load_b128 v[119:122], off, off offset:368
	ds_load_b128 v[123:126], v1 offset:992
	scratch_load_b128 v[127:130], off, off offset:528
	s_wait_loadcnt_dscnt 0xa01
	v_mul_f64_e32 v[131:132], v[36:37], v[4:5]
	v_mul_f64_e32 v[4:5], v[34:35], v[4:5]
	s_delay_alu instid0(VALU_DEP_2) | instskip(NEXT) | instid1(VALU_DEP_2)
	v_fma_f64 v[137:138], v[34:35], v[2:3], -v[131:132]
	v_fma_f64 v[139:140], v[36:37], v[2:3], v[4:5]
	ds_load_b128 v[2:5], v1 offset:1008
	s_wait_loadcnt_dscnt 0x901
	v_mul_f64_e32 v[135:136], v[123:124], v[8:9]
	v_mul_f64_e32 v[8:9], v[125:126], v[8:9]
	scratch_load_b128 v[34:37], off, off offset:544
	ds_load_b128 v[131:134], v1 offset:1024
	s_wait_loadcnt_dscnt 0x901
	v_mul_f64_e32 v[141:142], v[2:3], v[12:13]
	v_mul_f64_e32 v[12:13], v[4:5], v[12:13]
	v_fma_f64 v[125:126], v[125:126], v[6:7], v[135:136]
	v_fma_f64 v[123:124], v[123:124], v[6:7], -v[8:9]
	v_add_f64_e32 v[135:136], 0, v[137:138]
	v_add_f64_e32 v[137:138], 0, v[139:140]
	scratch_load_b128 v[6:9], off, off offset:560
	v_fma_f64 v[141:142], v[4:5], v[10:11], v[141:142]
	v_fma_f64 v[143:144], v[2:3], v[10:11], -v[12:13]
	ds_load_b128 v[2:5], v1 offset:1040
	s_wait_loadcnt_dscnt 0x901
	v_mul_f64_e32 v[139:140], v[131:132], v[16:17]
	v_mul_f64_e32 v[16:17], v[133:134], v[16:17]
	scratch_load_b128 v[10:13], off, off offset:576
	v_add_f64_e32 v[135:136], v[135:136], v[123:124]
	v_add_f64_e32 v[137:138], v[137:138], v[125:126]
	s_wait_loadcnt_dscnt 0x900
	v_mul_f64_e32 v[145:146], v[2:3], v[20:21]
	v_mul_f64_e32 v[20:21], v[4:5], v[20:21]
	ds_load_b128 v[123:126], v1 offset:1056
	v_fma_f64 v[133:134], v[133:134], v[14:15], v[139:140]
	v_fma_f64 v[131:132], v[131:132], v[14:15], -v[16:17]
	scratch_load_b128 v[14:17], off, off offset:592
	v_add_f64_e32 v[135:136], v[135:136], v[143:144]
	v_add_f64_e32 v[137:138], v[137:138], v[141:142]
	v_fma_f64 v[141:142], v[4:5], v[18:19], v[145:146]
	v_fma_f64 v[143:144], v[2:3], v[18:19], -v[20:21]
	ds_load_b128 v[2:5], v1 offset:1072
	s_wait_loadcnt_dscnt 0x901
	v_mul_f64_e32 v[139:140], v[123:124], v[24:25]
	v_mul_f64_e32 v[24:25], v[125:126], v[24:25]
	scratch_load_b128 v[18:21], off, off offset:608
	s_wait_loadcnt_dscnt 0x900
	v_mul_f64_e32 v[145:146], v[2:3], v[28:29]
	v_mul_f64_e32 v[28:29], v[4:5], v[28:29]
	v_add_f64_e32 v[135:136], v[135:136], v[131:132]
	v_add_f64_e32 v[137:138], v[137:138], v[133:134]
	ds_load_b128 v[131:134], v1 offset:1088
	v_fma_f64 v[125:126], v[125:126], v[22:23], v[139:140]
	v_fma_f64 v[22:23], v[123:124], v[22:23], -v[24:25]
	v_add_f64_e32 v[24:25], v[135:136], v[143:144]
	v_add_f64_e32 v[123:124], v[137:138], v[141:142]
	s_wait_loadcnt_dscnt 0x800
	v_mul_f64_e32 v[135:136], v[131:132], v[32:33]
	v_mul_f64_e32 v[32:33], v[133:134], v[32:33]
	v_fma_f64 v[137:138], v[4:5], v[26:27], v[145:146]
	v_fma_f64 v[26:27], v[2:3], v[26:27], -v[28:29]
	v_add_f64_e32 v[28:29], v[24:25], v[22:23]
	v_add_f64_e32 v[123:124], v[123:124], v[125:126]
	ds_load_b128 v[2:5], v1 offset:1104
	ds_load_b128 v[22:25], v1 offset:1120
	v_fma_f64 v[133:134], v[133:134], v[30:31], v[135:136]
	v_fma_f64 v[30:31], v[131:132], v[30:31], -v[32:33]
	s_wait_loadcnt_dscnt 0x701
	v_mul_f64_e32 v[125:126], v[2:3], v[117:118]
	v_mul_f64_e32 v[117:118], v[4:5], v[117:118]
	s_wait_loadcnt_dscnt 0x500
	v_mul_f64_e32 v[32:33], v[22:23], v[129:130]
	v_add_f64_e32 v[26:27], v[28:29], v[26:27]
	v_add_f64_e32 v[28:29], v[123:124], v[137:138]
	v_mul_f64_e32 v[123:124], v[24:25], v[129:130]
	v_fma_f64 v[125:126], v[4:5], v[115:116], v[125:126]
	v_fma_f64 v[115:116], v[2:3], v[115:116], -v[117:118]
	v_fma_f64 v[24:25], v[24:25], v[127:128], v[32:33]
	v_add_f64_e32 v[30:31], v[26:27], v[30:31]
	v_add_f64_e32 v[117:118], v[28:29], v[133:134]
	ds_load_b128 v[2:5], v1 offset:1136
	ds_load_b128 v[26:29], v1 offset:1152
	v_fma_f64 v[22:23], v[22:23], v[127:128], -v[123:124]
	s_wait_loadcnt_dscnt 0x401
	v_mul_f64_e32 v[129:130], v[2:3], v[36:37]
	v_mul_f64_e32 v[36:37], v[4:5], v[36:37]
	v_add_f64_e32 v[30:31], v[30:31], v[115:116]
	v_add_f64_e32 v[32:33], v[117:118], v[125:126]
	s_wait_loadcnt_dscnt 0x300
	v_mul_f64_e32 v[115:116], v[26:27], v[8:9]
	v_mul_f64_e32 v[8:9], v[28:29], v[8:9]
	v_fma_f64 v[117:118], v[4:5], v[34:35], v[129:130]
	v_fma_f64 v[34:35], v[2:3], v[34:35], -v[36:37]
	v_add_f64_e32 v[30:31], v[30:31], v[22:23]
	v_add_f64_e32 v[32:33], v[32:33], v[24:25]
	ds_load_b128 v[2:5], v1 offset:1168
	ds_load_b128 v[22:25], v1 offset:1184
	v_fma_f64 v[28:29], v[28:29], v[6:7], v[115:116]
	v_fma_f64 v[6:7], v[26:27], v[6:7], -v[8:9]
	s_wait_loadcnt_dscnt 0x201
	v_mul_f64_e32 v[36:37], v[2:3], v[12:13]
	v_mul_f64_e32 v[12:13], v[4:5], v[12:13]
	v_add_f64_e32 v[8:9], v[30:31], v[34:35]
	v_add_f64_e32 v[26:27], v[32:33], v[117:118]
	s_wait_loadcnt_dscnt 0x100
	v_mul_f64_e32 v[30:31], v[22:23], v[16:17]
	v_mul_f64_e32 v[16:17], v[24:25], v[16:17]
	v_fma_f64 v[32:33], v[4:5], v[10:11], v[36:37]
	v_fma_f64 v[10:11], v[2:3], v[10:11], -v[12:13]
	ds_load_b128 v[2:5], v1 offset:1200
	v_add_f64_e32 v[6:7], v[8:9], v[6:7]
	v_add_f64_e32 v[8:9], v[26:27], v[28:29]
	v_fma_f64 v[24:25], v[24:25], v[14:15], v[30:31]
	v_fma_f64 v[14:15], v[22:23], v[14:15], -v[16:17]
	s_wait_loadcnt_dscnt 0x0
	v_mul_f64_e32 v[12:13], v[2:3], v[20:21]
	v_mul_f64_e32 v[20:21], v[4:5], v[20:21]
	v_add_f64_e32 v[6:7], v[6:7], v[10:11]
	v_add_f64_e32 v[8:9], v[8:9], v[32:33]
	s_delay_alu instid0(VALU_DEP_4) | instskip(NEXT) | instid1(VALU_DEP_4)
	v_fma_f64 v[4:5], v[4:5], v[18:19], v[12:13]
	v_fma_f64 v[2:3], v[2:3], v[18:19], -v[20:21]
	s_delay_alu instid0(VALU_DEP_4) | instskip(NEXT) | instid1(VALU_DEP_4)
	v_add_f64_e32 v[6:7], v[6:7], v[14:15]
	v_add_f64_e32 v[8:9], v[8:9], v[24:25]
	s_delay_alu instid0(VALU_DEP_2) | instskip(NEXT) | instid1(VALU_DEP_2)
	v_add_f64_e32 v[2:3], v[6:7], v[2:3]
	v_add_f64_e32 v[4:5], v[8:9], v[4:5]
	s_delay_alu instid0(VALU_DEP_2) | instskip(NEXT) | instid1(VALU_DEP_2)
	v_add_f64_e64 v[2:3], v[119:120], -v[2:3]
	v_add_f64_e64 v[4:5], v[121:122], -v[4:5]
	scratch_store_b128 off, v[2:5], off offset:368
	v_cmpx_lt_u32_e32 21, v0
	s_cbranch_execz .LBB101_199
; %bb.198:
	scratch_load_b128 v[5:8], off, s17
	v_dual_mov_b32 v2, v1 :: v_dual_mov_b32 v3, v1
	v_mov_b32_e32 v4, v1
	scratch_store_b128 off, v[1:4], off offset:352
	s_wait_loadcnt 0x0
	ds_store_b128 v114, v[5:8]
.LBB101_199:
	s_wait_alu 0xfffe
	s_or_b32 exec_lo, exec_lo, s0
	s_wait_storecnt_dscnt 0x0
	s_barrier_signal -1
	s_barrier_wait -1
	global_inv scope:SCOPE_SE
	s_clause 0x8
	scratch_load_b128 v[2:5], off, off offset:368
	scratch_load_b128 v[6:9], off, off offset:384
	scratch_load_b128 v[10:13], off, off offset:400
	scratch_load_b128 v[14:17], off, off offset:416
	scratch_load_b128 v[18:21], off, off offset:432
	scratch_load_b128 v[22:25], off, off offset:448
	scratch_load_b128 v[26:29], off, off offset:464
	scratch_load_b128 v[30:33], off, off offset:480
	scratch_load_b128 v[34:37], off, off offset:496
	ds_load_b128 v[115:118], v1 offset:960
	ds_load_b128 v[119:122], v1 offset:976
	s_clause 0x1
	scratch_load_b128 v[123:126], off, off offset:352
	scratch_load_b128 v[127:130], off, off offset:512
	s_mov_b32 s0, exec_lo
	s_wait_loadcnt_dscnt 0xa01
	v_mul_f64_e32 v[131:132], v[117:118], v[4:5]
	v_mul_f64_e32 v[4:5], v[115:116], v[4:5]
	s_wait_loadcnt_dscnt 0x900
	v_mul_f64_e32 v[135:136], v[119:120], v[8:9]
	v_mul_f64_e32 v[8:9], v[121:122], v[8:9]
	s_delay_alu instid0(VALU_DEP_4) | instskip(NEXT) | instid1(VALU_DEP_4)
	v_fma_f64 v[137:138], v[115:116], v[2:3], -v[131:132]
	v_fma_f64 v[139:140], v[117:118], v[2:3], v[4:5]
	ds_load_b128 v[2:5], v1 offset:992
	ds_load_b128 v[131:134], v1 offset:1008
	scratch_load_b128 v[115:118], off, off offset:528
	v_fma_f64 v[121:122], v[121:122], v[6:7], v[135:136]
	v_fma_f64 v[119:120], v[119:120], v[6:7], -v[8:9]
	scratch_load_b128 v[6:9], off, off offset:544
	s_wait_loadcnt_dscnt 0xa01
	v_mul_f64_e32 v[141:142], v[2:3], v[12:13]
	v_mul_f64_e32 v[12:13], v[4:5], v[12:13]
	v_add_f64_e32 v[135:136], 0, v[137:138]
	v_add_f64_e32 v[137:138], 0, v[139:140]
	s_wait_loadcnt_dscnt 0x900
	v_mul_f64_e32 v[139:140], v[131:132], v[16:17]
	v_mul_f64_e32 v[16:17], v[133:134], v[16:17]
	v_fma_f64 v[141:142], v[4:5], v[10:11], v[141:142]
	v_fma_f64 v[143:144], v[2:3], v[10:11], -v[12:13]
	ds_load_b128 v[2:5], v1 offset:1024
	scratch_load_b128 v[10:13], off, off offset:560
	v_add_f64_e32 v[135:136], v[135:136], v[119:120]
	v_add_f64_e32 v[137:138], v[137:138], v[121:122]
	ds_load_b128 v[119:122], v1 offset:1040
	v_fma_f64 v[133:134], v[133:134], v[14:15], v[139:140]
	v_fma_f64 v[131:132], v[131:132], v[14:15], -v[16:17]
	scratch_load_b128 v[14:17], off, off offset:576
	s_wait_loadcnt_dscnt 0xa01
	v_mul_f64_e32 v[145:146], v[2:3], v[20:21]
	v_mul_f64_e32 v[20:21], v[4:5], v[20:21]
	s_wait_loadcnt_dscnt 0x900
	v_mul_f64_e32 v[139:140], v[119:120], v[24:25]
	v_mul_f64_e32 v[24:25], v[121:122], v[24:25]
	v_add_f64_e32 v[135:136], v[135:136], v[143:144]
	v_add_f64_e32 v[137:138], v[137:138], v[141:142]
	v_fma_f64 v[141:142], v[4:5], v[18:19], v[145:146]
	v_fma_f64 v[143:144], v[2:3], v[18:19], -v[20:21]
	ds_load_b128 v[2:5], v1 offset:1056
	scratch_load_b128 v[18:21], off, off offset:592
	v_fma_f64 v[121:122], v[121:122], v[22:23], v[139:140]
	v_fma_f64 v[119:120], v[119:120], v[22:23], -v[24:25]
	scratch_load_b128 v[22:25], off, off offset:608
	v_add_f64_e32 v[135:136], v[135:136], v[131:132]
	v_add_f64_e32 v[137:138], v[137:138], v[133:134]
	ds_load_b128 v[131:134], v1 offset:1072
	s_wait_loadcnt_dscnt 0xa01
	v_mul_f64_e32 v[145:146], v[2:3], v[28:29]
	v_mul_f64_e32 v[28:29], v[4:5], v[28:29]
	s_wait_loadcnt_dscnt 0x900
	v_mul_f64_e32 v[139:140], v[131:132], v[32:33]
	v_mul_f64_e32 v[32:33], v[133:134], v[32:33]
	v_add_f64_e32 v[135:136], v[135:136], v[143:144]
	v_add_f64_e32 v[137:138], v[137:138], v[141:142]
	v_fma_f64 v[141:142], v[4:5], v[26:27], v[145:146]
	v_fma_f64 v[143:144], v[2:3], v[26:27], -v[28:29]
	ds_load_b128 v[2:5], v1 offset:1088
	ds_load_b128 v[26:29], v1 offset:1104
	v_fma_f64 v[133:134], v[133:134], v[30:31], v[139:140]
	v_fma_f64 v[30:31], v[131:132], v[30:31], -v[32:33]
	v_add_f64_e32 v[119:120], v[135:136], v[119:120]
	v_add_f64_e32 v[121:122], v[137:138], v[121:122]
	s_wait_loadcnt_dscnt 0x801
	v_mul_f64_e32 v[135:136], v[2:3], v[36:37]
	v_mul_f64_e32 v[36:37], v[4:5], v[36:37]
	s_delay_alu instid0(VALU_DEP_4) | instskip(NEXT) | instid1(VALU_DEP_4)
	v_add_f64_e32 v[32:33], v[119:120], v[143:144]
	v_add_f64_e32 v[119:120], v[121:122], v[141:142]
	s_wait_loadcnt_dscnt 0x600
	v_mul_f64_e32 v[121:122], v[26:27], v[129:130]
	v_mul_f64_e32 v[129:130], v[28:29], v[129:130]
	v_fma_f64 v[131:132], v[4:5], v[34:35], v[135:136]
	v_fma_f64 v[34:35], v[2:3], v[34:35], -v[36:37]
	v_add_f64_e32 v[36:37], v[32:33], v[30:31]
	v_add_f64_e32 v[119:120], v[119:120], v[133:134]
	ds_load_b128 v[2:5], v1 offset:1120
	ds_load_b128 v[30:33], v1 offset:1136
	v_fma_f64 v[28:29], v[28:29], v[127:128], v[121:122]
	v_fma_f64 v[26:27], v[26:27], v[127:128], -v[129:130]
	s_wait_loadcnt_dscnt 0x501
	v_mul_f64_e32 v[133:134], v[2:3], v[117:118]
	v_mul_f64_e32 v[117:118], v[4:5], v[117:118]
	v_add_f64_e32 v[34:35], v[36:37], v[34:35]
	v_add_f64_e32 v[36:37], v[119:120], v[131:132]
	s_wait_loadcnt_dscnt 0x400
	v_mul_f64_e32 v[119:120], v[30:31], v[8:9]
	v_mul_f64_e32 v[8:9], v[32:33], v[8:9]
	v_fma_f64 v[121:122], v[4:5], v[115:116], v[133:134]
	v_fma_f64 v[115:116], v[2:3], v[115:116], -v[117:118]
	v_add_f64_e32 v[34:35], v[34:35], v[26:27]
	v_add_f64_e32 v[36:37], v[36:37], v[28:29]
	ds_load_b128 v[2:5], v1 offset:1152
	ds_load_b128 v[26:29], v1 offset:1168
	v_fma_f64 v[32:33], v[32:33], v[6:7], v[119:120]
	v_fma_f64 v[6:7], v[30:31], v[6:7], -v[8:9]
	s_wait_loadcnt_dscnt 0x301
	v_mul_f64_e32 v[117:118], v[2:3], v[12:13]
	v_mul_f64_e32 v[12:13], v[4:5], v[12:13]
	v_add_f64_e32 v[8:9], v[34:35], v[115:116]
	v_add_f64_e32 v[30:31], v[36:37], v[121:122]
	s_wait_loadcnt_dscnt 0x200
	v_mul_f64_e32 v[34:35], v[26:27], v[16:17]
	v_mul_f64_e32 v[16:17], v[28:29], v[16:17]
	v_fma_f64 v[36:37], v[4:5], v[10:11], v[117:118]
	v_fma_f64 v[10:11], v[2:3], v[10:11], -v[12:13]
	v_add_f64_e32 v[12:13], v[8:9], v[6:7]
	v_add_f64_e32 v[30:31], v[30:31], v[32:33]
	ds_load_b128 v[2:5], v1 offset:1184
	ds_load_b128 v[6:9], v1 offset:1200
	v_fma_f64 v[28:29], v[28:29], v[14:15], v[34:35]
	v_fma_f64 v[14:15], v[26:27], v[14:15], -v[16:17]
	s_wait_loadcnt_dscnt 0x101
	v_mul_f64_e32 v[32:33], v[2:3], v[20:21]
	v_mul_f64_e32 v[20:21], v[4:5], v[20:21]
	s_wait_loadcnt_dscnt 0x0
	v_mul_f64_e32 v[16:17], v[6:7], v[24:25]
	v_mul_f64_e32 v[24:25], v[8:9], v[24:25]
	v_add_f64_e32 v[10:11], v[12:13], v[10:11]
	v_add_f64_e32 v[12:13], v[30:31], v[36:37]
	v_fma_f64 v[4:5], v[4:5], v[18:19], v[32:33]
	v_fma_f64 v[1:2], v[2:3], v[18:19], -v[20:21]
	v_fma_f64 v[8:9], v[8:9], v[22:23], v[16:17]
	v_fma_f64 v[6:7], v[6:7], v[22:23], -v[24:25]
	v_add_f64_e32 v[10:11], v[10:11], v[14:15]
	v_add_f64_e32 v[12:13], v[12:13], v[28:29]
	s_delay_alu instid0(VALU_DEP_2) | instskip(NEXT) | instid1(VALU_DEP_2)
	v_add_f64_e32 v[1:2], v[10:11], v[1:2]
	v_add_f64_e32 v[3:4], v[12:13], v[4:5]
	s_delay_alu instid0(VALU_DEP_2) | instskip(NEXT) | instid1(VALU_DEP_2)
	;; [unrolled: 3-line block ×3, first 2 shown]
	v_add_f64_e64 v[1:2], v[123:124], -v[1:2]
	v_add_f64_e64 v[3:4], v[125:126], -v[3:4]
	scratch_store_b128 off, v[1:4], off offset:352
	v_cmpx_lt_u32_e32 20, v0
	s_cbranch_execz .LBB101_201
; %bb.200:
	scratch_load_b128 v[1:4], off, s36
	v_mov_b32_e32 v5, 0
	s_delay_alu instid0(VALU_DEP_1)
	v_dual_mov_b32 v6, v5 :: v_dual_mov_b32 v7, v5
	v_mov_b32_e32 v8, v5
	scratch_store_b128 off, v[5:8], off offset:336
	s_wait_loadcnt 0x0
	ds_store_b128 v114, v[1:4]
.LBB101_201:
	s_wait_alu 0xfffe
	s_or_b32 exec_lo, exec_lo, s0
	s_wait_storecnt_dscnt 0x0
	s_barrier_signal -1
	s_barrier_wait -1
	global_inv scope:SCOPE_SE
	s_clause 0x7
	scratch_load_b128 v[2:5], off, off offset:352
	scratch_load_b128 v[6:9], off, off offset:368
	;; [unrolled: 1-line block ×8, first 2 shown]
	v_mov_b32_e32 v1, 0
	s_mov_b32 s0, exec_lo
	ds_load_b128 v[34:37], v1 offset:944
	s_clause 0x1
	scratch_load_b128 v[115:118], off, off offset:480
	scratch_load_b128 v[119:122], off, off offset:336
	ds_load_b128 v[123:126], v1 offset:960
	scratch_load_b128 v[127:130], off, off offset:496
	s_wait_loadcnt_dscnt 0xa01
	v_mul_f64_e32 v[131:132], v[36:37], v[4:5]
	v_mul_f64_e32 v[4:5], v[34:35], v[4:5]
	s_delay_alu instid0(VALU_DEP_2) | instskip(NEXT) | instid1(VALU_DEP_2)
	v_fma_f64 v[137:138], v[34:35], v[2:3], -v[131:132]
	v_fma_f64 v[139:140], v[36:37], v[2:3], v[4:5]
	ds_load_b128 v[2:5], v1 offset:976
	s_wait_loadcnt_dscnt 0x901
	v_mul_f64_e32 v[135:136], v[123:124], v[8:9]
	v_mul_f64_e32 v[8:9], v[125:126], v[8:9]
	scratch_load_b128 v[34:37], off, off offset:512
	ds_load_b128 v[131:134], v1 offset:992
	s_wait_loadcnt_dscnt 0x901
	v_mul_f64_e32 v[141:142], v[2:3], v[12:13]
	v_mul_f64_e32 v[12:13], v[4:5], v[12:13]
	v_fma_f64 v[125:126], v[125:126], v[6:7], v[135:136]
	v_fma_f64 v[123:124], v[123:124], v[6:7], -v[8:9]
	v_add_f64_e32 v[135:136], 0, v[137:138]
	v_add_f64_e32 v[137:138], 0, v[139:140]
	scratch_load_b128 v[6:9], off, off offset:528
	v_fma_f64 v[141:142], v[4:5], v[10:11], v[141:142]
	v_fma_f64 v[143:144], v[2:3], v[10:11], -v[12:13]
	ds_load_b128 v[2:5], v1 offset:1008
	s_wait_loadcnt_dscnt 0x901
	v_mul_f64_e32 v[139:140], v[131:132], v[16:17]
	v_mul_f64_e32 v[16:17], v[133:134], v[16:17]
	scratch_load_b128 v[10:13], off, off offset:544
	v_add_f64_e32 v[135:136], v[135:136], v[123:124]
	v_add_f64_e32 v[137:138], v[137:138], v[125:126]
	s_wait_loadcnt_dscnt 0x900
	v_mul_f64_e32 v[145:146], v[2:3], v[20:21]
	v_mul_f64_e32 v[20:21], v[4:5], v[20:21]
	ds_load_b128 v[123:126], v1 offset:1024
	v_fma_f64 v[133:134], v[133:134], v[14:15], v[139:140]
	v_fma_f64 v[131:132], v[131:132], v[14:15], -v[16:17]
	scratch_load_b128 v[14:17], off, off offset:560
	v_add_f64_e32 v[135:136], v[135:136], v[143:144]
	v_add_f64_e32 v[137:138], v[137:138], v[141:142]
	v_fma_f64 v[141:142], v[4:5], v[18:19], v[145:146]
	v_fma_f64 v[143:144], v[2:3], v[18:19], -v[20:21]
	ds_load_b128 v[2:5], v1 offset:1040
	s_wait_loadcnt_dscnt 0x901
	v_mul_f64_e32 v[139:140], v[123:124], v[24:25]
	v_mul_f64_e32 v[24:25], v[125:126], v[24:25]
	scratch_load_b128 v[18:21], off, off offset:576
	s_wait_loadcnt_dscnt 0x900
	v_mul_f64_e32 v[145:146], v[2:3], v[28:29]
	v_mul_f64_e32 v[28:29], v[4:5], v[28:29]
	v_add_f64_e32 v[135:136], v[135:136], v[131:132]
	v_add_f64_e32 v[137:138], v[137:138], v[133:134]
	ds_load_b128 v[131:134], v1 offset:1056
	v_fma_f64 v[125:126], v[125:126], v[22:23], v[139:140]
	v_fma_f64 v[123:124], v[123:124], v[22:23], -v[24:25]
	scratch_load_b128 v[22:25], off, off offset:592
	v_add_f64_e32 v[135:136], v[135:136], v[143:144]
	v_add_f64_e32 v[137:138], v[137:138], v[141:142]
	v_fma_f64 v[141:142], v[4:5], v[26:27], v[145:146]
	v_fma_f64 v[143:144], v[2:3], v[26:27], -v[28:29]
	ds_load_b128 v[2:5], v1 offset:1072
	s_wait_loadcnt_dscnt 0x901
	v_mul_f64_e32 v[139:140], v[131:132], v[32:33]
	v_mul_f64_e32 v[32:33], v[133:134], v[32:33]
	scratch_load_b128 v[26:29], off, off offset:608
	s_wait_loadcnt_dscnt 0x900
	v_mul_f64_e32 v[145:146], v[2:3], v[117:118]
	v_mul_f64_e32 v[117:118], v[4:5], v[117:118]
	v_add_f64_e32 v[135:136], v[135:136], v[123:124]
	v_add_f64_e32 v[137:138], v[137:138], v[125:126]
	ds_load_b128 v[123:126], v1 offset:1088
	v_fma_f64 v[133:134], v[133:134], v[30:31], v[139:140]
	v_fma_f64 v[30:31], v[131:132], v[30:31], -v[32:33]
	v_add_f64_e32 v[32:33], v[135:136], v[143:144]
	v_add_f64_e32 v[131:132], v[137:138], v[141:142]
	s_wait_loadcnt_dscnt 0x700
	v_mul_f64_e32 v[135:136], v[123:124], v[129:130]
	v_mul_f64_e32 v[129:130], v[125:126], v[129:130]
	v_fma_f64 v[137:138], v[4:5], v[115:116], v[145:146]
	v_fma_f64 v[115:116], v[2:3], v[115:116], -v[117:118]
	v_add_f64_e32 v[117:118], v[32:33], v[30:31]
	v_add_f64_e32 v[131:132], v[131:132], v[133:134]
	ds_load_b128 v[2:5], v1 offset:1104
	ds_load_b128 v[30:33], v1 offset:1120
	v_fma_f64 v[125:126], v[125:126], v[127:128], v[135:136]
	v_fma_f64 v[123:124], v[123:124], v[127:128], -v[129:130]
	s_wait_loadcnt_dscnt 0x601
	v_mul_f64_e32 v[133:134], v[2:3], v[36:37]
	v_mul_f64_e32 v[36:37], v[4:5], v[36:37]
	v_add_f64_e32 v[115:116], v[117:118], v[115:116]
	v_add_f64_e32 v[117:118], v[131:132], v[137:138]
	s_wait_loadcnt_dscnt 0x500
	v_mul_f64_e32 v[127:128], v[30:31], v[8:9]
	v_mul_f64_e32 v[8:9], v[32:33], v[8:9]
	v_fma_f64 v[129:130], v[4:5], v[34:35], v[133:134]
	v_fma_f64 v[131:132], v[2:3], v[34:35], -v[36:37]
	ds_load_b128 v[2:5], v1 offset:1136
	ds_load_b128 v[34:37], v1 offset:1152
	v_add_f64_e32 v[115:116], v[115:116], v[123:124]
	v_add_f64_e32 v[117:118], v[117:118], v[125:126]
	s_wait_loadcnt_dscnt 0x401
	v_mul_f64_e32 v[123:124], v[2:3], v[12:13]
	v_mul_f64_e32 v[12:13], v[4:5], v[12:13]
	v_fma_f64 v[32:33], v[32:33], v[6:7], v[127:128]
	v_fma_f64 v[6:7], v[30:31], v[6:7], -v[8:9]
	v_add_f64_e32 v[8:9], v[115:116], v[131:132]
	v_add_f64_e32 v[30:31], v[117:118], v[129:130]
	s_wait_loadcnt_dscnt 0x300
	v_mul_f64_e32 v[115:116], v[34:35], v[16:17]
	v_mul_f64_e32 v[16:17], v[36:37], v[16:17]
	v_fma_f64 v[117:118], v[4:5], v[10:11], v[123:124]
	v_fma_f64 v[10:11], v[2:3], v[10:11], -v[12:13]
	v_add_f64_e32 v[12:13], v[8:9], v[6:7]
	v_add_f64_e32 v[30:31], v[30:31], v[32:33]
	ds_load_b128 v[2:5], v1 offset:1168
	ds_load_b128 v[6:9], v1 offset:1184
	v_fma_f64 v[36:37], v[36:37], v[14:15], v[115:116]
	v_fma_f64 v[14:15], v[34:35], v[14:15], -v[16:17]
	s_wait_loadcnt_dscnt 0x201
	v_mul_f64_e32 v[32:33], v[2:3], v[20:21]
	v_mul_f64_e32 v[20:21], v[4:5], v[20:21]
	s_wait_loadcnt_dscnt 0x100
	v_mul_f64_e32 v[16:17], v[6:7], v[24:25]
	v_mul_f64_e32 v[24:25], v[8:9], v[24:25]
	v_add_f64_e32 v[10:11], v[12:13], v[10:11]
	v_add_f64_e32 v[12:13], v[30:31], v[117:118]
	v_fma_f64 v[30:31], v[4:5], v[18:19], v[32:33]
	v_fma_f64 v[18:19], v[2:3], v[18:19], -v[20:21]
	ds_load_b128 v[2:5], v1 offset:1200
	v_fma_f64 v[8:9], v[8:9], v[22:23], v[16:17]
	v_fma_f64 v[6:7], v[6:7], v[22:23], -v[24:25]
	v_add_f64_e32 v[10:11], v[10:11], v[14:15]
	v_add_f64_e32 v[12:13], v[12:13], v[36:37]
	s_wait_loadcnt_dscnt 0x0
	v_mul_f64_e32 v[14:15], v[2:3], v[28:29]
	v_mul_f64_e32 v[20:21], v[4:5], v[28:29]
	s_delay_alu instid0(VALU_DEP_4) | instskip(NEXT) | instid1(VALU_DEP_4)
	v_add_f64_e32 v[10:11], v[10:11], v[18:19]
	v_add_f64_e32 v[12:13], v[12:13], v[30:31]
	s_delay_alu instid0(VALU_DEP_4) | instskip(NEXT) | instid1(VALU_DEP_4)
	v_fma_f64 v[4:5], v[4:5], v[26:27], v[14:15]
	v_fma_f64 v[2:3], v[2:3], v[26:27], -v[20:21]
	s_delay_alu instid0(VALU_DEP_4) | instskip(NEXT) | instid1(VALU_DEP_4)
	v_add_f64_e32 v[6:7], v[10:11], v[6:7]
	v_add_f64_e32 v[8:9], v[12:13], v[8:9]
	s_delay_alu instid0(VALU_DEP_2) | instskip(NEXT) | instid1(VALU_DEP_2)
	v_add_f64_e32 v[2:3], v[6:7], v[2:3]
	v_add_f64_e32 v[4:5], v[8:9], v[4:5]
	s_delay_alu instid0(VALU_DEP_2) | instskip(NEXT) | instid1(VALU_DEP_2)
	v_add_f64_e64 v[2:3], v[119:120], -v[2:3]
	v_add_f64_e64 v[4:5], v[121:122], -v[4:5]
	scratch_store_b128 off, v[2:5], off offset:336
	v_cmpx_lt_u32_e32 19, v0
	s_cbranch_execz .LBB101_203
; %bb.202:
	scratch_load_b128 v[5:8], off, s16
	v_dual_mov_b32 v2, v1 :: v_dual_mov_b32 v3, v1
	v_mov_b32_e32 v4, v1
	scratch_store_b128 off, v[1:4], off offset:320
	s_wait_loadcnt 0x0
	ds_store_b128 v114, v[5:8]
.LBB101_203:
	s_wait_alu 0xfffe
	s_or_b32 exec_lo, exec_lo, s0
	s_wait_storecnt_dscnt 0x0
	s_barrier_signal -1
	s_barrier_wait -1
	global_inv scope:SCOPE_SE
	s_clause 0x8
	scratch_load_b128 v[2:5], off, off offset:336
	scratch_load_b128 v[6:9], off, off offset:352
	;; [unrolled: 1-line block ×9, first 2 shown]
	ds_load_b128 v[115:118], v1 offset:928
	ds_load_b128 v[119:122], v1 offset:944
	s_clause 0x1
	scratch_load_b128 v[123:126], off, off offset:320
	scratch_load_b128 v[127:130], off, off offset:480
	s_mov_b32 s0, exec_lo
	s_wait_loadcnt_dscnt 0xa01
	v_mul_f64_e32 v[131:132], v[117:118], v[4:5]
	v_mul_f64_e32 v[4:5], v[115:116], v[4:5]
	s_wait_loadcnt_dscnt 0x900
	v_mul_f64_e32 v[135:136], v[119:120], v[8:9]
	v_mul_f64_e32 v[8:9], v[121:122], v[8:9]
	s_delay_alu instid0(VALU_DEP_4) | instskip(NEXT) | instid1(VALU_DEP_4)
	v_fma_f64 v[137:138], v[115:116], v[2:3], -v[131:132]
	v_fma_f64 v[139:140], v[117:118], v[2:3], v[4:5]
	ds_load_b128 v[2:5], v1 offset:960
	ds_load_b128 v[131:134], v1 offset:976
	scratch_load_b128 v[115:118], off, off offset:496
	v_fma_f64 v[121:122], v[121:122], v[6:7], v[135:136]
	v_fma_f64 v[119:120], v[119:120], v[6:7], -v[8:9]
	scratch_load_b128 v[6:9], off, off offset:512
	s_wait_loadcnt_dscnt 0xa01
	v_mul_f64_e32 v[141:142], v[2:3], v[12:13]
	v_mul_f64_e32 v[12:13], v[4:5], v[12:13]
	v_add_f64_e32 v[135:136], 0, v[137:138]
	v_add_f64_e32 v[137:138], 0, v[139:140]
	s_wait_loadcnt_dscnt 0x900
	v_mul_f64_e32 v[139:140], v[131:132], v[16:17]
	v_mul_f64_e32 v[16:17], v[133:134], v[16:17]
	v_fma_f64 v[141:142], v[4:5], v[10:11], v[141:142]
	v_fma_f64 v[143:144], v[2:3], v[10:11], -v[12:13]
	ds_load_b128 v[2:5], v1 offset:992
	scratch_load_b128 v[10:13], off, off offset:528
	v_add_f64_e32 v[135:136], v[135:136], v[119:120]
	v_add_f64_e32 v[137:138], v[137:138], v[121:122]
	ds_load_b128 v[119:122], v1 offset:1008
	v_fma_f64 v[133:134], v[133:134], v[14:15], v[139:140]
	v_fma_f64 v[131:132], v[131:132], v[14:15], -v[16:17]
	scratch_load_b128 v[14:17], off, off offset:544
	s_wait_loadcnt_dscnt 0xa01
	v_mul_f64_e32 v[145:146], v[2:3], v[20:21]
	v_mul_f64_e32 v[20:21], v[4:5], v[20:21]
	s_wait_loadcnt_dscnt 0x900
	v_mul_f64_e32 v[139:140], v[119:120], v[24:25]
	v_mul_f64_e32 v[24:25], v[121:122], v[24:25]
	v_add_f64_e32 v[135:136], v[135:136], v[143:144]
	v_add_f64_e32 v[137:138], v[137:138], v[141:142]
	v_fma_f64 v[141:142], v[4:5], v[18:19], v[145:146]
	v_fma_f64 v[143:144], v[2:3], v[18:19], -v[20:21]
	ds_load_b128 v[2:5], v1 offset:1024
	scratch_load_b128 v[18:21], off, off offset:560
	v_fma_f64 v[121:122], v[121:122], v[22:23], v[139:140]
	v_fma_f64 v[119:120], v[119:120], v[22:23], -v[24:25]
	scratch_load_b128 v[22:25], off, off offset:576
	v_add_f64_e32 v[135:136], v[135:136], v[131:132]
	v_add_f64_e32 v[137:138], v[137:138], v[133:134]
	ds_load_b128 v[131:134], v1 offset:1040
	s_wait_loadcnt_dscnt 0xa01
	v_mul_f64_e32 v[145:146], v[2:3], v[28:29]
	v_mul_f64_e32 v[28:29], v[4:5], v[28:29]
	s_wait_loadcnt_dscnt 0x900
	v_mul_f64_e32 v[139:140], v[131:132], v[32:33]
	v_mul_f64_e32 v[32:33], v[133:134], v[32:33]
	v_add_f64_e32 v[135:136], v[135:136], v[143:144]
	v_add_f64_e32 v[137:138], v[137:138], v[141:142]
	v_fma_f64 v[141:142], v[4:5], v[26:27], v[145:146]
	v_fma_f64 v[143:144], v[2:3], v[26:27], -v[28:29]
	ds_load_b128 v[2:5], v1 offset:1056
	scratch_load_b128 v[26:29], off, off offset:592
	v_fma_f64 v[133:134], v[133:134], v[30:31], v[139:140]
	v_fma_f64 v[131:132], v[131:132], v[30:31], -v[32:33]
	scratch_load_b128 v[30:33], off, off offset:608
	v_add_f64_e32 v[135:136], v[135:136], v[119:120]
	v_add_f64_e32 v[137:138], v[137:138], v[121:122]
	ds_load_b128 v[119:122], v1 offset:1072
	s_wait_loadcnt_dscnt 0xa01
	v_mul_f64_e32 v[145:146], v[2:3], v[36:37]
	v_mul_f64_e32 v[36:37], v[4:5], v[36:37]
	s_wait_loadcnt_dscnt 0x800
	v_mul_f64_e32 v[139:140], v[119:120], v[129:130]
	v_mul_f64_e32 v[129:130], v[121:122], v[129:130]
	v_add_f64_e32 v[135:136], v[135:136], v[143:144]
	v_add_f64_e32 v[137:138], v[137:138], v[141:142]
	v_fma_f64 v[141:142], v[4:5], v[34:35], v[145:146]
	v_fma_f64 v[143:144], v[2:3], v[34:35], -v[36:37]
	ds_load_b128 v[2:5], v1 offset:1088
	ds_load_b128 v[34:37], v1 offset:1104
	v_fma_f64 v[121:122], v[121:122], v[127:128], v[139:140]
	v_fma_f64 v[119:120], v[119:120], v[127:128], -v[129:130]
	v_add_f64_e32 v[131:132], v[135:136], v[131:132]
	v_add_f64_e32 v[133:134], v[137:138], v[133:134]
	s_wait_loadcnt_dscnt 0x701
	v_mul_f64_e32 v[135:136], v[2:3], v[117:118]
	v_mul_f64_e32 v[117:118], v[4:5], v[117:118]
	s_delay_alu instid0(VALU_DEP_4) | instskip(NEXT) | instid1(VALU_DEP_4)
	v_add_f64_e32 v[127:128], v[131:132], v[143:144]
	v_add_f64_e32 v[129:130], v[133:134], v[141:142]
	s_wait_loadcnt_dscnt 0x600
	v_mul_f64_e32 v[131:132], v[34:35], v[8:9]
	v_mul_f64_e32 v[8:9], v[36:37], v[8:9]
	v_fma_f64 v[133:134], v[4:5], v[115:116], v[135:136]
	v_fma_f64 v[135:136], v[2:3], v[115:116], -v[117:118]
	ds_load_b128 v[2:5], v1 offset:1120
	ds_load_b128 v[115:118], v1 offset:1136
	v_add_f64_e32 v[119:120], v[127:128], v[119:120]
	v_add_f64_e32 v[121:122], v[129:130], v[121:122]
	v_fma_f64 v[36:37], v[36:37], v[6:7], v[131:132]
	s_wait_loadcnt_dscnt 0x501
	v_mul_f64_e32 v[127:128], v[2:3], v[12:13]
	v_mul_f64_e32 v[12:13], v[4:5], v[12:13]
	v_fma_f64 v[6:7], v[34:35], v[6:7], -v[8:9]
	v_add_f64_e32 v[8:9], v[119:120], v[135:136]
	v_add_f64_e32 v[34:35], v[121:122], v[133:134]
	s_wait_loadcnt_dscnt 0x400
	v_mul_f64_e32 v[119:120], v[115:116], v[16:17]
	v_mul_f64_e32 v[16:17], v[117:118], v[16:17]
	v_fma_f64 v[121:122], v[4:5], v[10:11], v[127:128]
	v_fma_f64 v[10:11], v[2:3], v[10:11], -v[12:13]
	v_add_f64_e32 v[12:13], v[8:9], v[6:7]
	v_add_f64_e32 v[34:35], v[34:35], v[36:37]
	ds_load_b128 v[2:5], v1 offset:1152
	ds_load_b128 v[6:9], v1 offset:1168
	v_fma_f64 v[117:118], v[117:118], v[14:15], v[119:120]
	v_fma_f64 v[14:15], v[115:116], v[14:15], -v[16:17]
	s_wait_loadcnt_dscnt 0x301
	v_mul_f64_e32 v[36:37], v[2:3], v[20:21]
	v_mul_f64_e32 v[20:21], v[4:5], v[20:21]
	s_wait_loadcnt_dscnt 0x200
	v_mul_f64_e32 v[16:17], v[6:7], v[24:25]
	v_mul_f64_e32 v[24:25], v[8:9], v[24:25]
	v_add_f64_e32 v[10:11], v[12:13], v[10:11]
	v_add_f64_e32 v[12:13], v[34:35], v[121:122]
	v_fma_f64 v[34:35], v[4:5], v[18:19], v[36:37]
	v_fma_f64 v[18:19], v[2:3], v[18:19], -v[20:21]
	v_fma_f64 v[8:9], v[8:9], v[22:23], v[16:17]
	v_fma_f64 v[6:7], v[6:7], v[22:23], -v[24:25]
	v_add_f64_e32 v[14:15], v[10:11], v[14:15]
	v_add_f64_e32 v[20:21], v[12:13], v[117:118]
	ds_load_b128 v[2:5], v1 offset:1184
	ds_load_b128 v[10:13], v1 offset:1200
	s_wait_loadcnt_dscnt 0x101
	v_mul_f64_e32 v[36:37], v[2:3], v[28:29]
	v_mul_f64_e32 v[28:29], v[4:5], v[28:29]
	v_add_f64_e32 v[14:15], v[14:15], v[18:19]
	v_add_f64_e32 v[16:17], v[20:21], v[34:35]
	s_wait_loadcnt_dscnt 0x0
	v_mul_f64_e32 v[18:19], v[10:11], v[32:33]
	v_mul_f64_e32 v[20:21], v[12:13], v[32:33]
	v_fma_f64 v[4:5], v[4:5], v[26:27], v[36:37]
	v_fma_f64 v[1:2], v[2:3], v[26:27], -v[28:29]
	v_add_f64_e32 v[6:7], v[14:15], v[6:7]
	v_add_f64_e32 v[8:9], v[16:17], v[8:9]
	v_fma_f64 v[12:13], v[12:13], v[30:31], v[18:19]
	v_fma_f64 v[10:11], v[10:11], v[30:31], -v[20:21]
	s_delay_alu instid0(VALU_DEP_4) | instskip(NEXT) | instid1(VALU_DEP_4)
	v_add_f64_e32 v[1:2], v[6:7], v[1:2]
	v_add_f64_e32 v[3:4], v[8:9], v[4:5]
	s_delay_alu instid0(VALU_DEP_2) | instskip(NEXT) | instid1(VALU_DEP_2)
	v_add_f64_e32 v[1:2], v[1:2], v[10:11]
	v_add_f64_e32 v[3:4], v[3:4], v[12:13]
	s_delay_alu instid0(VALU_DEP_2) | instskip(NEXT) | instid1(VALU_DEP_2)
	v_add_f64_e64 v[1:2], v[123:124], -v[1:2]
	v_add_f64_e64 v[3:4], v[125:126], -v[3:4]
	scratch_store_b128 off, v[1:4], off offset:320
	v_cmpx_lt_u32_e32 18, v0
	s_cbranch_execz .LBB101_205
; %bb.204:
	scratch_load_b128 v[1:4], off, s35
	v_mov_b32_e32 v5, 0
	s_delay_alu instid0(VALU_DEP_1)
	v_dual_mov_b32 v6, v5 :: v_dual_mov_b32 v7, v5
	v_mov_b32_e32 v8, v5
	scratch_store_b128 off, v[5:8], off offset:304
	s_wait_loadcnt 0x0
	ds_store_b128 v114, v[1:4]
.LBB101_205:
	s_wait_alu 0xfffe
	s_or_b32 exec_lo, exec_lo, s0
	s_wait_storecnt_dscnt 0x0
	s_barrier_signal -1
	s_barrier_wait -1
	global_inv scope:SCOPE_SE
	s_clause 0x7
	scratch_load_b128 v[2:5], off, off offset:320
	scratch_load_b128 v[6:9], off, off offset:336
	;; [unrolled: 1-line block ×8, first 2 shown]
	v_mov_b32_e32 v1, 0
	s_mov_b32 s0, exec_lo
	ds_load_b128 v[34:37], v1 offset:912
	s_clause 0x1
	scratch_load_b128 v[115:118], off, off offset:448
	scratch_load_b128 v[119:122], off, off offset:304
	ds_load_b128 v[123:126], v1 offset:928
	scratch_load_b128 v[127:130], off, off offset:464
	s_wait_loadcnt_dscnt 0xa01
	v_mul_f64_e32 v[131:132], v[36:37], v[4:5]
	v_mul_f64_e32 v[4:5], v[34:35], v[4:5]
	s_delay_alu instid0(VALU_DEP_2) | instskip(NEXT) | instid1(VALU_DEP_2)
	v_fma_f64 v[137:138], v[34:35], v[2:3], -v[131:132]
	v_fma_f64 v[139:140], v[36:37], v[2:3], v[4:5]
	ds_load_b128 v[2:5], v1 offset:944
	s_wait_loadcnt_dscnt 0x901
	v_mul_f64_e32 v[135:136], v[123:124], v[8:9]
	v_mul_f64_e32 v[8:9], v[125:126], v[8:9]
	scratch_load_b128 v[34:37], off, off offset:480
	ds_load_b128 v[131:134], v1 offset:960
	s_wait_loadcnt_dscnt 0x901
	v_mul_f64_e32 v[141:142], v[2:3], v[12:13]
	v_mul_f64_e32 v[12:13], v[4:5], v[12:13]
	v_fma_f64 v[125:126], v[125:126], v[6:7], v[135:136]
	v_fma_f64 v[123:124], v[123:124], v[6:7], -v[8:9]
	v_add_f64_e32 v[135:136], 0, v[137:138]
	v_add_f64_e32 v[137:138], 0, v[139:140]
	scratch_load_b128 v[6:9], off, off offset:496
	v_fma_f64 v[141:142], v[4:5], v[10:11], v[141:142]
	v_fma_f64 v[143:144], v[2:3], v[10:11], -v[12:13]
	ds_load_b128 v[2:5], v1 offset:976
	s_wait_loadcnt_dscnt 0x901
	v_mul_f64_e32 v[139:140], v[131:132], v[16:17]
	v_mul_f64_e32 v[16:17], v[133:134], v[16:17]
	scratch_load_b128 v[10:13], off, off offset:512
	v_add_f64_e32 v[135:136], v[135:136], v[123:124]
	v_add_f64_e32 v[137:138], v[137:138], v[125:126]
	s_wait_loadcnt_dscnt 0x900
	v_mul_f64_e32 v[145:146], v[2:3], v[20:21]
	v_mul_f64_e32 v[20:21], v[4:5], v[20:21]
	ds_load_b128 v[123:126], v1 offset:992
	v_fma_f64 v[133:134], v[133:134], v[14:15], v[139:140]
	v_fma_f64 v[131:132], v[131:132], v[14:15], -v[16:17]
	scratch_load_b128 v[14:17], off, off offset:528
	v_add_f64_e32 v[135:136], v[135:136], v[143:144]
	v_add_f64_e32 v[137:138], v[137:138], v[141:142]
	v_fma_f64 v[141:142], v[4:5], v[18:19], v[145:146]
	v_fma_f64 v[143:144], v[2:3], v[18:19], -v[20:21]
	ds_load_b128 v[2:5], v1 offset:1008
	s_wait_loadcnt_dscnt 0x901
	v_mul_f64_e32 v[139:140], v[123:124], v[24:25]
	v_mul_f64_e32 v[24:25], v[125:126], v[24:25]
	scratch_load_b128 v[18:21], off, off offset:544
	s_wait_loadcnt_dscnt 0x900
	v_mul_f64_e32 v[145:146], v[2:3], v[28:29]
	v_mul_f64_e32 v[28:29], v[4:5], v[28:29]
	v_add_f64_e32 v[135:136], v[135:136], v[131:132]
	v_add_f64_e32 v[137:138], v[137:138], v[133:134]
	ds_load_b128 v[131:134], v1 offset:1024
	v_fma_f64 v[125:126], v[125:126], v[22:23], v[139:140]
	v_fma_f64 v[123:124], v[123:124], v[22:23], -v[24:25]
	scratch_load_b128 v[22:25], off, off offset:560
	v_add_f64_e32 v[135:136], v[135:136], v[143:144]
	v_add_f64_e32 v[137:138], v[137:138], v[141:142]
	v_fma_f64 v[141:142], v[4:5], v[26:27], v[145:146]
	v_fma_f64 v[143:144], v[2:3], v[26:27], -v[28:29]
	ds_load_b128 v[2:5], v1 offset:1040
	s_wait_loadcnt_dscnt 0x901
	v_mul_f64_e32 v[139:140], v[131:132], v[32:33]
	v_mul_f64_e32 v[32:33], v[133:134], v[32:33]
	scratch_load_b128 v[26:29], off, off offset:576
	s_wait_loadcnt_dscnt 0x900
	v_mul_f64_e32 v[145:146], v[2:3], v[117:118]
	v_mul_f64_e32 v[117:118], v[4:5], v[117:118]
	v_add_f64_e32 v[135:136], v[135:136], v[123:124]
	v_add_f64_e32 v[137:138], v[137:138], v[125:126]
	ds_load_b128 v[123:126], v1 offset:1056
	v_fma_f64 v[133:134], v[133:134], v[30:31], v[139:140]
	v_fma_f64 v[131:132], v[131:132], v[30:31], -v[32:33]
	scratch_load_b128 v[30:33], off, off offset:592
	v_add_f64_e32 v[135:136], v[135:136], v[143:144]
	v_add_f64_e32 v[137:138], v[137:138], v[141:142]
	v_fma_f64 v[143:144], v[4:5], v[115:116], v[145:146]
	v_fma_f64 v[145:146], v[2:3], v[115:116], -v[117:118]
	ds_load_b128 v[2:5], v1 offset:1072
	s_wait_loadcnt_dscnt 0x801
	v_mul_f64_e32 v[139:140], v[123:124], v[129:130]
	v_mul_f64_e32 v[141:142], v[125:126], v[129:130]
	scratch_load_b128 v[115:118], off, off offset:608
	v_add_f64_e32 v[135:136], v[135:136], v[131:132]
	v_add_f64_e32 v[133:134], v[137:138], v[133:134]
	ds_load_b128 v[129:132], v1 offset:1088
	v_fma_f64 v[125:126], v[125:126], v[127:128], v[139:140]
	v_fma_f64 v[123:124], v[123:124], v[127:128], -v[141:142]
	s_wait_loadcnt_dscnt 0x801
	v_mul_f64_e32 v[137:138], v[2:3], v[36:37]
	v_mul_f64_e32 v[36:37], v[4:5], v[36:37]
	v_add_f64_e32 v[127:128], v[135:136], v[145:146]
	v_add_f64_e32 v[133:134], v[133:134], v[143:144]
	s_delay_alu instid0(VALU_DEP_4) | instskip(NEXT) | instid1(VALU_DEP_4)
	v_fma_f64 v[137:138], v[4:5], v[34:35], v[137:138]
	v_fma_f64 v[139:140], v[2:3], v[34:35], -v[36:37]
	s_wait_loadcnt_dscnt 0x700
	v_mul_f64_e32 v[135:136], v[129:130], v[8:9]
	v_mul_f64_e32 v[8:9], v[131:132], v[8:9]
	ds_load_b128 v[2:5], v1 offset:1104
	ds_load_b128 v[34:37], v1 offset:1120
	v_add_f64_e32 v[123:124], v[127:128], v[123:124]
	v_add_f64_e32 v[125:126], v[133:134], v[125:126]
	s_wait_loadcnt_dscnt 0x601
	v_mul_f64_e32 v[127:128], v[2:3], v[12:13]
	v_mul_f64_e32 v[12:13], v[4:5], v[12:13]
	v_fma_f64 v[131:132], v[131:132], v[6:7], v[135:136]
	v_fma_f64 v[6:7], v[129:130], v[6:7], -v[8:9]
	v_add_f64_e32 v[8:9], v[123:124], v[139:140]
	v_add_f64_e32 v[123:124], v[125:126], v[137:138]
	s_wait_loadcnt_dscnt 0x500
	v_mul_f64_e32 v[125:126], v[34:35], v[16:17]
	v_mul_f64_e32 v[16:17], v[36:37], v[16:17]
	v_fma_f64 v[127:128], v[4:5], v[10:11], v[127:128]
	v_fma_f64 v[10:11], v[2:3], v[10:11], -v[12:13]
	v_add_f64_e32 v[12:13], v[8:9], v[6:7]
	v_add_f64_e32 v[123:124], v[123:124], v[131:132]
	ds_load_b128 v[2:5], v1 offset:1136
	ds_load_b128 v[6:9], v1 offset:1152
	v_fma_f64 v[36:37], v[36:37], v[14:15], v[125:126]
	v_fma_f64 v[14:15], v[34:35], v[14:15], -v[16:17]
	s_wait_loadcnt_dscnt 0x401
	v_mul_f64_e32 v[129:130], v[2:3], v[20:21]
	v_mul_f64_e32 v[20:21], v[4:5], v[20:21]
	s_wait_loadcnt_dscnt 0x300
	v_mul_f64_e32 v[16:17], v[6:7], v[24:25]
	v_mul_f64_e32 v[24:25], v[8:9], v[24:25]
	v_add_f64_e32 v[10:11], v[12:13], v[10:11]
	v_add_f64_e32 v[12:13], v[123:124], v[127:128]
	v_fma_f64 v[34:35], v[4:5], v[18:19], v[129:130]
	v_fma_f64 v[18:19], v[2:3], v[18:19], -v[20:21]
	v_fma_f64 v[8:9], v[8:9], v[22:23], v[16:17]
	v_fma_f64 v[6:7], v[6:7], v[22:23], -v[24:25]
	v_add_f64_e32 v[14:15], v[10:11], v[14:15]
	v_add_f64_e32 v[20:21], v[12:13], v[36:37]
	ds_load_b128 v[2:5], v1 offset:1168
	ds_load_b128 v[10:13], v1 offset:1184
	s_wait_loadcnt_dscnt 0x201
	v_mul_f64_e32 v[36:37], v[2:3], v[28:29]
	v_mul_f64_e32 v[28:29], v[4:5], v[28:29]
	v_add_f64_e32 v[14:15], v[14:15], v[18:19]
	v_add_f64_e32 v[16:17], v[20:21], v[34:35]
	s_wait_loadcnt_dscnt 0x100
	v_mul_f64_e32 v[18:19], v[10:11], v[32:33]
	v_mul_f64_e32 v[20:21], v[12:13], v[32:33]
	v_fma_f64 v[22:23], v[4:5], v[26:27], v[36:37]
	v_fma_f64 v[24:25], v[2:3], v[26:27], -v[28:29]
	ds_load_b128 v[2:5], v1 offset:1200
	v_add_f64_e32 v[6:7], v[14:15], v[6:7]
	v_add_f64_e32 v[8:9], v[16:17], v[8:9]
	v_fma_f64 v[12:13], v[12:13], v[30:31], v[18:19]
	v_fma_f64 v[10:11], v[10:11], v[30:31], -v[20:21]
	s_wait_loadcnt_dscnt 0x0
	v_mul_f64_e32 v[14:15], v[2:3], v[117:118]
	v_mul_f64_e32 v[16:17], v[4:5], v[117:118]
	v_add_f64_e32 v[6:7], v[6:7], v[24:25]
	v_add_f64_e32 v[8:9], v[8:9], v[22:23]
	s_delay_alu instid0(VALU_DEP_4) | instskip(NEXT) | instid1(VALU_DEP_4)
	v_fma_f64 v[4:5], v[4:5], v[115:116], v[14:15]
	v_fma_f64 v[2:3], v[2:3], v[115:116], -v[16:17]
	s_delay_alu instid0(VALU_DEP_4) | instskip(NEXT) | instid1(VALU_DEP_4)
	v_add_f64_e32 v[6:7], v[6:7], v[10:11]
	v_add_f64_e32 v[8:9], v[8:9], v[12:13]
	s_delay_alu instid0(VALU_DEP_2) | instskip(NEXT) | instid1(VALU_DEP_2)
	v_add_f64_e32 v[2:3], v[6:7], v[2:3]
	v_add_f64_e32 v[4:5], v[8:9], v[4:5]
	s_delay_alu instid0(VALU_DEP_2) | instskip(NEXT) | instid1(VALU_DEP_2)
	v_add_f64_e64 v[2:3], v[119:120], -v[2:3]
	v_add_f64_e64 v[4:5], v[121:122], -v[4:5]
	scratch_store_b128 off, v[2:5], off offset:304
	v_cmpx_lt_u32_e32 17, v0
	s_cbranch_execz .LBB101_207
; %bb.206:
	scratch_load_b128 v[5:8], off, s15
	v_dual_mov_b32 v2, v1 :: v_dual_mov_b32 v3, v1
	v_mov_b32_e32 v4, v1
	scratch_store_b128 off, v[1:4], off offset:288
	s_wait_loadcnt 0x0
	ds_store_b128 v114, v[5:8]
.LBB101_207:
	s_wait_alu 0xfffe
	s_or_b32 exec_lo, exec_lo, s0
	s_wait_storecnt_dscnt 0x0
	s_barrier_signal -1
	s_barrier_wait -1
	global_inv scope:SCOPE_SE
	s_clause 0x8
	scratch_load_b128 v[2:5], off, off offset:304
	scratch_load_b128 v[6:9], off, off offset:320
	;; [unrolled: 1-line block ×9, first 2 shown]
	ds_load_b128 v[115:118], v1 offset:896
	ds_load_b128 v[119:122], v1 offset:912
	s_clause 0x1
	scratch_load_b128 v[123:126], off, off offset:288
	scratch_load_b128 v[127:130], off, off offset:448
	s_mov_b32 s0, exec_lo
	s_wait_loadcnt_dscnt 0xa01
	v_mul_f64_e32 v[131:132], v[117:118], v[4:5]
	v_mul_f64_e32 v[4:5], v[115:116], v[4:5]
	s_wait_loadcnt_dscnt 0x900
	v_mul_f64_e32 v[135:136], v[119:120], v[8:9]
	v_mul_f64_e32 v[8:9], v[121:122], v[8:9]
	s_delay_alu instid0(VALU_DEP_4) | instskip(NEXT) | instid1(VALU_DEP_4)
	v_fma_f64 v[137:138], v[115:116], v[2:3], -v[131:132]
	v_fma_f64 v[139:140], v[117:118], v[2:3], v[4:5]
	ds_load_b128 v[2:5], v1 offset:928
	ds_load_b128 v[131:134], v1 offset:944
	scratch_load_b128 v[115:118], off, off offset:464
	v_fma_f64 v[121:122], v[121:122], v[6:7], v[135:136]
	v_fma_f64 v[119:120], v[119:120], v[6:7], -v[8:9]
	scratch_load_b128 v[6:9], off, off offset:480
	s_wait_loadcnt_dscnt 0xa01
	v_mul_f64_e32 v[141:142], v[2:3], v[12:13]
	v_mul_f64_e32 v[12:13], v[4:5], v[12:13]
	v_add_f64_e32 v[135:136], 0, v[137:138]
	v_add_f64_e32 v[137:138], 0, v[139:140]
	s_wait_loadcnt_dscnt 0x900
	v_mul_f64_e32 v[139:140], v[131:132], v[16:17]
	v_mul_f64_e32 v[16:17], v[133:134], v[16:17]
	v_fma_f64 v[141:142], v[4:5], v[10:11], v[141:142]
	v_fma_f64 v[143:144], v[2:3], v[10:11], -v[12:13]
	ds_load_b128 v[2:5], v1 offset:960
	scratch_load_b128 v[10:13], off, off offset:496
	v_add_f64_e32 v[135:136], v[135:136], v[119:120]
	v_add_f64_e32 v[137:138], v[137:138], v[121:122]
	ds_load_b128 v[119:122], v1 offset:976
	v_fma_f64 v[133:134], v[133:134], v[14:15], v[139:140]
	v_fma_f64 v[131:132], v[131:132], v[14:15], -v[16:17]
	scratch_load_b128 v[14:17], off, off offset:512
	s_wait_loadcnt_dscnt 0xa01
	v_mul_f64_e32 v[145:146], v[2:3], v[20:21]
	v_mul_f64_e32 v[20:21], v[4:5], v[20:21]
	s_wait_loadcnt_dscnt 0x900
	v_mul_f64_e32 v[139:140], v[119:120], v[24:25]
	v_mul_f64_e32 v[24:25], v[121:122], v[24:25]
	v_add_f64_e32 v[135:136], v[135:136], v[143:144]
	v_add_f64_e32 v[137:138], v[137:138], v[141:142]
	v_fma_f64 v[141:142], v[4:5], v[18:19], v[145:146]
	v_fma_f64 v[143:144], v[2:3], v[18:19], -v[20:21]
	ds_load_b128 v[2:5], v1 offset:992
	scratch_load_b128 v[18:21], off, off offset:528
	v_fma_f64 v[121:122], v[121:122], v[22:23], v[139:140]
	v_fma_f64 v[119:120], v[119:120], v[22:23], -v[24:25]
	scratch_load_b128 v[22:25], off, off offset:544
	v_add_f64_e32 v[135:136], v[135:136], v[131:132]
	v_add_f64_e32 v[137:138], v[137:138], v[133:134]
	ds_load_b128 v[131:134], v1 offset:1008
	s_wait_loadcnt_dscnt 0xa01
	v_mul_f64_e32 v[145:146], v[2:3], v[28:29]
	v_mul_f64_e32 v[28:29], v[4:5], v[28:29]
	s_wait_loadcnt_dscnt 0x900
	v_mul_f64_e32 v[139:140], v[131:132], v[32:33]
	v_mul_f64_e32 v[32:33], v[133:134], v[32:33]
	v_add_f64_e32 v[135:136], v[135:136], v[143:144]
	v_add_f64_e32 v[137:138], v[137:138], v[141:142]
	v_fma_f64 v[141:142], v[4:5], v[26:27], v[145:146]
	v_fma_f64 v[143:144], v[2:3], v[26:27], -v[28:29]
	ds_load_b128 v[2:5], v1 offset:1024
	scratch_load_b128 v[26:29], off, off offset:560
	v_fma_f64 v[133:134], v[133:134], v[30:31], v[139:140]
	v_fma_f64 v[131:132], v[131:132], v[30:31], -v[32:33]
	scratch_load_b128 v[30:33], off, off offset:576
	v_add_f64_e32 v[135:136], v[135:136], v[119:120]
	v_add_f64_e32 v[137:138], v[137:138], v[121:122]
	ds_load_b128 v[119:122], v1 offset:1040
	s_wait_loadcnt_dscnt 0xa01
	v_mul_f64_e32 v[145:146], v[2:3], v[36:37]
	v_mul_f64_e32 v[36:37], v[4:5], v[36:37]
	s_wait_loadcnt_dscnt 0x800
	v_mul_f64_e32 v[139:140], v[119:120], v[129:130]
	v_add_f64_e32 v[135:136], v[135:136], v[143:144]
	v_add_f64_e32 v[137:138], v[137:138], v[141:142]
	v_mul_f64_e32 v[141:142], v[121:122], v[129:130]
	v_fma_f64 v[143:144], v[4:5], v[34:35], v[145:146]
	v_fma_f64 v[145:146], v[2:3], v[34:35], -v[36:37]
	ds_load_b128 v[2:5], v1 offset:1056
	scratch_load_b128 v[34:37], off, off offset:592
	v_fma_f64 v[121:122], v[121:122], v[127:128], v[139:140]
	v_add_f64_e32 v[135:136], v[135:136], v[131:132]
	v_add_f64_e32 v[133:134], v[137:138], v[133:134]
	ds_load_b128 v[129:132], v1 offset:1072
	v_fma_f64 v[127:128], v[119:120], v[127:128], -v[141:142]
	s_wait_loadcnt_dscnt 0x801
	v_mul_f64_e32 v[137:138], v[2:3], v[117:118]
	v_mul_f64_e32 v[147:148], v[4:5], v[117:118]
	scratch_load_b128 v[117:120], off, off offset:608
	s_wait_loadcnt_dscnt 0x800
	v_mul_f64_e32 v[139:140], v[129:130], v[8:9]
	v_mul_f64_e32 v[8:9], v[131:132], v[8:9]
	v_add_f64_e32 v[135:136], v[135:136], v[145:146]
	v_add_f64_e32 v[133:134], v[133:134], v[143:144]
	v_fma_f64 v[137:138], v[4:5], v[115:116], v[137:138]
	v_fma_f64 v[115:116], v[2:3], v[115:116], -v[147:148]
	v_fma_f64 v[131:132], v[131:132], v[6:7], v[139:140]
	v_fma_f64 v[6:7], v[129:130], v[6:7], -v[8:9]
	v_add_f64_e32 v[127:128], v[135:136], v[127:128]
	v_add_f64_e32 v[121:122], v[133:134], v[121:122]
	ds_load_b128 v[2:5], v1 offset:1088
	ds_load_b128 v[133:136], v1 offset:1104
	s_wait_loadcnt_dscnt 0x701
	v_mul_f64_e32 v[141:142], v[2:3], v[12:13]
	v_mul_f64_e32 v[12:13], v[4:5], v[12:13]
	v_add_f64_e32 v[8:9], v[127:128], v[115:116]
	v_add_f64_e32 v[115:116], v[121:122], v[137:138]
	s_wait_loadcnt_dscnt 0x600
	v_mul_f64_e32 v[121:122], v[133:134], v[16:17]
	v_mul_f64_e32 v[16:17], v[135:136], v[16:17]
	v_fma_f64 v[127:128], v[4:5], v[10:11], v[141:142]
	v_fma_f64 v[10:11], v[2:3], v[10:11], -v[12:13]
	v_add_f64_e32 v[12:13], v[8:9], v[6:7]
	v_add_f64_e32 v[115:116], v[115:116], v[131:132]
	ds_load_b128 v[2:5], v1 offset:1120
	ds_load_b128 v[6:9], v1 offset:1136
	v_fma_f64 v[121:122], v[135:136], v[14:15], v[121:122]
	v_fma_f64 v[14:15], v[133:134], v[14:15], -v[16:17]
	s_wait_loadcnt_dscnt 0x501
	v_mul_f64_e32 v[129:130], v[2:3], v[20:21]
	v_mul_f64_e32 v[20:21], v[4:5], v[20:21]
	s_wait_loadcnt_dscnt 0x400
	v_mul_f64_e32 v[16:17], v[6:7], v[24:25]
	v_mul_f64_e32 v[24:25], v[8:9], v[24:25]
	v_add_f64_e32 v[10:11], v[12:13], v[10:11]
	v_add_f64_e32 v[12:13], v[115:116], v[127:128]
	v_fma_f64 v[115:116], v[4:5], v[18:19], v[129:130]
	v_fma_f64 v[18:19], v[2:3], v[18:19], -v[20:21]
	v_fma_f64 v[8:9], v[8:9], v[22:23], v[16:17]
	v_fma_f64 v[6:7], v[6:7], v[22:23], -v[24:25]
	v_add_f64_e32 v[14:15], v[10:11], v[14:15]
	v_add_f64_e32 v[20:21], v[12:13], v[121:122]
	ds_load_b128 v[2:5], v1 offset:1152
	ds_load_b128 v[10:13], v1 offset:1168
	s_wait_loadcnt_dscnt 0x301
	v_mul_f64_e32 v[121:122], v[2:3], v[28:29]
	v_mul_f64_e32 v[28:29], v[4:5], v[28:29]
	v_add_f64_e32 v[14:15], v[14:15], v[18:19]
	v_add_f64_e32 v[16:17], v[20:21], v[115:116]
	s_wait_loadcnt_dscnt 0x200
	v_mul_f64_e32 v[18:19], v[10:11], v[32:33]
	v_mul_f64_e32 v[20:21], v[12:13], v[32:33]
	v_fma_f64 v[22:23], v[4:5], v[26:27], v[121:122]
	v_fma_f64 v[24:25], v[2:3], v[26:27], -v[28:29]
	v_add_f64_e32 v[14:15], v[14:15], v[6:7]
	v_add_f64_e32 v[16:17], v[16:17], v[8:9]
	ds_load_b128 v[2:5], v1 offset:1184
	ds_load_b128 v[6:9], v1 offset:1200
	v_fma_f64 v[12:13], v[12:13], v[30:31], v[18:19]
	v_fma_f64 v[10:11], v[10:11], v[30:31], -v[20:21]
	s_wait_loadcnt_dscnt 0x101
	v_mul_f64_e32 v[26:27], v[2:3], v[36:37]
	v_mul_f64_e32 v[28:29], v[4:5], v[36:37]
	s_wait_loadcnt_dscnt 0x0
	v_mul_f64_e32 v[18:19], v[6:7], v[119:120]
	v_add_f64_e32 v[14:15], v[14:15], v[24:25]
	v_add_f64_e32 v[16:17], v[16:17], v[22:23]
	v_mul_f64_e32 v[20:21], v[8:9], v[119:120]
	v_fma_f64 v[4:5], v[4:5], v[34:35], v[26:27]
	v_fma_f64 v[1:2], v[2:3], v[34:35], -v[28:29]
	v_fma_f64 v[8:9], v[8:9], v[117:118], v[18:19]
	v_add_f64_e32 v[10:11], v[14:15], v[10:11]
	v_add_f64_e32 v[12:13], v[16:17], v[12:13]
	v_fma_f64 v[6:7], v[6:7], v[117:118], -v[20:21]
	s_delay_alu instid0(VALU_DEP_3) | instskip(NEXT) | instid1(VALU_DEP_3)
	v_add_f64_e32 v[1:2], v[10:11], v[1:2]
	v_add_f64_e32 v[3:4], v[12:13], v[4:5]
	s_delay_alu instid0(VALU_DEP_2) | instskip(NEXT) | instid1(VALU_DEP_2)
	v_add_f64_e32 v[1:2], v[1:2], v[6:7]
	v_add_f64_e32 v[3:4], v[3:4], v[8:9]
	s_delay_alu instid0(VALU_DEP_2) | instskip(NEXT) | instid1(VALU_DEP_2)
	v_add_f64_e64 v[1:2], v[123:124], -v[1:2]
	v_add_f64_e64 v[3:4], v[125:126], -v[3:4]
	scratch_store_b128 off, v[1:4], off offset:288
	v_cmpx_lt_u32_e32 16, v0
	s_cbranch_execz .LBB101_209
; %bb.208:
	scratch_load_b128 v[1:4], off, s34
	v_mov_b32_e32 v5, 0
	s_delay_alu instid0(VALU_DEP_1)
	v_dual_mov_b32 v6, v5 :: v_dual_mov_b32 v7, v5
	v_mov_b32_e32 v8, v5
	scratch_store_b128 off, v[5:8], off offset:272
	s_wait_loadcnt 0x0
	ds_store_b128 v114, v[1:4]
.LBB101_209:
	s_wait_alu 0xfffe
	s_or_b32 exec_lo, exec_lo, s0
	s_wait_storecnt_dscnt 0x0
	s_barrier_signal -1
	s_barrier_wait -1
	global_inv scope:SCOPE_SE
	s_clause 0x7
	scratch_load_b128 v[2:5], off, off offset:288
	scratch_load_b128 v[6:9], off, off offset:304
	;; [unrolled: 1-line block ×8, first 2 shown]
	v_mov_b32_e32 v1, 0
	s_mov_b32 s0, exec_lo
	ds_load_b128 v[34:37], v1 offset:880
	s_clause 0x1
	scratch_load_b128 v[115:118], off, off offset:416
	scratch_load_b128 v[119:122], off, off offset:272
	ds_load_b128 v[123:126], v1 offset:896
	scratch_load_b128 v[127:130], off, off offset:432
	s_wait_loadcnt_dscnt 0xa01
	v_mul_f64_e32 v[131:132], v[36:37], v[4:5]
	v_mul_f64_e32 v[4:5], v[34:35], v[4:5]
	s_delay_alu instid0(VALU_DEP_2) | instskip(NEXT) | instid1(VALU_DEP_2)
	v_fma_f64 v[137:138], v[34:35], v[2:3], -v[131:132]
	v_fma_f64 v[139:140], v[36:37], v[2:3], v[4:5]
	ds_load_b128 v[2:5], v1 offset:912
	s_wait_loadcnt_dscnt 0x901
	v_mul_f64_e32 v[135:136], v[123:124], v[8:9]
	v_mul_f64_e32 v[8:9], v[125:126], v[8:9]
	scratch_load_b128 v[34:37], off, off offset:448
	ds_load_b128 v[131:134], v1 offset:928
	s_wait_loadcnt_dscnt 0x901
	v_mul_f64_e32 v[141:142], v[2:3], v[12:13]
	v_mul_f64_e32 v[12:13], v[4:5], v[12:13]
	v_fma_f64 v[125:126], v[125:126], v[6:7], v[135:136]
	v_fma_f64 v[123:124], v[123:124], v[6:7], -v[8:9]
	v_add_f64_e32 v[135:136], 0, v[137:138]
	v_add_f64_e32 v[137:138], 0, v[139:140]
	scratch_load_b128 v[6:9], off, off offset:464
	v_fma_f64 v[141:142], v[4:5], v[10:11], v[141:142]
	v_fma_f64 v[143:144], v[2:3], v[10:11], -v[12:13]
	ds_load_b128 v[2:5], v1 offset:944
	s_wait_loadcnt_dscnt 0x901
	v_mul_f64_e32 v[139:140], v[131:132], v[16:17]
	v_mul_f64_e32 v[16:17], v[133:134], v[16:17]
	scratch_load_b128 v[10:13], off, off offset:480
	v_add_f64_e32 v[135:136], v[135:136], v[123:124]
	v_add_f64_e32 v[137:138], v[137:138], v[125:126]
	s_wait_loadcnt_dscnt 0x900
	v_mul_f64_e32 v[145:146], v[2:3], v[20:21]
	v_mul_f64_e32 v[20:21], v[4:5], v[20:21]
	ds_load_b128 v[123:126], v1 offset:960
	v_fma_f64 v[133:134], v[133:134], v[14:15], v[139:140]
	v_fma_f64 v[131:132], v[131:132], v[14:15], -v[16:17]
	scratch_load_b128 v[14:17], off, off offset:496
	v_add_f64_e32 v[135:136], v[135:136], v[143:144]
	v_add_f64_e32 v[137:138], v[137:138], v[141:142]
	v_fma_f64 v[141:142], v[4:5], v[18:19], v[145:146]
	v_fma_f64 v[143:144], v[2:3], v[18:19], -v[20:21]
	ds_load_b128 v[2:5], v1 offset:976
	s_wait_loadcnt_dscnt 0x901
	v_mul_f64_e32 v[139:140], v[123:124], v[24:25]
	v_mul_f64_e32 v[24:25], v[125:126], v[24:25]
	scratch_load_b128 v[18:21], off, off offset:512
	s_wait_loadcnt_dscnt 0x900
	v_mul_f64_e32 v[145:146], v[2:3], v[28:29]
	v_mul_f64_e32 v[28:29], v[4:5], v[28:29]
	v_add_f64_e32 v[135:136], v[135:136], v[131:132]
	v_add_f64_e32 v[137:138], v[137:138], v[133:134]
	ds_load_b128 v[131:134], v1 offset:992
	v_fma_f64 v[125:126], v[125:126], v[22:23], v[139:140]
	v_fma_f64 v[123:124], v[123:124], v[22:23], -v[24:25]
	scratch_load_b128 v[22:25], off, off offset:528
	v_add_f64_e32 v[135:136], v[135:136], v[143:144]
	v_add_f64_e32 v[137:138], v[137:138], v[141:142]
	v_fma_f64 v[141:142], v[4:5], v[26:27], v[145:146]
	v_fma_f64 v[143:144], v[2:3], v[26:27], -v[28:29]
	ds_load_b128 v[2:5], v1 offset:1008
	s_wait_loadcnt_dscnt 0x901
	v_mul_f64_e32 v[139:140], v[131:132], v[32:33]
	v_mul_f64_e32 v[32:33], v[133:134], v[32:33]
	scratch_load_b128 v[26:29], off, off offset:544
	s_wait_loadcnt_dscnt 0x900
	v_mul_f64_e32 v[145:146], v[2:3], v[117:118]
	v_mul_f64_e32 v[117:118], v[4:5], v[117:118]
	v_add_f64_e32 v[135:136], v[135:136], v[123:124]
	v_add_f64_e32 v[137:138], v[137:138], v[125:126]
	ds_load_b128 v[123:126], v1 offset:1024
	v_fma_f64 v[133:134], v[133:134], v[30:31], v[139:140]
	v_fma_f64 v[131:132], v[131:132], v[30:31], -v[32:33]
	scratch_load_b128 v[30:33], off, off offset:560
	v_add_f64_e32 v[135:136], v[135:136], v[143:144]
	v_add_f64_e32 v[137:138], v[137:138], v[141:142]
	v_fma_f64 v[143:144], v[4:5], v[115:116], v[145:146]
	v_fma_f64 v[145:146], v[2:3], v[115:116], -v[117:118]
	ds_load_b128 v[2:5], v1 offset:1040
	s_wait_loadcnt_dscnt 0x801
	v_mul_f64_e32 v[139:140], v[123:124], v[129:130]
	v_mul_f64_e32 v[141:142], v[125:126], v[129:130]
	scratch_load_b128 v[115:118], off, off offset:576
	v_add_f64_e32 v[135:136], v[135:136], v[131:132]
	v_add_f64_e32 v[133:134], v[137:138], v[133:134]
	ds_load_b128 v[129:132], v1 offset:1056
	v_fma_f64 v[139:140], v[125:126], v[127:128], v[139:140]
	v_fma_f64 v[127:128], v[123:124], v[127:128], -v[141:142]
	scratch_load_b128 v[123:126], off, off offset:592
	s_wait_loadcnt_dscnt 0x901
	v_mul_f64_e32 v[137:138], v[2:3], v[36:37]
	v_mul_f64_e32 v[36:37], v[4:5], v[36:37]
	v_add_f64_e32 v[135:136], v[135:136], v[145:146]
	v_add_f64_e32 v[133:134], v[133:134], v[143:144]
	s_delay_alu instid0(VALU_DEP_4) | instskip(NEXT) | instid1(VALU_DEP_4)
	v_fma_f64 v[137:138], v[4:5], v[34:35], v[137:138]
	v_fma_f64 v[143:144], v[2:3], v[34:35], -v[36:37]
	ds_load_b128 v[2:5], v1 offset:1072
	s_wait_loadcnt_dscnt 0x801
	v_mul_f64_e32 v[141:142], v[129:130], v[8:9]
	v_mul_f64_e32 v[8:9], v[131:132], v[8:9]
	scratch_load_b128 v[34:37], off, off offset:608
	s_wait_loadcnt_dscnt 0x800
	v_mul_f64_e32 v[145:146], v[2:3], v[12:13]
	v_add_f64_e32 v[127:128], v[135:136], v[127:128]
	v_add_f64_e32 v[139:140], v[133:134], v[139:140]
	v_mul_f64_e32 v[12:13], v[4:5], v[12:13]
	ds_load_b128 v[133:136], v1 offset:1088
	v_fma_f64 v[131:132], v[131:132], v[6:7], v[141:142]
	v_fma_f64 v[6:7], v[129:130], v[6:7], -v[8:9]
	s_wait_loadcnt_dscnt 0x700
	v_mul_f64_e32 v[129:130], v[133:134], v[16:17]
	v_add_f64_e32 v[8:9], v[127:128], v[143:144]
	v_add_f64_e32 v[127:128], v[139:140], v[137:138]
	v_mul_f64_e32 v[16:17], v[135:136], v[16:17]
	v_fma_f64 v[137:138], v[4:5], v[10:11], v[145:146]
	v_fma_f64 v[10:11], v[2:3], v[10:11], -v[12:13]
	v_fma_f64 v[129:130], v[135:136], v[14:15], v[129:130]
	v_add_f64_e32 v[12:13], v[8:9], v[6:7]
	v_add_f64_e32 v[127:128], v[127:128], v[131:132]
	ds_load_b128 v[2:5], v1 offset:1104
	ds_load_b128 v[6:9], v1 offset:1120
	v_fma_f64 v[14:15], v[133:134], v[14:15], -v[16:17]
	s_wait_loadcnt_dscnt 0x601
	v_mul_f64_e32 v[131:132], v[2:3], v[20:21]
	v_mul_f64_e32 v[20:21], v[4:5], v[20:21]
	s_wait_loadcnt_dscnt 0x500
	v_mul_f64_e32 v[16:17], v[6:7], v[24:25]
	v_mul_f64_e32 v[24:25], v[8:9], v[24:25]
	v_add_f64_e32 v[10:11], v[12:13], v[10:11]
	v_add_f64_e32 v[12:13], v[127:128], v[137:138]
	v_fma_f64 v[127:128], v[4:5], v[18:19], v[131:132]
	v_fma_f64 v[18:19], v[2:3], v[18:19], -v[20:21]
	v_fma_f64 v[8:9], v[8:9], v[22:23], v[16:17]
	v_fma_f64 v[6:7], v[6:7], v[22:23], -v[24:25]
	v_add_f64_e32 v[14:15], v[10:11], v[14:15]
	v_add_f64_e32 v[20:21], v[12:13], v[129:130]
	ds_load_b128 v[2:5], v1 offset:1136
	ds_load_b128 v[10:13], v1 offset:1152
	s_wait_loadcnt_dscnt 0x401
	v_mul_f64_e32 v[129:130], v[2:3], v[28:29]
	v_mul_f64_e32 v[28:29], v[4:5], v[28:29]
	v_add_f64_e32 v[14:15], v[14:15], v[18:19]
	v_add_f64_e32 v[16:17], v[20:21], v[127:128]
	s_wait_loadcnt_dscnt 0x300
	v_mul_f64_e32 v[18:19], v[10:11], v[32:33]
	v_mul_f64_e32 v[20:21], v[12:13], v[32:33]
	v_fma_f64 v[22:23], v[4:5], v[26:27], v[129:130]
	v_fma_f64 v[24:25], v[2:3], v[26:27], -v[28:29]
	v_add_f64_e32 v[14:15], v[14:15], v[6:7]
	v_add_f64_e32 v[16:17], v[16:17], v[8:9]
	ds_load_b128 v[2:5], v1 offset:1168
	ds_load_b128 v[6:9], v1 offset:1184
	v_fma_f64 v[12:13], v[12:13], v[30:31], v[18:19]
	v_fma_f64 v[10:11], v[10:11], v[30:31], -v[20:21]
	s_wait_loadcnt_dscnt 0x201
	v_mul_f64_e32 v[26:27], v[2:3], v[117:118]
	v_mul_f64_e32 v[28:29], v[4:5], v[117:118]
	s_wait_loadcnt_dscnt 0x100
	v_mul_f64_e32 v[18:19], v[6:7], v[125:126]
	v_mul_f64_e32 v[20:21], v[8:9], v[125:126]
	v_add_f64_e32 v[14:15], v[14:15], v[24:25]
	v_add_f64_e32 v[16:17], v[16:17], v[22:23]
	v_fma_f64 v[22:23], v[4:5], v[115:116], v[26:27]
	v_fma_f64 v[24:25], v[2:3], v[115:116], -v[28:29]
	ds_load_b128 v[2:5], v1 offset:1200
	v_fma_f64 v[8:9], v[8:9], v[123:124], v[18:19]
	v_fma_f64 v[6:7], v[6:7], v[123:124], -v[20:21]
	v_add_f64_e32 v[10:11], v[14:15], v[10:11]
	v_add_f64_e32 v[12:13], v[16:17], v[12:13]
	s_wait_loadcnt_dscnt 0x0
	v_mul_f64_e32 v[14:15], v[2:3], v[36:37]
	v_mul_f64_e32 v[16:17], v[4:5], v[36:37]
	s_delay_alu instid0(VALU_DEP_4) | instskip(NEXT) | instid1(VALU_DEP_4)
	v_add_f64_e32 v[10:11], v[10:11], v[24:25]
	v_add_f64_e32 v[12:13], v[12:13], v[22:23]
	s_delay_alu instid0(VALU_DEP_4) | instskip(NEXT) | instid1(VALU_DEP_4)
	v_fma_f64 v[4:5], v[4:5], v[34:35], v[14:15]
	v_fma_f64 v[2:3], v[2:3], v[34:35], -v[16:17]
	s_delay_alu instid0(VALU_DEP_4) | instskip(NEXT) | instid1(VALU_DEP_4)
	v_add_f64_e32 v[6:7], v[10:11], v[6:7]
	v_add_f64_e32 v[8:9], v[12:13], v[8:9]
	s_delay_alu instid0(VALU_DEP_2) | instskip(NEXT) | instid1(VALU_DEP_2)
	v_add_f64_e32 v[2:3], v[6:7], v[2:3]
	v_add_f64_e32 v[4:5], v[8:9], v[4:5]
	s_delay_alu instid0(VALU_DEP_2) | instskip(NEXT) | instid1(VALU_DEP_2)
	v_add_f64_e64 v[2:3], v[119:120], -v[2:3]
	v_add_f64_e64 v[4:5], v[121:122], -v[4:5]
	scratch_store_b128 off, v[2:5], off offset:272
	v_cmpx_lt_u32_e32 15, v0
	s_cbranch_execz .LBB101_211
; %bb.210:
	scratch_load_b128 v[5:8], off, s14
	v_dual_mov_b32 v2, v1 :: v_dual_mov_b32 v3, v1
	v_mov_b32_e32 v4, v1
	scratch_store_b128 off, v[1:4], off offset:256
	s_wait_loadcnt 0x0
	ds_store_b128 v114, v[5:8]
.LBB101_211:
	s_wait_alu 0xfffe
	s_or_b32 exec_lo, exec_lo, s0
	s_wait_storecnt_dscnt 0x0
	s_barrier_signal -1
	s_barrier_wait -1
	global_inv scope:SCOPE_SE
	s_clause 0x8
	scratch_load_b128 v[2:5], off, off offset:272
	scratch_load_b128 v[6:9], off, off offset:288
	;; [unrolled: 1-line block ×9, first 2 shown]
	ds_load_b128 v[115:118], v1 offset:864
	ds_load_b128 v[119:122], v1 offset:880
	s_clause 0x1
	scratch_load_b128 v[123:126], off, off offset:256
	scratch_load_b128 v[127:130], off, off offset:416
	s_mov_b32 s0, exec_lo
	s_wait_loadcnt_dscnt 0xa01
	v_mul_f64_e32 v[131:132], v[117:118], v[4:5]
	v_mul_f64_e32 v[4:5], v[115:116], v[4:5]
	s_wait_loadcnt_dscnt 0x900
	v_mul_f64_e32 v[135:136], v[119:120], v[8:9]
	v_mul_f64_e32 v[8:9], v[121:122], v[8:9]
	s_delay_alu instid0(VALU_DEP_4) | instskip(NEXT) | instid1(VALU_DEP_4)
	v_fma_f64 v[137:138], v[115:116], v[2:3], -v[131:132]
	v_fma_f64 v[139:140], v[117:118], v[2:3], v[4:5]
	ds_load_b128 v[2:5], v1 offset:896
	ds_load_b128 v[131:134], v1 offset:912
	scratch_load_b128 v[115:118], off, off offset:432
	v_fma_f64 v[121:122], v[121:122], v[6:7], v[135:136]
	v_fma_f64 v[119:120], v[119:120], v[6:7], -v[8:9]
	scratch_load_b128 v[6:9], off, off offset:448
	s_wait_loadcnt_dscnt 0xa01
	v_mul_f64_e32 v[141:142], v[2:3], v[12:13]
	v_mul_f64_e32 v[12:13], v[4:5], v[12:13]
	v_add_f64_e32 v[135:136], 0, v[137:138]
	v_add_f64_e32 v[137:138], 0, v[139:140]
	s_wait_loadcnt_dscnt 0x900
	v_mul_f64_e32 v[139:140], v[131:132], v[16:17]
	v_mul_f64_e32 v[16:17], v[133:134], v[16:17]
	v_fma_f64 v[141:142], v[4:5], v[10:11], v[141:142]
	v_fma_f64 v[143:144], v[2:3], v[10:11], -v[12:13]
	ds_load_b128 v[2:5], v1 offset:928
	scratch_load_b128 v[10:13], off, off offset:464
	v_add_f64_e32 v[135:136], v[135:136], v[119:120]
	v_add_f64_e32 v[137:138], v[137:138], v[121:122]
	ds_load_b128 v[119:122], v1 offset:944
	v_fma_f64 v[133:134], v[133:134], v[14:15], v[139:140]
	v_fma_f64 v[131:132], v[131:132], v[14:15], -v[16:17]
	scratch_load_b128 v[14:17], off, off offset:480
	s_wait_loadcnt_dscnt 0xa01
	v_mul_f64_e32 v[145:146], v[2:3], v[20:21]
	v_mul_f64_e32 v[20:21], v[4:5], v[20:21]
	s_wait_loadcnt_dscnt 0x900
	v_mul_f64_e32 v[139:140], v[119:120], v[24:25]
	v_mul_f64_e32 v[24:25], v[121:122], v[24:25]
	v_add_f64_e32 v[135:136], v[135:136], v[143:144]
	v_add_f64_e32 v[137:138], v[137:138], v[141:142]
	v_fma_f64 v[141:142], v[4:5], v[18:19], v[145:146]
	v_fma_f64 v[143:144], v[2:3], v[18:19], -v[20:21]
	ds_load_b128 v[2:5], v1 offset:960
	scratch_load_b128 v[18:21], off, off offset:496
	v_fma_f64 v[121:122], v[121:122], v[22:23], v[139:140]
	v_fma_f64 v[119:120], v[119:120], v[22:23], -v[24:25]
	scratch_load_b128 v[22:25], off, off offset:512
	v_add_f64_e32 v[135:136], v[135:136], v[131:132]
	v_add_f64_e32 v[137:138], v[137:138], v[133:134]
	ds_load_b128 v[131:134], v1 offset:976
	s_wait_loadcnt_dscnt 0xa01
	v_mul_f64_e32 v[145:146], v[2:3], v[28:29]
	v_mul_f64_e32 v[28:29], v[4:5], v[28:29]
	s_wait_loadcnt_dscnt 0x900
	v_mul_f64_e32 v[139:140], v[131:132], v[32:33]
	v_mul_f64_e32 v[32:33], v[133:134], v[32:33]
	v_add_f64_e32 v[135:136], v[135:136], v[143:144]
	v_add_f64_e32 v[137:138], v[137:138], v[141:142]
	v_fma_f64 v[141:142], v[4:5], v[26:27], v[145:146]
	v_fma_f64 v[143:144], v[2:3], v[26:27], -v[28:29]
	ds_load_b128 v[2:5], v1 offset:992
	scratch_load_b128 v[26:29], off, off offset:528
	v_fma_f64 v[133:134], v[133:134], v[30:31], v[139:140]
	v_fma_f64 v[131:132], v[131:132], v[30:31], -v[32:33]
	scratch_load_b128 v[30:33], off, off offset:544
	v_add_f64_e32 v[135:136], v[135:136], v[119:120]
	v_add_f64_e32 v[137:138], v[137:138], v[121:122]
	ds_load_b128 v[119:122], v1 offset:1008
	s_wait_loadcnt_dscnt 0xa01
	v_mul_f64_e32 v[145:146], v[2:3], v[36:37]
	v_mul_f64_e32 v[36:37], v[4:5], v[36:37]
	s_wait_loadcnt_dscnt 0x800
	v_mul_f64_e32 v[139:140], v[119:120], v[129:130]
	v_add_f64_e32 v[135:136], v[135:136], v[143:144]
	v_add_f64_e32 v[137:138], v[137:138], v[141:142]
	v_mul_f64_e32 v[141:142], v[121:122], v[129:130]
	v_fma_f64 v[143:144], v[4:5], v[34:35], v[145:146]
	v_fma_f64 v[145:146], v[2:3], v[34:35], -v[36:37]
	ds_load_b128 v[2:5], v1 offset:1024
	scratch_load_b128 v[34:37], off, off offset:560
	v_fma_f64 v[121:122], v[121:122], v[127:128], v[139:140]
	v_add_f64_e32 v[135:136], v[135:136], v[131:132]
	v_add_f64_e32 v[133:134], v[137:138], v[133:134]
	ds_load_b128 v[129:132], v1 offset:1040
	v_fma_f64 v[127:128], v[119:120], v[127:128], -v[141:142]
	s_wait_loadcnt_dscnt 0x801
	v_mul_f64_e32 v[137:138], v[2:3], v[117:118]
	v_mul_f64_e32 v[147:148], v[4:5], v[117:118]
	scratch_load_b128 v[117:120], off, off offset:576
	s_wait_loadcnt_dscnt 0x800
	v_mul_f64_e32 v[141:142], v[129:130], v[8:9]
	v_mul_f64_e32 v[8:9], v[131:132], v[8:9]
	v_add_f64_e32 v[135:136], v[135:136], v[145:146]
	v_add_f64_e32 v[133:134], v[133:134], v[143:144]
	v_fma_f64 v[143:144], v[4:5], v[115:116], v[137:138]
	v_fma_f64 v[115:116], v[2:3], v[115:116], -v[147:148]
	ds_load_b128 v[2:5], v1 offset:1056
	ds_load_b128 v[137:140], v1 offset:1072
	v_fma_f64 v[131:132], v[131:132], v[6:7], v[141:142]
	v_fma_f64 v[129:130], v[129:130], v[6:7], -v[8:9]
	scratch_load_b128 v[6:9], off, off offset:608
	v_add_f64_e32 v[127:128], v[135:136], v[127:128]
	v_add_f64_e32 v[121:122], v[133:134], v[121:122]
	scratch_load_b128 v[133:136], off, off offset:592
	s_wait_loadcnt_dscnt 0x901
	v_mul_f64_e32 v[145:146], v[2:3], v[12:13]
	v_mul_f64_e32 v[12:13], v[4:5], v[12:13]
	v_add_f64_e32 v[115:116], v[127:128], v[115:116]
	v_add_f64_e32 v[121:122], v[121:122], v[143:144]
	s_wait_loadcnt_dscnt 0x800
	v_mul_f64_e32 v[127:128], v[137:138], v[16:17]
	v_mul_f64_e32 v[16:17], v[139:140], v[16:17]
	v_fma_f64 v[141:142], v[4:5], v[10:11], v[145:146]
	v_fma_f64 v[143:144], v[2:3], v[10:11], -v[12:13]
	ds_load_b128 v[2:5], v1 offset:1088
	ds_load_b128 v[10:13], v1 offset:1104
	v_add_f64_e32 v[115:116], v[115:116], v[129:130]
	v_add_f64_e32 v[121:122], v[121:122], v[131:132]
	s_wait_loadcnt_dscnt 0x701
	v_mul_f64_e32 v[129:130], v[2:3], v[20:21]
	v_mul_f64_e32 v[20:21], v[4:5], v[20:21]
	v_fma_f64 v[127:128], v[139:140], v[14:15], v[127:128]
	v_fma_f64 v[14:15], v[137:138], v[14:15], -v[16:17]
	v_add_f64_e32 v[16:17], v[115:116], v[143:144]
	v_add_f64_e32 v[115:116], v[121:122], v[141:142]
	s_wait_loadcnt_dscnt 0x600
	v_mul_f64_e32 v[121:122], v[10:11], v[24:25]
	v_mul_f64_e32 v[24:25], v[12:13], v[24:25]
	v_fma_f64 v[129:130], v[4:5], v[18:19], v[129:130]
	v_fma_f64 v[18:19], v[2:3], v[18:19], -v[20:21]
	v_add_f64_e32 v[20:21], v[16:17], v[14:15]
	v_add_f64_e32 v[115:116], v[115:116], v[127:128]
	ds_load_b128 v[2:5], v1 offset:1120
	ds_load_b128 v[14:17], v1 offset:1136
	v_fma_f64 v[12:13], v[12:13], v[22:23], v[121:122]
	v_fma_f64 v[10:11], v[10:11], v[22:23], -v[24:25]
	s_wait_loadcnt_dscnt 0x501
	v_mul_f64_e32 v[127:128], v[2:3], v[28:29]
	v_mul_f64_e32 v[28:29], v[4:5], v[28:29]
	s_wait_loadcnt_dscnt 0x400
	v_mul_f64_e32 v[22:23], v[14:15], v[32:33]
	v_mul_f64_e32 v[24:25], v[16:17], v[32:33]
	v_add_f64_e32 v[18:19], v[20:21], v[18:19]
	v_add_f64_e32 v[20:21], v[115:116], v[129:130]
	v_fma_f64 v[32:33], v[4:5], v[26:27], v[127:128]
	v_fma_f64 v[26:27], v[2:3], v[26:27], -v[28:29]
	v_fma_f64 v[16:17], v[16:17], v[30:31], v[22:23]
	v_fma_f64 v[14:15], v[14:15], v[30:31], -v[24:25]
	v_add_f64_e32 v[18:19], v[18:19], v[10:11]
	v_add_f64_e32 v[20:21], v[20:21], v[12:13]
	ds_load_b128 v[2:5], v1 offset:1152
	ds_load_b128 v[10:13], v1 offset:1168
	s_wait_loadcnt_dscnt 0x301
	v_mul_f64_e32 v[28:29], v[2:3], v[36:37]
	v_mul_f64_e32 v[36:37], v[4:5], v[36:37]
	s_wait_loadcnt_dscnt 0x200
	v_mul_f64_e32 v[22:23], v[10:11], v[119:120]
	v_add_f64_e32 v[18:19], v[18:19], v[26:27]
	v_add_f64_e32 v[20:21], v[20:21], v[32:33]
	v_mul_f64_e32 v[24:25], v[12:13], v[119:120]
	v_fma_f64 v[26:27], v[4:5], v[34:35], v[28:29]
	v_fma_f64 v[28:29], v[2:3], v[34:35], -v[36:37]
	v_fma_f64 v[12:13], v[12:13], v[117:118], v[22:23]
	v_add_f64_e32 v[18:19], v[18:19], v[14:15]
	v_add_f64_e32 v[20:21], v[20:21], v[16:17]
	ds_load_b128 v[2:5], v1 offset:1184
	ds_load_b128 v[14:17], v1 offset:1200
	v_fma_f64 v[10:11], v[10:11], v[117:118], -v[24:25]
	s_wait_loadcnt_dscnt 0x1
	v_mul_f64_e32 v[30:31], v[2:3], v[135:136]
	v_mul_f64_e32 v[32:33], v[4:5], v[135:136]
	s_wait_dscnt 0x0
	v_mul_f64_e32 v[22:23], v[14:15], v[8:9]
	v_mul_f64_e32 v[8:9], v[16:17], v[8:9]
	v_add_f64_e32 v[18:19], v[18:19], v[28:29]
	v_add_f64_e32 v[20:21], v[20:21], v[26:27]
	v_fma_f64 v[4:5], v[4:5], v[133:134], v[30:31]
	v_fma_f64 v[1:2], v[2:3], v[133:134], -v[32:33]
	v_fma_f64 v[16:17], v[16:17], v[6:7], v[22:23]
	v_fma_f64 v[6:7], v[14:15], v[6:7], -v[8:9]
	v_add_f64_e32 v[10:11], v[18:19], v[10:11]
	v_add_f64_e32 v[12:13], v[20:21], v[12:13]
	s_delay_alu instid0(VALU_DEP_2) | instskip(NEXT) | instid1(VALU_DEP_2)
	v_add_f64_e32 v[1:2], v[10:11], v[1:2]
	v_add_f64_e32 v[3:4], v[12:13], v[4:5]
	s_delay_alu instid0(VALU_DEP_2) | instskip(NEXT) | instid1(VALU_DEP_2)
	;; [unrolled: 3-line block ×3, first 2 shown]
	v_add_f64_e64 v[1:2], v[123:124], -v[1:2]
	v_add_f64_e64 v[3:4], v[125:126], -v[3:4]
	scratch_store_b128 off, v[1:4], off offset:256
	v_cmpx_lt_u32_e32 14, v0
	s_cbranch_execz .LBB101_213
; %bb.212:
	scratch_load_b128 v[1:4], off, s33
	v_mov_b32_e32 v5, 0
	s_delay_alu instid0(VALU_DEP_1)
	v_dual_mov_b32 v6, v5 :: v_dual_mov_b32 v7, v5
	v_mov_b32_e32 v8, v5
	scratch_store_b128 off, v[5:8], off offset:240
	s_wait_loadcnt 0x0
	ds_store_b128 v114, v[1:4]
.LBB101_213:
	s_wait_alu 0xfffe
	s_or_b32 exec_lo, exec_lo, s0
	s_wait_storecnt_dscnt 0x0
	s_barrier_signal -1
	s_barrier_wait -1
	global_inv scope:SCOPE_SE
	s_clause 0x7
	scratch_load_b128 v[2:5], off, off offset:256
	scratch_load_b128 v[6:9], off, off offset:272
	;; [unrolled: 1-line block ×8, first 2 shown]
	v_mov_b32_e32 v1, 0
	s_mov_b32 s0, exec_lo
	ds_load_b128 v[34:37], v1 offset:848
	s_clause 0x1
	scratch_load_b128 v[115:118], off, off offset:384
	scratch_load_b128 v[119:122], off, off offset:240
	ds_load_b128 v[123:126], v1 offset:864
	scratch_load_b128 v[127:130], off, off offset:400
	s_wait_loadcnt_dscnt 0xa01
	v_mul_f64_e32 v[131:132], v[36:37], v[4:5]
	v_mul_f64_e32 v[4:5], v[34:35], v[4:5]
	s_delay_alu instid0(VALU_DEP_2) | instskip(NEXT) | instid1(VALU_DEP_2)
	v_fma_f64 v[137:138], v[34:35], v[2:3], -v[131:132]
	v_fma_f64 v[139:140], v[36:37], v[2:3], v[4:5]
	ds_load_b128 v[2:5], v1 offset:880
	s_wait_loadcnt_dscnt 0x901
	v_mul_f64_e32 v[135:136], v[123:124], v[8:9]
	v_mul_f64_e32 v[8:9], v[125:126], v[8:9]
	scratch_load_b128 v[34:37], off, off offset:416
	ds_load_b128 v[131:134], v1 offset:896
	s_wait_loadcnt_dscnt 0x901
	v_mul_f64_e32 v[141:142], v[2:3], v[12:13]
	v_mul_f64_e32 v[12:13], v[4:5], v[12:13]
	v_fma_f64 v[125:126], v[125:126], v[6:7], v[135:136]
	v_fma_f64 v[123:124], v[123:124], v[6:7], -v[8:9]
	v_add_f64_e32 v[135:136], 0, v[137:138]
	v_add_f64_e32 v[137:138], 0, v[139:140]
	scratch_load_b128 v[6:9], off, off offset:432
	v_fma_f64 v[141:142], v[4:5], v[10:11], v[141:142]
	v_fma_f64 v[143:144], v[2:3], v[10:11], -v[12:13]
	ds_load_b128 v[2:5], v1 offset:912
	s_wait_loadcnt_dscnt 0x901
	v_mul_f64_e32 v[139:140], v[131:132], v[16:17]
	v_mul_f64_e32 v[16:17], v[133:134], v[16:17]
	scratch_load_b128 v[10:13], off, off offset:448
	v_add_f64_e32 v[135:136], v[135:136], v[123:124]
	v_add_f64_e32 v[137:138], v[137:138], v[125:126]
	s_wait_loadcnt_dscnt 0x900
	v_mul_f64_e32 v[145:146], v[2:3], v[20:21]
	v_mul_f64_e32 v[20:21], v[4:5], v[20:21]
	ds_load_b128 v[123:126], v1 offset:928
	v_fma_f64 v[133:134], v[133:134], v[14:15], v[139:140]
	v_fma_f64 v[131:132], v[131:132], v[14:15], -v[16:17]
	scratch_load_b128 v[14:17], off, off offset:464
	v_add_f64_e32 v[135:136], v[135:136], v[143:144]
	v_add_f64_e32 v[137:138], v[137:138], v[141:142]
	v_fma_f64 v[141:142], v[4:5], v[18:19], v[145:146]
	v_fma_f64 v[143:144], v[2:3], v[18:19], -v[20:21]
	ds_load_b128 v[2:5], v1 offset:944
	s_wait_loadcnt_dscnt 0x901
	v_mul_f64_e32 v[139:140], v[123:124], v[24:25]
	v_mul_f64_e32 v[24:25], v[125:126], v[24:25]
	scratch_load_b128 v[18:21], off, off offset:480
	s_wait_loadcnt_dscnt 0x900
	v_mul_f64_e32 v[145:146], v[2:3], v[28:29]
	v_mul_f64_e32 v[28:29], v[4:5], v[28:29]
	v_add_f64_e32 v[135:136], v[135:136], v[131:132]
	v_add_f64_e32 v[137:138], v[137:138], v[133:134]
	ds_load_b128 v[131:134], v1 offset:960
	v_fma_f64 v[125:126], v[125:126], v[22:23], v[139:140]
	v_fma_f64 v[123:124], v[123:124], v[22:23], -v[24:25]
	scratch_load_b128 v[22:25], off, off offset:496
	v_add_f64_e32 v[135:136], v[135:136], v[143:144]
	v_add_f64_e32 v[137:138], v[137:138], v[141:142]
	v_fma_f64 v[141:142], v[4:5], v[26:27], v[145:146]
	v_fma_f64 v[143:144], v[2:3], v[26:27], -v[28:29]
	ds_load_b128 v[2:5], v1 offset:976
	s_wait_loadcnt_dscnt 0x901
	v_mul_f64_e32 v[139:140], v[131:132], v[32:33]
	v_mul_f64_e32 v[32:33], v[133:134], v[32:33]
	scratch_load_b128 v[26:29], off, off offset:512
	s_wait_loadcnt_dscnt 0x900
	v_mul_f64_e32 v[145:146], v[2:3], v[117:118]
	v_mul_f64_e32 v[117:118], v[4:5], v[117:118]
	v_add_f64_e32 v[135:136], v[135:136], v[123:124]
	v_add_f64_e32 v[137:138], v[137:138], v[125:126]
	ds_load_b128 v[123:126], v1 offset:992
	v_fma_f64 v[133:134], v[133:134], v[30:31], v[139:140]
	v_fma_f64 v[131:132], v[131:132], v[30:31], -v[32:33]
	scratch_load_b128 v[30:33], off, off offset:528
	v_add_f64_e32 v[135:136], v[135:136], v[143:144]
	v_add_f64_e32 v[137:138], v[137:138], v[141:142]
	v_fma_f64 v[143:144], v[4:5], v[115:116], v[145:146]
	v_fma_f64 v[145:146], v[2:3], v[115:116], -v[117:118]
	ds_load_b128 v[2:5], v1 offset:1008
	s_wait_loadcnt_dscnt 0x801
	v_mul_f64_e32 v[139:140], v[123:124], v[129:130]
	v_mul_f64_e32 v[141:142], v[125:126], v[129:130]
	scratch_load_b128 v[115:118], off, off offset:544
	v_add_f64_e32 v[135:136], v[135:136], v[131:132]
	v_add_f64_e32 v[133:134], v[137:138], v[133:134]
	ds_load_b128 v[129:132], v1 offset:1024
	v_fma_f64 v[139:140], v[125:126], v[127:128], v[139:140]
	v_fma_f64 v[127:128], v[123:124], v[127:128], -v[141:142]
	scratch_load_b128 v[123:126], off, off offset:560
	s_wait_loadcnt_dscnt 0x901
	v_mul_f64_e32 v[137:138], v[2:3], v[36:37]
	v_mul_f64_e32 v[36:37], v[4:5], v[36:37]
	v_add_f64_e32 v[135:136], v[135:136], v[145:146]
	v_add_f64_e32 v[133:134], v[133:134], v[143:144]
	s_delay_alu instid0(VALU_DEP_4) | instskip(NEXT) | instid1(VALU_DEP_4)
	v_fma_f64 v[137:138], v[4:5], v[34:35], v[137:138]
	v_fma_f64 v[143:144], v[2:3], v[34:35], -v[36:37]
	ds_load_b128 v[2:5], v1 offset:1040
	s_wait_loadcnt_dscnt 0x801
	v_mul_f64_e32 v[141:142], v[129:130], v[8:9]
	v_mul_f64_e32 v[8:9], v[131:132], v[8:9]
	scratch_load_b128 v[34:37], off, off offset:576
	s_wait_loadcnt_dscnt 0x800
	v_mul_f64_e32 v[145:146], v[2:3], v[12:13]
	v_add_f64_e32 v[127:128], v[135:136], v[127:128]
	v_add_f64_e32 v[139:140], v[133:134], v[139:140]
	v_mul_f64_e32 v[12:13], v[4:5], v[12:13]
	ds_load_b128 v[133:136], v1 offset:1056
	v_fma_f64 v[131:132], v[131:132], v[6:7], v[141:142]
	v_fma_f64 v[129:130], v[129:130], v[6:7], -v[8:9]
	scratch_load_b128 v[6:9], off, off offset:592
	v_fma_f64 v[141:142], v[4:5], v[10:11], v[145:146]
	v_add_f64_e32 v[127:128], v[127:128], v[143:144]
	v_add_f64_e32 v[137:138], v[139:140], v[137:138]
	v_fma_f64 v[143:144], v[2:3], v[10:11], -v[12:13]
	ds_load_b128 v[2:5], v1 offset:1072
	s_wait_loadcnt_dscnt 0x801
	v_mul_f64_e32 v[139:140], v[133:134], v[16:17]
	v_mul_f64_e32 v[16:17], v[135:136], v[16:17]
	scratch_load_b128 v[10:13], off, off offset:608
	v_add_f64_e32 v[145:146], v[127:128], v[129:130]
	v_add_f64_e32 v[131:132], v[137:138], v[131:132]
	s_wait_loadcnt_dscnt 0x800
	v_mul_f64_e32 v[137:138], v[2:3], v[20:21]
	v_mul_f64_e32 v[20:21], v[4:5], v[20:21]
	v_fma_f64 v[135:136], v[135:136], v[14:15], v[139:140]
	v_fma_f64 v[14:15], v[133:134], v[14:15], -v[16:17]
	ds_load_b128 v[127:130], v1 offset:1088
	s_wait_loadcnt_dscnt 0x700
	v_mul_f64_e32 v[133:134], v[127:128], v[24:25]
	v_mul_f64_e32 v[24:25], v[129:130], v[24:25]
	v_add_f64_e32 v[16:17], v[145:146], v[143:144]
	v_add_f64_e32 v[131:132], v[131:132], v[141:142]
	v_fma_f64 v[137:138], v[4:5], v[18:19], v[137:138]
	v_fma_f64 v[18:19], v[2:3], v[18:19], -v[20:21]
	v_fma_f64 v[129:130], v[129:130], v[22:23], v[133:134]
	v_fma_f64 v[22:23], v[127:128], v[22:23], -v[24:25]
	v_add_f64_e32 v[20:21], v[16:17], v[14:15]
	v_add_f64_e32 v[131:132], v[131:132], v[135:136]
	ds_load_b128 v[2:5], v1 offset:1104
	ds_load_b128 v[14:17], v1 offset:1120
	s_wait_loadcnt_dscnt 0x601
	v_mul_f64_e32 v[135:136], v[2:3], v[28:29]
	v_mul_f64_e32 v[28:29], v[4:5], v[28:29]
	s_wait_loadcnt_dscnt 0x500
	v_mul_f64_e32 v[24:25], v[14:15], v[32:33]
	v_mul_f64_e32 v[32:33], v[16:17], v[32:33]
	v_add_f64_e32 v[18:19], v[20:21], v[18:19]
	v_add_f64_e32 v[20:21], v[131:132], v[137:138]
	v_fma_f64 v[127:128], v[4:5], v[26:27], v[135:136]
	v_fma_f64 v[26:27], v[2:3], v[26:27], -v[28:29]
	v_fma_f64 v[16:17], v[16:17], v[30:31], v[24:25]
	v_fma_f64 v[14:15], v[14:15], v[30:31], -v[32:33]
	v_add_f64_e32 v[22:23], v[18:19], v[22:23]
	v_add_f64_e32 v[28:29], v[20:21], v[129:130]
	ds_load_b128 v[2:5], v1 offset:1136
	ds_load_b128 v[18:21], v1 offset:1152
	s_wait_loadcnt_dscnt 0x401
	v_mul_f64_e32 v[129:130], v[2:3], v[117:118]
	v_mul_f64_e32 v[117:118], v[4:5], v[117:118]
	v_add_f64_e32 v[22:23], v[22:23], v[26:27]
	v_add_f64_e32 v[24:25], v[28:29], v[127:128]
	s_wait_loadcnt_dscnt 0x300
	v_mul_f64_e32 v[26:27], v[18:19], v[125:126]
	v_mul_f64_e32 v[28:29], v[20:21], v[125:126]
	v_fma_f64 v[30:31], v[4:5], v[115:116], v[129:130]
	v_fma_f64 v[32:33], v[2:3], v[115:116], -v[117:118]
	v_add_f64_e32 v[22:23], v[22:23], v[14:15]
	v_add_f64_e32 v[24:25], v[24:25], v[16:17]
	ds_load_b128 v[2:5], v1 offset:1168
	ds_load_b128 v[14:17], v1 offset:1184
	v_fma_f64 v[20:21], v[20:21], v[123:124], v[26:27]
	v_fma_f64 v[18:19], v[18:19], v[123:124], -v[28:29]
	s_wait_loadcnt_dscnt 0x201
	v_mul_f64_e32 v[115:116], v[2:3], v[36:37]
	v_mul_f64_e32 v[36:37], v[4:5], v[36:37]
	s_wait_loadcnt_dscnt 0x100
	v_mul_f64_e32 v[26:27], v[14:15], v[8:9]
	v_mul_f64_e32 v[8:9], v[16:17], v[8:9]
	v_add_f64_e32 v[22:23], v[22:23], v[32:33]
	v_add_f64_e32 v[24:25], v[24:25], v[30:31]
	v_fma_f64 v[28:29], v[4:5], v[34:35], v[115:116]
	v_fma_f64 v[30:31], v[2:3], v[34:35], -v[36:37]
	ds_load_b128 v[2:5], v1 offset:1200
	v_fma_f64 v[16:17], v[16:17], v[6:7], v[26:27]
	v_fma_f64 v[6:7], v[14:15], v[6:7], -v[8:9]
	v_add_f64_e32 v[18:19], v[22:23], v[18:19]
	v_add_f64_e32 v[20:21], v[24:25], v[20:21]
	s_wait_loadcnt_dscnt 0x0
	v_mul_f64_e32 v[22:23], v[2:3], v[12:13]
	v_mul_f64_e32 v[12:13], v[4:5], v[12:13]
	s_delay_alu instid0(VALU_DEP_4) | instskip(NEXT) | instid1(VALU_DEP_4)
	v_add_f64_e32 v[8:9], v[18:19], v[30:31]
	v_add_f64_e32 v[14:15], v[20:21], v[28:29]
	s_delay_alu instid0(VALU_DEP_4) | instskip(NEXT) | instid1(VALU_DEP_4)
	v_fma_f64 v[4:5], v[4:5], v[10:11], v[22:23]
	v_fma_f64 v[2:3], v[2:3], v[10:11], -v[12:13]
	s_delay_alu instid0(VALU_DEP_4) | instskip(NEXT) | instid1(VALU_DEP_4)
	v_add_f64_e32 v[6:7], v[8:9], v[6:7]
	v_add_f64_e32 v[8:9], v[14:15], v[16:17]
	s_delay_alu instid0(VALU_DEP_2) | instskip(NEXT) | instid1(VALU_DEP_2)
	v_add_f64_e32 v[2:3], v[6:7], v[2:3]
	v_add_f64_e32 v[4:5], v[8:9], v[4:5]
	s_delay_alu instid0(VALU_DEP_2) | instskip(NEXT) | instid1(VALU_DEP_2)
	v_add_f64_e64 v[2:3], v[119:120], -v[2:3]
	v_add_f64_e64 v[4:5], v[121:122], -v[4:5]
	scratch_store_b128 off, v[2:5], off offset:240
	v_cmpx_lt_u32_e32 13, v0
	s_cbranch_execz .LBB101_215
; %bb.214:
	scratch_load_b128 v[5:8], off, s13
	v_dual_mov_b32 v2, v1 :: v_dual_mov_b32 v3, v1
	v_mov_b32_e32 v4, v1
	scratch_store_b128 off, v[1:4], off offset:224
	s_wait_loadcnt 0x0
	ds_store_b128 v114, v[5:8]
.LBB101_215:
	s_wait_alu 0xfffe
	s_or_b32 exec_lo, exec_lo, s0
	s_wait_storecnt_dscnt 0x0
	s_barrier_signal -1
	s_barrier_wait -1
	global_inv scope:SCOPE_SE
	s_clause 0x8
	scratch_load_b128 v[2:5], off, off offset:240
	scratch_load_b128 v[6:9], off, off offset:256
	scratch_load_b128 v[10:13], off, off offset:272
	scratch_load_b128 v[14:17], off, off offset:288
	scratch_load_b128 v[18:21], off, off offset:304
	scratch_load_b128 v[22:25], off, off offset:320
	scratch_load_b128 v[26:29], off, off offset:336
	scratch_load_b128 v[30:33], off, off offset:352
	scratch_load_b128 v[34:37], off, off offset:368
	ds_load_b128 v[115:118], v1 offset:832
	ds_load_b128 v[119:122], v1 offset:848
	s_clause 0x1
	scratch_load_b128 v[123:126], off, off offset:224
	scratch_load_b128 v[127:130], off, off offset:384
	s_mov_b32 s0, exec_lo
	s_wait_loadcnt_dscnt 0xa01
	v_mul_f64_e32 v[131:132], v[117:118], v[4:5]
	v_mul_f64_e32 v[4:5], v[115:116], v[4:5]
	s_wait_loadcnt_dscnt 0x900
	v_mul_f64_e32 v[135:136], v[119:120], v[8:9]
	v_mul_f64_e32 v[8:9], v[121:122], v[8:9]
	s_delay_alu instid0(VALU_DEP_4) | instskip(NEXT) | instid1(VALU_DEP_4)
	v_fma_f64 v[137:138], v[115:116], v[2:3], -v[131:132]
	v_fma_f64 v[139:140], v[117:118], v[2:3], v[4:5]
	ds_load_b128 v[2:5], v1 offset:864
	ds_load_b128 v[131:134], v1 offset:880
	scratch_load_b128 v[115:118], off, off offset:400
	v_fma_f64 v[121:122], v[121:122], v[6:7], v[135:136]
	v_fma_f64 v[119:120], v[119:120], v[6:7], -v[8:9]
	scratch_load_b128 v[6:9], off, off offset:416
	s_wait_loadcnt_dscnt 0xa01
	v_mul_f64_e32 v[141:142], v[2:3], v[12:13]
	v_mul_f64_e32 v[12:13], v[4:5], v[12:13]
	v_add_f64_e32 v[135:136], 0, v[137:138]
	v_add_f64_e32 v[137:138], 0, v[139:140]
	s_wait_loadcnt_dscnt 0x900
	v_mul_f64_e32 v[139:140], v[131:132], v[16:17]
	v_mul_f64_e32 v[16:17], v[133:134], v[16:17]
	v_fma_f64 v[141:142], v[4:5], v[10:11], v[141:142]
	v_fma_f64 v[143:144], v[2:3], v[10:11], -v[12:13]
	ds_load_b128 v[2:5], v1 offset:896
	scratch_load_b128 v[10:13], off, off offset:432
	v_add_f64_e32 v[135:136], v[135:136], v[119:120]
	v_add_f64_e32 v[137:138], v[137:138], v[121:122]
	ds_load_b128 v[119:122], v1 offset:912
	v_fma_f64 v[133:134], v[133:134], v[14:15], v[139:140]
	v_fma_f64 v[131:132], v[131:132], v[14:15], -v[16:17]
	scratch_load_b128 v[14:17], off, off offset:448
	s_wait_loadcnt_dscnt 0xa01
	v_mul_f64_e32 v[145:146], v[2:3], v[20:21]
	v_mul_f64_e32 v[20:21], v[4:5], v[20:21]
	s_wait_loadcnt_dscnt 0x900
	v_mul_f64_e32 v[139:140], v[119:120], v[24:25]
	v_mul_f64_e32 v[24:25], v[121:122], v[24:25]
	v_add_f64_e32 v[135:136], v[135:136], v[143:144]
	v_add_f64_e32 v[137:138], v[137:138], v[141:142]
	v_fma_f64 v[141:142], v[4:5], v[18:19], v[145:146]
	v_fma_f64 v[143:144], v[2:3], v[18:19], -v[20:21]
	ds_load_b128 v[2:5], v1 offset:928
	scratch_load_b128 v[18:21], off, off offset:464
	v_fma_f64 v[121:122], v[121:122], v[22:23], v[139:140]
	v_fma_f64 v[119:120], v[119:120], v[22:23], -v[24:25]
	scratch_load_b128 v[22:25], off, off offset:480
	v_add_f64_e32 v[135:136], v[135:136], v[131:132]
	v_add_f64_e32 v[137:138], v[137:138], v[133:134]
	ds_load_b128 v[131:134], v1 offset:944
	s_wait_loadcnt_dscnt 0xa01
	v_mul_f64_e32 v[145:146], v[2:3], v[28:29]
	v_mul_f64_e32 v[28:29], v[4:5], v[28:29]
	s_wait_loadcnt_dscnt 0x900
	v_mul_f64_e32 v[139:140], v[131:132], v[32:33]
	v_mul_f64_e32 v[32:33], v[133:134], v[32:33]
	v_add_f64_e32 v[135:136], v[135:136], v[143:144]
	v_add_f64_e32 v[137:138], v[137:138], v[141:142]
	v_fma_f64 v[141:142], v[4:5], v[26:27], v[145:146]
	v_fma_f64 v[143:144], v[2:3], v[26:27], -v[28:29]
	ds_load_b128 v[2:5], v1 offset:960
	scratch_load_b128 v[26:29], off, off offset:496
	v_fma_f64 v[133:134], v[133:134], v[30:31], v[139:140]
	v_fma_f64 v[131:132], v[131:132], v[30:31], -v[32:33]
	scratch_load_b128 v[30:33], off, off offset:512
	v_add_f64_e32 v[135:136], v[135:136], v[119:120]
	v_add_f64_e32 v[137:138], v[137:138], v[121:122]
	ds_load_b128 v[119:122], v1 offset:976
	s_wait_loadcnt_dscnt 0xa01
	v_mul_f64_e32 v[145:146], v[2:3], v[36:37]
	v_mul_f64_e32 v[36:37], v[4:5], v[36:37]
	s_wait_loadcnt_dscnt 0x800
	v_mul_f64_e32 v[139:140], v[119:120], v[129:130]
	v_add_f64_e32 v[135:136], v[135:136], v[143:144]
	v_add_f64_e32 v[137:138], v[137:138], v[141:142]
	v_mul_f64_e32 v[141:142], v[121:122], v[129:130]
	v_fma_f64 v[143:144], v[4:5], v[34:35], v[145:146]
	v_fma_f64 v[145:146], v[2:3], v[34:35], -v[36:37]
	ds_load_b128 v[2:5], v1 offset:992
	scratch_load_b128 v[34:37], off, off offset:528
	v_fma_f64 v[121:122], v[121:122], v[127:128], v[139:140]
	v_add_f64_e32 v[135:136], v[135:136], v[131:132]
	v_add_f64_e32 v[133:134], v[137:138], v[133:134]
	ds_load_b128 v[129:132], v1 offset:1008
	v_fma_f64 v[127:128], v[119:120], v[127:128], -v[141:142]
	s_wait_loadcnt_dscnt 0x801
	v_mul_f64_e32 v[137:138], v[2:3], v[117:118]
	v_mul_f64_e32 v[147:148], v[4:5], v[117:118]
	scratch_load_b128 v[117:120], off, off offset:544
	s_wait_loadcnt_dscnt 0x800
	v_mul_f64_e32 v[141:142], v[129:130], v[8:9]
	v_mul_f64_e32 v[8:9], v[131:132], v[8:9]
	v_add_f64_e32 v[135:136], v[135:136], v[145:146]
	v_add_f64_e32 v[133:134], v[133:134], v[143:144]
	v_fma_f64 v[143:144], v[4:5], v[115:116], v[137:138]
	v_fma_f64 v[115:116], v[2:3], v[115:116], -v[147:148]
	ds_load_b128 v[2:5], v1 offset:1024
	ds_load_b128 v[137:140], v1 offset:1040
	v_fma_f64 v[131:132], v[131:132], v[6:7], v[141:142]
	v_fma_f64 v[129:130], v[129:130], v[6:7], -v[8:9]
	scratch_load_b128 v[6:9], off, off offset:576
	v_add_f64_e32 v[127:128], v[135:136], v[127:128]
	v_add_f64_e32 v[121:122], v[133:134], v[121:122]
	scratch_load_b128 v[133:136], off, off offset:560
	s_wait_loadcnt_dscnt 0x901
	v_mul_f64_e32 v[145:146], v[2:3], v[12:13]
	v_mul_f64_e32 v[12:13], v[4:5], v[12:13]
	s_wait_loadcnt_dscnt 0x800
	v_mul_f64_e32 v[141:142], v[137:138], v[16:17]
	v_mul_f64_e32 v[16:17], v[139:140], v[16:17]
	v_add_f64_e32 v[115:116], v[127:128], v[115:116]
	v_add_f64_e32 v[121:122], v[121:122], v[143:144]
	v_fma_f64 v[143:144], v[4:5], v[10:11], v[145:146]
	v_fma_f64 v[145:146], v[2:3], v[10:11], -v[12:13]
	ds_load_b128 v[2:5], v1 offset:1056
	scratch_load_b128 v[10:13], off, off offset:592
	v_fma_f64 v[139:140], v[139:140], v[14:15], v[141:142]
	v_fma_f64 v[137:138], v[137:138], v[14:15], -v[16:17]
	scratch_load_b128 v[14:17], off, off offset:608
	v_add_f64_e32 v[115:116], v[115:116], v[129:130]
	v_add_f64_e32 v[121:122], v[121:122], v[131:132]
	ds_load_b128 v[127:130], v1 offset:1072
	s_wait_loadcnt_dscnt 0x901
	v_mul_f64_e32 v[131:132], v[2:3], v[20:21]
	v_mul_f64_e32 v[20:21], v[4:5], v[20:21]
	s_wait_loadcnt_dscnt 0x800
	v_mul_f64_e32 v[141:142], v[127:128], v[24:25]
	v_mul_f64_e32 v[24:25], v[129:130], v[24:25]
	v_add_f64_e32 v[115:116], v[115:116], v[145:146]
	v_add_f64_e32 v[121:122], v[121:122], v[143:144]
	v_fma_f64 v[131:132], v[4:5], v[18:19], v[131:132]
	v_fma_f64 v[143:144], v[2:3], v[18:19], -v[20:21]
	ds_load_b128 v[2:5], v1 offset:1088
	ds_load_b128 v[18:21], v1 offset:1104
	v_fma_f64 v[129:130], v[129:130], v[22:23], v[141:142]
	v_fma_f64 v[22:23], v[127:128], v[22:23], -v[24:25]
	v_add_f64_e32 v[115:116], v[115:116], v[137:138]
	v_add_f64_e32 v[121:122], v[121:122], v[139:140]
	s_wait_loadcnt_dscnt 0x701
	v_mul_f64_e32 v[137:138], v[2:3], v[28:29]
	v_mul_f64_e32 v[28:29], v[4:5], v[28:29]
	s_delay_alu instid0(VALU_DEP_4) | instskip(NEXT) | instid1(VALU_DEP_4)
	v_add_f64_e32 v[24:25], v[115:116], v[143:144]
	v_add_f64_e32 v[115:116], v[121:122], v[131:132]
	s_wait_loadcnt_dscnt 0x600
	v_mul_f64_e32 v[121:122], v[18:19], v[32:33]
	v_mul_f64_e32 v[32:33], v[20:21], v[32:33]
	v_fma_f64 v[127:128], v[4:5], v[26:27], v[137:138]
	v_fma_f64 v[26:27], v[2:3], v[26:27], -v[28:29]
	v_add_f64_e32 v[28:29], v[24:25], v[22:23]
	v_add_f64_e32 v[115:116], v[115:116], v[129:130]
	ds_load_b128 v[2:5], v1 offset:1120
	ds_load_b128 v[22:25], v1 offset:1136
	v_fma_f64 v[20:21], v[20:21], v[30:31], v[121:122]
	v_fma_f64 v[18:19], v[18:19], v[30:31], -v[32:33]
	s_wait_loadcnt_dscnt 0x501
	v_mul_f64_e32 v[129:130], v[2:3], v[36:37]
	v_mul_f64_e32 v[36:37], v[4:5], v[36:37]
	s_wait_loadcnt_dscnt 0x400
	v_mul_f64_e32 v[30:31], v[22:23], v[119:120]
	v_add_f64_e32 v[26:27], v[28:29], v[26:27]
	v_add_f64_e32 v[28:29], v[115:116], v[127:128]
	v_mul_f64_e32 v[32:33], v[24:25], v[119:120]
	v_fma_f64 v[115:116], v[4:5], v[34:35], v[129:130]
	v_fma_f64 v[34:35], v[2:3], v[34:35], -v[36:37]
	v_fma_f64 v[24:25], v[24:25], v[117:118], v[30:31]
	v_add_f64_e32 v[26:27], v[26:27], v[18:19]
	v_add_f64_e32 v[28:29], v[28:29], v[20:21]
	ds_load_b128 v[2:5], v1 offset:1152
	ds_load_b128 v[18:21], v1 offset:1168
	v_fma_f64 v[22:23], v[22:23], v[117:118], -v[32:33]
	s_wait_loadcnt_dscnt 0x201
	v_mul_f64_e32 v[36:37], v[2:3], v[135:136]
	v_mul_f64_e32 v[119:120], v[4:5], v[135:136]
	s_wait_dscnt 0x0
	v_mul_f64_e32 v[30:31], v[18:19], v[8:9]
	v_mul_f64_e32 v[8:9], v[20:21], v[8:9]
	v_add_f64_e32 v[26:27], v[26:27], v[34:35]
	v_add_f64_e32 v[28:29], v[28:29], v[115:116]
	v_fma_f64 v[32:33], v[4:5], v[133:134], v[36:37]
	v_fma_f64 v[34:35], v[2:3], v[133:134], -v[119:120]
	v_fma_f64 v[20:21], v[20:21], v[6:7], v[30:31]
	v_fma_f64 v[6:7], v[18:19], v[6:7], -v[8:9]
	v_add_f64_e32 v[26:27], v[26:27], v[22:23]
	v_add_f64_e32 v[28:29], v[28:29], v[24:25]
	ds_load_b128 v[2:5], v1 offset:1184
	ds_load_b128 v[22:25], v1 offset:1200
	s_wait_loadcnt_dscnt 0x101
	v_mul_f64_e32 v[36:37], v[2:3], v[12:13]
	v_mul_f64_e32 v[12:13], v[4:5], v[12:13]
	v_add_f64_e32 v[8:9], v[26:27], v[34:35]
	v_add_f64_e32 v[18:19], v[28:29], v[32:33]
	s_wait_loadcnt_dscnt 0x0
	v_mul_f64_e32 v[26:27], v[22:23], v[16:17]
	v_mul_f64_e32 v[16:17], v[24:25], v[16:17]
	v_fma_f64 v[4:5], v[4:5], v[10:11], v[36:37]
	v_fma_f64 v[1:2], v[2:3], v[10:11], -v[12:13]
	v_add_f64_e32 v[6:7], v[8:9], v[6:7]
	v_add_f64_e32 v[8:9], v[18:19], v[20:21]
	v_fma_f64 v[10:11], v[24:25], v[14:15], v[26:27]
	v_fma_f64 v[12:13], v[22:23], v[14:15], -v[16:17]
	s_delay_alu instid0(VALU_DEP_4) | instskip(NEXT) | instid1(VALU_DEP_4)
	v_add_f64_e32 v[1:2], v[6:7], v[1:2]
	v_add_f64_e32 v[3:4], v[8:9], v[4:5]
	s_delay_alu instid0(VALU_DEP_2) | instskip(NEXT) | instid1(VALU_DEP_2)
	v_add_f64_e32 v[1:2], v[1:2], v[12:13]
	v_add_f64_e32 v[3:4], v[3:4], v[10:11]
	s_delay_alu instid0(VALU_DEP_2) | instskip(NEXT) | instid1(VALU_DEP_2)
	v_add_f64_e64 v[1:2], v[123:124], -v[1:2]
	v_add_f64_e64 v[3:4], v[125:126], -v[3:4]
	scratch_store_b128 off, v[1:4], off offset:224
	v_cmpx_lt_u32_e32 12, v0
	s_cbranch_execz .LBB101_217
; %bb.216:
	scratch_load_b128 v[1:4], off, s31
	v_mov_b32_e32 v5, 0
	s_delay_alu instid0(VALU_DEP_1)
	v_dual_mov_b32 v6, v5 :: v_dual_mov_b32 v7, v5
	v_mov_b32_e32 v8, v5
	scratch_store_b128 off, v[5:8], off offset:208
	s_wait_loadcnt 0x0
	ds_store_b128 v114, v[1:4]
.LBB101_217:
	s_wait_alu 0xfffe
	s_or_b32 exec_lo, exec_lo, s0
	s_wait_storecnt_dscnt 0x0
	s_barrier_signal -1
	s_barrier_wait -1
	global_inv scope:SCOPE_SE
	s_clause 0x7
	scratch_load_b128 v[2:5], off, off offset:224
	scratch_load_b128 v[6:9], off, off offset:240
	;; [unrolled: 1-line block ×8, first 2 shown]
	v_mov_b32_e32 v1, 0
	s_mov_b32 s0, exec_lo
	ds_load_b128 v[34:37], v1 offset:816
	s_clause 0x1
	scratch_load_b128 v[115:118], off, off offset:352
	scratch_load_b128 v[119:122], off, off offset:208
	ds_load_b128 v[123:126], v1 offset:832
	scratch_load_b128 v[127:130], off, off offset:368
	s_wait_loadcnt_dscnt 0xa01
	v_mul_f64_e32 v[131:132], v[36:37], v[4:5]
	v_mul_f64_e32 v[4:5], v[34:35], v[4:5]
	s_delay_alu instid0(VALU_DEP_2) | instskip(NEXT) | instid1(VALU_DEP_2)
	v_fma_f64 v[137:138], v[34:35], v[2:3], -v[131:132]
	v_fma_f64 v[139:140], v[36:37], v[2:3], v[4:5]
	ds_load_b128 v[2:5], v1 offset:848
	s_wait_loadcnt_dscnt 0x901
	v_mul_f64_e32 v[135:136], v[123:124], v[8:9]
	v_mul_f64_e32 v[8:9], v[125:126], v[8:9]
	scratch_load_b128 v[34:37], off, off offset:384
	ds_load_b128 v[131:134], v1 offset:864
	s_wait_loadcnt_dscnt 0x901
	v_mul_f64_e32 v[141:142], v[2:3], v[12:13]
	v_mul_f64_e32 v[12:13], v[4:5], v[12:13]
	v_fma_f64 v[125:126], v[125:126], v[6:7], v[135:136]
	v_fma_f64 v[123:124], v[123:124], v[6:7], -v[8:9]
	v_add_f64_e32 v[135:136], 0, v[137:138]
	v_add_f64_e32 v[137:138], 0, v[139:140]
	scratch_load_b128 v[6:9], off, off offset:400
	v_fma_f64 v[141:142], v[4:5], v[10:11], v[141:142]
	v_fma_f64 v[143:144], v[2:3], v[10:11], -v[12:13]
	ds_load_b128 v[2:5], v1 offset:880
	s_wait_loadcnt_dscnt 0x901
	v_mul_f64_e32 v[139:140], v[131:132], v[16:17]
	v_mul_f64_e32 v[16:17], v[133:134], v[16:17]
	scratch_load_b128 v[10:13], off, off offset:416
	v_add_f64_e32 v[135:136], v[135:136], v[123:124]
	v_add_f64_e32 v[137:138], v[137:138], v[125:126]
	s_wait_loadcnt_dscnt 0x900
	v_mul_f64_e32 v[145:146], v[2:3], v[20:21]
	v_mul_f64_e32 v[20:21], v[4:5], v[20:21]
	ds_load_b128 v[123:126], v1 offset:896
	v_fma_f64 v[133:134], v[133:134], v[14:15], v[139:140]
	v_fma_f64 v[131:132], v[131:132], v[14:15], -v[16:17]
	scratch_load_b128 v[14:17], off, off offset:432
	v_add_f64_e32 v[135:136], v[135:136], v[143:144]
	v_add_f64_e32 v[137:138], v[137:138], v[141:142]
	v_fma_f64 v[141:142], v[4:5], v[18:19], v[145:146]
	v_fma_f64 v[143:144], v[2:3], v[18:19], -v[20:21]
	ds_load_b128 v[2:5], v1 offset:912
	s_wait_loadcnt_dscnt 0x901
	v_mul_f64_e32 v[139:140], v[123:124], v[24:25]
	v_mul_f64_e32 v[24:25], v[125:126], v[24:25]
	scratch_load_b128 v[18:21], off, off offset:448
	s_wait_loadcnt_dscnt 0x900
	v_mul_f64_e32 v[145:146], v[2:3], v[28:29]
	v_mul_f64_e32 v[28:29], v[4:5], v[28:29]
	v_add_f64_e32 v[135:136], v[135:136], v[131:132]
	v_add_f64_e32 v[137:138], v[137:138], v[133:134]
	ds_load_b128 v[131:134], v1 offset:928
	v_fma_f64 v[125:126], v[125:126], v[22:23], v[139:140]
	v_fma_f64 v[123:124], v[123:124], v[22:23], -v[24:25]
	scratch_load_b128 v[22:25], off, off offset:464
	v_add_f64_e32 v[135:136], v[135:136], v[143:144]
	v_add_f64_e32 v[137:138], v[137:138], v[141:142]
	v_fma_f64 v[141:142], v[4:5], v[26:27], v[145:146]
	v_fma_f64 v[143:144], v[2:3], v[26:27], -v[28:29]
	ds_load_b128 v[2:5], v1 offset:944
	s_wait_loadcnt_dscnt 0x901
	v_mul_f64_e32 v[139:140], v[131:132], v[32:33]
	v_mul_f64_e32 v[32:33], v[133:134], v[32:33]
	scratch_load_b128 v[26:29], off, off offset:480
	s_wait_loadcnt_dscnt 0x900
	v_mul_f64_e32 v[145:146], v[2:3], v[117:118]
	v_mul_f64_e32 v[117:118], v[4:5], v[117:118]
	v_add_f64_e32 v[135:136], v[135:136], v[123:124]
	v_add_f64_e32 v[137:138], v[137:138], v[125:126]
	ds_load_b128 v[123:126], v1 offset:960
	v_fma_f64 v[133:134], v[133:134], v[30:31], v[139:140]
	v_fma_f64 v[131:132], v[131:132], v[30:31], -v[32:33]
	scratch_load_b128 v[30:33], off, off offset:496
	v_add_f64_e32 v[135:136], v[135:136], v[143:144]
	v_add_f64_e32 v[137:138], v[137:138], v[141:142]
	v_fma_f64 v[143:144], v[4:5], v[115:116], v[145:146]
	v_fma_f64 v[145:146], v[2:3], v[115:116], -v[117:118]
	ds_load_b128 v[2:5], v1 offset:976
	s_wait_loadcnt_dscnt 0x801
	v_mul_f64_e32 v[139:140], v[123:124], v[129:130]
	v_mul_f64_e32 v[141:142], v[125:126], v[129:130]
	scratch_load_b128 v[115:118], off, off offset:512
	v_add_f64_e32 v[135:136], v[135:136], v[131:132]
	v_add_f64_e32 v[133:134], v[137:138], v[133:134]
	ds_load_b128 v[129:132], v1 offset:992
	v_fma_f64 v[139:140], v[125:126], v[127:128], v[139:140]
	v_fma_f64 v[127:128], v[123:124], v[127:128], -v[141:142]
	scratch_load_b128 v[123:126], off, off offset:528
	s_wait_loadcnt_dscnt 0x901
	v_mul_f64_e32 v[137:138], v[2:3], v[36:37]
	v_mul_f64_e32 v[36:37], v[4:5], v[36:37]
	v_add_f64_e32 v[135:136], v[135:136], v[145:146]
	v_add_f64_e32 v[133:134], v[133:134], v[143:144]
	s_delay_alu instid0(VALU_DEP_4) | instskip(NEXT) | instid1(VALU_DEP_4)
	v_fma_f64 v[137:138], v[4:5], v[34:35], v[137:138]
	v_fma_f64 v[143:144], v[2:3], v[34:35], -v[36:37]
	ds_load_b128 v[2:5], v1 offset:1008
	s_wait_loadcnt_dscnt 0x801
	v_mul_f64_e32 v[141:142], v[129:130], v[8:9]
	v_mul_f64_e32 v[8:9], v[131:132], v[8:9]
	scratch_load_b128 v[34:37], off, off offset:544
	s_wait_loadcnt_dscnt 0x800
	v_mul_f64_e32 v[145:146], v[2:3], v[12:13]
	v_add_f64_e32 v[127:128], v[135:136], v[127:128]
	v_add_f64_e32 v[139:140], v[133:134], v[139:140]
	v_mul_f64_e32 v[12:13], v[4:5], v[12:13]
	ds_load_b128 v[133:136], v1 offset:1024
	v_fma_f64 v[131:132], v[131:132], v[6:7], v[141:142]
	v_fma_f64 v[129:130], v[129:130], v[6:7], -v[8:9]
	scratch_load_b128 v[6:9], off, off offset:560
	v_fma_f64 v[141:142], v[4:5], v[10:11], v[145:146]
	v_add_f64_e32 v[127:128], v[127:128], v[143:144]
	v_add_f64_e32 v[137:138], v[139:140], v[137:138]
	v_fma_f64 v[143:144], v[2:3], v[10:11], -v[12:13]
	ds_load_b128 v[2:5], v1 offset:1040
	s_wait_loadcnt_dscnt 0x801
	v_mul_f64_e32 v[139:140], v[133:134], v[16:17]
	v_mul_f64_e32 v[16:17], v[135:136], v[16:17]
	scratch_load_b128 v[10:13], off, off offset:576
	v_add_f64_e32 v[145:146], v[127:128], v[129:130]
	v_add_f64_e32 v[131:132], v[137:138], v[131:132]
	s_wait_loadcnt_dscnt 0x800
	v_mul_f64_e32 v[137:138], v[2:3], v[20:21]
	v_mul_f64_e32 v[20:21], v[4:5], v[20:21]
	v_fma_f64 v[135:136], v[135:136], v[14:15], v[139:140]
	v_fma_f64 v[133:134], v[133:134], v[14:15], -v[16:17]
	ds_load_b128 v[127:130], v1 offset:1056
	scratch_load_b128 v[14:17], off, off offset:592
	v_add_f64_e32 v[139:140], v[145:146], v[143:144]
	v_add_f64_e32 v[131:132], v[131:132], v[141:142]
	v_fma_f64 v[137:138], v[4:5], v[18:19], v[137:138]
	v_fma_f64 v[143:144], v[2:3], v[18:19], -v[20:21]
	ds_load_b128 v[2:5], v1 offset:1072
	s_wait_loadcnt_dscnt 0x801
	v_mul_f64_e32 v[141:142], v[127:128], v[24:25]
	v_mul_f64_e32 v[24:25], v[129:130], v[24:25]
	scratch_load_b128 v[18:21], off, off offset:608
	s_wait_loadcnt_dscnt 0x800
	v_mul_f64_e32 v[145:146], v[2:3], v[28:29]
	v_mul_f64_e32 v[28:29], v[4:5], v[28:29]
	v_add_f64_e32 v[139:140], v[139:140], v[133:134]
	v_add_f64_e32 v[135:136], v[131:132], v[135:136]
	ds_load_b128 v[131:134], v1 offset:1088
	v_fma_f64 v[129:130], v[129:130], v[22:23], v[141:142]
	v_fma_f64 v[22:23], v[127:128], v[22:23], -v[24:25]
	v_add_f64_e32 v[24:25], v[139:140], v[143:144]
	v_add_f64_e32 v[127:128], v[135:136], v[137:138]
	s_wait_loadcnt_dscnt 0x700
	v_mul_f64_e32 v[135:136], v[131:132], v[32:33]
	v_mul_f64_e32 v[32:33], v[133:134], v[32:33]
	v_fma_f64 v[137:138], v[4:5], v[26:27], v[145:146]
	v_fma_f64 v[26:27], v[2:3], v[26:27], -v[28:29]
	v_add_f64_e32 v[28:29], v[24:25], v[22:23]
	v_add_f64_e32 v[127:128], v[127:128], v[129:130]
	ds_load_b128 v[2:5], v1 offset:1104
	ds_load_b128 v[22:25], v1 offset:1120
	v_fma_f64 v[133:134], v[133:134], v[30:31], v[135:136]
	v_fma_f64 v[30:31], v[131:132], v[30:31], -v[32:33]
	s_wait_loadcnt_dscnt 0x601
	v_mul_f64_e32 v[129:130], v[2:3], v[117:118]
	v_mul_f64_e32 v[117:118], v[4:5], v[117:118]
	s_wait_loadcnt_dscnt 0x500
	v_mul_f64_e32 v[32:33], v[22:23], v[125:126]
	v_mul_f64_e32 v[125:126], v[24:25], v[125:126]
	v_add_f64_e32 v[26:27], v[28:29], v[26:27]
	v_add_f64_e32 v[28:29], v[127:128], v[137:138]
	v_fma_f64 v[127:128], v[4:5], v[115:116], v[129:130]
	v_fma_f64 v[115:116], v[2:3], v[115:116], -v[117:118]
	v_fma_f64 v[24:25], v[24:25], v[123:124], v[32:33]
	v_fma_f64 v[22:23], v[22:23], v[123:124], -v[125:126]
	v_add_f64_e32 v[30:31], v[26:27], v[30:31]
	v_add_f64_e32 v[117:118], v[28:29], v[133:134]
	ds_load_b128 v[2:5], v1 offset:1136
	ds_load_b128 v[26:29], v1 offset:1152
	s_wait_loadcnt_dscnt 0x401
	v_mul_f64_e32 v[129:130], v[2:3], v[36:37]
	v_mul_f64_e32 v[36:37], v[4:5], v[36:37]
	v_add_f64_e32 v[30:31], v[30:31], v[115:116]
	v_add_f64_e32 v[32:33], v[117:118], v[127:128]
	s_wait_loadcnt_dscnt 0x300
	v_mul_f64_e32 v[115:116], v[26:27], v[8:9]
	v_mul_f64_e32 v[8:9], v[28:29], v[8:9]
	v_fma_f64 v[117:118], v[4:5], v[34:35], v[129:130]
	v_fma_f64 v[34:35], v[2:3], v[34:35], -v[36:37]
	v_add_f64_e32 v[30:31], v[30:31], v[22:23]
	v_add_f64_e32 v[32:33], v[32:33], v[24:25]
	ds_load_b128 v[2:5], v1 offset:1168
	ds_load_b128 v[22:25], v1 offset:1184
	v_fma_f64 v[28:29], v[28:29], v[6:7], v[115:116]
	v_fma_f64 v[6:7], v[26:27], v[6:7], -v[8:9]
	s_wait_loadcnt_dscnt 0x201
	v_mul_f64_e32 v[36:37], v[2:3], v[12:13]
	v_mul_f64_e32 v[12:13], v[4:5], v[12:13]
	v_add_f64_e32 v[8:9], v[30:31], v[34:35]
	v_add_f64_e32 v[26:27], v[32:33], v[117:118]
	s_wait_loadcnt_dscnt 0x100
	v_mul_f64_e32 v[30:31], v[22:23], v[16:17]
	v_mul_f64_e32 v[16:17], v[24:25], v[16:17]
	v_fma_f64 v[32:33], v[4:5], v[10:11], v[36:37]
	v_fma_f64 v[10:11], v[2:3], v[10:11], -v[12:13]
	ds_load_b128 v[2:5], v1 offset:1200
	v_add_f64_e32 v[6:7], v[8:9], v[6:7]
	v_add_f64_e32 v[8:9], v[26:27], v[28:29]
	v_fma_f64 v[24:25], v[24:25], v[14:15], v[30:31]
	v_fma_f64 v[14:15], v[22:23], v[14:15], -v[16:17]
	s_wait_loadcnt_dscnt 0x0
	v_mul_f64_e32 v[12:13], v[2:3], v[20:21]
	v_mul_f64_e32 v[20:21], v[4:5], v[20:21]
	v_add_f64_e32 v[6:7], v[6:7], v[10:11]
	v_add_f64_e32 v[8:9], v[8:9], v[32:33]
	s_delay_alu instid0(VALU_DEP_4) | instskip(NEXT) | instid1(VALU_DEP_4)
	v_fma_f64 v[4:5], v[4:5], v[18:19], v[12:13]
	v_fma_f64 v[2:3], v[2:3], v[18:19], -v[20:21]
	s_delay_alu instid0(VALU_DEP_4) | instskip(NEXT) | instid1(VALU_DEP_4)
	v_add_f64_e32 v[6:7], v[6:7], v[14:15]
	v_add_f64_e32 v[8:9], v[8:9], v[24:25]
	s_delay_alu instid0(VALU_DEP_2) | instskip(NEXT) | instid1(VALU_DEP_2)
	v_add_f64_e32 v[2:3], v[6:7], v[2:3]
	v_add_f64_e32 v[4:5], v[8:9], v[4:5]
	s_delay_alu instid0(VALU_DEP_2) | instskip(NEXT) | instid1(VALU_DEP_2)
	v_add_f64_e64 v[2:3], v[119:120], -v[2:3]
	v_add_f64_e64 v[4:5], v[121:122], -v[4:5]
	scratch_store_b128 off, v[2:5], off offset:208
	v_cmpx_lt_u32_e32 11, v0
	s_cbranch_execz .LBB101_219
; %bb.218:
	scratch_load_b128 v[5:8], off, s11
	v_dual_mov_b32 v2, v1 :: v_dual_mov_b32 v3, v1
	v_mov_b32_e32 v4, v1
	scratch_store_b128 off, v[1:4], off offset:192
	s_wait_loadcnt 0x0
	ds_store_b128 v114, v[5:8]
.LBB101_219:
	s_wait_alu 0xfffe
	s_or_b32 exec_lo, exec_lo, s0
	s_wait_storecnt_dscnt 0x0
	s_barrier_signal -1
	s_barrier_wait -1
	global_inv scope:SCOPE_SE
	s_clause 0x8
	scratch_load_b128 v[2:5], off, off offset:208
	scratch_load_b128 v[6:9], off, off offset:224
	;; [unrolled: 1-line block ×9, first 2 shown]
	ds_load_b128 v[115:118], v1 offset:800
	ds_load_b128 v[119:122], v1 offset:816
	s_clause 0x1
	scratch_load_b128 v[123:126], off, off offset:192
	scratch_load_b128 v[127:130], off, off offset:352
	s_mov_b32 s0, exec_lo
	s_wait_loadcnt_dscnt 0xa01
	v_mul_f64_e32 v[131:132], v[117:118], v[4:5]
	v_mul_f64_e32 v[4:5], v[115:116], v[4:5]
	s_wait_loadcnt_dscnt 0x900
	v_mul_f64_e32 v[135:136], v[119:120], v[8:9]
	v_mul_f64_e32 v[8:9], v[121:122], v[8:9]
	s_delay_alu instid0(VALU_DEP_4) | instskip(NEXT) | instid1(VALU_DEP_4)
	v_fma_f64 v[137:138], v[115:116], v[2:3], -v[131:132]
	v_fma_f64 v[139:140], v[117:118], v[2:3], v[4:5]
	ds_load_b128 v[2:5], v1 offset:832
	ds_load_b128 v[131:134], v1 offset:848
	scratch_load_b128 v[115:118], off, off offset:368
	v_fma_f64 v[121:122], v[121:122], v[6:7], v[135:136]
	v_fma_f64 v[119:120], v[119:120], v[6:7], -v[8:9]
	scratch_load_b128 v[6:9], off, off offset:384
	s_wait_loadcnt_dscnt 0xa01
	v_mul_f64_e32 v[141:142], v[2:3], v[12:13]
	v_mul_f64_e32 v[12:13], v[4:5], v[12:13]
	v_add_f64_e32 v[135:136], 0, v[137:138]
	v_add_f64_e32 v[137:138], 0, v[139:140]
	s_wait_loadcnt_dscnt 0x900
	v_mul_f64_e32 v[139:140], v[131:132], v[16:17]
	v_mul_f64_e32 v[16:17], v[133:134], v[16:17]
	v_fma_f64 v[141:142], v[4:5], v[10:11], v[141:142]
	v_fma_f64 v[143:144], v[2:3], v[10:11], -v[12:13]
	ds_load_b128 v[2:5], v1 offset:864
	scratch_load_b128 v[10:13], off, off offset:400
	v_add_f64_e32 v[135:136], v[135:136], v[119:120]
	v_add_f64_e32 v[137:138], v[137:138], v[121:122]
	ds_load_b128 v[119:122], v1 offset:880
	v_fma_f64 v[133:134], v[133:134], v[14:15], v[139:140]
	v_fma_f64 v[131:132], v[131:132], v[14:15], -v[16:17]
	scratch_load_b128 v[14:17], off, off offset:416
	s_wait_loadcnt_dscnt 0xa01
	v_mul_f64_e32 v[145:146], v[2:3], v[20:21]
	v_mul_f64_e32 v[20:21], v[4:5], v[20:21]
	s_wait_loadcnt_dscnt 0x900
	v_mul_f64_e32 v[139:140], v[119:120], v[24:25]
	v_mul_f64_e32 v[24:25], v[121:122], v[24:25]
	v_add_f64_e32 v[135:136], v[135:136], v[143:144]
	v_add_f64_e32 v[137:138], v[137:138], v[141:142]
	v_fma_f64 v[141:142], v[4:5], v[18:19], v[145:146]
	v_fma_f64 v[143:144], v[2:3], v[18:19], -v[20:21]
	ds_load_b128 v[2:5], v1 offset:896
	scratch_load_b128 v[18:21], off, off offset:432
	v_fma_f64 v[121:122], v[121:122], v[22:23], v[139:140]
	v_fma_f64 v[119:120], v[119:120], v[22:23], -v[24:25]
	scratch_load_b128 v[22:25], off, off offset:448
	v_add_f64_e32 v[135:136], v[135:136], v[131:132]
	v_add_f64_e32 v[137:138], v[137:138], v[133:134]
	ds_load_b128 v[131:134], v1 offset:912
	s_wait_loadcnt_dscnt 0xa01
	v_mul_f64_e32 v[145:146], v[2:3], v[28:29]
	v_mul_f64_e32 v[28:29], v[4:5], v[28:29]
	s_wait_loadcnt_dscnt 0x900
	v_mul_f64_e32 v[139:140], v[131:132], v[32:33]
	v_mul_f64_e32 v[32:33], v[133:134], v[32:33]
	v_add_f64_e32 v[135:136], v[135:136], v[143:144]
	v_add_f64_e32 v[137:138], v[137:138], v[141:142]
	v_fma_f64 v[141:142], v[4:5], v[26:27], v[145:146]
	v_fma_f64 v[143:144], v[2:3], v[26:27], -v[28:29]
	ds_load_b128 v[2:5], v1 offset:928
	scratch_load_b128 v[26:29], off, off offset:464
	v_fma_f64 v[133:134], v[133:134], v[30:31], v[139:140]
	v_fma_f64 v[131:132], v[131:132], v[30:31], -v[32:33]
	scratch_load_b128 v[30:33], off, off offset:480
	v_add_f64_e32 v[135:136], v[135:136], v[119:120]
	v_add_f64_e32 v[137:138], v[137:138], v[121:122]
	ds_load_b128 v[119:122], v1 offset:944
	s_wait_loadcnt_dscnt 0xa01
	v_mul_f64_e32 v[145:146], v[2:3], v[36:37]
	v_mul_f64_e32 v[36:37], v[4:5], v[36:37]
	s_wait_loadcnt_dscnt 0x800
	v_mul_f64_e32 v[139:140], v[119:120], v[129:130]
	v_add_f64_e32 v[135:136], v[135:136], v[143:144]
	v_add_f64_e32 v[137:138], v[137:138], v[141:142]
	v_mul_f64_e32 v[141:142], v[121:122], v[129:130]
	v_fma_f64 v[143:144], v[4:5], v[34:35], v[145:146]
	v_fma_f64 v[145:146], v[2:3], v[34:35], -v[36:37]
	ds_load_b128 v[2:5], v1 offset:960
	scratch_load_b128 v[34:37], off, off offset:496
	v_fma_f64 v[121:122], v[121:122], v[127:128], v[139:140]
	v_add_f64_e32 v[135:136], v[135:136], v[131:132]
	v_add_f64_e32 v[133:134], v[137:138], v[133:134]
	ds_load_b128 v[129:132], v1 offset:976
	v_fma_f64 v[127:128], v[119:120], v[127:128], -v[141:142]
	s_wait_loadcnt_dscnt 0x801
	v_mul_f64_e32 v[137:138], v[2:3], v[117:118]
	v_mul_f64_e32 v[147:148], v[4:5], v[117:118]
	scratch_load_b128 v[117:120], off, off offset:512
	s_wait_loadcnt_dscnt 0x800
	v_mul_f64_e32 v[141:142], v[129:130], v[8:9]
	v_mul_f64_e32 v[8:9], v[131:132], v[8:9]
	v_add_f64_e32 v[135:136], v[135:136], v[145:146]
	v_add_f64_e32 v[133:134], v[133:134], v[143:144]
	v_fma_f64 v[143:144], v[4:5], v[115:116], v[137:138]
	v_fma_f64 v[115:116], v[2:3], v[115:116], -v[147:148]
	ds_load_b128 v[2:5], v1 offset:992
	ds_load_b128 v[137:140], v1 offset:1008
	v_fma_f64 v[131:132], v[131:132], v[6:7], v[141:142]
	v_fma_f64 v[129:130], v[129:130], v[6:7], -v[8:9]
	scratch_load_b128 v[6:9], off, off offset:544
	v_add_f64_e32 v[127:128], v[135:136], v[127:128]
	v_add_f64_e32 v[121:122], v[133:134], v[121:122]
	scratch_load_b128 v[133:136], off, off offset:528
	s_wait_loadcnt_dscnt 0x901
	v_mul_f64_e32 v[145:146], v[2:3], v[12:13]
	v_mul_f64_e32 v[12:13], v[4:5], v[12:13]
	s_wait_loadcnt_dscnt 0x800
	v_mul_f64_e32 v[141:142], v[137:138], v[16:17]
	v_mul_f64_e32 v[16:17], v[139:140], v[16:17]
	v_add_f64_e32 v[115:116], v[127:128], v[115:116]
	v_add_f64_e32 v[121:122], v[121:122], v[143:144]
	v_fma_f64 v[143:144], v[4:5], v[10:11], v[145:146]
	v_fma_f64 v[145:146], v[2:3], v[10:11], -v[12:13]
	ds_load_b128 v[2:5], v1 offset:1024
	scratch_load_b128 v[10:13], off, off offset:560
	v_fma_f64 v[139:140], v[139:140], v[14:15], v[141:142]
	v_fma_f64 v[137:138], v[137:138], v[14:15], -v[16:17]
	scratch_load_b128 v[14:17], off, off offset:576
	v_add_f64_e32 v[115:116], v[115:116], v[129:130]
	v_add_f64_e32 v[121:122], v[121:122], v[131:132]
	ds_load_b128 v[127:130], v1 offset:1040
	s_wait_loadcnt_dscnt 0x901
	v_mul_f64_e32 v[131:132], v[2:3], v[20:21]
	v_mul_f64_e32 v[20:21], v[4:5], v[20:21]
	s_wait_loadcnt_dscnt 0x800
	v_mul_f64_e32 v[141:142], v[127:128], v[24:25]
	v_mul_f64_e32 v[24:25], v[129:130], v[24:25]
	v_add_f64_e32 v[115:116], v[115:116], v[145:146]
	v_add_f64_e32 v[121:122], v[121:122], v[143:144]
	v_fma_f64 v[131:132], v[4:5], v[18:19], v[131:132]
	v_fma_f64 v[143:144], v[2:3], v[18:19], -v[20:21]
	ds_load_b128 v[2:5], v1 offset:1056
	scratch_load_b128 v[18:21], off, off offset:592
	v_fma_f64 v[129:130], v[129:130], v[22:23], v[141:142]
	v_fma_f64 v[127:128], v[127:128], v[22:23], -v[24:25]
	scratch_load_b128 v[22:25], off, off offset:608
	v_add_f64_e32 v[115:116], v[115:116], v[137:138]
	v_add_f64_e32 v[121:122], v[121:122], v[139:140]
	ds_load_b128 v[137:140], v1 offset:1072
	s_wait_loadcnt_dscnt 0x901
	v_mul_f64_e32 v[145:146], v[2:3], v[28:29]
	v_mul_f64_e32 v[28:29], v[4:5], v[28:29]
	v_add_f64_e32 v[115:116], v[115:116], v[143:144]
	v_add_f64_e32 v[121:122], v[121:122], v[131:132]
	s_wait_loadcnt_dscnt 0x800
	v_mul_f64_e32 v[131:132], v[137:138], v[32:33]
	v_mul_f64_e32 v[32:33], v[139:140], v[32:33]
	v_fma_f64 v[141:142], v[4:5], v[26:27], v[145:146]
	v_fma_f64 v[143:144], v[2:3], v[26:27], -v[28:29]
	ds_load_b128 v[2:5], v1 offset:1088
	ds_load_b128 v[26:29], v1 offset:1104
	v_add_f64_e32 v[115:116], v[115:116], v[127:128]
	v_add_f64_e32 v[121:122], v[121:122], v[129:130]
	s_wait_loadcnt_dscnt 0x701
	v_mul_f64_e32 v[127:128], v[2:3], v[36:37]
	v_mul_f64_e32 v[36:37], v[4:5], v[36:37]
	v_fma_f64 v[129:130], v[139:140], v[30:31], v[131:132]
	v_fma_f64 v[30:31], v[137:138], v[30:31], -v[32:33]
	v_add_f64_e32 v[32:33], v[115:116], v[143:144]
	v_add_f64_e32 v[115:116], v[121:122], v[141:142]
	s_wait_loadcnt_dscnt 0x600
	v_mul_f64_e32 v[121:122], v[26:27], v[119:120]
	v_mul_f64_e32 v[119:120], v[28:29], v[119:120]
	v_fma_f64 v[127:128], v[4:5], v[34:35], v[127:128]
	v_fma_f64 v[34:35], v[2:3], v[34:35], -v[36:37]
	v_add_f64_e32 v[36:37], v[32:33], v[30:31]
	v_add_f64_e32 v[115:116], v[115:116], v[129:130]
	ds_load_b128 v[2:5], v1 offset:1120
	ds_load_b128 v[30:33], v1 offset:1136
	v_fma_f64 v[28:29], v[28:29], v[117:118], v[121:122]
	v_fma_f64 v[26:27], v[26:27], v[117:118], -v[119:120]
	s_wait_loadcnt_dscnt 0x401
	v_mul_f64_e32 v[129:130], v[2:3], v[135:136]
	v_mul_f64_e32 v[131:132], v[4:5], v[135:136]
	v_add_f64_e32 v[34:35], v[36:37], v[34:35]
	v_add_f64_e32 v[36:37], v[115:116], v[127:128]
	s_wait_dscnt 0x0
	v_mul_f64_e32 v[115:116], v[30:31], v[8:9]
	v_mul_f64_e32 v[8:9], v[32:33], v[8:9]
	v_fma_f64 v[117:118], v[4:5], v[133:134], v[129:130]
	v_fma_f64 v[119:120], v[2:3], v[133:134], -v[131:132]
	v_add_f64_e32 v[34:35], v[34:35], v[26:27]
	v_add_f64_e32 v[36:37], v[36:37], v[28:29]
	ds_load_b128 v[2:5], v1 offset:1152
	ds_load_b128 v[26:29], v1 offset:1168
	v_fma_f64 v[32:33], v[32:33], v[6:7], v[115:116]
	v_fma_f64 v[6:7], v[30:31], v[6:7], -v[8:9]
	s_wait_loadcnt_dscnt 0x301
	v_mul_f64_e32 v[121:122], v[2:3], v[12:13]
	v_mul_f64_e32 v[12:13], v[4:5], v[12:13]
	v_add_f64_e32 v[8:9], v[34:35], v[119:120]
	v_add_f64_e32 v[30:31], v[36:37], v[117:118]
	s_wait_loadcnt_dscnt 0x200
	v_mul_f64_e32 v[34:35], v[26:27], v[16:17]
	v_mul_f64_e32 v[16:17], v[28:29], v[16:17]
	v_fma_f64 v[36:37], v[4:5], v[10:11], v[121:122]
	v_fma_f64 v[10:11], v[2:3], v[10:11], -v[12:13]
	v_add_f64_e32 v[12:13], v[8:9], v[6:7]
	v_add_f64_e32 v[30:31], v[30:31], v[32:33]
	ds_load_b128 v[2:5], v1 offset:1184
	ds_load_b128 v[6:9], v1 offset:1200
	v_fma_f64 v[28:29], v[28:29], v[14:15], v[34:35]
	v_fma_f64 v[14:15], v[26:27], v[14:15], -v[16:17]
	s_wait_loadcnt_dscnt 0x101
	v_mul_f64_e32 v[32:33], v[2:3], v[20:21]
	v_mul_f64_e32 v[20:21], v[4:5], v[20:21]
	s_wait_loadcnt_dscnt 0x0
	v_mul_f64_e32 v[16:17], v[6:7], v[24:25]
	v_mul_f64_e32 v[24:25], v[8:9], v[24:25]
	v_add_f64_e32 v[10:11], v[12:13], v[10:11]
	v_add_f64_e32 v[12:13], v[30:31], v[36:37]
	v_fma_f64 v[4:5], v[4:5], v[18:19], v[32:33]
	v_fma_f64 v[1:2], v[2:3], v[18:19], -v[20:21]
	v_fma_f64 v[8:9], v[8:9], v[22:23], v[16:17]
	v_fma_f64 v[6:7], v[6:7], v[22:23], -v[24:25]
	v_add_f64_e32 v[10:11], v[10:11], v[14:15]
	v_add_f64_e32 v[12:13], v[12:13], v[28:29]
	s_delay_alu instid0(VALU_DEP_2) | instskip(NEXT) | instid1(VALU_DEP_2)
	v_add_f64_e32 v[1:2], v[10:11], v[1:2]
	v_add_f64_e32 v[3:4], v[12:13], v[4:5]
	s_delay_alu instid0(VALU_DEP_2) | instskip(NEXT) | instid1(VALU_DEP_2)
	;; [unrolled: 3-line block ×3, first 2 shown]
	v_add_f64_e64 v[1:2], v[123:124], -v[1:2]
	v_add_f64_e64 v[3:4], v[125:126], -v[3:4]
	scratch_store_b128 off, v[1:4], off offset:192
	v_cmpx_lt_u32_e32 10, v0
	s_cbranch_execz .LBB101_221
; %bb.220:
	scratch_load_b128 v[1:4], off, s30
	v_mov_b32_e32 v5, 0
	s_delay_alu instid0(VALU_DEP_1)
	v_dual_mov_b32 v6, v5 :: v_dual_mov_b32 v7, v5
	v_mov_b32_e32 v8, v5
	scratch_store_b128 off, v[5:8], off offset:176
	s_wait_loadcnt 0x0
	ds_store_b128 v114, v[1:4]
.LBB101_221:
	s_wait_alu 0xfffe
	s_or_b32 exec_lo, exec_lo, s0
	s_wait_storecnt_dscnt 0x0
	s_barrier_signal -1
	s_barrier_wait -1
	global_inv scope:SCOPE_SE
	s_clause 0x7
	scratch_load_b128 v[2:5], off, off offset:192
	scratch_load_b128 v[6:9], off, off offset:208
	;; [unrolled: 1-line block ×8, first 2 shown]
	v_mov_b32_e32 v1, 0
	s_mov_b32 s0, exec_lo
	ds_load_b128 v[34:37], v1 offset:784
	s_clause 0x1
	scratch_load_b128 v[115:118], off, off offset:320
	scratch_load_b128 v[119:122], off, off offset:176
	ds_load_b128 v[123:126], v1 offset:800
	scratch_load_b128 v[127:130], off, off offset:336
	s_wait_loadcnt_dscnt 0xa01
	v_mul_f64_e32 v[131:132], v[36:37], v[4:5]
	v_mul_f64_e32 v[4:5], v[34:35], v[4:5]
	s_delay_alu instid0(VALU_DEP_2) | instskip(NEXT) | instid1(VALU_DEP_2)
	v_fma_f64 v[137:138], v[34:35], v[2:3], -v[131:132]
	v_fma_f64 v[139:140], v[36:37], v[2:3], v[4:5]
	ds_load_b128 v[2:5], v1 offset:816
	s_wait_loadcnt_dscnt 0x901
	v_mul_f64_e32 v[135:136], v[123:124], v[8:9]
	v_mul_f64_e32 v[8:9], v[125:126], v[8:9]
	scratch_load_b128 v[34:37], off, off offset:352
	ds_load_b128 v[131:134], v1 offset:832
	s_wait_loadcnt_dscnt 0x901
	v_mul_f64_e32 v[141:142], v[2:3], v[12:13]
	v_mul_f64_e32 v[12:13], v[4:5], v[12:13]
	v_fma_f64 v[125:126], v[125:126], v[6:7], v[135:136]
	v_fma_f64 v[123:124], v[123:124], v[6:7], -v[8:9]
	v_add_f64_e32 v[135:136], 0, v[137:138]
	v_add_f64_e32 v[137:138], 0, v[139:140]
	scratch_load_b128 v[6:9], off, off offset:368
	v_fma_f64 v[141:142], v[4:5], v[10:11], v[141:142]
	v_fma_f64 v[143:144], v[2:3], v[10:11], -v[12:13]
	ds_load_b128 v[2:5], v1 offset:848
	s_wait_loadcnt_dscnt 0x901
	v_mul_f64_e32 v[139:140], v[131:132], v[16:17]
	v_mul_f64_e32 v[16:17], v[133:134], v[16:17]
	scratch_load_b128 v[10:13], off, off offset:384
	v_add_f64_e32 v[135:136], v[135:136], v[123:124]
	v_add_f64_e32 v[137:138], v[137:138], v[125:126]
	s_wait_loadcnt_dscnt 0x900
	v_mul_f64_e32 v[145:146], v[2:3], v[20:21]
	v_mul_f64_e32 v[20:21], v[4:5], v[20:21]
	ds_load_b128 v[123:126], v1 offset:864
	v_fma_f64 v[133:134], v[133:134], v[14:15], v[139:140]
	v_fma_f64 v[131:132], v[131:132], v[14:15], -v[16:17]
	scratch_load_b128 v[14:17], off, off offset:400
	v_add_f64_e32 v[135:136], v[135:136], v[143:144]
	v_add_f64_e32 v[137:138], v[137:138], v[141:142]
	v_fma_f64 v[141:142], v[4:5], v[18:19], v[145:146]
	v_fma_f64 v[143:144], v[2:3], v[18:19], -v[20:21]
	ds_load_b128 v[2:5], v1 offset:880
	s_wait_loadcnt_dscnt 0x901
	v_mul_f64_e32 v[139:140], v[123:124], v[24:25]
	v_mul_f64_e32 v[24:25], v[125:126], v[24:25]
	scratch_load_b128 v[18:21], off, off offset:416
	s_wait_loadcnt_dscnt 0x900
	v_mul_f64_e32 v[145:146], v[2:3], v[28:29]
	v_mul_f64_e32 v[28:29], v[4:5], v[28:29]
	v_add_f64_e32 v[135:136], v[135:136], v[131:132]
	v_add_f64_e32 v[137:138], v[137:138], v[133:134]
	ds_load_b128 v[131:134], v1 offset:896
	v_fma_f64 v[125:126], v[125:126], v[22:23], v[139:140]
	v_fma_f64 v[123:124], v[123:124], v[22:23], -v[24:25]
	scratch_load_b128 v[22:25], off, off offset:432
	v_add_f64_e32 v[135:136], v[135:136], v[143:144]
	v_add_f64_e32 v[137:138], v[137:138], v[141:142]
	v_fma_f64 v[141:142], v[4:5], v[26:27], v[145:146]
	v_fma_f64 v[143:144], v[2:3], v[26:27], -v[28:29]
	ds_load_b128 v[2:5], v1 offset:912
	s_wait_loadcnt_dscnt 0x901
	v_mul_f64_e32 v[139:140], v[131:132], v[32:33]
	v_mul_f64_e32 v[32:33], v[133:134], v[32:33]
	scratch_load_b128 v[26:29], off, off offset:448
	s_wait_loadcnt_dscnt 0x900
	v_mul_f64_e32 v[145:146], v[2:3], v[117:118]
	v_mul_f64_e32 v[117:118], v[4:5], v[117:118]
	v_add_f64_e32 v[135:136], v[135:136], v[123:124]
	v_add_f64_e32 v[137:138], v[137:138], v[125:126]
	ds_load_b128 v[123:126], v1 offset:928
	v_fma_f64 v[133:134], v[133:134], v[30:31], v[139:140]
	v_fma_f64 v[131:132], v[131:132], v[30:31], -v[32:33]
	scratch_load_b128 v[30:33], off, off offset:464
	v_add_f64_e32 v[135:136], v[135:136], v[143:144]
	v_add_f64_e32 v[137:138], v[137:138], v[141:142]
	v_fma_f64 v[143:144], v[4:5], v[115:116], v[145:146]
	v_fma_f64 v[145:146], v[2:3], v[115:116], -v[117:118]
	ds_load_b128 v[2:5], v1 offset:944
	s_wait_loadcnt_dscnt 0x801
	v_mul_f64_e32 v[139:140], v[123:124], v[129:130]
	v_mul_f64_e32 v[141:142], v[125:126], v[129:130]
	scratch_load_b128 v[115:118], off, off offset:480
	v_add_f64_e32 v[135:136], v[135:136], v[131:132]
	v_add_f64_e32 v[133:134], v[137:138], v[133:134]
	ds_load_b128 v[129:132], v1 offset:960
	v_fma_f64 v[139:140], v[125:126], v[127:128], v[139:140]
	v_fma_f64 v[127:128], v[123:124], v[127:128], -v[141:142]
	scratch_load_b128 v[123:126], off, off offset:496
	s_wait_loadcnt_dscnt 0x901
	v_mul_f64_e32 v[137:138], v[2:3], v[36:37]
	v_mul_f64_e32 v[36:37], v[4:5], v[36:37]
	v_add_f64_e32 v[135:136], v[135:136], v[145:146]
	v_add_f64_e32 v[133:134], v[133:134], v[143:144]
	s_delay_alu instid0(VALU_DEP_4) | instskip(NEXT) | instid1(VALU_DEP_4)
	v_fma_f64 v[137:138], v[4:5], v[34:35], v[137:138]
	v_fma_f64 v[143:144], v[2:3], v[34:35], -v[36:37]
	ds_load_b128 v[2:5], v1 offset:976
	s_wait_loadcnt_dscnt 0x801
	v_mul_f64_e32 v[141:142], v[129:130], v[8:9]
	v_mul_f64_e32 v[8:9], v[131:132], v[8:9]
	scratch_load_b128 v[34:37], off, off offset:512
	s_wait_loadcnt_dscnt 0x800
	v_mul_f64_e32 v[145:146], v[2:3], v[12:13]
	v_add_f64_e32 v[127:128], v[135:136], v[127:128]
	v_add_f64_e32 v[139:140], v[133:134], v[139:140]
	v_mul_f64_e32 v[12:13], v[4:5], v[12:13]
	ds_load_b128 v[133:136], v1 offset:992
	v_fma_f64 v[131:132], v[131:132], v[6:7], v[141:142]
	v_fma_f64 v[129:130], v[129:130], v[6:7], -v[8:9]
	scratch_load_b128 v[6:9], off, off offset:528
	v_fma_f64 v[141:142], v[4:5], v[10:11], v[145:146]
	v_add_f64_e32 v[127:128], v[127:128], v[143:144]
	v_add_f64_e32 v[137:138], v[139:140], v[137:138]
	v_fma_f64 v[143:144], v[2:3], v[10:11], -v[12:13]
	ds_load_b128 v[2:5], v1 offset:1008
	s_wait_loadcnt_dscnt 0x801
	v_mul_f64_e32 v[139:140], v[133:134], v[16:17]
	v_mul_f64_e32 v[16:17], v[135:136], v[16:17]
	scratch_load_b128 v[10:13], off, off offset:544
	v_add_f64_e32 v[145:146], v[127:128], v[129:130]
	v_add_f64_e32 v[131:132], v[137:138], v[131:132]
	s_wait_loadcnt_dscnt 0x800
	v_mul_f64_e32 v[137:138], v[2:3], v[20:21]
	v_mul_f64_e32 v[20:21], v[4:5], v[20:21]
	v_fma_f64 v[135:136], v[135:136], v[14:15], v[139:140]
	v_fma_f64 v[133:134], v[133:134], v[14:15], -v[16:17]
	ds_load_b128 v[127:130], v1 offset:1024
	scratch_load_b128 v[14:17], off, off offset:560
	v_add_f64_e32 v[139:140], v[145:146], v[143:144]
	v_add_f64_e32 v[131:132], v[131:132], v[141:142]
	v_fma_f64 v[137:138], v[4:5], v[18:19], v[137:138]
	v_fma_f64 v[143:144], v[2:3], v[18:19], -v[20:21]
	ds_load_b128 v[2:5], v1 offset:1040
	s_wait_loadcnt_dscnt 0x801
	v_mul_f64_e32 v[141:142], v[127:128], v[24:25]
	v_mul_f64_e32 v[24:25], v[129:130], v[24:25]
	scratch_load_b128 v[18:21], off, off offset:576
	s_wait_loadcnt_dscnt 0x800
	v_mul_f64_e32 v[145:146], v[2:3], v[28:29]
	v_mul_f64_e32 v[28:29], v[4:5], v[28:29]
	v_add_f64_e32 v[139:140], v[139:140], v[133:134]
	v_add_f64_e32 v[135:136], v[131:132], v[135:136]
	ds_load_b128 v[131:134], v1 offset:1056
	v_fma_f64 v[129:130], v[129:130], v[22:23], v[141:142]
	v_fma_f64 v[127:128], v[127:128], v[22:23], -v[24:25]
	scratch_load_b128 v[22:25], off, off offset:592
	v_fma_f64 v[141:142], v[4:5], v[26:27], v[145:146]
	v_add_f64_e32 v[139:140], v[139:140], v[143:144]
	v_add_f64_e32 v[135:136], v[135:136], v[137:138]
	v_fma_f64 v[143:144], v[2:3], v[26:27], -v[28:29]
	ds_load_b128 v[2:5], v1 offset:1072
	s_wait_loadcnt_dscnt 0x801
	v_mul_f64_e32 v[137:138], v[131:132], v[32:33]
	v_mul_f64_e32 v[32:33], v[133:134], v[32:33]
	scratch_load_b128 v[26:29], off, off offset:608
	s_wait_loadcnt_dscnt 0x800
	v_mul_f64_e32 v[145:146], v[2:3], v[117:118]
	v_mul_f64_e32 v[117:118], v[4:5], v[117:118]
	v_add_f64_e32 v[139:140], v[139:140], v[127:128]
	v_add_f64_e32 v[135:136], v[135:136], v[129:130]
	ds_load_b128 v[127:130], v1 offset:1088
	v_fma_f64 v[133:134], v[133:134], v[30:31], v[137:138]
	v_fma_f64 v[30:31], v[131:132], v[30:31], -v[32:33]
	v_fma_f64 v[137:138], v[4:5], v[115:116], v[145:146]
	v_fma_f64 v[115:116], v[2:3], v[115:116], -v[117:118]
	v_add_f64_e32 v[32:33], v[139:140], v[143:144]
	v_add_f64_e32 v[131:132], v[135:136], v[141:142]
	s_wait_loadcnt_dscnt 0x700
	v_mul_f64_e32 v[135:136], v[127:128], v[125:126]
	v_mul_f64_e32 v[125:126], v[129:130], v[125:126]
	s_delay_alu instid0(VALU_DEP_4) | instskip(NEXT) | instid1(VALU_DEP_4)
	v_add_f64_e32 v[117:118], v[32:33], v[30:31]
	v_add_f64_e32 v[131:132], v[131:132], v[133:134]
	ds_load_b128 v[2:5], v1 offset:1104
	ds_load_b128 v[30:33], v1 offset:1120
	v_fma_f64 v[129:130], v[129:130], v[123:124], v[135:136]
	v_fma_f64 v[123:124], v[127:128], v[123:124], -v[125:126]
	s_wait_loadcnt_dscnt 0x601
	v_mul_f64_e32 v[133:134], v[2:3], v[36:37]
	v_mul_f64_e32 v[36:37], v[4:5], v[36:37]
	s_wait_loadcnt_dscnt 0x500
	v_mul_f64_e32 v[125:126], v[30:31], v[8:9]
	v_mul_f64_e32 v[8:9], v[32:33], v[8:9]
	v_add_f64_e32 v[115:116], v[117:118], v[115:116]
	v_add_f64_e32 v[117:118], v[131:132], v[137:138]
	v_fma_f64 v[127:128], v[4:5], v[34:35], v[133:134]
	v_fma_f64 v[131:132], v[2:3], v[34:35], -v[36:37]
	ds_load_b128 v[2:5], v1 offset:1136
	ds_load_b128 v[34:37], v1 offset:1152
	v_fma_f64 v[32:33], v[32:33], v[6:7], v[125:126]
	v_fma_f64 v[6:7], v[30:31], v[6:7], -v[8:9]
	v_add_f64_e32 v[115:116], v[115:116], v[123:124]
	v_add_f64_e32 v[117:118], v[117:118], v[129:130]
	s_wait_loadcnt_dscnt 0x401
	v_mul_f64_e32 v[123:124], v[2:3], v[12:13]
	v_mul_f64_e32 v[12:13], v[4:5], v[12:13]
	s_delay_alu instid0(VALU_DEP_4) | instskip(NEXT) | instid1(VALU_DEP_4)
	v_add_f64_e32 v[8:9], v[115:116], v[131:132]
	v_add_f64_e32 v[30:31], v[117:118], v[127:128]
	s_wait_loadcnt_dscnt 0x300
	v_mul_f64_e32 v[115:116], v[34:35], v[16:17]
	v_mul_f64_e32 v[16:17], v[36:37], v[16:17]
	v_fma_f64 v[117:118], v[4:5], v[10:11], v[123:124]
	v_fma_f64 v[10:11], v[2:3], v[10:11], -v[12:13]
	v_add_f64_e32 v[12:13], v[8:9], v[6:7]
	v_add_f64_e32 v[30:31], v[30:31], v[32:33]
	ds_load_b128 v[2:5], v1 offset:1168
	ds_load_b128 v[6:9], v1 offset:1184
	v_fma_f64 v[36:37], v[36:37], v[14:15], v[115:116]
	v_fma_f64 v[14:15], v[34:35], v[14:15], -v[16:17]
	s_wait_loadcnt_dscnt 0x201
	v_mul_f64_e32 v[32:33], v[2:3], v[20:21]
	v_mul_f64_e32 v[20:21], v[4:5], v[20:21]
	s_wait_loadcnt_dscnt 0x100
	v_mul_f64_e32 v[16:17], v[6:7], v[24:25]
	v_mul_f64_e32 v[24:25], v[8:9], v[24:25]
	v_add_f64_e32 v[10:11], v[12:13], v[10:11]
	v_add_f64_e32 v[12:13], v[30:31], v[117:118]
	v_fma_f64 v[30:31], v[4:5], v[18:19], v[32:33]
	v_fma_f64 v[18:19], v[2:3], v[18:19], -v[20:21]
	ds_load_b128 v[2:5], v1 offset:1200
	v_fma_f64 v[8:9], v[8:9], v[22:23], v[16:17]
	v_fma_f64 v[6:7], v[6:7], v[22:23], -v[24:25]
	v_add_f64_e32 v[10:11], v[10:11], v[14:15]
	v_add_f64_e32 v[12:13], v[12:13], v[36:37]
	s_wait_loadcnt_dscnt 0x0
	v_mul_f64_e32 v[14:15], v[2:3], v[28:29]
	v_mul_f64_e32 v[20:21], v[4:5], v[28:29]
	s_delay_alu instid0(VALU_DEP_4) | instskip(NEXT) | instid1(VALU_DEP_4)
	v_add_f64_e32 v[10:11], v[10:11], v[18:19]
	v_add_f64_e32 v[12:13], v[12:13], v[30:31]
	s_delay_alu instid0(VALU_DEP_4) | instskip(NEXT) | instid1(VALU_DEP_4)
	v_fma_f64 v[4:5], v[4:5], v[26:27], v[14:15]
	v_fma_f64 v[2:3], v[2:3], v[26:27], -v[20:21]
	s_delay_alu instid0(VALU_DEP_4) | instskip(NEXT) | instid1(VALU_DEP_4)
	v_add_f64_e32 v[6:7], v[10:11], v[6:7]
	v_add_f64_e32 v[8:9], v[12:13], v[8:9]
	s_delay_alu instid0(VALU_DEP_2) | instskip(NEXT) | instid1(VALU_DEP_2)
	v_add_f64_e32 v[2:3], v[6:7], v[2:3]
	v_add_f64_e32 v[4:5], v[8:9], v[4:5]
	s_delay_alu instid0(VALU_DEP_2) | instskip(NEXT) | instid1(VALU_DEP_2)
	v_add_f64_e64 v[2:3], v[119:120], -v[2:3]
	v_add_f64_e64 v[4:5], v[121:122], -v[4:5]
	scratch_store_b128 off, v[2:5], off offset:176
	v_cmpx_lt_u32_e32 9, v0
	s_cbranch_execz .LBB101_223
; %bb.222:
	scratch_load_b128 v[5:8], off, s10
	v_dual_mov_b32 v2, v1 :: v_dual_mov_b32 v3, v1
	v_mov_b32_e32 v4, v1
	scratch_store_b128 off, v[1:4], off offset:160
	s_wait_loadcnt 0x0
	ds_store_b128 v114, v[5:8]
.LBB101_223:
	s_wait_alu 0xfffe
	s_or_b32 exec_lo, exec_lo, s0
	s_wait_storecnt_dscnt 0x0
	s_barrier_signal -1
	s_barrier_wait -1
	global_inv scope:SCOPE_SE
	s_clause 0x8
	scratch_load_b128 v[2:5], off, off offset:176
	scratch_load_b128 v[6:9], off, off offset:192
	;; [unrolled: 1-line block ×9, first 2 shown]
	ds_load_b128 v[115:118], v1 offset:768
	ds_load_b128 v[119:122], v1 offset:784
	s_clause 0x1
	scratch_load_b128 v[123:126], off, off offset:160
	scratch_load_b128 v[127:130], off, off offset:320
	s_mov_b32 s0, exec_lo
	s_wait_loadcnt_dscnt 0xa01
	v_mul_f64_e32 v[131:132], v[117:118], v[4:5]
	v_mul_f64_e32 v[4:5], v[115:116], v[4:5]
	s_wait_loadcnt_dscnt 0x900
	v_mul_f64_e32 v[135:136], v[119:120], v[8:9]
	v_mul_f64_e32 v[8:9], v[121:122], v[8:9]
	s_delay_alu instid0(VALU_DEP_4) | instskip(NEXT) | instid1(VALU_DEP_4)
	v_fma_f64 v[137:138], v[115:116], v[2:3], -v[131:132]
	v_fma_f64 v[139:140], v[117:118], v[2:3], v[4:5]
	ds_load_b128 v[2:5], v1 offset:800
	ds_load_b128 v[131:134], v1 offset:816
	scratch_load_b128 v[115:118], off, off offset:336
	v_fma_f64 v[121:122], v[121:122], v[6:7], v[135:136]
	v_fma_f64 v[119:120], v[119:120], v[6:7], -v[8:9]
	scratch_load_b128 v[6:9], off, off offset:352
	s_wait_loadcnt_dscnt 0xa01
	v_mul_f64_e32 v[141:142], v[2:3], v[12:13]
	v_mul_f64_e32 v[12:13], v[4:5], v[12:13]
	v_add_f64_e32 v[135:136], 0, v[137:138]
	v_add_f64_e32 v[137:138], 0, v[139:140]
	s_wait_loadcnt_dscnt 0x900
	v_mul_f64_e32 v[139:140], v[131:132], v[16:17]
	v_mul_f64_e32 v[16:17], v[133:134], v[16:17]
	v_fma_f64 v[141:142], v[4:5], v[10:11], v[141:142]
	v_fma_f64 v[143:144], v[2:3], v[10:11], -v[12:13]
	ds_load_b128 v[2:5], v1 offset:832
	scratch_load_b128 v[10:13], off, off offset:368
	v_add_f64_e32 v[135:136], v[135:136], v[119:120]
	v_add_f64_e32 v[137:138], v[137:138], v[121:122]
	ds_load_b128 v[119:122], v1 offset:848
	v_fma_f64 v[133:134], v[133:134], v[14:15], v[139:140]
	v_fma_f64 v[131:132], v[131:132], v[14:15], -v[16:17]
	scratch_load_b128 v[14:17], off, off offset:384
	s_wait_loadcnt_dscnt 0xa01
	v_mul_f64_e32 v[145:146], v[2:3], v[20:21]
	v_mul_f64_e32 v[20:21], v[4:5], v[20:21]
	s_wait_loadcnt_dscnt 0x900
	v_mul_f64_e32 v[139:140], v[119:120], v[24:25]
	v_mul_f64_e32 v[24:25], v[121:122], v[24:25]
	v_add_f64_e32 v[135:136], v[135:136], v[143:144]
	v_add_f64_e32 v[137:138], v[137:138], v[141:142]
	v_fma_f64 v[141:142], v[4:5], v[18:19], v[145:146]
	v_fma_f64 v[143:144], v[2:3], v[18:19], -v[20:21]
	ds_load_b128 v[2:5], v1 offset:864
	scratch_load_b128 v[18:21], off, off offset:400
	v_fma_f64 v[121:122], v[121:122], v[22:23], v[139:140]
	v_fma_f64 v[119:120], v[119:120], v[22:23], -v[24:25]
	scratch_load_b128 v[22:25], off, off offset:416
	v_add_f64_e32 v[135:136], v[135:136], v[131:132]
	v_add_f64_e32 v[137:138], v[137:138], v[133:134]
	ds_load_b128 v[131:134], v1 offset:880
	s_wait_loadcnt_dscnt 0xa01
	v_mul_f64_e32 v[145:146], v[2:3], v[28:29]
	v_mul_f64_e32 v[28:29], v[4:5], v[28:29]
	s_wait_loadcnt_dscnt 0x900
	v_mul_f64_e32 v[139:140], v[131:132], v[32:33]
	v_mul_f64_e32 v[32:33], v[133:134], v[32:33]
	v_add_f64_e32 v[135:136], v[135:136], v[143:144]
	v_add_f64_e32 v[137:138], v[137:138], v[141:142]
	v_fma_f64 v[141:142], v[4:5], v[26:27], v[145:146]
	v_fma_f64 v[143:144], v[2:3], v[26:27], -v[28:29]
	ds_load_b128 v[2:5], v1 offset:896
	scratch_load_b128 v[26:29], off, off offset:432
	v_fma_f64 v[133:134], v[133:134], v[30:31], v[139:140]
	v_fma_f64 v[131:132], v[131:132], v[30:31], -v[32:33]
	scratch_load_b128 v[30:33], off, off offset:448
	v_add_f64_e32 v[135:136], v[135:136], v[119:120]
	v_add_f64_e32 v[137:138], v[137:138], v[121:122]
	ds_load_b128 v[119:122], v1 offset:912
	s_wait_loadcnt_dscnt 0xa01
	v_mul_f64_e32 v[145:146], v[2:3], v[36:37]
	v_mul_f64_e32 v[36:37], v[4:5], v[36:37]
	s_wait_loadcnt_dscnt 0x800
	v_mul_f64_e32 v[139:140], v[119:120], v[129:130]
	v_add_f64_e32 v[135:136], v[135:136], v[143:144]
	v_add_f64_e32 v[137:138], v[137:138], v[141:142]
	v_mul_f64_e32 v[141:142], v[121:122], v[129:130]
	v_fma_f64 v[143:144], v[4:5], v[34:35], v[145:146]
	v_fma_f64 v[145:146], v[2:3], v[34:35], -v[36:37]
	ds_load_b128 v[2:5], v1 offset:928
	scratch_load_b128 v[34:37], off, off offset:464
	v_fma_f64 v[121:122], v[121:122], v[127:128], v[139:140]
	v_add_f64_e32 v[135:136], v[135:136], v[131:132]
	v_add_f64_e32 v[133:134], v[137:138], v[133:134]
	ds_load_b128 v[129:132], v1 offset:944
	v_fma_f64 v[127:128], v[119:120], v[127:128], -v[141:142]
	s_wait_loadcnt_dscnt 0x801
	v_mul_f64_e32 v[137:138], v[2:3], v[117:118]
	v_mul_f64_e32 v[147:148], v[4:5], v[117:118]
	scratch_load_b128 v[117:120], off, off offset:480
	s_wait_loadcnt_dscnt 0x800
	v_mul_f64_e32 v[141:142], v[129:130], v[8:9]
	v_mul_f64_e32 v[8:9], v[131:132], v[8:9]
	v_add_f64_e32 v[135:136], v[135:136], v[145:146]
	v_add_f64_e32 v[133:134], v[133:134], v[143:144]
	v_fma_f64 v[143:144], v[4:5], v[115:116], v[137:138]
	v_fma_f64 v[115:116], v[2:3], v[115:116], -v[147:148]
	ds_load_b128 v[2:5], v1 offset:960
	ds_load_b128 v[137:140], v1 offset:976
	v_fma_f64 v[131:132], v[131:132], v[6:7], v[141:142]
	v_fma_f64 v[129:130], v[129:130], v[6:7], -v[8:9]
	scratch_load_b128 v[6:9], off, off offset:512
	v_add_f64_e32 v[127:128], v[135:136], v[127:128]
	v_add_f64_e32 v[121:122], v[133:134], v[121:122]
	scratch_load_b128 v[133:136], off, off offset:496
	s_wait_loadcnt_dscnt 0x901
	v_mul_f64_e32 v[145:146], v[2:3], v[12:13]
	v_mul_f64_e32 v[12:13], v[4:5], v[12:13]
	s_wait_loadcnt_dscnt 0x800
	v_mul_f64_e32 v[141:142], v[137:138], v[16:17]
	v_mul_f64_e32 v[16:17], v[139:140], v[16:17]
	v_add_f64_e32 v[115:116], v[127:128], v[115:116]
	v_add_f64_e32 v[121:122], v[121:122], v[143:144]
	v_fma_f64 v[143:144], v[4:5], v[10:11], v[145:146]
	v_fma_f64 v[145:146], v[2:3], v[10:11], -v[12:13]
	ds_load_b128 v[2:5], v1 offset:992
	scratch_load_b128 v[10:13], off, off offset:528
	v_fma_f64 v[139:140], v[139:140], v[14:15], v[141:142]
	v_fma_f64 v[137:138], v[137:138], v[14:15], -v[16:17]
	scratch_load_b128 v[14:17], off, off offset:544
	v_add_f64_e32 v[115:116], v[115:116], v[129:130]
	v_add_f64_e32 v[121:122], v[121:122], v[131:132]
	ds_load_b128 v[127:130], v1 offset:1008
	s_wait_loadcnt_dscnt 0x901
	v_mul_f64_e32 v[131:132], v[2:3], v[20:21]
	v_mul_f64_e32 v[20:21], v[4:5], v[20:21]
	s_wait_loadcnt_dscnt 0x800
	v_mul_f64_e32 v[141:142], v[127:128], v[24:25]
	v_mul_f64_e32 v[24:25], v[129:130], v[24:25]
	v_add_f64_e32 v[115:116], v[115:116], v[145:146]
	v_add_f64_e32 v[121:122], v[121:122], v[143:144]
	v_fma_f64 v[131:132], v[4:5], v[18:19], v[131:132]
	v_fma_f64 v[143:144], v[2:3], v[18:19], -v[20:21]
	ds_load_b128 v[2:5], v1 offset:1024
	scratch_load_b128 v[18:21], off, off offset:560
	v_fma_f64 v[129:130], v[129:130], v[22:23], v[141:142]
	v_fma_f64 v[127:128], v[127:128], v[22:23], -v[24:25]
	scratch_load_b128 v[22:25], off, off offset:576
	v_add_f64_e32 v[115:116], v[115:116], v[137:138]
	v_add_f64_e32 v[121:122], v[121:122], v[139:140]
	ds_load_b128 v[137:140], v1 offset:1040
	s_wait_loadcnt_dscnt 0x901
	v_mul_f64_e32 v[145:146], v[2:3], v[28:29]
	v_mul_f64_e32 v[28:29], v[4:5], v[28:29]
	v_add_f64_e32 v[115:116], v[115:116], v[143:144]
	v_add_f64_e32 v[121:122], v[121:122], v[131:132]
	s_wait_loadcnt_dscnt 0x800
	v_mul_f64_e32 v[131:132], v[137:138], v[32:33]
	v_mul_f64_e32 v[32:33], v[139:140], v[32:33]
	v_fma_f64 v[141:142], v[4:5], v[26:27], v[145:146]
	v_fma_f64 v[143:144], v[2:3], v[26:27], -v[28:29]
	ds_load_b128 v[2:5], v1 offset:1056
	scratch_load_b128 v[26:29], off, off offset:592
	v_add_f64_e32 v[115:116], v[115:116], v[127:128]
	v_add_f64_e32 v[121:122], v[121:122], v[129:130]
	ds_load_b128 v[127:130], v1 offset:1072
	s_wait_loadcnt_dscnt 0x801
	v_mul_f64_e32 v[145:146], v[2:3], v[36:37]
	v_mul_f64_e32 v[36:37], v[4:5], v[36:37]
	v_fma_f64 v[131:132], v[139:140], v[30:31], v[131:132]
	v_fma_f64 v[137:138], v[137:138], v[30:31], -v[32:33]
	scratch_load_b128 v[30:33], off, off offset:608
	s_wait_loadcnt_dscnt 0x800
	v_mul_f64_e32 v[139:140], v[127:128], v[119:120]
	v_add_f64_e32 v[115:116], v[115:116], v[143:144]
	v_add_f64_e32 v[121:122], v[121:122], v[141:142]
	v_mul_f64_e32 v[119:120], v[129:130], v[119:120]
	v_fma_f64 v[141:142], v[4:5], v[34:35], v[145:146]
	v_fma_f64 v[143:144], v[2:3], v[34:35], -v[36:37]
	ds_load_b128 v[2:5], v1 offset:1088
	ds_load_b128 v[34:37], v1 offset:1104
	v_fma_f64 v[129:130], v[129:130], v[117:118], v[139:140]
	v_add_f64_e32 v[115:116], v[115:116], v[137:138]
	v_add_f64_e32 v[121:122], v[121:122], v[131:132]
	v_fma_f64 v[117:118], v[127:128], v[117:118], -v[119:120]
	s_wait_loadcnt_dscnt 0x601
	v_mul_f64_e32 v[131:132], v[2:3], v[135:136]
	v_mul_f64_e32 v[135:136], v[4:5], v[135:136]
	v_add_f64_e32 v[115:116], v[115:116], v[143:144]
	v_add_f64_e32 v[119:120], v[121:122], v[141:142]
	s_wait_dscnt 0x0
	v_mul_f64_e32 v[121:122], v[34:35], v[8:9]
	v_mul_f64_e32 v[8:9], v[36:37], v[8:9]
	v_fma_f64 v[127:128], v[4:5], v[133:134], v[131:132]
	v_fma_f64 v[131:132], v[2:3], v[133:134], -v[135:136]
	v_add_f64_e32 v[133:134], v[115:116], v[117:118]
	v_add_f64_e32 v[119:120], v[119:120], v[129:130]
	ds_load_b128 v[2:5], v1 offset:1120
	ds_load_b128 v[115:118], v1 offset:1136
	v_fma_f64 v[36:37], v[36:37], v[6:7], v[121:122]
	v_fma_f64 v[6:7], v[34:35], v[6:7], -v[8:9]
	s_wait_loadcnt_dscnt 0x501
	v_mul_f64_e32 v[129:130], v[2:3], v[12:13]
	v_mul_f64_e32 v[12:13], v[4:5], v[12:13]
	v_add_f64_e32 v[8:9], v[133:134], v[131:132]
	v_add_f64_e32 v[34:35], v[119:120], v[127:128]
	s_wait_loadcnt_dscnt 0x400
	v_mul_f64_e32 v[119:120], v[115:116], v[16:17]
	v_mul_f64_e32 v[16:17], v[117:118], v[16:17]
	v_fma_f64 v[121:122], v[4:5], v[10:11], v[129:130]
	v_fma_f64 v[10:11], v[2:3], v[10:11], -v[12:13]
	v_add_f64_e32 v[12:13], v[8:9], v[6:7]
	v_add_f64_e32 v[34:35], v[34:35], v[36:37]
	ds_load_b128 v[2:5], v1 offset:1152
	ds_load_b128 v[6:9], v1 offset:1168
	v_fma_f64 v[117:118], v[117:118], v[14:15], v[119:120]
	v_fma_f64 v[14:15], v[115:116], v[14:15], -v[16:17]
	s_wait_loadcnt_dscnt 0x301
	v_mul_f64_e32 v[36:37], v[2:3], v[20:21]
	v_mul_f64_e32 v[20:21], v[4:5], v[20:21]
	s_wait_loadcnt_dscnt 0x200
	v_mul_f64_e32 v[16:17], v[6:7], v[24:25]
	v_mul_f64_e32 v[24:25], v[8:9], v[24:25]
	v_add_f64_e32 v[10:11], v[12:13], v[10:11]
	v_add_f64_e32 v[12:13], v[34:35], v[121:122]
	v_fma_f64 v[34:35], v[4:5], v[18:19], v[36:37]
	v_fma_f64 v[18:19], v[2:3], v[18:19], -v[20:21]
	v_fma_f64 v[8:9], v[8:9], v[22:23], v[16:17]
	v_fma_f64 v[6:7], v[6:7], v[22:23], -v[24:25]
	v_add_f64_e32 v[14:15], v[10:11], v[14:15]
	v_add_f64_e32 v[20:21], v[12:13], v[117:118]
	ds_load_b128 v[2:5], v1 offset:1184
	ds_load_b128 v[10:13], v1 offset:1200
	s_wait_loadcnt_dscnt 0x101
	v_mul_f64_e32 v[36:37], v[2:3], v[28:29]
	v_mul_f64_e32 v[28:29], v[4:5], v[28:29]
	v_add_f64_e32 v[14:15], v[14:15], v[18:19]
	v_add_f64_e32 v[16:17], v[20:21], v[34:35]
	s_wait_loadcnt_dscnt 0x0
	v_mul_f64_e32 v[18:19], v[10:11], v[32:33]
	v_mul_f64_e32 v[20:21], v[12:13], v[32:33]
	v_fma_f64 v[4:5], v[4:5], v[26:27], v[36:37]
	v_fma_f64 v[1:2], v[2:3], v[26:27], -v[28:29]
	v_add_f64_e32 v[6:7], v[14:15], v[6:7]
	v_add_f64_e32 v[8:9], v[16:17], v[8:9]
	v_fma_f64 v[12:13], v[12:13], v[30:31], v[18:19]
	v_fma_f64 v[10:11], v[10:11], v[30:31], -v[20:21]
	s_delay_alu instid0(VALU_DEP_4) | instskip(NEXT) | instid1(VALU_DEP_4)
	v_add_f64_e32 v[1:2], v[6:7], v[1:2]
	v_add_f64_e32 v[3:4], v[8:9], v[4:5]
	s_delay_alu instid0(VALU_DEP_2) | instskip(NEXT) | instid1(VALU_DEP_2)
	v_add_f64_e32 v[1:2], v[1:2], v[10:11]
	v_add_f64_e32 v[3:4], v[3:4], v[12:13]
	s_delay_alu instid0(VALU_DEP_2) | instskip(NEXT) | instid1(VALU_DEP_2)
	v_add_f64_e64 v[1:2], v[123:124], -v[1:2]
	v_add_f64_e64 v[3:4], v[125:126], -v[3:4]
	scratch_store_b128 off, v[1:4], off offset:160
	v_cmpx_lt_u32_e32 8, v0
	s_cbranch_execz .LBB101_225
; %bb.224:
	scratch_load_b128 v[1:4], off, s29
	v_mov_b32_e32 v5, 0
	s_delay_alu instid0(VALU_DEP_1)
	v_dual_mov_b32 v6, v5 :: v_dual_mov_b32 v7, v5
	v_mov_b32_e32 v8, v5
	scratch_store_b128 off, v[5:8], off offset:144
	s_wait_loadcnt 0x0
	ds_store_b128 v114, v[1:4]
.LBB101_225:
	s_wait_alu 0xfffe
	s_or_b32 exec_lo, exec_lo, s0
	s_wait_storecnt_dscnt 0x0
	s_barrier_signal -1
	s_barrier_wait -1
	global_inv scope:SCOPE_SE
	s_clause 0x7
	scratch_load_b128 v[2:5], off, off offset:160
	scratch_load_b128 v[6:9], off, off offset:176
	;; [unrolled: 1-line block ×8, first 2 shown]
	v_mov_b32_e32 v1, 0
	s_mov_b32 s0, exec_lo
	ds_load_b128 v[34:37], v1 offset:752
	s_clause 0x1
	scratch_load_b128 v[115:118], off, off offset:288
	scratch_load_b128 v[119:122], off, off offset:144
	ds_load_b128 v[123:126], v1 offset:768
	scratch_load_b128 v[127:130], off, off offset:304
	s_wait_loadcnt_dscnt 0xa01
	v_mul_f64_e32 v[131:132], v[36:37], v[4:5]
	v_mul_f64_e32 v[4:5], v[34:35], v[4:5]
	s_delay_alu instid0(VALU_DEP_2) | instskip(NEXT) | instid1(VALU_DEP_2)
	v_fma_f64 v[137:138], v[34:35], v[2:3], -v[131:132]
	v_fma_f64 v[139:140], v[36:37], v[2:3], v[4:5]
	ds_load_b128 v[2:5], v1 offset:784
	s_wait_loadcnt_dscnt 0x901
	v_mul_f64_e32 v[135:136], v[123:124], v[8:9]
	v_mul_f64_e32 v[8:9], v[125:126], v[8:9]
	scratch_load_b128 v[34:37], off, off offset:320
	ds_load_b128 v[131:134], v1 offset:800
	s_wait_loadcnt_dscnt 0x901
	v_mul_f64_e32 v[141:142], v[2:3], v[12:13]
	v_mul_f64_e32 v[12:13], v[4:5], v[12:13]
	v_fma_f64 v[125:126], v[125:126], v[6:7], v[135:136]
	v_fma_f64 v[123:124], v[123:124], v[6:7], -v[8:9]
	v_add_f64_e32 v[135:136], 0, v[137:138]
	v_add_f64_e32 v[137:138], 0, v[139:140]
	scratch_load_b128 v[6:9], off, off offset:336
	v_fma_f64 v[141:142], v[4:5], v[10:11], v[141:142]
	v_fma_f64 v[143:144], v[2:3], v[10:11], -v[12:13]
	ds_load_b128 v[2:5], v1 offset:816
	s_wait_loadcnt_dscnt 0x901
	v_mul_f64_e32 v[139:140], v[131:132], v[16:17]
	v_mul_f64_e32 v[16:17], v[133:134], v[16:17]
	scratch_load_b128 v[10:13], off, off offset:352
	v_add_f64_e32 v[135:136], v[135:136], v[123:124]
	v_add_f64_e32 v[137:138], v[137:138], v[125:126]
	s_wait_loadcnt_dscnt 0x900
	v_mul_f64_e32 v[145:146], v[2:3], v[20:21]
	v_mul_f64_e32 v[20:21], v[4:5], v[20:21]
	ds_load_b128 v[123:126], v1 offset:832
	v_fma_f64 v[133:134], v[133:134], v[14:15], v[139:140]
	v_fma_f64 v[131:132], v[131:132], v[14:15], -v[16:17]
	scratch_load_b128 v[14:17], off, off offset:368
	v_add_f64_e32 v[135:136], v[135:136], v[143:144]
	v_add_f64_e32 v[137:138], v[137:138], v[141:142]
	v_fma_f64 v[141:142], v[4:5], v[18:19], v[145:146]
	v_fma_f64 v[143:144], v[2:3], v[18:19], -v[20:21]
	ds_load_b128 v[2:5], v1 offset:848
	s_wait_loadcnt_dscnt 0x901
	v_mul_f64_e32 v[139:140], v[123:124], v[24:25]
	v_mul_f64_e32 v[24:25], v[125:126], v[24:25]
	scratch_load_b128 v[18:21], off, off offset:384
	s_wait_loadcnt_dscnt 0x900
	v_mul_f64_e32 v[145:146], v[2:3], v[28:29]
	v_mul_f64_e32 v[28:29], v[4:5], v[28:29]
	v_add_f64_e32 v[135:136], v[135:136], v[131:132]
	v_add_f64_e32 v[137:138], v[137:138], v[133:134]
	ds_load_b128 v[131:134], v1 offset:864
	v_fma_f64 v[125:126], v[125:126], v[22:23], v[139:140]
	v_fma_f64 v[123:124], v[123:124], v[22:23], -v[24:25]
	scratch_load_b128 v[22:25], off, off offset:400
	v_add_f64_e32 v[135:136], v[135:136], v[143:144]
	v_add_f64_e32 v[137:138], v[137:138], v[141:142]
	v_fma_f64 v[141:142], v[4:5], v[26:27], v[145:146]
	v_fma_f64 v[143:144], v[2:3], v[26:27], -v[28:29]
	ds_load_b128 v[2:5], v1 offset:880
	s_wait_loadcnt_dscnt 0x901
	v_mul_f64_e32 v[139:140], v[131:132], v[32:33]
	v_mul_f64_e32 v[32:33], v[133:134], v[32:33]
	scratch_load_b128 v[26:29], off, off offset:416
	s_wait_loadcnt_dscnt 0x900
	v_mul_f64_e32 v[145:146], v[2:3], v[117:118]
	v_mul_f64_e32 v[117:118], v[4:5], v[117:118]
	v_add_f64_e32 v[135:136], v[135:136], v[123:124]
	v_add_f64_e32 v[137:138], v[137:138], v[125:126]
	ds_load_b128 v[123:126], v1 offset:896
	v_fma_f64 v[133:134], v[133:134], v[30:31], v[139:140]
	v_fma_f64 v[131:132], v[131:132], v[30:31], -v[32:33]
	scratch_load_b128 v[30:33], off, off offset:432
	v_add_f64_e32 v[135:136], v[135:136], v[143:144]
	v_add_f64_e32 v[137:138], v[137:138], v[141:142]
	v_fma_f64 v[143:144], v[4:5], v[115:116], v[145:146]
	v_fma_f64 v[145:146], v[2:3], v[115:116], -v[117:118]
	ds_load_b128 v[2:5], v1 offset:912
	s_wait_loadcnt_dscnt 0x801
	v_mul_f64_e32 v[139:140], v[123:124], v[129:130]
	v_mul_f64_e32 v[141:142], v[125:126], v[129:130]
	scratch_load_b128 v[115:118], off, off offset:448
	v_add_f64_e32 v[135:136], v[135:136], v[131:132]
	v_add_f64_e32 v[133:134], v[137:138], v[133:134]
	ds_load_b128 v[129:132], v1 offset:928
	v_fma_f64 v[139:140], v[125:126], v[127:128], v[139:140]
	v_fma_f64 v[127:128], v[123:124], v[127:128], -v[141:142]
	scratch_load_b128 v[123:126], off, off offset:464
	s_wait_loadcnt_dscnt 0x901
	v_mul_f64_e32 v[137:138], v[2:3], v[36:37]
	v_mul_f64_e32 v[36:37], v[4:5], v[36:37]
	v_add_f64_e32 v[135:136], v[135:136], v[145:146]
	v_add_f64_e32 v[133:134], v[133:134], v[143:144]
	s_delay_alu instid0(VALU_DEP_4) | instskip(NEXT) | instid1(VALU_DEP_4)
	v_fma_f64 v[137:138], v[4:5], v[34:35], v[137:138]
	v_fma_f64 v[143:144], v[2:3], v[34:35], -v[36:37]
	ds_load_b128 v[2:5], v1 offset:944
	s_wait_loadcnt_dscnt 0x801
	v_mul_f64_e32 v[141:142], v[129:130], v[8:9]
	v_mul_f64_e32 v[8:9], v[131:132], v[8:9]
	scratch_load_b128 v[34:37], off, off offset:480
	s_wait_loadcnt_dscnt 0x800
	v_mul_f64_e32 v[145:146], v[2:3], v[12:13]
	v_add_f64_e32 v[127:128], v[135:136], v[127:128]
	v_add_f64_e32 v[139:140], v[133:134], v[139:140]
	v_mul_f64_e32 v[12:13], v[4:5], v[12:13]
	ds_load_b128 v[133:136], v1 offset:960
	v_fma_f64 v[131:132], v[131:132], v[6:7], v[141:142]
	v_fma_f64 v[129:130], v[129:130], v[6:7], -v[8:9]
	scratch_load_b128 v[6:9], off, off offset:496
	v_fma_f64 v[141:142], v[4:5], v[10:11], v[145:146]
	v_add_f64_e32 v[127:128], v[127:128], v[143:144]
	v_add_f64_e32 v[137:138], v[139:140], v[137:138]
	v_fma_f64 v[143:144], v[2:3], v[10:11], -v[12:13]
	ds_load_b128 v[2:5], v1 offset:976
	s_wait_loadcnt_dscnt 0x801
	v_mul_f64_e32 v[139:140], v[133:134], v[16:17]
	v_mul_f64_e32 v[16:17], v[135:136], v[16:17]
	scratch_load_b128 v[10:13], off, off offset:512
	v_add_f64_e32 v[145:146], v[127:128], v[129:130]
	v_add_f64_e32 v[131:132], v[137:138], v[131:132]
	s_wait_loadcnt_dscnt 0x800
	v_mul_f64_e32 v[137:138], v[2:3], v[20:21]
	v_mul_f64_e32 v[20:21], v[4:5], v[20:21]
	v_fma_f64 v[135:136], v[135:136], v[14:15], v[139:140]
	v_fma_f64 v[133:134], v[133:134], v[14:15], -v[16:17]
	ds_load_b128 v[127:130], v1 offset:992
	scratch_load_b128 v[14:17], off, off offset:528
	v_add_f64_e32 v[139:140], v[145:146], v[143:144]
	v_add_f64_e32 v[131:132], v[131:132], v[141:142]
	v_fma_f64 v[137:138], v[4:5], v[18:19], v[137:138]
	v_fma_f64 v[143:144], v[2:3], v[18:19], -v[20:21]
	ds_load_b128 v[2:5], v1 offset:1008
	s_wait_loadcnt_dscnt 0x801
	v_mul_f64_e32 v[141:142], v[127:128], v[24:25]
	v_mul_f64_e32 v[24:25], v[129:130], v[24:25]
	scratch_load_b128 v[18:21], off, off offset:544
	s_wait_loadcnt_dscnt 0x800
	v_mul_f64_e32 v[145:146], v[2:3], v[28:29]
	v_mul_f64_e32 v[28:29], v[4:5], v[28:29]
	v_add_f64_e32 v[139:140], v[139:140], v[133:134]
	v_add_f64_e32 v[135:136], v[131:132], v[135:136]
	ds_load_b128 v[131:134], v1 offset:1024
	v_fma_f64 v[129:130], v[129:130], v[22:23], v[141:142]
	v_fma_f64 v[127:128], v[127:128], v[22:23], -v[24:25]
	scratch_load_b128 v[22:25], off, off offset:560
	v_fma_f64 v[141:142], v[4:5], v[26:27], v[145:146]
	v_add_f64_e32 v[139:140], v[139:140], v[143:144]
	v_add_f64_e32 v[135:136], v[135:136], v[137:138]
	v_fma_f64 v[143:144], v[2:3], v[26:27], -v[28:29]
	ds_load_b128 v[2:5], v1 offset:1040
	s_wait_loadcnt_dscnt 0x801
	v_mul_f64_e32 v[137:138], v[131:132], v[32:33]
	v_mul_f64_e32 v[32:33], v[133:134], v[32:33]
	scratch_load_b128 v[26:29], off, off offset:576
	s_wait_loadcnt_dscnt 0x800
	v_mul_f64_e32 v[145:146], v[2:3], v[117:118]
	v_mul_f64_e32 v[117:118], v[4:5], v[117:118]
	v_add_f64_e32 v[139:140], v[139:140], v[127:128]
	v_add_f64_e32 v[135:136], v[135:136], v[129:130]
	ds_load_b128 v[127:130], v1 offset:1056
	v_fma_f64 v[133:134], v[133:134], v[30:31], v[137:138]
	v_fma_f64 v[131:132], v[131:132], v[30:31], -v[32:33]
	scratch_load_b128 v[30:33], off, off offset:592
	v_add_f64_e32 v[137:138], v[139:140], v[143:144]
	v_add_f64_e32 v[135:136], v[135:136], v[141:142]
	v_fma_f64 v[141:142], v[4:5], v[115:116], v[145:146]
	v_fma_f64 v[143:144], v[2:3], v[115:116], -v[117:118]
	ds_load_b128 v[2:5], v1 offset:1072
	s_wait_loadcnt_dscnt 0x801
	v_mul_f64_e32 v[139:140], v[127:128], v[125:126]
	v_mul_f64_e32 v[125:126], v[129:130], v[125:126]
	scratch_load_b128 v[115:118], off, off offset:608
	s_wait_loadcnt_dscnt 0x800
	v_mul_f64_e32 v[145:146], v[2:3], v[36:37]
	v_mul_f64_e32 v[36:37], v[4:5], v[36:37]
	v_add_f64_e32 v[137:138], v[137:138], v[131:132]
	v_add_f64_e32 v[135:136], v[135:136], v[133:134]
	ds_load_b128 v[131:134], v1 offset:1088
	v_fma_f64 v[129:130], v[129:130], v[123:124], v[139:140]
	v_fma_f64 v[123:124], v[127:128], v[123:124], -v[125:126]
	v_fma_f64 v[139:140], v[2:3], v[34:35], -v[36:37]
	v_add_f64_e32 v[125:126], v[137:138], v[143:144]
	v_add_f64_e32 v[127:128], v[135:136], v[141:142]
	s_wait_loadcnt_dscnt 0x700
	v_mul_f64_e32 v[135:136], v[131:132], v[8:9]
	v_mul_f64_e32 v[8:9], v[133:134], v[8:9]
	v_fma_f64 v[137:138], v[4:5], v[34:35], v[145:146]
	ds_load_b128 v[2:5], v1 offset:1104
	ds_load_b128 v[34:37], v1 offset:1120
	v_add_f64_e32 v[123:124], v[125:126], v[123:124]
	v_add_f64_e32 v[125:126], v[127:128], v[129:130]
	s_wait_loadcnt_dscnt 0x601
	v_mul_f64_e32 v[127:128], v[2:3], v[12:13]
	v_mul_f64_e32 v[12:13], v[4:5], v[12:13]
	v_fma_f64 v[129:130], v[133:134], v[6:7], v[135:136]
	v_fma_f64 v[6:7], v[131:132], v[6:7], -v[8:9]
	v_add_f64_e32 v[8:9], v[123:124], v[139:140]
	v_add_f64_e32 v[123:124], v[125:126], v[137:138]
	s_wait_loadcnt_dscnt 0x500
	v_mul_f64_e32 v[125:126], v[34:35], v[16:17]
	v_mul_f64_e32 v[16:17], v[36:37], v[16:17]
	v_fma_f64 v[127:128], v[4:5], v[10:11], v[127:128]
	v_fma_f64 v[10:11], v[2:3], v[10:11], -v[12:13]
	v_add_f64_e32 v[12:13], v[8:9], v[6:7]
	v_add_f64_e32 v[123:124], v[123:124], v[129:130]
	ds_load_b128 v[2:5], v1 offset:1136
	ds_load_b128 v[6:9], v1 offset:1152
	v_fma_f64 v[36:37], v[36:37], v[14:15], v[125:126]
	v_fma_f64 v[14:15], v[34:35], v[14:15], -v[16:17]
	s_wait_loadcnt_dscnt 0x401
	v_mul_f64_e32 v[129:130], v[2:3], v[20:21]
	v_mul_f64_e32 v[20:21], v[4:5], v[20:21]
	s_wait_loadcnt_dscnt 0x300
	v_mul_f64_e32 v[16:17], v[6:7], v[24:25]
	v_mul_f64_e32 v[24:25], v[8:9], v[24:25]
	v_add_f64_e32 v[10:11], v[12:13], v[10:11]
	v_add_f64_e32 v[12:13], v[123:124], v[127:128]
	v_fma_f64 v[34:35], v[4:5], v[18:19], v[129:130]
	v_fma_f64 v[18:19], v[2:3], v[18:19], -v[20:21]
	v_fma_f64 v[8:9], v[8:9], v[22:23], v[16:17]
	v_fma_f64 v[6:7], v[6:7], v[22:23], -v[24:25]
	v_add_f64_e32 v[14:15], v[10:11], v[14:15]
	v_add_f64_e32 v[20:21], v[12:13], v[36:37]
	ds_load_b128 v[2:5], v1 offset:1168
	ds_load_b128 v[10:13], v1 offset:1184
	s_wait_loadcnt_dscnt 0x201
	v_mul_f64_e32 v[36:37], v[2:3], v[28:29]
	v_mul_f64_e32 v[28:29], v[4:5], v[28:29]
	v_add_f64_e32 v[14:15], v[14:15], v[18:19]
	v_add_f64_e32 v[16:17], v[20:21], v[34:35]
	s_wait_loadcnt_dscnt 0x100
	v_mul_f64_e32 v[18:19], v[10:11], v[32:33]
	v_mul_f64_e32 v[20:21], v[12:13], v[32:33]
	v_fma_f64 v[22:23], v[4:5], v[26:27], v[36:37]
	v_fma_f64 v[24:25], v[2:3], v[26:27], -v[28:29]
	ds_load_b128 v[2:5], v1 offset:1200
	v_add_f64_e32 v[6:7], v[14:15], v[6:7]
	v_add_f64_e32 v[8:9], v[16:17], v[8:9]
	v_fma_f64 v[12:13], v[12:13], v[30:31], v[18:19]
	v_fma_f64 v[10:11], v[10:11], v[30:31], -v[20:21]
	s_wait_loadcnt_dscnt 0x0
	v_mul_f64_e32 v[14:15], v[2:3], v[117:118]
	v_mul_f64_e32 v[16:17], v[4:5], v[117:118]
	v_add_f64_e32 v[6:7], v[6:7], v[24:25]
	v_add_f64_e32 v[8:9], v[8:9], v[22:23]
	s_delay_alu instid0(VALU_DEP_4) | instskip(NEXT) | instid1(VALU_DEP_4)
	v_fma_f64 v[4:5], v[4:5], v[115:116], v[14:15]
	v_fma_f64 v[2:3], v[2:3], v[115:116], -v[16:17]
	s_delay_alu instid0(VALU_DEP_4) | instskip(NEXT) | instid1(VALU_DEP_4)
	v_add_f64_e32 v[6:7], v[6:7], v[10:11]
	v_add_f64_e32 v[8:9], v[8:9], v[12:13]
	s_delay_alu instid0(VALU_DEP_2) | instskip(NEXT) | instid1(VALU_DEP_2)
	v_add_f64_e32 v[2:3], v[6:7], v[2:3]
	v_add_f64_e32 v[4:5], v[8:9], v[4:5]
	s_delay_alu instid0(VALU_DEP_2) | instskip(NEXT) | instid1(VALU_DEP_2)
	v_add_f64_e64 v[2:3], v[119:120], -v[2:3]
	v_add_f64_e64 v[4:5], v[121:122], -v[4:5]
	scratch_store_b128 off, v[2:5], off offset:144
	v_cmpx_lt_u32_e32 7, v0
	s_cbranch_execz .LBB101_227
; %bb.226:
	scratch_load_b128 v[5:8], off, s5
	v_dual_mov_b32 v2, v1 :: v_dual_mov_b32 v3, v1
	v_mov_b32_e32 v4, v1
	scratch_store_b128 off, v[1:4], off offset:128
	s_wait_loadcnt 0x0
	ds_store_b128 v114, v[5:8]
.LBB101_227:
	s_wait_alu 0xfffe
	s_or_b32 exec_lo, exec_lo, s0
	s_wait_storecnt_dscnt 0x0
	s_barrier_signal -1
	s_barrier_wait -1
	global_inv scope:SCOPE_SE
	s_clause 0x8
	scratch_load_b128 v[2:5], off, off offset:144
	scratch_load_b128 v[6:9], off, off offset:160
	;; [unrolled: 1-line block ×9, first 2 shown]
	ds_load_b128 v[115:118], v1 offset:736
	ds_load_b128 v[119:122], v1 offset:752
	s_clause 0x1
	scratch_load_b128 v[123:126], off, off offset:128
	scratch_load_b128 v[127:130], off, off offset:288
	s_mov_b32 s0, exec_lo
	s_wait_loadcnt_dscnt 0xa01
	v_mul_f64_e32 v[131:132], v[117:118], v[4:5]
	v_mul_f64_e32 v[4:5], v[115:116], v[4:5]
	s_wait_loadcnt_dscnt 0x900
	v_mul_f64_e32 v[135:136], v[119:120], v[8:9]
	v_mul_f64_e32 v[8:9], v[121:122], v[8:9]
	s_delay_alu instid0(VALU_DEP_4) | instskip(NEXT) | instid1(VALU_DEP_4)
	v_fma_f64 v[137:138], v[115:116], v[2:3], -v[131:132]
	v_fma_f64 v[139:140], v[117:118], v[2:3], v[4:5]
	ds_load_b128 v[2:5], v1 offset:768
	ds_load_b128 v[131:134], v1 offset:784
	scratch_load_b128 v[115:118], off, off offset:304
	v_fma_f64 v[121:122], v[121:122], v[6:7], v[135:136]
	v_fma_f64 v[119:120], v[119:120], v[6:7], -v[8:9]
	scratch_load_b128 v[6:9], off, off offset:320
	s_wait_loadcnt_dscnt 0xa01
	v_mul_f64_e32 v[141:142], v[2:3], v[12:13]
	v_mul_f64_e32 v[12:13], v[4:5], v[12:13]
	v_add_f64_e32 v[135:136], 0, v[137:138]
	v_add_f64_e32 v[137:138], 0, v[139:140]
	s_wait_loadcnt_dscnt 0x900
	v_mul_f64_e32 v[139:140], v[131:132], v[16:17]
	v_mul_f64_e32 v[16:17], v[133:134], v[16:17]
	v_fma_f64 v[141:142], v[4:5], v[10:11], v[141:142]
	v_fma_f64 v[143:144], v[2:3], v[10:11], -v[12:13]
	ds_load_b128 v[2:5], v1 offset:800
	scratch_load_b128 v[10:13], off, off offset:336
	v_add_f64_e32 v[135:136], v[135:136], v[119:120]
	v_add_f64_e32 v[137:138], v[137:138], v[121:122]
	ds_load_b128 v[119:122], v1 offset:816
	v_fma_f64 v[133:134], v[133:134], v[14:15], v[139:140]
	v_fma_f64 v[131:132], v[131:132], v[14:15], -v[16:17]
	scratch_load_b128 v[14:17], off, off offset:352
	s_wait_loadcnt_dscnt 0xa01
	v_mul_f64_e32 v[145:146], v[2:3], v[20:21]
	v_mul_f64_e32 v[20:21], v[4:5], v[20:21]
	s_wait_loadcnt_dscnt 0x900
	v_mul_f64_e32 v[139:140], v[119:120], v[24:25]
	v_mul_f64_e32 v[24:25], v[121:122], v[24:25]
	v_add_f64_e32 v[135:136], v[135:136], v[143:144]
	v_add_f64_e32 v[137:138], v[137:138], v[141:142]
	v_fma_f64 v[141:142], v[4:5], v[18:19], v[145:146]
	v_fma_f64 v[143:144], v[2:3], v[18:19], -v[20:21]
	ds_load_b128 v[2:5], v1 offset:832
	scratch_load_b128 v[18:21], off, off offset:368
	v_fma_f64 v[121:122], v[121:122], v[22:23], v[139:140]
	v_fma_f64 v[119:120], v[119:120], v[22:23], -v[24:25]
	scratch_load_b128 v[22:25], off, off offset:384
	v_add_f64_e32 v[135:136], v[135:136], v[131:132]
	v_add_f64_e32 v[137:138], v[137:138], v[133:134]
	ds_load_b128 v[131:134], v1 offset:848
	s_wait_loadcnt_dscnt 0xa01
	v_mul_f64_e32 v[145:146], v[2:3], v[28:29]
	v_mul_f64_e32 v[28:29], v[4:5], v[28:29]
	s_wait_loadcnt_dscnt 0x900
	v_mul_f64_e32 v[139:140], v[131:132], v[32:33]
	v_mul_f64_e32 v[32:33], v[133:134], v[32:33]
	v_add_f64_e32 v[135:136], v[135:136], v[143:144]
	v_add_f64_e32 v[137:138], v[137:138], v[141:142]
	v_fma_f64 v[141:142], v[4:5], v[26:27], v[145:146]
	v_fma_f64 v[143:144], v[2:3], v[26:27], -v[28:29]
	ds_load_b128 v[2:5], v1 offset:864
	scratch_load_b128 v[26:29], off, off offset:400
	v_fma_f64 v[133:134], v[133:134], v[30:31], v[139:140]
	v_fma_f64 v[131:132], v[131:132], v[30:31], -v[32:33]
	scratch_load_b128 v[30:33], off, off offset:416
	v_add_f64_e32 v[135:136], v[135:136], v[119:120]
	v_add_f64_e32 v[137:138], v[137:138], v[121:122]
	ds_load_b128 v[119:122], v1 offset:880
	s_wait_loadcnt_dscnt 0xa01
	v_mul_f64_e32 v[145:146], v[2:3], v[36:37]
	v_mul_f64_e32 v[36:37], v[4:5], v[36:37]
	s_wait_loadcnt_dscnt 0x800
	v_mul_f64_e32 v[139:140], v[119:120], v[129:130]
	v_add_f64_e32 v[135:136], v[135:136], v[143:144]
	v_add_f64_e32 v[137:138], v[137:138], v[141:142]
	v_mul_f64_e32 v[141:142], v[121:122], v[129:130]
	v_fma_f64 v[143:144], v[4:5], v[34:35], v[145:146]
	v_fma_f64 v[145:146], v[2:3], v[34:35], -v[36:37]
	ds_load_b128 v[2:5], v1 offset:896
	scratch_load_b128 v[34:37], off, off offset:432
	v_fma_f64 v[121:122], v[121:122], v[127:128], v[139:140]
	v_add_f64_e32 v[135:136], v[135:136], v[131:132]
	v_add_f64_e32 v[133:134], v[137:138], v[133:134]
	ds_load_b128 v[129:132], v1 offset:912
	v_fma_f64 v[127:128], v[119:120], v[127:128], -v[141:142]
	s_wait_loadcnt_dscnt 0x801
	v_mul_f64_e32 v[137:138], v[2:3], v[117:118]
	v_mul_f64_e32 v[147:148], v[4:5], v[117:118]
	scratch_load_b128 v[117:120], off, off offset:448
	s_wait_loadcnt_dscnt 0x800
	v_mul_f64_e32 v[141:142], v[129:130], v[8:9]
	v_mul_f64_e32 v[8:9], v[131:132], v[8:9]
	v_add_f64_e32 v[135:136], v[135:136], v[145:146]
	v_add_f64_e32 v[133:134], v[133:134], v[143:144]
	v_fma_f64 v[143:144], v[4:5], v[115:116], v[137:138]
	v_fma_f64 v[115:116], v[2:3], v[115:116], -v[147:148]
	ds_load_b128 v[2:5], v1 offset:928
	ds_load_b128 v[137:140], v1 offset:944
	v_fma_f64 v[131:132], v[131:132], v[6:7], v[141:142]
	v_fma_f64 v[129:130], v[129:130], v[6:7], -v[8:9]
	scratch_load_b128 v[6:9], off, off offset:480
	v_add_f64_e32 v[127:128], v[135:136], v[127:128]
	v_add_f64_e32 v[121:122], v[133:134], v[121:122]
	scratch_load_b128 v[133:136], off, off offset:464
	s_wait_loadcnt_dscnt 0x901
	v_mul_f64_e32 v[145:146], v[2:3], v[12:13]
	v_mul_f64_e32 v[12:13], v[4:5], v[12:13]
	s_wait_loadcnt_dscnt 0x800
	v_mul_f64_e32 v[141:142], v[137:138], v[16:17]
	v_mul_f64_e32 v[16:17], v[139:140], v[16:17]
	v_add_f64_e32 v[115:116], v[127:128], v[115:116]
	v_add_f64_e32 v[121:122], v[121:122], v[143:144]
	v_fma_f64 v[143:144], v[4:5], v[10:11], v[145:146]
	v_fma_f64 v[145:146], v[2:3], v[10:11], -v[12:13]
	ds_load_b128 v[2:5], v1 offset:960
	scratch_load_b128 v[10:13], off, off offset:496
	v_fma_f64 v[139:140], v[139:140], v[14:15], v[141:142]
	v_fma_f64 v[137:138], v[137:138], v[14:15], -v[16:17]
	scratch_load_b128 v[14:17], off, off offset:512
	v_add_f64_e32 v[115:116], v[115:116], v[129:130]
	v_add_f64_e32 v[121:122], v[121:122], v[131:132]
	ds_load_b128 v[127:130], v1 offset:976
	s_wait_loadcnt_dscnt 0x901
	v_mul_f64_e32 v[131:132], v[2:3], v[20:21]
	v_mul_f64_e32 v[20:21], v[4:5], v[20:21]
	s_wait_loadcnt_dscnt 0x800
	v_mul_f64_e32 v[141:142], v[127:128], v[24:25]
	v_mul_f64_e32 v[24:25], v[129:130], v[24:25]
	v_add_f64_e32 v[115:116], v[115:116], v[145:146]
	v_add_f64_e32 v[121:122], v[121:122], v[143:144]
	v_fma_f64 v[131:132], v[4:5], v[18:19], v[131:132]
	v_fma_f64 v[143:144], v[2:3], v[18:19], -v[20:21]
	ds_load_b128 v[2:5], v1 offset:992
	scratch_load_b128 v[18:21], off, off offset:528
	v_fma_f64 v[129:130], v[129:130], v[22:23], v[141:142]
	v_fma_f64 v[127:128], v[127:128], v[22:23], -v[24:25]
	scratch_load_b128 v[22:25], off, off offset:544
	v_add_f64_e32 v[115:116], v[115:116], v[137:138]
	v_add_f64_e32 v[121:122], v[121:122], v[139:140]
	ds_load_b128 v[137:140], v1 offset:1008
	s_wait_loadcnt_dscnt 0x901
	v_mul_f64_e32 v[145:146], v[2:3], v[28:29]
	v_mul_f64_e32 v[28:29], v[4:5], v[28:29]
	v_add_f64_e32 v[115:116], v[115:116], v[143:144]
	v_add_f64_e32 v[121:122], v[121:122], v[131:132]
	s_wait_loadcnt_dscnt 0x800
	v_mul_f64_e32 v[131:132], v[137:138], v[32:33]
	v_mul_f64_e32 v[32:33], v[139:140], v[32:33]
	v_fma_f64 v[141:142], v[4:5], v[26:27], v[145:146]
	v_fma_f64 v[143:144], v[2:3], v[26:27], -v[28:29]
	ds_load_b128 v[2:5], v1 offset:1024
	scratch_load_b128 v[26:29], off, off offset:560
	v_add_f64_e32 v[115:116], v[115:116], v[127:128]
	v_add_f64_e32 v[121:122], v[121:122], v[129:130]
	ds_load_b128 v[127:130], v1 offset:1040
	s_wait_loadcnt_dscnt 0x801
	v_mul_f64_e32 v[145:146], v[2:3], v[36:37]
	v_mul_f64_e32 v[36:37], v[4:5], v[36:37]
	v_fma_f64 v[131:132], v[139:140], v[30:31], v[131:132]
	v_fma_f64 v[137:138], v[137:138], v[30:31], -v[32:33]
	scratch_load_b128 v[30:33], off, off offset:576
	s_wait_loadcnt_dscnt 0x800
	v_mul_f64_e32 v[139:140], v[127:128], v[119:120]
	v_add_f64_e32 v[115:116], v[115:116], v[143:144]
	v_add_f64_e32 v[121:122], v[121:122], v[141:142]
	v_mul_f64_e32 v[141:142], v[129:130], v[119:120]
	v_fma_f64 v[143:144], v[4:5], v[34:35], v[145:146]
	v_fma_f64 v[145:146], v[2:3], v[34:35], -v[36:37]
	ds_load_b128 v[2:5], v1 offset:1056
	scratch_load_b128 v[34:37], off, off offset:592
	v_fma_f64 v[129:130], v[129:130], v[117:118], v[139:140]
	v_add_f64_e32 v[115:116], v[115:116], v[137:138]
	v_add_f64_e32 v[131:132], v[121:122], v[131:132]
	ds_load_b128 v[119:122], v1 offset:1072
	v_fma_f64 v[127:128], v[127:128], v[117:118], -v[141:142]
	s_wait_loadcnt_dscnt 0x701
	v_mul_f64_e32 v[137:138], v[2:3], v[135:136]
	v_mul_f64_e32 v[135:136], v[4:5], v[135:136]
	s_wait_dscnt 0x0
	v_mul_f64_e32 v[141:142], v[119:120], v[8:9]
	v_mul_f64_e32 v[8:9], v[121:122], v[8:9]
	v_add_f64_e32 v[139:140], v[115:116], v[145:146]
	v_add_f64_e32 v[131:132], v[131:132], v[143:144]
	scratch_load_b128 v[115:118], off, off offset:608
	v_fma_f64 v[137:138], v[4:5], v[133:134], v[137:138]
	v_fma_f64 v[133:134], v[2:3], v[133:134], -v[135:136]
	v_fma_f64 v[121:122], v[121:122], v[6:7], v[141:142]
	v_fma_f64 v[6:7], v[119:120], v[6:7], -v[8:9]
	v_add_f64_e32 v[135:136], v[139:140], v[127:128]
	v_add_f64_e32 v[131:132], v[131:132], v[129:130]
	ds_load_b128 v[2:5], v1 offset:1088
	ds_load_b128 v[127:130], v1 offset:1104
	s_wait_loadcnt_dscnt 0x701
	v_mul_f64_e32 v[139:140], v[2:3], v[12:13]
	v_mul_f64_e32 v[12:13], v[4:5], v[12:13]
	v_add_f64_e32 v[8:9], v[135:136], v[133:134]
	v_add_f64_e32 v[119:120], v[131:132], v[137:138]
	s_wait_loadcnt_dscnt 0x600
	v_mul_f64_e32 v[131:132], v[127:128], v[16:17]
	v_mul_f64_e32 v[16:17], v[129:130], v[16:17]
	v_fma_f64 v[133:134], v[4:5], v[10:11], v[139:140]
	v_fma_f64 v[10:11], v[2:3], v[10:11], -v[12:13]
	v_add_f64_e32 v[12:13], v[8:9], v[6:7]
	v_add_f64_e32 v[119:120], v[119:120], v[121:122]
	ds_load_b128 v[2:5], v1 offset:1120
	ds_load_b128 v[6:9], v1 offset:1136
	v_fma_f64 v[129:130], v[129:130], v[14:15], v[131:132]
	v_fma_f64 v[14:15], v[127:128], v[14:15], -v[16:17]
	s_wait_loadcnt_dscnt 0x501
	v_mul_f64_e32 v[121:122], v[2:3], v[20:21]
	v_mul_f64_e32 v[20:21], v[4:5], v[20:21]
	s_wait_loadcnt_dscnt 0x400
	v_mul_f64_e32 v[16:17], v[6:7], v[24:25]
	v_mul_f64_e32 v[24:25], v[8:9], v[24:25]
	v_add_f64_e32 v[10:11], v[12:13], v[10:11]
	v_add_f64_e32 v[12:13], v[119:120], v[133:134]
	v_fma_f64 v[119:120], v[4:5], v[18:19], v[121:122]
	v_fma_f64 v[18:19], v[2:3], v[18:19], -v[20:21]
	v_fma_f64 v[8:9], v[8:9], v[22:23], v[16:17]
	v_fma_f64 v[6:7], v[6:7], v[22:23], -v[24:25]
	v_add_f64_e32 v[14:15], v[10:11], v[14:15]
	v_add_f64_e32 v[20:21], v[12:13], v[129:130]
	ds_load_b128 v[2:5], v1 offset:1152
	ds_load_b128 v[10:13], v1 offset:1168
	s_wait_loadcnt_dscnt 0x301
	v_mul_f64_e32 v[121:122], v[2:3], v[28:29]
	v_mul_f64_e32 v[28:29], v[4:5], v[28:29]
	v_add_f64_e32 v[14:15], v[14:15], v[18:19]
	v_add_f64_e32 v[16:17], v[20:21], v[119:120]
	s_wait_loadcnt_dscnt 0x200
	v_mul_f64_e32 v[18:19], v[10:11], v[32:33]
	v_mul_f64_e32 v[20:21], v[12:13], v[32:33]
	v_fma_f64 v[22:23], v[4:5], v[26:27], v[121:122]
	v_fma_f64 v[24:25], v[2:3], v[26:27], -v[28:29]
	v_add_f64_e32 v[14:15], v[14:15], v[6:7]
	v_add_f64_e32 v[16:17], v[16:17], v[8:9]
	ds_load_b128 v[2:5], v1 offset:1184
	ds_load_b128 v[6:9], v1 offset:1200
	v_fma_f64 v[12:13], v[12:13], v[30:31], v[18:19]
	v_fma_f64 v[10:11], v[10:11], v[30:31], -v[20:21]
	s_wait_loadcnt_dscnt 0x101
	v_mul_f64_e32 v[26:27], v[2:3], v[36:37]
	v_mul_f64_e32 v[28:29], v[4:5], v[36:37]
	v_add_f64_e32 v[14:15], v[14:15], v[24:25]
	v_add_f64_e32 v[16:17], v[16:17], v[22:23]
	s_wait_loadcnt_dscnt 0x0
	v_mul_f64_e32 v[18:19], v[6:7], v[117:118]
	v_mul_f64_e32 v[20:21], v[8:9], v[117:118]
	v_fma_f64 v[4:5], v[4:5], v[34:35], v[26:27]
	v_fma_f64 v[1:2], v[2:3], v[34:35], -v[28:29]
	v_add_f64_e32 v[10:11], v[14:15], v[10:11]
	v_add_f64_e32 v[12:13], v[16:17], v[12:13]
	v_fma_f64 v[8:9], v[8:9], v[115:116], v[18:19]
	v_fma_f64 v[6:7], v[6:7], v[115:116], -v[20:21]
	s_delay_alu instid0(VALU_DEP_4) | instskip(NEXT) | instid1(VALU_DEP_4)
	v_add_f64_e32 v[1:2], v[10:11], v[1:2]
	v_add_f64_e32 v[3:4], v[12:13], v[4:5]
	s_delay_alu instid0(VALU_DEP_2) | instskip(NEXT) | instid1(VALU_DEP_2)
	v_add_f64_e32 v[1:2], v[1:2], v[6:7]
	v_add_f64_e32 v[3:4], v[3:4], v[8:9]
	s_delay_alu instid0(VALU_DEP_2) | instskip(NEXT) | instid1(VALU_DEP_2)
	v_add_f64_e64 v[1:2], v[123:124], -v[1:2]
	v_add_f64_e64 v[3:4], v[125:126], -v[3:4]
	scratch_store_b128 off, v[1:4], off offset:128
	v_cmpx_lt_u32_e32 6, v0
	s_cbranch_execz .LBB101_229
; %bb.228:
	scratch_load_b128 v[1:4], off, s28
	v_mov_b32_e32 v5, 0
	s_delay_alu instid0(VALU_DEP_1)
	v_dual_mov_b32 v6, v5 :: v_dual_mov_b32 v7, v5
	v_mov_b32_e32 v8, v5
	scratch_store_b128 off, v[5:8], off offset:112
	s_wait_loadcnt 0x0
	ds_store_b128 v114, v[1:4]
.LBB101_229:
	s_wait_alu 0xfffe
	s_or_b32 exec_lo, exec_lo, s0
	s_wait_storecnt_dscnt 0x0
	s_barrier_signal -1
	s_barrier_wait -1
	global_inv scope:SCOPE_SE
	s_clause 0x7
	scratch_load_b128 v[2:5], off, off offset:128
	scratch_load_b128 v[6:9], off, off offset:144
	;; [unrolled: 1-line block ×8, first 2 shown]
	v_mov_b32_e32 v1, 0
	s_mov_b32 s0, exec_lo
	ds_load_b128 v[34:37], v1 offset:720
	s_clause 0x1
	scratch_load_b128 v[115:118], off, off offset:256
	scratch_load_b128 v[119:122], off, off offset:112
	ds_load_b128 v[123:126], v1 offset:736
	scratch_load_b128 v[127:130], off, off offset:272
	s_wait_loadcnt_dscnt 0xa01
	v_mul_f64_e32 v[131:132], v[36:37], v[4:5]
	v_mul_f64_e32 v[4:5], v[34:35], v[4:5]
	s_delay_alu instid0(VALU_DEP_2) | instskip(NEXT) | instid1(VALU_DEP_2)
	v_fma_f64 v[137:138], v[34:35], v[2:3], -v[131:132]
	v_fma_f64 v[139:140], v[36:37], v[2:3], v[4:5]
	ds_load_b128 v[2:5], v1 offset:752
	s_wait_loadcnt_dscnt 0x901
	v_mul_f64_e32 v[135:136], v[123:124], v[8:9]
	v_mul_f64_e32 v[8:9], v[125:126], v[8:9]
	scratch_load_b128 v[34:37], off, off offset:288
	ds_load_b128 v[131:134], v1 offset:768
	s_wait_loadcnt_dscnt 0x901
	v_mul_f64_e32 v[141:142], v[2:3], v[12:13]
	v_mul_f64_e32 v[12:13], v[4:5], v[12:13]
	v_fma_f64 v[125:126], v[125:126], v[6:7], v[135:136]
	v_fma_f64 v[123:124], v[123:124], v[6:7], -v[8:9]
	v_add_f64_e32 v[135:136], 0, v[137:138]
	v_add_f64_e32 v[137:138], 0, v[139:140]
	scratch_load_b128 v[6:9], off, off offset:304
	v_fma_f64 v[141:142], v[4:5], v[10:11], v[141:142]
	v_fma_f64 v[143:144], v[2:3], v[10:11], -v[12:13]
	ds_load_b128 v[2:5], v1 offset:784
	s_wait_loadcnt_dscnt 0x901
	v_mul_f64_e32 v[139:140], v[131:132], v[16:17]
	v_mul_f64_e32 v[16:17], v[133:134], v[16:17]
	scratch_load_b128 v[10:13], off, off offset:320
	v_add_f64_e32 v[135:136], v[135:136], v[123:124]
	v_add_f64_e32 v[137:138], v[137:138], v[125:126]
	s_wait_loadcnt_dscnt 0x900
	v_mul_f64_e32 v[145:146], v[2:3], v[20:21]
	v_mul_f64_e32 v[20:21], v[4:5], v[20:21]
	ds_load_b128 v[123:126], v1 offset:800
	v_fma_f64 v[133:134], v[133:134], v[14:15], v[139:140]
	v_fma_f64 v[131:132], v[131:132], v[14:15], -v[16:17]
	scratch_load_b128 v[14:17], off, off offset:336
	v_add_f64_e32 v[135:136], v[135:136], v[143:144]
	v_add_f64_e32 v[137:138], v[137:138], v[141:142]
	v_fma_f64 v[141:142], v[4:5], v[18:19], v[145:146]
	v_fma_f64 v[143:144], v[2:3], v[18:19], -v[20:21]
	ds_load_b128 v[2:5], v1 offset:816
	s_wait_loadcnt_dscnt 0x901
	v_mul_f64_e32 v[139:140], v[123:124], v[24:25]
	v_mul_f64_e32 v[24:25], v[125:126], v[24:25]
	scratch_load_b128 v[18:21], off, off offset:352
	s_wait_loadcnt_dscnt 0x900
	v_mul_f64_e32 v[145:146], v[2:3], v[28:29]
	v_mul_f64_e32 v[28:29], v[4:5], v[28:29]
	v_add_f64_e32 v[135:136], v[135:136], v[131:132]
	v_add_f64_e32 v[137:138], v[137:138], v[133:134]
	ds_load_b128 v[131:134], v1 offset:832
	v_fma_f64 v[125:126], v[125:126], v[22:23], v[139:140]
	v_fma_f64 v[123:124], v[123:124], v[22:23], -v[24:25]
	scratch_load_b128 v[22:25], off, off offset:368
	v_add_f64_e32 v[135:136], v[135:136], v[143:144]
	v_add_f64_e32 v[137:138], v[137:138], v[141:142]
	v_fma_f64 v[141:142], v[4:5], v[26:27], v[145:146]
	v_fma_f64 v[143:144], v[2:3], v[26:27], -v[28:29]
	ds_load_b128 v[2:5], v1 offset:848
	s_wait_loadcnt_dscnt 0x901
	v_mul_f64_e32 v[139:140], v[131:132], v[32:33]
	v_mul_f64_e32 v[32:33], v[133:134], v[32:33]
	scratch_load_b128 v[26:29], off, off offset:384
	s_wait_loadcnt_dscnt 0x900
	v_mul_f64_e32 v[145:146], v[2:3], v[117:118]
	v_mul_f64_e32 v[117:118], v[4:5], v[117:118]
	v_add_f64_e32 v[135:136], v[135:136], v[123:124]
	v_add_f64_e32 v[137:138], v[137:138], v[125:126]
	ds_load_b128 v[123:126], v1 offset:864
	v_fma_f64 v[133:134], v[133:134], v[30:31], v[139:140]
	v_fma_f64 v[131:132], v[131:132], v[30:31], -v[32:33]
	scratch_load_b128 v[30:33], off, off offset:400
	v_add_f64_e32 v[135:136], v[135:136], v[143:144]
	v_add_f64_e32 v[137:138], v[137:138], v[141:142]
	v_fma_f64 v[143:144], v[4:5], v[115:116], v[145:146]
	v_fma_f64 v[145:146], v[2:3], v[115:116], -v[117:118]
	ds_load_b128 v[2:5], v1 offset:880
	s_wait_loadcnt_dscnt 0x801
	v_mul_f64_e32 v[139:140], v[123:124], v[129:130]
	v_mul_f64_e32 v[141:142], v[125:126], v[129:130]
	scratch_load_b128 v[115:118], off, off offset:416
	v_add_f64_e32 v[135:136], v[135:136], v[131:132]
	v_add_f64_e32 v[133:134], v[137:138], v[133:134]
	ds_load_b128 v[129:132], v1 offset:896
	v_fma_f64 v[139:140], v[125:126], v[127:128], v[139:140]
	v_fma_f64 v[127:128], v[123:124], v[127:128], -v[141:142]
	scratch_load_b128 v[123:126], off, off offset:432
	s_wait_loadcnt_dscnt 0x901
	v_mul_f64_e32 v[137:138], v[2:3], v[36:37]
	v_mul_f64_e32 v[36:37], v[4:5], v[36:37]
	v_add_f64_e32 v[135:136], v[135:136], v[145:146]
	v_add_f64_e32 v[133:134], v[133:134], v[143:144]
	s_delay_alu instid0(VALU_DEP_4) | instskip(NEXT) | instid1(VALU_DEP_4)
	v_fma_f64 v[137:138], v[4:5], v[34:35], v[137:138]
	v_fma_f64 v[143:144], v[2:3], v[34:35], -v[36:37]
	ds_load_b128 v[2:5], v1 offset:912
	s_wait_loadcnt_dscnt 0x801
	v_mul_f64_e32 v[141:142], v[129:130], v[8:9]
	v_mul_f64_e32 v[8:9], v[131:132], v[8:9]
	scratch_load_b128 v[34:37], off, off offset:448
	s_wait_loadcnt_dscnt 0x800
	v_mul_f64_e32 v[145:146], v[2:3], v[12:13]
	v_add_f64_e32 v[127:128], v[135:136], v[127:128]
	v_add_f64_e32 v[139:140], v[133:134], v[139:140]
	v_mul_f64_e32 v[12:13], v[4:5], v[12:13]
	ds_load_b128 v[133:136], v1 offset:928
	v_fma_f64 v[131:132], v[131:132], v[6:7], v[141:142]
	v_fma_f64 v[129:130], v[129:130], v[6:7], -v[8:9]
	scratch_load_b128 v[6:9], off, off offset:464
	v_fma_f64 v[141:142], v[4:5], v[10:11], v[145:146]
	v_add_f64_e32 v[127:128], v[127:128], v[143:144]
	v_add_f64_e32 v[137:138], v[139:140], v[137:138]
	v_fma_f64 v[143:144], v[2:3], v[10:11], -v[12:13]
	ds_load_b128 v[2:5], v1 offset:944
	s_wait_loadcnt_dscnt 0x801
	v_mul_f64_e32 v[139:140], v[133:134], v[16:17]
	v_mul_f64_e32 v[16:17], v[135:136], v[16:17]
	scratch_load_b128 v[10:13], off, off offset:480
	v_add_f64_e32 v[145:146], v[127:128], v[129:130]
	v_add_f64_e32 v[131:132], v[137:138], v[131:132]
	s_wait_loadcnt_dscnt 0x800
	v_mul_f64_e32 v[137:138], v[2:3], v[20:21]
	v_mul_f64_e32 v[20:21], v[4:5], v[20:21]
	v_fma_f64 v[135:136], v[135:136], v[14:15], v[139:140]
	v_fma_f64 v[133:134], v[133:134], v[14:15], -v[16:17]
	ds_load_b128 v[127:130], v1 offset:960
	scratch_load_b128 v[14:17], off, off offset:496
	v_add_f64_e32 v[139:140], v[145:146], v[143:144]
	v_add_f64_e32 v[131:132], v[131:132], v[141:142]
	v_fma_f64 v[137:138], v[4:5], v[18:19], v[137:138]
	v_fma_f64 v[143:144], v[2:3], v[18:19], -v[20:21]
	ds_load_b128 v[2:5], v1 offset:976
	s_wait_loadcnt_dscnt 0x801
	v_mul_f64_e32 v[141:142], v[127:128], v[24:25]
	v_mul_f64_e32 v[24:25], v[129:130], v[24:25]
	scratch_load_b128 v[18:21], off, off offset:512
	s_wait_loadcnt_dscnt 0x800
	v_mul_f64_e32 v[145:146], v[2:3], v[28:29]
	v_mul_f64_e32 v[28:29], v[4:5], v[28:29]
	v_add_f64_e32 v[139:140], v[139:140], v[133:134]
	v_add_f64_e32 v[135:136], v[131:132], v[135:136]
	ds_load_b128 v[131:134], v1 offset:992
	v_fma_f64 v[129:130], v[129:130], v[22:23], v[141:142]
	v_fma_f64 v[127:128], v[127:128], v[22:23], -v[24:25]
	scratch_load_b128 v[22:25], off, off offset:528
	v_fma_f64 v[141:142], v[4:5], v[26:27], v[145:146]
	v_add_f64_e32 v[139:140], v[139:140], v[143:144]
	v_add_f64_e32 v[135:136], v[135:136], v[137:138]
	v_fma_f64 v[143:144], v[2:3], v[26:27], -v[28:29]
	ds_load_b128 v[2:5], v1 offset:1008
	s_wait_loadcnt_dscnt 0x801
	v_mul_f64_e32 v[137:138], v[131:132], v[32:33]
	v_mul_f64_e32 v[32:33], v[133:134], v[32:33]
	scratch_load_b128 v[26:29], off, off offset:544
	s_wait_loadcnt_dscnt 0x800
	v_mul_f64_e32 v[145:146], v[2:3], v[117:118]
	v_mul_f64_e32 v[117:118], v[4:5], v[117:118]
	v_add_f64_e32 v[139:140], v[139:140], v[127:128]
	v_add_f64_e32 v[135:136], v[135:136], v[129:130]
	ds_load_b128 v[127:130], v1 offset:1024
	v_fma_f64 v[133:134], v[133:134], v[30:31], v[137:138]
	v_fma_f64 v[131:132], v[131:132], v[30:31], -v[32:33]
	scratch_load_b128 v[30:33], off, off offset:560
	v_add_f64_e32 v[137:138], v[139:140], v[143:144]
	v_add_f64_e32 v[135:136], v[135:136], v[141:142]
	v_fma_f64 v[141:142], v[4:5], v[115:116], v[145:146]
	v_fma_f64 v[143:144], v[2:3], v[115:116], -v[117:118]
	ds_load_b128 v[2:5], v1 offset:1040
	s_wait_loadcnt_dscnt 0x801
	v_mul_f64_e32 v[139:140], v[127:128], v[125:126]
	v_mul_f64_e32 v[125:126], v[129:130], v[125:126]
	scratch_load_b128 v[115:118], off, off offset:576
	s_wait_loadcnt_dscnt 0x800
	v_mul_f64_e32 v[145:146], v[2:3], v[36:37]
	v_mul_f64_e32 v[36:37], v[4:5], v[36:37]
	v_add_f64_e32 v[137:138], v[137:138], v[131:132]
	v_add_f64_e32 v[135:136], v[135:136], v[133:134]
	ds_load_b128 v[131:134], v1 offset:1056
	v_fma_f64 v[129:130], v[129:130], v[123:124], v[139:140]
	v_fma_f64 v[127:128], v[127:128], v[123:124], -v[125:126]
	scratch_load_b128 v[123:126], off, off offset:592
	v_add_f64_e32 v[137:138], v[137:138], v[143:144]
	v_add_f64_e32 v[135:136], v[135:136], v[141:142]
	v_fma_f64 v[141:142], v[4:5], v[34:35], v[145:146]
	v_fma_f64 v[143:144], v[2:3], v[34:35], -v[36:37]
	ds_load_b128 v[2:5], v1 offset:1072
	s_wait_loadcnt_dscnt 0x801
	v_mul_f64_e32 v[139:140], v[131:132], v[8:9]
	v_mul_f64_e32 v[8:9], v[133:134], v[8:9]
	scratch_load_b128 v[34:37], off, off offset:608
	s_wait_loadcnt_dscnt 0x800
	v_mul_f64_e32 v[145:146], v[2:3], v[12:13]
	v_mul_f64_e32 v[12:13], v[4:5], v[12:13]
	v_add_f64_e32 v[137:138], v[137:138], v[127:128]
	v_add_f64_e32 v[135:136], v[135:136], v[129:130]
	ds_load_b128 v[127:130], v1 offset:1088
	v_fma_f64 v[133:134], v[133:134], v[6:7], v[139:140]
	v_fma_f64 v[6:7], v[131:132], v[6:7], -v[8:9]
	v_add_f64_e32 v[8:9], v[137:138], v[143:144]
	v_add_f64_e32 v[131:132], v[135:136], v[141:142]
	s_wait_loadcnt_dscnt 0x700
	v_mul_f64_e32 v[135:136], v[127:128], v[16:17]
	v_mul_f64_e32 v[16:17], v[129:130], v[16:17]
	v_fma_f64 v[137:138], v[4:5], v[10:11], v[145:146]
	v_fma_f64 v[10:11], v[2:3], v[10:11], -v[12:13]
	v_add_f64_e32 v[12:13], v[8:9], v[6:7]
	v_add_f64_e32 v[131:132], v[131:132], v[133:134]
	ds_load_b128 v[2:5], v1 offset:1104
	ds_load_b128 v[6:9], v1 offset:1120
	v_fma_f64 v[129:130], v[129:130], v[14:15], v[135:136]
	v_fma_f64 v[14:15], v[127:128], v[14:15], -v[16:17]
	s_wait_loadcnt_dscnt 0x601
	v_mul_f64_e32 v[133:134], v[2:3], v[20:21]
	v_mul_f64_e32 v[20:21], v[4:5], v[20:21]
	s_wait_loadcnt_dscnt 0x500
	v_mul_f64_e32 v[16:17], v[6:7], v[24:25]
	v_mul_f64_e32 v[24:25], v[8:9], v[24:25]
	v_add_f64_e32 v[10:11], v[12:13], v[10:11]
	v_add_f64_e32 v[12:13], v[131:132], v[137:138]
	v_fma_f64 v[127:128], v[4:5], v[18:19], v[133:134]
	v_fma_f64 v[18:19], v[2:3], v[18:19], -v[20:21]
	v_fma_f64 v[8:9], v[8:9], v[22:23], v[16:17]
	v_fma_f64 v[6:7], v[6:7], v[22:23], -v[24:25]
	v_add_f64_e32 v[14:15], v[10:11], v[14:15]
	v_add_f64_e32 v[20:21], v[12:13], v[129:130]
	ds_load_b128 v[2:5], v1 offset:1136
	ds_load_b128 v[10:13], v1 offset:1152
	s_wait_loadcnt_dscnt 0x401
	v_mul_f64_e32 v[129:130], v[2:3], v[28:29]
	v_mul_f64_e32 v[28:29], v[4:5], v[28:29]
	v_add_f64_e32 v[14:15], v[14:15], v[18:19]
	v_add_f64_e32 v[16:17], v[20:21], v[127:128]
	s_wait_loadcnt_dscnt 0x300
	v_mul_f64_e32 v[18:19], v[10:11], v[32:33]
	v_mul_f64_e32 v[20:21], v[12:13], v[32:33]
	v_fma_f64 v[22:23], v[4:5], v[26:27], v[129:130]
	v_fma_f64 v[24:25], v[2:3], v[26:27], -v[28:29]
	v_add_f64_e32 v[14:15], v[14:15], v[6:7]
	v_add_f64_e32 v[16:17], v[16:17], v[8:9]
	ds_load_b128 v[2:5], v1 offset:1168
	ds_load_b128 v[6:9], v1 offset:1184
	v_fma_f64 v[12:13], v[12:13], v[30:31], v[18:19]
	v_fma_f64 v[10:11], v[10:11], v[30:31], -v[20:21]
	s_wait_loadcnt_dscnt 0x201
	v_mul_f64_e32 v[26:27], v[2:3], v[117:118]
	v_mul_f64_e32 v[28:29], v[4:5], v[117:118]
	s_wait_loadcnt_dscnt 0x100
	v_mul_f64_e32 v[18:19], v[6:7], v[125:126]
	v_mul_f64_e32 v[20:21], v[8:9], v[125:126]
	v_add_f64_e32 v[14:15], v[14:15], v[24:25]
	v_add_f64_e32 v[16:17], v[16:17], v[22:23]
	v_fma_f64 v[22:23], v[4:5], v[115:116], v[26:27]
	v_fma_f64 v[24:25], v[2:3], v[115:116], -v[28:29]
	ds_load_b128 v[2:5], v1 offset:1200
	v_fma_f64 v[8:9], v[8:9], v[123:124], v[18:19]
	v_fma_f64 v[6:7], v[6:7], v[123:124], -v[20:21]
	v_add_f64_e32 v[10:11], v[14:15], v[10:11]
	v_add_f64_e32 v[12:13], v[16:17], v[12:13]
	s_wait_loadcnt_dscnt 0x0
	v_mul_f64_e32 v[14:15], v[2:3], v[36:37]
	v_mul_f64_e32 v[16:17], v[4:5], v[36:37]
	s_delay_alu instid0(VALU_DEP_4) | instskip(NEXT) | instid1(VALU_DEP_4)
	v_add_f64_e32 v[10:11], v[10:11], v[24:25]
	v_add_f64_e32 v[12:13], v[12:13], v[22:23]
	s_delay_alu instid0(VALU_DEP_4) | instskip(NEXT) | instid1(VALU_DEP_4)
	v_fma_f64 v[4:5], v[4:5], v[34:35], v[14:15]
	v_fma_f64 v[2:3], v[2:3], v[34:35], -v[16:17]
	s_delay_alu instid0(VALU_DEP_4) | instskip(NEXT) | instid1(VALU_DEP_4)
	v_add_f64_e32 v[6:7], v[10:11], v[6:7]
	v_add_f64_e32 v[8:9], v[12:13], v[8:9]
	s_delay_alu instid0(VALU_DEP_2) | instskip(NEXT) | instid1(VALU_DEP_2)
	v_add_f64_e32 v[2:3], v[6:7], v[2:3]
	v_add_f64_e32 v[4:5], v[8:9], v[4:5]
	s_delay_alu instid0(VALU_DEP_2) | instskip(NEXT) | instid1(VALU_DEP_2)
	v_add_f64_e64 v[2:3], v[119:120], -v[2:3]
	v_add_f64_e64 v[4:5], v[121:122], -v[4:5]
	scratch_store_b128 off, v[2:5], off offset:112
	v_cmpx_lt_u32_e32 5, v0
	s_cbranch_execz .LBB101_231
; %bb.230:
	scratch_load_b128 v[5:8], off, s4
	v_dual_mov_b32 v2, v1 :: v_dual_mov_b32 v3, v1
	v_mov_b32_e32 v4, v1
	scratch_store_b128 off, v[1:4], off offset:96
	s_wait_loadcnt 0x0
	ds_store_b128 v114, v[5:8]
.LBB101_231:
	s_wait_alu 0xfffe
	s_or_b32 exec_lo, exec_lo, s0
	s_wait_storecnt_dscnt 0x0
	s_barrier_signal -1
	s_barrier_wait -1
	global_inv scope:SCOPE_SE
	s_clause 0x8
	scratch_load_b128 v[2:5], off, off offset:112
	scratch_load_b128 v[6:9], off, off offset:128
	;; [unrolled: 1-line block ×9, first 2 shown]
	ds_load_b128 v[115:118], v1 offset:704
	ds_load_b128 v[119:122], v1 offset:720
	s_clause 0x1
	scratch_load_b128 v[123:126], off, off offset:96
	scratch_load_b128 v[127:130], off, off offset:256
	s_mov_b32 s0, exec_lo
	s_wait_loadcnt_dscnt 0xa01
	v_mul_f64_e32 v[131:132], v[117:118], v[4:5]
	v_mul_f64_e32 v[4:5], v[115:116], v[4:5]
	s_wait_loadcnt_dscnt 0x900
	v_mul_f64_e32 v[135:136], v[119:120], v[8:9]
	v_mul_f64_e32 v[8:9], v[121:122], v[8:9]
	s_delay_alu instid0(VALU_DEP_4) | instskip(NEXT) | instid1(VALU_DEP_4)
	v_fma_f64 v[137:138], v[115:116], v[2:3], -v[131:132]
	v_fma_f64 v[139:140], v[117:118], v[2:3], v[4:5]
	ds_load_b128 v[2:5], v1 offset:736
	ds_load_b128 v[131:134], v1 offset:752
	scratch_load_b128 v[115:118], off, off offset:272
	v_fma_f64 v[121:122], v[121:122], v[6:7], v[135:136]
	v_fma_f64 v[119:120], v[119:120], v[6:7], -v[8:9]
	scratch_load_b128 v[6:9], off, off offset:288
	s_wait_loadcnt_dscnt 0xa01
	v_mul_f64_e32 v[141:142], v[2:3], v[12:13]
	v_mul_f64_e32 v[12:13], v[4:5], v[12:13]
	v_add_f64_e32 v[135:136], 0, v[137:138]
	v_add_f64_e32 v[137:138], 0, v[139:140]
	s_wait_loadcnt_dscnt 0x900
	v_mul_f64_e32 v[139:140], v[131:132], v[16:17]
	v_mul_f64_e32 v[16:17], v[133:134], v[16:17]
	v_fma_f64 v[141:142], v[4:5], v[10:11], v[141:142]
	v_fma_f64 v[143:144], v[2:3], v[10:11], -v[12:13]
	ds_load_b128 v[2:5], v1 offset:768
	scratch_load_b128 v[10:13], off, off offset:304
	v_add_f64_e32 v[135:136], v[135:136], v[119:120]
	v_add_f64_e32 v[137:138], v[137:138], v[121:122]
	ds_load_b128 v[119:122], v1 offset:784
	v_fma_f64 v[133:134], v[133:134], v[14:15], v[139:140]
	v_fma_f64 v[131:132], v[131:132], v[14:15], -v[16:17]
	scratch_load_b128 v[14:17], off, off offset:320
	s_wait_loadcnt_dscnt 0xa01
	v_mul_f64_e32 v[145:146], v[2:3], v[20:21]
	v_mul_f64_e32 v[20:21], v[4:5], v[20:21]
	s_wait_loadcnt_dscnt 0x900
	v_mul_f64_e32 v[139:140], v[119:120], v[24:25]
	v_mul_f64_e32 v[24:25], v[121:122], v[24:25]
	v_add_f64_e32 v[135:136], v[135:136], v[143:144]
	v_add_f64_e32 v[137:138], v[137:138], v[141:142]
	v_fma_f64 v[141:142], v[4:5], v[18:19], v[145:146]
	v_fma_f64 v[143:144], v[2:3], v[18:19], -v[20:21]
	ds_load_b128 v[2:5], v1 offset:800
	scratch_load_b128 v[18:21], off, off offset:336
	v_fma_f64 v[121:122], v[121:122], v[22:23], v[139:140]
	v_fma_f64 v[119:120], v[119:120], v[22:23], -v[24:25]
	scratch_load_b128 v[22:25], off, off offset:352
	v_add_f64_e32 v[135:136], v[135:136], v[131:132]
	v_add_f64_e32 v[137:138], v[137:138], v[133:134]
	ds_load_b128 v[131:134], v1 offset:816
	s_wait_loadcnt_dscnt 0xa01
	v_mul_f64_e32 v[145:146], v[2:3], v[28:29]
	v_mul_f64_e32 v[28:29], v[4:5], v[28:29]
	s_wait_loadcnt_dscnt 0x900
	v_mul_f64_e32 v[139:140], v[131:132], v[32:33]
	v_mul_f64_e32 v[32:33], v[133:134], v[32:33]
	v_add_f64_e32 v[135:136], v[135:136], v[143:144]
	v_add_f64_e32 v[137:138], v[137:138], v[141:142]
	v_fma_f64 v[141:142], v[4:5], v[26:27], v[145:146]
	v_fma_f64 v[143:144], v[2:3], v[26:27], -v[28:29]
	ds_load_b128 v[2:5], v1 offset:832
	scratch_load_b128 v[26:29], off, off offset:368
	v_fma_f64 v[133:134], v[133:134], v[30:31], v[139:140]
	v_fma_f64 v[131:132], v[131:132], v[30:31], -v[32:33]
	scratch_load_b128 v[30:33], off, off offset:384
	v_add_f64_e32 v[135:136], v[135:136], v[119:120]
	v_add_f64_e32 v[137:138], v[137:138], v[121:122]
	ds_load_b128 v[119:122], v1 offset:848
	s_wait_loadcnt_dscnt 0xa01
	v_mul_f64_e32 v[145:146], v[2:3], v[36:37]
	v_mul_f64_e32 v[36:37], v[4:5], v[36:37]
	s_wait_loadcnt_dscnt 0x800
	v_mul_f64_e32 v[139:140], v[119:120], v[129:130]
	v_add_f64_e32 v[135:136], v[135:136], v[143:144]
	v_add_f64_e32 v[137:138], v[137:138], v[141:142]
	v_mul_f64_e32 v[141:142], v[121:122], v[129:130]
	v_fma_f64 v[143:144], v[4:5], v[34:35], v[145:146]
	v_fma_f64 v[145:146], v[2:3], v[34:35], -v[36:37]
	ds_load_b128 v[2:5], v1 offset:864
	scratch_load_b128 v[34:37], off, off offset:400
	v_fma_f64 v[121:122], v[121:122], v[127:128], v[139:140]
	v_add_f64_e32 v[135:136], v[135:136], v[131:132]
	v_add_f64_e32 v[133:134], v[137:138], v[133:134]
	ds_load_b128 v[129:132], v1 offset:880
	v_fma_f64 v[127:128], v[119:120], v[127:128], -v[141:142]
	s_wait_loadcnt_dscnt 0x801
	v_mul_f64_e32 v[137:138], v[2:3], v[117:118]
	v_mul_f64_e32 v[147:148], v[4:5], v[117:118]
	scratch_load_b128 v[117:120], off, off offset:416
	s_wait_loadcnt_dscnt 0x800
	v_mul_f64_e32 v[141:142], v[129:130], v[8:9]
	v_mul_f64_e32 v[8:9], v[131:132], v[8:9]
	v_add_f64_e32 v[135:136], v[135:136], v[145:146]
	v_add_f64_e32 v[133:134], v[133:134], v[143:144]
	v_fma_f64 v[143:144], v[4:5], v[115:116], v[137:138]
	v_fma_f64 v[115:116], v[2:3], v[115:116], -v[147:148]
	ds_load_b128 v[2:5], v1 offset:896
	ds_load_b128 v[137:140], v1 offset:912
	v_fma_f64 v[131:132], v[131:132], v[6:7], v[141:142]
	v_fma_f64 v[129:130], v[129:130], v[6:7], -v[8:9]
	scratch_load_b128 v[6:9], off, off offset:448
	v_add_f64_e32 v[127:128], v[135:136], v[127:128]
	v_add_f64_e32 v[121:122], v[133:134], v[121:122]
	scratch_load_b128 v[133:136], off, off offset:432
	s_wait_loadcnt_dscnt 0x901
	v_mul_f64_e32 v[145:146], v[2:3], v[12:13]
	v_mul_f64_e32 v[12:13], v[4:5], v[12:13]
	s_wait_loadcnt_dscnt 0x800
	v_mul_f64_e32 v[141:142], v[137:138], v[16:17]
	v_mul_f64_e32 v[16:17], v[139:140], v[16:17]
	v_add_f64_e32 v[115:116], v[127:128], v[115:116]
	v_add_f64_e32 v[121:122], v[121:122], v[143:144]
	v_fma_f64 v[143:144], v[4:5], v[10:11], v[145:146]
	v_fma_f64 v[145:146], v[2:3], v[10:11], -v[12:13]
	ds_load_b128 v[2:5], v1 offset:928
	scratch_load_b128 v[10:13], off, off offset:464
	v_fma_f64 v[139:140], v[139:140], v[14:15], v[141:142]
	v_fma_f64 v[137:138], v[137:138], v[14:15], -v[16:17]
	scratch_load_b128 v[14:17], off, off offset:480
	v_add_f64_e32 v[115:116], v[115:116], v[129:130]
	v_add_f64_e32 v[121:122], v[121:122], v[131:132]
	ds_load_b128 v[127:130], v1 offset:944
	s_wait_loadcnt_dscnt 0x901
	v_mul_f64_e32 v[131:132], v[2:3], v[20:21]
	v_mul_f64_e32 v[20:21], v[4:5], v[20:21]
	s_wait_loadcnt_dscnt 0x800
	v_mul_f64_e32 v[141:142], v[127:128], v[24:25]
	v_mul_f64_e32 v[24:25], v[129:130], v[24:25]
	v_add_f64_e32 v[115:116], v[115:116], v[145:146]
	v_add_f64_e32 v[121:122], v[121:122], v[143:144]
	v_fma_f64 v[131:132], v[4:5], v[18:19], v[131:132]
	v_fma_f64 v[143:144], v[2:3], v[18:19], -v[20:21]
	ds_load_b128 v[2:5], v1 offset:960
	scratch_load_b128 v[18:21], off, off offset:496
	v_fma_f64 v[129:130], v[129:130], v[22:23], v[141:142]
	v_fma_f64 v[127:128], v[127:128], v[22:23], -v[24:25]
	scratch_load_b128 v[22:25], off, off offset:512
	v_add_f64_e32 v[115:116], v[115:116], v[137:138]
	v_add_f64_e32 v[121:122], v[121:122], v[139:140]
	ds_load_b128 v[137:140], v1 offset:976
	s_wait_loadcnt_dscnt 0x901
	v_mul_f64_e32 v[145:146], v[2:3], v[28:29]
	v_mul_f64_e32 v[28:29], v[4:5], v[28:29]
	v_add_f64_e32 v[115:116], v[115:116], v[143:144]
	v_add_f64_e32 v[121:122], v[121:122], v[131:132]
	s_wait_loadcnt_dscnt 0x800
	v_mul_f64_e32 v[131:132], v[137:138], v[32:33]
	v_mul_f64_e32 v[32:33], v[139:140], v[32:33]
	v_fma_f64 v[141:142], v[4:5], v[26:27], v[145:146]
	v_fma_f64 v[143:144], v[2:3], v[26:27], -v[28:29]
	ds_load_b128 v[2:5], v1 offset:992
	scratch_load_b128 v[26:29], off, off offset:528
	v_add_f64_e32 v[115:116], v[115:116], v[127:128]
	v_add_f64_e32 v[121:122], v[121:122], v[129:130]
	ds_load_b128 v[127:130], v1 offset:1008
	s_wait_loadcnt_dscnt 0x801
	v_mul_f64_e32 v[145:146], v[2:3], v[36:37]
	v_mul_f64_e32 v[36:37], v[4:5], v[36:37]
	v_fma_f64 v[131:132], v[139:140], v[30:31], v[131:132]
	v_fma_f64 v[137:138], v[137:138], v[30:31], -v[32:33]
	scratch_load_b128 v[30:33], off, off offset:544
	s_wait_loadcnt_dscnt 0x800
	v_mul_f64_e32 v[139:140], v[127:128], v[119:120]
	v_add_f64_e32 v[115:116], v[115:116], v[143:144]
	v_add_f64_e32 v[121:122], v[121:122], v[141:142]
	v_mul_f64_e32 v[141:142], v[129:130], v[119:120]
	v_fma_f64 v[143:144], v[4:5], v[34:35], v[145:146]
	v_fma_f64 v[145:146], v[2:3], v[34:35], -v[36:37]
	ds_load_b128 v[2:5], v1 offset:1024
	scratch_load_b128 v[34:37], off, off offset:560
	v_fma_f64 v[129:130], v[129:130], v[117:118], v[139:140]
	v_add_f64_e32 v[115:116], v[115:116], v[137:138]
	v_add_f64_e32 v[131:132], v[121:122], v[131:132]
	ds_load_b128 v[119:122], v1 offset:1040
	v_fma_f64 v[127:128], v[127:128], v[117:118], -v[141:142]
	s_wait_loadcnt_dscnt 0x701
	v_mul_f64_e32 v[137:138], v[2:3], v[135:136]
	v_mul_f64_e32 v[135:136], v[4:5], v[135:136]
	s_wait_dscnt 0x0
	v_mul_f64_e32 v[141:142], v[119:120], v[8:9]
	v_mul_f64_e32 v[8:9], v[121:122], v[8:9]
	v_add_f64_e32 v[139:140], v[115:116], v[145:146]
	v_add_f64_e32 v[131:132], v[131:132], v[143:144]
	scratch_load_b128 v[115:118], off, off offset:576
	v_fma_f64 v[137:138], v[4:5], v[133:134], v[137:138]
	v_fma_f64 v[135:136], v[2:3], v[133:134], -v[135:136]
	ds_load_b128 v[2:5], v1 offset:1056
	v_fma_f64 v[121:122], v[121:122], v[6:7], v[141:142]
	v_fma_f64 v[119:120], v[119:120], v[6:7], -v[8:9]
	scratch_load_b128 v[6:9], off, off offset:608
	v_add_f64_e32 v[139:140], v[139:140], v[127:128]
	v_add_f64_e32 v[143:144], v[131:132], v[129:130]
	scratch_load_b128 v[127:130], off, off offset:592
	ds_load_b128 v[131:134], v1 offset:1072
	s_wait_loadcnt_dscnt 0x901
	v_mul_f64_e32 v[145:146], v[2:3], v[12:13]
	v_mul_f64_e32 v[12:13], v[4:5], v[12:13]
	v_add_f64_e32 v[135:136], v[139:140], v[135:136]
	v_add_f64_e32 v[137:138], v[143:144], v[137:138]
	s_wait_loadcnt_dscnt 0x800
	v_mul_f64_e32 v[139:140], v[131:132], v[16:17]
	v_mul_f64_e32 v[16:17], v[133:134], v[16:17]
	v_fma_f64 v[141:142], v[4:5], v[10:11], v[145:146]
	v_fma_f64 v[143:144], v[2:3], v[10:11], -v[12:13]
	ds_load_b128 v[2:5], v1 offset:1088
	ds_load_b128 v[10:13], v1 offset:1104
	v_add_f64_e32 v[119:120], v[135:136], v[119:120]
	v_add_f64_e32 v[121:122], v[137:138], v[121:122]
	s_wait_loadcnt_dscnt 0x701
	v_mul_f64_e32 v[135:136], v[2:3], v[20:21]
	v_mul_f64_e32 v[20:21], v[4:5], v[20:21]
	v_fma_f64 v[133:134], v[133:134], v[14:15], v[139:140]
	v_fma_f64 v[14:15], v[131:132], v[14:15], -v[16:17]
	v_add_f64_e32 v[16:17], v[119:120], v[143:144]
	v_add_f64_e32 v[119:120], v[121:122], v[141:142]
	s_wait_loadcnt_dscnt 0x600
	v_mul_f64_e32 v[121:122], v[10:11], v[24:25]
	v_mul_f64_e32 v[24:25], v[12:13], v[24:25]
	v_fma_f64 v[131:132], v[4:5], v[18:19], v[135:136]
	v_fma_f64 v[18:19], v[2:3], v[18:19], -v[20:21]
	v_add_f64_e32 v[20:21], v[16:17], v[14:15]
	v_add_f64_e32 v[119:120], v[119:120], v[133:134]
	ds_load_b128 v[2:5], v1 offset:1120
	ds_load_b128 v[14:17], v1 offset:1136
	v_fma_f64 v[12:13], v[12:13], v[22:23], v[121:122]
	v_fma_f64 v[10:11], v[10:11], v[22:23], -v[24:25]
	s_wait_loadcnt_dscnt 0x501
	v_mul_f64_e32 v[133:134], v[2:3], v[28:29]
	v_mul_f64_e32 v[28:29], v[4:5], v[28:29]
	s_wait_loadcnt_dscnt 0x400
	v_mul_f64_e32 v[22:23], v[14:15], v[32:33]
	v_mul_f64_e32 v[24:25], v[16:17], v[32:33]
	v_add_f64_e32 v[18:19], v[20:21], v[18:19]
	v_add_f64_e32 v[20:21], v[119:120], v[131:132]
	v_fma_f64 v[32:33], v[4:5], v[26:27], v[133:134]
	v_fma_f64 v[26:27], v[2:3], v[26:27], -v[28:29]
	v_fma_f64 v[16:17], v[16:17], v[30:31], v[22:23]
	v_fma_f64 v[14:15], v[14:15], v[30:31], -v[24:25]
	v_add_f64_e32 v[18:19], v[18:19], v[10:11]
	v_add_f64_e32 v[20:21], v[20:21], v[12:13]
	ds_load_b128 v[2:5], v1 offset:1152
	ds_load_b128 v[10:13], v1 offset:1168
	s_wait_loadcnt_dscnt 0x301
	v_mul_f64_e32 v[28:29], v[2:3], v[36:37]
	v_mul_f64_e32 v[36:37], v[4:5], v[36:37]
	v_add_f64_e32 v[18:19], v[18:19], v[26:27]
	v_add_f64_e32 v[20:21], v[20:21], v[32:33]
	s_wait_loadcnt_dscnt 0x200
	v_mul_f64_e32 v[22:23], v[10:11], v[117:118]
	v_mul_f64_e32 v[24:25], v[12:13], v[117:118]
	v_fma_f64 v[26:27], v[4:5], v[34:35], v[28:29]
	v_fma_f64 v[28:29], v[2:3], v[34:35], -v[36:37]
	v_add_f64_e32 v[18:19], v[18:19], v[14:15]
	v_add_f64_e32 v[20:21], v[20:21], v[16:17]
	ds_load_b128 v[2:5], v1 offset:1184
	ds_load_b128 v[14:17], v1 offset:1200
	v_fma_f64 v[12:13], v[12:13], v[115:116], v[22:23]
	v_fma_f64 v[10:11], v[10:11], v[115:116], -v[24:25]
	s_wait_loadcnt_dscnt 0x1
	v_mul_f64_e32 v[30:31], v[2:3], v[129:130]
	v_mul_f64_e32 v[32:33], v[4:5], v[129:130]
	s_wait_dscnt 0x0
	v_mul_f64_e32 v[22:23], v[14:15], v[8:9]
	v_mul_f64_e32 v[8:9], v[16:17], v[8:9]
	v_add_f64_e32 v[18:19], v[18:19], v[28:29]
	v_add_f64_e32 v[20:21], v[20:21], v[26:27]
	v_fma_f64 v[4:5], v[4:5], v[127:128], v[30:31]
	v_fma_f64 v[1:2], v[2:3], v[127:128], -v[32:33]
	v_fma_f64 v[16:17], v[16:17], v[6:7], v[22:23]
	v_fma_f64 v[6:7], v[14:15], v[6:7], -v[8:9]
	v_add_f64_e32 v[10:11], v[18:19], v[10:11]
	v_add_f64_e32 v[12:13], v[20:21], v[12:13]
	s_delay_alu instid0(VALU_DEP_2) | instskip(NEXT) | instid1(VALU_DEP_2)
	v_add_f64_e32 v[1:2], v[10:11], v[1:2]
	v_add_f64_e32 v[3:4], v[12:13], v[4:5]
	s_delay_alu instid0(VALU_DEP_2) | instskip(NEXT) | instid1(VALU_DEP_2)
	;; [unrolled: 3-line block ×3, first 2 shown]
	v_add_f64_e64 v[1:2], v[123:124], -v[1:2]
	v_add_f64_e64 v[3:4], v[125:126], -v[3:4]
	scratch_store_b128 off, v[1:4], off offset:96
	v_cmpx_lt_u32_e32 4, v0
	s_cbranch_execz .LBB101_233
; %bb.232:
	scratch_load_b128 v[1:4], off, s27
	v_mov_b32_e32 v5, 0
	s_delay_alu instid0(VALU_DEP_1)
	v_dual_mov_b32 v6, v5 :: v_dual_mov_b32 v7, v5
	v_mov_b32_e32 v8, v5
	scratch_store_b128 off, v[5:8], off offset:80
	s_wait_loadcnt 0x0
	ds_store_b128 v114, v[1:4]
.LBB101_233:
	s_wait_alu 0xfffe
	s_or_b32 exec_lo, exec_lo, s0
	s_wait_storecnt_dscnt 0x0
	s_barrier_signal -1
	s_barrier_wait -1
	global_inv scope:SCOPE_SE
	s_clause 0x7
	scratch_load_b128 v[2:5], off, off offset:96
	scratch_load_b128 v[6:9], off, off offset:112
	;; [unrolled: 1-line block ×8, first 2 shown]
	v_mov_b32_e32 v1, 0
	s_mov_b32 s0, exec_lo
	ds_load_b128 v[34:37], v1 offset:688
	s_clause 0x1
	scratch_load_b128 v[115:118], off, off offset:224
	scratch_load_b128 v[119:122], off, off offset:80
	ds_load_b128 v[123:126], v1 offset:704
	scratch_load_b128 v[127:130], off, off offset:240
	s_wait_loadcnt_dscnt 0xa01
	v_mul_f64_e32 v[131:132], v[36:37], v[4:5]
	v_mul_f64_e32 v[4:5], v[34:35], v[4:5]
	s_delay_alu instid0(VALU_DEP_2) | instskip(NEXT) | instid1(VALU_DEP_2)
	v_fma_f64 v[137:138], v[34:35], v[2:3], -v[131:132]
	v_fma_f64 v[139:140], v[36:37], v[2:3], v[4:5]
	ds_load_b128 v[2:5], v1 offset:720
	s_wait_loadcnt_dscnt 0x901
	v_mul_f64_e32 v[135:136], v[123:124], v[8:9]
	v_mul_f64_e32 v[8:9], v[125:126], v[8:9]
	scratch_load_b128 v[34:37], off, off offset:256
	ds_load_b128 v[131:134], v1 offset:736
	s_wait_loadcnt_dscnt 0x901
	v_mul_f64_e32 v[141:142], v[2:3], v[12:13]
	v_mul_f64_e32 v[12:13], v[4:5], v[12:13]
	v_fma_f64 v[125:126], v[125:126], v[6:7], v[135:136]
	v_fma_f64 v[123:124], v[123:124], v[6:7], -v[8:9]
	v_add_f64_e32 v[135:136], 0, v[137:138]
	v_add_f64_e32 v[137:138], 0, v[139:140]
	scratch_load_b128 v[6:9], off, off offset:272
	v_fma_f64 v[141:142], v[4:5], v[10:11], v[141:142]
	v_fma_f64 v[143:144], v[2:3], v[10:11], -v[12:13]
	ds_load_b128 v[2:5], v1 offset:752
	s_wait_loadcnt_dscnt 0x901
	v_mul_f64_e32 v[139:140], v[131:132], v[16:17]
	v_mul_f64_e32 v[16:17], v[133:134], v[16:17]
	scratch_load_b128 v[10:13], off, off offset:288
	v_add_f64_e32 v[135:136], v[135:136], v[123:124]
	v_add_f64_e32 v[137:138], v[137:138], v[125:126]
	s_wait_loadcnt_dscnt 0x900
	v_mul_f64_e32 v[145:146], v[2:3], v[20:21]
	v_mul_f64_e32 v[20:21], v[4:5], v[20:21]
	ds_load_b128 v[123:126], v1 offset:768
	v_fma_f64 v[133:134], v[133:134], v[14:15], v[139:140]
	v_fma_f64 v[131:132], v[131:132], v[14:15], -v[16:17]
	scratch_load_b128 v[14:17], off, off offset:304
	v_add_f64_e32 v[135:136], v[135:136], v[143:144]
	v_add_f64_e32 v[137:138], v[137:138], v[141:142]
	v_fma_f64 v[141:142], v[4:5], v[18:19], v[145:146]
	v_fma_f64 v[143:144], v[2:3], v[18:19], -v[20:21]
	ds_load_b128 v[2:5], v1 offset:784
	s_wait_loadcnt_dscnt 0x901
	v_mul_f64_e32 v[139:140], v[123:124], v[24:25]
	v_mul_f64_e32 v[24:25], v[125:126], v[24:25]
	scratch_load_b128 v[18:21], off, off offset:320
	s_wait_loadcnt_dscnt 0x900
	v_mul_f64_e32 v[145:146], v[2:3], v[28:29]
	v_mul_f64_e32 v[28:29], v[4:5], v[28:29]
	v_add_f64_e32 v[135:136], v[135:136], v[131:132]
	v_add_f64_e32 v[137:138], v[137:138], v[133:134]
	ds_load_b128 v[131:134], v1 offset:800
	v_fma_f64 v[125:126], v[125:126], v[22:23], v[139:140]
	v_fma_f64 v[123:124], v[123:124], v[22:23], -v[24:25]
	scratch_load_b128 v[22:25], off, off offset:336
	v_add_f64_e32 v[135:136], v[135:136], v[143:144]
	v_add_f64_e32 v[137:138], v[137:138], v[141:142]
	v_fma_f64 v[141:142], v[4:5], v[26:27], v[145:146]
	v_fma_f64 v[143:144], v[2:3], v[26:27], -v[28:29]
	ds_load_b128 v[2:5], v1 offset:816
	s_wait_loadcnt_dscnt 0x901
	v_mul_f64_e32 v[139:140], v[131:132], v[32:33]
	v_mul_f64_e32 v[32:33], v[133:134], v[32:33]
	scratch_load_b128 v[26:29], off, off offset:352
	s_wait_loadcnt_dscnt 0x900
	v_mul_f64_e32 v[145:146], v[2:3], v[117:118]
	v_mul_f64_e32 v[117:118], v[4:5], v[117:118]
	v_add_f64_e32 v[135:136], v[135:136], v[123:124]
	v_add_f64_e32 v[137:138], v[137:138], v[125:126]
	ds_load_b128 v[123:126], v1 offset:832
	v_fma_f64 v[133:134], v[133:134], v[30:31], v[139:140]
	v_fma_f64 v[131:132], v[131:132], v[30:31], -v[32:33]
	scratch_load_b128 v[30:33], off, off offset:368
	v_add_f64_e32 v[135:136], v[135:136], v[143:144]
	v_add_f64_e32 v[137:138], v[137:138], v[141:142]
	v_fma_f64 v[143:144], v[4:5], v[115:116], v[145:146]
	v_fma_f64 v[145:146], v[2:3], v[115:116], -v[117:118]
	ds_load_b128 v[2:5], v1 offset:848
	s_wait_loadcnt_dscnt 0x801
	v_mul_f64_e32 v[139:140], v[123:124], v[129:130]
	v_mul_f64_e32 v[141:142], v[125:126], v[129:130]
	scratch_load_b128 v[115:118], off, off offset:384
	v_add_f64_e32 v[135:136], v[135:136], v[131:132]
	v_add_f64_e32 v[133:134], v[137:138], v[133:134]
	ds_load_b128 v[129:132], v1 offset:864
	v_fma_f64 v[139:140], v[125:126], v[127:128], v[139:140]
	v_fma_f64 v[127:128], v[123:124], v[127:128], -v[141:142]
	scratch_load_b128 v[123:126], off, off offset:400
	s_wait_loadcnt_dscnt 0x901
	v_mul_f64_e32 v[137:138], v[2:3], v[36:37]
	v_mul_f64_e32 v[36:37], v[4:5], v[36:37]
	v_add_f64_e32 v[135:136], v[135:136], v[145:146]
	v_add_f64_e32 v[133:134], v[133:134], v[143:144]
	s_delay_alu instid0(VALU_DEP_4) | instskip(NEXT) | instid1(VALU_DEP_4)
	v_fma_f64 v[137:138], v[4:5], v[34:35], v[137:138]
	v_fma_f64 v[143:144], v[2:3], v[34:35], -v[36:37]
	ds_load_b128 v[2:5], v1 offset:880
	s_wait_loadcnt_dscnt 0x801
	v_mul_f64_e32 v[141:142], v[129:130], v[8:9]
	v_mul_f64_e32 v[8:9], v[131:132], v[8:9]
	scratch_load_b128 v[34:37], off, off offset:416
	s_wait_loadcnt_dscnt 0x800
	v_mul_f64_e32 v[145:146], v[2:3], v[12:13]
	v_add_f64_e32 v[127:128], v[135:136], v[127:128]
	v_add_f64_e32 v[139:140], v[133:134], v[139:140]
	v_mul_f64_e32 v[12:13], v[4:5], v[12:13]
	ds_load_b128 v[133:136], v1 offset:896
	v_fma_f64 v[131:132], v[131:132], v[6:7], v[141:142]
	v_fma_f64 v[129:130], v[129:130], v[6:7], -v[8:9]
	scratch_load_b128 v[6:9], off, off offset:432
	v_fma_f64 v[141:142], v[4:5], v[10:11], v[145:146]
	v_add_f64_e32 v[127:128], v[127:128], v[143:144]
	v_add_f64_e32 v[137:138], v[139:140], v[137:138]
	v_fma_f64 v[143:144], v[2:3], v[10:11], -v[12:13]
	ds_load_b128 v[2:5], v1 offset:912
	s_wait_loadcnt_dscnt 0x801
	v_mul_f64_e32 v[139:140], v[133:134], v[16:17]
	v_mul_f64_e32 v[16:17], v[135:136], v[16:17]
	scratch_load_b128 v[10:13], off, off offset:448
	v_add_f64_e32 v[145:146], v[127:128], v[129:130]
	v_add_f64_e32 v[131:132], v[137:138], v[131:132]
	s_wait_loadcnt_dscnt 0x800
	v_mul_f64_e32 v[137:138], v[2:3], v[20:21]
	v_mul_f64_e32 v[20:21], v[4:5], v[20:21]
	v_fma_f64 v[135:136], v[135:136], v[14:15], v[139:140]
	v_fma_f64 v[133:134], v[133:134], v[14:15], -v[16:17]
	ds_load_b128 v[127:130], v1 offset:928
	scratch_load_b128 v[14:17], off, off offset:464
	v_add_f64_e32 v[139:140], v[145:146], v[143:144]
	v_add_f64_e32 v[131:132], v[131:132], v[141:142]
	v_fma_f64 v[137:138], v[4:5], v[18:19], v[137:138]
	v_fma_f64 v[143:144], v[2:3], v[18:19], -v[20:21]
	ds_load_b128 v[2:5], v1 offset:944
	s_wait_loadcnt_dscnt 0x801
	v_mul_f64_e32 v[141:142], v[127:128], v[24:25]
	v_mul_f64_e32 v[24:25], v[129:130], v[24:25]
	scratch_load_b128 v[18:21], off, off offset:480
	s_wait_loadcnt_dscnt 0x800
	v_mul_f64_e32 v[145:146], v[2:3], v[28:29]
	v_mul_f64_e32 v[28:29], v[4:5], v[28:29]
	v_add_f64_e32 v[139:140], v[139:140], v[133:134]
	v_add_f64_e32 v[135:136], v[131:132], v[135:136]
	ds_load_b128 v[131:134], v1 offset:960
	v_fma_f64 v[129:130], v[129:130], v[22:23], v[141:142]
	v_fma_f64 v[127:128], v[127:128], v[22:23], -v[24:25]
	scratch_load_b128 v[22:25], off, off offset:496
	v_fma_f64 v[141:142], v[4:5], v[26:27], v[145:146]
	v_add_f64_e32 v[139:140], v[139:140], v[143:144]
	v_add_f64_e32 v[135:136], v[135:136], v[137:138]
	v_fma_f64 v[143:144], v[2:3], v[26:27], -v[28:29]
	ds_load_b128 v[2:5], v1 offset:976
	s_wait_loadcnt_dscnt 0x801
	v_mul_f64_e32 v[137:138], v[131:132], v[32:33]
	v_mul_f64_e32 v[32:33], v[133:134], v[32:33]
	scratch_load_b128 v[26:29], off, off offset:512
	s_wait_loadcnt_dscnt 0x800
	v_mul_f64_e32 v[145:146], v[2:3], v[117:118]
	v_mul_f64_e32 v[117:118], v[4:5], v[117:118]
	v_add_f64_e32 v[139:140], v[139:140], v[127:128]
	v_add_f64_e32 v[135:136], v[135:136], v[129:130]
	ds_load_b128 v[127:130], v1 offset:992
	v_fma_f64 v[133:134], v[133:134], v[30:31], v[137:138]
	v_fma_f64 v[131:132], v[131:132], v[30:31], -v[32:33]
	scratch_load_b128 v[30:33], off, off offset:528
	v_add_f64_e32 v[137:138], v[139:140], v[143:144]
	v_add_f64_e32 v[135:136], v[135:136], v[141:142]
	v_fma_f64 v[141:142], v[4:5], v[115:116], v[145:146]
	v_fma_f64 v[143:144], v[2:3], v[115:116], -v[117:118]
	ds_load_b128 v[2:5], v1 offset:1008
	s_wait_loadcnt_dscnt 0x801
	v_mul_f64_e32 v[139:140], v[127:128], v[125:126]
	v_mul_f64_e32 v[125:126], v[129:130], v[125:126]
	scratch_load_b128 v[115:118], off, off offset:544
	s_wait_loadcnt_dscnt 0x800
	v_mul_f64_e32 v[145:146], v[2:3], v[36:37]
	v_mul_f64_e32 v[36:37], v[4:5], v[36:37]
	v_add_f64_e32 v[137:138], v[137:138], v[131:132]
	v_add_f64_e32 v[135:136], v[135:136], v[133:134]
	ds_load_b128 v[131:134], v1 offset:1024
	v_fma_f64 v[129:130], v[129:130], v[123:124], v[139:140]
	v_fma_f64 v[127:128], v[127:128], v[123:124], -v[125:126]
	scratch_load_b128 v[123:126], off, off offset:560
	v_add_f64_e32 v[137:138], v[137:138], v[143:144]
	v_add_f64_e32 v[135:136], v[135:136], v[141:142]
	v_fma_f64 v[141:142], v[4:5], v[34:35], v[145:146]
	;; [unrolled: 18-line block ×3, first 2 shown]
	v_fma_f64 v[143:144], v[2:3], v[10:11], -v[12:13]
	ds_load_b128 v[2:5], v1 offset:1072
	s_wait_loadcnt_dscnt 0x801
	v_mul_f64_e32 v[139:140], v[127:128], v[16:17]
	v_mul_f64_e32 v[16:17], v[129:130], v[16:17]
	scratch_load_b128 v[10:13], off, off offset:608
	s_wait_loadcnt_dscnt 0x800
	v_mul_f64_e32 v[145:146], v[2:3], v[20:21]
	v_mul_f64_e32 v[20:21], v[4:5], v[20:21]
	v_add_f64_e32 v[137:138], v[137:138], v[131:132]
	v_add_f64_e32 v[135:136], v[135:136], v[133:134]
	ds_load_b128 v[131:134], v1 offset:1088
	v_fma_f64 v[129:130], v[129:130], v[14:15], v[139:140]
	v_fma_f64 v[14:15], v[127:128], v[14:15], -v[16:17]
	v_add_f64_e32 v[16:17], v[137:138], v[143:144]
	v_add_f64_e32 v[127:128], v[135:136], v[141:142]
	s_wait_loadcnt_dscnt 0x700
	v_mul_f64_e32 v[135:136], v[131:132], v[24:25]
	v_mul_f64_e32 v[24:25], v[133:134], v[24:25]
	v_fma_f64 v[137:138], v[4:5], v[18:19], v[145:146]
	v_fma_f64 v[18:19], v[2:3], v[18:19], -v[20:21]
	v_add_f64_e32 v[20:21], v[16:17], v[14:15]
	v_add_f64_e32 v[127:128], v[127:128], v[129:130]
	ds_load_b128 v[2:5], v1 offset:1104
	ds_load_b128 v[14:17], v1 offset:1120
	v_fma_f64 v[133:134], v[133:134], v[22:23], v[135:136]
	v_fma_f64 v[22:23], v[131:132], v[22:23], -v[24:25]
	s_wait_loadcnt_dscnt 0x601
	v_mul_f64_e32 v[129:130], v[2:3], v[28:29]
	v_mul_f64_e32 v[28:29], v[4:5], v[28:29]
	s_wait_loadcnt_dscnt 0x500
	v_mul_f64_e32 v[24:25], v[14:15], v[32:33]
	v_mul_f64_e32 v[32:33], v[16:17], v[32:33]
	v_add_f64_e32 v[18:19], v[20:21], v[18:19]
	v_add_f64_e32 v[20:21], v[127:128], v[137:138]
	v_fma_f64 v[127:128], v[4:5], v[26:27], v[129:130]
	v_fma_f64 v[26:27], v[2:3], v[26:27], -v[28:29]
	v_fma_f64 v[16:17], v[16:17], v[30:31], v[24:25]
	v_fma_f64 v[14:15], v[14:15], v[30:31], -v[32:33]
	v_add_f64_e32 v[22:23], v[18:19], v[22:23]
	v_add_f64_e32 v[28:29], v[20:21], v[133:134]
	ds_load_b128 v[2:5], v1 offset:1136
	ds_load_b128 v[18:21], v1 offset:1152
	s_wait_loadcnt_dscnt 0x401
	v_mul_f64_e32 v[129:130], v[2:3], v[117:118]
	v_mul_f64_e32 v[117:118], v[4:5], v[117:118]
	v_add_f64_e32 v[22:23], v[22:23], v[26:27]
	v_add_f64_e32 v[24:25], v[28:29], v[127:128]
	s_wait_loadcnt_dscnt 0x300
	v_mul_f64_e32 v[26:27], v[18:19], v[125:126]
	v_mul_f64_e32 v[28:29], v[20:21], v[125:126]
	v_fma_f64 v[30:31], v[4:5], v[115:116], v[129:130]
	v_fma_f64 v[32:33], v[2:3], v[115:116], -v[117:118]
	v_add_f64_e32 v[22:23], v[22:23], v[14:15]
	v_add_f64_e32 v[24:25], v[24:25], v[16:17]
	ds_load_b128 v[2:5], v1 offset:1168
	ds_load_b128 v[14:17], v1 offset:1184
	v_fma_f64 v[20:21], v[20:21], v[123:124], v[26:27]
	v_fma_f64 v[18:19], v[18:19], v[123:124], -v[28:29]
	s_wait_loadcnt_dscnt 0x201
	v_mul_f64_e32 v[115:116], v[2:3], v[36:37]
	v_mul_f64_e32 v[36:37], v[4:5], v[36:37]
	s_wait_loadcnt_dscnt 0x100
	v_mul_f64_e32 v[26:27], v[14:15], v[8:9]
	v_mul_f64_e32 v[8:9], v[16:17], v[8:9]
	v_add_f64_e32 v[22:23], v[22:23], v[32:33]
	v_add_f64_e32 v[24:25], v[24:25], v[30:31]
	v_fma_f64 v[28:29], v[4:5], v[34:35], v[115:116]
	v_fma_f64 v[30:31], v[2:3], v[34:35], -v[36:37]
	ds_load_b128 v[2:5], v1 offset:1200
	v_fma_f64 v[16:17], v[16:17], v[6:7], v[26:27]
	v_fma_f64 v[6:7], v[14:15], v[6:7], -v[8:9]
	v_add_f64_e32 v[18:19], v[22:23], v[18:19]
	v_add_f64_e32 v[20:21], v[24:25], v[20:21]
	s_wait_loadcnt_dscnt 0x0
	v_mul_f64_e32 v[22:23], v[2:3], v[12:13]
	v_mul_f64_e32 v[12:13], v[4:5], v[12:13]
	s_delay_alu instid0(VALU_DEP_4) | instskip(NEXT) | instid1(VALU_DEP_4)
	v_add_f64_e32 v[8:9], v[18:19], v[30:31]
	v_add_f64_e32 v[14:15], v[20:21], v[28:29]
	s_delay_alu instid0(VALU_DEP_4) | instskip(NEXT) | instid1(VALU_DEP_4)
	v_fma_f64 v[4:5], v[4:5], v[10:11], v[22:23]
	v_fma_f64 v[2:3], v[2:3], v[10:11], -v[12:13]
	s_delay_alu instid0(VALU_DEP_4) | instskip(NEXT) | instid1(VALU_DEP_4)
	v_add_f64_e32 v[6:7], v[8:9], v[6:7]
	v_add_f64_e32 v[8:9], v[14:15], v[16:17]
	s_delay_alu instid0(VALU_DEP_2) | instskip(NEXT) | instid1(VALU_DEP_2)
	v_add_f64_e32 v[2:3], v[6:7], v[2:3]
	v_add_f64_e32 v[4:5], v[8:9], v[4:5]
	s_delay_alu instid0(VALU_DEP_2) | instskip(NEXT) | instid1(VALU_DEP_2)
	v_add_f64_e64 v[2:3], v[119:120], -v[2:3]
	v_add_f64_e64 v[4:5], v[121:122], -v[4:5]
	scratch_store_b128 off, v[2:5], off offset:80
	v_cmpx_lt_u32_e32 3, v0
	s_cbranch_execz .LBB101_235
; %bb.234:
	scratch_load_b128 v[5:8], off, s26
	v_dual_mov_b32 v2, v1 :: v_dual_mov_b32 v3, v1
	v_mov_b32_e32 v4, v1
	scratch_store_b128 off, v[1:4], off offset:64
	s_wait_loadcnt 0x0
	ds_store_b128 v114, v[5:8]
.LBB101_235:
	s_wait_alu 0xfffe
	s_or_b32 exec_lo, exec_lo, s0
	s_wait_storecnt_dscnt 0x0
	s_barrier_signal -1
	s_barrier_wait -1
	global_inv scope:SCOPE_SE
	s_clause 0x8
	scratch_load_b128 v[2:5], off, off offset:80
	scratch_load_b128 v[6:9], off, off offset:96
	;; [unrolled: 1-line block ×9, first 2 shown]
	ds_load_b128 v[115:118], v1 offset:672
	ds_load_b128 v[119:122], v1 offset:688
	s_clause 0x1
	scratch_load_b128 v[123:126], off, off offset:64
	scratch_load_b128 v[127:130], off, off offset:224
	s_mov_b32 s0, exec_lo
	s_wait_loadcnt_dscnt 0xa01
	v_mul_f64_e32 v[131:132], v[117:118], v[4:5]
	v_mul_f64_e32 v[4:5], v[115:116], v[4:5]
	s_wait_loadcnt_dscnt 0x900
	v_mul_f64_e32 v[135:136], v[119:120], v[8:9]
	v_mul_f64_e32 v[8:9], v[121:122], v[8:9]
	s_delay_alu instid0(VALU_DEP_4) | instskip(NEXT) | instid1(VALU_DEP_4)
	v_fma_f64 v[137:138], v[115:116], v[2:3], -v[131:132]
	v_fma_f64 v[139:140], v[117:118], v[2:3], v[4:5]
	ds_load_b128 v[2:5], v1 offset:704
	ds_load_b128 v[131:134], v1 offset:720
	scratch_load_b128 v[115:118], off, off offset:240
	v_fma_f64 v[121:122], v[121:122], v[6:7], v[135:136]
	v_fma_f64 v[119:120], v[119:120], v[6:7], -v[8:9]
	scratch_load_b128 v[6:9], off, off offset:256
	s_wait_loadcnt_dscnt 0xa01
	v_mul_f64_e32 v[141:142], v[2:3], v[12:13]
	v_mul_f64_e32 v[12:13], v[4:5], v[12:13]
	v_add_f64_e32 v[135:136], 0, v[137:138]
	v_add_f64_e32 v[137:138], 0, v[139:140]
	s_wait_loadcnt_dscnt 0x900
	v_mul_f64_e32 v[139:140], v[131:132], v[16:17]
	v_mul_f64_e32 v[16:17], v[133:134], v[16:17]
	v_fma_f64 v[141:142], v[4:5], v[10:11], v[141:142]
	v_fma_f64 v[143:144], v[2:3], v[10:11], -v[12:13]
	ds_load_b128 v[2:5], v1 offset:736
	scratch_load_b128 v[10:13], off, off offset:272
	v_add_f64_e32 v[135:136], v[135:136], v[119:120]
	v_add_f64_e32 v[137:138], v[137:138], v[121:122]
	ds_load_b128 v[119:122], v1 offset:752
	v_fma_f64 v[133:134], v[133:134], v[14:15], v[139:140]
	v_fma_f64 v[131:132], v[131:132], v[14:15], -v[16:17]
	scratch_load_b128 v[14:17], off, off offset:288
	s_wait_loadcnt_dscnt 0xa01
	v_mul_f64_e32 v[145:146], v[2:3], v[20:21]
	v_mul_f64_e32 v[20:21], v[4:5], v[20:21]
	s_wait_loadcnt_dscnt 0x900
	v_mul_f64_e32 v[139:140], v[119:120], v[24:25]
	v_mul_f64_e32 v[24:25], v[121:122], v[24:25]
	v_add_f64_e32 v[135:136], v[135:136], v[143:144]
	v_add_f64_e32 v[137:138], v[137:138], v[141:142]
	v_fma_f64 v[141:142], v[4:5], v[18:19], v[145:146]
	v_fma_f64 v[143:144], v[2:3], v[18:19], -v[20:21]
	ds_load_b128 v[2:5], v1 offset:768
	scratch_load_b128 v[18:21], off, off offset:304
	v_fma_f64 v[121:122], v[121:122], v[22:23], v[139:140]
	v_fma_f64 v[119:120], v[119:120], v[22:23], -v[24:25]
	scratch_load_b128 v[22:25], off, off offset:320
	v_add_f64_e32 v[135:136], v[135:136], v[131:132]
	v_add_f64_e32 v[137:138], v[137:138], v[133:134]
	ds_load_b128 v[131:134], v1 offset:784
	s_wait_loadcnt_dscnt 0xa01
	v_mul_f64_e32 v[145:146], v[2:3], v[28:29]
	v_mul_f64_e32 v[28:29], v[4:5], v[28:29]
	s_wait_loadcnt_dscnt 0x900
	v_mul_f64_e32 v[139:140], v[131:132], v[32:33]
	v_mul_f64_e32 v[32:33], v[133:134], v[32:33]
	v_add_f64_e32 v[135:136], v[135:136], v[143:144]
	v_add_f64_e32 v[137:138], v[137:138], v[141:142]
	v_fma_f64 v[141:142], v[4:5], v[26:27], v[145:146]
	v_fma_f64 v[143:144], v[2:3], v[26:27], -v[28:29]
	ds_load_b128 v[2:5], v1 offset:800
	scratch_load_b128 v[26:29], off, off offset:336
	v_fma_f64 v[133:134], v[133:134], v[30:31], v[139:140]
	v_fma_f64 v[131:132], v[131:132], v[30:31], -v[32:33]
	scratch_load_b128 v[30:33], off, off offset:352
	v_add_f64_e32 v[135:136], v[135:136], v[119:120]
	v_add_f64_e32 v[137:138], v[137:138], v[121:122]
	ds_load_b128 v[119:122], v1 offset:816
	s_wait_loadcnt_dscnt 0xa01
	v_mul_f64_e32 v[145:146], v[2:3], v[36:37]
	v_mul_f64_e32 v[36:37], v[4:5], v[36:37]
	s_wait_loadcnt_dscnt 0x800
	v_mul_f64_e32 v[139:140], v[119:120], v[129:130]
	v_add_f64_e32 v[135:136], v[135:136], v[143:144]
	v_add_f64_e32 v[137:138], v[137:138], v[141:142]
	v_mul_f64_e32 v[141:142], v[121:122], v[129:130]
	v_fma_f64 v[143:144], v[4:5], v[34:35], v[145:146]
	v_fma_f64 v[145:146], v[2:3], v[34:35], -v[36:37]
	ds_load_b128 v[2:5], v1 offset:832
	scratch_load_b128 v[34:37], off, off offset:368
	v_fma_f64 v[121:122], v[121:122], v[127:128], v[139:140]
	v_add_f64_e32 v[135:136], v[135:136], v[131:132]
	v_add_f64_e32 v[133:134], v[137:138], v[133:134]
	ds_load_b128 v[129:132], v1 offset:848
	v_fma_f64 v[127:128], v[119:120], v[127:128], -v[141:142]
	s_wait_loadcnt_dscnt 0x801
	v_mul_f64_e32 v[137:138], v[2:3], v[117:118]
	v_mul_f64_e32 v[147:148], v[4:5], v[117:118]
	scratch_load_b128 v[117:120], off, off offset:384
	s_wait_loadcnt_dscnt 0x800
	v_mul_f64_e32 v[141:142], v[129:130], v[8:9]
	v_mul_f64_e32 v[8:9], v[131:132], v[8:9]
	v_add_f64_e32 v[135:136], v[135:136], v[145:146]
	v_add_f64_e32 v[133:134], v[133:134], v[143:144]
	v_fma_f64 v[143:144], v[4:5], v[115:116], v[137:138]
	v_fma_f64 v[115:116], v[2:3], v[115:116], -v[147:148]
	ds_load_b128 v[2:5], v1 offset:864
	ds_load_b128 v[137:140], v1 offset:880
	v_fma_f64 v[131:132], v[131:132], v[6:7], v[141:142]
	v_fma_f64 v[129:130], v[129:130], v[6:7], -v[8:9]
	scratch_load_b128 v[6:9], off, off offset:416
	v_add_f64_e32 v[127:128], v[135:136], v[127:128]
	v_add_f64_e32 v[121:122], v[133:134], v[121:122]
	scratch_load_b128 v[133:136], off, off offset:400
	s_wait_loadcnt_dscnt 0x901
	v_mul_f64_e32 v[145:146], v[2:3], v[12:13]
	v_mul_f64_e32 v[12:13], v[4:5], v[12:13]
	s_wait_loadcnt_dscnt 0x800
	v_mul_f64_e32 v[141:142], v[137:138], v[16:17]
	v_mul_f64_e32 v[16:17], v[139:140], v[16:17]
	v_add_f64_e32 v[115:116], v[127:128], v[115:116]
	v_add_f64_e32 v[121:122], v[121:122], v[143:144]
	v_fma_f64 v[143:144], v[4:5], v[10:11], v[145:146]
	v_fma_f64 v[145:146], v[2:3], v[10:11], -v[12:13]
	ds_load_b128 v[2:5], v1 offset:896
	scratch_load_b128 v[10:13], off, off offset:432
	v_fma_f64 v[139:140], v[139:140], v[14:15], v[141:142]
	v_fma_f64 v[137:138], v[137:138], v[14:15], -v[16:17]
	scratch_load_b128 v[14:17], off, off offset:448
	v_add_f64_e32 v[115:116], v[115:116], v[129:130]
	v_add_f64_e32 v[121:122], v[121:122], v[131:132]
	ds_load_b128 v[127:130], v1 offset:912
	s_wait_loadcnt_dscnt 0x901
	v_mul_f64_e32 v[131:132], v[2:3], v[20:21]
	v_mul_f64_e32 v[20:21], v[4:5], v[20:21]
	s_wait_loadcnt_dscnt 0x800
	v_mul_f64_e32 v[141:142], v[127:128], v[24:25]
	v_mul_f64_e32 v[24:25], v[129:130], v[24:25]
	v_add_f64_e32 v[115:116], v[115:116], v[145:146]
	v_add_f64_e32 v[121:122], v[121:122], v[143:144]
	v_fma_f64 v[131:132], v[4:5], v[18:19], v[131:132]
	v_fma_f64 v[143:144], v[2:3], v[18:19], -v[20:21]
	ds_load_b128 v[2:5], v1 offset:928
	scratch_load_b128 v[18:21], off, off offset:464
	v_fma_f64 v[129:130], v[129:130], v[22:23], v[141:142]
	v_fma_f64 v[127:128], v[127:128], v[22:23], -v[24:25]
	scratch_load_b128 v[22:25], off, off offset:480
	v_add_f64_e32 v[115:116], v[115:116], v[137:138]
	v_add_f64_e32 v[121:122], v[121:122], v[139:140]
	ds_load_b128 v[137:140], v1 offset:944
	s_wait_loadcnt_dscnt 0x901
	v_mul_f64_e32 v[145:146], v[2:3], v[28:29]
	v_mul_f64_e32 v[28:29], v[4:5], v[28:29]
	v_add_f64_e32 v[115:116], v[115:116], v[143:144]
	v_add_f64_e32 v[121:122], v[121:122], v[131:132]
	s_wait_loadcnt_dscnt 0x800
	v_mul_f64_e32 v[131:132], v[137:138], v[32:33]
	v_mul_f64_e32 v[32:33], v[139:140], v[32:33]
	v_fma_f64 v[141:142], v[4:5], v[26:27], v[145:146]
	v_fma_f64 v[143:144], v[2:3], v[26:27], -v[28:29]
	ds_load_b128 v[2:5], v1 offset:960
	scratch_load_b128 v[26:29], off, off offset:496
	v_add_f64_e32 v[115:116], v[115:116], v[127:128]
	v_add_f64_e32 v[121:122], v[121:122], v[129:130]
	ds_load_b128 v[127:130], v1 offset:976
	s_wait_loadcnt_dscnt 0x801
	v_mul_f64_e32 v[145:146], v[2:3], v[36:37]
	v_mul_f64_e32 v[36:37], v[4:5], v[36:37]
	v_fma_f64 v[131:132], v[139:140], v[30:31], v[131:132]
	v_fma_f64 v[137:138], v[137:138], v[30:31], -v[32:33]
	scratch_load_b128 v[30:33], off, off offset:512
	s_wait_loadcnt_dscnt 0x800
	v_mul_f64_e32 v[139:140], v[127:128], v[119:120]
	v_add_f64_e32 v[115:116], v[115:116], v[143:144]
	v_add_f64_e32 v[121:122], v[121:122], v[141:142]
	v_mul_f64_e32 v[141:142], v[129:130], v[119:120]
	v_fma_f64 v[143:144], v[4:5], v[34:35], v[145:146]
	v_fma_f64 v[145:146], v[2:3], v[34:35], -v[36:37]
	ds_load_b128 v[2:5], v1 offset:992
	scratch_load_b128 v[34:37], off, off offset:528
	v_fma_f64 v[129:130], v[129:130], v[117:118], v[139:140]
	v_add_f64_e32 v[115:116], v[115:116], v[137:138]
	v_add_f64_e32 v[131:132], v[121:122], v[131:132]
	ds_load_b128 v[119:122], v1 offset:1008
	v_fma_f64 v[127:128], v[127:128], v[117:118], -v[141:142]
	s_wait_loadcnt_dscnt 0x701
	v_mul_f64_e32 v[137:138], v[2:3], v[135:136]
	v_mul_f64_e32 v[135:136], v[4:5], v[135:136]
	s_wait_dscnt 0x0
	v_mul_f64_e32 v[141:142], v[119:120], v[8:9]
	v_mul_f64_e32 v[8:9], v[121:122], v[8:9]
	v_add_f64_e32 v[139:140], v[115:116], v[145:146]
	v_add_f64_e32 v[131:132], v[131:132], v[143:144]
	scratch_load_b128 v[115:118], off, off offset:544
	v_fma_f64 v[137:138], v[4:5], v[133:134], v[137:138]
	v_fma_f64 v[135:136], v[2:3], v[133:134], -v[135:136]
	ds_load_b128 v[2:5], v1 offset:1024
	v_fma_f64 v[121:122], v[121:122], v[6:7], v[141:142]
	v_fma_f64 v[119:120], v[119:120], v[6:7], -v[8:9]
	scratch_load_b128 v[6:9], off, off offset:576
	v_add_f64_e32 v[139:140], v[139:140], v[127:128]
	v_add_f64_e32 v[143:144], v[131:132], v[129:130]
	scratch_load_b128 v[127:130], off, off offset:560
	ds_load_b128 v[131:134], v1 offset:1040
	s_wait_loadcnt_dscnt 0x901
	v_mul_f64_e32 v[145:146], v[2:3], v[12:13]
	v_mul_f64_e32 v[12:13], v[4:5], v[12:13]
	v_add_f64_e32 v[135:136], v[139:140], v[135:136]
	v_add_f64_e32 v[137:138], v[143:144], v[137:138]
	s_wait_loadcnt_dscnt 0x800
	v_mul_f64_e32 v[139:140], v[131:132], v[16:17]
	v_mul_f64_e32 v[16:17], v[133:134], v[16:17]
	v_fma_f64 v[141:142], v[4:5], v[10:11], v[145:146]
	v_fma_f64 v[143:144], v[2:3], v[10:11], -v[12:13]
	ds_load_b128 v[2:5], v1 offset:1056
	scratch_load_b128 v[10:13], off, off offset:592
	v_add_f64_e32 v[135:136], v[135:136], v[119:120]
	v_add_f64_e32 v[137:138], v[137:138], v[121:122]
	ds_load_b128 v[119:122], v1 offset:1072
	s_wait_loadcnt_dscnt 0x801
	v_mul_f64_e32 v[145:146], v[2:3], v[20:21]
	v_mul_f64_e32 v[20:21], v[4:5], v[20:21]
	v_fma_f64 v[133:134], v[133:134], v[14:15], v[139:140]
	v_fma_f64 v[131:132], v[131:132], v[14:15], -v[16:17]
	scratch_load_b128 v[14:17], off, off offset:608
	s_wait_loadcnt_dscnt 0x800
	v_mul_f64_e32 v[139:140], v[119:120], v[24:25]
	v_mul_f64_e32 v[24:25], v[121:122], v[24:25]
	v_add_f64_e32 v[135:136], v[135:136], v[143:144]
	v_add_f64_e32 v[137:138], v[137:138], v[141:142]
	v_fma_f64 v[141:142], v[4:5], v[18:19], v[145:146]
	v_fma_f64 v[143:144], v[2:3], v[18:19], -v[20:21]
	ds_load_b128 v[2:5], v1 offset:1088
	ds_load_b128 v[18:21], v1 offset:1104
	v_fma_f64 v[121:122], v[121:122], v[22:23], v[139:140]
	v_fma_f64 v[22:23], v[119:120], v[22:23], -v[24:25]
	v_add_f64_e32 v[131:132], v[135:136], v[131:132]
	v_add_f64_e32 v[133:134], v[137:138], v[133:134]
	s_wait_loadcnt_dscnt 0x701
	v_mul_f64_e32 v[135:136], v[2:3], v[28:29]
	v_mul_f64_e32 v[28:29], v[4:5], v[28:29]
	s_delay_alu instid0(VALU_DEP_4) | instskip(NEXT) | instid1(VALU_DEP_4)
	v_add_f64_e32 v[24:25], v[131:132], v[143:144]
	v_add_f64_e32 v[119:120], v[133:134], v[141:142]
	s_wait_loadcnt_dscnt 0x600
	v_mul_f64_e32 v[131:132], v[18:19], v[32:33]
	v_mul_f64_e32 v[32:33], v[20:21], v[32:33]
	v_fma_f64 v[133:134], v[4:5], v[26:27], v[135:136]
	v_fma_f64 v[26:27], v[2:3], v[26:27], -v[28:29]
	v_add_f64_e32 v[28:29], v[24:25], v[22:23]
	v_add_f64_e32 v[119:120], v[119:120], v[121:122]
	ds_load_b128 v[2:5], v1 offset:1120
	ds_load_b128 v[22:25], v1 offset:1136
	v_fma_f64 v[20:21], v[20:21], v[30:31], v[131:132]
	v_fma_f64 v[18:19], v[18:19], v[30:31], -v[32:33]
	s_wait_loadcnt_dscnt 0x501
	v_mul_f64_e32 v[121:122], v[2:3], v[36:37]
	v_mul_f64_e32 v[36:37], v[4:5], v[36:37]
	v_add_f64_e32 v[26:27], v[28:29], v[26:27]
	v_add_f64_e32 v[28:29], v[119:120], v[133:134]
	s_wait_loadcnt_dscnt 0x400
	v_mul_f64_e32 v[30:31], v[22:23], v[117:118]
	v_mul_f64_e32 v[32:33], v[24:25], v[117:118]
	v_fma_f64 v[117:118], v[4:5], v[34:35], v[121:122]
	v_fma_f64 v[34:35], v[2:3], v[34:35], -v[36:37]
	v_add_f64_e32 v[26:27], v[26:27], v[18:19]
	v_add_f64_e32 v[28:29], v[28:29], v[20:21]
	ds_load_b128 v[2:5], v1 offset:1152
	ds_load_b128 v[18:21], v1 offset:1168
	v_fma_f64 v[24:25], v[24:25], v[115:116], v[30:31]
	v_fma_f64 v[22:23], v[22:23], v[115:116], -v[32:33]
	s_wait_loadcnt_dscnt 0x201
	v_mul_f64_e32 v[36:37], v[2:3], v[129:130]
	v_mul_f64_e32 v[119:120], v[4:5], v[129:130]
	s_wait_dscnt 0x0
	v_mul_f64_e32 v[30:31], v[18:19], v[8:9]
	v_mul_f64_e32 v[8:9], v[20:21], v[8:9]
	v_add_f64_e32 v[26:27], v[26:27], v[34:35]
	v_add_f64_e32 v[28:29], v[28:29], v[117:118]
	v_fma_f64 v[32:33], v[4:5], v[127:128], v[36:37]
	v_fma_f64 v[34:35], v[2:3], v[127:128], -v[119:120]
	v_fma_f64 v[20:21], v[20:21], v[6:7], v[30:31]
	v_fma_f64 v[6:7], v[18:19], v[6:7], -v[8:9]
	v_add_f64_e32 v[26:27], v[26:27], v[22:23]
	v_add_f64_e32 v[28:29], v[28:29], v[24:25]
	ds_load_b128 v[2:5], v1 offset:1184
	ds_load_b128 v[22:25], v1 offset:1200
	s_wait_loadcnt_dscnt 0x101
	v_mul_f64_e32 v[36:37], v[2:3], v[12:13]
	v_mul_f64_e32 v[12:13], v[4:5], v[12:13]
	v_add_f64_e32 v[8:9], v[26:27], v[34:35]
	v_add_f64_e32 v[18:19], v[28:29], v[32:33]
	s_wait_loadcnt_dscnt 0x0
	v_mul_f64_e32 v[26:27], v[22:23], v[16:17]
	v_mul_f64_e32 v[16:17], v[24:25], v[16:17]
	v_fma_f64 v[4:5], v[4:5], v[10:11], v[36:37]
	v_fma_f64 v[1:2], v[2:3], v[10:11], -v[12:13]
	v_add_f64_e32 v[6:7], v[8:9], v[6:7]
	v_add_f64_e32 v[8:9], v[18:19], v[20:21]
	v_fma_f64 v[10:11], v[24:25], v[14:15], v[26:27]
	v_fma_f64 v[12:13], v[22:23], v[14:15], -v[16:17]
	s_delay_alu instid0(VALU_DEP_4) | instskip(NEXT) | instid1(VALU_DEP_4)
	v_add_f64_e32 v[1:2], v[6:7], v[1:2]
	v_add_f64_e32 v[3:4], v[8:9], v[4:5]
	s_delay_alu instid0(VALU_DEP_2) | instskip(NEXT) | instid1(VALU_DEP_2)
	v_add_f64_e32 v[1:2], v[1:2], v[12:13]
	v_add_f64_e32 v[3:4], v[3:4], v[10:11]
	s_delay_alu instid0(VALU_DEP_2) | instskip(NEXT) | instid1(VALU_DEP_2)
	v_add_f64_e64 v[1:2], v[123:124], -v[1:2]
	v_add_f64_e64 v[3:4], v[125:126], -v[3:4]
	scratch_store_b128 off, v[1:4], off offset:64
	v_cmpx_lt_u32_e32 2, v0
	s_cbranch_execz .LBB101_237
; %bb.236:
	scratch_load_b128 v[1:4], off, s45
	v_mov_b32_e32 v5, 0
	s_delay_alu instid0(VALU_DEP_1)
	v_dual_mov_b32 v6, v5 :: v_dual_mov_b32 v7, v5
	v_mov_b32_e32 v8, v5
	scratch_store_b128 off, v[5:8], off offset:48
	s_wait_loadcnt 0x0
	ds_store_b128 v114, v[1:4]
.LBB101_237:
	s_wait_alu 0xfffe
	s_or_b32 exec_lo, exec_lo, s0
	s_wait_storecnt_dscnt 0x0
	s_barrier_signal -1
	s_barrier_wait -1
	global_inv scope:SCOPE_SE
	s_clause 0x7
	scratch_load_b128 v[2:5], off, off offset:64
	scratch_load_b128 v[6:9], off, off offset:80
	;; [unrolled: 1-line block ×8, first 2 shown]
	v_mov_b32_e32 v1, 0
	s_mov_b32 s0, exec_lo
	ds_load_b128 v[115:118], v1 offset:656
	s_clause 0x1
	scratch_load_b128 v[34:37], off, off offset:192
	scratch_load_b128 v[119:122], off, off offset:48
	ds_load_b128 v[123:126], v1 offset:672
	scratch_load_b128 v[127:130], off, off offset:208
	s_wait_loadcnt_dscnt 0xa01
	v_mul_f64_e32 v[131:132], v[117:118], v[4:5]
	v_mul_f64_e32 v[4:5], v[115:116], v[4:5]
	s_delay_alu instid0(VALU_DEP_2) | instskip(NEXT) | instid1(VALU_DEP_2)
	v_fma_f64 v[137:138], v[115:116], v[2:3], -v[131:132]
	v_fma_f64 v[139:140], v[117:118], v[2:3], v[4:5]
	ds_load_b128 v[2:5], v1 offset:688
	s_wait_loadcnt_dscnt 0x901
	v_mul_f64_e32 v[135:136], v[123:124], v[8:9]
	v_mul_f64_e32 v[8:9], v[125:126], v[8:9]
	scratch_load_b128 v[115:118], off, off offset:224
	ds_load_b128 v[131:134], v1 offset:704
	s_wait_loadcnt_dscnt 0x901
	v_mul_f64_e32 v[141:142], v[2:3], v[12:13]
	v_mul_f64_e32 v[12:13], v[4:5], v[12:13]
	v_fma_f64 v[125:126], v[125:126], v[6:7], v[135:136]
	v_fma_f64 v[123:124], v[123:124], v[6:7], -v[8:9]
	v_add_f64_e32 v[135:136], 0, v[137:138]
	v_add_f64_e32 v[137:138], 0, v[139:140]
	scratch_load_b128 v[6:9], off, off offset:240
	v_fma_f64 v[141:142], v[4:5], v[10:11], v[141:142]
	v_fma_f64 v[143:144], v[2:3], v[10:11], -v[12:13]
	ds_load_b128 v[2:5], v1 offset:720
	s_wait_loadcnt_dscnt 0x901
	v_mul_f64_e32 v[139:140], v[131:132], v[16:17]
	v_mul_f64_e32 v[16:17], v[133:134], v[16:17]
	scratch_load_b128 v[10:13], off, off offset:256
	v_add_f64_e32 v[135:136], v[135:136], v[123:124]
	v_add_f64_e32 v[137:138], v[137:138], v[125:126]
	s_wait_loadcnt_dscnt 0x900
	v_mul_f64_e32 v[145:146], v[2:3], v[20:21]
	v_mul_f64_e32 v[20:21], v[4:5], v[20:21]
	ds_load_b128 v[123:126], v1 offset:736
	v_fma_f64 v[133:134], v[133:134], v[14:15], v[139:140]
	v_fma_f64 v[131:132], v[131:132], v[14:15], -v[16:17]
	scratch_load_b128 v[14:17], off, off offset:272
	v_add_f64_e32 v[135:136], v[135:136], v[143:144]
	v_add_f64_e32 v[137:138], v[137:138], v[141:142]
	v_fma_f64 v[141:142], v[4:5], v[18:19], v[145:146]
	v_fma_f64 v[143:144], v[2:3], v[18:19], -v[20:21]
	ds_load_b128 v[2:5], v1 offset:752
	s_wait_loadcnt_dscnt 0x901
	v_mul_f64_e32 v[139:140], v[123:124], v[24:25]
	v_mul_f64_e32 v[24:25], v[125:126], v[24:25]
	scratch_load_b128 v[18:21], off, off offset:288
	s_wait_loadcnt_dscnt 0x900
	v_mul_f64_e32 v[145:146], v[2:3], v[28:29]
	v_mul_f64_e32 v[28:29], v[4:5], v[28:29]
	v_add_f64_e32 v[135:136], v[135:136], v[131:132]
	v_add_f64_e32 v[137:138], v[137:138], v[133:134]
	ds_load_b128 v[131:134], v1 offset:768
	v_fma_f64 v[125:126], v[125:126], v[22:23], v[139:140]
	v_fma_f64 v[123:124], v[123:124], v[22:23], -v[24:25]
	scratch_load_b128 v[22:25], off, off offset:304
	v_add_f64_e32 v[135:136], v[135:136], v[143:144]
	v_add_f64_e32 v[137:138], v[137:138], v[141:142]
	v_fma_f64 v[141:142], v[4:5], v[26:27], v[145:146]
	v_fma_f64 v[143:144], v[2:3], v[26:27], -v[28:29]
	ds_load_b128 v[2:5], v1 offset:784
	s_wait_loadcnt_dscnt 0x901
	v_mul_f64_e32 v[139:140], v[131:132], v[32:33]
	v_mul_f64_e32 v[32:33], v[133:134], v[32:33]
	scratch_load_b128 v[26:29], off, off offset:320
	s_wait_loadcnt_dscnt 0x900
	v_mul_f64_e32 v[145:146], v[2:3], v[36:37]
	v_mul_f64_e32 v[36:37], v[4:5], v[36:37]
	v_add_f64_e32 v[135:136], v[135:136], v[123:124]
	v_add_f64_e32 v[137:138], v[137:138], v[125:126]
	ds_load_b128 v[123:126], v1 offset:800
	v_fma_f64 v[133:134], v[133:134], v[30:31], v[139:140]
	v_fma_f64 v[131:132], v[131:132], v[30:31], -v[32:33]
	scratch_load_b128 v[30:33], off, off offset:336
	v_add_f64_e32 v[135:136], v[135:136], v[143:144]
	v_add_f64_e32 v[137:138], v[137:138], v[141:142]
	v_fma_f64 v[143:144], v[4:5], v[34:35], v[145:146]
	v_fma_f64 v[145:146], v[2:3], v[34:35], -v[36:37]
	ds_load_b128 v[2:5], v1 offset:816
	s_wait_loadcnt_dscnt 0x801
	v_mul_f64_e32 v[139:140], v[123:124], v[129:130]
	v_mul_f64_e32 v[141:142], v[125:126], v[129:130]
	scratch_load_b128 v[34:37], off, off offset:352
	v_add_f64_e32 v[135:136], v[135:136], v[131:132]
	v_add_f64_e32 v[133:134], v[137:138], v[133:134]
	ds_load_b128 v[129:132], v1 offset:832
	v_fma_f64 v[139:140], v[125:126], v[127:128], v[139:140]
	v_fma_f64 v[127:128], v[123:124], v[127:128], -v[141:142]
	scratch_load_b128 v[123:126], off, off offset:368
	s_wait_loadcnt_dscnt 0x901
	v_mul_f64_e32 v[137:138], v[2:3], v[117:118]
	v_mul_f64_e32 v[117:118], v[4:5], v[117:118]
	v_add_f64_e32 v[135:136], v[135:136], v[145:146]
	v_add_f64_e32 v[133:134], v[133:134], v[143:144]
	s_delay_alu instid0(VALU_DEP_4) | instskip(NEXT) | instid1(VALU_DEP_4)
	v_fma_f64 v[137:138], v[4:5], v[115:116], v[137:138]
	v_fma_f64 v[143:144], v[2:3], v[115:116], -v[117:118]
	ds_load_b128 v[2:5], v1 offset:848
	s_wait_loadcnt_dscnt 0x801
	v_mul_f64_e32 v[141:142], v[129:130], v[8:9]
	v_mul_f64_e32 v[8:9], v[131:132], v[8:9]
	scratch_load_b128 v[115:118], off, off offset:384
	s_wait_loadcnt_dscnt 0x800
	v_mul_f64_e32 v[145:146], v[2:3], v[12:13]
	v_add_f64_e32 v[127:128], v[135:136], v[127:128]
	v_add_f64_e32 v[139:140], v[133:134], v[139:140]
	v_mul_f64_e32 v[12:13], v[4:5], v[12:13]
	ds_load_b128 v[133:136], v1 offset:864
	v_fma_f64 v[131:132], v[131:132], v[6:7], v[141:142]
	v_fma_f64 v[129:130], v[129:130], v[6:7], -v[8:9]
	scratch_load_b128 v[6:9], off, off offset:400
	v_fma_f64 v[141:142], v[4:5], v[10:11], v[145:146]
	v_add_f64_e32 v[127:128], v[127:128], v[143:144]
	v_add_f64_e32 v[137:138], v[139:140], v[137:138]
	v_fma_f64 v[143:144], v[2:3], v[10:11], -v[12:13]
	ds_load_b128 v[2:5], v1 offset:880
	s_wait_loadcnt_dscnt 0x801
	v_mul_f64_e32 v[139:140], v[133:134], v[16:17]
	v_mul_f64_e32 v[16:17], v[135:136], v[16:17]
	scratch_load_b128 v[10:13], off, off offset:416
	v_add_f64_e32 v[145:146], v[127:128], v[129:130]
	v_add_f64_e32 v[131:132], v[137:138], v[131:132]
	s_wait_loadcnt_dscnt 0x800
	v_mul_f64_e32 v[137:138], v[2:3], v[20:21]
	v_mul_f64_e32 v[20:21], v[4:5], v[20:21]
	v_fma_f64 v[135:136], v[135:136], v[14:15], v[139:140]
	v_fma_f64 v[133:134], v[133:134], v[14:15], -v[16:17]
	ds_load_b128 v[127:130], v1 offset:896
	scratch_load_b128 v[14:17], off, off offset:432
	v_add_f64_e32 v[139:140], v[145:146], v[143:144]
	v_add_f64_e32 v[131:132], v[131:132], v[141:142]
	v_fma_f64 v[137:138], v[4:5], v[18:19], v[137:138]
	v_fma_f64 v[143:144], v[2:3], v[18:19], -v[20:21]
	ds_load_b128 v[2:5], v1 offset:912
	s_wait_loadcnt_dscnt 0x801
	v_mul_f64_e32 v[141:142], v[127:128], v[24:25]
	v_mul_f64_e32 v[24:25], v[129:130], v[24:25]
	scratch_load_b128 v[18:21], off, off offset:448
	s_wait_loadcnt_dscnt 0x800
	v_mul_f64_e32 v[145:146], v[2:3], v[28:29]
	v_mul_f64_e32 v[28:29], v[4:5], v[28:29]
	v_add_f64_e32 v[139:140], v[139:140], v[133:134]
	v_add_f64_e32 v[135:136], v[131:132], v[135:136]
	ds_load_b128 v[131:134], v1 offset:928
	v_fma_f64 v[129:130], v[129:130], v[22:23], v[141:142]
	v_fma_f64 v[127:128], v[127:128], v[22:23], -v[24:25]
	scratch_load_b128 v[22:25], off, off offset:464
	v_fma_f64 v[141:142], v[4:5], v[26:27], v[145:146]
	v_add_f64_e32 v[139:140], v[139:140], v[143:144]
	v_add_f64_e32 v[135:136], v[135:136], v[137:138]
	v_fma_f64 v[143:144], v[2:3], v[26:27], -v[28:29]
	ds_load_b128 v[2:5], v1 offset:944
	s_wait_loadcnt_dscnt 0x801
	v_mul_f64_e32 v[137:138], v[131:132], v[32:33]
	v_mul_f64_e32 v[32:33], v[133:134], v[32:33]
	scratch_load_b128 v[26:29], off, off offset:480
	s_wait_loadcnt_dscnt 0x800
	v_mul_f64_e32 v[145:146], v[2:3], v[36:37]
	v_mul_f64_e32 v[36:37], v[4:5], v[36:37]
	v_add_f64_e32 v[139:140], v[139:140], v[127:128]
	v_add_f64_e32 v[135:136], v[135:136], v[129:130]
	ds_load_b128 v[127:130], v1 offset:960
	v_fma_f64 v[133:134], v[133:134], v[30:31], v[137:138]
	v_fma_f64 v[131:132], v[131:132], v[30:31], -v[32:33]
	scratch_load_b128 v[30:33], off, off offset:496
	v_add_f64_e32 v[137:138], v[139:140], v[143:144]
	v_add_f64_e32 v[135:136], v[135:136], v[141:142]
	v_fma_f64 v[141:142], v[4:5], v[34:35], v[145:146]
	v_fma_f64 v[143:144], v[2:3], v[34:35], -v[36:37]
	ds_load_b128 v[2:5], v1 offset:976
	s_wait_loadcnt_dscnt 0x801
	v_mul_f64_e32 v[139:140], v[127:128], v[125:126]
	v_mul_f64_e32 v[125:126], v[129:130], v[125:126]
	scratch_load_b128 v[34:37], off, off offset:512
	s_wait_loadcnt_dscnt 0x800
	v_mul_f64_e32 v[145:146], v[2:3], v[117:118]
	v_mul_f64_e32 v[117:118], v[4:5], v[117:118]
	v_add_f64_e32 v[137:138], v[137:138], v[131:132]
	v_add_f64_e32 v[135:136], v[135:136], v[133:134]
	ds_load_b128 v[131:134], v1 offset:992
	v_fma_f64 v[129:130], v[129:130], v[123:124], v[139:140]
	v_fma_f64 v[127:128], v[127:128], v[123:124], -v[125:126]
	scratch_load_b128 v[123:126], off, off offset:528
	v_add_f64_e32 v[137:138], v[137:138], v[143:144]
	v_add_f64_e32 v[135:136], v[135:136], v[141:142]
	v_fma_f64 v[141:142], v[4:5], v[115:116], v[145:146]
	;; [unrolled: 18-line block ×4, first 2 shown]
	v_fma_f64 v[143:144], v[2:3], v[18:19], -v[20:21]
	ds_load_b128 v[2:5], v1 offset:1072
	s_wait_loadcnt_dscnt 0x801
	v_mul_f64_e32 v[139:140], v[131:132], v[24:25]
	v_mul_f64_e32 v[24:25], v[133:134], v[24:25]
	scratch_load_b128 v[18:21], off, off offset:608
	s_wait_loadcnt_dscnt 0x800
	v_mul_f64_e32 v[145:146], v[2:3], v[28:29]
	v_mul_f64_e32 v[28:29], v[4:5], v[28:29]
	v_add_f64_e32 v[137:138], v[137:138], v[127:128]
	v_add_f64_e32 v[135:136], v[135:136], v[129:130]
	ds_load_b128 v[127:130], v1 offset:1088
	v_fma_f64 v[133:134], v[133:134], v[22:23], v[139:140]
	v_fma_f64 v[22:23], v[131:132], v[22:23], -v[24:25]
	v_add_f64_e32 v[24:25], v[137:138], v[143:144]
	v_add_f64_e32 v[131:132], v[135:136], v[141:142]
	s_wait_loadcnt_dscnt 0x700
	v_mul_f64_e32 v[135:136], v[127:128], v[32:33]
	v_mul_f64_e32 v[32:33], v[129:130], v[32:33]
	v_fma_f64 v[137:138], v[4:5], v[26:27], v[145:146]
	v_fma_f64 v[26:27], v[2:3], v[26:27], -v[28:29]
	v_add_f64_e32 v[28:29], v[24:25], v[22:23]
	v_add_f64_e32 v[131:132], v[131:132], v[133:134]
	ds_load_b128 v[2:5], v1 offset:1104
	ds_load_b128 v[22:25], v1 offset:1120
	v_fma_f64 v[129:130], v[129:130], v[30:31], v[135:136]
	v_fma_f64 v[30:31], v[127:128], v[30:31], -v[32:33]
	s_wait_loadcnt_dscnt 0x601
	v_mul_f64_e32 v[133:134], v[2:3], v[36:37]
	v_mul_f64_e32 v[36:37], v[4:5], v[36:37]
	s_wait_loadcnt_dscnt 0x500
	v_mul_f64_e32 v[32:33], v[22:23], v[125:126]
	v_mul_f64_e32 v[125:126], v[24:25], v[125:126]
	v_add_f64_e32 v[26:27], v[28:29], v[26:27]
	v_add_f64_e32 v[28:29], v[131:132], v[137:138]
	v_fma_f64 v[127:128], v[4:5], v[34:35], v[133:134]
	v_fma_f64 v[34:35], v[2:3], v[34:35], -v[36:37]
	v_fma_f64 v[24:25], v[24:25], v[123:124], v[32:33]
	v_fma_f64 v[22:23], v[22:23], v[123:124], -v[125:126]
	v_add_f64_e32 v[30:31], v[26:27], v[30:31]
	v_add_f64_e32 v[36:37], v[28:29], v[129:130]
	ds_load_b128 v[2:5], v1 offset:1136
	ds_load_b128 v[26:29], v1 offset:1152
	s_wait_loadcnt_dscnt 0x401
	v_mul_f64_e32 v[129:130], v[2:3], v[117:118]
	v_mul_f64_e32 v[117:118], v[4:5], v[117:118]
	v_add_f64_e32 v[30:31], v[30:31], v[34:35]
	v_add_f64_e32 v[32:33], v[36:37], v[127:128]
	s_wait_loadcnt_dscnt 0x300
	v_mul_f64_e32 v[34:35], v[26:27], v[8:9]
	v_mul_f64_e32 v[8:9], v[28:29], v[8:9]
	v_fma_f64 v[36:37], v[4:5], v[115:116], v[129:130]
	v_fma_f64 v[115:116], v[2:3], v[115:116], -v[117:118]
	v_add_f64_e32 v[30:31], v[30:31], v[22:23]
	v_add_f64_e32 v[32:33], v[32:33], v[24:25]
	ds_load_b128 v[2:5], v1 offset:1168
	ds_load_b128 v[22:25], v1 offset:1184
	v_fma_f64 v[28:29], v[28:29], v[6:7], v[34:35]
	v_fma_f64 v[6:7], v[26:27], v[6:7], -v[8:9]
	s_wait_loadcnt_dscnt 0x201
	v_mul_f64_e32 v[117:118], v[2:3], v[12:13]
	v_mul_f64_e32 v[12:13], v[4:5], v[12:13]
	v_add_f64_e32 v[8:9], v[30:31], v[115:116]
	v_add_f64_e32 v[26:27], v[32:33], v[36:37]
	s_wait_loadcnt_dscnt 0x100
	v_mul_f64_e32 v[30:31], v[22:23], v[16:17]
	v_mul_f64_e32 v[16:17], v[24:25], v[16:17]
	v_fma_f64 v[32:33], v[4:5], v[10:11], v[117:118]
	v_fma_f64 v[10:11], v[2:3], v[10:11], -v[12:13]
	ds_load_b128 v[2:5], v1 offset:1200
	v_add_f64_e32 v[6:7], v[8:9], v[6:7]
	v_add_f64_e32 v[8:9], v[26:27], v[28:29]
	v_fma_f64 v[24:25], v[24:25], v[14:15], v[30:31]
	v_fma_f64 v[14:15], v[22:23], v[14:15], -v[16:17]
	s_wait_loadcnt_dscnt 0x0
	v_mul_f64_e32 v[12:13], v[2:3], v[20:21]
	v_mul_f64_e32 v[20:21], v[4:5], v[20:21]
	v_add_f64_e32 v[6:7], v[6:7], v[10:11]
	v_add_f64_e32 v[8:9], v[8:9], v[32:33]
	s_delay_alu instid0(VALU_DEP_4) | instskip(NEXT) | instid1(VALU_DEP_4)
	v_fma_f64 v[4:5], v[4:5], v[18:19], v[12:13]
	v_fma_f64 v[2:3], v[2:3], v[18:19], -v[20:21]
	s_delay_alu instid0(VALU_DEP_4) | instskip(NEXT) | instid1(VALU_DEP_4)
	v_add_f64_e32 v[6:7], v[6:7], v[14:15]
	v_add_f64_e32 v[8:9], v[8:9], v[24:25]
	s_delay_alu instid0(VALU_DEP_2) | instskip(NEXT) | instid1(VALU_DEP_2)
	v_add_f64_e32 v[2:3], v[6:7], v[2:3]
	v_add_f64_e32 v[4:5], v[8:9], v[4:5]
	s_delay_alu instid0(VALU_DEP_2) | instskip(NEXT) | instid1(VALU_DEP_2)
	v_add_f64_e64 v[2:3], v[119:120], -v[2:3]
	v_add_f64_e64 v[4:5], v[121:122], -v[4:5]
	scratch_store_b128 off, v[2:5], off offset:48
	v_cmpx_lt_u32_e32 1, v0
	s_cbranch_execz .LBB101_239
; %bb.238:
	scratch_load_b128 v[5:8], off, s46
	v_dual_mov_b32 v2, v1 :: v_dual_mov_b32 v3, v1
	v_mov_b32_e32 v4, v1
	scratch_store_b128 off, v[1:4], off offset:32
	s_wait_loadcnt 0x0
	ds_store_b128 v114, v[5:8]
.LBB101_239:
	s_wait_alu 0xfffe
	s_or_b32 exec_lo, exec_lo, s0
	s_wait_storecnt_dscnt 0x0
	s_barrier_signal -1
	s_barrier_wait -1
	global_inv scope:SCOPE_SE
	s_clause 0x8
	scratch_load_b128 v[2:5], off, off offset:48
	scratch_load_b128 v[6:9], off, off offset:64
	;; [unrolled: 1-line block ×9, first 2 shown]
	ds_load_b128 v[115:118], v1 offset:640
	ds_load_b128 v[119:122], v1 offset:656
	s_clause 0x1
	scratch_load_b128 v[123:126], off, off offset:32
	scratch_load_b128 v[127:130], off, off offset:192
	s_mov_b32 s0, exec_lo
	s_wait_loadcnt_dscnt 0xa01
	v_mul_f64_e32 v[131:132], v[117:118], v[4:5]
	v_mul_f64_e32 v[4:5], v[115:116], v[4:5]
	s_wait_loadcnt_dscnt 0x900
	v_mul_f64_e32 v[135:136], v[119:120], v[8:9]
	v_mul_f64_e32 v[8:9], v[121:122], v[8:9]
	s_delay_alu instid0(VALU_DEP_4) | instskip(NEXT) | instid1(VALU_DEP_4)
	v_fma_f64 v[137:138], v[115:116], v[2:3], -v[131:132]
	v_fma_f64 v[139:140], v[117:118], v[2:3], v[4:5]
	ds_load_b128 v[2:5], v1 offset:672
	ds_load_b128 v[131:134], v1 offset:688
	scratch_load_b128 v[115:118], off, off offset:208
	v_fma_f64 v[121:122], v[121:122], v[6:7], v[135:136]
	v_fma_f64 v[119:120], v[119:120], v[6:7], -v[8:9]
	scratch_load_b128 v[6:9], off, off offset:224
	s_wait_loadcnt_dscnt 0xa01
	v_mul_f64_e32 v[141:142], v[2:3], v[12:13]
	v_mul_f64_e32 v[12:13], v[4:5], v[12:13]
	v_add_f64_e32 v[135:136], 0, v[137:138]
	v_add_f64_e32 v[137:138], 0, v[139:140]
	s_wait_loadcnt_dscnt 0x900
	v_mul_f64_e32 v[139:140], v[131:132], v[16:17]
	v_mul_f64_e32 v[16:17], v[133:134], v[16:17]
	v_fma_f64 v[141:142], v[4:5], v[10:11], v[141:142]
	v_fma_f64 v[143:144], v[2:3], v[10:11], -v[12:13]
	ds_load_b128 v[2:5], v1 offset:704
	scratch_load_b128 v[10:13], off, off offset:240
	v_add_f64_e32 v[135:136], v[135:136], v[119:120]
	v_add_f64_e32 v[137:138], v[137:138], v[121:122]
	ds_load_b128 v[119:122], v1 offset:720
	v_fma_f64 v[133:134], v[133:134], v[14:15], v[139:140]
	v_fma_f64 v[131:132], v[131:132], v[14:15], -v[16:17]
	scratch_load_b128 v[14:17], off, off offset:256
	s_wait_loadcnt_dscnt 0xa01
	v_mul_f64_e32 v[145:146], v[2:3], v[20:21]
	v_mul_f64_e32 v[20:21], v[4:5], v[20:21]
	s_wait_loadcnt_dscnt 0x900
	v_mul_f64_e32 v[139:140], v[119:120], v[24:25]
	v_mul_f64_e32 v[24:25], v[121:122], v[24:25]
	v_add_f64_e32 v[135:136], v[135:136], v[143:144]
	v_add_f64_e32 v[137:138], v[137:138], v[141:142]
	v_fma_f64 v[141:142], v[4:5], v[18:19], v[145:146]
	v_fma_f64 v[143:144], v[2:3], v[18:19], -v[20:21]
	ds_load_b128 v[2:5], v1 offset:736
	scratch_load_b128 v[18:21], off, off offset:272
	v_fma_f64 v[121:122], v[121:122], v[22:23], v[139:140]
	v_fma_f64 v[119:120], v[119:120], v[22:23], -v[24:25]
	scratch_load_b128 v[22:25], off, off offset:288
	v_add_f64_e32 v[135:136], v[135:136], v[131:132]
	v_add_f64_e32 v[137:138], v[137:138], v[133:134]
	ds_load_b128 v[131:134], v1 offset:752
	s_wait_loadcnt_dscnt 0xa01
	v_mul_f64_e32 v[145:146], v[2:3], v[28:29]
	v_mul_f64_e32 v[28:29], v[4:5], v[28:29]
	s_wait_loadcnt_dscnt 0x900
	v_mul_f64_e32 v[139:140], v[131:132], v[32:33]
	v_mul_f64_e32 v[32:33], v[133:134], v[32:33]
	v_add_f64_e32 v[135:136], v[135:136], v[143:144]
	v_add_f64_e32 v[137:138], v[137:138], v[141:142]
	v_fma_f64 v[141:142], v[4:5], v[26:27], v[145:146]
	v_fma_f64 v[143:144], v[2:3], v[26:27], -v[28:29]
	ds_load_b128 v[2:5], v1 offset:768
	scratch_load_b128 v[26:29], off, off offset:304
	v_fma_f64 v[133:134], v[133:134], v[30:31], v[139:140]
	v_fma_f64 v[131:132], v[131:132], v[30:31], -v[32:33]
	scratch_load_b128 v[30:33], off, off offset:320
	v_add_f64_e32 v[135:136], v[135:136], v[119:120]
	v_add_f64_e32 v[137:138], v[137:138], v[121:122]
	ds_load_b128 v[119:122], v1 offset:784
	s_wait_loadcnt_dscnt 0xa01
	v_mul_f64_e32 v[145:146], v[2:3], v[36:37]
	v_mul_f64_e32 v[36:37], v[4:5], v[36:37]
	s_wait_loadcnt_dscnt 0x800
	v_mul_f64_e32 v[139:140], v[119:120], v[129:130]
	v_add_f64_e32 v[135:136], v[135:136], v[143:144]
	v_add_f64_e32 v[137:138], v[137:138], v[141:142]
	v_mul_f64_e32 v[141:142], v[121:122], v[129:130]
	v_fma_f64 v[143:144], v[4:5], v[34:35], v[145:146]
	v_fma_f64 v[145:146], v[2:3], v[34:35], -v[36:37]
	ds_load_b128 v[2:5], v1 offset:800
	scratch_load_b128 v[34:37], off, off offset:336
	v_fma_f64 v[121:122], v[121:122], v[127:128], v[139:140]
	v_add_f64_e32 v[135:136], v[135:136], v[131:132]
	v_add_f64_e32 v[133:134], v[137:138], v[133:134]
	ds_load_b128 v[129:132], v1 offset:816
	v_fma_f64 v[127:128], v[119:120], v[127:128], -v[141:142]
	s_wait_loadcnt_dscnt 0x801
	v_mul_f64_e32 v[137:138], v[2:3], v[117:118]
	v_mul_f64_e32 v[147:148], v[4:5], v[117:118]
	scratch_load_b128 v[117:120], off, off offset:352
	s_wait_loadcnt_dscnt 0x800
	v_mul_f64_e32 v[141:142], v[129:130], v[8:9]
	v_mul_f64_e32 v[8:9], v[131:132], v[8:9]
	v_add_f64_e32 v[135:136], v[135:136], v[145:146]
	v_add_f64_e32 v[133:134], v[133:134], v[143:144]
	v_fma_f64 v[143:144], v[4:5], v[115:116], v[137:138]
	v_fma_f64 v[115:116], v[2:3], v[115:116], -v[147:148]
	ds_load_b128 v[2:5], v1 offset:832
	ds_load_b128 v[137:140], v1 offset:848
	v_fma_f64 v[131:132], v[131:132], v[6:7], v[141:142]
	v_fma_f64 v[129:130], v[129:130], v[6:7], -v[8:9]
	scratch_load_b128 v[6:9], off, off offset:384
	v_add_f64_e32 v[127:128], v[135:136], v[127:128]
	v_add_f64_e32 v[121:122], v[133:134], v[121:122]
	scratch_load_b128 v[133:136], off, off offset:368
	s_wait_loadcnt_dscnt 0x901
	v_mul_f64_e32 v[145:146], v[2:3], v[12:13]
	v_mul_f64_e32 v[12:13], v[4:5], v[12:13]
	s_wait_loadcnt_dscnt 0x800
	v_mul_f64_e32 v[141:142], v[137:138], v[16:17]
	v_mul_f64_e32 v[16:17], v[139:140], v[16:17]
	v_add_f64_e32 v[115:116], v[127:128], v[115:116]
	v_add_f64_e32 v[121:122], v[121:122], v[143:144]
	v_fma_f64 v[143:144], v[4:5], v[10:11], v[145:146]
	v_fma_f64 v[145:146], v[2:3], v[10:11], -v[12:13]
	ds_load_b128 v[2:5], v1 offset:864
	scratch_load_b128 v[10:13], off, off offset:400
	v_fma_f64 v[139:140], v[139:140], v[14:15], v[141:142]
	v_fma_f64 v[137:138], v[137:138], v[14:15], -v[16:17]
	scratch_load_b128 v[14:17], off, off offset:416
	v_add_f64_e32 v[115:116], v[115:116], v[129:130]
	v_add_f64_e32 v[121:122], v[121:122], v[131:132]
	ds_load_b128 v[127:130], v1 offset:880
	s_wait_loadcnt_dscnt 0x901
	v_mul_f64_e32 v[131:132], v[2:3], v[20:21]
	v_mul_f64_e32 v[20:21], v[4:5], v[20:21]
	s_wait_loadcnt_dscnt 0x800
	v_mul_f64_e32 v[141:142], v[127:128], v[24:25]
	v_mul_f64_e32 v[24:25], v[129:130], v[24:25]
	v_add_f64_e32 v[115:116], v[115:116], v[145:146]
	v_add_f64_e32 v[121:122], v[121:122], v[143:144]
	v_fma_f64 v[131:132], v[4:5], v[18:19], v[131:132]
	v_fma_f64 v[143:144], v[2:3], v[18:19], -v[20:21]
	ds_load_b128 v[2:5], v1 offset:896
	scratch_load_b128 v[18:21], off, off offset:432
	v_fma_f64 v[129:130], v[129:130], v[22:23], v[141:142]
	v_fma_f64 v[127:128], v[127:128], v[22:23], -v[24:25]
	scratch_load_b128 v[22:25], off, off offset:448
	v_add_f64_e32 v[115:116], v[115:116], v[137:138]
	v_add_f64_e32 v[121:122], v[121:122], v[139:140]
	ds_load_b128 v[137:140], v1 offset:912
	s_wait_loadcnt_dscnt 0x901
	v_mul_f64_e32 v[145:146], v[2:3], v[28:29]
	v_mul_f64_e32 v[28:29], v[4:5], v[28:29]
	v_add_f64_e32 v[115:116], v[115:116], v[143:144]
	v_add_f64_e32 v[121:122], v[121:122], v[131:132]
	s_wait_loadcnt_dscnt 0x800
	v_mul_f64_e32 v[131:132], v[137:138], v[32:33]
	v_mul_f64_e32 v[32:33], v[139:140], v[32:33]
	v_fma_f64 v[141:142], v[4:5], v[26:27], v[145:146]
	v_fma_f64 v[143:144], v[2:3], v[26:27], -v[28:29]
	ds_load_b128 v[2:5], v1 offset:928
	scratch_load_b128 v[26:29], off, off offset:464
	v_add_f64_e32 v[115:116], v[115:116], v[127:128]
	v_add_f64_e32 v[121:122], v[121:122], v[129:130]
	ds_load_b128 v[127:130], v1 offset:944
	s_wait_loadcnt_dscnt 0x801
	v_mul_f64_e32 v[145:146], v[2:3], v[36:37]
	v_mul_f64_e32 v[36:37], v[4:5], v[36:37]
	v_fma_f64 v[131:132], v[139:140], v[30:31], v[131:132]
	v_fma_f64 v[137:138], v[137:138], v[30:31], -v[32:33]
	scratch_load_b128 v[30:33], off, off offset:480
	s_wait_loadcnt_dscnt 0x800
	v_mul_f64_e32 v[139:140], v[127:128], v[119:120]
	v_add_f64_e32 v[115:116], v[115:116], v[143:144]
	v_add_f64_e32 v[121:122], v[121:122], v[141:142]
	v_mul_f64_e32 v[141:142], v[129:130], v[119:120]
	v_fma_f64 v[143:144], v[4:5], v[34:35], v[145:146]
	v_fma_f64 v[145:146], v[2:3], v[34:35], -v[36:37]
	ds_load_b128 v[2:5], v1 offset:960
	scratch_load_b128 v[34:37], off, off offset:496
	v_fma_f64 v[129:130], v[129:130], v[117:118], v[139:140]
	v_add_f64_e32 v[115:116], v[115:116], v[137:138]
	v_add_f64_e32 v[131:132], v[121:122], v[131:132]
	ds_load_b128 v[119:122], v1 offset:976
	v_fma_f64 v[127:128], v[127:128], v[117:118], -v[141:142]
	s_wait_loadcnt_dscnt 0x701
	v_mul_f64_e32 v[137:138], v[2:3], v[135:136]
	v_mul_f64_e32 v[135:136], v[4:5], v[135:136]
	s_wait_dscnt 0x0
	v_mul_f64_e32 v[141:142], v[119:120], v[8:9]
	v_mul_f64_e32 v[8:9], v[121:122], v[8:9]
	v_add_f64_e32 v[139:140], v[115:116], v[145:146]
	v_add_f64_e32 v[131:132], v[131:132], v[143:144]
	scratch_load_b128 v[115:118], off, off offset:512
	v_fma_f64 v[137:138], v[4:5], v[133:134], v[137:138]
	v_fma_f64 v[135:136], v[2:3], v[133:134], -v[135:136]
	ds_load_b128 v[2:5], v1 offset:992
	v_fma_f64 v[121:122], v[121:122], v[6:7], v[141:142]
	v_fma_f64 v[119:120], v[119:120], v[6:7], -v[8:9]
	scratch_load_b128 v[6:9], off, off offset:544
	v_add_f64_e32 v[139:140], v[139:140], v[127:128]
	v_add_f64_e32 v[143:144], v[131:132], v[129:130]
	scratch_load_b128 v[127:130], off, off offset:528
	ds_load_b128 v[131:134], v1 offset:1008
	s_wait_loadcnt_dscnt 0x901
	v_mul_f64_e32 v[145:146], v[2:3], v[12:13]
	v_mul_f64_e32 v[12:13], v[4:5], v[12:13]
	v_add_f64_e32 v[135:136], v[139:140], v[135:136]
	v_add_f64_e32 v[137:138], v[143:144], v[137:138]
	s_wait_loadcnt_dscnt 0x800
	v_mul_f64_e32 v[139:140], v[131:132], v[16:17]
	v_mul_f64_e32 v[16:17], v[133:134], v[16:17]
	v_fma_f64 v[141:142], v[4:5], v[10:11], v[145:146]
	v_fma_f64 v[143:144], v[2:3], v[10:11], -v[12:13]
	ds_load_b128 v[2:5], v1 offset:1024
	scratch_load_b128 v[10:13], off, off offset:560
	v_add_f64_e32 v[135:136], v[135:136], v[119:120]
	v_add_f64_e32 v[137:138], v[137:138], v[121:122]
	ds_load_b128 v[119:122], v1 offset:1040
	s_wait_loadcnt_dscnt 0x801
	v_mul_f64_e32 v[145:146], v[2:3], v[20:21]
	v_mul_f64_e32 v[20:21], v[4:5], v[20:21]
	v_fma_f64 v[133:134], v[133:134], v[14:15], v[139:140]
	v_fma_f64 v[131:132], v[131:132], v[14:15], -v[16:17]
	scratch_load_b128 v[14:17], off, off offset:576
	s_wait_loadcnt_dscnt 0x800
	v_mul_f64_e32 v[139:140], v[119:120], v[24:25]
	v_mul_f64_e32 v[24:25], v[121:122], v[24:25]
	v_add_f64_e32 v[135:136], v[135:136], v[143:144]
	v_add_f64_e32 v[137:138], v[137:138], v[141:142]
	v_fma_f64 v[141:142], v[4:5], v[18:19], v[145:146]
	v_fma_f64 v[143:144], v[2:3], v[18:19], -v[20:21]
	ds_load_b128 v[2:5], v1 offset:1056
	scratch_load_b128 v[18:21], off, off offset:592
	v_fma_f64 v[121:122], v[121:122], v[22:23], v[139:140]
	v_fma_f64 v[119:120], v[119:120], v[22:23], -v[24:25]
	scratch_load_b128 v[22:25], off, off offset:608
	v_add_f64_e32 v[135:136], v[135:136], v[131:132]
	v_add_f64_e32 v[137:138], v[137:138], v[133:134]
	ds_load_b128 v[131:134], v1 offset:1072
	s_wait_loadcnt_dscnt 0x901
	v_mul_f64_e32 v[145:146], v[2:3], v[28:29]
	v_mul_f64_e32 v[28:29], v[4:5], v[28:29]
	s_wait_loadcnt_dscnt 0x800
	v_mul_f64_e32 v[139:140], v[131:132], v[32:33]
	v_mul_f64_e32 v[32:33], v[133:134], v[32:33]
	v_add_f64_e32 v[135:136], v[135:136], v[143:144]
	v_add_f64_e32 v[137:138], v[137:138], v[141:142]
	v_fma_f64 v[141:142], v[4:5], v[26:27], v[145:146]
	v_fma_f64 v[143:144], v[2:3], v[26:27], -v[28:29]
	ds_load_b128 v[2:5], v1 offset:1088
	ds_load_b128 v[26:29], v1 offset:1104
	v_fma_f64 v[133:134], v[133:134], v[30:31], v[139:140]
	v_fma_f64 v[30:31], v[131:132], v[30:31], -v[32:33]
	v_add_f64_e32 v[119:120], v[135:136], v[119:120]
	v_add_f64_e32 v[121:122], v[137:138], v[121:122]
	s_wait_loadcnt_dscnt 0x701
	v_mul_f64_e32 v[135:136], v[2:3], v[36:37]
	v_mul_f64_e32 v[36:37], v[4:5], v[36:37]
	s_delay_alu instid0(VALU_DEP_4) | instskip(NEXT) | instid1(VALU_DEP_4)
	v_add_f64_e32 v[32:33], v[119:120], v[143:144]
	v_add_f64_e32 v[119:120], v[121:122], v[141:142]
	s_delay_alu instid0(VALU_DEP_4) | instskip(NEXT) | instid1(VALU_DEP_4)
	v_fma_f64 v[131:132], v[4:5], v[34:35], v[135:136]
	v_fma_f64 v[34:35], v[2:3], v[34:35], -v[36:37]
	s_wait_loadcnt_dscnt 0x600
	v_mul_f64_e32 v[121:122], v[26:27], v[117:118]
	v_mul_f64_e32 v[117:118], v[28:29], v[117:118]
	v_add_f64_e32 v[36:37], v[32:33], v[30:31]
	v_add_f64_e32 v[119:120], v[119:120], v[133:134]
	ds_load_b128 v[2:5], v1 offset:1120
	ds_load_b128 v[30:33], v1 offset:1136
	v_fma_f64 v[28:29], v[28:29], v[115:116], v[121:122]
	v_fma_f64 v[26:27], v[26:27], v[115:116], -v[117:118]
	s_wait_loadcnt_dscnt 0x401
	v_mul_f64_e32 v[133:134], v[2:3], v[129:130]
	v_mul_f64_e32 v[129:130], v[4:5], v[129:130]
	s_wait_dscnt 0x0
	v_mul_f64_e32 v[115:116], v[30:31], v[8:9]
	v_mul_f64_e32 v[8:9], v[32:33], v[8:9]
	v_add_f64_e32 v[34:35], v[36:37], v[34:35]
	v_add_f64_e32 v[36:37], v[119:120], v[131:132]
	v_fma_f64 v[117:118], v[4:5], v[127:128], v[133:134]
	v_fma_f64 v[119:120], v[2:3], v[127:128], -v[129:130]
	v_fma_f64 v[32:33], v[32:33], v[6:7], v[115:116]
	v_fma_f64 v[6:7], v[30:31], v[6:7], -v[8:9]
	v_add_f64_e32 v[34:35], v[34:35], v[26:27]
	v_add_f64_e32 v[36:37], v[36:37], v[28:29]
	ds_load_b128 v[2:5], v1 offset:1152
	ds_load_b128 v[26:29], v1 offset:1168
	s_wait_loadcnt_dscnt 0x301
	v_mul_f64_e32 v[121:122], v[2:3], v[12:13]
	v_mul_f64_e32 v[12:13], v[4:5], v[12:13]
	v_add_f64_e32 v[8:9], v[34:35], v[119:120]
	v_add_f64_e32 v[30:31], v[36:37], v[117:118]
	s_wait_loadcnt_dscnt 0x200
	v_mul_f64_e32 v[34:35], v[26:27], v[16:17]
	v_mul_f64_e32 v[16:17], v[28:29], v[16:17]
	v_fma_f64 v[36:37], v[4:5], v[10:11], v[121:122]
	v_fma_f64 v[10:11], v[2:3], v[10:11], -v[12:13]
	v_add_f64_e32 v[12:13], v[8:9], v[6:7]
	v_add_f64_e32 v[30:31], v[30:31], v[32:33]
	ds_load_b128 v[2:5], v1 offset:1184
	ds_load_b128 v[6:9], v1 offset:1200
	v_fma_f64 v[28:29], v[28:29], v[14:15], v[34:35]
	v_fma_f64 v[14:15], v[26:27], v[14:15], -v[16:17]
	s_wait_loadcnt_dscnt 0x101
	v_mul_f64_e32 v[32:33], v[2:3], v[20:21]
	v_mul_f64_e32 v[20:21], v[4:5], v[20:21]
	s_wait_loadcnt_dscnt 0x0
	v_mul_f64_e32 v[16:17], v[6:7], v[24:25]
	v_mul_f64_e32 v[24:25], v[8:9], v[24:25]
	v_add_f64_e32 v[10:11], v[12:13], v[10:11]
	v_add_f64_e32 v[12:13], v[30:31], v[36:37]
	v_fma_f64 v[4:5], v[4:5], v[18:19], v[32:33]
	v_fma_f64 v[1:2], v[2:3], v[18:19], -v[20:21]
	v_fma_f64 v[8:9], v[8:9], v[22:23], v[16:17]
	v_fma_f64 v[6:7], v[6:7], v[22:23], -v[24:25]
	v_add_f64_e32 v[10:11], v[10:11], v[14:15]
	v_add_f64_e32 v[12:13], v[12:13], v[28:29]
	s_delay_alu instid0(VALU_DEP_2) | instskip(NEXT) | instid1(VALU_DEP_2)
	v_add_f64_e32 v[1:2], v[10:11], v[1:2]
	v_add_f64_e32 v[3:4], v[12:13], v[4:5]
	s_delay_alu instid0(VALU_DEP_2) | instskip(NEXT) | instid1(VALU_DEP_2)
	;; [unrolled: 3-line block ×3, first 2 shown]
	v_add_f64_e64 v[1:2], v[123:124], -v[1:2]
	v_add_f64_e64 v[3:4], v[125:126], -v[3:4]
	scratch_store_b128 off, v[1:4], off offset:32
	v_cmpx_ne_u32_e32 0, v0
	s_cbranch_execz .LBB101_241
; %bb.240:
	scratch_load_b128 v[0:3], off, off offset:16
	v_mov_b32_e32 v4, 0
	s_delay_alu instid0(VALU_DEP_1)
	v_dual_mov_b32 v5, v4 :: v_dual_mov_b32 v6, v4
	v_mov_b32_e32 v7, v4
	scratch_store_b128 off, v[4:7], off offset:16
	s_wait_loadcnt 0x0
	ds_store_b128 v114, v[0:3]
.LBB101_241:
	s_wait_alu 0xfffe
	s_or_b32 exec_lo, exec_lo, s0
	s_wait_storecnt_dscnt 0x0
	s_barrier_signal -1
	s_barrier_wait -1
	global_inv scope:SCOPE_SE
	s_clause 0x7
	scratch_load_b128 v[0:3], off, off offset:32
	scratch_load_b128 v[4:7], off, off offset:48
	;; [unrolled: 1-line block ×8, first 2 shown]
	v_mov_b32_e32 v36, 0
	s_and_b32 vcc_lo, exec_lo, s12
	ds_load_b128 v[114:117], v36 offset:624
	s_clause 0x1
	scratch_load_b128 v[32:35], off, off offset:160
	scratch_load_b128 v[118:121], off, off offset:16
	ds_load_b128 v[122:125], v36 offset:640
	scratch_load_b128 v[126:129], off, off offset:176
	s_wait_loadcnt_dscnt 0xa01
	v_mul_f64_e32 v[130:131], v[116:117], v[2:3]
	v_mul_f64_e32 v[2:3], v[114:115], v[2:3]
	s_delay_alu instid0(VALU_DEP_2) | instskip(NEXT) | instid1(VALU_DEP_2)
	v_fma_f64 v[136:137], v[114:115], v[0:1], -v[130:131]
	v_fma_f64 v[138:139], v[116:117], v[0:1], v[2:3]
	ds_load_b128 v[0:3], v36 offset:656
	s_wait_loadcnt_dscnt 0x901
	v_mul_f64_e32 v[134:135], v[122:123], v[6:7]
	v_mul_f64_e32 v[6:7], v[124:125], v[6:7]
	scratch_load_b128 v[114:117], off, off offset:192
	ds_load_b128 v[130:133], v36 offset:672
	s_wait_loadcnt_dscnt 0x901
	v_mul_f64_e32 v[140:141], v[0:1], v[10:11]
	v_mul_f64_e32 v[10:11], v[2:3], v[10:11]
	v_fma_f64 v[124:125], v[124:125], v[4:5], v[134:135]
	v_fma_f64 v[122:123], v[122:123], v[4:5], -v[6:7]
	v_add_f64_e32 v[134:135], 0, v[136:137]
	v_add_f64_e32 v[136:137], 0, v[138:139]
	scratch_load_b128 v[4:7], off, off offset:208
	v_fma_f64 v[140:141], v[2:3], v[8:9], v[140:141]
	v_fma_f64 v[142:143], v[0:1], v[8:9], -v[10:11]
	ds_load_b128 v[0:3], v36 offset:688
	s_wait_loadcnt_dscnt 0x901
	v_mul_f64_e32 v[138:139], v[130:131], v[14:15]
	v_mul_f64_e32 v[14:15], v[132:133], v[14:15]
	scratch_load_b128 v[8:11], off, off offset:224
	v_add_f64_e32 v[134:135], v[134:135], v[122:123]
	v_add_f64_e32 v[136:137], v[136:137], v[124:125]
	s_wait_loadcnt_dscnt 0x900
	v_mul_f64_e32 v[144:145], v[0:1], v[18:19]
	v_mul_f64_e32 v[18:19], v[2:3], v[18:19]
	ds_load_b128 v[122:125], v36 offset:704
	v_fma_f64 v[132:133], v[132:133], v[12:13], v[138:139]
	v_fma_f64 v[130:131], v[130:131], v[12:13], -v[14:15]
	scratch_load_b128 v[12:15], off, off offset:240
	v_add_f64_e32 v[134:135], v[134:135], v[142:143]
	v_add_f64_e32 v[136:137], v[136:137], v[140:141]
	v_fma_f64 v[140:141], v[2:3], v[16:17], v[144:145]
	v_fma_f64 v[142:143], v[0:1], v[16:17], -v[18:19]
	ds_load_b128 v[0:3], v36 offset:720
	s_wait_loadcnt_dscnt 0x901
	v_mul_f64_e32 v[138:139], v[122:123], v[22:23]
	v_mul_f64_e32 v[22:23], v[124:125], v[22:23]
	scratch_load_b128 v[16:19], off, off offset:256
	s_wait_loadcnt_dscnt 0x900
	v_mul_f64_e32 v[144:145], v[0:1], v[26:27]
	v_mul_f64_e32 v[26:27], v[2:3], v[26:27]
	v_add_f64_e32 v[134:135], v[134:135], v[130:131]
	v_add_f64_e32 v[136:137], v[136:137], v[132:133]
	ds_load_b128 v[130:133], v36 offset:736
	v_fma_f64 v[124:125], v[124:125], v[20:21], v[138:139]
	v_fma_f64 v[122:123], v[122:123], v[20:21], -v[22:23]
	scratch_load_b128 v[20:23], off, off offset:272
	v_add_f64_e32 v[134:135], v[134:135], v[142:143]
	v_add_f64_e32 v[136:137], v[136:137], v[140:141]
	v_fma_f64 v[140:141], v[2:3], v[24:25], v[144:145]
	v_fma_f64 v[142:143], v[0:1], v[24:25], -v[26:27]
	ds_load_b128 v[0:3], v36 offset:752
	s_wait_loadcnt_dscnt 0x901
	v_mul_f64_e32 v[138:139], v[130:131], v[30:31]
	v_mul_f64_e32 v[30:31], v[132:133], v[30:31]
	scratch_load_b128 v[24:27], off, off offset:288
	s_wait_loadcnt_dscnt 0x900
	v_mul_f64_e32 v[144:145], v[0:1], v[34:35]
	v_mul_f64_e32 v[34:35], v[2:3], v[34:35]
	v_add_f64_e32 v[134:135], v[134:135], v[122:123]
	v_add_f64_e32 v[136:137], v[136:137], v[124:125]
	ds_load_b128 v[122:125], v36 offset:768
	v_fma_f64 v[132:133], v[132:133], v[28:29], v[138:139]
	v_fma_f64 v[130:131], v[130:131], v[28:29], -v[30:31]
	scratch_load_b128 v[28:31], off, off offset:304
	v_add_f64_e32 v[134:135], v[134:135], v[142:143]
	v_add_f64_e32 v[136:137], v[136:137], v[140:141]
	v_fma_f64 v[142:143], v[2:3], v[32:33], v[144:145]
	v_fma_f64 v[144:145], v[0:1], v[32:33], -v[34:35]
	ds_load_b128 v[0:3], v36 offset:784
	s_wait_loadcnt_dscnt 0x801
	v_mul_f64_e32 v[138:139], v[122:123], v[128:129]
	v_mul_f64_e32 v[140:141], v[124:125], v[128:129]
	scratch_load_b128 v[32:35], off, off offset:320
	v_add_f64_e32 v[134:135], v[134:135], v[130:131]
	v_add_f64_e32 v[132:133], v[136:137], v[132:133]
	ds_load_b128 v[128:131], v36 offset:800
	v_fma_f64 v[138:139], v[124:125], v[126:127], v[138:139]
	v_fma_f64 v[126:127], v[122:123], v[126:127], -v[140:141]
	scratch_load_b128 v[122:125], off, off offset:336
	s_wait_loadcnt_dscnt 0x901
	v_mul_f64_e32 v[136:137], v[0:1], v[116:117]
	v_mul_f64_e32 v[116:117], v[2:3], v[116:117]
	v_add_f64_e32 v[134:135], v[134:135], v[144:145]
	v_add_f64_e32 v[132:133], v[132:133], v[142:143]
	s_delay_alu instid0(VALU_DEP_4) | instskip(NEXT) | instid1(VALU_DEP_4)
	v_fma_f64 v[136:137], v[2:3], v[114:115], v[136:137]
	v_fma_f64 v[142:143], v[0:1], v[114:115], -v[116:117]
	ds_load_b128 v[0:3], v36 offset:816
	s_wait_loadcnt_dscnt 0x801
	v_mul_f64_e32 v[140:141], v[128:129], v[6:7]
	v_mul_f64_e32 v[6:7], v[130:131], v[6:7]
	scratch_load_b128 v[114:117], off, off offset:352
	s_wait_loadcnt_dscnt 0x800
	v_mul_f64_e32 v[144:145], v[0:1], v[10:11]
	v_add_f64_e32 v[126:127], v[134:135], v[126:127]
	v_add_f64_e32 v[138:139], v[132:133], v[138:139]
	v_mul_f64_e32 v[10:11], v[2:3], v[10:11]
	ds_load_b128 v[132:135], v36 offset:832
	v_fma_f64 v[130:131], v[130:131], v[4:5], v[140:141]
	v_fma_f64 v[128:129], v[128:129], v[4:5], -v[6:7]
	scratch_load_b128 v[4:7], off, off offset:368
	v_fma_f64 v[140:141], v[2:3], v[8:9], v[144:145]
	v_add_f64_e32 v[126:127], v[126:127], v[142:143]
	v_add_f64_e32 v[136:137], v[138:139], v[136:137]
	v_fma_f64 v[142:143], v[0:1], v[8:9], -v[10:11]
	ds_load_b128 v[0:3], v36 offset:848
	s_wait_loadcnt_dscnt 0x801
	v_mul_f64_e32 v[138:139], v[132:133], v[14:15]
	v_mul_f64_e32 v[14:15], v[134:135], v[14:15]
	scratch_load_b128 v[8:11], off, off offset:384
	v_add_f64_e32 v[144:145], v[126:127], v[128:129]
	v_add_f64_e32 v[130:131], v[136:137], v[130:131]
	s_wait_loadcnt_dscnt 0x800
	v_mul_f64_e32 v[136:137], v[0:1], v[18:19]
	v_mul_f64_e32 v[18:19], v[2:3], v[18:19]
	v_fma_f64 v[134:135], v[134:135], v[12:13], v[138:139]
	v_fma_f64 v[132:133], v[132:133], v[12:13], -v[14:15]
	ds_load_b128 v[126:129], v36 offset:864
	scratch_load_b128 v[12:15], off, off offset:400
	v_add_f64_e32 v[138:139], v[144:145], v[142:143]
	v_add_f64_e32 v[130:131], v[130:131], v[140:141]
	v_fma_f64 v[136:137], v[2:3], v[16:17], v[136:137]
	v_fma_f64 v[142:143], v[0:1], v[16:17], -v[18:19]
	ds_load_b128 v[0:3], v36 offset:880
	s_wait_loadcnt_dscnt 0x801
	v_mul_f64_e32 v[140:141], v[126:127], v[22:23]
	v_mul_f64_e32 v[22:23], v[128:129], v[22:23]
	scratch_load_b128 v[16:19], off, off offset:416
	s_wait_loadcnt_dscnt 0x800
	v_mul_f64_e32 v[144:145], v[0:1], v[26:27]
	v_mul_f64_e32 v[26:27], v[2:3], v[26:27]
	v_add_f64_e32 v[138:139], v[138:139], v[132:133]
	v_add_f64_e32 v[134:135], v[130:131], v[134:135]
	ds_load_b128 v[130:133], v36 offset:896
	v_fma_f64 v[128:129], v[128:129], v[20:21], v[140:141]
	v_fma_f64 v[126:127], v[126:127], v[20:21], -v[22:23]
	scratch_load_b128 v[20:23], off, off offset:432
	v_fma_f64 v[140:141], v[2:3], v[24:25], v[144:145]
	v_add_f64_e32 v[138:139], v[138:139], v[142:143]
	v_add_f64_e32 v[134:135], v[134:135], v[136:137]
	v_fma_f64 v[142:143], v[0:1], v[24:25], -v[26:27]
	ds_load_b128 v[0:3], v36 offset:912
	s_wait_loadcnt_dscnt 0x801
	v_mul_f64_e32 v[136:137], v[130:131], v[30:31]
	v_mul_f64_e32 v[30:31], v[132:133], v[30:31]
	scratch_load_b128 v[24:27], off, off offset:448
	s_wait_loadcnt_dscnt 0x800
	v_mul_f64_e32 v[144:145], v[0:1], v[34:35]
	v_mul_f64_e32 v[34:35], v[2:3], v[34:35]
	v_add_f64_e32 v[138:139], v[138:139], v[126:127]
	v_add_f64_e32 v[134:135], v[134:135], v[128:129]
	ds_load_b128 v[126:129], v36 offset:928
	v_fma_f64 v[132:133], v[132:133], v[28:29], v[136:137]
	v_fma_f64 v[130:131], v[130:131], v[28:29], -v[30:31]
	scratch_load_b128 v[28:31], off, off offset:464
	v_add_f64_e32 v[136:137], v[138:139], v[142:143]
	v_add_f64_e32 v[134:135], v[134:135], v[140:141]
	v_fma_f64 v[140:141], v[2:3], v[32:33], v[144:145]
	v_fma_f64 v[142:143], v[0:1], v[32:33], -v[34:35]
	ds_load_b128 v[0:3], v36 offset:944
	s_wait_loadcnt_dscnt 0x801
	v_mul_f64_e32 v[138:139], v[126:127], v[124:125]
	v_mul_f64_e32 v[124:125], v[128:129], v[124:125]
	scratch_load_b128 v[32:35], off, off offset:480
	s_wait_loadcnt_dscnt 0x800
	v_mul_f64_e32 v[144:145], v[0:1], v[116:117]
	v_mul_f64_e32 v[116:117], v[2:3], v[116:117]
	v_add_f64_e32 v[136:137], v[136:137], v[130:131]
	v_add_f64_e32 v[134:135], v[134:135], v[132:133]
	ds_load_b128 v[130:133], v36 offset:960
	v_fma_f64 v[128:129], v[128:129], v[122:123], v[138:139]
	v_fma_f64 v[126:127], v[126:127], v[122:123], -v[124:125]
	scratch_load_b128 v[122:125], off, off offset:496
	v_add_f64_e32 v[136:137], v[136:137], v[142:143]
	v_add_f64_e32 v[134:135], v[134:135], v[140:141]
	v_fma_f64 v[140:141], v[2:3], v[114:115], v[144:145]
	;; [unrolled: 18-line block ×5, first 2 shown]
	v_fma_f64 v[142:143], v[0:1], v[24:25], -v[26:27]
	ds_load_b128 v[0:3], v36 offset:1072
	s_wait_loadcnt_dscnt 0x801
	v_mul_f64_e32 v[138:139], v[126:127], v[30:31]
	v_mul_f64_e32 v[30:31], v[128:129], v[30:31]
	scratch_load_b128 v[24:27], off, off offset:608
	s_wait_loadcnt_dscnt 0x800
	v_mul_f64_e32 v[144:145], v[0:1], v[34:35]
	v_mul_f64_e32 v[34:35], v[2:3], v[34:35]
	v_add_f64_e32 v[136:137], v[136:137], v[130:131]
	v_add_f64_e32 v[134:135], v[134:135], v[132:133]
	ds_load_b128 v[130:133], v36 offset:1088
	v_fma_f64 v[128:129], v[128:129], v[28:29], v[138:139]
	v_fma_f64 v[28:29], v[126:127], v[28:29], -v[30:31]
	v_add_f64_e32 v[30:31], v[136:137], v[142:143]
	v_add_f64_e32 v[126:127], v[134:135], v[140:141]
	s_wait_loadcnt_dscnt 0x700
	v_mul_f64_e32 v[134:135], v[130:131], v[124:125]
	v_mul_f64_e32 v[124:125], v[132:133], v[124:125]
	v_fma_f64 v[136:137], v[2:3], v[32:33], v[144:145]
	v_fma_f64 v[32:33], v[0:1], v[32:33], -v[34:35]
	v_add_f64_e32 v[34:35], v[30:31], v[28:29]
	v_add_f64_e32 v[126:127], v[126:127], v[128:129]
	ds_load_b128 v[0:3], v36 offset:1104
	ds_load_b128 v[28:31], v36 offset:1120
	v_fma_f64 v[132:133], v[132:133], v[122:123], v[134:135]
	v_fma_f64 v[122:123], v[130:131], v[122:123], -v[124:125]
	s_wait_loadcnt_dscnt 0x601
	v_mul_f64_e32 v[128:129], v[0:1], v[116:117]
	v_mul_f64_e32 v[116:117], v[2:3], v[116:117]
	s_wait_loadcnt_dscnt 0x500
	v_mul_f64_e32 v[124:125], v[28:29], v[6:7]
	v_mul_f64_e32 v[6:7], v[30:31], v[6:7]
	v_add_f64_e32 v[32:33], v[34:35], v[32:33]
	v_add_f64_e32 v[34:35], v[126:127], v[136:137]
	v_fma_f64 v[126:127], v[2:3], v[114:115], v[128:129]
	v_fma_f64 v[114:115], v[0:1], v[114:115], -v[116:117]
	v_fma_f64 v[30:31], v[30:31], v[4:5], v[124:125]
	v_fma_f64 v[4:5], v[28:29], v[4:5], -v[6:7]
	v_add_f64_e32 v[116:117], v[32:33], v[122:123]
	v_add_f64_e32 v[122:123], v[34:35], v[132:133]
	ds_load_b128 v[0:3], v36 offset:1136
	ds_load_b128 v[32:35], v36 offset:1152
	s_wait_loadcnt_dscnt 0x401
	v_mul_f64_e32 v[128:129], v[0:1], v[10:11]
	v_mul_f64_e32 v[10:11], v[2:3], v[10:11]
	v_add_f64_e32 v[6:7], v[116:117], v[114:115]
	v_add_f64_e32 v[28:29], v[122:123], v[126:127]
	s_wait_loadcnt_dscnt 0x300
	v_mul_f64_e32 v[114:115], v[32:33], v[14:15]
	v_mul_f64_e32 v[14:15], v[34:35], v[14:15]
	v_fma_f64 v[116:117], v[2:3], v[8:9], v[128:129]
	v_fma_f64 v[8:9], v[0:1], v[8:9], -v[10:11]
	v_add_f64_e32 v[10:11], v[6:7], v[4:5]
	v_add_f64_e32 v[28:29], v[28:29], v[30:31]
	ds_load_b128 v[0:3], v36 offset:1168
	ds_load_b128 v[4:7], v36 offset:1184
	v_fma_f64 v[34:35], v[34:35], v[12:13], v[114:115]
	v_fma_f64 v[12:13], v[32:33], v[12:13], -v[14:15]
	s_wait_loadcnt_dscnt 0x201
	v_mul_f64_e32 v[30:31], v[0:1], v[18:19]
	v_mul_f64_e32 v[18:19], v[2:3], v[18:19]
	s_wait_loadcnt_dscnt 0x100
	v_mul_f64_e32 v[14:15], v[4:5], v[22:23]
	v_mul_f64_e32 v[22:23], v[6:7], v[22:23]
	v_add_f64_e32 v[8:9], v[10:11], v[8:9]
	v_add_f64_e32 v[10:11], v[28:29], v[116:117]
	v_fma_f64 v[28:29], v[2:3], v[16:17], v[30:31]
	v_fma_f64 v[16:17], v[0:1], v[16:17], -v[18:19]
	ds_load_b128 v[0:3], v36 offset:1200
	v_fma_f64 v[6:7], v[6:7], v[20:21], v[14:15]
	v_fma_f64 v[4:5], v[4:5], v[20:21], -v[22:23]
	v_add_f64_e32 v[8:9], v[8:9], v[12:13]
	v_add_f64_e32 v[10:11], v[10:11], v[34:35]
	s_wait_loadcnt_dscnt 0x0
	v_mul_f64_e32 v[12:13], v[0:1], v[26:27]
	v_mul_f64_e32 v[18:19], v[2:3], v[26:27]
	s_delay_alu instid0(VALU_DEP_4) | instskip(NEXT) | instid1(VALU_DEP_4)
	v_add_f64_e32 v[8:9], v[8:9], v[16:17]
	v_add_f64_e32 v[10:11], v[10:11], v[28:29]
	s_delay_alu instid0(VALU_DEP_4) | instskip(NEXT) | instid1(VALU_DEP_4)
	v_fma_f64 v[2:3], v[2:3], v[24:25], v[12:13]
	v_fma_f64 v[0:1], v[0:1], v[24:25], -v[18:19]
	s_delay_alu instid0(VALU_DEP_4) | instskip(NEXT) | instid1(VALU_DEP_4)
	v_add_f64_e32 v[4:5], v[8:9], v[4:5]
	v_add_f64_e32 v[6:7], v[10:11], v[6:7]
	s_delay_alu instid0(VALU_DEP_2) | instskip(NEXT) | instid1(VALU_DEP_2)
	v_add_f64_e32 v[0:1], v[4:5], v[0:1]
	v_add_f64_e32 v[2:3], v[6:7], v[2:3]
	s_delay_alu instid0(VALU_DEP_2) | instskip(NEXT) | instid1(VALU_DEP_2)
	v_add_f64_e64 v[0:1], v[118:119], -v[0:1]
	v_add_f64_e64 v[2:3], v[120:121], -v[2:3]
	scratch_store_b128 off, v[0:3], off offset:16
	s_wait_alu 0xfffe
	s_cbranch_vccz .LBB101_316
; %bb.242:
	global_load_b32 v0, v36, s[2:3] offset:144
	s_wait_loadcnt 0x0
	v_cmp_ne_u32_e32 vcc_lo, 37, v0
	s_cbranch_vccz .LBB101_244
; %bb.243:
	v_lshlrev_b32_e32 v0, 4, v0
	s_delay_alu instid0(VALU_DEP_1)
	v_add_nc_u32_e32 v8, 16, v0
	s_clause 0x1
	scratch_load_b128 v[0:3], v8, off offset:-16
	scratch_load_b128 v[4:7], off, s44
	s_wait_loadcnt 0x1
	scratch_store_b128 off, v[0:3], s44
	s_wait_loadcnt 0x0
	scratch_store_b128 v8, v[4:7], off offset:-16
.LBB101_244:
	v_mov_b32_e32 v0, 0
	global_load_b32 v1, v0, s[2:3] offset:140
	s_wait_loadcnt 0x0
	v_cmp_eq_u32_e32 vcc_lo, 36, v1
	s_cbranch_vccnz .LBB101_246
; %bb.245:
	v_lshlrev_b32_e32 v1, 4, v1
	s_delay_alu instid0(VALU_DEP_1)
	v_add_nc_u32_e32 v9, 16, v1
	s_clause 0x1
	scratch_load_b128 v[1:4], v9, off offset:-16
	scratch_load_b128 v[5:8], off, s24
	s_wait_loadcnt 0x1
	scratch_store_b128 off, v[1:4], s24
	s_wait_loadcnt 0x0
	scratch_store_b128 v9, v[5:8], off offset:-16
.LBB101_246:
	global_load_b32 v0, v0, s[2:3] offset:136
	s_wait_loadcnt 0x0
	v_cmp_eq_u32_e32 vcc_lo, 35, v0
	s_cbranch_vccnz .LBB101_248
; %bb.247:
	v_lshlrev_b32_e32 v0, 4, v0
	s_delay_alu instid0(VALU_DEP_1)
	v_add_nc_u32_e32 v8, 16, v0
	s_clause 0x1
	scratch_load_b128 v[0:3], v8, off offset:-16
	scratch_load_b128 v[4:7], off, s43
	s_wait_loadcnt 0x1
	scratch_store_b128 off, v[0:3], s43
	s_wait_loadcnt 0x0
	scratch_store_b128 v8, v[4:7], off offset:-16
.LBB101_248:
	v_mov_b32_e32 v0, 0
	global_load_b32 v1, v0, s[2:3] offset:132
	s_wait_loadcnt 0x0
	v_cmp_eq_u32_e32 vcc_lo, 34, v1
	s_cbranch_vccnz .LBB101_250
; %bb.249:
	v_lshlrev_b32_e32 v1, 4, v1
	s_delay_alu instid0(VALU_DEP_1)
	v_add_nc_u32_e32 v9, 16, v1
	s_clause 0x1
	scratch_load_b128 v[1:4], v9, off offset:-16
	scratch_load_b128 v[5:8], off, s23
	s_wait_loadcnt 0x1
	scratch_store_b128 off, v[1:4], s23
	s_wait_loadcnt 0x0
	scratch_store_b128 v9, v[5:8], off offset:-16
.LBB101_250:
	global_load_b32 v0, v0, s[2:3] offset:128
	s_wait_loadcnt 0x0
	v_cmp_eq_u32_e32 vcc_lo, 33, v0
	s_cbranch_vccnz .LBB101_252
; %bb.251:
	v_lshlrev_b32_e32 v0, 4, v0
	s_delay_alu instid0(VALU_DEP_1)
	v_add_nc_u32_e32 v8, 16, v0
	s_clause 0x1
	scratch_load_b128 v[0:3], v8, off offset:-16
	scratch_load_b128 v[4:7], off, s42
	s_wait_loadcnt 0x1
	scratch_store_b128 off, v[0:3], s42
	s_wait_loadcnt 0x0
	scratch_store_b128 v8, v[4:7], off offset:-16
.LBB101_252:
	;; [unrolled: 33-line block ×17, first 2 shown]
	v_mov_b32_e32 v0, 0
	global_load_b32 v1, v0, s[2:3] offset:4
	s_wait_loadcnt 0x0
	v_cmp_eq_u32_e32 vcc_lo, 2, v1
	s_cbranch_vccnz .LBB101_314
; %bb.313:
	v_lshlrev_b32_e32 v1, 4, v1
	s_delay_alu instid0(VALU_DEP_1)
	v_add_nc_u32_e32 v9, 16, v1
	s_clause 0x1
	scratch_load_b128 v[1:4], v9, off offset:-16
	scratch_load_b128 v[5:8], off, s46
	s_wait_loadcnt 0x1
	scratch_store_b128 off, v[1:4], s46
	s_wait_loadcnt 0x0
	scratch_store_b128 v9, v[5:8], off offset:-16
.LBB101_314:
	global_load_b32 v0, v0, s[2:3]
	s_wait_loadcnt 0x0
	v_cmp_eq_u32_e32 vcc_lo, 1, v0
	s_cbranch_vccnz .LBB101_316
; %bb.315:
	v_lshlrev_b32_e32 v0, 4, v0
	s_delay_alu instid0(VALU_DEP_1)
	v_add_nc_u32_e32 v8, 16, v0
	scratch_load_b128 v[0:3], v8, off offset:-16
	scratch_load_b128 v[4:7], off, off offset:16
	s_wait_loadcnt 0x1
	scratch_store_b128 off, v[0:3], off offset:16
	s_wait_loadcnt 0x0
	scratch_store_b128 v8, v[4:7], off offset:-16
.LBB101_316:
	scratch_load_b128 v[0:3], off, off offset:16
	s_wait_loadcnt 0x0
	flat_store_b128 v[38:39], v[0:3]
	scratch_load_b128 v[0:3], off, s46
	s_wait_loadcnt 0x0
	flat_store_b128 v[40:41], v[0:3]
	scratch_load_b128 v[0:3], off, s45
	;; [unrolled: 3-line block ×37, first 2 shown]
	s_wait_loadcnt 0x0
	flat_store_b128 v[112:113], v[0:3]
	s_nop 0
	s_sendmsg sendmsg(MSG_DEALLOC_VGPRS)
	s_endpgm
	.section	.rodata,"a",@progbits
	.p2align	6, 0x0
	.amdhsa_kernel _ZN9rocsolver6v33100L18getri_kernel_smallILi38E19rocblas_complex_numIdEPKPS3_EEvT1_iilPiilS8_bb
		.amdhsa_group_segment_fixed_size 1224
		.amdhsa_private_segment_fixed_size 640
		.amdhsa_kernarg_size 60
		.amdhsa_user_sgpr_count 2
		.amdhsa_user_sgpr_dispatch_ptr 0
		.amdhsa_user_sgpr_queue_ptr 0
		.amdhsa_user_sgpr_kernarg_segment_ptr 1
		.amdhsa_user_sgpr_dispatch_id 0
		.amdhsa_user_sgpr_private_segment_size 0
		.amdhsa_wavefront_size32 1
		.amdhsa_uses_dynamic_stack 0
		.amdhsa_enable_private_segment 1
		.amdhsa_system_sgpr_workgroup_id_x 1
		.amdhsa_system_sgpr_workgroup_id_y 0
		.amdhsa_system_sgpr_workgroup_id_z 0
		.amdhsa_system_sgpr_workgroup_info 0
		.amdhsa_system_vgpr_workitem_id 0
		.amdhsa_next_free_vgpr 149
		.amdhsa_next_free_sgpr 50
		.amdhsa_reserve_vcc 1
		.amdhsa_float_round_mode_32 0
		.amdhsa_float_round_mode_16_64 0
		.amdhsa_float_denorm_mode_32 3
		.amdhsa_float_denorm_mode_16_64 3
		.amdhsa_fp16_overflow 0
		.amdhsa_workgroup_processor_mode 1
		.amdhsa_memory_ordered 1
		.amdhsa_forward_progress 1
		.amdhsa_inst_pref_size 255
		.amdhsa_round_robin_scheduling 0
		.amdhsa_exception_fp_ieee_invalid_op 0
		.amdhsa_exception_fp_denorm_src 0
		.amdhsa_exception_fp_ieee_div_zero 0
		.amdhsa_exception_fp_ieee_overflow 0
		.amdhsa_exception_fp_ieee_underflow 0
		.amdhsa_exception_fp_ieee_inexact 0
		.amdhsa_exception_int_div_zero 0
	.end_amdhsa_kernel
	.section	.text._ZN9rocsolver6v33100L18getri_kernel_smallILi38E19rocblas_complex_numIdEPKPS3_EEvT1_iilPiilS8_bb,"axG",@progbits,_ZN9rocsolver6v33100L18getri_kernel_smallILi38E19rocblas_complex_numIdEPKPS3_EEvT1_iilPiilS8_bb,comdat
.Lfunc_end101:
	.size	_ZN9rocsolver6v33100L18getri_kernel_smallILi38E19rocblas_complex_numIdEPKPS3_EEvT1_iilPiilS8_bb, .Lfunc_end101-_ZN9rocsolver6v33100L18getri_kernel_smallILi38E19rocblas_complex_numIdEPKPS3_EEvT1_iilPiilS8_bb
                                        ; -- End function
	.set _ZN9rocsolver6v33100L18getri_kernel_smallILi38E19rocblas_complex_numIdEPKPS3_EEvT1_iilPiilS8_bb.num_vgpr, 149
	.set _ZN9rocsolver6v33100L18getri_kernel_smallILi38E19rocblas_complex_numIdEPKPS3_EEvT1_iilPiilS8_bb.num_agpr, 0
	.set _ZN9rocsolver6v33100L18getri_kernel_smallILi38E19rocblas_complex_numIdEPKPS3_EEvT1_iilPiilS8_bb.numbered_sgpr, 50
	.set _ZN9rocsolver6v33100L18getri_kernel_smallILi38E19rocblas_complex_numIdEPKPS3_EEvT1_iilPiilS8_bb.num_named_barrier, 0
	.set _ZN9rocsolver6v33100L18getri_kernel_smallILi38E19rocblas_complex_numIdEPKPS3_EEvT1_iilPiilS8_bb.private_seg_size, 640
	.set _ZN9rocsolver6v33100L18getri_kernel_smallILi38E19rocblas_complex_numIdEPKPS3_EEvT1_iilPiilS8_bb.uses_vcc, 1
	.set _ZN9rocsolver6v33100L18getri_kernel_smallILi38E19rocblas_complex_numIdEPKPS3_EEvT1_iilPiilS8_bb.uses_flat_scratch, 1
	.set _ZN9rocsolver6v33100L18getri_kernel_smallILi38E19rocblas_complex_numIdEPKPS3_EEvT1_iilPiilS8_bb.has_dyn_sized_stack, 0
	.set _ZN9rocsolver6v33100L18getri_kernel_smallILi38E19rocblas_complex_numIdEPKPS3_EEvT1_iilPiilS8_bb.has_recursion, 0
	.set _ZN9rocsolver6v33100L18getri_kernel_smallILi38E19rocblas_complex_numIdEPKPS3_EEvT1_iilPiilS8_bb.has_indirect_call, 0
	.section	.AMDGPU.csdata,"",@progbits
; Kernel info:
; codeLenInByte = 65228
; TotalNumSgprs: 52
; NumVgprs: 149
; ScratchSize: 640
; MemoryBound: 0
; FloatMode: 240
; IeeeMode: 1
; LDSByteSize: 1224 bytes/workgroup (compile time only)
; SGPRBlocks: 0
; VGPRBlocks: 18
; NumSGPRsForWavesPerEU: 52
; NumVGPRsForWavesPerEU: 149
; Occupancy: 9
; WaveLimiterHint : 1
; COMPUTE_PGM_RSRC2:SCRATCH_EN: 1
; COMPUTE_PGM_RSRC2:USER_SGPR: 2
; COMPUTE_PGM_RSRC2:TRAP_HANDLER: 0
; COMPUTE_PGM_RSRC2:TGID_X_EN: 1
; COMPUTE_PGM_RSRC2:TGID_Y_EN: 0
; COMPUTE_PGM_RSRC2:TGID_Z_EN: 0
; COMPUTE_PGM_RSRC2:TIDIG_COMP_CNT: 0
	.section	.text._ZN9rocsolver6v33100L18getri_kernel_smallILi39E19rocblas_complex_numIdEPKPS3_EEvT1_iilPiilS8_bb,"axG",@progbits,_ZN9rocsolver6v33100L18getri_kernel_smallILi39E19rocblas_complex_numIdEPKPS3_EEvT1_iilPiilS8_bb,comdat
	.globl	_ZN9rocsolver6v33100L18getri_kernel_smallILi39E19rocblas_complex_numIdEPKPS3_EEvT1_iilPiilS8_bb ; -- Begin function _ZN9rocsolver6v33100L18getri_kernel_smallILi39E19rocblas_complex_numIdEPKPS3_EEvT1_iilPiilS8_bb
	.p2align	8
	.type	_ZN9rocsolver6v33100L18getri_kernel_smallILi39E19rocblas_complex_numIdEPKPS3_EEvT1_iilPiilS8_bb,@function
_ZN9rocsolver6v33100L18getri_kernel_smallILi39E19rocblas_complex_numIdEPKPS3_EEvT1_iilPiilS8_bb: ; @_ZN9rocsolver6v33100L18getri_kernel_smallILi39E19rocblas_complex_numIdEPKPS3_EEvT1_iilPiilS8_bb
; %bb.0:
	s_mov_b32 s2, exec_lo
	v_cmpx_gt_u32_e32 39, v0
	s_cbranch_execz .LBB102_170
; %bb.1:
	s_clause 0x1
	s_load_b32 s13, s[0:1], 0x38
	s_load_b64 s[2:3], s[0:1], 0x0
	s_mov_b32 s8, ttmp9
	s_load_b128 s[4:7], s[0:1], 0x28
	s_wait_kmcnt 0x0
	s_bitcmp1_b32 s13, 8
	s_cselect_b32 s12, -1, 0
	s_ashr_i32 s9, ttmp9, 31
	s_delay_alu instid0(SALU_CYCLE_1) | instskip(NEXT) | instid1(SALU_CYCLE_1)
	s_lshl_b64 s[10:11], s[8:9], 3
	s_add_nc_u64 s[2:3], s[2:3], s[10:11]
	s_load_b64 s[10:11], s[2:3], 0x0
	s_bfe_u32 s2, s13, 0x10008
	s_delay_alu instid0(SALU_CYCLE_1)
	s_cmp_eq_u32 s2, 0
                                        ; implicit-def: $sgpr2_sgpr3
	s_cbranch_scc1 .LBB102_3
; %bb.2:
	s_load_b96 s[16:18], s[0:1], 0x18
	s_mul_u64 s[2:3], s[4:5], s[8:9]
	s_delay_alu instid0(SALU_CYCLE_1)
	s_lshl_b64 s[2:3], s[2:3], 2
	s_wait_kmcnt 0x0
	s_ashr_i32 s5, s18, 31
	s_mov_b32 s4, s18
	s_add_nc_u64 s[2:3], s[16:17], s[2:3]
	s_lshl_b64 s[4:5], s[4:5], 2
	s_delay_alu instid0(SALU_CYCLE_1)
	s_add_nc_u64 s[2:3], s[2:3], s[4:5]
.LBB102_3:
	s_clause 0x1
	s_load_b64 s[4:5], s[0:1], 0x8
	s_load_b32 s48, s[0:1], 0x38
	v_lshlrev_b32_e32 v13, 4, v0
	s_mov_b32 s47, 32
	s_mov_b32 s46, 48
	;; [unrolled: 1-line block ×3, first 2 shown]
	s_wait_kmcnt 0x0
	s_ashr_i32 s1, s4, 31
	s_mov_b32 s0, s4
	v_add3_u32 v5, s5, s5, v0
	s_lshl_b64 s[0:1], s[0:1], 4
	s_delay_alu instid0(SALU_CYCLE_1)
	s_add_nc_u64 s[0:1], s[10:11], s[0:1]
	s_ashr_i32 s11, s5, 31
	v_add_co_u32 v46, s4, s0, v13
	s_wait_alu 0xf1ff
	v_add_co_ci_u32_e64 v47, null, s1, 0, s4
	s_mov_b32 s10, s5
	v_ashrrev_i32_e32 v6, 31, v5
	s_lshl_b64 s[10:11], s[10:11], 4
	flat_load_b128 v[1:4], v[46:47]
	v_add_co_u32 v48, vcc_lo, v46, s10
	s_delay_alu instid0(VALU_DEP_1) | instskip(SKIP_3) | instid1(VALU_DEP_2)
	v_add_co_ci_u32_e64 v49, null, s11, v47, vcc_lo
	v_lshlrev_b64_e32 v[6:7], 4, v[5:6]
	v_add_nc_u32_e32 v5, s5, v5
	s_movk_i32 s4, 0x50
	v_add_co_u32 v50, vcc_lo, s0, v6
	s_wait_alu 0xfffd
	s_delay_alu instid0(VALU_DEP_3) | instskip(SKIP_1) | instid1(VALU_DEP_1)
	v_add_co_ci_u32_e64 v51, null, s1, v7, vcc_lo
	v_ashrrev_i32_e32 v6, 31, v5
	v_lshlrev_b64_e32 v[6:7], 4, v[5:6]
	v_add_nc_u32_e32 v5, s5, v5
	s_delay_alu instid0(VALU_DEP_2) | instskip(SKIP_1) | instid1(VALU_DEP_3)
	v_add_co_u32 v52, vcc_lo, s0, v6
	s_wait_alu 0xfffd
	v_add_co_ci_u32_e64 v53, null, s1, v7, vcc_lo
	s_delay_alu instid0(VALU_DEP_3) | instskip(NEXT) | instid1(VALU_DEP_1)
	v_ashrrev_i32_e32 v6, 31, v5
	v_lshlrev_b64_e32 v[6:7], 4, v[5:6]
	v_add_nc_u32_e32 v5, s5, v5
	s_delay_alu instid0(VALU_DEP_2) | instskip(SKIP_1) | instid1(VALU_DEP_3)
	v_add_co_u32 v54, vcc_lo, s0, v6
	s_wait_alu 0xfffd
	v_add_co_ci_u32_e64 v55, null, s1, v7, vcc_lo
	s_delay_alu instid0(VALU_DEP_3) | instskip(NEXT) | instid1(VALU_DEP_1)
	;; [unrolled: 8-line block ×20, first 2 shown]
	v_ashrrev_i32_e32 v6, 31, v5
	v_lshlrev_b64_e32 v[6:7], 4, v[5:6]
	s_wait_loadcnt_dscnt 0x0
	scratch_store_b128 off, v[1:4], off offset:16
	flat_load_b128 v[1:4], v[48:49]
	v_add_nc_u32_e32 v5, s5, v5
	v_add_co_u32 v92, vcc_lo, s0, v6
	s_wait_alu 0xfffd
	v_add_co_ci_u32_e64 v93, null, s1, v7, vcc_lo
	s_delay_alu instid0(VALU_DEP_3) | instskip(NEXT) | instid1(VALU_DEP_1)
	v_ashrrev_i32_e32 v6, 31, v5
	v_lshlrev_b64_e32 v[6:7], 4, v[5:6]
	v_add_nc_u32_e32 v5, s5, v5
	s_delay_alu instid0(VALU_DEP_2) | instskip(SKIP_1) | instid1(VALU_DEP_3)
	v_add_co_u32 v94, vcc_lo, s0, v6
	s_wait_alu 0xfffd
	v_add_co_ci_u32_e64 v95, null, s1, v7, vcc_lo
	s_delay_alu instid0(VALU_DEP_3) | instskip(NEXT) | instid1(VALU_DEP_1)
	v_ashrrev_i32_e32 v6, 31, v5
	v_lshlrev_b64_e32 v[6:7], 4, v[5:6]
	v_add_nc_u32_e32 v5, s5, v5
	s_delay_alu instid0(VALU_DEP_2) | instskip(SKIP_1) | instid1(VALU_DEP_3)
	v_add_co_u32 v96, vcc_lo, s0, v6
	s_wait_alu 0xfffd
	v_add_co_ci_u32_e64 v97, null, s1, v7, vcc_lo
	s_delay_alu instid0(VALU_DEP_3) | instskip(NEXT) | instid1(VALU_DEP_1)
	v_ashrrev_i32_e32 v6, 31, v5
	v_lshlrev_b64_e32 v[6:7], 4, v[5:6]
	v_add_nc_u32_e32 v5, s5, v5
	s_delay_alu instid0(VALU_DEP_2) | instskip(SKIP_1) | instid1(VALU_DEP_3)
	v_add_co_u32 v98, vcc_lo, s0, v6
	s_wait_alu 0xfffd
	v_add_co_ci_u32_e64 v99, null, s1, v7, vcc_lo
	s_delay_alu instid0(VALU_DEP_3) | instskip(NEXT) | instid1(VALU_DEP_1)
	v_ashrrev_i32_e32 v6, 31, v5
	v_lshlrev_b64_e32 v[6:7], 4, v[5:6]
	v_add_nc_u32_e32 v5, s5, v5
	s_delay_alu instid0(VALU_DEP_2) | instskip(SKIP_1) | instid1(VALU_DEP_3)
	v_add_co_u32 v100, vcc_lo, s0, v6
	s_wait_alu 0xfffd
	v_add_co_ci_u32_e64 v101, null, s1, v7, vcc_lo
	s_delay_alu instid0(VALU_DEP_3) | instskip(NEXT) | instid1(VALU_DEP_1)
	v_ashrrev_i32_e32 v6, 31, v5
	v_lshlrev_b64_e32 v[6:7], 4, v[5:6]
	v_add_nc_u32_e32 v5, s5, v5
	s_delay_alu instid0(VALU_DEP_2) | instskip(SKIP_1) | instid1(VALU_DEP_3)
	v_add_co_u32 v102, vcc_lo, s0, v6
	s_wait_alu 0xfffd
	v_add_co_ci_u32_e64 v103, null, s1, v7, vcc_lo
	s_delay_alu instid0(VALU_DEP_3) | instskip(NEXT) | instid1(VALU_DEP_1)
	v_ashrrev_i32_e32 v6, 31, v5
	v_lshlrev_b64_e32 v[6:7], 4, v[5:6]
	v_add_nc_u32_e32 v5, s5, v5
	s_delay_alu instid0(VALU_DEP_2) | instskip(SKIP_1) | instid1(VALU_DEP_3)
	v_add_co_u32 v104, vcc_lo, s0, v6
	s_wait_alu 0xfffd
	v_add_co_ci_u32_e64 v105, null, s1, v7, vcc_lo
	s_delay_alu instid0(VALU_DEP_3) | instskip(NEXT) | instid1(VALU_DEP_1)
	v_ashrrev_i32_e32 v6, 31, v5
	v_lshlrev_b64_e32 v[6:7], 4, v[5:6]
	v_add_nc_u32_e32 v5, s5, v5
	s_delay_alu instid0(VALU_DEP_2) | instskip(SKIP_1) | instid1(VALU_DEP_3)
	v_add_co_u32 v106, vcc_lo, s0, v6
	s_wait_alu 0xfffd
	v_add_co_ci_u32_e64 v107, null, s1, v7, vcc_lo
	s_delay_alu instid0(VALU_DEP_3) | instskip(NEXT) | instid1(VALU_DEP_1)
	v_ashrrev_i32_e32 v6, 31, v5
	v_lshlrev_b64_e32 v[6:7], 4, v[5:6]
	v_add_nc_u32_e32 v5, s5, v5
	s_delay_alu instid0(VALU_DEP_2) | instskip(SKIP_1) | instid1(VALU_DEP_3)
	v_add_co_u32 v108, vcc_lo, s0, v6
	s_wait_alu 0xfffd
	v_add_co_ci_u32_e64 v109, null, s1, v7, vcc_lo
	s_delay_alu instid0(VALU_DEP_3) | instskip(NEXT) | instid1(VALU_DEP_1)
	v_ashrrev_i32_e32 v6, 31, v5
	v_lshlrev_b64_e32 v[6:7], 4, v[5:6]
	v_add_nc_u32_e32 v5, s5, v5
	s_delay_alu instid0(VALU_DEP_2) | instskip(SKIP_1) | instid1(VALU_DEP_3)
	v_add_co_u32 v110, vcc_lo, s0, v6
	s_wait_alu 0xfffd
	v_add_co_ci_u32_e64 v111, null, s1, v7, vcc_lo
	s_delay_alu instid0(VALU_DEP_3) | instskip(NEXT) | instid1(VALU_DEP_1)
	v_ashrrev_i32_e32 v6, 31, v5
	v_lshlrev_b64_e32 v[6:7], 4, v[5:6]
	v_add_nc_u32_e32 v5, s5, v5
	s_delay_alu instid0(VALU_DEP_2) | instskip(SKIP_1) | instid1(VALU_DEP_3)
	v_add_co_u32 v112, vcc_lo, s0, v6
	s_wait_alu 0xfffd
	v_add_co_ci_u32_e64 v113, null, s1, v7, vcc_lo
	s_delay_alu instid0(VALU_DEP_3) | instskip(NEXT) | instid1(VALU_DEP_1)
	v_ashrrev_i32_e32 v6, 31, v5
	v_lshlrev_b64_e32 v[6:7], 4, v[5:6]
	v_add_nc_u32_e32 v5, s5, v5
	s_delay_alu instid0(VALU_DEP_2) | instskip(SKIP_1) | instid1(VALU_DEP_3)
	v_add_co_u32 v114, vcc_lo, s0, v6
	s_wait_alu 0xfffd
	v_add_co_ci_u32_e64 v115, null, s1, v7, vcc_lo
	s_delay_alu instid0(VALU_DEP_3) | instskip(NEXT) | instid1(VALU_DEP_1)
	v_ashrrev_i32_e32 v6, 31, v5
	v_lshlrev_b64_e32 v[6:7], 4, v[5:6]
	v_add_nc_u32_e32 v5, s5, v5
	s_delay_alu instid0(VALU_DEP_2) | instskip(SKIP_1) | instid1(VALU_DEP_3)
	v_add_co_u32 v116, vcc_lo, s0, v6
	s_wait_alu 0xfffd
	v_add_co_ci_u32_e64 v117, null, s1, v7, vcc_lo
	s_delay_alu instid0(VALU_DEP_3) | instskip(NEXT) | instid1(VALU_DEP_1)
	v_ashrrev_i32_e32 v6, 31, v5
	v_lshlrev_b64_e32 v[6:7], 4, v[5:6]
	v_add_nc_u32_e32 v5, s5, v5
	s_delay_alu instid0(VALU_DEP_2) | instskip(SKIP_1) | instid1(VALU_DEP_3)
	v_add_co_u32 v118, vcc_lo, s0, v6
	s_wait_alu 0xfffd
	v_add_co_ci_u32_e64 v119, null, s1, v7, vcc_lo
	s_delay_alu instid0(VALU_DEP_3) | instskip(NEXT) | instid1(VALU_DEP_1)
	v_ashrrev_i32_e32 v6, 31, v5
	v_lshlrev_b64_e32 v[6:7], 4, v[5:6]
	v_add_nc_u32_e32 v5, s5, v5
	s_delay_alu instid0(VALU_DEP_2) | instskip(SKIP_1) | instid1(VALU_DEP_3)
	v_add_co_u32 v120, vcc_lo, s0, v6
	s_wait_alu 0xfffd
	v_add_co_ci_u32_e64 v121, null, s1, v7, vcc_lo
	s_delay_alu instid0(VALU_DEP_3) | instskip(NEXT) | instid1(VALU_DEP_1)
	v_ashrrev_i32_e32 v6, 31, v5
	v_lshlrev_b64_e32 v[5:6], 4, v[5:6]
	s_delay_alu instid0(VALU_DEP_1) | instskip(SKIP_1) | instid1(VALU_DEP_2)
	v_add_co_u32 v122, vcc_lo, s0, v5
	s_wait_alu 0xfffd
	v_add_co_ci_u32_e64 v123, null, s1, v6, vcc_lo
	s_movk_i32 s0, 0x50
	s_movk_i32 s1, 0x60
	s_wait_alu 0xfffe
	s_add_co_i32 s28, s0, 16
	s_add_co_i32 s5, s1, 16
	s_movk_i32 s0, 0x70
	s_movk_i32 s1, 0x80
	s_wait_alu 0xfffe
	s_add_co_i32 s29, s0, 16
	s_add_co_i32 s10, s1, 16
	;; [unrolled: 5-line block ×17, first 2 shown]
	s_bitcmp0_b32 s48, 0
	s_mov_b32 s1, -1
	s_wait_loadcnt_dscnt 0x0
	scratch_store_b128 off, v[1:4], off offset:32
	flat_load_b128 v[1:4], v[50:51]
	s_wait_loadcnt_dscnt 0x0
	scratch_store_b128 off, v[1:4], off offset:48
	flat_load_b128 v[1:4], v[52:53]
	;; [unrolled: 3-line block ×37, first 2 shown]
	s_wait_loadcnt_dscnt 0x0
	scratch_store_b128 off, v[1:4], off offset:624
	s_cbranch_scc1 .LBB102_168
; %bb.4:
	v_cmp_eq_u32_e64 s0, 0, v0
	s_and_saveexec_b32 s1, s0
; %bb.5:
	v_mov_b32_e32 v1, 0
	ds_store_b32 v1, v1 offset:1248
; %bb.6:
	s_wait_alu 0xfffe
	s_or_b32 exec_lo, exec_lo, s1
	s_wait_storecnt_dscnt 0x0
	s_barrier_signal -1
	s_barrier_wait -1
	global_inv scope:SCOPE_SE
	scratch_load_b128 v[1:4], v13, off offset:16
	s_wait_loadcnt 0x0
	v_cmp_eq_f64_e32 vcc_lo, 0, v[1:2]
	v_cmp_eq_f64_e64 s1, 0, v[3:4]
	s_and_b32 s1, vcc_lo, s1
	s_wait_alu 0xfffe
	s_and_saveexec_b32 s48, s1
	s_cbranch_execz .LBB102_10
; %bb.7:
	v_mov_b32_e32 v1, 0
	s_mov_b32 s49, 0
	ds_load_b32 v2, v1 offset:1248
	s_wait_dscnt 0x0
	v_readfirstlane_b32 s1, v2
	v_add_nc_u32_e32 v2, 1, v0
	s_cmp_eq_u32 s1, 0
	s_delay_alu instid0(VALU_DEP_1) | instskip(SKIP_1) | instid1(SALU_CYCLE_1)
	v_cmp_gt_i32_e32 vcc_lo, s1, v2
	s_cselect_b32 s50, -1, 0
	s_or_b32 s50, s50, vcc_lo
	s_delay_alu instid0(SALU_CYCLE_1)
	s_and_b32 exec_lo, exec_lo, s50
	s_cbranch_execz .LBB102_10
; %bb.8:
	v_mov_b32_e32 v3, s1
.LBB102_9:                              ; =>This Inner Loop Header: Depth=1
	ds_cmpstore_rtn_b32 v3, v1, v2, v3 offset:1248
	s_wait_dscnt 0x0
	v_cmp_ne_u32_e32 vcc_lo, 0, v3
	v_cmp_le_i32_e64 s1, v3, v2
	s_and_b32 s1, vcc_lo, s1
	s_wait_alu 0xfffe
	s_and_b32 s1, exec_lo, s1
	s_wait_alu 0xfffe
	s_or_b32 s49, s1, s49
	s_delay_alu instid0(SALU_CYCLE_1)
	s_and_not1_b32 exec_lo, exec_lo, s49
	s_cbranch_execnz .LBB102_9
.LBB102_10:
	s_or_b32 exec_lo, exec_lo, s48
	v_mov_b32_e32 v1, 0
	s_barrier_signal -1
	s_barrier_wait -1
	global_inv scope:SCOPE_SE
	ds_load_b32 v2, v1 offset:1248
	s_and_saveexec_b32 s1, s0
	s_cbranch_execz .LBB102_12
; %bb.11:
	s_lshl_b64 s[48:49], s[8:9], 2
	s_delay_alu instid0(SALU_CYCLE_1)
	s_add_nc_u64 s[48:49], s[6:7], s[48:49]
	s_wait_dscnt 0x0
	global_store_b32 v1, v2, s[48:49]
.LBB102_12:
	s_wait_alu 0xfffe
	s_or_b32 exec_lo, exec_lo, s1
	s_wait_dscnt 0x0
	v_cmp_ne_u32_e32 vcc_lo, 0, v2
	s_mov_b32 s1, 0
	s_cbranch_vccnz .LBB102_168
; %bb.13:
	v_add_nc_u32_e32 v14, 16, v13
                                        ; implicit-def: $vgpr1_vgpr2
                                        ; implicit-def: $vgpr9_vgpr10
	scratch_load_b128 v[5:8], v14, off
	s_wait_loadcnt 0x0
	v_cmp_ngt_f64_e64 s1, |v[5:6]|, |v[7:8]|
	s_wait_alu 0xfffe
	s_and_saveexec_b32 s48, s1
	s_delay_alu instid0(SALU_CYCLE_1)
	s_xor_b32 s1, exec_lo, s48
	s_cbranch_execz .LBB102_15
; %bb.14:
	v_div_scale_f64 v[1:2], null, v[7:8], v[7:8], v[5:6]
	v_div_scale_f64 v[11:12], vcc_lo, v[5:6], v[7:8], v[5:6]
	s_delay_alu instid0(VALU_DEP_2) | instskip(NEXT) | instid1(TRANS32_DEP_1)
	v_rcp_f64_e32 v[3:4], v[1:2]
	v_fma_f64 v[9:10], -v[1:2], v[3:4], 1.0
	s_delay_alu instid0(VALU_DEP_1) | instskip(NEXT) | instid1(VALU_DEP_1)
	v_fma_f64 v[3:4], v[3:4], v[9:10], v[3:4]
	v_fma_f64 v[9:10], -v[1:2], v[3:4], 1.0
	s_delay_alu instid0(VALU_DEP_1) | instskip(NEXT) | instid1(VALU_DEP_1)
	v_fma_f64 v[3:4], v[3:4], v[9:10], v[3:4]
	v_mul_f64_e32 v[9:10], v[11:12], v[3:4]
	s_delay_alu instid0(VALU_DEP_1) | instskip(SKIP_1) | instid1(VALU_DEP_1)
	v_fma_f64 v[1:2], -v[1:2], v[9:10], v[11:12]
	s_wait_alu 0xfffd
	v_div_fmas_f64 v[1:2], v[1:2], v[3:4], v[9:10]
	s_delay_alu instid0(VALU_DEP_1) | instskip(NEXT) | instid1(VALU_DEP_1)
	v_div_fixup_f64 v[1:2], v[1:2], v[7:8], v[5:6]
	v_fma_f64 v[3:4], v[5:6], v[1:2], v[7:8]
	s_delay_alu instid0(VALU_DEP_1) | instskip(SKIP_1) | instid1(VALU_DEP_2)
	v_div_scale_f64 v[5:6], null, v[3:4], v[3:4], 1.0
	v_div_scale_f64 v[11:12], vcc_lo, 1.0, v[3:4], 1.0
	v_rcp_f64_e32 v[7:8], v[5:6]
	s_delay_alu instid0(TRANS32_DEP_1) | instskip(NEXT) | instid1(VALU_DEP_1)
	v_fma_f64 v[9:10], -v[5:6], v[7:8], 1.0
	v_fma_f64 v[7:8], v[7:8], v[9:10], v[7:8]
	s_delay_alu instid0(VALU_DEP_1) | instskip(NEXT) | instid1(VALU_DEP_1)
	v_fma_f64 v[9:10], -v[5:6], v[7:8], 1.0
	v_fma_f64 v[7:8], v[7:8], v[9:10], v[7:8]
	s_delay_alu instid0(VALU_DEP_1) | instskip(NEXT) | instid1(VALU_DEP_1)
	v_mul_f64_e32 v[9:10], v[11:12], v[7:8]
	v_fma_f64 v[5:6], -v[5:6], v[9:10], v[11:12]
	s_wait_alu 0xfffd
	s_delay_alu instid0(VALU_DEP_1) | instskip(NEXT) | instid1(VALU_DEP_1)
	v_div_fmas_f64 v[5:6], v[5:6], v[7:8], v[9:10]
	v_div_fixup_f64 v[3:4], v[5:6], v[3:4], 1.0
                                        ; implicit-def: $vgpr5_vgpr6
	s_delay_alu instid0(VALU_DEP_1) | instskip(SKIP_1) | instid1(VALU_DEP_2)
	v_mul_f64_e32 v[1:2], v[1:2], v[3:4]
	v_xor_b32_e32 v4, 0x80000000, v4
	v_xor_b32_e32 v10, 0x80000000, v2
	s_delay_alu instid0(VALU_DEP_3)
	v_mov_b32_e32 v9, v1
.LBB102_15:
	s_wait_alu 0xfffe
	s_and_not1_saveexec_b32 s1, s1
	s_cbranch_execz .LBB102_17
; %bb.16:
	v_div_scale_f64 v[1:2], null, v[5:6], v[5:6], v[7:8]
	v_div_scale_f64 v[11:12], vcc_lo, v[7:8], v[5:6], v[7:8]
	s_delay_alu instid0(VALU_DEP_2) | instskip(NEXT) | instid1(TRANS32_DEP_1)
	v_rcp_f64_e32 v[3:4], v[1:2]
	v_fma_f64 v[9:10], -v[1:2], v[3:4], 1.0
	s_delay_alu instid0(VALU_DEP_1) | instskip(NEXT) | instid1(VALU_DEP_1)
	v_fma_f64 v[3:4], v[3:4], v[9:10], v[3:4]
	v_fma_f64 v[9:10], -v[1:2], v[3:4], 1.0
	s_delay_alu instid0(VALU_DEP_1) | instskip(NEXT) | instid1(VALU_DEP_1)
	v_fma_f64 v[3:4], v[3:4], v[9:10], v[3:4]
	v_mul_f64_e32 v[9:10], v[11:12], v[3:4]
	s_delay_alu instid0(VALU_DEP_1) | instskip(SKIP_1) | instid1(VALU_DEP_1)
	v_fma_f64 v[1:2], -v[1:2], v[9:10], v[11:12]
	s_wait_alu 0xfffd
	v_div_fmas_f64 v[1:2], v[1:2], v[3:4], v[9:10]
	s_delay_alu instid0(VALU_DEP_1) | instskip(NEXT) | instid1(VALU_DEP_1)
	v_div_fixup_f64 v[3:4], v[1:2], v[5:6], v[7:8]
	v_fma_f64 v[1:2], v[7:8], v[3:4], v[5:6]
	s_delay_alu instid0(VALU_DEP_1) | instskip(NEXT) | instid1(VALU_DEP_1)
	v_div_scale_f64 v[5:6], null, v[1:2], v[1:2], 1.0
	v_rcp_f64_e32 v[7:8], v[5:6]
	s_delay_alu instid0(TRANS32_DEP_1) | instskip(NEXT) | instid1(VALU_DEP_1)
	v_fma_f64 v[9:10], -v[5:6], v[7:8], 1.0
	v_fma_f64 v[7:8], v[7:8], v[9:10], v[7:8]
	s_delay_alu instid0(VALU_DEP_1) | instskip(NEXT) | instid1(VALU_DEP_1)
	v_fma_f64 v[9:10], -v[5:6], v[7:8], 1.0
	v_fma_f64 v[7:8], v[7:8], v[9:10], v[7:8]
	v_div_scale_f64 v[9:10], vcc_lo, 1.0, v[1:2], 1.0
	s_delay_alu instid0(VALU_DEP_1) | instskip(NEXT) | instid1(VALU_DEP_1)
	v_mul_f64_e32 v[11:12], v[9:10], v[7:8]
	v_fma_f64 v[5:6], -v[5:6], v[11:12], v[9:10]
	s_wait_alu 0xfffd
	s_delay_alu instid0(VALU_DEP_1) | instskip(NEXT) | instid1(VALU_DEP_1)
	v_div_fmas_f64 v[5:6], v[5:6], v[7:8], v[11:12]
	v_div_fixup_f64 v[1:2], v[5:6], v[1:2], 1.0
	s_delay_alu instid0(VALU_DEP_1)
	v_mul_f64_e64 v[3:4], v[3:4], -v[1:2]
	v_xor_b32_e32 v10, 0x80000000, v2
	v_mov_b32_e32 v9, v1
.LBB102_17:
	s_wait_alu 0xfffe
	s_or_b32 exec_lo, exec_lo, s1
	scratch_store_b128 v14, v[1:4], off
	scratch_load_b128 v[15:18], off, s47
	v_xor_b32_e32 v12, 0x80000000, v4
	v_mov_b32_e32 v11, v3
	v_add_nc_u32_e32 v5, 0x270, v13
	ds_store_b128 v13, v[9:12]
	s_wait_loadcnt 0x0
	ds_store_b128 v13, v[15:18] offset:624
	s_wait_storecnt_dscnt 0x0
	s_barrier_signal -1
	s_barrier_wait -1
	global_inv scope:SCOPE_SE
	s_and_saveexec_b32 s1, s0
	s_cbranch_execz .LBB102_19
; %bb.18:
	scratch_load_b128 v[1:4], v14, off
	ds_load_b128 v[6:9], v5
	v_mov_b32_e32 v10, 0
	ds_load_b128 v[15:18], v10 offset:16
	s_wait_loadcnt_dscnt 0x1
	v_mul_f64_e32 v[10:11], v[6:7], v[3:4]
	v_mul_f64_e32 v[3:4], v[8:9], v[3:4]
	s_delay_alu instid0(VALU_DEP_2) | instskip(NEXT) | instid1(VALU_DEP_2)
	v_fma_f64 v[8:9], v[8:9], v[1:2], v[10:11]
	v_fma_f64 v[1:2], v[6:7], v[1:2], -v[3:4]
	s_delay_alu instid0(VALU_DEP_2) | instskip(NEXT) | instid1(VALU_DEP_2)
	v_add_f64_e32 v[3:4], 0, v[8:9]
	v_add_f64_e32 v[1:2], 0, v[1:2]
	s_wait_dscnt 0x0
	s_delay_alu instid0(VALU_DEP_2) | instskip(NEXT) | instid1(VALU_DEP_2)
	v_mul_f64_e32 v[6:7], v[3:4], v[17:18]
	v_mul_f64_e32 v[8:9], v[1:2], v[17:18]
	s_delay_alu instid0(VALU_DEP_2) | instskip(NEXT) | instid1(VALU_DEP_2)
	v_fma_f64 v[1:2], v[1:2], v[15:16], -v[6:7]
	v_fma_f64 v[3:4], v[3:4], v[15:16], v[8:9]
	scratch_store_b128 off, v[1:4], off offset:32
.LBB102_19:
	s_wait_alu 0xfffe
	s_or_b32 exec_lo, exec_lo, s1
	s_wait_loadcnt 0x0
	s_wait_storecnt 0x0
	s_barrier_signal -1
	s_barrier_wait -1
	global_inv scope:SCOPE_SE
	scratch_load_b128 v[1:4], off, s46
	s_mov_b32 s1, exec_lo
	s_wait_loadcnt 0x0
	ds_store_b128 v5, v[1:4]
	s_wait_dscnt 0x0
	s_barrier_signal -1
	s_barrier_wait -1
	global_inv scope:SCOPE_SE
	v_cmpx_gt_u32_e32 2, v0
	s_cbranch_execz .LBB102_23
; %bb.20:
	scratch_load_b128 v[1:4], v14, off
	ds_load_b128 v[6:9], v5
	s_wait_loadcnt_dscnt 0x0
	v_mul_f64_e32 v[10:11], v[8:9], v[3:4]
	v_mul_f64_e32 v[3:4], v[6:7], v[3:4]
	s_delay_alu instid0(VALU_DEP_2) | instskip(NEXT) | instid1(VALU_DEP_2)
	v_fma_f64 v[6:7], v[6:7], v[1:2], -v[10:11]
	v_fma_f64 v[3:4], v[8:9], v[1:2], v[3:4]
	s_delay_alu instid0(VALU_DEP_2) | instskip(NEXT) | instid1(VALU_DEP_2)
	v_add_f64_e32 v[1:2], 0, v[6:7]
	v_add_f64_e32 v[3:4], 0, v[3:4]
	s_and_saveexec_b32 s48, s0
	s_cbranch_execz .LBB102_22
; %bb.21:
	scratch_load_b128 v[6:9], off, off offset:32
	v_mov_b32_e32 v10, 0
	ds_load_b128 v[15:18], v10 offset:640
	s_wait_loadcnt_dscnt 0x0
	v_mul_f64_e32 v[10:11], v[15:16], v[8:9]
	v_mul_f64_e32 v[8:9], v[17:18], v[8:9]
	s_delay_alu instid0(VALU_DEP_2) | instskip(NEXT) | instid1(VALU_DEP_2)
	v_fma_f64 v[10:11], v[17:18], v[6:7], v[10:11]
	v_fma_f64 v[6:7], v[15:16], v[6:7], -v[8:9]
	s_delay_alu instid0(VALU_DEP_2) | instskip(NEXT) | instid1(VALU_DEP_2)
	v_add_f64_e32 v[3:4], v[3:4], v[10:11]
	v_add_f64_e32 v[1:2], v[1:2], v[6:7]
.LBB102_22:
	s_or_b32 exec_lo, exec_lo, s48
	v_mov_b32_e32 v6, 0
	ds_load_b128 v[6:9], v6 offset:32
	s_wait_dscnt 0x0
	v_mul_f64_e32 v[10:11], v[3:4], v[8:9]
	v_mul_f64_e32 v[8:9], v[1:2], v[8:9]
	s_delay_alu instid0(VALU_DEP_2) | instskip(NEXT) | instid1(VALU_DEP_2)
	v_fma_f64 v[1:2], v[1:2], v[6:7], -v[10:11]
	v_fma_f64 v[3:4], v[3:4], v[6:7], v[8:9]
	scratch_store_b128 off, v[1:4], off offset:48
.LBB102_23:
	s_wait_alu 0xfffe
	s_or_b32 exec_lo, exec_lo, s1
	s_wait_loadcnt 0x0
	s_wait_storecnt 0x0
	s_barrier_signal -1
	s_barrier_wait -1
	global_inv scope:SCOPE_SE
	scratch_load_b128 v[1:4], off, s27
	v_add_nc_u32_e32 v6, -1, v0
	s_mov_b32 s0, exec_lo
	s_wait_loadcnt 0x0
	ds_store_b128 v5, v[1:4]
	s_wait_dscnt 0x0
	s_barrier_signal -1
	s_barrier_wait -1
	global_inv scope:SCOPE_SE
	v_cmpx_gt_u32_e32 3, v0
	s_cbranch_execz .LBB102_27
; %bb.24:
	v_dual_mov_b32 v1, 0 :: v_dual_add_nc_u32 v8, 0x270, v13
	v_mov_b32_e32 v3, 0
	v_dual_mov_b32 v2, 0 :: v_dual_add_nc_u32 v7, -1, v0
	v_mov_b32_e32 v4, 0
	v_or_b32_e32 v9, 8, v14
	s_mov_b32 s1, 0
.LBB102_25:                             ; =>This Inner Loop Header: Depth=1
	scratch_load_b128 v[15:18], v9, off offset:-8
	ds_load_b128 v[19:22], v8
	v_add_nc_u32_e32 v7, 1, v7
	v_add_nc_u32_e32 v8, 16, v8
	v_add_nc_u32_e32 v9, 16, v9
	s_delay_alu instid0(VALU_DEP_3)
	v_cmp_lt_u32_e32 vcc_lo, 1, v7
	s_wait_alu 0xfffe
	s_or_b32 s1, vcc_lo, s1
	s_wait_loadcnt_dscnt 0x0
	v_mul_f64_e32 v[10:11], v[21:22], v[17:18]
	v_mul_f64_e32 v[17:18], v[19:20], v[17:18]
	s_delay_alu instid0(VALU_DEP_2) | instskip(NEXT) | instid1(VALU_DEP_2)
	v_fma_f64 v[10:11], v[19:20], v[15:16], -v[10:11]
	v_fma_f64 v[15:16], v[21:22], v[15:16], v[17:18]
	s_delay_alu instid0(VALU_DEP_2) | instskip(NEXT) | instid1(VALU_DEP_2)
	v_add_f64_e32 v[3:4], v[3:4], v[10:11]
	v_add_f64_e32 v[1:2], v[1:2], v[15:16]
	s_wait_alu 0xfffe
	s_and_not1_b32 exec_lo, exec_lo, s1
	s_cbranch_execnz .LBB102_25
; %bb.26:
	s_or_b32 exec_lo, exec_lo, s1
	v_mov_b32_e32 v7, 0
	ds_load_b128 v[7:10], v7 offset:48
	s_wait_dscnt 0x0
	v_mul_f64_e32 v[11:12], v[1:2], v[9:10]
	v_mul_f64_e32 v[15:16], v[3:4], v[9:10]
	s_delay_alu instid0(VALU_DEP_2) | instskip(NEXT) | instid1(VALU_DEP_2)
	v_fma_f64 v[9:10], v[3:4], v[7:8], -v[11:12]
	v_fma_f64 v[11:12], v[1:2], v[7:8], v[15:16]
	scratch_store_b128 off, v[9:12], off offset:64
.LBB102_27:
	s_wait_alu 0xfffe
	s_or_b32 exec_lo, exec_lo, s0
	s_wait_loadcnt 0x0
	s_wait_storecnt 0x0
	s_barrier_signal -1
	s_barrier_wait -1
	global_inv scope:SCOPE_SE
	scratch_load_b128 v[1:4], off, s4
	s_mov_b32 s0, exec_lo
	s_wait_loadcnt 0x0
	ds_store_b128 v5, v[1:4]
	s_wait_dscnt 0x0
	s_barrier_signal -1
	s_barrier_wait -1
	global_inv scope:SCOPE_SE
	v_cmpx_gt_u32_e32 4, v0
	s_cbranch_execz .LBB102_31
; %bb.28:
	v_dual_mov_b32 v1, 0 :: v_dual_add_nc_u32 v8, 0x270, v13
	v_mov_b32_e32 v3, 0
	v_dual_mov_b32 v2, 0 :: v_dual_add_nc_u32 v7, -1, v0
	v_mov_b32_e32 v4, 0
	v_or_b32_e32 v9, 8, v14
	s_mov_b32 s1, 0
.LBB102_29:                             ; =>This Inner Loop Header: Depth=1
	scratch_load_b128 v[15:18], v9, off offset:-8
	ds_load_b128 v[19:22], v8
	v_add_nc_u32_e32 v7, 1, v7
	v_add_nc_u32_e32 v8, 16, v8
	v_add_nc_u32_e32 v9, 16, v9
	s_delay_alu instid0(VALU_DEP_3)
	v_cmp_lt_u32_e32 vcc_lo, 2, v7
	s_wait_alu 0xfffe
	s_or_b32 s1, vcc_lo, s1
	s_wait_loadcnt_dscnt 0x0
	v_mul_f64_e32 v[10:11], v[21:22], v[17:18]
	v_mul_f64_e32 v[17:18], v[19:20], v[17:18]
	s_delay_alu instid0(VALU_DEP_2) | instskip(NEXT) | instid1(VALU_DEP_2)
	v_fma_f64 v[10:11], v[19:20], v[15:16], -v[10:11]
	v_fma_f64 v[15:16], v[21:22], v[15:16], v[17:18]
	s_delay_alu instid0(VALU_DEP_2) | instskip(NEXT) | instid1(VALU_DEP_2)
	v_add_f64_e32 v[3:4], v[3:4], v[10:11]
	v_add_f64_e32 v[1:2], v[1:2], v[15:16]
	s_wait_alu 0xfffe
	s_and_not1_b32 exec_lo, exec_lo, s1
	s_cbranch_execnz .LBB102_29
; %bb.30:
	s_or_b32 exec_lo, exec_lo, s1
	v_mov_b32_e32 v7, 0
	ds_load_b128 v[7:10], v7 offset:64
	s_wait_dscnt 0x0
	v_mul_f64_e32 v[11:12], v[1:2], v[9:10]
	v_mul_f64_e32 v[15:16], v[3:4], v[9:10]
	s_delay_alu instid0(VALU_DEP_2) | instskip(NEXT) | instid1(VALU_DEP_2)
	v_fma_f64 v[9:10], v[3:4], v[7:8], -v[11:12]
	v_fma_f64 v[11:12], v[1:2], v[7:8], v[15:16]
	scratch_store_b128 off, v[9:12], off offset:80
.LBB102_31:
	s_wait_alu 0xfffe
	s_or_b32 exec_lo, exec_lo, s0
	s_wait_loadcnt 0x0
	s_wait_storecnt 0x0
	s_barrier_signal -1
	s_barrier_wait -1
	global_inv scope:SCOPE_SE
	scratch_load_b128 v[1:4], off, s28
	;; [unrolled: 58-line block ×19, first 2 shown]
	s_mov_b32 s0, exec_lo
	s_wait_loadcnt 0x0
	ds_store_b128 v5, v[1:4]
	s_wait_dscnt 0x0
	s_barrier_signal -1
	s_barrier_wait -1
	global_inv scope:SCOPE_SE
	v_cmpx_gt_u32_e32 22, v0
	s_cbranch_execz .LBB102_103
; %bb.100:
	v_dual_mov_b32 v1, 0 :: v_dual_add_nc_u32 v8, 0x270, v13
	v_mov_b32_e32 v3, 0
	v_dual_mov_b32 v2, 0 :: v_dual_add_nc_u32 v7, -1, v0
	v_mov_b32_e32 v4, 0
	v_or_b32_e32 v9, 8, v14
	s_mov_b32 s1, 0
.LBB102_101:                            ; =>This Inner Loop Header: Depth=1
	scratch_load_b128 v[15:18], v9, off offset:-8
	ds_load_b128 v[19:22], v8
	v_add_nc_u32_e32 v7, 1, v7
	v_add_nc_u32_e32 v8, 16, v8
	v_add_nc_u32_e32 v9, 16, v9
	s_delay_alu instid0(VALU_DEP_3)
	v_cmp_lt_u32_e32 vcc_lo, 20, v7
	s_wait_alu 0xfffe
	s_or_b32 s1, vcc_lo, s1
	s_wait_loadcnt_dscnt 0x0
	v_mul_f64_e32 v[10:11], v[21:22], v[17:18]
	v_mul_f64_e32 v[17:18], v[19:20], v[17:18]
	s_delay_alu instid0(VALU_DEP_2) | instskip(NEXT) | instid1(VALU_DEP_2)
	v_fma_f64 v[10:11], v[19:20], v[15:16], -v[10:11]
	v_fma_f64 v[15:16], v[21:22], v[15:16], v[17:18]
	s_delay_alu instid0(VALU_DEP_2) | instskip(NEXT) | instid1(VALU_DEP_2)
	v_add_f64_e32 v[3:4], v[3:4], v[10:11]
	v_add_f64_e32 v[1:2], v[1:2], v[15:16]
	s_wait_alu 0xfffe
	s_and_not1_b32 exec_lo, exec_lo, s1
	s_cbranch_execnz .LBB102_101
; %bb.102:
	s_or_b32 exec_lo, exec_lo, s1
	v_mov_b32_e32 v7, 0
	ds_load_b128 v[7:10], v7 offset:352
	s_wait_dscnt 0x0
	v_mul_f64_e32 v[11:12], v[1:2], v[9:10]
	v_mul_f64_e32 v[15:16], v[3:4], v[9:10]
	s_delay_alu instid0(VALU_DEP_2) | instskip(NEXT) | instid1(VALU_DEP_2)
	v_fma_f64 v[9:10], v[3:4], v[7:8], -v[11:12]
	v_fma_f64 v[11:12], v[1:2], v[7:8], v[15:16]
	scratch_store_b128 off, v[9:12], off offset:368
.LBB102_103:
	s_wait_alu 0xfffe
	s_or_b32 exec_lo, exec_lo, s0
	s_wait_loadcnt 0x0
	s_wait_storecnt 0x0
	s_barrier_signal -1
	s_barrier_wait -1
	global_inv scope:SCOPE_SE
	scratch_load_b128 v[1:4], off, s38
	s_mov_b32 s0, exec_lo
	s_wait_loadcnt 0x0
	ds_store_b128 v5, v[1:4]
	s_wait_dscnt 0x0
	s_barrier_signal -1
	s_barrier_wait -1
	global_inv scope:SCOPE_SE
	v_cmpx_gt_u32_e32 23, v0
	s_cbranch_execz .LBB102_107
; %bb.104:
	v_dual_mov_b32 v1, 0 :: v_dual_add_nc_u32 v8, 0x270, v13
	v_mov_b32_e32 v3, 0
	v_dual_mov_b32 v2, 0 :: v_dual_add_nc_u32 v7, -1, v0
	v_mov_b32_e32 v4, 0
	v_or_b32_e32 v9, 8, v14
	s_mov_b32 s1, 0
.LBB102_105:                            ; =>This Inner Loop Header: Depth=1
	scratch_load_b128 v[15:18], v9, off offset:-8
	ds_load_b128 v[19:22], v8
	v_add_nc_u32_e32 v7, 1, v7
	v_add_nc_u32_e32 v8, 16, v8
	v_add_nc_u32_e32 v9, 16, v9
	s_delay_alu instid0(VALU_DEP_3)
	v_cmp_lt_u32_e32 vcc_lo, 21, v7
	s_wait_alu 0xfffe
	s_or_b32 s1, vcc_lo, s1
	s_wait_loadcnt_dscnt 0x0
	v_mul_f64_e32 v[10:11], v[21:22], v[17:18]
	v_mul_f64_e32 v[17:18], v[19:20], v[17:18]
	s_delay_alu instid0(VALU_DEP_2) | instskip(NEXT) | instid1(VALU_DEP_2)
	v_fma_f64 v[10:11], v[19:20], v[15:16], -v[10:11]
	v_fma_f64 v[15:16], v[21:22], v[15:16], v[17:18]
	s_delay_alu instid0(VALU_DEP_2) | instskip(NEXT) | instid1(VALU_DEP_2)
	v_add_f64_e32 v[3:4], v[3:4], v[10:11]
	v_add_f64_e32 v[1:2], v[1:2], v[15:16]
	s_wait_alu 0xfffe
	s_and_not1_b32 exec_lo, exec_lo, s1
	s_cbranch_execnz .LBB102_105
; %bb.106:
	s_or_b32 exec_lo, exec_lo, s1
	v_mov_b32_e32 v7, 0
	ds_load_b128 v[7:10], v7 offset:368
	s_wait_dscnt 0x0
	v_mul_f64_e32 v[11:12], v[1:2], v[9:10]
	v_mul_f64_e32 v[15:16], v[3:4], v[9:10]
	s_delay_alu instid0(VALU_DEP_2) | instskip(NEXT) | instid1(VALU_DEP_2)
	v_fma_f64 v[9:10], v[3:4], v[7:8], -v[11:12]
	v_fma_f64 v[11:12], v[1:2], v[7:8], v[15:16]
	scratch_store_b128 off, v[9:12], off offset:384
.LBB102_107:
	s_wait_alu 0xfffe
	s_or_b32 exec_lo, exec_lo, s0
	s_wait_loadcnt 0x0
	s_wait_storecnt 0x0
	s_barrier_signal -1
	s_barrier_wait -1
	global_inv scope:SCOPE_SE
	scratch_load_b128 v[1:4], off, s19
	;; [unrolled: 58-line block ×16, first 2 shown]
	s_mov_b32 s0, exec_lo
	s_wait_loadcnt 0x0
	ds_store_b128 v5, v[1:4]
	s_wait_dscnt 0x0
	s_barrier_signal -1
	s_barrier_wait -1
	global_inv scope:SCOPE_SE
	v_cmpx_ne_u32_e32 38, v0
	s_cbranch_execz .LBB102_167
; %bb.164:
	v_mov_b32_e32 v1, 0
	v_dual_mov_b32 v2, 0 :: v_dual_mov_b32 v3, 0
	v_mov_b32_e32 v4, 0
	v_or_b32_e32 v7, 8, v14
	s_mov_b32 s1, 0
.LBB102_165:                            ; =>This Inner Loop Header: Depth=1
	scratch_load_b128 v[8:11], v7, off offset:-8
	ds_load_b128 v[12:15], v5
	v_add_nc_u32_e32 v6, 1, v6
	v_add_nc_u32_e32 v5, 16, v5
	v_add_nc_u32_e32 v7, 16, v7
	s_delay_alu instid0(VALU_DEP_3)
	v_cmp_lt_u32_e32 vcc_lo, 36, v6
	s_wait_alu 0xfffe
	s_or_b32 s1, vcc_lo, s1
	s_wait_loadcnt_dscnt 0x0
	v_mul_f64_e32 v[16:17], v[14:15], v[10:11]
	v_mul_f64_e32 v[10:11], v[12:13], v[10:11]
	s_delay_alu instid0(VALU_DEP_2) | instskip(NEXT) | instid1(VALU_DEP_2)
	v_fma_f64 v[12:13], v[12:13], v[8:9], -v[16:17]
	v_fma_f64 v[8:9], v[14:15], v[8:9], v[10:11]
	s_delay_alu instid0(VALU_DEP_2) | instskip(NEXT) | instid1(VALU_DEP_2)
	v_add_f64_e32 v[3:4], v[3:4], v[12:13]
	v_add_f64_e32 v[1:2], v[1:2], v[8:9]
	s_wait_alu 0xfffe
	s_and_not1_b32 exec_lo, exec_lo, s1
	s_cbranch_execnz .LBB102_165
; %bb.166:
	s_or_b32 exec_lo, exec_lo, s1
	v_mov_b32_e32 v5, 0
	ds_load_b128 v[5:8], v5 offset:608
	s_wait_dscnt 0x0
	v_mul_f64_e32 v[9:10], v[1:2], v[7:8]
	v_mul_f64_e32 v[7:8], v[3:4], v[7:8]
	s_delay_alu instid0(VALU_DEP_2) | instskip(NEXT) | instid1(VALU_DEP_2)
	v_fma_f64 v[3:4], v[3:4], v[5:6], -v[9:10]
	v_fma_f64 v[5:6], v[1:2], v[5:6], v[7:8]
	scratch_store_b128 off, v[3:6], off offset:624
.LBB102_167:
	s_wait_alu 0xfffe
	s_or_b32 exec_lo, exec_lo, s0
	s_mov_b32 s1, -1
	s_wait_loadcnt 0x0
	s_wait_storecnt 0x0
	s_barrier_signal -1
	s_barrier_wait -1
	global_inv scope:SCOPE_SE
.LBB102_168:
	s_wait_alu 0xfffe
	s_and_b32 vcc_lo, exec_lo, s1
	s_wait_alu 0xfffe
	s_cbranch_vccz .LBB102_170
; %bb.169:
	v_mov_b32_e32 v1, 0
	s_lshl_b64 s[0:1], s[8:9], 2
	s_wait_alu 0xfffe
	s_add_nc_u64 s[0:1], s[6:7], s[0:1]
	global_load_b32 v1, v1, s[0:1]
	s_wait_loadcnt 0x0
	v_cmp_ne_u32_e32 vcc_lo, 0, v1
	s_cbranch_vccz .LBB102_171
.LBB102_170:
	s_nop 0
	s_sendmsg sendmsg(MSG_DEALLOC_VGPRS)
	s_endpgm
.LBB102_171:
	v_lshl_add_u32 v38, v0, 4, 0x270
	s_mov_b32 s0, exec_lo
	v_cmpx_eq_u32_e32 38, v0
	s_cbranch_execz .LBB102_173
; %bb.172:
	scratch_load_b128 v[1:4], off, s45
	v_mov_b32_e32 v5, 0
	s_delay_alu instid0(VALU_DEP_1)
	v_dual_mov_b32 v6, v5 :: v_dual_mov_b32 v7, v5
	v_mov_b32_e32 v8, v5
	scratch_store_b128 off, v[5:8], off offset:608
	s_wait_loadcnt 0x0
	ds_store_b128 v38, v[1:4]
.LBB102_173:
	s_wait_alu 0xfffe
	s_or_b32 exec_lo, exec_lo, s0
	s_wait_storecnt_dscnt 0x0
	s_barrier_signal -1
	s_barrier_wait -1
	global_inv scope:SCOPE_SE
	s_clause 0x1
	scratch_load_b128 v[2:5], off, off offset:624
	scratch_load_b128 v[6:9], off, off offset:608
	v_mov_b32_e32 v1, 0
	s_mov_b32 s0, exec_lo
	ds_load_b128 v[10:13], v1 offset:1232
	s_wait_loadcnt_dscnt 0x100
	v_mul_f64_e32 v[14:15], v[12:13], v[4:5]
	v_mul_f64_e32 v[4:5], v[10:11], v[4:5]
	s_delay_alu instid0(VALU_DEP_2) | instskip(NEXT) | instid1(VALU_DEP_2)
	v_fma_f64 v[10:11], v[10:11], v[2:3], -v[14:15]
	v_fma_f64 v[2:3], v[12:13], v[2:3], v[4:5]
	s_delay_alu instid0(VALU_DEP_2) | instskip(NEXT) | instid1(VALU_DEP_2)
	v_add_f64_e32 v[4:5], 0, v[10:11]
	v_add_f64_e32 v[10:11], 0, v[2:3]
	s_wait_loadcnt 0x0
	s_delay_alu instid0(VALU_DEP_2) | instskip(NEXT) | instid1(VALU_DEP_2)
	v_add_f64_e64 v[2:3], v[6:7], -v[4:5]
	v_add_f64_e64 v[4:5], v[8:9], -v[10:11]
	scratch_store_b128 off, v[2:5], off offset:608
	v_cmpx_lt_u32_e32 36, v0
	s_cbranch_execz .LBB102_175
; %bb.174:
	scratch_load_b128 v[5:8], off, s25
	v_dual_mov_b32 v2, v1 :: v_dual_mov_b32 v3, v1
	v_mov_b32_e32 v4, v1
	scratch_store_b128 off, v[1:4], off offset:592
	s_wait_loadcnt 0x0
	ds_store_b128 v38, v[5:8]
.LBB102_175:
	s_wait_alu 0xfffe
	s_or_b32 exec_lo, exec_lo, s0
	s_wait_storecnt_dscnt 0x0
	s_barrier_signal -1
	s_barrier_wait -1
	global_inv scope:SCOPE_SE
	s_clause 0x2
	scratch_load_b128 v[2:5], off, off offset:608
	scratch_load_b128 v[6:9], off, off offset:624
	;; [unrolled: 1-line block ×3, first 2 shown]
	ds_load_b128 v[14:17], v1 offset:1216
	ds_load_b128 v[18:21], v1 offset:1232
	s_mov_b32 s0, exec_lo
	s_wait_loadcnt_dscnt 0x201
	v_mul_f64_e32 v[22:23], v[16:17], v[4:5]
	v_mul_f64_e32 v[4:5], v[14:15], v[4:5]
	s_wait_loadcnt_dscnt 0x100
	v_mul_f64_e32 v[24:25], v[18:19], v[8:9]
	v_mul_f64_e32 v[8:9], v[20:21], v[8:9]
	s_delay_alu instid0(VALU_DEP_4) | instskip(NEXT) | instid1(VALU_DEP_4)
	v_fma_f64 v[14:15], v[14:15], v[2:3], -v[22:23]
	v_fma_f64 v[1:2], v[16:17], v[2:3], v[4:5]
	s_delay_alu instid0(VALU_DEP_4) | instskip(NEXT) | instid1(VALU_DEP_4)
	v_fma_f64 v[3:4], v[20:21], v[6:7], v[24:25]
	v_fma_f64 v[5:6], v[18:19], v[6:7], -v[8:9]
	s_delay_alu instid0(VALU_DEP_4) | instskip(NEXT) | instid1(VALU_DEP_4)
	v_add_f64_e32 v[7:8], 0, v[14:15]
	v_add_f64_e32 v[1:2], 0, v[1:2]
	s_delay_alu instid0(VALU_DEP_2) | instskip(NEXT) | instid1(VALU_DEP_2)
	v_add_f64_e32 v[5:6], v[7:8], v[5:6]
	v_add_f64_e32 v[3:4], v[1:2], v[3:4]
	s_wait_loadcnt 0x0
	s_delay_alu instid0(VALU_DEP_2) | instskip(NEXT) | instid1(VALU_DEP_2)
	v_add_f64_e64 v[1:2], v[10:11], -v[5:6]
	v_add_f64_e64 v[3:4], v[12:13], -v[3:4]
	scratch_store_b128 off, v[1:4], off offset:592
	v_cmpx_lt_u32_e32 35, v0
	s_cbranch_execz .LBB102_177
; %bb.176:
	scratch_load_b128 v[1:4], off, s44
	v_mov_b32_e32 v5, 0
	s_delay_alu instid0(VALU_DEP_1)
	v_dual_mov_b32 v6, v5 :: v_dual_mov_b32 v7, v5
	v_mov_b32_e32 v8, v5
	scratch_store_b128 off, v[5:8], off offset:576
	s_wait_loadcnt 0x0
	ds_store_b128 v38, v[1:4]
.LBB102_177:
	s_wait_alu 0xfffe
	s_or_b32 exec_lo, exec_lo, s0
	s_wait_storecnt_dscnt 0x0
	s_barrier_signal -1
	s_barrier_wait -1
	global_inv scope:SCOPE_SE
	s_clause 0x3
	scratch_load_b128 v[2:5], off, off offset:592
	scratch_load_b128 v[6:9], off, off offset:608
	;; [unrolled: 1-line block ×4, first 2 shown]
	v_mov_b32_e32 v1, 0
	ds_load_b128 v[18:21], v1 offset:1200
	ds_load_b128 v[22:25], v1 offset:1216
	s_mov_b32 s0, exec_lo
	s_wait_loadcnt_dscnt 0x301
	v_mul_f64_e32 v[26:27], v[20:21], v[4:5]
	v_mul_f64_e32 v[4:5], v[18:19], v[4:5]
	s_wait_loadcnt_dscnt 0x200
	v_mul_f64_e32 v[28:29], v[22:23], v[8:9]
	v_mul_f64_e32 v[8:9], v[24:25], v[8:9]
	s_delay_alu instid0(VALU_DEP_4) | instskip(NEXT) | instid1(VALU_DEP_4)
	v_fma_f64 v[18:19], v[18:19], v[2:3], -v[26:27]
	v_fma_f64 v[20:21], v[20:21], v[2:3], v[4:5]
	ds_load_b128 v[2:5], v1 offset:1232
	v_fma_f64 v[24:25], v[24:25], v[6:7], v[28:29]
	v_fma_f64 v[6:7], v[22:23], v[6:7], -v[8:9]
	s_wait_loadcnt_dscnt 0x100
	v_mul_f64_e32 v[26:27], v[2:3], v[12:13]
	v_mul_f64_e32 v[12:13], v[4:5], v[12:13]
	v_add_f64_e32 v[8:9], 0, v[18:19]
	v_add_f64_e32 v[18:19], 0, v[20:21]
	s_delay_alu instid0(VALU_DEP_4) | instskip(NEXT) | instid1(VALU_DEP_4)
	v_fma_f64 v[4:5], v[4:5], v[10:11], v[26:27]
	v_fma_f64 v[2:3], v[2:3], v[10:11], -v[12:13]
	s_delay_alu instid0(VALU_DEP_4) | instskip(NEXT) | instid1(VALU_DEP_4)
	v_add_f64_e32 v[6:7], v[8:9], v[6:7]
	v_add_f64_e32 v[8:9], v[18:19], v[24:25]
	s_delay_alu instid0(VALU_DEP_2) | instskip(NEXT) | instid1(VALU_DEP_2)
	v_add_f64_e32 v[2:3], v[6:7], v[2:3]
	v_add_f64_e32 v[4:5], v[8:9], v[4:5]
	s_wait_loadcnt 0x0
	s_delay_alu instid0(VALU_DEP_2) | instskip(NEXT) | instid1(VALU_DEP_2)
	v_add_f64_e64 v[2:3], v[14:15], -v[2:3]
	v_add_f64_e64 v[4:5], v[16:17], -v[4:5]
	scratch_store_b128 off, v[2:5], off offset:576
	v_cmpx_lt_u32_e32 34, v0
	s_cbranch_execz .LBB102_179
; %bb.178:
	scratch_load_b128 v[5:8], off, s24
	v_dual_mov_b32 v2, v1 :: v_dual_mov_b32 v3, v1
	v_mov_b32_e32 v4, v1
	scratch_store_b128 off, v[1:4], off offset:560
	s_wait_loadcnt 0x0
	ds_store_b128 v38, v[5:8]
.LBB102_179:
	s_wait_alu 0xfffe
	s_or_b32 exec_lo, exec_lo, s0
	s_wait_storecnt_dscnt 0x0
	s_barrier_signal -1
	s_barrier_wait -1
	global_inv scope:SCOPE_SE
	s_clause 0x4
	scratch_load_b128 v[2:5], off, off offset:576
	scratch_load_b128 v[6:9], off, off offset:592
	;; [unrolled: 1-line block ×5, first 2 shown]
	ds_load_b128 v[22:25], v1 offset:1184
	ds_load_b128 v[26:29], v1 offset:1200
	s_mov_b32 s0, exec_lo
	s_wait_loadcnt_dscnt 0x401
	v_mul_f64_e32 v[30:31], v[24:25], v[4:5]
	v_mul_f64_e32 v[4:5], v[22:23], v[4:5]
	s_wait_loadcnt_dscnt 0x300
	v_mul_f64_e32 v[32:33], v[26:27], v[8:9]
	v_mul_f64_e32 v[8:9], v[28:29], v[8:9]
	s_delay_alu instid0(VALU_DEP_4) | instskip(NEXT) | instid1(VALU_DEP_4)
	v_fma_f64 v[30:31], v[22:23], v[2:3], -v[30:31]
	v_fma_f64 v[34:35], v[24:25], v[2:3], v[4:5]
	ds_load_b128 v[2:5], v1 offset:1216
	ds_load_b128 v[22:25], v1 offset:1232
	v_fma_f64 v[28:29], v[28:29], v[6:7], v[32:33]
	v_fma_f64 v[6:7], v[26:27], v[6:7], -v[8:9]
	s_wait_loadcnt_dscnt 0x201
	v_mul_f64_e32 v[36:37], v[2:3], v[12:13]
	v_mul_f64_e32 v[12:13], v[4:5], v[12:13]
	v_add_f64_e32 v[8:9], 0, v[30:31]
	v_add_f64_e32 v[26:27], 0, v[34:35]
	s_wait_loadcnt_dscnt 0x100
	v_mul_f64_e32 v[30:31], v[22:23], v[16:17]
	v_mul_f64_e32 v[16:17], v[24:25], v[16:17]
	v_fma_f64 v[4:5], v[4:5], v[10:11], v[36:37]
	v_fma_f64 v[1:2], v[2:3], v[10:11], -v[12:13]
	v_add_f64_e32 v[6:7], v[8:9], v[6:7]
	v_add_f64_e32 v[8:9], v[26:27], v[28:29]
	v_fma_f64 v[10:11], v[24:25], v[14:15], v[30:31]
	v_fma_f64 v[12:13], v[22:23], v[14:15], -v[16:17]
	s_delay_alu instid0(VALU_DEP_4) | instskip(NEXT) | instid1(VALU_DEP_4)
	v_add_f64_e32 v[1:2], v[6:7], v[1:2]
	v_add_f64_e32 v[3:4], v[8:9], v[4:5]
	s_delay_alu instid0(VALU_DEP_2) | instskip(NEXT) | instid1(VALU_DEP_2)
	v_add_f64_e32 v[1:2], v[1:2], v[12:13]
	v_add_f64_e32 v[3:4], v[3:4], v[10:11]
	s_wait_loadcnt 0x0
	s_delay_alu instid0(VALU_DEP_2) | instskip(NEXT) | instid1(VALU_DEP_2)
	v_add_f64_e64 v[1:2], v[18:19], -v[1:2]
	v_add_f64_e64 v[3:4], v[20:21], -v[3:4]
	scratch_store_b128 off, v[1:4], off offset:560
	v_cmpx_lt_u32_e32 33, v0
	s_cbranch_execz .LBB102_181
; %bb.180:
	scratch_load_b128 v[1:4], off, s43
	v_mov_b32_e32 v5, 0
	s_delay_alu instid0(VALU_DEP_1)
	v_dual_mov_b32 v6, v5 :: v_dual_mov_b32 v7, v5
	v_mov_b32_e32 v8, v5
	scratch_store_b128 off, v[5:8], off offset:544
	s_wait_loadcnt 0x0
	ds_store_b128 v38, v[1:4]
.LBB102_181:
	s_wait_alu 0xfffe
	s_or_b32 exec_lo, exec_lo, s0
	s_wait_storecnt_dscnt 0x0
	s_barrier_signal -1
	s_barrier_wait -1
	global_inv scope:SCOPE_SE
	s_clause 0x5
	scratch_load_b128 v[2:5], off, off offset:560
	scratch_load_b128 v[6:9], off, off offset:576
	scratch_load_b128 v[10:13], off, off offset:592
	scratch_load_b128 v[14:17], off, off offset:608
	scratch_load_b128 v[18:21], off, off offset:624
	scratch_load_b128 v[22:25], off, off offset:544
	v_mov_b32_e32 v1, 0
	ds_load_b128 v[26:29], v1 offset:1168
	ds_load_b128 v[30:33], v1 offset:1184
	s_mov_b32 s0, exec_lo
	s_wait_loadcnt_dscnt 0x501
	v_mul_f64_e32 v[34:35], v[28:29], v[4:5]
	v_mul_f64_e32 v[4:5], v[26:27], v[4:5]
	s_wait_loadcnt_dscnt 0x400
	v_mul_f64_e32 v[36:37], v[30:31], v[8:9]
	v_mul_f64_e32 v[8:9], v[32:33], v[8:9]
	s_delay_alu instid0(VALU_DEP_4) | instskip(NEXT) | instid1(VALU_DEP_4)
	v_fma_f64 v[34:35], v[26:27], v[2:3], -v[34:35]
	v_fma_f64 v[39:40], v[28:29], v[2:3], v[4:5]
	ds_load_b128 v[2:5], v1 offset:1200
	ds_load_b128 v[26:29], v1 offset:1216
	v_fma_f64 v[32:33], v[32:33], v[6:7], v[36:37]
	v_fma_f64 v[6:7], v[30:31], v[6:7], -v[8:9]
	s_wait_loadcnt_dscnt 0x301
	v_mul_f64_e32 v[41:42], v[2:3], v[12:13]
	v_mul_f64_e32 v[12:13], v[4:5], v[12:13]
	v_add_f64_e32 v[8:9], 0, v[34:35]
	v_add_f64_e32 v[30:31], 0, v[39:40]
	s_wait_loadcnt_dscnt 0x200
	v_mul_f64_e32 v[34:35], v[26:27], v[16:17]
	v_mul_f64_e32 v[16:17], v[28:29], v[16:17]
	v_fma_f64 v[36:37], v[4:5], v[10:11], v[41:42]
	v_fma_f64 v[10:11], v[2:3], v[10:11], -v[12:13]
	ds_load_b128 v[2:5], v1 offset:1232
	v_add_f64_e32 v[6:7], v[8:9], v[6:7]
	v_add_f64_e32 v[8:9], v[30:31], v[32:33]
	v_fma_f64 v[28:29], v[28:29], v[14:15], v[34:35]
	v_fma_f64 v[14:15], v[26:27], v[14:15], -v[16:17]
	s_wait_loadcnt_dscnt 0x100
	v_mul_f64_e32 v[12:13], v[2:3], v[20:21]
	v_mul_f64_e32 v[20:21], v[4:5], v[20:21]
	v_add_f64_e32 v[6:7], v[6:7], v[10:11]
	v_add_f64_e32 v[8:9], v[8:9], v[36:37]
	s_delay_alu instid0(VALU_DEP_4) | instskip(NEXT) | instid1(VALU_DEP_4)
	v_fma_f64 v[4:5], v[4:5], v[18:19], v[12:13]
	v_fma_f64 v[2:3], v[2:3], v[18:19], -v[20:21]
	s_delay_alu instid0(VALU_DEP_4) | instskip(NEXT) | instid1(VALU_DEP_4)
	v_add_f64_e32 v[6:7], v[6:7], v[14:15]
	v_add_f64_e32 v[8:9], v[8:9], v[28:29]
	s_delay_alu instid0(VALU_DEP_2) | instskip(NEXT) | instid1(VALU_DEP_2)
	v_add_f64_e32 v[2:3], v[6:7], v[2:3]
	v_add_f64_e32 v[4:5], v[8:9], v[4:5]
	s_wait_loadcnt 0x0
	s_delay_alu instid0(VALU_DEP_2) | instskip(NEXT) | instid1(VALU_DEP_2)
	v_add_f64_e64 v[2:3], v[22:23], -v[2:3]
	v_add_f64_e64 v[4:5], v[24:25], -v[4:5]
	scratch_store_b128 off, v[2:5], off offset:544
	v_cmpx_lt_u32_e32 32, v0
	s_cbranch_execz .LBB102_183
; %bb.182:
	scratch_load_b128 v[5:8], off, s23
	v_dual_mov_b32 v2, v1 :: v_dual_mov_b32 v3, v1
	v_mov_b32_e32 v4, v1
	scratch_store_b128 off, v[1:4], off offset:528
	s_wait_loadcnt 0x0
	ds_store_b128 v38, v[5:8]
.LBB102_183:
	s_wait_alu 0xfffe
	s_or_b32 exec_lo, exec_lo, s0
	s_wait_storecnt_dscnt 0x0
	s_barrier_signal -1
	s_barrier_wait -1
	global_inv scope:SCOPE_SE
	s_clause 0x5
	scratch_load_b128 v[2:5], off, off offset:544
	scratch_load_b128 v[6:9], off, off offset:560
	;; [unrolled: 1-line block ×6, first 2 shown]
	ds_load_b128 v[26:29], v1 offset:1152
	ds_load_b128 v[34:37], v1 offset:1168
	scratch_load_b128 v[30:33], off, off offset:528
	s_mov_b32 s0, exec_lo
	s_wait_loadcnt_dscnt 0x601
	v_mul_f64_e32 v[39:40], v[28:29], v[4:5]
	v_mul_f64_e32 v[4:5], v[26:27], v[4:5]
	s_wait_loadcnt_dscnt 0x500
	v_mul_f64_e32 v[41:42], v[34:35], v[8:9]
	v_mul_f64_e32 v[8:9], v[36:37], v[8:9]
	s_delay_alu instid0(VALU_DEP_4) | instskip(NEXT) | instid1(VALU_DEP_4)
	v_fma_f64 v[39:40], v[26:27], v[2:3], -v[39:40]
	v_fma_f64 v[43:44], v[28:29], v[2:3], v[4:5]
	ds_load_b128 v[2:5], v1 offset:1184
	ds_load_b128 v[26:29], v1 offset:1200
	v_fma_f64 v[36:37], v[36:37], v[6:7], v[41:42]
	v_fma_f64 v[6:7], v[34:35], v[6:7], -v[8:9]
	s_wait_loadcnt_dscnt 0x401
	v_mul_f64_e32 v[124:125], v[2:3], v[12:13]
	v_mul_f64_e32 v[12:13], v[4:5], v[12:13]
	v_add_f64_e32 v[8:9], 0, v[39:40]
	v_add_f64_e32 v[34:35], 0, v[43:44]
	s_wait_loadcnt_dscnt 0x300
	v_mul_f64_e32 v[39:40], v[26:27], v[16:17]
	v_mul_f64_e32 v[16:17], v[28:29], v[16:17]
	v_fma_f64 v[41:42], v[4:5], v[10:11], v[124:125]
	v_fma_f64 v[10:11], v[2:3], v[10:11], -v[12:13]
	v_add_f64_e32 v[12:13], v[8:9], v[6:7]
	v_add_f64_e32 v[34:35], v[34:35], v[36:37]
	ds_load_b128 v[2:5], v1 offset:1216
	ds_load_b128 v[6:9], v1 offset:1232
	v_fma_f64 v[28:29], v[28:29], v[14:15], v[39:40]
	v_fma_f64 v[14:15], v[26:27], v[14:15], -v[16:17]
	s_wait_loadcnt_dscnt 0x201
	v_mul_f64_e32 v[36:37], v[2:3], v[20:21]
	v_mul_f64_e32 v[20:21], v[4:5], v[20:21]
	s_wait_loadcnt_dscnt 0x100
	v_mul_f64_e32 v[16:17], v[6:7], v[24:25]
	v_mul_f64_e32 v[24:25], v[8:9], v[24:25]
	v_add_f64_e32 v[10:11], v[12:13], v[10:11]
	v_add_f64_e32 v[12:13], v[34:35], v[41:42]
	v_fma_f64 v[4:5], v[4:5], v[18:19], v[36:37]
	v_fma_f64 v[1:2], v[2:3], v[18:19], -v[20:21]
	v_fma_f64 v[8:9], v[8:9], v[22:23], v[16:17]
	v_fma_f64 v[6:7], v[6:7], v[22:23], -v[24:25]
	v_add_f64_e32 v[10:11], v[10:11], v[14:15]
	v_add_f64_e32 v[12:13], v[12:13], v[28:29]
	s_delay_alu instid0(VALU_DEP_2) | instskip(NEXT) | instid1(VALU_DEP_2)
	v_add_f64_e32 v[1:2], v[10:11], v[1:2]
	v_add_f64_e32 v[3:4], v[12:13], v[4:5]
	s_delay_alu instid0(VALU_DEP_2) | instskip(NEXT) | instid1(VALU_DEP_2)
	v_add_f64_e32 v[1:2], v[1:2], v[6:7]
	v_add_f64_e32 v[3:4], v[3:4], v[8:9]
	s_wait_loadcnt 0x0
	s_delay_alu instid0(VALU_DEP_2) | instskip(NEXT) | instid1(VALU_DEP_2)
	v_add_f64_e64 v[1:2], v[30:31], -v[1:2]
	v_add_f64_e64 v[3:4], v[32:33], -v[3:4]
	scratch_store_b128 off, v[1:4], off offset:528
	v_cmpx_lt_u32_e32 31, v0
	s_cbranch_execz .LBB102_185
; %bb.184:
	scratch_load_b128 v[1:4], off, s42
	v_mov_b32_e32 v5, 0
	s_delay_alu instid0(VALU_DEP_1)
	v_dual_mov_b32 v6, v5 :: v_dual_mov_b32 v7, v5
	v_mov_b32_e32 v8, v5
	scratch_store_b128 off, v[5:8], off offset:512
	s_wait_loadcnt 0x0
	ds_store_b128 v38, v[1:4]
.LBB102_185:
	s_wait_alu 0xfffe
	s_or_b32 exec_lo, exec_lo, s0
	s_wait_storecnt_dscnt 0x0
	s_barrier_signal -1
	s_barrier_wait -1
	global_inv scope:SCOPE_SE
	s_clause 0x6
	scratch_load_b128 v[2:5], off, off offset:528
	scratch_load_b128 v[6:9], off, off offset:544
	;; [unrolled: 1-line block ×7, first 2 shown]
	v_mov_b32_e32 v1, 0
	scratch_load_b128 v[34:37], off, off offset:512
	s_mov_b32 s0, exec_lo
	ds_load_b128 v[30:33], v1 offset:1136
	ds_load_b128 v[39:42], v1 offset:1152
	s_wait_loadcnt_dscnt 0x701
	v_mul_f64_e32 v[43:44], v[32:33], v[4:5]
	v_mul_f64_e32 v[4:5], v[30:31], v[4:5]
	s_wait_loadcnt_dscnt 0x600
	v_mul_f64_e32 v[124:125], v[39:40], v[8:9]
	v_mul_f64_e32 v[8:9], v[41:42], v[8:9]
	s_delay_alu instid0(VALU_DEP_4) | instskip(NEXT) | instid1(VALU_DEP_4)
	v_fma_f64 v[43:44], v[30:31], v[2:3], -v[43:44]
	v_fma_f64 v[126:127], v[32:33], v[2:3], v[4:5]
	ds_load_b128 v[2:5], v1 offset:1168
	ds_load_b128 v[30:33], v1 offset:1184
	v_fma_f64 v[41:42], v[41:42], v[6:7], v[124:125]
	v_fma_f64 v[6:7], v[39:40], v[6:7], -v[8:9]
	s_wait_loadcnt_dscnt 0x501
	v_mul_f64_e32 v[128:129], v[2:3], v[12:13]
	v_mul_f64_e32 v[12:13], v[4:5], v[12:13]
	v_add_f64_e32 v[8:9], 0, v[43:44]
	v_add_f64_e32 v[39:40], 0, v[126:127]
	s_wait_loadcnt_dscnt 0x400
	v_mul_f64_e32 v[43:44], v[30:31], v[16:17]
	v_mul_f64_e32 v[16:17], v[32:33], v[16:17]
	v_fma_f64 v[124:125], v[4:5], v[10:11], v[128:129]
	v_fma_f64 v[10:11], v[2:3], v[10:11], -v[12:13]
	v_add_f64_e32 v[12:13], v[8:9], v[6:7]
	v_add_f64_e32 v[39:40], v[39:40], v[41:42]
	ds_load_b128 v[2:5], v1 offset:1200
	ds_load_b128 v[6:9], v1 offset:1216
	v_fma_f64 v[32:33], v[32:33], v[14:15], v[43:44]
	v_fma_f64 v[14:15], v[30:31], v[14:15], -v[16:17]
	s_wait_loadcnt_dscnt 0x301
	v_mul_f64_e32 v[41:42], v[2:3], v[20:21]
	v_mul_f64_e32 v[20:21], v[4:5], v[20:21]
	s_wait_loadcnt_dscnt 0x200
	v_mul_f64_e32 v[16:17], v[6:7], v[24:25]
	v_mul_f64_e32 v[24:25], v[8:9], v[24:25]
	v_add_f64_e32 v[10:11], v[12:13], v[10:11]
	v_add_f64_e32 v[12:13], v[39:40], v[124:125]
	v_fma_f64 v[30:31], v[4:5], v[18:19], v[41:42]
	v_fma_f64 v[18:19], v[2:3], v[18:19], -v[20:21]
	ds_load_b128 v[2:5], v1 offset:1232
	v_fma_f64 v[8:9], v[8:9], v[22:23], v[16:17]
	v_fma_f64 v[6:7], v[6:7], v[22:23], -v[24:25]
	v_add_f64_e32 v[10:11], v[10:11], v[14:15]
	v_add_f64_e32 v[12:13], v[12:13], v[32:33]
	s_wait_loadcnt_dscnt 0x100
	v_mul_f64_e32 v[14:15], v[2:3], v[28:29]
	v_mul_f64_e32 v[20:21], v[4:5], v[28:29]
	s_delay_alu instid0(VALU_DEP_4) | instskip(NEXT) | instid1(VALU_DEP_4)
	v_add_f64_e32 v[10:11], v[10:11], v[18:19]
	v_add_f64_e32 v[12:13], v[12:13], v[30:31]
	s_delay_alu instid0(VALU_DEP_4) | instskip(NEXT) | instid1(VALU_DEP_4)
	v_fma_f64 v[4:5], v[4:5], v[26:27], v[14:15]
	v_fma_f64 v[2:3], v[2:3], v[26:27], -v[20:21]
	s_delay_alu instid0(VALU_DEP_4) | instskip(NEXT) | instid1(VALU_DEP_4)
	v_add_f64_e32 v[6:7], v[10:11], v[6:7]
	v_add_f64_e32 v[8:9], v[12:13], v[8:9]
	s_delay_alu instid0(VALU_DEP_2) | instskip(NEXT) | instid1(VALU_DEP_2)
	v_add_f64_e32 v[2:3], v[6:7], v[2:3]
	v_add_f64_e32 v[4:5], v[8:9], v[4:5]
	s_wait_loadcnt 0x0
	s_delay_alu instid0(VALU_DEP_2) | instskip(NEXT) | instid1(VALU_DEP_2)
	v_add_f64_e64 v[2:3], v[34:35], -v[2:3]
	v_add_f64_e64 v[4:5], v[36:37], -v[4:5]
	scratch_store_b128 off, v[2:5], off offset:512
	v_cmpx_lt_u32_e32 30, v0
	s_cbranch_execz .LBB102_187
; %bb.186:
	scratch_load_b128 v[5:8], off, s22
	v_dual_mov_b32 v2, v1 :: v_dual_mov_b32 v3, v1
	v_mov_b32_e32 v4, v1
	scratch_store_b128 off, v[1:4], off offset:496
	s_wait_loadcnt 0x0
	ds_store_b128 v38, v[5:8]
.LBB102_187:
	s_wait_alu 0xfffe
	s_or_b32 exec_lo, exec_lo, s0
	s_wait_storecnt_dscnt 0x0
	s_barrier_signal -1
	s_barrier_wait -1
	global_inv scope:SCOPE_SE
	s_clause 0x7
	scratch_load_b128 v[2:5], off, off offset:512
	scratch_load_b128 v[6:9], off, off offset:528
	;; [unrolled: 1-line block ×8, first 2 shown]
	ds_load_b128 v[34:37], v1 offset:1120
	ds_load_b128 v[39:42], v1 offset:1136
	scratch_load_b128 v[124:127], off, off offset:496
	s_mov_b32 s0, exec_lo
	s_wait_loadcnt_dscnt 0x801
	v_mul_f64_e32 v[43:44], v[36:37], v[4:5]
	v_mul_f64_e32 v[4:5], v[34:35], v[4:5]
	s_wait_loadcnt_dscnt 0x700
	v_mul_f64_e32 v[128:129], v[39:40], v[8:9]
	v_mul_f64_e32 v[8:9], v[41:42], v[8:9]
	s_delay_alu instid0(VALU_DEP_4) | instskip(NEXT) | instid1(VALU_DEP_4)
	v_fma_f64 v[43:44], v[34:35], v[2:3], -v[43:44]
	v_fma_f64 v[130:131], v[36:37], v[2:3], v[4:5]
	ds_load_b128 v[2:5], v1 offset:1152
	ds_load_b128 v[34:37], v1 offset:1168
	v_fma_f64 v[41:42], v[41:42], v[6:7], v[128:129]
	v_fma_f64 v[6:7], v[39:40], v[6:7], -v[8:9]
	s_wait_loadcnt_dscnt 0x601
	v_mul_f64_e32 v[132:133], v[2:3], v[12:13]
	v_mul_f64_e32 v[12:13], v[4:5], v[12:13]
	v_add_f64_e32 v[8:9], 0, v[43:44]
	v_add_f64_e32 v[39:40], 0, v[130:131]
	s_wait_loadcnt_dscnt 0x500
	v_mul_f64_e32 v[43:44], v[34:35], v[16:17]
	v_mul_f64_e32 v[16:17], v[36:37], v[16:17]
	v_fma_f64 v[128:129], v[4:5], v[10:11], v[132:133]
	v_fma_f64 v[10:11], v[2:3], v[10:11], -v[12:13]
	v_add_f64_e32 v[12:13], v[8:9], v[6:7]
	v_add_f64_e32 v[39:40], v[39:40], v[41:42]
	ds_load_b128 v[2:5], v1 offset:1184
	ds_load_b128 v[6:9], v1 offset:1200
	v_fma_f64 v[36:37], v[36:37], v[14:15], v[43:44]
	v_fma_f64 v[14:15], v[34:35], v[14:15], -v[16:17]
	s_wait_loadcnt_dscnt 0x401
	v_mul_f64_e32 v[41:42], v[2:3], v[20:21]
	v_mul_f64_e32 v[20:21], v[4:5], v[20:21]
	s_wait_loadcnt_dscnt 0x300
	v_mul_f64_e32 v[16:17], v[6:7], v[24:25]
	v_mul_f64_e32 v[24:25], v[8:9], v[24:25]
	v_add_f64_e32 v[10:11], v[12:13], v[10:11]
	v_add_f64_e32 v[12:13], v[39:40], v[128:129]
	v_fma_f64 v[34:35], v[4:5], v[18:19], v[41:42]
	v_fma_f64 v[18:19], v[2:3], v[18:19], -v[20:21]
	v_fma_f64 v[8:9], v[8:9], v[22:23], v[16:17]
	v_fma_f64 v[6:7], v[6:7], v[22:23], -v[24:25]
	v_add_f64_e32 v[14:15], v[10:11], v[14:15]
	v_add_f64_e32 v[20:21], v[12:13], v[36:37]
	ds_load_b128 v[2:5], v1 offset:1216
	ds_load_b128 v[10:13], v1 offset:1232
	s_wait_loadcnt_dscnt 0x201
	v_mul_f64_e32 v[36:37], v[2:3], v[28:29]
	v_mul_f64_e32 v[28:29], v[4:5], v[28:29]
	v_add_f64_e32 v[14:15], v[14:15], v[18:19]
	v_add_f64_e32 v[16:17], v[20:21], v[34:35]
	s_wait_loadcnt_dscnt 0x100
	v_mul_f64_e32 v[18:19], v[10:11], v[32:33]
	v_mul_f64_e32 v[20:21], v[12:13], v[32:33]
	v_fma_f64 v[4:5], v[4:5], v[26:27], v[36:37]
	v_fma_f64 v[1:2], v[2:3], v[26:27], -v[28:29]
	v_add_f64_e32 v[6:7], v[14:15], v[6:7]
	v_add_f64_e32 v[8:9], v[16:17], v[8:9]
	v_fma_f64 v[12:13], v[12:13], v[30:31], v[18:19]
	v_fma_f64 v[10:11], v[10:11], v[30:31], -v[20:21]
	s_delay_alu instid0(VALU_DEP_4) | instskip(NEXT) | instid1(VALU_DEP_4)
	v_add_f64_e32 v[1:2], v[6:7], v[1:2]
	v_add_f64_e32 v[3:4], v[8:9], v[4:5]
	s_delay_alu instid0(VALU_DEP_2) | instskip(NEXT) | instid1(VALU_DEP_2)
	v_add_f64_e32 v[1:2], v[1:2], v[10:11]
	v_add_f64_e32 v[3:4], v[3:4], v[12:13]
	s_wait_loadcnt 0x0
	s_delay_alu instid0(VALU_DEP_2) | instskip(NEXT) | instid1(VALU_DEP_2)
	v_add_f64_e64 v[1:2], v[124:125], -v[1:2]
	v_add_f64_e64 v[3:4], v[126:127], -v[3:4]
	scratch_store_b128 off, v[1:4], off offset:496
	v_cmpx_lt_u32_e32 29, v0
	s_cbranch_execz .LBB102_189
; %bb.188:
	scratch_load_b128 v[1:4], off, s41
	v_mov_b32_e32 v5, 0
	s_delay_alu instid0(VALU_DEP_1)
	v_dual_mov_b32 v6, v5 :: v_dual_mov_b32 v7, v5
	v_mov_b32_e32 v8, v5
	scratch_store_b128 off, v[5:8], off offset:480
	s_wait_loadcnt 0x0
	ds_store_b128 v38, v[1:4]
.LBB102_189:
	s_wait_alu 0xfffe
	s_or_b32 exec_lo, exec_lo, s0
	s_wait_storecnt_dscnt 0x0
	s_barrier_signal -1
	s_barrier_wait -1
	global_inv scope:SCOPE_SE
	s_clause 0x7
	scratch_load_b128 v[2:5], off, off offset:496
	scratch_load_b128 v[6:9], off, off offset:512
	;; [unrolled: 1-line block ×8, first 2 shown]
	v_mov_b32_e32 v1, 0
	s_mov_b32 s0, exec_lo
	ds_load_b128 v[34:37], v1 offset:1104
	s_clause 0x1
	scratch_load_b128 v[39:42], off, off offset:624
	scratch_load_b128 v[124:127], off, off offset:480
	ds_load_b128 v[128:131], v1 offset:1120
	s_wait_loadcnt_dscnt 0x901
	v_mul_f64_e32 v[43:44], v[36:37], v[4:5]
	v_mul_f64_e32 v[4:5], v[34:35], v[4:5]
	s_wait_loadcnt_dscnt 0x800
	v_mul_f64_e32 v[132:133], v[128:129], v[8:9]
	v_mul_f64_e32 v[8:9], v[130:131], v[8:9]
	s_delay_alu instid0(VALU_DEP_4) | instskip(NEXT) | instid1(VALU_DEP_4)
	v_fma_f64 v[43:44], v[34:35], v[2:3], -v[43:44]
	v_fma_f64 v[134:135], v[36:37], v[2:3], v[4:5]
	ds_load_b128 v[2:5], v1 offset:1136
	ds_load_b128 v[34:37], v1 offset:1152
	v_fma_f64 v[130:131], v[130:131], v[6:7], v[132:133]
	v_fma_f64 v[6:7], v[128:129], v[6:7], -v[8:9]
	s_wait_loadcnt_dscnt 0x701
	v_mul_f64_e32 v[136:137], v[2:3], v[12:13]
	v_mul_f64_e32 v[12:13], v[4:5], v[12:13]
	s_wait_loadcnt_dscnt 0x600
	v_mul_f64_e32 v[128:129], v[34:35], v[16:17]
	v_mul_f64_e32 v[16:17], v[36:37], v[16:17]
	v_add_f64_e32 v[8:9], 0, v[43:44]
	v_add_f64_e32 v[43:44], 0, v[134:135]
	v_fma_f64 v[132:133], v[4:5], v[10:11], v[136:137]
	v_fma_f64 v[10:11], v[2:3], v[10:11], -v[12:13]
	v_fma_f64 v[36:37], v[36:37], v[14:15], v[128:129]
	v_fma_f64 v[14:15], v[34:35], v[14:15], -v[16:17]
	v_add_f64_e32 v[12:13], v[8:9], v[6:7]
	v_add_f64_e32 v[43:44], v[43:44], v[130:131]
	ds_load_b128 v[2:5], v1 offset:1168
	ds_load_b128 v[6:9], v1 offset:1184
	s_wait_loadcnt_dscnt 0x501
	v_mul_f64_e32 v[130:131], v[2:3], v[20:21]
	v_mul_f64_e32 v[20:21], v[4:5], v[20:21]
	s_wait_loadcnt_dscnt 0x400
	v_mul_f64_e32 v[16:17], v[6:7], v[24:25]
	v_mul_f64_e32 v[24:25], v[8:9], v[24:25]
	v_add_f64_e32 v[10:11], v[12:13], v[10:11]
	v_add_f64_e32 v[12:13], v[43:44], v[132:133]
	v_fma_f64 v[34:35], v[4:5], v[18:19], v[130:131]
	v_fma_f64 v[18:19], v[2:3], v[18:19], -v[20:21]
	v_fma_f64 v[8:9], v[8:9], v[22:23], v[16:17]
	v_fma_f64 v[6:7], v[6:7], v[22:23], -v[24:25]
	v_add_f64_e32 v[14:15], v[10:11], v[14:15]
	v_add_f64_e32 v[20:21], v[12:13], v[36:37]
	ds_load_b128 v[2:5], v1 offset:1200
	ds_load_b128 v[10:13], v1 offset:1216
	s_wait_loadcnt_dscnt 0x301
	v_mul_f64_e32 v[36:37], v[2:3], v[28:29]
	v_mul_f64_e32 v[28:29], v[4:5], v[28:29]
	v_add_f64_e32 v[14:15], v[14:15], v[18:19]
	v_add_f64_e32 v[16:17], v[20:21], v[34:35]
	s_wait_loadcnt_dscnt 0x200
	v_mul_f64_e32 v[18:19], v[10:11], v[32:33]
	v_mul_f64_e32 v[20:21], v[12:13], v[32:33]
	v_fma_f64 v[22:23], v[4:5], v[26:27], v[36:37]
	v_fma_f64 v[24:25], v[2:3], v[26:27], -v[28:29]
	ds_load_b128 v[2:5], v1 offset:1232
	v_add_f64_e32 v[6:7], v[14:15], v[6:7]
	v_add_f64_e32 v[8:9], v[16:17], v[8:9]
	v_fma_f64 v[12:13], v[12:13], v[30:31], v[18:19]
	v_fma_f64 v[10:11], v[10:11], v[30:31], -v[20:21]
	s_wait_loadcnt_dscnt 0x100
	v_mul_f64_e32 v[14:15], v[2:3], v[41:42]
	v_mul_f64_e32 v[16:17], v[4:5], v[41:42]
	v_add_f64_e32 v[6:7], v[6:7], v[24:25]
	v_add_f64_e32 v[8:9], v[8:9], v[22:23]
	s_delay_alu instid0(VALU_DEP_4) | instskip(NEXT) | instid1(VALU_DEP_4)
	v_fma_f64 v[4:5], v[4:5], v[39:40], v[14:15]
	v_fma_f64 v[2:3], v[2:3], v[39:40], -v[16:17]
	s_delay_alu instid0(VALU_DEP_4) | instskip(NEXT) | instid1(VALU_DEP_4)
	v_add_f64_e32 v[6:7], v[6:7], v[10:11]
	v_add_f64_e32 v[8:9], v[8:9], v[12:13]
	s_delay_alu instid0(VALU_DEP_2) | instskip(NEXT) | instid1(VALU_DEP_2)
	v_add_f64_e32 v[2:3], v[6:7], v[2:3]
	v_add_f64_e32 v[4:5], v[8:9], v[4:5]
	s_wait_loadcnt 0x0
	s_delay_alu instid0(VALU_DEP_2) | instskip(NEXT) | instid1(VALU_DEP_2)
	v_add_f64_e64 v[2:3], v[124:125], -v[2:3]
	v_add_f64_e64 v[4:5], v[126:127], -v[4:5]
	scratch_store_b128 off, v[2:5], off offset:480
	v_cmpx_lt_u32_e32 28, v0
	s_cbranch_execz .LBB102_191
; %bb.190:
	scratch_load_b128 v[5:8], off, s21
	v_dual_mov_b32 v2, v1 :: v_dual_mov_b32 v3, v1
	v_mov_b32_e32 v4, v1
	scratch_store_b128 off, v[1:4], off offset:464
	s_wait_loadcnt 0x0
	ds_store_b128 v38, v[5:8]
.LBB102_191:
	s_wait_alu 0xfffe
	s_or_b32 exec_lo, exec_lo, s0
	s_wait_storecnt_dscnt 0x0
	s_barrier_signal -1
	s_barrier_wait -1
	global_inv scope:SCOPE_SE
	s_clause 0x8
	scratch_load_b128 v[2:5], off, off offset:480
	scratch_load_b128 v[6:9], off, off offset:496
	;; [unrolled: 1-line block ×9, first 2 shown]
	ds_load_b128 v[39:42], v1 offset:1088
	ds_load_b128 v[124:127], v1 offset:1104
	s_clause 0x1
	scratch_load_b128 v[128:131], off, off offset:464
	scratch_load_b128 v[132:135], off, off offset:624
	s_mov_b32 s0, exec_lo
	s_wait_loadcnt_dscnt 0xa01
	v_mul_f64_e32 v[43:44], v[41:42], v[4:5]
	v_mul_f64_e32 v[4:5], v[39:40], v[4:5]
	s_wait_loadcnt_dscnt 0x900
	v_mul_f64_e32 v[136:137], v[124:125], v[8:9]
	v_mul_f64_e32 v[8:9], v[126:127], v[8:9]
	s_delay_alu instid0(VALU_DEP_4) | instskip(NEXT) | instid1(VALU_DEP_4)
	v_fma_f64 v[43:44], v[39:40], v[2:3], -v[43:44]
	v_fma_f64 v[138:139], v[41:42], v[2:3], v[4:5]
	ds_load_b128 v[2:5], v1 offset:1120
	ds_load_b128 v[39:42], v1 offset:1136
	v_fma_f64 v[126:127], v[126:127], v[6:7], v[136:137]
	v_fma_f64 v[6:7], v[124:125], v[6:7], -v[8:9]
	s_wait_loadcnt_dscnt 0x801
	v_mul_f64_e32 v[140:141], v[2:3], v[12:13]
	v_mul_f64_e32 v[12:13], v[4:5], v[12:13]
	s_wait_loadcnt_dscnt 0x700
	v_mul_f64_e32 v[124:125], v[39:40], v[16:17]
	v_mul_f64_e32 v[16:17], v[41:42], v[16:17]
	v_add_f64_e32 v[8:9], 0, v[43:44]
	v_add_f64_e32 v[43:44], 0, v[138:139]
	v_fma_f64 v[136:137], v[4:5], v[10:11], v[140:141]
	v_fma_f64 v[10:11], v[2:3], v[10:11], -v[12:13]
	v_fma_f64 v[41:42], v[41:42], v[14:15], v[124:125]
	v_fma_f64 v[14:15], v[39:40], v[14:15], -v[16:17]
	v_add_f64_e32 v[12:13], v[8:9], v[6:7]
	v_add_f64_e32 v[43:44], v[43:44], v[126:127]
	ds_load_b128 v[2:5], v1 offset:1152
	ds_load_b128 v[6:9], v1 offset:1168
	s_wait_loadcnt_dscnt 0x601
	v_mul_f64_e32 v[126:127], v[2:3], v[20:21]
	v_mul_f64_e32 v[20:21], v[4:5], v[20:21]
	s_wait_loadcnt_dscnt 0x500
	v_mul_f64_e32 v[16:17], v[6:7], v[24:25]
	v_mul_f64_e32 v[24:25], v[8:9], v[24:25]
	v_add_f64_e32 v[10:11], v[12:13], v[10:11]
	v_add_f64_e32 v[12:13], v[43:44], v[136:137]
	v_fma_f64 v[39:40], v[4:5], v[18:19], v[126:127]
	v_fma_f64 v[18:19], v[2:3], v[18:19], -v[20:21]
	v_fma_f64 v[8:9], v[8:9], v[22:23], v[16:17]
	v_fma_f64 v[6:7], v[6:7], v[22:23], -v[24:25]
	v_add_f64_e32 v[14:15], v[10:11], v[14:15]
	v_add_f64_e32 v[20:21], v[12:13], v[41:42]
	ds_load_b128 v[2:5], v1 offset:1184
	ds_load_b128 v[10:13], v1 offset:1200
	s_wait_loadcnt_dscnt 0x401
	v_mul_f64_e32 v[41:42], v[2:3], v[28:29]
	v_mul_f64_e32 v[28:29], v[4:5], v[28:29]
	v_add_f64_e32 v[14:15], v[14:15], v[18:19]
	v_add_f64_e32 v[16:17], v[20:21], v[39:40]
	s_wait_loadcnt_dscnt 0x300
	v_mul_f64_e32 v[18:19], v[10:11], v[32:33]
	v_mul_f64_e32 v[20:21], v[12:13], v[32:33]
	v_fma_f64 v[22:23], v[4:5], v[26:27], v[41:42]
	v_fma_f64 v[24:25], v[2:3], v[26:27], -v[28:29]
	v_add_f64_e32 v[14:15], v[14:15], v[6:7]
	v_add_f64_e32 v[16:17], v[16:17], v[8:9]
	ds_load_b128 v[2:5], v1 offset:1216
	ds_load_b128 v[6:9], v1 offset:1232
	v_fma_f64 v[12:13], v[12:13], v[30:31], v[18:19]
	v_fma_f64 v[10:11], v[10:11], v[30:31], -v[20:21]
	s_wait_loadcnt_dscnt 0x201
	v_mul_f64_e32 v[26:27], v[2:3], v[36:37]
	v_mul_f64_e32 v[28:29], v[4:5], v[36:37]
	s_wait_loadcnt_dscnt 0x0
	v_mul_f64_e32 v[18:19], v[6:7], v[134:135]
	v_mul_f64_e32 v[20:21], v[8:9], v[134:135]
	v_add_f64_e32 v[14:15], v[14:15], v[24:25]
	v_add_f64_e32 v[16:17], v[16:17], v[22:23]
	v_fma_f64 v[4:5], v[4:5], v[34:35], v[26:27]
	v_fma_f64 v[1:2], v[2:3], v[34:35], -v[28:29]
	v_fma_f64 v[8:9], v[8:9], v[132:133], v[18:19]
	v_fma_f64 v[6:7], v[6:7], v[132:133], -v[20:21]
	v_add_f64_e32 v[10:11], v[14:15], v[10:11]
	v_add_f64_e32 v[12:13], v[16:17], v[12:13]
	s_delay_alu instid0(VALU_DEP_2) | instskip(NEXT) | instid1(VALU_DEP_2)
	v_add_f64_e32 v[1:2], v[10:11], v[1:2]
	v_add_f64_e32 v[3:4], v[12:13], v[4:5]
	s_delay_alu instid0(VALU_DEP_2) | instskip(NEXT) | instid1(VALU_DEP_2)
	;; [unrolled: 3-line block ×3, first 2 shown]
	v_add_f64_e64 v[1:2], v[128:129], -v[1:2]
	v_add_f64_e64 v[3:4], v[130:131], -v[3:4]
	scratch_store_b128 off, v[1:4], off offset:464
	v_cmpx_lt_u32_e32 27, v0
	s_cbranch_execz .LBB102_193
; %bb.192:
	scratch_load_b128 v[1:4], off, s40
	v_mov_b32_e32 v5, 0
	s_delay_alu instid0(VALU_DEP_1)
	v_dual_mov_b32 v6, v5 :: v_dual_mov_b32 v7, v5
	v_mov_b32_e32 v8, v5
	scratch_store_b128 off, v[5:8], off offset:448
	s_wait_loadcnt 0x0
	ds_store_b128 v38, v[1:4]
.LBB102_193:
	s_wait_alu 0xfffe
	s_or_b32 exec_lo, exec_lo, s0
	s_wait_storecnt_dscnt 0x0
	s_barrier_signal -1
	s_barrier_wait -1
	global_inv scope:SCOPE_SE
	s_clause 0x7
	scratch_load_b128 v[2:5], off, off offset:464
	scratch_load_b128 v[6:9], off, off offset:480
	;; [unrolled: 1-line block ×8, first 2 shown]
	v_mov_b32_e32 v1, 0
	s_mov_b32 s0, exec_lo
	ds_load_b128 v[34:37], v1 offset:1072
	s_clause 0x1
	scratch_load_b128 v[39:42], off, off offset:592
	scratch_load_b128 v[124:127], off, off offset:448
	ds_load_b128 v[128:131], v1 offset:1088
	scratch_load_b128 v[132:135], off, off offset:608
	ds_load_b128 v[136:139], v1 offset:1120
	s_wait_loadcnt_dscnt 0xa02
	v_mul_f64_e32 v[43:44], v[36:37], v[4:5]
	v_mul_f64_e32 v[4:5], v[34:35], v[4:5]
	s_delay_alu instid0(VALU_DEP_2) | instskip(NEXT) | instid1(VALU_DEP_2)
	v_fma_f64 v[43:44], v[34:35], v[2:3], -v[43:44]
	v_fma_f64 v[142:143], v[36:37], v[2:3], v[4:5]
	ds_load_b128 v[2:5], v1 offset:1104
	s_wait_loadcnt_dscnt 0x902
	v_mul_f64_e32 v[140:141], v[128:129], v[8:9]
	v_mul_f64_e32 v[8:9], v[130:131], v[8:9]
	scratch_load_b128 v[34:37], off, off offset:624
	s_wait_loadcnt_dscnt 0x900
	v_mul_f64_e32 v[144:145], v[2:3], v[12:13]
	v_mul_f64_e32 v[12:13], v[4:5], v[12:13]
	v_fma_f64 v[130:131], v[130:131], v[6:7], v[140:141]
	v_fma_f64 v[6:7], v[128:129], v[6:7], -v[8:9]
	v_add_f64_e32 v[8:9], 0, v[43:44]
	v_add_f64_e32 v[43:44], 0, v[142:143]
	s_wait_loadcnt 0x8
	v_mul_f64_e32 v[128:129], v[136:137], v[16:17]
	v_mul_f64_e32 v[16:17], v[138:139], v[16:17]
	v_fma_f64 v[140:141], v[4:5], v[10:11], v[144:145]
	v_fma_f64 v[10:11], v[2:3], v[10:11], -v[12:13]
	v_add_f64_e32 v[12:13], v[8:9], v[6:7]
	v_add_f64_e32 v[43:44], v[43:44], v[130:131]
	ds_load_b128 v[2:5], v1 offset:1136
	ds_load_b128 v[6:9], v1 offset:1152
	v_fma_f64 v[128:129], v[138:139], v[14:15], v[128:129]
	v_fma_f64 v[14:15], v[136:137], v[14:15], -v[16:17]
	s_wait_loadcnt_dscnt 0x701
	v_mul_f64_e32 v[130:131], v[2:3], v[20:21]
	v_mul_f64_e32 v[20:21], v[4:5], v[20:21]
	s_wait_loadcnt_dscnt 0x600
	v_mul_f64_e32 v[16:17], v[6:7], v[24:25]
	v_mul_f64_e32 v[24:25], v[8:9], v[24:25]
	v_add_f64_e32 v[10:11], v[12:13], v[10:11]
	v_add_f64_e32 v[12:13], v[43:44], v[140:141]
	v_fma_f64 v[43:44], v[4:5], v[18:19], v[130:131]
	v_fma_f64 v[18:19], v[2:3], v[18:19], -v[20:21]
	v_fma_f64 v[8:9], v[8:9], v[22:23], v[16:17]
	v_fma_f64 v[6:7], v[6:7], v[22:23], -v[24:25]
	v_add_f64_e32 v[14:15], v[10:11], v[14:15]
	v_add_f64_e32 v[20:21], v[12:13], v[128:129]
	ds_load_b128 v[2:5], v1 offset:1168
	ds_load_b128 v[10:13], v1 offset:1184
	s_wait_loadcnt_dscnt 0x501
	v_mul_f64_e32 v[128:129], v[2:3], v[28:29]
	v_mul_f64_e32 v[28:29], v[4:5], v[28:29]
	v_add_f64_e32 v[14:15], v[14:15], v[18:19]
	v_add_f64_e32 v[16:17], v[20:21], v[43:44]
	s_wait_loadcnt_dscnt 0x400
	v_mul_f64_e32 v[18:19], v[10:11], v[32:33]
	v_mul_f64_e32 v[20:21], v[12:13], v[32:33]
	v_fma_f64 v[22:23], v[4:5], v[26:27], v[128:129]
	v_fma_f64 v[24:25], v[2:3], v[26:27], -v[28:29]
	v_add_f64_e32 v[14:15], v[14:15], v[6:7]
	v_add_f64_e32 v[16:17], v[16:17], v[8:9]
	ds_load_b128 v[2:5], v1 offset:1200
	ds_load_b128 v[6:9], v1 offset:1216
	v_fma_f64 v[12:13], v[12:13], v[30:31], v[18:19]
	v_fma_f64 v[10:11], v[10:11], v[30:31], -v[20:21]
	s_wait_loadcnt_dscnt 0x301
	v_mul_f64_e32 v[26:27], v[2:3], v[41:42]
	v_mul_f64_e32 v[28:29], v[4:5], v[41:42]
	s_wait_loadcnt_dscnt 0x100
	v_mul_f64_e32 v[18:19], v[6:7], v[134:135]
	v_mul_f64_e32 v[20:21], v[8:9], v[134:135]
	v_add_f64_e32 v[14:15], v[14:15], v[24:25]
	v_add_f64_e32 v[16:17], v[16:17], v[22:23]
	v_fma_f64 v[22:23], v[4:5], v[39:40], v[26:27]
	v_fma_f64 v[24:25], v[2:3], v[39:40], -v[28:29]
	ds_load_b128 v[2:5], v1 offset:1232
	v_fma_f64 v[8:9], v[8:9], v[132:133], v[18:19]
	v_fma_f64 v[6:7], v[6:7], v[132:133], -v[20:21]
	v_add_f64_e32 v[10:11], v[14:15], v[10:11]
	v_add_f64_e32 v[12:13], v[16:17], v[12:13]
	s_wait_loadcnt_dscnt 0x0
	v_mul_f64_e32 v[14:15], v[2:3], v[36:37]
	v_mul_f64_e32 v[16:17], v[4:5], v[36:37]
	s_delay_alu instid0(VALU_DEP_4) | instskip(NEXT) | instid1(VALU_DEP_4)
	v_add_f64_e32 v[10:11], v[10:11], v[24:25]
	v_add_f64_e32 v[12:13], v[12:13], v[22:23]
	s_delay_alu instid0(VALU_DEP_4) | instskip(NEXT) | instid1(VALU_DEP_4)
	v_fma_f64 v[4:5], v[4:5], v[34:35], v[14:15]
	v_fma_f64 v[2:3], v[2:3], v[34:35], -v[16:17]
	s_delay_alu instid0(VALU_DEP_4) | instskip(NEXT) | instid1(VALU_DEP_4)
	v_add_f64_e32 v[6:7], v[10:11], v[6:7]
	v_add_f64_e32 v[8:9], v[12:13], v[8:9]
	s_delay_alu instid0(VALU_DEP_2) | instskip(NEXT) | instid1(VALU_DEP_2)
	v_add_f64_e32 v[2:3], v[6:7], v[2:3]
	v_add_f64_e32 v[4:5], v[8:9], v[4:5]
	s_delay_alu instid0(VALU_DEP_2) | instskip(NEXT) | instid1(VALU_DEP_2)
	v_add_f64_e64 v[2:3], v[124:125], -v[2:3]
	v_add_f64_e64 v[4:5], v[126:127], -v[4:5]
	scratch_store_b128 off, v[2:5], off offset:448
	v_cmpx_lt_u32_e32 26, v0
	s_cbranch_execz .LBB102_195
; %bb.194:
	scratch_load_b128 v[5:8], off, s20
	v_dual_mov_b32 v2, v1 :: v_dual_mov_b32 v3, v1
	v_mov_b32_e32 v4, v1
	scratch_store_b128 off, v[1:4], off offset:432
	s_wait_loadcnt 0x0
	ds_store_b128 v38, v[5:8]
.LBB102_195:
	s_wait_alu 0xfffe
	s_or_b32 exec_lo, exec_lo, s0
	s_wait_storecnt_dscnt 0x0
	s_barrier_signal -1
	s_barrier_wait -1
	global_inv scope:SCOPE_SE
	s_clause 0x8
	scratch_load_b128 v[2:5], off, off offset:448
	scratch_load_b128 v[6:9], off, off offset:464
	;; [unrolled: 1-line block ×9, first 2 shown]
	ds_load_b128 v[39:42], v1 offset:1056
	ds_load_b128 v[124:127], v1 offset:1072
	s_clause 0x1
	scratch_load_b128 v[128:131], off, off offset:432
	scratch_load_b128 v[132:135], off, off offset:592
	s_mov_b32 s0, exec_lo
	ds_load_b128 v[136:139], v1 offset:1104
	s_wait_loadcnt_dscnt 0xa02
	v_mul_f64_e32 v[43:44], v[41:42], v[4:5]
	v_mul_f64_e32 v[4:5], v[39:40], v[4:5]
	s_wait_loadcnt_dscnt 0x901
	v_mul_f64_e32 v[140:141], v[124:125], v[8:9]
	v_mul_f64_e32 v[8:9], v[126:127], v[8:9]
	s_delay_alu instid0(VALU_DEP_4) | instskip(NEXT) | instid1(VALU_DEP_4)
	v_fma_f64 v[43:44], v[39:40], v[2:3], -v[43:44]
	v_fma_f64 v[142:143], v[41:42], v[2:3], v[4:5]
	ds_load_b128 v[2:5], v1 offset:1088
	scratch_load_b128 v[39:42], off, off offset:608
	v_fma_f64 v[126:127], v[126:127], v[6:7], v[140:141]
	v_fma_f64 v[124:125], v[124:125], v[6:7], -v[8:9]
	scratch_load_b128 v[6:9], off, off offset:624
	s_wait_loadcnt_dscnt 0xa00
	v_mul_f64_e32 v[144:145], v[2:3], v[12:13]
	v_mul_f64_e32 v[12:13], v[4:5], v[12:13]
	v_add_f64_e32 v[43:44], 0, v[43:44]
	v_add_f64_e32 v[140:141], 0, v[142:143]
	s_wait_loadcnt 0x9
	v_mul_f64_e32 v[142:143], v[136:137], v[16:17]
	v_mul_f64_e32 v[16:17], v[138:139], v[16:17]
	v_fma_f64 v[144:145], v[4:5], v[10:11], v[144:145]
	v_fma_f64 v[146:147], v[2:3], v[10:11], -v[12:13]
	ds_load_b128 v[2:5], v1 offset:1120
	ds_load_b128 v[10:13], v1 offset:1136
	v_add_f64_e32 v[43:44], v[43:44], v[124:125]
	v_add_f64_e32 v[124:125], v[140:141], v[126:127]
	v_fma_f64 v[138:139], v[138:139], v[14:15], v[142:143]
	v_fma_f64 v[14:15], v[136:137], v[14:15], -v[16:17]
	s_wait_loadcnt_dscnt 0x801
	v_mul_f64_e32 v[126:127], v[2:3], v[20:21]
	v_mul_f64_e32 v[20:21], v[4:5], v[20:21]
	v_add_f64_e32 v[16:17], v[43:44], v[146:147]
	v_add_f64_e32 v[43:44], v[124:125], v[144:145]
	s_wait_loadcnt_dscnt 0x700
	v_mul_f64_e32 v[124:125], v[10:11], v[24:25]
	v_mul_f64_e32 v[24:25], v[12:13], v[24:25]
	v_fma_f64 v[126:127], v[4:5], v[18:19], v[126:127]
	v_fma_f64 v[18:19], v[2:3], v[18:19], -v[20:21]
	v_add_f64_e32 v[20:21], v[16:17], v[14:15]
	v_add_f64_e32 v[43:44], v[43:44], v[138:139]
	ds_load_b128 v[2:5], v1 offset:1152
	ds_load_b128 v[14:17], v1 offset:1168
	v_fma_f64 v[12:13], v[12:13], v[22:23], v[124:125]
	v_fma_f64 v[10:11], v[10:11], v[22:23], -v[24:25]
	s_wait_loadcnt_dscnt 0x601
	v_mul_f64_e32 v[136:137], v[2:3], v[28:29]
	v_mul_f64_e32 v[28:29], v[4:5], v[28:29]
	s_wait_loadcnt_dscnt 0x500
	v_mul_f64_e32 v[22:23], v[14:15], v[32:33]
	v_mul_f64_e32 v[24:25], v[16:17], v[32:33]
	v_add_f64_e32 v[18:19], v[20:21], v[18:19]
	v_add_f64_e32 v[20:21], v[43:44], v[126:127]
	v_fma_f64 v[32:33], v[4:5], v[26:27], v[136:137]
	v_fma_f64 v[26:27], v[2:3], v[26:27], -v[28:29]
	v_fma_f64 v[16:17], v[16:17], v[30:31], v[22:23]
	v_fma_f64 v[14:15], v[14:15], v[30:31], -v[24:25]
	v_add_f64_e32 v[18:19], v[18:19], v[10:11]
	v_add_f64_e32 v[20:21], v[20:21], v[12:13]
	ds_load_b128 v[2:5], v1 offset:1184
	ds_load_b128 v[10:13], v1 offset:1200
	s_wait_loadcnt_dscnt 0x401
	v_mul_f64_e32 v[28:29], v[2:3], v[36:37]
	v_mul_f64_e32 v[36:37], v[4:5], v[36:37]
	s_wait_loadcnt_dscnt 0x200
	v_mul_f64_e32 v[22:23], v[10:11], v[134:135]
	v_mul_f64_e32 v[24:25], v[12:13], v[134:135]
	v_add_f64_e32 v[18:19], v[18:19], v[26:27]
	v_add_f64_e32 v[20:21], v[20:21], v[32:33]
	v_fma_f64 v[26:27], v[4:5], v[34:35], v[28:29]
	v_fma_f64 v[28:29], v[2:3], v[34:35], -v[36:37]
	v_fma_f64 v[12:13], v[12:13], v[132:133], v[22:23]
	v_fma_f64 v[10:11], v[10:11], v[132:133], -v[24:25]
	v_add_f64_e32 v[18:19], v[18:19], v[14:15]
	v_add_f64_e32 v[20:21], v[20:21], v[16:17]
	ds_load_b128 v[2:5], v1 offset:1216
	ds_load_b128 v[14:17], v1 offset:1232
	s_wait_loadcnt_dscnt 0x101
	v_mul_f64_e32 v[30:31], v[2:3], v[41:42]
	v_mul_f64_e32 v[32:33], v[4:5], v[41:42]
	s_wait_loadcnt_dscnt 0x0
	v_mul_f64_e32 v[22:23], v[14:15], v[8:9]
	v_mul_f64_e32 v[8:9], v[16:17], v[8:9]
	v_add_f64_e32 v[18:19], v[18:19], v[28:29]
	v_add_f64_e32 v[20:21], v[20:21], v[26:27]
	v_fma_f64 v[4:5], v[4:5], v[39:40], v[30:31]
	v_fma_f64 v[1:2], v[2:3], v[39:40], -v[32:33]
	v_fma_f64 v[16:17], v[16:17], v[6:7], v[22:23]
	v_fma_f64 v[6:7], v[14:15], v[6:7], -v[8:9]
	v_add_f64_e32 v[10:11], v[18:19], v[10:11]
	v_add_f64_e32 v[12:13], v[20:21], v[12:13]
	s_delay_alu instid0(VALU_DEP_2) | instskip(NEXT) | instid1(VALU_DEP_2)
	v_add_f64_e32 v[1:2], v[10:11], v[1:2]
	v_add_f64_e32 v[3:4], v[12:13], v[4:5]
	s_delay_alu instid0(VALU_DEP_2) | instskip(NEXT) | instid1(VALU_DEP_2)
	;; [unrolled: 3-line block ×3, first 2 shown]
	v_add_f64_e64 v[1:2], v[128:129], -v[1:2]
	v_add_f64_e64 v[3:4], v[130:131], -v[3:4]
	scratch_store_b128 off, v[1:4], off offset:432
	v_cmpx_lt_u32_e32 25, v0
	s_cbranch_execz .LBB102_197
; %bb.196:
	scratch_load_b128 v[1:4], off, s39
	v_mov_b32_e32 v5, 0
	s_delay_alu instid0(VALU_DEP_1)
	v_dual_mov_b32 v6, v5 :: v_dual_mov_b32 v7, v5
	v_mov_b32_e32 v8, v5
	scratch_store_b128 off, v[5:8], off offset:416
	s_wait_loadcnt 0x0
	ds_store_b128 v38, v[1:4]
.LBB102_197:
	s_wait_alu 0xfffe
	s_or_b32 exec_lo, exec_lo, s0
	s_wait_storecnt_dscnt 0x0
	s_barrier_signal -1
	s_barrier_wait -1
	global_inv scope:SCOPE_SE
	s_clause 0x7
	scratch_load_b128 v[2:5], off, off offset:432
	scratch_load_b128 v[6:9], off, off offset:448
	;; [unrolled: 1-line block ×8, first 2 shown]
	v_mov_b32_e32 v1, 0
	s_mov_b32 s0, exec_lo
	ds_load_b128 v[34:37], v1 offset:1040
	s_clause 0x1
	scratch_load_b128 v[39:42], off, off offset:560
	scratch_load_b128 v[124:127], off, off offset:416
	ds_load_b128 v[128:131], v1 offset:1056
	scratch_load_b128 v[132:135], off, off offset:576
	ds_load_b128 v[136:139], v1 offset:1088
	s_wait_loadcnt_dscnt 0xa02
	v_mul_f64_e32 v[43:44], v[36:37], v[4:5]
	v_mul_f64_e32 v[4:5], v[34:35], v[4:5]
	s_delay_alu instid0(VALU_DEP_2) | instskip(NEXT) | instid1(VALU_DEP_2)
	v_fma_f64 v[43:44], v[34:35], v[2:3], -v[43:44]
	v_fma_f64 v[142:143], v[36:37], v[2:3], v[4:5]
	ds_load_b128 v[2:5], v1 offset:1072
	s_wait_loadcnt_dscnt 0x902
	v_mul_f64_e32 v[140:141], v[128:129], v[8:9]
	v_mul_f64_e32 v[8:9], v[130:131], v[8:9]
	scratch_load_b128 v[34:37], off, off offset:592
	s_wait_loadcnt_dscnt 0x900
	v_mul_f64_e32 v[144:145], v[2:3], v[12:13]
	v_mul_f64_e32 v[12:13], v[4:5], v[12:13]
	v_add_f64_e32 v[43:44], 0, v[43:44]
	v_fma_f64 v[130:131], v[130:131], v[6:7], v[140:141]
	v_fma_f64 v[128:129], v[128:129], v[6:7], -v[8:9]
	v_add_f64_e32 v[140:141], 0, v[142:143]
	scratch_load_b128 v[6:9], off, off offset:608
	v_fma_f64 v[144:145], v[4:5], v[10:11], v[144:145]
	v_fma_f64 v[146:147], v[2:3], v[10:11], -v[12:13]
	ds_load_b128 v[2:5], v1 offset:1104
	s_wait_loadcnt 0x9
	v_mul_f64_e32 v[142:143], v[136:137], v[16:17]
	v_mul_f64_e32 v[16:17], v[138:139], v[16:17]
	scratch_load_b128 v[10:13], off, off offset:624
	v_add_f64_e32 v[43:44], v[43:44], v[128:129]
	v_add_f64_e32 v[140:141], v[140:141], v[130:131]
	s_wait_loadcnt_dscnt 0x900
	v_mul_f64_e32 v[148:149], v[2:3], v[20:21]
	v_mul_f64_e32 v[20:21], v[4:5], v[20:21]
	ds_load_b128 v[128:131], v1 offset:1120
	v_fma_f64 v[138:139], v[138:139], v[14:15], v[142:143]
	v_fma_f64 v[14:15], v[136:137], v[14:15], -v[16:17]
	s_wait_loadcnt_dscnt 0x800
	v_mul_f64_e32 v[136:137], v[128:129], v[24:25]
	v_mul_f64_e32 v[24:25], v[130:131], v[24:25]
	v_add_f64_e32 v[16:17], v[43:44], v[146:147]
	v_add_f64_e32 v[43:44], v[140:141], v[144:145]
	v_fma_f64 v[140:141], v[4:5], v[18:19], v[148:149]
	v_fma_f64 v[18:19], v[2:3], v[18:19], -v[20:21]
	v_fma_f64 v[130:131], v[130:131], v[22:23], v[136:137]
	v_fma_f64 v[22:23], v[128:129], v[22:23], -v[24:25]
	v_add_f64_e32 v[20:21], v[16:17], v[14:15]
	v_add_f64_e32 v[43:44], v[43:44], v[138:139]
	ds_load_b128 v[2:5], v1 offset:1136
	ds_load_b128 v[14:17], v1 offset:1152
	s_wait_loadcnt_dscnt 0x701
	v_mul_f64_e32 v[138:139], v[2:3], v[28:29]
	v_mul_f64_e32 v[28:29], v[4:5], v[28:29]
	s_wait_loadcnt_dscnt 0x600
	v_mul_f64_e32 v[24:25], v[14:15], v[32:33]
	v_mul_f64_e32 v[32:33], v[16:17], v[32:33]
	v_add_f64_e32 v[18:19], v[20:21], v[18:19]
	v_add_f64_e32 v[20:21], v[43:44], v[140:141]
	v_fma_f64 v[43:44], v[4:5], v[26:27], v[138:139]
	v_fma_f64 v[26:27], v[2:3], v[26:27], -v[28:29]
	v_fma_f64 v[16:17], v[16:17], v[30:31], v[24:25]
	v_fma_f64 v[14:15], v[14:15], v[30:31], -v[32:33]
	v_add_f64_e32 v[22:23], v[18:19], v[22:23]
	v_add_f64_e32 v[28:29], v[20:21], v[130:131]
	ds_load_b128 v[2:5], v1 offset:1168
	ds_load_b128 v[18:21], v1 offset:1184
	s_wait_loadcnt_dscnt 0x501
	v_mul_f64_e32 v[128:129], v[2:3], v[41:42]
	v_mul_f64_e32 v[41:42], v[4:5], v[41:42]
	v_add_f64_e32 v[22:23], v[22:23], v[26:27]
	v_add_f64_e32 v[24:25], v[28:29], v[43:44]
	s_wait_loadcnt_dscnt 0x300
	v_mul_f64_e32 v[26:27], v[18:19], v[134:135]
	v_mul_f64_e32 v[28:29], v[20:21], v[134:135]
	v_fma_f64 v[30:31], v[4:5], v[39:40], v[128:129]
	v_fma_f64 v[32:33], v[2:3], v[39:40], -v[41:42]
	v_add_f64_e32 v[22:23], v[22:23], v[14:15]
	v_add_f64_e32 v[24:25], v[24:25], v[16:17]
	ds_load_b128 v[2:5], v1 offset:1200
	ds_load_b128 v[14:17], v1 offset:1216
	v_fma_f64 v[20:21], v[20:21], v[132:133], v[26:27]
	v_fma_f64 v[18:19], v[18:19], v[132:133], -v[28:29]
	s_wait_loadcnt_dscnt 0x201
	v_mul_f64_e32 v[39:40], v[2:3], v[36:37]
	v_mul_f64_e32 v[36:37], v[4:5], v[36:37]
	v_add_f64_e32 v[22:23], v[22:23], v[32:33]
	v_add_f64_e32 v[24:25], v[24:25], v[30:31]
	s_wait_loadcnt_dscnt 0x100
	v_mul_f64_e32 v[26:27], v[14:15], v[8:9]
	v_mul_f64_e32 v[8:9], v[16:17], v[8:9]
	v_fma_f64 v[28:29], v[4:5], v[34:35], v[39:40]
	v_fma_f64 v[30:31], v[2:3], v[34:35], -v[36:37]
	ds_load_b128 v[2:5], v1 offset:1232
	v_add_f64_e32 v[18:19], v[22:23], v[18:19]
	v_add_f64_e32 v[20:21], v[24:25], v[20:21]
	s_wait_loadcnt_dscnt 0x0
	v_mul_f64_e32 v[22:23], v[2:3], v[12:13]
	v_mul_f64_e32 v[12:13], v[4:5], v[12:13]
	v_fma_f64 v[16:17], v[16:17], v[6:7], v[26:27]
	v_fma_f64 v[6:7], v[14:15], v[6:7], -v[8:9]
	v_add_f64_e32 v[8:9], v[18:19], v[30:31]
	v_add_f64_e32 v[14:15], v[20:21], v[28:29]
	v_fma_f64 v[4:5], v[4:5], v[10:11], v[22:23]
	v_fma_f64 v[2:3], v[2:3], v[10:11], -v[12:13]
	s_delay_alu instid0(VALU_DEP_4) | instskip(NEXT) | instid1(VALU_DEP_4)
	v_add_f64_e32 v[6:7], v[8:9], v[6:7]
	v_add_f64_e32 v[8:9], v[14:15], v[16:17]
	s_delay_alu instid0(VALU_DEP_2) | instskip(NEXT) | instid1(VALU_DEP_2)
	v_add_f64_e32 v[2:3], v[6:7], v[2:3]
	v_add_f64_e32 v[4:5], v[8:9], v[4:5]
	s_delay_alu instid0(VALU_DEP_2) | instskip(NEXT) | instid1(VALU_DEP_2)
	v_add_f64_e64 v[2:3], v[124:125], -v[2:3]
	v_add_f64_e64 v[4:5], v[126:127], -v[4:5]
	scratch_store_b128 off, v[2:5], off offset:416
	v_cmpx_lt_u32_e32 24, v0
	s_cbranch_execz .LBB102_199
; %bb.198:
	scratch_load_b128 v[5:8], off, s19
	v_dual_mov_b32 v2, v1 :: v_dual_mov_b32 v3, v1
	v_mov_b32_e32 v4, v1
	scratch_store_b128 off, v[1:4], off offset:400
	s_wait_loadcnt 0x0
	ds_store_b128 v38, v[5:8]
.LBB102_199:
	s_wait_alu 0xfffe
	s_or_b32 exec_lo, exec_lo, s0
	s_wait_storecnt_dscnt 0x0
	s_barrier_signal -1
	s_barrier_wait -1
	global_inv scope:SCOPE_SE
	s_clause 0x8
	scratch_load_b128 v[2:5], off, off offset:416
	scratch_load_b128 v[6:9], off, off offset:432
	;; [unrolled: 1-line block ×9, first 2 shown]
	ds_load_b128 v[39:42], v1 offset:1024
	ds_load_b128 v[124:127], v1 offset:1040
	s_clause 0x1
	scratch_load_b128 v[128:131], off, off offset:400
	scratch_load_b128 v[132:135], off, off offset:560
	s_mov_b32 s0, exec_lo
	ds_load_b128 v[136:139], v1 offset:1072
	s_wait_loadcnt_dscnt 0xa02
	v_mul_f64_e32 v[43:44], v[41:42], v[4:5]
	v_mul_f64_e32 v[4:5], v[39:40], v[4:5]
	s_wait_loadcnt_dscnt 0x901
	v_mul_f64_e32 v[140:141], v[124:125], v[8:9]
	v_mul_f64_e32 v[8:9], v[126:127], v[8:9]
	s_delay_alu instid0(VALU_DEP_4) | instskip(NEXT) | instid1(VALU_DEP_4)
	v_fma_f64 v[43:44], v[39:40], v[2:3], -v[43:44]
	v_fma_f64 v[142:143], v[41:42], v[2:3], v[4:5]
	ds_load_b128 v[2:5], v1 offset:1056
	scratch_load_b128 v[39:42], off, off offset:576
	v_fma_f64 v[126:127], v[126:127], v[6:7], v[140:141]
	v_fma_f64 v[124:125], v[124:125], v[6:7], -v[8:9]
	scratch_load_b128 v[6:9], off, off offset:592
	s_wait_loadcnt_dscnt 0xa00
	v_mul_f64_e32 v[144:145], v[2:3], v[12:13]
	v_mul_f64_e32 v[12:13], v[4:5], v[12:13]
	v_add_f64_e32 v[43:44], 0, v[43:44]
	v_add_f64_e32 v[140:141], 0, v[142:143]
	s_wait_loadcnt 0x9
	v_mul_f64_e32 v[142:143], v[136:137], v[16:17]
	v_mul_f64_e32 v[16:17], v[138:139], v[16:17]
	v_fma_f64 v[144:145], v[4:5], v[10:11], v[144:145]
	v_fma_f64 v[146:147], v[2:3], v[10:11], -v[12:13]
	ds_load_b128 v[2:5], v1 offset:1088
	scratch_load_b128 v[10:13], off, off offset:608
	v_add_f64_e32 v[43:44], v[43:44], v[124:125]
	v_add_f64_e32 v[140:141], v[140:141], v[126:127]
	ds_load_b128 v[124:127], v1 offset:1104
	v_fma_f64 v[138:139], v[138:139], v[14:15], v[142:143]
	v_fma_f64 v[136:137], v[136:137], v[14:15], -v[16:17]
	scratch_load_b128 v[14:17], off, off offset:624
	s_wait_loadcnt_dscnt 0xa01
	v_mul_f64_e32 v[148:149], v[2:3], v[20:21]
	v_mul_f64_e32 v[20:21], v[4:5], v[20:21]
	s_wait_loadcnt_dscnt 0x900
	v_mul_f64_e32 v[142:143], v[124:125], v[24:25]
	v_mul_f64_e32 v[24:25], v[126:127], v[24:25]
	v_add_f64_e32 v[43:44], v[43:44], v[146:147]
	v_add_f64_e32 v[140:141], v[140:141], v[144:145]
	v_fma_f64 v[144:145], v[4:5], v[18:19], v[148:149]
	v_fma_f64 v[146:147], v[2:3], v[18:19], -v[20:21]
	ds_load_b128 v[2:5], v1 offset:1120
	ds_load_b128 v[18:21], v1 offset:1136
	v_fma_f64 v[126:127], v[126:127], v[22:23], v[142:143]
	v_fma_f64 v[22:23], v[124:125], v[22:23], -v[24:25]
	s_wait_loadcnt_dscnt 0x700
	v_mul_f64_e32 v[124:125], v[18:19], v[32:33]
	v_mul_f64_e32 v[32:33], v[20:21], v[32:33]
	v_add_f64_e32 v[43:44], v[43:44], v[136:137]
	v_add_f64_e32 v[136:137], v[140:141], v[138:139]
	v_mul_f64_e32 v[138:139], v[2:3], v[28:29]
	v_mul_f64_e32 v[28:29], v[4:5], v[28:29]
	v_fma_f64 v[20:21], v[20:21], v[30:31], v[124:125]
	v_fma_f64 v[18:19], v[18:19], v[30:31], -v[32:33]
	v_add_f64_e32 v[24:25], v[43:44], v[146:147]
	v_add_f64_e32 v[43:44], v[136:137], v[144:145]
	v_fma_f64 v[136:137], v[4:5], v[26:27], v[138:139]
	v_fma_f64 v[26:27], v[2:3], v[26:27], -v[28:29]
	s_delay_alu instid0(VALU_DEP_4) | instskip(NEXT) | instid1(VALU_DEP_4)
	v_add_f64_e32 v[28:29], v[24:25], v[22:23]
	v_add_f64_e32 v[43:44], v[43:44], v[126:127]
	ds_load_b128 v[2:5], v1 offset:1152
	ds_load_b128 v[22:25], v1 offset:1168
	s_wait_loadcnt_dscnt 0x601
	v_mul_f64_e32 v[126:127], v[2:3], v[36:37]
	v_mul_f64_e32 v[36:37], v[4:5], v[36:37]
	s_wait_loadcnt_dscnt 0x400
	v_mul_f64_e32 v[30:31], v[22:23], v[134:135]
	v_mul_f64_e32 v[32:33], v[24:25], v[134:135]
	v_add_f64_e32 v[26:27], v[28:29], v[26:27]
	v_add_f64_e32 v[28:29], v[43:44], v[136:137]
	v_fma_f64 v[43:44], v[4:5], v[34:35], v[126:127]
	v_fma_f64 v[34:35], v[2:3], v[34:35], -v[36:37]
	v_fma_f64 v[24:25], v[24:25], v[132:133], v[30:31]
	v_fma_f64 v[22:23], v[22:23], v[132:133], -v[32:33]
	v_add_f64_e32 v[26:27], v[26:27], v[18:19]
	v_add_f64_e32 v[28:29], v[28:29], v[20:21]
	ds_load_b128 v[2:5], v1 offset:1184
	ds_load_b128 v[18:21], v1 offset:1200
	s_wait_loadcnt_dscnt 0x301
	v_mul_f64_e32 v[36:37], v[2:3], v[41:42]
	v_mul_f64_e32 v[41:42], v[4:5], v[41:42]
	s_wait_loadcnt_dscnt 0x200
	v_mul_f64_e32 v[30:31], v[18:19], v[8:9]
	v_mul_f64_e32 v[8:9], v[20:21], v[8:9]
	v_add_f64_e32 v[26:27], v[26:27], v[34:35]
	v_add_f64_e32 v[28:29], v[28:29], v[43:44]
	v_fma_f64 v[32:33], v[4:5], v[39:40], v[36:37]
	v_fma_f64 v[34:35], v[2:3], v[39:40], -v[41:42]
	v_fma_f64 v[20:21], v[20:21], v[6:7], v[30:31]
	v_fma_f64 v[6:7], v[18:19], v[6:7], -v[8:9]
	v_add_f64_e32 v[26:27], v[26:27], v[22:23]
	v_add_f64_e32 v[28:29], v[28:29], v[24:25]
	ds_load_b128 v[2:5], v1 offset:1216
	ds_load_b128 v[22:25], v1 offset:1232
	s_wait_loadcnt_dscnt 0x101
	v_mul_f64_e32 v[36:37], v[2:3], v[12:13]
	v_mul_f64_e32 v[12:13], v[4:5], v[12:13]
	v_add_f64_e32 v[8:9], v[26:27], v[34:35]
	v_add_f64_e32 v[18:19], v[28:29], v[32:33]
	s_wait_loadcnt_dscnt 0x0
	v_mul_f64_e32 v[26:27], v[22:23], v[16:17]
	v_mul_f64_e32 v[16:17], v[24:25], v[16:17]
	v_fma_f64 v[4:5], v[4:5], v[10:11], v[36:37]
	v_fma_f64 v[1:2], v[2:3], v[10:11], -v[12:13]
	v_add_f64_e32 v[6:7], v[8:9], v[6:7]
	v_add_f64_e32 v[8:9], v[18:19], v[20:21]
	v_fma_f64 v[10:11], v[24:25], v[14:15], v[26:27]
	v_fma_f64 v[12:13], v[22:23], v[14:15], -v[16:17]
	s_delay_alu instid0(VALU_DEP_4) | instskip(NEXT) | instid1(VALU_DEP_4)
	v_add_f64_e32 v[1:2], v[6:7], v[1:2]
	v_add_f64_e32 v[3:4], v[8:9], v[4:5]
	s_delay_alu instid0(VALU_DEP_2) | instskip(NEXT) | instid1(VALU_DEP_2)
	v_add_f64_e32 v[1:2], v[1:2], v[12:13]
	v_add_f64_e32 v[3:4], v[3:4], v[10:11]
	s_delay_alu instid0(VALU_DEP_2) | instskip(NEXT) | instid1(VALU_DEP_2)
	v_add_f64_e64 v[1:2], v[128:129], -v[1:2]
	v_add_f64_e64 v[3:4], v[130:131], -v[3:4]
	scratch_store_b128 off, v[1:4], off offset:400
	v_cmpx_lt_u32_e32 23, v0
	s_cbranch_execz .LBB102_201
; %bb.200:
	scratch_load_b128 v[1:4], off, s38
	v_mov_b32_e32 v5, 0
	s_delay_alu instid0(VALU_DEP_1)
	v_dual_mov_b32 v6, v5 :: v_dual_mov_b32 v7, v5
	v_mov_b32_e32 v8, v5
	scratch_store_b128 off, v[5:8], off offset:384
	s_wait_loadcnt 0x0
	ds_store_b128 v38, v[1:4]
.LBB102_201:
	s_wait_alu 0xfffe
	s_or_b32 exec_lo, exec_lo, s0
	s_wait_storecnt_dscnt 0x0
	s_barrier_signal -1
	s_barrier_wait -1
	global_inv scope:SCOPE_SE
	s_clause 0x7
	scratch_load_b128 v[2:5], off, off offset:400
	scratch_load_b128 v[6:9], off, off offset:416
	;; [unrolled: 1-line block ×8, first 2 shown]
	v_mov_b32_e32 v1, 0
	s_mov_b32 s0, exec_lo
	ds_load_b128 v[34:37], v1 offset:1008
	s_clause 0x1
	scratch_load_b128 v[39:42], off, off offset:528
	scratch_load_b128 v[124:127], off, off offset:384
	ds_load_b128 v[128:131], v1 offset:1024
	scratch_load_b128 v[132:135], off, off offset:544
	ds_load_b128 v[136:139], v1 offset:1056
	s_wait_loadcnt_dscnt 0xa02
	v_mul_f64_e32 v[43:44], v[36:37], v[4:5]
	v_mul_f64_e32 v[4:5], v[34:35], v[4:5]
	s_delay_alu instid0(VALU_DEP_2) | instskip(NEXT) | instid1(VALU_DEP_2)
	v_fma_f64 v[43:44], v[34:35], v[2:3], -v[43:44]
	v_fma_f64 v[142:143], v[36:37], v[2:3], v[4:5]
	ds_load_b128 v[2:5], v1 offset:1040
	s_wait_loadcnt_dscnt 0x902
	v_mul_f64_e32 v[140:141], v[128:129], v[8:9]
	v_mul_f64_e32 v[8:9], v[130:131], v[8:9]
	scratch_load_b128 v[34:37], off, off offset:560
	s_wait_loadcnt_dscnt 0x900
	v_mul_f64_e32 v[144:145], v[2:3], v[12:13]
	v_mul_f64_e32 v[12:13], v[4:5], v[12:13]
	v_add_f64_e32 v[43:44], 0, v[43:44]
	v_fma_f64 v[130:131], v[130:131], v[6:7], v[140:141]
	v_fma_f64 v[128:129], v[128:129], v[6:7], -v[8:9]
	v_add_f64_e32 v[140:141], 0, v[142:143]
	scratch_load_b128 v[6:9], off, off offset:576
	v_fma_f64 v[144:145], v[4:5], v[10:11], v[144:145]
	v_fma_f64 v[146:147], v[2:3], v[10:11], -v[12:13]
	ds_load_b128 v[2:5], v1 offset:1072
	s_wait_loadcnt 0x9
	v_mul_f64_e32 v[142:143], v[136:137], v[16:17]
	v_mul_f64_e32 v[16:17], v[138:139], v[16:17]
	scratch_load_b128 v[10:13], off, off offset:592
	v_add_f64_e32 v[43:44], v[43:44], v[128:129]
	v_add_f64_e32 v[140:141], v[140:141], v[130:131]
	s_wait_loadcnt_dscnt 0x900
	v_mul_f64_e32 v[148:149], v[2:3], v[20:21]
	v_mul_f64_e32 v[20:21], v[4:5], v[20:21]
	ds_load_b128 v[128:131], v1 offset:1088
	v_fma_f64 v[138:139], v[138:139], v[14:15], v[142:143]
	v_fma_f64 v[136:137], v[136:137], v[14:15], -v[16:17]
	scratch_load_b128 v[14:17], off, off offset:608
	v_add_f64_e32 v[43:44], v[43:44], v[146:147]
	v_add_f64_e32 v[140:141], v[140:141], v[144:145]
	v_fma_f64 v[144:145], v[4:5], v[18:19], v[148:149]
	v_fma_f64 v[146:147], v[2:3], v[18:19], -v[20:21]
	ds_load_b128 v[2:5], v1 offset:1104
	s_wait_loadcnt_dscnt 0x901
	v_mul_f64_e32 v[142:143], v[128:129], v[24:25]
	v_mul_f64_e32 v[24:25], v[130:131], v[24:25]
	scratch_load_b128 v[18:21], off, off offset:624
	s_wait_loadcnt_dscnt 0x900
	v_mul_f64_e32 v[148:149], v[2:3], v[28:29]
	v_mul_f64_e32 v[28:29], v[4:5], v[28:29]
	v_add_f64_e32 v[43:44], v[43:44], v[136:137]
	v_add_f64_e32 v[140:141], v[140:141], v[138:139]
	ds_load_b128 v[136:139], v1 offset:1120
	v_fma_f64 v[130:131], v[130:131], v[22:23], v[142:143]
	v_fma_f64 v[22:23], v[128:129], v[22:23], -v[24:25]
	s_wait_loadcnt_dscnt 0x800
	v_mul_f64_e32 v[128:129], v[136:137], v[32:33]
	v_mul_f64_e32 v[32:33], v[138:139], v[32:33]
	v_add_f64_e32 v[24:25], v[43:44], v[146:147]
	v_add_f64_e32 v[43:44], v[140:141], v[144:145]
	v_fma_f64 v[140:141], v[4:5], v[26:27], v[148:149]
	v_fma_f64 v[26:27], v[2:3], v[26:27], -v[28:29]
	v_fma_f64 v[128:129], v[138:139], v[30:31], v[128:129]
	v_fma_f64 v[30:31], v[136:137], v[30:31], -v[32:33]
	v_add_f64_e32 v[28:29], v[24:25], v[22:23]
	v_add_f64_e32 v[43:44], v[43:44], v[130:131]
	ds_load_b128 v[2:5], v1 offset:1136
	ds_load_b128 v[22:25], v1 offset:1152
	s_wait_loadcnt_dscnt 0x701
	v_mul_f64_e32 v[130:131], v[2:3], v[41:42]
	v_mul_f64_e32 v[41:42], v[4:5], v[41:42]
	s_wait_loadcnt_dscnt 0x500
	v_mul_f64_e32 v[32:33], v[22:23], v[134:135]
	v_add_f64_e32 v[26:27], v[28:29], v[26:27]
	v_add_f64_e32 v[28:29], v[43:44], v[140:141]
	v_mul_f64_e32 v[43:44], v[24:25], v[134:135]
	v_fma_f64 v[130:131], v[4:5], v[39:40], v[130:131]
	v_fma_f64 v[39:40], v[2:3], v[39:40], -v[41:42]
	v_fma_f64 v[24:25], v[24:25], v[132:133], v[32:33]
	v_add_f64_e32 v[30:31], v[26:27], v[30:31]
	v_add_f64_e32 v[41:42], v[28:29], v[128:129]
	ds_load_b128 v[2:5], v1 offset:1168
	ds_load_b128 v[26:29], v1 offset:1184
	v_fma_f64 v[22:23], v[22:23], v[132:133], -v[43:44]
	s_wait_loadcnt_dscnt 0x401
	v_mul_f64_e32 v[128:129], v[2:3], v[36:37]
	v_mul_f64_e32 v[36:37], v[4:5], v[36:37]
	v_add_f64_e32 v[30:31], v[30:31], v[39:40]
	v_add_f64_e32 v[32:33], v[41:42], v[130:131]
	s_wait_loadcnt_dscnt 0x300
	v_mul_f64_e32 v[39:40], v[26:27], v[8:9]
	v_mul_f64_e32 v[8:9], v[28:29], v[8:9]
	v_fma_f64 v[41:42], v[4:5], v[34:35], v[128:129]
	v_fma_f64 v[34:35], v[2:3], v[34:35], -v[36:37]
	v_add_f64_e32 v[30:31], v[30:31], v[22:23]
	v_add_f64_e32 v[32:33], v[32:33], v[24:25]
	ds_load_b128 v[2:5], v1 offset:1200
	ds_load_b128 v[22:25], v1 offset:1216
	v_fma_f64 v[28:29], v[28:29], v[6:7], v[39:40]
	v_fma_f64 v[6:7], v[26:27], v[6:7], -v[8:9]
	s_wait_loadcnt_dscnt 0x201
	v_mul_f64_e32 v[36:37], v[2:3], v[12:13]
	v_mul_f64_e32 v[12:13], v[4:5], v[12:13]
	v_add_f64_e32 v[8:9], v[30:31], v[34:35]
	v_add_f64_e32 v[26:27], v[32:33], v[41:42]
	s_wait_loadcnt_dscnt 0x100
	v_mul_f64_e32 v[30:31], v[22:23], v[16:17]
	v_mul_f64_e32 v[16:17], v[24:25], v[16:17]
	v_fma_f64 v[32:33], v[4:5], v[10:11], v[36:37]
	v_fma_f64 v[10:11], v[2:3], v[10:11], -v[12:13]
	ds_load_b128 v[2:5], v1 offset:1232
	v_add_f64_e32 v[6:7], v[8:9], v[6:7]
	v_add_f64_e32 v[8:9], v[26:27], v[28:29]
	v_fma_f64 v[24:25], v[24:25], v[14:15], v[30:31]
	v_fma_f64 v[14:15], v[22:23], v[14:15], -v[16:17]
	s_wait_loadcnt_dscnt 0x0
	v_mul_f64_e32 v[12:13], v[2:3], v[20:21]
	v_mul_f64_e32 v[20:21], v[4:5], v[20:21]
	v_add_f64_e32 v[6:7], v[6:7], v[10:11]
	v_add_f64_e32 v[8:9], v[8:9], v[32:33]
	s_delay_alu instid0(VALU_DEP_4) | instskip(NEXT) | instid1(VALU_DEP_4)
	v_fma_f64 v[4:5], v[4:5], v[18:19], v[12:13]
	v_fma_f64 v[2:3], v[2:3], v[18:19], -v[20:21]
	s_delay_alu instid0(VALU_DEP_4) | instskip(NEXT) | instid1(VALU_DEP_4)
	v_add_f64_e32 v[6:7], v[6:7], v[14:15]
	v_add_f64_e32 v[8:9], v[8:9], v[24:25]
	s_delay_alu instid0(VALU_DEP_2) | instskip(NEXT) | instid1(VALU_DEP_2)
	v_add_f64_e32 v[2:3], v[6:7], v[2:3]
	v_add_f64_e32 v[4:5], v[8:9], v[4:5]
	s_delay_alu instid0(VALU_DEP_2) | instskip(NEXT) | instid1(VALU_DEP_2)
	v_add_f64_e64 v[2:3], v[124:125], -v[2:3]
	v_add_f64_e64 v[4:5], v[126:127], -v[4:5]
	scratch_store_b128 off, v[2:5], off offset:384
	v_cmpx_lt_u32_e32 22, v0
	s_cbranch_execz .LBB102_203
; %bb.202:
	scratch_load_b128 v[5:8], off, s18
	v_dual_mov_b32 v2, v1 :: v_dual_mov_b32 v3, v1
	v_mov_b32_e32 v4, v1
	scratch_store_b128 off, v[1:4], off offset:368
	s_wait_loadcnt 0x0
	ds_store_b128 v38, v[5:8]
.LBB102_203:
	s_wait_alu 0xfffe
	s_or_b32 exec_lo, exec_lo, s0
	s_wait_storecnt_dscnt 0x0
	s_barrier_signal -1
	s_barrier_wait -1
	global_inv scope:SCOPE_SE
	s_clause 0x8
	scratch_load_b128 v[2:5], off, off offset:384
	scratch_load_b128 v[6:9], off, off offset:400
	;; [unrolled: 1-line block ×9, first 2 shown]
	ds_load_b128 v[39:42], v1 offset:992
	ds_load_b128 v[124:127], v1 offset:1008
	s_clause 0x1
	scratch_load_b128 v[128:131], off, off offset:368
	scratch_load_b128 v[132:135], off, off offset:528
	s_mov_b32 s0, exec_lo
	ds_load_b128 v[136:139], v1 offset:1040
	s_wait_loadcnt_dscnt 0xa02
	v_mul_f64_e32 v[43:44], v[41:42], v[4:5]
	v_mul_f64_e32 v[4:5], v[39:40], v[4:5]
	s_wait_loadcnt_dscnt 0x901
	v_mul_f64_e32 v[140:141], v[124:125], v[8:9]
	v_mul_f64_e32 v[8:9], v[126:127], v[8:9]
	s_delay_alu instid0(VALU_DEP_4) | instskip(NEXT) | instid1(VALU_DEP_4)
	v_fma_f64 v[43:44], v[39:40], v[2:3], -v[43:44]
	v_fma_f64 v[142:143], v[41:42], v[2:3], v[4:5]
	ds_load_b128 v[2:5], v1 offset:1024
	scratch_load_b128 v[39:42], off, off offset:544
	v_fma_f64 v[126:127], v[126:127], v[6:7], v[140:141]
	v_fma_f64 v[124:125], v[124:125], v[6:7], -v[8:9]
	scratch_load_b128 v[6:9], off, off offset:560
	s_wait_loadcnt_dscnt 0xa00
	v_mul_f64_e32 v[144:145], v[2:3], v[12:13]
	v_mul_f64_e32 v[12:13], v[4:5], v[12:13]
	v_add_f64_e32 v[43:44], 0, v[43:44]
	v_add_f64_e32 v[140:141], 0, v[142:143]
	s_wait_loadcnt 0x9
	v_mul_f64_e32 v[142:143], v[136:137], v[16:17]
	v_mul_f64_e32 v[16:17], v[138:139], v[16:17]
	v_fma_f64 v[144:145], v[4:5], v[10:11], v[144:145]
	v_fma_f64 v[146:147], v[2:3], v[10:11], -v[12:13]
	ds_load_b128 v[2:5], v1 offset:1056
	scratch_load_b128 v[10:13], off, off offset:576
	v_add_f64_e32 v[43:44], v[43:44], v[124:125]
	v_add_f64_e32 v[140:141], v[140:141], v[126:127]
	ds_load_b128 v[124:127], v1 offset:1072
	v_fma_f64 v[138:139], v[138:139], v[14:15], v[142:143]
	v_fma_f64 v[136:137], v[136:137], v[14:15], -v[16:17]
	scratch_load_b128 v[14:17], off, off offset:592
	s_wait_loadcnt_dscnt 0xa01
	v_mul_f64_e32 v[148:149], v[2:3], v[20:21]
	v_mul_f64_e32 v[20:21], v[4:5], v[20:21]
	s_wait_loadcnt_dscnt 0x900
	v_mul_f64_e32 v[142:143], v[124:125], v[24:25]
	v_mul_f64_e32 v[24:25], v[126:127], v[24:25]
	v_add_f64_e32 v[43:44], v[43:44], v[146:147]
	v_add_f64_e32 v[140:141], v[140:141], v[144:145]
	v_fma_f64 v[144:145], v[4:5], v[18:19], v[148:149]
	v_fma_f64 v[146:147], v[2:3], v[18:19], -v[20:21]
	ds_load_b128 v[2:5], v1 offset:1088
	scratch_load_b128 v[18:21], off, off offset:608
	v_fma_f64 v[126:127], v[126:127], v[22:23], v[142:143]
	v_fma_f64 v[124:125], v[124:125], v[22:23], -v[24:25]
	scratch_load_b128 v[22:25], off, off offset:624
	v_add_f64_e32 v[43:44], v[43:44], v[136:137]
	v_add_f64_e32 v[140:141], v[140:141], v[138:139]
	ds_load_b128 v[136:139], v1 offset:1104
	s_wait_loadcnt_dscnt 0xa01
	v_mul_f64_e32 v[148:149], v[2:3], v[28:29]
	v_mul_f64_e32 v[28:29], v[4:5], v[28:29]
	s_wait_loadcnt_dscnt 0x900
	v_mul_f64_e32 v[142:143], v[136:137], v[32:33]
	v_mul_f64_e32 v[32:33], v[138:139], v[32:33]
	v_add_f64_e32 v[43:44], v[43:44], v[146:147]
	v_add_f64_e32 v[140:141], v[140:141], v[144:145]
	v_fma_f64 v[144:145], v[4:5], v[26:27], v[148:149]
	v_fma_f64 v[146:147], v[2:3], v[26:27], -v[28:29]
	ds_load_b128 v[2:5], v1 offset:1120
	ds_load_b128 v[26:29], v1 offset:1136
	v_fma_f64 v[138:139], v[138:139], v[30:31], v[142:143]
	v_fma_f64 v[30:31], v[136:137], v[30:31], -v[32:33]
	v_add_f64_e32 v[43:44], v[43:44], v[124:125]
	v_add_f64_e32 v[124:125], v[140:141], v[126:127]
	s_wait_loadcnt_dscnt 0x801
	v_mul_f64_e32 v[126:127], v[2:3], v[36:37]
	v_mul_f64_e32 v[36:37], v[4:5], v[36:37]
	s_delay_alu instid0(VALU_DEP_4) | instskip(NEXT) | instid1(VALU_DEP_4)
	v_add_f64_e32 v[32:33], v[43:44], v[146:147]
	v_add_f64_e32 v[43:44], v[124:125], v[144:145]
	s_wait_loadcnt_dscnt 0x600
	v_mul_f64_e32 v[124:125], v[26:27], v[134:135]
	v_mul_f64_e32 v[134:135], v[28:29], v[134:135]
	v_fma_f64 v[126:127], v[4:5], v[34:35], v[126:127]
	v_fma_f64 v[34:35], v[2:3], v[34:35], -v[36:37]
	v_add_f64_e32 v[36:37], v[32:33], v[30:31]
	v_add_f64_e32 v[43:44], v[43:44], v[138:139]
	ds_load_b128 v[2:5], v1 offset:1152
	ds_load_b128 v[30:33], v1 offset:1168
	v_fma_f64 v[28:29], v[28:29], v[132:133], v[124:125]
	v_fma_f64 v[26:27], v[26:27], v[132:133], -v[134:135]
	s_wait_loadcnt_dscnt 0x501
	v_mul_f64_e32 v[136:137], v[2:3], v[41:42]
	v_mul_f64_e32 v[41:42], v[4:5], v[41:42]
	v_add_f64_e32 v[34:35], v[36:37], v[34:35]
	v_add_f64_e32 v[36:37], v[43:44], v[126:127]
	s_wait_loadcnt_dscnt 0x400
	v_mul_f64_e32 v[43:44], v[30:31], v[8:9]
	v_mul_f64_e32 v[8:9], v[32:33], v[8:9]
	v_fma_f64 v[124:125], v[4:5], v[39:40], v[136:137]
	v_fma_f64 v[39:40], v[2:3], v[39:40], -v[41:42]
	v_add_f64_e32 v[34:35], v[34:35], v[26:27]
	v_add_f64_e32 v[36:37], v[36:37], v[28:29]
	ds_load_b128 v[2:5], v1 offset:1184
	ds_load_b128 v[26:29], v1 offset:1200
	v_fma_f64 v[32:33], v[32:33], v[6:7], v[43:44]
	v_fma_f64 v[6:7], v[30:31], v[6:7], -v[8:9]
	s_wait_loadcnt_dscnt 0x301
	v_mul_f64_e32 v[41:42], v[2:3], v[12:13]
	v_mul_f64_e32 v[12:13], v[4:5], v[12:13]
	;; [unrolled: 16-line block ×3, first 2 shown]
	s_wait_loadcnt_dscnt 0x0
	v_mul_f64_e32 v[16:17], v[6:7], v[24:25]
	v_mul_f64_e32 v[24:25], v[8:9], v[24:25]
	v_add_f64_e32 v[10:11], v[12:13], v[10:11]
	v_add_f64_e32 v[12:13], v[30:31], v[36:37]
	v_fma_f64 v[4:5], v[4:5], v[18:19], v[32:33]
	v_fma_f64 v[1:2], v[2:3], v[18:19], -v[20:21]
	v_fma_f64 v[8:9], v[8:9], v[22:23], v[16:17]
	v_fma_f64 v[6:7], v[6:7], v[22:23], -v[24:25]
	v_add_f64_e32 v[10:11], v[10:11], v[14:15]
	v_add_f64_e32 v[12:13], v[12:13], v[28:29]
	s_delay_alu instid0(VALU_DEP_2) | instskip(NEXT) | instid1(VALU_DEP_2)
	v_add_f64_e32 v[1:2], v[10:11], v[1:2]
	v_add_f64_e32 v[3:4], v[12:13], v[4:5]
	s_delay_alu instid0(VALU_DEP_2) | instskip(NEXT) | instid1(VALU_DEP_2)
	;; [unrolled: 3-line block ×3, first 2 shown]
	v_add_f64_e64 v[1:2], v[128:129], -v[1:2]
	v_add_f64_e64 v[3:4], v[130:131], -v[3:4]
	scratch_store_b128 off, v[1:4], off offset:368
	v_cmpx_lt_u32_e32 21, v0
	s_cbranch_execz .LBB102_205
; %bb.204:
	scratch_load_b128 v[1:4], off, s37
	v_mov_b32_e32 v5, 0
	s_delay_alu instid0(VALU_DEP_1)
	v_dual_mov_b32 v6, v5 :: v_dual_mov_b32 v7, v5
	v_mov_b32_e32 v8, v5
	scratch_store_b128 off, v[5:8], off offset:352
	s_wait_loadcnt 0x0
	ds_store_b128 v38, v[1:4]
.LBB102_205:
	s_wait_alu 0xfffe
	s_or_b32 exec_lo, exec_lo, s0
	s_wait_storecnt_dscnt 0x0
	s_barrier_signal -1
	s_barrier_wait -1
	global_inv scope:SCOPE_SE
	s_clause 0x7
	scratch_load_b128 v[2:5], off, off offset:368
	scratch_load_b128 v[6:9], off, off offset:384
	;; [unrolled: 1-line block ×8, first 2 shown]
	v_mov_b32_e32 v1, 0
	s_mov_b32 s0, exec_lo
	ds_load_b128 v[34:37], v1 offset:976
	s_clause 0x1
	scratch_load_b128 v[39:42], off, off offset:496
	scratch_load_b128 v[124:127], off, off offset:352
	ds_load_b128 v[128:131], v1 offset:992
	scratch_load_b128 v[132:135], off, off offset:512
	ds_load_b128 v[136:139], v1 offset:1024
	s_wait_loadcnt_dscnt 0xa02
	v_mul_f64_e32 v[43:44], v[36:37], v[4:5]
	v_mul_f64_e32 v[4:5], v[34:35], v[4:5]
	s_delay_alu instid0(VALU_DEP_2) | instskip(NEXT) | instid1(VALU_DEP_2)
	v_fma_f64 v[43:44], v[34:35], v[2:3], -v[43:44]
	v_fma_f64 v[142:143], v[36:37], v[2:3], v[4:5]
	ds_load_b128 v[2:5], v1 offset:1008
	s_wait_loadcnt_dscnt 0x902
	v_mul_f64_e32 v[140:141], v[128:129], v[8:9]
	v_mul_f64_e32 v[8:9], v[130:131], v[8:9]
	scratch_load_b128 v[34:37], off, off offset:528
	s_wait_loadcnt_dscnt 0x900
	v_mul_f64_e32 v[144:145], v[2:3], v[12:13]
	v_mul_f64_e32 v[12:13], v[4:5], v[12:13]
	v_add_f64_e32 v[43:44], 0, v[43:44]
	v_fma_f64 v[130:131], v[130:131], v[6:7], v[140:141]
	v_fma_f64 v[128:129], v[128:129], v[6:7], -v[8:9]
	v_add_f64_e32 v[140:141], 0, v[142:143]
	scratch_load_b128 v[6:9], off, off offset:544
	v_fma_f64 v[144:145], v[4:5], v[10:11], v[144:145]
	v_fma_f64 v[146:147], v[2:3], v[10:11], -v[12:13]
	ds_load_b128 v[2:5], v1 offset:1040
	s_wait_loadcnt 0x9
	v_mul_f64_e32 v[142:143], v[136:137], v[16:17]
	v_mul_f64_e32 v[16:17], v[138:139], v[16:17]
	scratch_load_b128 v[10:13], off, off offset:560
	v_add_f64_e32 v[43:44], v[43:44], v[128:129]
	v_add_f64_e32 v[140:141], v[140:141], v[130:131]
	s_wait_loadcnt_dscnt 0x900
	v_mul_f64_e32 v[148:149], v[2:3], v[20:21]
	v_mul_f64_e32 v[20:21], v[4:5], v[20:21]
	ds_load_b128 v[128:131], v1 offset:1056
	v_fma_f64 v[138:139], v[138:139], v[14:15], v[142:143]
	v_fma_f64 v[136:137], v[136:137], v[14:15], -v[16:17]
	scratch_load_b128 v[14:17], off, off offset:576
	v_add_f64_e32 v[43:44], v[43:44], v[146:147]
	v_add_f64_e32 v[140:141], v[140:141], v[144:145]
	v_fma_f64 v[144:145], v[4:5], v[18:19], v[148:149]
	v_fma_f64 v[146:147], v[2:3], v[18:19], -v[20:21]
	ds_load_b128 v[2:5], v1 offset:1072
	s_wait_loadcnt_dscnt 0x901
	v_mul_f64_e32 v[142:143], v[128:129], v[24:25]
	v_mul_f64_e32 v[24:25], v[130:131], v[24:25]
	scratch_load_b128 v[18:21], off, off offset:592
	s_wait_loadcnt_dscnt 0x900
	v_mul_f64_e32 v[148:149], v[2:3], v[28:29]
	v_mul_f64_e32 v[28:29], v[4:5], v[28:29]
	v_add_f64_e32 v[43:44], v[43:44], v[136:137]
	v_add_f64_e32 v[140:141], v[140:141], v[138:139]
	ds_load_b128 v[136:139], v1 offset:1088
	v_fma_f64 v[130:131], v[130:131], v[22:23], v[142:143]
	v_fma_f64 v[128:129], v[128:129], v[22:23], -v[24:25]
	scratch_load_b128 v[22:25], off, off offset:608
	v_add_f64_e32 v[43:44], v[43:44], v[146:147]
	v_add_f64_e32 v[140:141], v[140:141], v[144:145]
	v_fma_f64 v[144:145], v[4:5], v[26:27], v[148:149]
	v_fma_f64 v[146:147], v[2:3], v[26:27], -v[28:29]
	ds_load_b128 v[2:5], v1 offset:1104
	s_wait_loadcnt_dscnt 0x901
	v_mul_f64_e32 v[142:143], v[136:137], v[32:33]
	v_mul_f64_e32 v[32:33], v[138:139], v[32:33]
	scratch_load_b128 v[26:29], off, off offset:624
	s_wait_loadcnt_dscnt 0x900
	v_mul_f64_e32 v[148:149], v[2:3], v[41:42]
	v_mul_f64_e32 v[41:42], v[4:5], v[41:42]
	v_add_f64_e32 v[43:44], v[43:44], v[128:129]
	v_add_f64_e32 v[140:141], v[140:141], v[130:131]
	ds_load_b128 v[128:131], v1 offset:1120
	v_fma_f64 v[138:139], v[138:139], v[30:31], v[142:143]
	v_fma_f64 v[30:31], v[136:137], v[30:31], -v[32:33]
	s_wait_loadcnt_dscnt 0x700
	v_mul_f64_e32 v[136:137], v[128:129], v[134:135]
	v_mul_f64_e32 v[134:135], v[130:131], v[134:135]
	v_add_f64_e32 v[32:33], v[43:44], v[146:147]
	v_add_f64_e32 v[43:44], v[140:141], v[144:145]
	v_fma_f64 v[140:141], v[4:5], v[39:40], v[148:149]
	v_fma_f64 v[39:40], v[2:3], v[39:40], -v[41:42]
	v_fma_f64 v[130:131], v[130:131], v[132:133], v[136:137]
	v_fma_f64 v[128:129], v[128:129], v[132:133], -v[134:135]
	v_add_f64_e32 v[41:42], v[32:33], v[30:31]
	v_add_f64_e32 v[43:44], v[43:44], v[138:139]
	ds_load_b128 v[2:5], v1 offset:1136
	ds_load_b128 v[30:33], v1 offset:1152
	s_wait_loadcnt_dscnt 0x601
	v_mul_f64_e32 v[138:139], v[2:3], v[36:37]
	v_mul_f64_e32 v[36:37], v[4:5], v[36:37]
	v_add_f64_e32 v[39:40], v[41:42], v[39:40]
	v_add_f64_e32 v[41:42], v[43:44], v[140:141]
	s_wait_loadcnt_dscnt 0x500
	v_mul_f64_e32 v[43:44], v[30:31], v[8:9]
	v_mul_f64_e32 v[8:9], v[32:33], v[8:9]
	v_fma_f64 v[132:133], v[4:5], v[34:35], v[138:139]
	v_fma_f64 v[134:135], v[2:3], v[34:35], -v[36:37]
	ds_load_b128 v[2:5], v1 offset:1168
	ds_load_b128 v[34:37], v1 offset:1184
	v_add_f64_e32 v[39:40], v[39:40], v[128:129]
	v_add_f64_e32 v[41:42], v[41:42], v[130:131]
	s_wait_loadcnt_dscnt 0x401
	v_mul_f64_e32 v[128:129], v[2:3], v[12:13]
	v_mul_f64_e32 v[12:13], v[4:5], v[12:13]
	v_fma_f64 v[32:33], v[32:33], v[6:7], v[43:44]
	v_fma_f64 v[6:7], v[30:31], v[6:7], -v[8:9]
	v_add_f64_e32 v[8:9], v[39:40], v[134:135]
	v_add_f64_e32 v[30:31], v[41:42], v[132:133]
	s_wait_loadcnt_dscnt 0x300
	v_mul_f64_e32 v[39:40], v[34:35], v[16:17]
	v_mul_f64_e32 v[16:17], v[36:37], v[16:17]
	v_fma_f64 v[41:42], v[4:5], v[10:11], v[128:129]
	v_fma_f64 v[10:11], v[2:3], v[10:11], -v[12:13]
	v_add_f64_e32 v[12:13], v[8:9], v[6:7]
	v_add_f64_e32 v[30:31], v[30:31], v[32:33]
	ds_load_b128 v[2:5], v1 offset:1200
	ds_load_b128 v[6:9], v1 offset:1216
	v_fma_f64 v[36:37], v[36:37], v[14:15], v[39:40]
	v_fma_f64 v[14:15], v[34:35], v[14:15], -v[16:17]
	s_wait_loadcnt_dscnt 0x201
	v_mul_f64_e32 v[32:33], v[2:3], v[20:21]
	v_mul_f64_e32 v[20:21], v[4:5], v[20:21]
	s_wait_loadcnt_dscnt 0x100
	v_mul_f64_e32 v[16:17], v[6:7], v[24:25]
	v_mul_f64_e32 v[24:25], v[8:9], v[24:25]
	v_add_f64_e32 v[10:11], v[12:13], v[10:11]
	v_add_f64_e32 v[12:13], v[30:31], v[41:42]
	v_fma_f64 v[30:31], v[4:5], v[18:19], v[32:33]
	v_fma_f64 v[18:19], v[2:3], v[18:19], -v[20:21]
	ds_load_b128 v[2:5], v1 offset:1232
	v_fma_f64 v[8:9], v[8:9], v[22:23], v[16:17]
	v_fma_f64 v[6:7], v[6:7], v[22:23], -v[24:25]
	v_add_f64_e32 v[10:11], v[10:11], v[14:15]
	v_add_f64_e32 v[12:13], v[12:13], v[36:37]
	s_wait_loadcnt_dscnt 0x0
	v_mul_f64_e32 v[14:15], v[2:3], v[28:29]
	v_mul_f64_e32 v[20:21], v[4:5], v[28:29]
	s_delay_alu instid0(VALU_DEP_4) | instskip(NEXT) | instid1(VALU_DEP_4)
	v_add_f64_e32 v[10:11], v[10:11], v[18:19]
	v_add_f64_e32 v[12:13], v[12:13], v[30:31]
	s_delay_alu instid0(VALU_DEP_4) | instskip(NEXT) | instid1(VALU_DEP_4)
	v_fma_f64 v[4:5], v[4:5], v[26:27], v[14:15]
	v_fma_f64 v[2:3], v[2:3], v[26:27], -v[20:21]
	s_delay_alu instid0(VALU_DEP_4) | instskip(NEXT) | instid1(VALU_DEP_4)
	v_add_f64_e32 v[6:7], v[10:11], v[6:7]
	v_add_f64_e32 v[8:9], v[12:13], v[8:9]
	s_delay_alu instid0(VALU_DEP_2) | instskip(NEXT) | instid1(VALU_DEP_2)
	v_add_f64_e32 v[2:3], v[6:7], v[2:3]
	v_add_f64_e32 v[4:5], v[8:9], v[4:5]
	s_delay_alu instid0(VALU_DEP_2) | instskip(NEXT) | instid1(VALU_DEP_2)
	v_add_f64_e64 v[2:3], v[124:125], -v[2:3]
	v_add_f64_e64 v[4:5], v[126:127], -v[4:5]
	scratch_store_b128 off, v[2:5], off offset:352
	v_cmpx_lt_u32_e32 20, v0
	s_cbranch_execz .LBB102_207
; %bb.206:
	scratch_load_b128 v[5:8], off, s17
	v_dual_mov_b32 v2, v1 :: v_dual_mov_b32 v3, v1
	v_mov_b32_e32 v4, v1
	scratch_store_b128 off, v[1:4], off offset:336
	s_wait_loadcnt 0x0
	ds_store_b128 v38, v[5:8]
.LBB102_207:
	s_wait_alu 0xfffe
	s_or_b32 exec_lo, exec_lo, s0
	s_wait_storecnt_dscnt 0x0
	s_barrier_signal -1
	s_barrier_wait -1
	global_inv scope:SCOPE_SE
	s_clause 0x8
	scratch_load_b128 v[2:5], off, off offset:352
	scratch_load_b128 v[6:9], off, off offset:368
	;; [unrolled: 1-line block ×9, first 2 shown]
	ds_load_b128 v[39:42], v1 offset:960
	ds_load_b128 v[124:127], v1 offset:976
	s_clause 0x1
	scratch_load_b128 v[128:131], off, off offset:336
	scratch_load_b128 v[132:135], off, off offset:496
	s_mov_b32 s0, exec_lo
	ds_load_b128 v[136:139], v1 offset:1008
	s_wait_loadcnt_dscnt 0xa02
	v_mul_f64_e32 v[43:44], v[41:42], v[4:5]
	v_mul_f64_e32 v[4:5], v[39:40], v[4:5]
	s_wait_loadcnt_dscnt 0x901
	v_mul_f64_e32 v[140:141], v[124:125], v[8:9]
	v_mul_f64_e32 v[8:9], v[126:127], v[8:9]
	s_delay_alu instid0(VALU_DEP_4) | instskip(NEXT) | instid1(VALU_DEP_4)
	v_fma_f64 v[43:44], v[39:40], v[2:3], -v[43:44]
	v_fma_f64 v[142:143], v[41:42], v[2:3], v[4:5]
	ds_load_b128 v[2:5], v1 offset:992
	scratch_load_b128 v[39:42], off, off offset:512
	v_fma_f64 v[126:127], v[126:127], v[6:7], v[140:141]
	v_fma_f64 v[124:125], v[124:125], v[6:7], -v[8:9]
	scratch_load_b128 v[6:9], off, off offset:528
	s_wait_loadcnt_dscnt 0xa00
	v_mul_f64_e32 v[144:145], v[2:3], v[12:13]
	v_mul_f64_e32 v[12:13], v[4:5], v[12:13]
	v_add_f64_e32 v[43:44], 0, v[43:44]
	v_add_f64_e32 v[140:141], 0, v[142:143]
	s_wait_loadcnt 0x9
	v_mul_f64_e32 v[142:143], v[136:137], v[16:17]
	v_mul_f64_e32 v[16:17], v[138:139], v[16:17]
	v_fma_f64 v[144:145], v[4:5], v[10:11], v[144:145]
	v_fma_f64 v[146:147], v[2:3], v[10:11], -v[12:13]
	ds_load_b128 v[2:5], v1 offset:1024
	scratch_load_b128 v[10:13], off, off offset:544
	v_add_f64_e32 v[43:44], v[43:44], v[124:125]
	v_add_f64_e32 v[140:141], v[140:141], v[126:127]
	ds_load_b128 v[124:127], v1 offset:1040
	v_fma_f64 v[138:139], v[138:139], v[14:15], v[142:143]
	v_fma_f64 v[136:137], v[136:137], v[14:15], -v[16:17]
	scratch_load_b128 v[14:17], off, off offset:560
	s_wait_loadcnt_dscnt 0xa01
	v_mul_f64_e32 v[148:149], v[2:3], v[20:21]
	v_mul_f64_e32 v[20:21], v[4:5], v[20:21]
	s_wait_loadcnt_dscnt 0x900
	v_mul_f64_e32 v[142:143], v[124:125], v[24:25]
	v_mul_f64_e32 v[24:25], v[126:127], v[24:25]
	v_add_f64_e32 v[43:44], v[43:44], v[146:147]
	v_add_f64_e32 v[140:141], v[140:141], v[144:145]
	v_fma_f64 v[144:145], v[4:5], v[18:19], v[148:149]
	v_fma_f64 v[146:147], v[2:3], v[18:19], -v[20:21]
	ds_load_b128 v[2:5], v1 offset:1056
	scratch_load_b128 v[18:21], off, off offset:576
	v_fma_f64 v[126:127], v[126:127], v[22:23], v[142:143]
	v_fma_f64 v[124:125], v[124:125], v[22:23], -v[24:25]
	scratch_load_b128 v[22:25], off, off offset:592
	v_add_f64_e32 v[43:44], v[43:44], v[136:137]
	v_add_f64_e32 v[140:141], v[140:141], v[138:139]
	ds_load_b128 v[136:139], v1 offset:1072
	s_wait_loadcnt_dscnt 0xa01
	v_mul_f64_e32 v[148:149], v[2:3], v[28:29]
	v_mul_f64_e32 v[28:29], v[4:5], v[28:29]
	s_wait_loadcnt_dscnt 0x900
	v_mul_f64_e32 v[142:143], v[136:137], v[32:33]
	v_mul_f64_e32 v[32:33], v[138:139], v[32:33]
	v_add_f64_e32 v[43:44], v[43:44], v[146:147]
	v_add_f64_e32 v[140:141], v[140:141], v[144:145]
	v_fma_f64 v[144:145], v[4:5], v[26:27], v[148:149]
	v_fma_f64 v[146:147], v[2:3], v[26:27], -v[28:29]
	ds_load_b128 v[2:5], v1 offset:1088
	scratch_load_b128 v[26:29], off, off offset:608
	v_fma_f64 v[138:139], v[138:139], v[30:31], v[142:143]
	v_fma_f64 v[136:137], v[136:137], v[30:31], -v[32:33]
	scratch_load_b128 v[30:33], off, off offset:624
	v_add_f64_e32 v[43:44], v[43:44], v[124:125]
	v_add_f64_e32 v[140:141], v[140:141], v[126:127]
	ds_load_b128 v[124:127], v1 offset:1104
	s_wait_loadcnt_dscnt 0xa01
	v_mul_f64_e32 v[148:149], v[2:3], v[36:37]
	v_mul_f64_e32 v[36:37], v[4:5], v[36:37]
	s_wait_loadcnt_dscnt 0x800
	v_mul_f64_e32 v[142:143], v[124:125], v[134:135]
	v_mul_f64_e32 v[134:135], v[126:127], v[134:135]
	v_add_f64_e32 v[43:44], v[43:44], v[146:147]
	v_add_f64_e32 v[140:141], v[140:141], v[144:145]
	v_fma_f64 v[144:145], v[4:5], v[34:35], v[148:149]
	v_fma_f64 v[146:147], v[2:3], v[34:35], -v[36:37]
	ds_load_b128 v[2:5], v1 offset:1120
	ds_load_b128 v[34:37], v1 offset:1136
	v_fma_f64 v[126:127], v[126:127], v[132:133], v[142:143]
	v_fma_f64 v[124:125], v[124:125], v[132:133], -v[134:135]
	v_add_f64_e32 v[43:44], v[43:44], v[136:137]
	v_add_f64_e32 v[136:137], v[140:141], v[138:139]
	s_wait_loadcnt_dscnt 0x701
	v_mul_f64_e32 v[138:139], v[2:3], v[41:42]
	v_mul_f64_e32 v[41:42], v[4:5], v[41:42]
	s_wait_loadcnt_dscnt 0x600
	v_mul_f64_e32 v[134:135], v[34:35], v[8:9]
	v_mul_f64_e32 v[8:9], v[36:37], v[8:9]
	v_add_f64_e32 v[43:44], v[43:44], v[146:147]
	v_add_f64_e32 v[132:133], v[136:137], v[144:145]
	v_fma_f64 v[136:137], v[4:5], v[39:40], v[138:139]
	v_fma_f64 v[138:139], v[2:3], v[39:40], -v[41:42]
	ds_load_b128 v[2:5], v1 offset:1152
	ds_load_b128 v[39:42], v1 offset:1168
	v_fma_f64 v[36:37], v[36:37], v[6:7], v[134:135]
	v_fma_f64 v[6:7], v[34:35], v[6:7], -v[8:9]
	v_add_f64_e32 v[43:44], v[43:44], v[124:125]
	v_add_f64_e32 v[124:125], v[132:133], v[126:127]
	s_wait_loadcnt_dscnt 0x501
	v_mul_f64_e32 v[126:127], v[2:3], v[12:13]
	v_mul_f64_e32 v[12:13], v[4:5], v[12:13]
	s_delay_alu instid0(VALU_DEP_4) | instskip(NEXT) | instid1(VALU_DEP_4)
	v_add_f64_e32 v[8:9], v[43:44], v[138:139]
	v_add_f64_e32 v[34:35], v[124:125], v[136:137]
	s_wait_loadcnt_dscnt 0x400
	v_mul_f64_e32 v[43:44], v[39:40], v[16:17]
	v_mul_f64_e32 v[16:17], v[41:42], v[16:17]
	v_fma_f64 v[124:125], v[4:5], v[10:11], v[126:127]
	v_fma_f64 v[10:11], v[2:3], v[10:11], -v[12:13]
	v_add_f64_e32 v[12:13], v[8:9], v[6:7]
	v_add_f64_e32 v[34:35], v[34:35], v[36:37]
	ds_load_b128 v[2:5], v1 offset:1184
	ds_load_b128 v[6:9], v1 offset:1200
	v_fma_f64 v[41:42], v[41:42], v[14:15], v[43:44]
	v_fma_f64 v[14:15], v[39:40], v[14:15], -v[16:17]
	s_wait_loadcnt_dscnt 0x301
	v_mul_f64_e32 v[36:37], v[2:3], v[20:21]
	v_mul_f64_e32 v[20:21], v[4:5], v[20:21]
	s_wait_loadcnt_dscnt 0x200
	v_mul_f64_e32 v[16:17], v[6:7], v[24:25]
	v_mul_f64_e32 v[24:25], v[8:9], v[24:25]
	v_add_f64_e32 v[10:11], v[12:13], v[10:11]
	v_add_f64_e32 v[12:13], v[34:35], v[124:125]
	v_fma_f64 v[34:35], v[4:5], v[18:19], v[36:37]
	v_fma_f64 v[18:19], v[2:3], v[18:19], -v[20:21]
	v_fma_f64 v[8:9], v[8:9], v[22:23], v[16:17]
	v_fma_f64 v[6:7], v[6:7], v[22:23], -v[24:25]
	v_add_f64_e32 v[14:15], v[10:11], v[14:15]
	v_add_f64_e32 v[20:21], v[12:13], v[41:42]
	ds_load_b128 v[2:5], v1 offset:1216
	ds_load_b128 v[10:13], v1 offset:1232
	s_wait_loadcnt_dscnt 0x101
	v_mul_f64_e32 v[36:37], v[2:3], v[28:29]
	v_mul_f64_e32 v[28:29], v[4:5], v[28:29]
	v_add_f64_e32 v[14:15], v[14:15], v[18:19]
	v_add_f64_e32 v[16:17], v[20:21], v[34:35]
	s_wait_loadcnt_dscnt 0x0
	v_mul_f64_e32 v[18:19], v[10:11], v[32:33]
	v_mul_f64_e32 v[20:21], v[12:13], v[32:33]
	v_fma_f64 v[4:5], v[4:5], v[26:27], v[36:37]
	v_fma_f64 v[1:2], v[2:3], v[26:27], -v[28:29]
	v_add_f64_e32 v[6:7], v[14:15], v[6:7]
	v_add_f64_e32 v[8:9], v[16:17], v[8:9]
	v_fma_f64 v[12:13], v[12:13], v[30:31], v[18:19]
	v_fma_f64 v[10:11], v[10:11], v[30:31], -v[20:21]
	s_delay_alu instid0(VALU_DEP_4) | instskip(NEXT) | instid1(VALU_DEP_4)
	v_add_f64_e32 v[1:2], v[6:7], v[1:2]
	v_add_f64_e32 v[3:4], v[8:9], v[4:5]
	s_delay_alu instid0(VALU_DEP_2) | instskip(NEXT) | instid1(VALU_DEP_2)
	v_add_f64_e32 v[1:2], v[1:2], v[10:11]
	v_add_f64_e32 v[3:4], v[3:4], v[12:13]
	s_delay_alu instid0(VALU_DEP_2) | instskip(NEXT) | instid1(VALU_DEP_2)
	v_add_f64_e64 v[1:2], v[128:129], -v[1:2]
	v_add_f64_e64 v[3:4], v[130:131], -v[3:4]
	scratch_store_b128 off, v[1:4], off offset:336
	v_cmpx_lt_u32_e32 19, v0
	s_cbranch_execz .LBB102_209
; %bb.208:
	scratch_load_b128 v[1:4], off, s36
	v_mov_b32_e32 v5, 0
	s_delay_alu instid0(VALU_DEP_1)
	v_dual_mov_b32 v6, v5 :: v_dual_mov_b32 v7, v5
	v_mov_b32_e32 v8, v5
	scratch_store_b128 off, v[5:8], off offset:320
	s_wait_loadcnt 0x0
	ds_store_b128 v38, v[1:4]
.LBB102_209:
	s_wait_alu 0xfffe
	s_or_b32 exec_lo, exec_lo, s0
	s_wait_storecnt_dscnt 0x0
	s_barrier_signal -1
	s_barrier_wait -1
	global_inv scope:SCOPE_SE
	s_clause 0x7
	scratch_load_b128 v[2:5], off, off offset:336
	scratch_load_b128 v[6:9], off, off offset:352
	;; [unrolled: 1-line block ×8, first 2 shown]
	v_mov_b32_e32 v1, 0
	s_mov_b32 s0, exec_lo
	ds_load_b128 v[34:37], v1 offset:944
	s_clause 0x1
	scratch_load_b128 v[39:42], off, off offset:464
	scratch_load_b128 v[124:127], off, off offset:320
	ds_load_b128 v[128:131], v1 offset:960
	scratch_load_b128 v[132:135], off, off offset:480
	ds_load_b128 v[136:139], v1 offset:992
	s_wait_loadcnt_dscnt 0xa02
	v_mul_f64_e32 v[43:44], v[36:37], v[4:5]
	v_mul_f64_e32 v[4:5], v[34:35], v[4:5]
	s_delay_alu instid0(VALU_DEP_2) | instskip(NEXT) | instid1(VALU_DEP_2)
	v_fma_f64 v[43:44], v[34:35], v[2:3], -v[43:44]
	v_fma_f64 v[142:143], v[36:37], v[2:3], v[4:5]
	ds_load_b128 v[2:5], v1 offset:976
	s_wait_loadcnt_dscnt 0x902
	v_mul_f64_e32 v[140:141], v[128:129], v[8:9]
	v_mul_f64_e32 v[8:9], v[130:131], v[8:9]
	scratch_load_b128 v[34:37], off, off offset:496
	s_wait_loadcnt_dscnt 0x900
	v_mul_f64_e32 v[144:145], v[2:3], v[12:13]
	v_mul_f64_e32 v[12:13], v[4:5], v[12:13]
	v_add_f64_e32 v[43:44], 0, v[43:44]
	v_fma_f64 v[130:131], v[130:131], v[6:7], v[140:141]
	v_fma_f64 v[128:129], v[128:129], v[6:7], -v[8:9]
	v_add_f64_e32 v[140:141], 0, v[142:143]
	scratch_load_b128 v[6:9], off, off offset:512
	v_fma_f64 v[144:145], v[4:5], v[10:11], v[144:145]
	v_fma_f64 v[146:147], v[2:3], v[10:11], -v[12:13]
	ds_load_b128 v[2:5], v1 offset:1008
	s_wait_loadcnt 0x9
	v_mul_f64_e32 v[142:143], v[136:137], v[16:17]
	v_mul_f64_e32 v[16:17], v[138:139], v[16:17]
	scratch_load_b128 v[10:13], off, off offset:528
	v_add_f64_e32 v[43:44], v[43:44], v[128:129]
	v_add_f64_e32 v[140:141], v[140:141], v[130:131]
	s_wait_loadcnt_dscnt 0x900
	v_mul_f64_e32 v[148:149], v[2:3], v[20:21]
	v_mul_f64_e32 v[20:21], v[4:5], v[20:21]
	ds_load_b128 v[128:131], v1 offset:1024
	v_fma_f64 v[138:139], v[138:139], v[14:15], v[142:143]
	v_fma_f64 v[136:137], v[136:137], v[14:15], -v[16:17]
	scratch_load_b128 v[14:17], off, off offset:544
	v_add_f64_e32 v[43:44], v[43:44], v[146:147]
	v_add_f64_e32 v[140:141], v[140:141], v[144:145]
	v_fma_f64 v[144:145], v[4:5], v[18:19], v[148:149]
	v_fma_f64 v[146:147], v[2:3], v[18:19], -v[20:21]
	ds_load_b128 v[2:5], v1 offset:1040
	s_wait_loadcnt_dscnt 0x901
	v_mul_f64_e32 v[142:143], v[128:129], v[24:25]
	v_mul_f64_e32 v[24:25], v[130:131], v[24:25]
	scratch_load_b128 v[18:21], off, off offset:560
	s_wait_loadcnt_dscnt 0x900
	v_mul_f64_e32 v[148:149], v[2:3], v[28:29]
	v_mul_f64_e32 v[28:29], v[4:5], v[28:29]
	v_add_f64_e32 v[43:44], v[43:44], v[136:137]
	v_add_f64_e32 v[140:141], v[140:141], v[138:139]
	ds_load_b128 v[136:139], v1 offset:1056
	v_fma_f64 v[130:131], v[130:131], v[22:23], v[142:143]
	v_fma_f64 v[128:129], v[128:129], v[22:23], -v[24:25]
	scratch_load_b128 v[22:25], off, off offset:576
	v_add_f64_e32 v[43:44], v[43:44], v[146:147]
	v_add_f64_e32 v[140:141], v[140:141], v[144:145]
	v_fma_f64 v[144:145], v[4:5], v[26:27], v[148:149]
	v_fma_f64 v[146:147], v[2:3], v[26:27], -v[28:29]
	ds_load_b128 v[2:5], v1 offset:1072
	s_wait_loadcnt_dscnt 0x901
	v_mul_f64_e32 v[142:143], v[136:137], v[32:33]
	v_mul_f64_e32 v[32:33], v[138:139], v[32:33]
	scratch_load_b128 v[26:29], off, off offset:592
	s_wait_loadcnt_dscnt 0x900
	v_mul_f64_e32 v[148:149], v[2:3], v[41:42]
	v_mul_f64_e32 v[41:42], v[4:5], v[41:42]
	v_add_f64_e32 v[43:44], v[43:44], v[128:129]
	v_add_f64_e32 v[140:141], v[140:141], v[130:131]
	ds_load_b128 v[128:131], v1 offset:1088
	v_fma_f64 v[138:139], v[138:139], v[30:31], v[142:143]
	v_fma_f64 v[136:137], v[136:137], v[30:31], -v[32:33]
	scratch_load_b128 v[30:33], off, off offset:608
	v_add_f64_e32 v[43:44], v[43:44], v[146:147]
	v_add_f64_e32 v[140:141], v[140:141], v[144:145]
	v_fma_f64 v[146:147], v[4:5], v[39:40], v[148:149]
	v_fma_f64 v[148:149], v[2:3], v[39:40], -v[41:42]
	ds_load_b128 v[2:5], v1 offset:1104
	s_wait_loadcnt_dscnt 0x801
	v_mul_f64_e32 v[142:143], v[128:129], v[134:135]
	v_mul_f64_e32 v[144:145], v[130:131], v[134:135]
	scratch_load_b128 v[39:42], off, off offset:624
	v_add_f64_e32 v[43:44], v[43:44], v[136:137]
	v_add_f64_e32 v[138:139], v[140:141], v[138:139]
	ds_load_b128 v[134:137], v1 offset:1120
	v_fma_f64 v[130:131], v[130:131], v[132:133], v[142:143]
	v_fma_f64 v[128:129], v[128:129], v[132:133], -v[144:145]
	s_wait_loadcnt_dscnt 0x801
	v_mul_f64_e32 v[140:141], v[2:3], v[36:37]
	v_mul_f64_e32 v[36:37], v[4:5], v[36:37]
	v_add_f64_e32 v[43:44], v[43:44], v[148:149]
	v_add_f64_e32 v[132:133], v[138:139], v[146:147]
	s_delay_alu instid0(VALU_DEP_4)
	v_fma_f64 v[140:141], v[4:5], v[34:35], v[140:141]
	s_wait_loadcnt_dscnt 0x700
	v_mul_f64_e32 v[138:139], v[134:135], v[8:9]
	v_mul_f64_e32 v[8:9], v[136:137], v[8:9]
	v_fma_f64 v[142:143], v[2:3], v[34:35], -v[36:37]
	ds_load_b128 v[2:5], v1 offset:1136
	ds_load_b128 v[34:37], v1 offset:1152
	v_add_f64_e32 v[43:44], v[43:44], v[128:129]
	v_add_f64_e32 v[128:129], v[132:133], v[130:131]
	s_wait_loadcnt_dscnt 0x601
	v_mul_f64_e32 v[130:131], v[2:3], v[12:13]
	v_mul_f64_e32 v[12:13], v[4:5], v[12:13]
	v_fma_f64 v[132:133], v[136:137], v[6:7], v[138:139]
	v_fma_f64 v[6:7], v[134:135], v[6:7], -v[8:9]
	v_add_f64_e32 v[8:9], v[43:44], v[142:143]
	v_add_f64_e32 v[43:44], v[128:129], v[140:141]
	s_wait_loadcnt_dscnt 0x500
	v_mul_f64_e32 v[128:129], v[34:35], v[16:17]
	v_mul_f64_e32 v[16:17], v[36:37], v[16:17]
	v_fma_f64 v[130:131], v[4:5], v[10:11], v[130:131]
	v_fma_f64 v[10:11], v[2:3], v[10:11], -v[12:13]
	v_add_f64_e32 v[12:13], v[8:9], v[6:7]
	v_add_f64_e32 v[43:44], v[43:44], v[132:133]
	ds_load_b128 v[2:5], v1 offset:1168
	ds_load_b128 v[6:9], v1 offset:1184
	v_fma_f64 v[36:37], v[36:37], v[14:15], v[128:129]
	v_fma_f64 v[14:15], v[34:35], v[14:15], -v[16:17]
	s_wait_loadcnt_dscnt 0x401
	v_mul_f64_e32 v[132:133], v[2:3], v[20:21]
	v_mul_f64_e32 v[20:21], v[4:5], v[20:21]
	s_wait_loadcnt_dscnt 0x300
	v_mul_f64_e32 v[16:17], v[6:7], v[24:25]
	v_mul_f64_e32 v[24:25], v[8:9], v[24:25]
	v_add_f64_e32 v[10:11], v[12:13], v[10:11]
	v_add_f64_e32 v[12:13], v[43:44], v[130:131]
	v_fma_f64 v[34:35], v[4:5], v[18:19], v[132:133]
	v_fma_f64 v[18:19], v[2:3], v[18:19], -v[20:21]
	v_fma_f64 v[8:9], v[8:9], v[22:23], v[16:17]
	v_fma_f64 v[6:7], v[6:7], v[22:23], -v[24:25]
	v_add_f64_e32 v[14:15], v[10:11], v[14:15]
	v_add_f64_e32 v[20:21], v[12:13], v[36:37]
	ds_load_b128 v[2:5], v1 offset:1200
	ds_load_b128 v[10:13], v1 offset:1216
	s_wait_loadcnt_dscnt 0x201
	v_mul_f64_e32 v[36:37], v[2:3], v[28:29]
	v_mul_f64_e32 v[28:29], v[4:5], v[28:29]
	v_add_f64_e32 v[14:15], v[14:15], v[18:19]
	v_add_f64_e32 v[16:17], v[20:21], v[34:35]
	s_wait_loadcnt_dscnt 0x100
	v_mul_f64_e32 v[18:19], v[10:11], v[32:33]
	v_mul_f64_e32 v[20:21], v[12:13], v[32:33]
	v_fma_f64 v[22:23], v[4:5], v[26:27], v[36:37]
	v_fma_f64 v[24:25], v[2:3], v[26:27], -v[28:29]
	ds_load_b128 v[2:5], v1 offset:1232
	v_add_f64_e32 v[6:7], v[14:15], v[6:7]
	v_add_f64_e32 v[8:9], v[16:17], v[8:9]
	v_fma_f64 v[12:13], v[12:13], v[30:31], v[18:19]
	v_fma_f64 v[10:11], v[10:11], v[30:31], -v[20:21]
	s_wait_loadcnt_dscnt 0x0
	v_mul_f64_e32 v[14:15], v[2:3], v[41:42]
	v_mul_f64_e32 v[16:17], v[4:5], v[41:42]
	v_add_f64_e32 v[6:7], v[6:7], v[24:25]
	v_add_f64_e32 v[8:9], v[8:9], v[22:23]
	s_delay_alu instid0(VALU_DEP_4) | instskip(NEXT) | instid1(VALU_DEP_4)
	v_fma_f64 v[4:5], v[4:5], v[39:40], v[14:15]
	v_fma_f64 v[2:3], v[2:3], v[39:40], -v[16:17]
	s_delay_alu instid0(VALU_DEP_4) | instskip(NEXT) | instid1(VALU_DEP_4)
	v_add_f64_e32 v[6:7], v[6:7], v[10:11]
	v_add_f64_e32 v[8:9], v[8:9], v[12:13]
	s_delay_alu instid0(VALU_DEP_2) | instskip(NEXT) | instid1(VALU_DEP_2)
	v_add_f64_e32 v[2:3], v[6:7], v[2:3]
	v_add_f64_e32 v[4:5], v[8:9], v[4:5]
	s_delay_alu instid0(VALU_DEP_2) | instskip(NEXT) | instid1(VALU_DEP_2)
	v_add_f64_e64 v[2:3], v[124:125], -v[2:3]
	v_add_f64_e64 v[4:5], v[126:127], -v[4:5]
	scratch_store_b128 off, v[2:5], off offset:320
	v_cmpx_lt_u32_e32 18, v0
	s_cbranch_execz .LBB102_211
; %bb.210:
	scratch_load_b128 v[5:8], off, s16
	v_dual_mov_b32 v2, v1 :: v_dual_mov_b32 v3, v1
	v_mov_b32_e32 v4, v1
	scratch_store_b128 off, v[1:4], off offset:304
	s_wait_loadcnt 0x0
	ds_store_b128 v38, v[5:8]
.LBB102_211:
	s_wait_alu 0xfffe
	s_or_b32 exec_lo, exec_lo, s0
	s_wait_storecnt_dscnt 0x0
	s_barrier_signal -1
	s_barrier_wait -1
	global_inv scope:SCOPE_SE
	s_clause 0x8
	scratch_load_b128 v[2:5], off, off offset:320
	scratch_load_b128 v[6:9], off, off offset:336
	;; [unrolled: 1-line block ×9, first 2 shown]
	ds_load_b128 v[39:42], v1 offset:928
	ds_load_b128 v[124:127], v1 offset:944
	s_clause 0x1
	scratch_load_b128 v[128:131], off, off offset:304
	scratch_load_b128 v[132:135], off, off offset:464
	s_mov_b32 s0, exec_lo
	ds_load_b128 v[136:139], v1 offset:976
	s_wait_loadcnt_dscnt 0xa02
	v_mul_f64_e32 v[43:44], v[41:42], v[4:5]
	v_mul_f64_e32 v[4:5], v[39:40], v[4:5]
	s_wait_loadcnt_dscnt 0x901
	v_mul_f64_e32 v[140:141], v[124:125], v[8:9]
	v_mul_f64_e32 v[8:9], v[126:127], v[8:9]
	s_delay_alu instid0(VALU_DEP_4) | instskip(NEXT) | instid1(VALU_DEP_4)
	v_fma_f64 v[43:44], v[39:40], v[2:3], -v[43:44]
	v_fma_f64 v[142:143], v[41:42], v[2:3], v[4:5]
	ds_load_b128 v[2:5], v1 offset:960
	scratch_load_b128 v[39:42], off, off offset:480
	v_fma_f64 v[126:127], v[126:127], v[6:7], v[140:141]
	v_fma_f64 v[124:125], v[124:125], v[6:7], -v[8:9]
	scratch_load_b128 v[6:9], off, off offset:496
	s_wait_loadcnt_dscnt 0xa00
	v_mul_f64_e32 v[144:145], v[2:3], v[12:13]
	v_mul_f64_e32 v[12:13], v[4:5], v[12:13]
	v_add_f64_e32 v[43:44], 0, v[43:44]
	v_add_f64_e32 v[140:141], 0, v[142:143]
	s_wait_loadcnt 0x9
	v_mul_f64_e32 v[142:143], v[136:137], v[16:17]
	v_mul_f64_e32 v[16:17], v[138:139], v[16:17]
	v_fma_f64 v[144:145], v[4:5], v[10:11], v[144:145]
	v_fma_f64 v[146:147], v[2:3], v[10:11], -v[12:13]
	ds_load_b128 v[2:5], v1 offset:992
	scratch_load_b128 v[10:13], off, off offset:512
	v_add_f64_e32 v[43:44], v[43:44], v[124:125]
	v_add_f64_e32 v[140:141], v[140:141], v[126:127]
	ds_load_b128 v[124:127], v1 offset:1008
	v_fma_f64 v[138:139], v[138:139], v[14:15], v[142:143]
	v_fma_f64 v[136:137], v[136:137], v[14:15], -v[16:17]
	scratch_load_b128 v[14:17], off, off offset:528
	s_wait_loadcnt_dscnt 0xa01
	v_mul_f64_e32 v[148:149], v[2:3], v[20:21]
	v_mul_f64_e32 v[20:21], v[4:5], v[20:21]
	s_wait_loadcnt_dscnt 0x900
	v_mul_f64_e32 v[142:143], v[124:125], v[24:25]
	v_mul_f64_e32 v[24:25], v[126:127], v[24:25]
	v_add_f64_e32 v[43:44], v[43:44], v[146:147]
	v_add_f64_e32 v[140:141], v[140:141], v[144:145]
	v_fma_f64 v[144:145], v[4:5], v[18:19], v[148:149]
	v_fma_f64 v[146:147], v[2:3], v[18:19], -v[20:21]
	ds_load_b128 v[2:5], v1 offset:1024
	scratch_load_b128 v[18:21], off, off offset:544
	v_fma_f64 v[126:127], v[126:127], v[22:23], v[142:143]
	v_fma_f64 v[124:125], v[124:125], v[22:23], -v[24:25]
	scratch_load_b128 v[22:25], off, off offset:560
	v_add_f64_e32 v[43:44], v[43:44], v[136:137]
	v_add_f64_e32 v[140:141], v[140:141], v[138:139]
	ds_load_b128 v[136:139], v1 offset:1040
	s_wait_loadcnt_dscnt 0xa01
	v_mul_f64_e32 v[148:149], v[2:3], v[28:29]
	v_mul_f64_e32 v[28:29], v[4:5], v[28:29]
	s_wait_loadcnt_dscnt 0x900
	v_mul_f64_e32 v[142:143], v[136:137], v[32:33]
	v_mul_f64_e32 v[32:33], v[138:139], v[32:33]
	v_add_f64_e32 v[43:44], v[43:44], v[146:147]
	v_add_f64_e32 v[140:141], v[140:141], v[144:145]
	v_fma_f64 v[144:145], v[4:5], v[26:27], v[148:149]
	v_fma_f64 v[146:147], v[2:3], v[26:27], -v[28:29]
	ds_load_b128 v[2:5], v1 offset:1056
	scratch_load_b128 v[26:29], off, off offset:576
	v_fma_f64 v[138:139], v[138:139], v[30:31], v[142:143]
	v_fma_f64 v[136:137], v[136:137], v[30:31], -v[32:33]
	scratch_load_b128 v[30:33], off, off offset:592
	v_add_f64_e32 v[43:44], v[43:44], v[124:125]
	v_add_f64_e32 v[140:141], v[140:141], v[126:127]
	ds_load_b128 v[124:127], v1 offset:1072
	s_wait_loadcnt_dscnt 0xa01
	v_mul_f64_e32 v[148:149], v[2:3], v[36:37]
	v_mul_f64_e32 v[36:37], v[4:5], v[36:37]
	s_wait_loadcnt_dscnt 0x800
	v_mul_f64_e32 v[142:143], v[124:125], v[134:135]
	v_add_f64_e32 v[43:44], v[43:44], v[146:147]
	v_add_f64_e32 v[140:141], v[140:141], v[144:145]
	v_mul_f64_e32 v[144:145], v[126:127], v[134:135]
	v_fma_f64 v[146:147], v[4:5], v[34:35], v[148:149]
	v_fma_f64 v[148:149], v[2:3], v[34:35], -v[36:37]
	ds_load_b128 v[2:5], v1 offset:1088
	scratch_load_b128 v[34:37], off, off offset:608
	v_fma_f64 v[126:127], v[126:127], v[132:133], v[142:143]
	v_add_f64_e32 v[43:44], v[43:44], v[136:137]
	v_add_f64_e32 v[138:139], v[140:141], v[138:139]
	ds_load_b128 v[134:137], v1 offset:1104
	v_fma_f64 v[124:125], v[124:125], v[132:133], -v[144:145]
	s_wait_loadcnt_dscnt 0x801
	v_mul_f64_e32 v[140:141], v[2:3], v[41:42]
	v_mul_f64_e32 v[150:151], v[4:5], v[41:42]
	s_wait_loadcnt_dscnt 0x700
	v_mul_f64_e32 v[142:143], v[134:135], v[8:9]
	v_mul_f64_e32 v[8:9], v[136:137], v[8:9]
	v_add_f64_e32 v[132:133], v[43:44], v[148:149]
	v_add_f64_e32 v[138:139], v[138:139], v[146:147]
	scratch_load_b128 v[41:44], off, off offset:624
	v_fma_f64 v[140:141], v[4:5], v[39:40], v[140:141]
	v_fma_f64 v[39:40], v[2:3], v[39:40], -v[150:151]
	v_fma_f64 v[136:137], v[136:137], v[6:7], v[142:143]
	v_fma_f64 v[6:7], v[134:135], v[6:7], -v[8:9]
	v_add_f64_e32 v[132:133], v[132:133], v[124:125]
	v_add_f64_e32 v[138:139], v[138:139], v[126:127]
	ds_load_b128 v[2:5], v1 offset:1120
	ds_load_b128 v[124:127], v1 offset:1136
	s_wait_loadcnt_dscnt 0x701
	v_mul_f64_e32 v[144:145], v[2:3], v[12:13]
	v_mul_f64_e32 v[12:13], v[4:5], v[12:13]
	v_add_f64_e32 v[8:9], v[132:133], v[39:40]
	v_add_f64_e32 v[39:40], v[138:139], v[140:141]
	s_wait_loadcnt_dscnt 0x600
	v_mul_f64_e32 v[132:133], v[124:125], v[16:17]
	v_mul_f64_e32 v[16:17], v[126:127], v[16:17]
	v_fma_f64 v[134:135], v[4:5], v[10:11], v[144:145]
	v_fma_f64 v[10:11], v[2:3], v[10:11], -v[12:13]
	v_add_f64_e32 v[12:13], v[8:9], v[6:7]
	v_add_f64_e32 v[39:40], v[39:40], v[136:137]
	ds_load_b128 v[2:5], v1 offset:1152
	ds_load_b128 v[6:9], v1 offset:1168
	v_fma_f64 v[126:127], v[126:127], v[14:15], v[132:133]
	v_fma_f64 v[14:15], v[124:125], v[14:15], -v[16:17]
	s_wait_loadcnt_dscnt 0x501
	v_mul_f64_e32 v[136:137], v[2:3], v[20:21]
	v_mul_f64_e32 v[20:21], v[4:5], v[20:21]
	s_wait_loadcnt_dscnt 0x400
	v_mul_f64_e32 v[16:17], v[6:7], v[24:25]
	v_mul_f64_e32 v[24:25], v[8:9], v[24:25]
	v_add_f64_e32 v[10:11], v[12:13], v[10:11]
	v_add_f64_e32 v[12:13], v[39:40], v[134:135]
	v_fma_f64 v[39:40], v[4:5], v[18:19], v[136:137]
	v_fma_f64 v[18:19], v[2:3], v[18:19], -v[20:21]
	v_fma_f64 v[8:9], v[8:9], v[22:23], v[16:17]
	v_fma_f64 v[6:7], v[6:7], v[22:23], -v[24:25]
	v_add_f64_e32 v[14:15], v[10:11], v[14:15]
	v_add_f64_e32 v[20:21], v[12:13], v[126:127]
	ds_load_b128 v[2:5], v1 offset:1184
	ds_load_b128 v[10:13], v1 offset:1200
	s_wait_loadcnt_dscnt 0x301
	v_mul_f64_e32 v[124:125], v[2:3], v[28:29]
	v_mul_f64_e32 v[28:29], v[4:5], v[28:29]
	v_add_f64_e32 v[14:15], v[14:15], v[18:19]
	v_add_f64_e32 v[16:17], v[20:21], v[39:40]
	s_wait_loadcnt_dscnt 0x200
	v_mul_f64_e32 v[18:19], v[10:11], v[32:33]
	v_mul_f64_e32 v[20:21], v[12:13], v[32:33]
	v_fma_f64 v[22:23], v[4:5], v[26:27], v[124:125]
	v_fma_f64 v[24:25], v[2:3], v[26:27], -v[28:29]
	v_add_f64_e32 v[14:15], v[14:15], v[6:7]
	v_add_f64_e32 v[16:17], v[16:17], v[8:9]
	ds_load_b128 v[2:5], v1 offset:1216
	ds_load_b128 v[6:9], v1 offset:1232
	v_fma_f64 v[12:13], v[12:13], v[30:31], v[18:19]
	v_fma_f64 v[10:11], v[10:11], v[30:31], -v[20:21]
	s_wait_loadcnt_dscnt 0x101
	v_mul_f64_e32 v[26:27], v[2:3], v[36:37]
	v_mul_f64_e32 v[28:29], v[4:5], v[36:37]
	v_add_f64_e32 v[14:15], v[14:15], v[24:25]
	v_add_f64_e32 v[16:17], v[16:17], v[22:23]
	s_wait_loadcnt_dscnt 0x0
	v_mul_f64_e32 v[18:19], v[6:7], v[43:44]
	v_mul_f64_e32 v[20:21], v[8:9], v[43:44]
	v_fma_f64 v[4:5], v[4:5], v[34:35], v[26:27]
	v_fma_f64 v[1:2], v[2:3], v[34:35], -v[28:29]
	v_add_f64_e32 v[10:11], v[14:15], v[10:11]
	v_add_f64_e32 v[12:13], v[16:17], v[12:13]
	v_fma_f64 v[8:9], v[8:9], v[41:42], v[18:19]
	v_fma_f64 v[6:7], v[6:7], v[41:42], -v[20:21]
	s_delay_alu instid0(VALU_DEP_4) | instskip(NEXT) | instid1(VALU_DEP_4)
	v_add_f64_e32 v[1:2], v[10:11], v[1:2]
	v_add_f64_e32 v[3:4], v[12:13], v[4:5]
	s_delay_alu instid0(VALU_DEP_2) | instskip(NEXT) | instid1(VALU_DEP_2)
	v_add_f64_e32 v[1:2], v[1:2], v[6:7]
	v_add_f64_e32 v[3:4], v[3:4], v[8:9]
	s_delay_alu instid0(VALU_DEP_2) | instskip(NEXT) | instid1(VALU_DEP_2)
	v_add_f64_e64 v[1:2], v[128:129], -v[1:2]
	v_add_f64_e64 v[3:4], v[130:131], -v[3:4]
	scratch_store_b128 off, v[1:4], off offset:304
	v_cmpx_lt_u32_e32 17, v0
	s_cbranch_execz .LBB102_213
; %bb.212:
	scratch_load_b128 v[1:4], off, s35
	v_mov_b32_e32 v5, 0
	s_delay_alu instid0(VALU_DEP_1)
	v_dual_mov_b32 v6, v5 :: v_dual_mov_b32 v7, v5
	v_mov_b32_e32 v8, v5
	scratch_store_b128 off, v[5:8], off offset:288
	s_wait_loadcnt 0x0
	ds_store_b128 v38, v[1:4]
.LBB102_213:
	s_wait_alu 0xfffe
	s_or_b32 exec_lo, exec_lo, s0
	s_wait_storecnt_dscnt 0x0
	s_barrier_signal -1
	s_barrier_wait -1
	global_inv scope:SCOPE_SE
	s_clause 0x7
	scratch_load_b128 v[2:5], off, off offset:304
	scratch_load_b128 v[6:9], off, off offset:320
	;; [unrolled: 1-line block ×8, first 2 shown]
	v_mov_b32_e32 v1, 0
	s_mov_b32 s0, exec_lo
	ds_load_b128 v[34:37], v1 offset:912
	s_clause 0x1
	scratch_load_b128 v[39:42], off, off offset:432
	scratch_load_b128 v[124:127], off, off offset:288
	ds_load_b128 v[128:131], v1 offset:928
	scratch_load_b128 v[132:135], off, off offset:448
	ds_load_b128 v[136:139], v1 offset:960
	s_wait_loadcnt_dscnt 0xa02
	v_mul_f64_e32 v[43:44], v[36:37], v[4:5]
	v_mul_f64_e32 v[4:5], v[34:35], v[4:5]
	s_delay_alu instid0(VALU_DEP_2) | instskip(NEXT) | instid1(VALU_DEP_2)
	v_fma_f64 v[43:44], v[34:35], v[2:3], -v[43:44]
	v_fma_f64 v[142:143], v[36:37], v[2:3], v[4:5]
	ds_load_b128 v[2:5], v1 offset:944
	s_wait_loadcnt_dscnt 0x902
	v_mul_f64_e32 v[140:141], v[128:129], v[8:9]
	v_mul_f64_e32 v[8:9], v[130:131], v[8:9]
	scratch_load_b128 v[34:37], off, off offset:464
	s_wait_loadcnt_dscnt 0x900
	v_mul_f64_e32 v[144:145], v[2:3], v[12:13]
	v_mul_f64_e32 v[12:13], v[4:5], v[12:13]
	v_add_f64_e32 v[43:44], 0, v[43:44]
	v_fma_f64 v[130:131], v[130:131], v[6:7], v[140:141]
	v_fma_f64 v[128:129], v[128:129], v[6:7], -v[8:9]
	v_add_f64_e32 v[140:141], 0, v[142:143]
	scratch_load_b128 v[6:9], off, off offset:480
	v_fma_f64 v[144:145], v[4:5], v[10:11], v[144:145]
	v_fma_f64 v[146:147], v[2:3], v[10:11], -v[12:13]
	ds_load_b128 v[2:5], v1 offset:976
	s_wait_loadcnt 0x9
	v_mul_f64_e32 v[142:143], v[136:137], v[16:17]
	v_mul_f64_e32 v[16:17], v[138:139], v[16:17]
	scratch_load_b128 v[10:13], off, off offset:496
	v_add_f64_e32 v[43:44], v[43:44], v[128:129]
	v_add_f64_e32 v[140:141], v[140:141], v[130:131]
	s_wait_loadcnt_dscnt 0x900
	v_mul_f64_e32 v[148:149], v[2:3], v[20:21]
	v_mul_f64_e32 v[20:21], v[4:5], v[20:21]
	ds_load_b128 v[128:131], v1 offset:992
	v_fma_f64 v[138:139], v[138:139], v[14:15], v[142:143]
	v_fma_f64 v[136:137], v[136:137], v[14:15], -v[16:17]
	scratch_load_b128 v[14:17], off, off offset:512
	v_add_f64_e32 v[43:44], v[43:44], v[146:147]
	v_add_f64_e32 v[140:141], v[140:141], v[144:145]
	v_fma_f64 v[144:145], v[4:5], v[18:19], v[148:149]
	v_fma_f64 v[146:147], v[2:3], v[18:19], -v[20:21]
	ds_load_b128 v[2:5], v1 offset:1008
	s_wait_loadcnt_dscnt 0x901
	v_mul_f64_e32 v[142:143], v[128:129], v[24:25]
	v_mul_f64_e32 v[24:25], v[130:131], v[24:25]
	scratch_load_b128 v[18:21], off, off offset:528
	s_wait_loadcnt_dscnt 0x900
	v_mul_f64_e32 v[148:149], v[2:3], v[28:29]
	v_mul_f64_e32 v[28:29], v[4:5], v[28:29]
	v_add_f64_e32 v[43:44], v[43:44], v[136:137]
	v_add_f64_e32 v[140:141], v[140:141], v[138:139]
	ds_load_b128 v[136:139], v1 offset:1024
	v_fma_f64 v[130:131], v[130:131], v[22:23], v[142:143]
	v_fma_f64 v[128:129], v[128:129], v[22:23], -v[24:25]
	scratch_load_b128 v[22:25], off, off offset:544
	v_add_f64_e32 v[43:44], v[43:44], v[146:147]
	v_add_f64_e32 v[140:141], v[140:141], v[144:145]
	v_fma_f64 v[144:145], v[4:5], v[26:27], v[148:149]
	v_fma_f64 v[146:147], v[2:3], v[26:27], -v[28:29]
	ds_load_b128 v[2:5], v1 offset:1040
	s_wait_loadcnt_dscnt 0x901
	v_mul_f64_e32 v[142:143], v[136:137], v[32:33]
	v_mul_f64_e32 v[32:33], v[138:139], v[32:33]
	scratch_load_b128 v[26:29], off, off offset:560
	s_wait_loadcnt_dscnt 0x900
	v_mul_f64_e32 v[148:149], v[2:3], v[41:42]
	v_mul_f64_e32 v[41:42], v[4:5], v[41:42]
	v_add_f64_e32 v[43:44], v[43:44], v[128:129]
	v_add_f64_e32 v[140:141], v[140:141], v[130:131]
	ds_load_b128 v[128:131], v1 offset:1056
	v_fma_f64 v[138:139], v[138:139], v[30:31], v[142:143]
	v_fma_f64 v[136:137], v[136:137], v[30:31], -v[32:33]
	scratch_load_b128 v[30:33], off, off offset:576
	v_add_f64_e32 v[43:44], v[43:44], v[146:147]
	v_add_f64_e32 v[140:141], v[140:141], v[144:145]
	v_fma_f64 v[146:147], v[4:5], v[39:40], v[148:149]
	v_fma_f64 v[148:149], v[2:3], v[39:40], -v[41:42]
	ds_load_b128 v[2:5], v1 offset:1072
	s_wait_loadcnt_dscnt 0x801
	v_mul_f64_e32 v[142:143], v[128:129], v[134:135]
	v_mul_f64_e32 v[144:145], v[130:131], v[134:135]
	scratch_load_b128 v[39:42], off, off offset:592
	v_add_f64_e32 v[43:44], v[43:44], v[136:137]
	v_add_f64_e32 v[138:139], v[140:141], v[138:139]
	ds_load_b128 v[134:137], v1 offset:1088
	v_fma_f64 v[142:143], v[130:131], v[132:133], v[142:143]
	v_fma_f64 v[132:133], v[128:129], v[132:133], -v[144:145]
	scratch_load_b128 v[128:131], off, off offset:608
	s_wait_loadcnt_dscnt 0x901
	v_mul_f64_e32 v[140:141], v[2:3], v[36:37]
	v_mul_f64_e32 v[36:37], v[4:5], v[36:37]
	v_add_f64_e32 v[43:44], v[43:44], v[148:149]
	v_add_f64_e32 v[138:139], v[138:139], v[146:147]
	s_delay_alu instid0(VALU_DEP_4) | instskip(NEXT) | instid1(VALU_DEP_4)
	v_fma_f64 v[146:147], v[4:5], v[34:35], v[140:141]
	v_fma_f64 v[148:149], v[2:3], v[34:35], -v[36:37]
	ds_load_b128 v[2:5], v1 offset:1104
	s_wait_loadcnt_dscnt 0x801
	v_mul_f64_e32 v[144:145], v[134:135], v[8:9]
	v_mul_f64_e32 v[8:9], v[136:137], v[8:9]
	scratch_load_b128 v[34:37], off, off offset:624
	v_add_f64_e32 v[43:44], v[43:44], v[132:133]
	v_add_f64_e32 v[132:133], v[138:139], v[142:143]
	s_wait_loadcnt_dscnt 0x800
	v_mul_f64_e32 v[142:143], v[2:3], v[12:13]
	v_mul_f64_e32 v[12:13], v[4:5], v[12:13]
	ds_load_b128 v[138:141], v1 offset:1120
	v_fma_f64 v[136:137], v[136:137], v[6:7], v[144:145]
	v_fma_f64 v[6:7], v[134:135], v[6:7], -v[8:9]
	v_add_f64_e32 v[8:9], v[43:44], v[148:149]
	v_add_f64_e32 v[43:44], v[132:133], v[146:147]
	s_wait_loadcnt_dscnt 0x700
	v_mul_f64_e32 v[132:133], v[138:139], v[16:17]
	v_mul_f64_e32 v[16:17], v[140:141], v[16:17]
	v_fma_f64 v[134:135], v[4:5], v[10:11], v[142:143]
	v_fma_f64 v[10:11], v[2:3], v[10:11], -v[12:13]
	v_add_f64_e32 v[12:13], v[8:9], v[6:7]
	v_add_f64_e32 v[43:44], v[43:44], v[136:137]
	ds_load_b128 v[2:5], v1 offset:1136
	ds_load_b128 v[6:9], v1 offset:1152
	v_fma_f64 v[132:133], v[140:141], v[14:15], v[132:133]
	v_fma_f64 v[14:15], v[138:139], v[14:15], -v[16:17]
	s_wait_loadcnt_dscnt 0x601
	v_mul_f64_e32 v[136:137], v[2:3], v[20:21]
	v_mul_f64_e32 v[20:21], v[4:5], v[20:21]
	s_wait_loadcnt_dscnt 0x500
	v_mul_f64_e32 v[16:17], v[6:7], v[24:25]
	v_mul_f64_e32 v[24:25], v[8:9], v[24:25]
	v_add_f64_e32 v[10:11], v[12:13], v[10:11]
	v_add_f64_e32 v[12:13], v[43:44], v[134:135]
	v_fma_f64 v[43:44], v[4:5], v[18:19], v[136:137]
	v_fma_f64 v[18:19], v[2:3], v[18:19], -v[20:21]
	v_fma_f64 v[8:9], v[8:9], v[22:23], v[16:17]
	v_fma_f64 v[6:7], v[6:7], v[22:23], -v[24:25]
	v_add_f64_e32 v[14:15], v[10:11], v[14:15]
	v_add_f64_e32 v[20:21], v[12:13], v[132:133]
	ds_load_b128 v[2:5], v1 offset:1168
	ds_load_b128 v[10:13], v1 offset:1184
	s_wait_loadcnt_dscnt 0x401
	v_mul_f64_e32 v[132:133], v[2:3], v[28:29]
	v_mul_f64_e32 v[28:29], v[4:5], v[28:29]
	v_add_f64_e32 v[14:15], v[14:15], v[18:19]
	v_add_f64_e32 v[16:17], v[20:21], v[43:44]
	s_wait_loadcnt_dscnt 0x300
	v_mul_f64_e32 v[18:19], v[10:11], v[32:33]
	v_mul_f64_e32 v[20:21], v[12:13], v[32:33]
	v_fma_f64 v[22:23], v[4:5], v[26:27], v[132:133]
	v_fma_f64 v[24:25], v[2:3], v[26:27], -v[28:29]
	v_add_f64_e32 v[14:15], v[14:15], v[6:7]
	v_add_f64_e32 v[16:17], v[16:17], v[8:9]
	ds_load_b128 v[2:5], v1 offset:1200
	ds_load_b128 v[6:9], v1 offset:1216
	v_fma_f64 v[12:13], v[12:13], v[30:31], v[18:19]
	v_fma_f64 v[10:11], v[10:11], v[30:31], -v[20:21]
	s_wait_loadcnt_dscnt 0x201
	v_mul_f64_e32 v[26:27], v[2:3], v[41:42]
	v_mul_f64_e32 v[28:29], v[4:5], v[41:42]
	s_wait_loadcnt_dscnt 0x100
	v_mul_f64_e32 v[18:19], v[6:7], v[130:131]
	v_mul_f64_e32 v[20:21], v[8:9], v[130:131]
	v_add_f64_e32 v[14:15], v[14:15], v[24:25]
	v_add_f64_e32 v[16:17], v[16:17], v[22:23]
	v_fma_f64 v[22:23], v[4:5], v[39:40], v[26:27]
	v_fma_f64 v[24:25], v[2:3], v[39:40], -v[28:29]
	ds_load_b128 v[2:5], v1 offset:1232
	v_fma_f64 v[8:9], v[8:9], v[128:129], v[18:19]
	v_fma_f64 v[6:7], v[6:7], v[128:129], -v[20:21]
	v_add_f64_e32 v[10:11], v[14:15], v[10:11]
	v_add_f64_e32 v[12:13], v[16:17], v[12:13]
	s_wait_loadcnt_dscnt 0x0
	v_mul_f64_e32 v[14:15], v[2:3], v[36:37]
	v_mul_f64_e32 v[16:17], v[4:5], v[36:37]
	s_delay_alu instid0(VALU_DEP_4) | instskip(NEXT) | instid1(VALU_DEP_4)
	v_add_f64_e32 v[10:11], v[10:11], v[24:25]
	v_add_f64_e32 v[12:13], v[12:13], v[22:23]
	s_delay_alu instid0(VALU_DEP_4) | instskip(NEXT) | instid1(VALU_DEP_4)
	v_fma_f64 v[4:5], v[4:5], v[34:35], v[14:15]
	v_fma_f64 v[2:3], v[2:3], v[34:35], -v[16:17]
	s_delay_alu instid0(VALU_DEP_4) | instskip(NEXT) | instid1(VALU_DEP_4)
	v_add_f64_e32 v[6:7], v[10:11], v[6:7]
	v_add_f64_e32 v[8:9], v[12:13], v[8:9]
	s_delay_alu instid0(VALU_DEP_2) | instskip(NEXT) | instid1(VALU_DEP_2)
	v_add_f64_e32 v[2:3], v[6:7], v[2:3]
	v_add_f64_e32 v[4:5], v[8:9], v[4:5]
	s_delay_alu instid0(VALU_DEP_2) | instskip(NEXT) | instid1(VALU_DEP_2)
	v_add_f64_e64 v[2:3], v[124:125], -v[2:3]
	v_add_f64_e64 v[4:5], v[126:127], -v[4:5]
	scratch_store_b128 off, v[2:5], off offset:288
	v_cmpx_lt_u32_e32 16, v0
	s_cbranch_execz .LBB102_215
; %bb.214:
	scratch_load_b128 v[5:8], off, s15
	v_dual_mov_b32 v2, v1 :: v_dual_mov_b32 v3, v1
	v_mov_b32_e32 v4, v1
	scratch_store_b128 off, v[1:4], off offset:272
	s_wait_loadcnt 0x0
	ds_store_b128 v38, v[5:8]
.LBB102_215:
	s_wait_alu 0xfffe
	s_or_b32 exec_lo, exec_lo, s0
	s_wait_storecnt_dscnt 0x0
	s_barrier_signal -1
	s_barrier_wait -1
	global_inv scope:SCOPE_SE
	s_clause 0x8
	scratch_load_b128 v[2:5], off, off offset:288
	scratch_load_b128 v[6:9], off, off offset:304
	scratch_load_b128 v[10:13], off, off offset:320
	scratch_load_b128 v[14:17], off, off offset:336
	scratch_load_b128 v[18:21], off, off offset:352
	scratch_load_b128 v[22:25], off, off offset:368
	scratch_load_b128 v[26:29], off, off offset:384
	scratch_load_b128 v[30:33], off, off offset:400
	scratch_load_b128 v[34:37], off, off offset:416
	ds_load_b128 v[39:42], v1 offset:896
	ds_load_b128 v[124:127], v1 offset:912
	s_clause 0x1
	scratch_load_b128 v[128:131], off, off offset:272
	scratch_load_b128 v[132:135], off, off offset:432
	s_mov_b32 s0, exec_lo
	ds_load_b128 v[136:139], v1 offset:944
	s_wait_loadcnt_dscnt 0xa02
	v_mul_f64_e32 v[43:44], v[41:42], v[4:5]
	v_mul_f64_e32 v[4:5], v[39:40], v[4:5]
	s_wait_loadcnt_dscnt 0x901
	v_mul_f64_e32 v[140:141], v[124:125], v[8:9]
	v_mul_f64_e32 v[8:9], v[126:127], v[8:9]
	s_delay_alu instid0(VALU_DEP_4) | instskip(NEXT) | instid1(VALU_DEP_4)
	v_fma_f64 v[43:44], v[39:40], v[2:3], -v[43:44]
	v_fma_f64 v[142:143], v[41:42], v[2:3], v[4:5]
	ds_load_b128 v[2:5], v1 offset:928
	scratch_load_b128 v[39:42], off, off offset:448
	v_fma_f64 v[126:127], v[126:127], v[6:7], v[140:141]
	v_fma_f64 v[124:125], v[124:125], v[6:7], -v[8:9]
	scratch_load_b128 v[6:9], off, off offset:464
	s_wait_loadcnt_dscnt 0xa00
	v_mul_f64_e32 v[144:145], v[2:3], v[12:13]
	v_mul_f64_e32 v[12:13], v[4:5], v[12:13]
	v_add_f64_e32 v[43:44], 0, v[43:44]
	v_add_f64_e32 v[140:141], 0, v[142:143]
	s_wait_loadcnt 0x9
	v_mul_f64_e32 v[142:143], v[136:137], v[16:17]
	v_mul_f64_e32 v[16:17], v[138:139], v[16:17]
	v_fma_f64 v[144:145], v[4:5], v[10:11], v[144:145]
	v_fma_f64 v[146:147], v[2:3], v[10:11], -v[12:13]
	ds_load_b128 v[2:5], v1 offset:960
	scratch_load_b128 v[10:13], off, off offset:480
	v_add_f64_e32 v[43:44], v[43:44], v[124:125]
	v_add_f64_e32 v[140:141], v[140:141], v[126:127]
	ds_load_b128 v[124:127], v1 offset:976
	v_fma_f64 v[138:139], v[138:139], v[14:15], v[142:143]
	v_fma_f64 v[136:137], v[136:137], v[14:15], -v[16:17]
	scratch_load_b128 v[14:17], off, off offset:496
	s_wait_loadcnt_dscnt 0xa01
	v_mul_f64_e32 v[148:149], v[2:3], v[20:21]
	v_mul_f64_e32 v[20:21], v[4:5], v[20:21]
	s_wait_loadcnt_dscnt 0x900
	v_mul_f64_e32 v[142:143], v[124:125], v[24:25]
	v_mul_f64_e32 v[24:25], v[126:127], v[24:25]
	v_add_f64_e32 v[43:44], v[43:44], v[146:147]
	v_add_f64_e32 v[140:141], v[140:141], v[144:145]
	v_fma_f64 v[144:145], v[4:5], v[18:19], v[148:149]
	v_fma_f64 v[146:147], v[2:3], v[18:19], -v[20:21]
	ds_load_b128 v[2:5], v1 offset:992
	scratch_load_b128 v[18:21], off, off offset:512
	v_fma_f64 v[126:127], v[126:127], v[22:23], v[142:143]
	v_fma_f64 v[124:125], v[124:125], v[22:23], -v[24:25]
	scratch_load_b128 v[22:25], off, off offset:528
	v_add_f64_e32 v[43:44], v[43:44], v[136:137]
	v_add_f64_e32 v[140:141], v[140:141], v[138:139]
	ds_load_b128 v[136:139], v1 offset:1008
	s_wait_loadcnt_dscnt 0xa01
	v_mul_f64_e32 v[148:149], v[2:3], v[28:29]
	v_mul_f64_e32 v[28:29], v[4:5], v[28:29]
	s_wait_loadcnt_dscnt 0x900
	v_mul_f64_e32 v[142:143], v[136:137], v[32:33]
	v_mul_f64_e32 v[32:33], v[138:139], v[32:33]
	v_add_f64_e32 v[43:44], v[43:44], v[146:147]
	v_add_f64_e32 v[140:141], v[140:141], v[144:145]
	v_fma_f64 v[144:145], v[4:5], v[26:27], v[148:149]
	v_fma_f64 v[146:147], v[2:3], v[26:27], -v[28:29]
	ds_load_b128 v[2:5], v1 offset:1024
	scratch_load_b128 v[26:29], off, off offset:544
	v_fma_f64 v[138:139], v[138:139], v[30:31], v[142:143]
	v_fma_f64 v[136:137], v[136:137], v[30:31], -v[32:33]
	scratch_load_b128 v[30:33], off, off offset:560
	v_add_f64_e32 v[43:44], v[43:44], v[124:125]
	v_add_f64_e32 v[140:141], v[140:141], v[126:127]
	ds_load_b128 v[124:127], v1 offset:1040
	s_wait_loadcnt_dscnt 0xa01
	v_mul_f64_e32 v[148:149], v[2:3], v[36:37]
	v_mul_f64_e32 v[36:37], v[4:5], v[36:37]
	s_wait_loadcnt_dscnt 0x800
	v_mul_f64_e32 v[142:143], v[124:125], v[134:135]
	v_add_f64_e32 v[43:44], v[43:44], v[146:147]
	v_add_f64_e32 v[140:141], v[140:141], v[144:145]
	v_mul_f64_e32 v[144:145], v[126:127], v[134:135]
	v_fma_f64 v[146:147], v[4:5], v[34:35], v[148:149]
	v_fma_f64 v[148:149], v[2:3], v[34:35], -v[36:37]
	ds_load_b128 v[2:5], v1 offset:1056
	scratch_load_b128 v[34:37], off, off offset:576
	v_fma_f64 v[126:127], v[126:127], v[132:133], v[142:143]
	v_add_f64_e32 v[43:44], v[43:44], v[136:137]
	v_add_f64_e32 v[138:139], v[140:141], v[138:139]
	ds_load_b128 v[134:137], v1 offset:1072
	v_fma_f64 v[124:125], v[124:125], v[132:133], -v[144:145]
	s_wait_loadcnt_dscnt 0x801
	v_mul_f64_e32 v[140:141], v[2:3], v[41:42]
	v_mul_f64_e32 v[150:151], v[4:5], v[41:42]
	s_wait_loadcnt_dscnt 0x700
	v_mul_f64_e32 v[142:143], v[134:135], v[8:9]
	v_mul_f64_e32 v[8:9], v[136:137], v[8:9]
	v_add_f64_e32 v[132:133], v[43:44], v[148:149]
	v_add_f64_e32 v[138:139], v[138:139], v[146:147]
	scratch_load_b128 v[41:44], off, off offset:592
	v_fma_f64 v[144:145], v[4:5], v[39:40], v[140:141]
	v_fma_f64 v[39:40], v[2:3], v[39:40], -v[150:151]
	ds_load_b128 v[2:5], v1 offset:1088
	v_fma_f64 v[136:137], v[136:137], v[6:7], v[142:143]
	v_fma_f64 v[134:135], v[134:135], v[6:7], -v[8:9]
	scratch_load_b128 v[6:9], off, off offset:624
	v_add_f64_e32 v[132:133], v[132:133], v[124:125]
	v_add_f64_e32 v[146:147], v[138:139], v[126:127]
	scratch_load_b128 v[124:127], off, off offset:608
	ds_load_b128 v[138:141], v1 offset:1104
	s_wait_loadcnt_dscnt 0x901
	v_mul_f64_e32 v[148:149], v[2:3], v[12:13]
	v_mul_f64_e32 v[12:13], v[4:5], v[12:13]
	s_wait_loadcnt_dscnt 0x800
	v_mul_f64_e32 v[142:143], v[138:139], v[16:17]
	v_mul_f64_e32 v[16:17], v[140:141], v[16:17]
	v_add_f64_e32 v[39:40], v[132:133], v[39:40]
	v_add_f64_e32 v[132:133], v[146:147], v[144:145]
	v_fma_f64 v[144:145], v[4:5], v[10:11], v[148:149]
	v_fma_f64 v[146:147], v[2:3], v[10:11], -v[12:13]
	ds_load_b128 v[2:5], v1 offset:1120
	ds_load_b128 v[10:13], v1 offset:1136
	v_add_f64_e32 v[39:40], v[39:40], v[134:135]
	v_add_f64_e32 v[132:133], v[132:133], v[136:137]
	s_wait_loadcnt_dscnt 0x701
	v_mul_f64_e32 v[134:135], v[2:3], v[20:21]
	v_mul_f64_e32 v[20:21], v[4:5], v[20:21]
	v_fma_f64 v[136:137], v[140:141], v[14:15], v[142:143]
	v_fma_f64 v[14:15], v[138:139], v[14:15], -v[16:17]
	v_add_f64_e32 v[16:17], v[39:40], v[146:147]
	v_add_f64_e32 v[39:40], v[132:133], v[144:145]
	s_wait_loadcnt_dscnt 0x600
	v_mul_f64_e32 v[132:133], v[10:11], v[24:25]
	v_mul_f64_e32 v[24:25], v[12:13], v[24:25]
	v_fma_f64 v[134:135], v[4:5], v[18:19], v[134:135]
	v_fma_f64 v[18:19], v[2:3], v[18:19], -v[20:21]
	v_add_f64_e32 v[20:21], v[16:17], v[14:15]
	v_add_f64_e32 v[39:40], v[39:40], v[136:137]
	ds_load_b128 v[2:5], v1 offset:1152
	ds_load_b128 v[14:17], v1 offset:1168
	v_fma_f64 v[12:13], v[12:13], v[22:23], v[132:133]
	v_fma_f64 v[10:11], v[10:11], v[22:23], -v[24:25]
	s_wait_loadcnt_dscnt 0x501
	v_mul_f64_e32 v[136:137], v[2:3], v[28:29]
	v_mul_f64_e32 v[28:29], v[4:5], v[28:29]
	s_wait_loadcnt_dscnt 0x400
	v_mul_f64_e32 v[22:23], v[14:15], v[32:33]
	v_mul_f64_e32 v[24:25], v[16:17], v[32:33]
	v_add_f64_e32 v[18:19], v[20:21], v[18:19]
	v_add_f64_e32 v[20:21], v[39:40], v[134:135]
	v_fma_f64 v[32:33], v[4:5], v[26:27], v[136:137]
	v_fma_f64 v[26:27], v[2:3], v[26:27], -v[28:29]
	v_fma_f64 v[16:17], v[16:17], v[30:31], v[22:23]
	v_fma_f64 v[14:15], v[14:15], v[30:31], -v[24:25]
	v_add_f64_e32 v[18:19], v[18:19], v[10:11]
	v_add_f64_e32 v[20:21], v[20:21], v[12:13]
	ds_load_b128 v[2:5], v1 offset:1184
	ds_load_b128 v[10:13], v1 offset:1200
	s_wait_loadcnt_dscnt 0x301
	v_mul_f64_e32 v[28:29], v[2:3], v[36:37]
	v_mul_f64_e32 v[36:37], v[4:5], v[36:37]
	v_add_f64_e32 v[18:19], v[18:19], v[26:27]
	v_add_f64_e32 v[20:21], v[20:21], v[32:33]
	s_wait_loadcnt_dscnt 0x200
	v_mul_f64_e32 v[22:23], v[10:11], v[43:44]
	v_mul_f64_e32 v[24:25], v[12:13], v[43:44]
	v_fma_f64 v[26:27], v[4:5], v[34:35], v[28:29]
	v_fma_f64 v[28:29], v[2:3], v[34:35], -v[36:37]
	v_add_f64_e32 v[18:19], v[18:19], v[14:15]
	v_add_f64_e32 v[20:21], v[20:21], v[16:17]
	ds_load_b128 v[2:5], v1 offset:1216
	ds_load_b128 v[14:17], v1 offset:1232
	v_fma_f64 v[12:13], v[12:13], v[41:42], v[22:23]
	v_fma_f64 v[10:11], v[10:11], v[41:42], -v[24:25]
	s_wait_loadcnt_dscnt 0x1
	v_mul_f64_e32 v[30:31], v[2:3], v[126:127]
	v_mul_f64_e32 v[32:33], v[4:5], v[126:127]
	s_wait_dscnt 0x0
	v_mul_f64_e32 v[22:23], v[14:15], v[8:9]
	v_mul_f64_e32 v[8:9], v[16:17], v[8:9]
	v_add_f64_e32 v[18:19], v[18:19], v[28:29]
	v_add_f64_e32 v[20:21], v[20:21], v[26:27]
	v_fma_f64 v[4:5], v[4:5], v[124:125], v[30:31]
	v_fma_f64 v[1:2], v[2:3], v[124:125], -v[32:33]
	v_fma_f64 v[16:17], v[16:17], v[6:7], v[22:23]
	v_fma_f64 v[6:7], v[14:15], v[6:7], -v[8:9]
	v_add_f64_e32 v[10:11], v[18:19], v[10:11]
	v_add_f64_e32 v[12:13], v[20:21], v[12:13]
	s_delay_alu instid0(VALU_DEP_2) | instskip(NEXT) | instid1(VALU_DEP_2)
	v_add_f64_e32 v[1:2], v[10:11], v[1:2]
	v_add_f64_e32 v[3:4], v[12:13], v[4:5]
	s_delay_alu instid0(VALU_DEP_2) | instskip(NEXT) | instid1(VALU_DEP_2)
	;; [unrolled: 3-line block ×3, first 2 shown]
	v_add_f64_e64 v[1:2], v[128:129], -v[1:2]
	v_add_f64_e64 v[3:4], v[130:131], -v[3:4]
	scratch_store_b128 off, v[1:4], off offset:272
	v_cmpx_lt_u32_e32 15, v0
	s_cbranch_execz .LBB102_217
; %bb.216:
	scratch_load_b128 v[1:4], off, s34
	v_mov_b32_e32 v5, 0
	s_delay_alu instid0(VALU_DEP_1)
	v_dual_mov_b32 v6, v5 :: v_dual_mov_b32 v7, v5
	v_mov_b32_e32 v8, v5
	scratch_store_b128 off, v[5:8], off offset:256
	s_wait_loadcnt 0x0
	ds_store_b128 v38, v[1:4]
.LBB102_217:
	s_wait_alu 0xfffe
	s_or_b32 exec_lo, exec_lo, s0
	s_wait_storecnt_dscnt 0x0
	s_barrier_signal -1
	s_barrier_wait -1
	global_inv scope:SCOPE_SE
	s_clause 0x7
	scratch_load_b128 v[2:5], off, off offset:272
	scratch_load_b128 v[6:9], off, off offset:288
	;; [unrolled: 1-line block ×8, first 2 shown]
	v_mov_b32_e32 v1, 0
	s_mov_b32 s0, exec_lo
	ds_load_b128 v[34:37], v1 offset:880
	s_clause 0x1
	scratch_load_b128 v[39:42], off, off offset:400
	scratch_load_b128 v[124:127], off, off offset:256
	ds_load_b128 v[128:131], v1 offset:896
	scratch_load_b128 v[132:135], off, off offset:416
	ds_load_b128 v[136:139], v1 offset:928
	s_wait_loadcnt_dscnt 0xa02
	v_mul_f64_e32 v[43:44], v[36:37], v[4:5]
	v_mul_f64_e32 v[4:5], v[34:35], v[4:5]
	s_delay_alu instid0(VALU_DEP_2) | instskip(NEXT) | instid1(VALU_DEP_2)
	v_fma_f64 v[43:44], v[34:35], v[2:3], -v[43:44]
	v_fma_f64 v[142:143], v[36:37], v[2:3], v[4:5]
	ds_load_b128 v[2:5], v1 offset:912
	s_wait_loadcnt_dscnt 0x902
	v_mul_f64_e32 v[140:141], v[128:129], v[8:9]
	v_mul_f64_e32 v[8:9], v[130:131], v[8:9]
	scratch_load_b128 v[34:37], off, off offset:432
	s_wait_loadcnt_dscnt 0x900
	v_mul_f64_e32 v[144:145], v[2:3], v[12:13]
	v_mul_f64_e32 v[12:13], v[4:5], v[12:13]
	v_add_f64_e32 v[43:44], 0, v[43:44]
	v_fma_f64 v[130:131], v[130:131], v[6:7], v[140:141]
	v_fma_f64 v[128:129], v[128:129], v[6:7], -v[8:9]
	v_add_f64_e32 v[140:141], 0, v[142:143]
	scratch_load_b128 v[6:9], off, off offset:448
	v_fma_f64 v[144:145], v[4:5], v[10:11], v[144:145]
	v_fma_f64 v[146:147], v[2:3], v[10:11], -v[12:13]
	ds_load_b128 v[2:5], v1 offset:944
	s_wait_loadcnt 0x9
	v_mul_f64_e32 v[142:143], v[136:137], v[16:17]
	v_mul_f64_e32 v[16:17], v[138:139], v[16:17]
	scratch_load_b128 v[10:13], off, off offset:464
	v_add_f64_e32 v[43:44], v[43:44], v[128:129]
	v_add_f64_e32 v[140:141], v[140:141], v[130:131]
	s_wait_loadcnt_dscnt 0x900
	v_mul_f64_e32 v[148:149], v[2:3], v[20:21]
	v_mul_f64_e32 v[20:21], v[4:5], v[20:21]
	ds_load_b128 v[128:131], v1 offset:960
	v_fma_f64 v[138:139], v[138:139], v[14:15], v[142:143]
	v_fma_f64 v[136:137], v[136:137], v[14:15], -v[16:17]
	scratch_load_b128 v[14:17], off, off offset:480
	v_add_f64_e32 v[43:44], v[43:44], v[146:147]
	v_add_f64_e32 v[140:141], v[140:141], v[144:145]
	v_fma_f64 v[144:145], v[4:5], v[18:19], v[148:149]
	v_fma_f64 v[146:147], v[2:3], v[18:19], -v[20:21]
	ds_load_b128 v[2:5], v1 offset:976
	s_wait_loadcnt_dscnt 0x901
	v_mul_f64_e32 v[142:143], v[128:129], v[24:25]
	v_mul_f64_e32 v[24:25], v[130:131], v[24:25]
	scratch_load_b128 v[18:21], off, off offset:496
	s_wait_loadcnt_dscnt 0x900
	v_mul_f64_e32 v[148:149], v[2:3], v[28:29]
	v_mul_f64_e32 v[28:29], v[4:5], v[28:29]
	v_add_f64_e32 v[43:44], v[43:44], v[136:137]
	v_add_f64_e32 v[140:141], v[140:141], v[138:139]
	ds_load_b128 v[136:139], v1 offset:992
	v_fma_f64 v[130:131], v[130:131], v[22:23], v[142:143]
	v_fma_f64 v[128:129], v[128:129], v[22:23], -v[24:25]
	scratch_load_b128 v[22:25], off, off offset:512
	v_add_f64_e32 v[43:44], v[43:44], v[146:147]
	v_add_f64_e32 v[140:141], v[140:141], v[144:145]
	v_fma_f64 v[144:145], v[4:5], v[26:27], v[148:149]
	v_fma_f64 v[146:147], v[2:3], v[26:27], -v[28:29]
	ds_load_b128 v[2:5], v1 offset:1008
	s_wait_loadcnt_dscnt 0x901
	v_mul_f64_e32 v[142:143], v[136:137], v[32:33]
	v_mul_f64_e32 v[32:33], v[138:139], v[32:33]
	scratch_load_b128 v[26:29], off, off offset:528
	s_wait_loadcnt_dscnt 0x900
	v_mul_f64_e32 v[148:149], v[2:3], v[41:42]
	v_mul_f64_e32 v[41:42], v[4:5], v[41:42]
	v_add_f64_e32 v[43:44], v[43:44], v[128:129]
	v_add_f64_e32 v[140:141], v[140:141], v[130:131]
	ds_load_b128 v[128:131], v1 offset:1024
	v_fma_f64 v[138:139], v[138:139], v[30:31], v[142:143]
	v_fma_f64 v[136:137], v[136:137], v[30:31], -v[32:33]
	scratch_load_b128 v[30:33], off, off offset:544
	v_add_f64_e32 v[43:44], v[43:44], v[146:147]
	v_add_f64_e32 v[140:141], v[140:141], v[144:145]
	v_fma_f64 v[146:147], v[4:5], v[39:40], v[148:149]
	v_fma_f64 v[148:149], v[2:3], v[39:40], -v[41:42]
	ds_load_b128 v[2:5], v1 offset:1040
	s_wait_loadcnt_dscnt 0x801
	v_mul_f64_e32 v[142:143], v[128:129], v[134:135]
	v_mul_f64_e32 v[144:145], v[130:131], v[134:135]
	scratch_load_b128 v[39:42], off, off offset:560
	v_add_f64_e32 v[43:44], v[43:44], v[136:137]
	v_add_f64_e32 v[138:139], v[140:141], v[138:139]
	ds_load_b128 v[134:137], v1 offset:1056
	v_fma_f64 v[142:143], v[130:131], v[132:133], v[142:143]
	v_fma_f64 v[132:133], v[128:129], v[132:133], -v[144:145]
	scratch_load_b128 v[128:131], off, off offset:576
	s_wait_loadcnt_dscnt 0x901
	v_mul_f64_e32 v[140:141], v[2:3], v[36:37]
	v_mul_f64_e32 v[36:37], v[4:5], v[36:37]
	v_add_f64_e32 v[43:44], v[43:44], v[148:149]
	v_add_f64_e32 v[138:139], v[138:139], v[146:147]
	s_delay_alu instid0(VALU_DEP_4) | instskip(NEXT) | instid1(VALU_DEP_4)
	v_fma_f64 v[146:147], v[4:5], v[34:35], v[140:141]
	v_fma_f64 v[148:149], v[2:3], v[34:35], -v[36:37]
	ds_load_b128 v[2:5], v1 offset:1072
	s_wait_loadcnt_dscnt 0x801
	v_mul_f64_e32 v[144:145], v[134:135], v[8:9]
	v_mul_f64_e32 v[8:9], v[136:137], v[8:9]
	scratch_load_b128 v[34:37], off, off offset:592
	v_add_f64_e32 v[43:44], v[43:44], v[132:133]
	v_add_f64_e32 v[132:133], v[138:139], v[142:143]
	s_wait_loadcnt_dscnt 0x800
	v_mul_f64_e32 v[142:143], v[2:3], v[12:13]
	v_mul_f64_e32 v[12:13], v[4:5], v[12:13]
	ds_load_b128 v[138:141], v1 offset:1088
	v_fma_f64 v[136:137], v[136:137], v[6:7], v[144:145]
	v_fma_f64 v[134:135], v[134:135], v[6:7], -v[8:9]
	scratch_load_b128 v[6:9], off, off offset:608
	v_add_f64_e32 v[43:44], v[43:44], v[148:149]
	v_add_f64_e32 v[132:133], v[132:133], v[146:147]
	v_fma_f64 v[142:143], v[4:5], v[10:11], v[142:143]
	v_fma_f64 v[146:147], v[2:3], v[10:11], -v[12:13]
	ds_load_b128 v[2:5], v1 offset:1104
	s_wait_loadcnt_dscnt 0x801
	v_mul_f64_e32 v[144:145], v[138:139], v[16:17]
	v_mul_f64_e32 v[16:17], v[140:141], v[16:17]
	scratch_load_b128 v[10:13], off, off offset:624
	s_wait_loadcnt_dscnt 0x800
	v_mul_f64_e32 v[148:149], v[2:3], v[20:21]
	v_mul_f64_e32 v[20:21], v[4:5], v[20:21]
	v_add_f64_e32 v[43:44], v[43:44], v[134:135]
	v_add_f64_e32 v[136:137], v[132:133], v[136:137]
	ds_load_b128 v[132:135], v1 offset:1120
	v_fma_f64 v[140:141], v[140:141], v[14:15], v[144:145]
	v_fma_f64 v[14:15], v[138:139], v[14:15], -v[16:17]
	v_fma_f64 v[138:139], v[4:5], v[18:19], v[148:149]
	v_fma_f64 v[18:19], v[2:3], v[18:19], -v[20:21]
	v_add_f64_e32 v[16:17], v[43:44], v[146:147]
	v_add_f64_e32 v[43:44], v[136:137], v[142:143]
	s_wait_loadcnt_dscnt 0x700
	v_mul_f64_e32 v[136:137], v[132:133], v[24:25]
	v_mul_f64_e32 v[24:25], v[134:135], v[24:25]
	s_delay_alu instid0(VALU_DEP_4) | instskip(NEXT) | instid1(VALU_DEP_4)
	v_add_f64_e32 v[20:21], v[16:17], v[14:15]
	v_add_f64_e32 v[43:44], v[43:44], v[140:141]
	ds_load_b128 v[2:5], v1 offset:1136
	ds_load_b128 v[14:17], v1 offset:1152
	v_fma_f64 v[134:135], v[134:135], v[22:23], v[136:137]
	v_fma_f64 v[22:23], v[132:133], v[22:23], -v[24:25]
	s_wait_loadcnt_dscnt 0x601
	v_mul_f64_e32 v[140:141], v[2:3], v[28:29]
	v_mul_f64_e32 v[28:29], v[4:5], v[28:29]
	s_wait_loadcnt_dscnt 0x500
	v_mul_f64_e32 v[24:25], v[14:15], v[32:33]
	v_mul_f64_e32 v[32:33], v[16:17], v[32:33]
	v_add_f64_e32 v[18:19], v[20:21], v[18:19]
	v_add_f64_e32 v[20:21], v[43:44], v[138:139]
	v_fma_f64 v[43:44], v[4:5], v[26:27], v[140:141]
	v_fma_f64 v[26:27], v[2:3], v[26:27], -v[28:29]
	v_fma_f64 v[16:17], v[16:17], v[30:31], v[24:25]
	v_fma_f64 v[14:15], v[14:15], v[30:31], -v[32:33]
	v_add_f64_e32 v[22:23], v[18:19], v[22:23]
	v_add_f64_e32 v[28:29], v[20:21], v[134:135]
	ds_load_b128 v[2:5], v1 offset:1168
	ds_load_b128 v[18:21], v1 offset:1184
	s_wait_loadcnt_dscnt 0x401
	v_mul_f64_e32 v[132:133], v[2:3], v[41:42]
	v_mul_f64_e32 v[41:42], v[4:5], v[41:42]
	v_add_f64_e32 v[22:23], v[22:23], v[26:27]
	v_add_f64_e32 v[24:25], v[28:29], v[43:44]
	s_wait_loadcnt_dscnt 0x300
	v_mul_f64_e32 v[26:27], v[18:19], v[130:131]
	v_mul_f64_e32 v[28:29], v[20:21], v[130:131]
	v_fma_f64 v[30:31], v[4:5], v[39:40], v[132:133]
	v_fma_f64 v[32:33], v[2:3], v[39:40], -v[41:42]
	v_add_f64_e32 v[22:23], v[22:23], v[14:15]
	v_add_f64_e32 v[24:25], v[24:25], v[16:17]
	ds_load_b128 v[2:5], v1 offset:1200
	ds_load_b128 v[14:17], v1 offset:1216
	v_fma_f64 v[20:21], v[20:21], v[128:129], v[26:27]
	v_fma_f64 v[18:19], v[18:19], v[128:129], -v[28:29]
	s_wait_loadcnt_dscnt 0x201
	v_mul_f64_e32 v[39:40], v[2:3], v[36:37]
	v_mul_f64_e32 v[36:37], v[4:5], v[36:37]
	s_wait_loadcnt_dscnt 0x100
	v_mul_f64_e32 v[26:27], v[14:15], v[8:9]
	v_add_f64_e32 v[22:23], v[22:23], v[32:33]
	v_add_f64_e32 v[24:25], v[24:25], v[30:31]
	v_mul_f64_e32 v[8:9], v[16:17], v[8:9]
	v_fma_f64 v[28:29], v[4:5], v[34:35], v[39:40]
	v_fma_f64 v[30:31], v[2:3], v[34:35], -v[36:37]
	ds_load_b128 v[2:5], v1 offset:1232
	v_fma_f64 v[16:17], v[16:17], v[6:7], v[26:27]
	v_add_f64_e32 v[18:19], v[22:23], v[18:19]
	v_add_f64_e32 v[20:21], v[24:25], v[20:21]
	v_fma_f64 v[6:7], v[14:15], v[6:7], -v[8:9]
	s_wait_loadcnt_dscnt 0x0
	v_mul_f64_e32 v[22:23], v[2:3], v[12:13]
	v_mul_f64_e32 v[12:13], v[4:5], v[12:13]
	v_add_f64_e32 v[8:9], v[18:19], v[30:31]
	v_add_f64_e32 v[14:15], v[20:21], v[28:29]
	s_delay_alu instid0(VALU_DEP_4) | instskip(NEXT) | instid1(VALU_DEP_4)
	v_fma_f64 v[4:5], v[4:5], v[10:11], v[22:23]
	v_fma_f64 v[2:3], v[2:3], v[10:11], -v[12:13]
	s_delay_alu instid0(VALU_DEP_4) | instskip(NEXT) | instid1(VALU_DEP_4)
	v_add_f64_e32 v[6:7], v[8:9], v[6:7]
	v_add_f64_e32 v[8:9], v[14:15], v[16:17]
	s_delay_alu instid0(VALU_DEP_2) | instskip(NEXT) | instid1(VALU_DEP_2)
	v_add_f64_e32 v[2:3], v[6:7], v[2:3]
	v_add_f64_e32 v[4:5], v[8:9], v[4:5]
	s_delay_alu instid0(VALU_DEP_2) | instskip(NEXT) | instid1(VALU_DEP_2)
	v_add_f64_e64 v[2:3], v[124:125], -v[2:3]
	v_add_f64_e64 v[4:5], v[126:127], -v[4:5]
	scratch_store_b128 off, v[2:5], off offset:256
	v_cmpx_lt_u32_e32 14, v0
	s_cbranch_execz .LBB102_219
; %bb.218:
	scratch_load_b128 v[5:8], off, s14
	v_dual_mov_b32 v2, v1 :: v_dual_mov_b32 v3, v1
	v_mov_b32_e32 v4, v1
	scratch_store_b128 off, v[1:4], off offset:240
	s_wait_loadcnt 0x0
	ds_store_b128 v38, v[5:8]
.LBB102_219:
	s_wait_alu 0xfffe
	s_or_b32 exec_lo, exec_lo, s0
	s_wait_storecnt_dscnt 0x0
	s_barrier_signal -1
	s_barrier_wait -1
	global_inv scope:SCOPE_SE
	s_clause 0x8
	scratch_load_b128 v[2:5], off, off offset:256
	scratch_load_b128 v[6:9], off, off offset:272
	;; [unrolled: 1-line block ×9, first 2 shown]
	ds_load_b128 v[39:42], v1 offset:864
	ds_load_b128 v[124:127], v1 offset:880
	s_clause 0x1
	scratch_load_b128 v[128:131], off, off offset:240
	scratch_load_b128 v[132:135], off, off offset:400
	s_mov_b32 s0, exec_lo
	ds_load_b128 v[136:139], v1 offset:912
	s_wait_loadcnt_dscnt 0xa02
	v_mul_f64_e32 v[43:44], v[41:42], v[4:5]
	v_mul_f64_e32 v[4:5], v[39:40], v[4:5]
	s_wait_loadcnt_dscnt 0x901
	v_mul_f64_e32 v[140:141], v[124:125], v[8:9]
	v_mul_f64_e32 v[8:9], v[126:127], v[8:9]
	s_delay_alu instid0(VALU_DEP_4) | instskip(NEXT) | instid1(VALU_DEP_4)
	v_fma_f64 v[43:44], v[39:40], v[2:3], -v[43:44]
	v_fma_f64 v[142:143], v[41:42], v[2:3], v[4:5]
	ds_load_b128 v[2:5], v1 offset:896
	scratch_load_b128 v[39:42], off, off offset:416
	v_fma_f64 v[126:127], v[126:127], v[6:7], v[140:141]
	v_fma_f64 v[124:125], v[124:125], v[6:7], -v[8:9]
	scratch_load_b128 v[6:9], off, off offset:432
	s_wait_loadcnt_dscnt 0xa00
	v_mul_f64_e32 v[144:145], v[2:3], v[12:13]
	v_mul_f64_e32 v[12:13], v[4:5], v[12:13]
	v_add_f64_e32 v[43:44], 0, v[43:44]
	v_add_f64_e32 v[140:141], 0, v[142:143]
	s_wait_loadcnt 0x9
	v_mul_f64_e32 v[142:143], v[136:137], v[16:17]
	v_mul_f64_e32 v[16:17], v[138:139], v[16:17]
	v_fma_f64 v[144:145], v[4:5], v[10:11], v[144:145]
	v_fma_f64 v[146:147], v[2:3], v[10:11], -v[12:13]
	ds_load_b128 v[2:5], v1 offset:928
	scratch_load_b128 v[10:13], off, off offset:448
	v_add_f64_e32 v[43:44], v[43:44], v[124:125]
	v_add_f64_e32 v[140:141], v[140:141], v[126:127]
	ds_load_b128 v[124:127], v1 offset:944
	v_fma_f64 v[138:139], v[138:139], v[14:15], v[142:143]
	v_fma_f64 v[136:137], v[136:137], v[14:15], -v[16:17]
	scratch_load_b128 v[14:17], off, off offset:464
	s_wait_loadcnt_dscnt 0xa01
	v_mul_f64_e32 v[148:149], v[2:3], v[20:21]
	v_mul_f64_e32 v[20:21], v[4:5], v[20:21]
	s_wait_loadcnt_dscnt 0x900
	v_mul_f64_e32 v[142:143], v[124:125], v[24:25]
	v_mul_f64_e32 v[24:25], v[126:127], v[24:25]
	v_add_f64_e32 v[43:44], v[43:44], v[146:147]
	v_add_f64_e32 v[140:141], v[140:141], v[144:145]
	v_fma_f64 v[144:145], v[4:5], v[18:19], v[148:149]
	v_fma_f64 v[146:147], v[2:3], v[18:19], -v[20:21]
	ds_load_b128 v[2:5], v1 offset:960
	scratch_load_b128 v[18:21], off, off offset:480
	v_fma_f64 v[126:127], v[126:127], v[22:23], v[142:143]
	v_fma_f64 v[124:125], v[124:125], v[22:23], -v[24:25]
	scratch_load_b128 v[22:25], off, off offset:496
	v_add_f64_e32 v[43:44], v[43:44], v[136:137]
	v_add_f64_e32 v[140:141], v[140:141], v[138:139]
	ds_load_b128 v[136:139], v1 offset:976
	s_wait_loadcnt_dscnt 0xa01
	v_mul_f64_e32 v[148:149], v[2:3], v[28:29]
	v_mul_f64_e32 v[28:29], v[4:5], v[28:29]
	s_wait_loadcnt_dscnt 0x900
	v_mul_f64_e32 v[142:143], v[136:137], v[32:33]
	v_mul_f64_e32 v[32:33], v[138:139], v[32:33]
	v_add_f64_e32 v[43:44], v[43:44], v[146:147]
	v_add_f64_e32 v[140:141], v[140:141], v[144:145]
	v_fma_f64 v[144:145], v[4:5], v[26:27], v[148:149]
	v_fma_f64 v[146:147], v[2:3], v[26:27], -v[28:29]
	ds_load_b128 v[2:5], v1 offset:992
	scratch_load_b128 v[26:29], off, off offset:512
	v_fma_f64 v[138:139], v[138:139], v[30:31], v[142:143]
	v_fma_f64 v[136:137], v[136:137], v[30:31], -v[32:33]
	scratch_load_b128 v[30:33], off, off offset:528
	v_add_f64_e32 v[43:44], v[43:44], v[124:125]
	v_add_f64_e32 v[140:141], v[140:141], v[126:127]
	ds_load_b128 v[124:127], v1 offset:1008
	s_wait_loadcnt_dscnt 0xa01
	v_mul_f64_e32 v[148:149], v[2:3], v[36:37]
	v_mul_f64_e32 v[36:37], v[4:5], v[36:37]
	s_wait_loadcnt_dscnt 0x800
	v_mul_f64_e32 v[142:143], v[124:125], v[134:135]
	v_add_f64_e32 v[43:44], v[43:44], v[146:147]
	v_add_f64_e32 v[140:141], v[140:141], v[144:145]
	v_mul_f64_e32 v[144:145], v[126:127], v[134:135]
	v_fma_f64 v[146:147], v[4:5], v[34:35], v[148:149]
	v_fma_f64 v[148:149], v[2:3], v[34:35], -v[36:37]
	ds_load_b128 v[2:5], v1 offset:1024
	scratch_load_b128 v[34:37], off, off offset:544
	v_fma_f64 v[126:127], v[126:127], v[132:133], v[142:143]
	v_add_f64_e32 v[43:44], v[43:44], v[136:137]
	v_add_f64_e32 v[138:139], v[140:141], v[138:139]
	ds_load_b128 v[134:137], v1 offset:1040
	v_fma_f64 v[124:125], v[124:125], v[132:133], -v[144:145]
	s_wait_loadcnt_dscnt 0x801
	v_mul_f64_e32 v[140:141], v[2:3], v[41:42]
	v_mul_f64_e32 v[150:151], v[4:5], v[41:42]
	s_wait_loadcnt_dscnt 0x700
	v_mul_f64_e32 v[142:143], v[134:135], v[8:9]
	v_mul_f64_e32 v[8:9], v[136:137], v[8:9]
	v_add_f64_e32 v[132:133], v[43:44], v[148:149]
	v_add_f64_e32 v[138:139], v[138:139], v[146:147]
	scratch_load_b128 v[41:44], off, off offset:560
	v_fma_f64 v[144:145], v[4:5], v[39:40], v[140:141]
	v_fma_f64 v[39:40], v[2:3], v[39:40], -v[150:151]
	ds_load_b128 v[2:5], v1 offset:1056
	v_fma_f64 v[136:137], v[136:137], v[6:7], v[142:143]
	v_fma_f64 v[134:135], v[134:135], v[6:7], -v[8:9]
	scratch_load_b128 v[6:9], off, off offset:592
	v_add_f64_e32 v[132:133], v[132:133], v[124:125]
	v_add_f64_e32 v[146:147], v[138:139], v[126:127]
	scratch_load_b128 v[124:127], off, off offset:576
	ds_load_b128 v[138:141], v1 offset:1072
	s_wait_loadcnt_dscnt 0x901
	v_mul_f64_e32 v[148:149], v[2:3], v[12:13]
	v_mul_f64_e32 v[12:13], v[4:5], v[12:13]
	s_wait_loadcnt_dscnt 0x800
	v_mul_f64_e32 v[142:143], v[138:139], v[16:17]
	v_mul_f64_e32 v[16:17], v[140:141], v[16:17]
	v_add_f64_e32 v[39:40], v[132:133], v[39:40]
	v_add_f64_e32 v[132:133], v[146:147], v[144:145]
	v_fma_f64 v[144:145], v[4:5], v[10:11], v[148:149]
	v_fma_f64 v[146:147], v[2:3], v[10:11], -v[12:13]
	ds_load_b128 v[2:5], v1 offset:1088
	scratch_load_b128 v[10:13], off, off offset:608
	v_fma_f64 v[140:141], v[140:141], v[14:15], v[142:143]
	v_fma_f64 v[138:139], v[138:139], v[14:15], -v[16:17]
	scratch_load_b128 v[14:17], off, off offset:624
	v_add_f64_e32 v[39:40], v[39:40], v[134:135]
	v_add_f64_e32 v[136:137], v[132:133], v[136:137]
	ds_load_b128 v[132:135], v1 offset:1104
	s_wait_loadcnt_dscnt 0x901
	v_mul_f64_e32 v[148:149], v[2:3], v[20:21]
	v_mul_f64_e32 v[20:21], v[4:5], v[20:21]
	s_wait_loadcnt_dscnt 0x800
	v_mul_f64_e32 v[142:143], v[132:133], v[24:25]
	v_mul_f64_e32 v[24:25], v[134:135], v[24:25]
	v_add_f64_e32 v[39:40], v[39:40], v[146:147]
	v_add_f64_e32 v[136:137], v[136:137], v[144:145]
	v_fma_f64 v[144:145], v[4:5], v[18:19], v[148:149]
	v_fma_f64 v[146:147], v[2:3], v[18:19], -v[20:21]
	ds_load_b128 v[2:5], v1 offset:1120
	ds_load_b128 v[18:21], v1 offset:1136
	v_fma_f64 v[134:135], v[134:135], v[22:23], v[142:143]
	v_fma_f64 v[22:23], v[132:133], v[22:23], -v[24:25]
	v_add_f64_e32 v[39:40], v[39:40], v[138:139]
	v_add_f64_e32 v[136:137], v[136:137], v[140:141]
	s_wait_loadcnt_dscnt 0x701
	v_mul_f64_e32 v[138:139], v[2:3], v[28:29]
	v_mul_f64_e32 v[28:29], v[4:5], v[28:29]
	s_wait_loadcnt_dscnt 0x600
	v_mul_f64_e32 v[132:133], v[18:19], v[32:33]
	v_mul_f64_e32 v[32:33], v[20:21], v[32:33]
	v_add_f64_e32 v[24:25], v[39:40], v[146:147]
	v_add_f64_e32 v[39:40], v[136:137], v[144:145]
	v_fma_f64 v[136:137], v[4:5], v[26:27], v[138:139]
	v_fma_f64 v[26:27], v[2:3], v[26:27], -v[28:29]
	v_fma_f64 v[20:21], v[20:21], v[30:31], v[132:133]
	v_fma_f64 v[18:19], v[18:19], v[30:31], -v[32:33]
	v_add_f64_e32 v[28:29], v[24:25], v[22:23]
	v_add_f64_e32 v[39:40], v[39:40], v[134:135]
	ds_load_b128 v[2:5], v1 offset:1152
	ds_load_b128 v[22:25], v1 offset:1168
	s_wait_loadcnt_dscnt 0x501
	v_mul_f64_e32 v[134:135], v[2:3], v[36:37]
	v_mul_f64_e32 v[36:37], v[4:5], v[36:37]
	v_add_f64_e32 v[26:27], v[28:29], v[26:27]
	v_add_f64_e32 v[28:29], v[39:40], v[136:137]
	s_wait_loadcnt_dscnt 0x400
	v_mul_f64_e32 v[30:31], v[22:23], v[43:44]
	v_mul_f64_e32 v[32:33], v[24:25], v[43:44]
	v_fma_f64 v[39:40], v[4:5], v[34:35], v[134:135]
	v_fma_f64 v[34:35], v[2:3], v[34:35], -v[36:37]
	v_add_f64_e32 v[26:27], v[26:27], v[18:19]
	v_add_f64_e32 v[28:29], v[28:29], v[20:21]
	ds_load_b128 v[2:5], v1 offset:1184
	ds_load_b128 v[18:21], v1 offset:1200
	v_fma_f64 v[24:25], v[24:25], v[41:42], v[30:31]
	v_fma_f64 v[22:23], v[22:23], v[41:42], -v[32:33]
	s_wait_loadcnt_dscnt 0x201
	v_mul_f64_e32 v[36:37], v[2:3], v[126:127]
	v_mul_f64_e32 v[43:44], v[4:5], v[126:127]
	s_wait_dscnt 0x0
	v_mul_f64_e32 v[30:31], v[18:19], v[8:9]
	v_mul_f64_e32 v[8:9], v[20:21], v[8:9]
	v_add_f64_e32 v[26:27], v[26:27], v[34:35]
	v_add_f64_e32 v[28:29], v[28:29], v[39:40]
	v_fma_f64 v[32:33], v[4:5], v[124:125], v[36:37]
	v_fma_f64 v[34:35], v[2:3], v[124:125], -v[43:44]
	v_fma_f64 v[20:21], v[20:21], v[6:7], v[30:31]
	v_fma_f64 v[6:7], v[18:19], v[6:7], -v[8:9]
	v_add_f64_e32 v[26:27], v[26:27], v[22:23]
	v_add_f64_e32 v[28:29], v[28:29], v[24:25]
	ds_load_b128 v[2:5], v1 offset:1216
	ds_load_b128 v[22:25], v1 offset:1232
	s_wait_loadcnt_dscnt 0x101
	v_mul_f64_e32 v[36:37], v[2:3], v[12:13]
	v_mul_f64_e32 v[12:13], v[4:5], v[12:13]
	v_add_f64_e32 v[8:9], v[26:27], v[34:35]
	v_add_f64_e32 v[18:19], v[28:29], v[32:33]
	s_wait_loadcnt_dscnt 0x0
	v_mul_f64_e32 v[26:27], v[22:23], v[16:17]
	v_mul_f64_e32 v[16:17], v[24:25], v[16:17]
	v_fma_f64 v[4:5], v[4:5], v[10:11], v[36:37]
	v_fma_f64 v[1:2], v[2:3], v[10:11], -v[12:13]
	v_add_f64_e32 v[6:7], v[8:9], v[6:7]
	v_add_f64_e32 v[8:9], v[18:19], v[20:21]
	v_fma_f64 v[10:11], v[24:25], v[14:15], v[26:27]
	v_fma_f64 v[12:13], v[22:23], v[14:15], -v[16:17]
	s_delay_alu instid0(VALU_DEP_4) | instskip(NEXT) | instid1(VALU_DEP_4)
	v_add_f64_e32 v[1:2], v[6:7], v[1:2]
	v_add_f64_e32 v[3:4], v[8:9], v[4:5]
	s_delay_alu instid0(VALU_DEP_2) | instskip(NEXT) | instid1(VALU_DEP_2)
	v_add_f64_e32 v[1:2], v[1:2], v[12:13]
	v_add_f64_e32 v[3:4], v[3:4], v[10:11]
	s_delay_alu instid0(VALU_DEP_2) | instskip(NEXT) | instid1(VALU_DEP_2)
	v_add_f64_e64 v[1:2], v[128:129], -v[1:2]
	v_add_f64_e64 v[3:4], v[130:131], -v[3:4]
	scratch_store_b128 off, v[1:4], off offset:240
	v_cmpx_lt_u32_e32 13, v0
	s_cbranch_execz .LBB102_221
; %bb.220:
	scratch_load_b128 v[1:4], off, s33
	v_mov_b32_e32 v5, 0
	s_delay_alu instid0(VALU_DEP_1)
	v_dual_mov_b32 v6, v5 :: v_dual_mov_b32 v7, v5
	v_mov_b32_e32 v8, v5
	scratch_store_b128 off, v[5:8], off offset:224
	s_wait_loadcnt 0x0
	ds_store_b128 v38, v[1:4]
.LBB102_221:
	s_wait_alu 0xfffe
	s_or_b32 exec_lo, exec_lo, s0
	s_wait_storecnt_dscnt 0x0
	s_barrier_signal -1
	s_barrier_wait -1
	global_inv scope:SCOPE_SE
	s_clause 0x7
	scratch_load_b128 v[2:5], off, off offset:240
	scratch_load_b128 v[6:9], off, off offset:256
	;; [unrolled: 1-line block ×8, first 2 shown]
	v_mov_b32_e32 v1, 0
	s_mov_b32 s0, exec_lo
	ds_load_b128 v[34:37], v1 offset:848
	s_clause 0x1
	scratch_load_b128 v[39:42], off, off offset:368
	scratch_load_b128 v[124:127], off, off offset:224
	ds_load_b128 v[128:131], v1 offset:864
	scratch_load_b128 v[132:135], off, off offset:384
	ds_load_b128 v[136:139], v1 offset:896
	s_wait_loadcnt_dscnt 0xa02
	v_mul_f64_e32 v[43:44], v[36:37], v[4:5]
	v_mul_f64_e32 v[4:5], v[34:35], v[4:5]
	s_delay_alu instid0(VALU_DEP_2) | instskip(NEXT) | instid1(VALU_DEP_2)
	v_fma_f64 v[43:44], v[34:35], v[2:3], -v[43:44]
	v_fma_f64 v[142:143], v[36:37], v[2:3], v[4:5]
	ds_load_b128 v[2:5], v1 offset:880
	s_wait_loadcnt_dscnt 0x902
	v_mul_f64_e32 v[140:141], v[128:129], v[8:9]
	v_mul_f64_e32 v[8:9], v[130:131], v[8:9]
	scratch_load_b128 v[34:37], off, off offset:400
	s_wait_loadcnt_dscnt 0x900
	v_mul_f64_e32 v[144:145], v[2:3], v[12:13]
	v_mul_f64_e32 v[12:13], v[4:5], v[12:13]
	v_add_f64_e32 v[43:44], 0, v[43:44]
	v_fma_f64 v[130:131], v[130:131], v[6:7], v[140:141]
	v_fma_f64 v[128:129], v[128:129], v[6:7], -v[8:9]
	v_add_f64_e32 v[140:141], 0, v[142:143]
	scratch_load_b128 v[6:9], off, off offset:416
	v_fma_f64 v[144:145], v[4:5], v[10:11], v[144:145]
	v_fma_f64 v[146:147], v[2:3], v[10:11], -v[12:13]
	ds_load_b128 v[2:5], v1 offset:912
	s_wait_loadcnt 0x9
	v_mul_f64_e32 v[142:143], v[136:137], v[16:17]
	v_mul_f64_e32 v[16:17], v[138:139], v[16:17]
	scratch_load_b128 v[10:13], off, off offset:432
	v_add_f64_e32 v[43:44], v[43:44], v[128:129]
	v_add_f64_e32 v[140:141], v[140:141], v[130:131]
	s_wait_loadcnt_dscnt 0x900
	v_mul_f64_e32 v[148:149], v[2:3], v[20:21]
	v_mul_f64_e32 v[20:21], v[4:5], v[20:21]
	ds_load_b128 v[128:131], v1 offset:928
	v_fma_f64 v[138:139], v[138:139], v[14:15], v[142:143]
	v_fma_f64 v[136:137], v[136:137], v[14:15], -v[16:17]
	scratch_load_b128 v[14:17], off, off offset:448
	v_add_f64_e32 v[43:44], v[43:44], v[146:147]
	v_add_f64_e32 v[140:141], v[140:141], v[144:145]
	v_fma_f64 v[144:145], v[4:5], v[18:19], v[148:149]
	v_fma_f64 v[146:147], v[2:3], v[18:19], -v[20:21]
	ds_load_b128 v[2:5], v1 offset:944
	s_wait_loadcnt_dscnt 0x901
	v_mul_f64_e32 v[142:143], v[128:129], v[24:25]
	v_mul_f64_e32 v[24:25], v[130:131], v[24:25]
	scratch_load_b128 v[18:21], off, off offset:464
	s_wait_loadcnt_dscnt 0x900
	v_mul_f64_e32 v[148:149], v[2:3], v[28:29]
	v_mul_f64_e32 v[28:29], v[4:5], v[28:29]
	v_add_f64_e32 v[43:44], v[43:44], v[136:137]
	v_add_f64_e32 v[140:141], v[140:141], v[138:139]
	ds_load_b128 v[136:139], v1 offset:960
	v_fma_f64 v[130:131], v[130:131], v[22:23], v[142:143]
	v_fma_f64 v[128:129], v[128:129], v[22:23], -v[24:25]
	scratch_load_b128 v[22:25], off, off offset:480
	v_add_f64_e32 v[43:44], v[43:44], v[146:147]
	v_add_f64_e32 v[140:141], v[140:141], v[144:145]
	v_fma_f64 v[144:145], v[4:5], v[26:27], v[148:149]
	v_fma_f64 v[146:147], v[2:3], v[26:27], -v[28:29]
	ds_load_b128 v[2:5], v1 offset:976
	s_wait_loadcnt_dscnt 0x901
	v_mul_f64_e32 v[142:143], v[136:137], v[32:33]
	v_mul_f64_e32 v[32:33], v[138:139], v[32:33]
	scratch_load_b128 v[26:29], off, off offset:496
	s_wait_loadcnt_dscnt 0x900
	v_mul_f64_e32 v[148:149], v[2:3], v[41:42]
	v_mul_f64_e32 v[41:42], v[4:5], v[41:42]
	v_add_f64_e32 v[43:44], v[43:44], v[128:129]
	v_add_f64_e32 v[140:141], v[140:141], v[130:131]
	ds_load_b128 v[128:131], v1 offset:992
	v_fma_f64 v[138:139], v[138:139], v[30:31], v[142:143]
	v_fma_f64 v[136:137], v[136:137], v[30:31], -v[32:33]
	scratch_load_b128 v[30:33], off, off offset:512
	v_add_f64_e32 v[43:44], v[43:44], v[146:147]
	v_add_f64_e32 v[140:141], v[140:141], v[144:145]
	v_fma_f64 v[146:147], v[4:5], v[39:40], v[148:149]
	v_fma_f64 v[148:149], v[2:3], v[39:40], -v[41:42]
	ds_load_b128 v[2:5], v1 offset:1008
	s_wait_loadcnt_dscnt 0x801
	v_mul_f64_e32 v[142:143], v[128:129], v[134:135]
	v_mul_f64_e32 v[144:145], v[130:131], v[134:135]
	scratch_load_b128 v[39:42], off, off offset:528
	v_add_f64_e32 v[43:44], v[43:44], v[136:137]
	v_add_f64_e32 v[138:139], v[140:141], v[138:139]
	ds_load_b128 v[134:137], v1 offset:1024
	v_fma_f64 v[142:143], v[130:131], v[132:133], v[142:143]
	v_fma_f64 v[132:133], v[128:129], v[132:133], -v[144:145]
	scratch_load_b128 v[128:131], off, off offset:544
	s_wait_loadcnt_dscnt 0x901
	v_mul_f64_e32 v[140:141], v[2:3], v[36:37]
	v_mul_f64_e32 v[36:37], v[4:5], v[36:37]
	v_add_f64_e32 v[43:44], v[43:44], v[148:149]
	v_add_f64_e32 v[138:139], v[138:139], v[146:147]
	s_delay_alu instid0(VALU_DEP_4) | instskip(NEXT) | instid1(VALU_DEP_4)
	v_fma_f64 v[146:147], v[4:5], v[34:35], v[140:141]
	v_fma_f64 v[148:149], v[2:3], v[34:35], -v[36:37]
	ds_load_b128 v[2:5], v1 offset:1040
	s_wait_loadcnt_dscnt 0x801
	v_mul_f64_e32 v[144:145], v[134:135], v[8:9]
	v_mul_f64_e32 v[8:9], v[136:137], v[8:9]
	scratch_load_b128 v[34:37], off, off offset:560
	v_add_f64_e32 v[43:44], v[43:44], v[132:133]
	v_add_f64_e32 v[132:133], v[138:139], v[142:143]
	s_wait_loadcnt_dscnt 0x800
	v_mul_f64_e32 v[142:143], v[2:3], v[12:13]
	v_mul_f64_e32 v[12:13], v[4:5], v[12:13]
	ds_load_b128 v[138:141], v1 offset:1056
	v_fma_f64 v[136:137], v[136:137], v[6:7], v[144:145]
	v_fma_f64 v[134:135], v[134:135], v[6:7], -v[8:9]
	scratch_load_b128 v[6:9], off, off offset:576
	v_add_f64_e32 v[43:44], v[43:44], v[148:149]
	v_add_f64_e32 v[132:133], v[132:133], v[146:147]
	v_fma_f64 v[142:143], v[4:5], v[10:11], v[142:143]
	v_fma_f64 v[146:147], v[2:3], v[10:11], -v[12:13]
	ds_load_b128 v[2:5], v1 offset:1072
	s_wait_loadcnt_dscnt 0x801
	v_mul_f64_e32 v[144:145], v[138:139], v[16:17]
	v_mul_f64_e32 v[16:17], v[140:141], v[16:17]
	scratch_load_b128 v[10:13], off, off offset:592
	s_wait_loadcnt_dscnt 0x800
	v_mul_f64_e32 v[148:149], v[2:3], v[20:21]
	v_mul_f64_e32 v[20:21], v[4:5], v[20:21]
	v_add_f64_e32 v[43:44], v[43:44], v[134:135]
	v_add_f64_e32 v[136:137], v[132:133], v[136:137]
	ds_load_b128 v[132:135], v1 offset:1088
	v_fma_f64 v[140:141], v[140:141], v[14:15], v[144:145]
	v_fma_f64 v[138:139], v[138:139], v[14:15], -v[16:17]
	scratch_load_b128 v[14:17], off, off offset:608
	v_fma_f64 v[144:145], v[4:5], v[18:19], v[148:149]
	v_add_f64_e32 v[43:44], v[43:44], v[146:147]
	v_add_f64_e32 v[136:137], v[136:137], v[142:143]
	v_fma_f64 v[146:147], v[2:3], v[18:19], -v[20:21]
	ds_load_b128 v[2:5], v1 offset:1104
	s_wait_loadcnt_dscnt 0x801
	v_mul_f64_e32 v[142:143], v[132:133], v[24:25]
	v_mul_f64_e32 v[24:25], v[134:135], v[24:25]
	scratch_load_b128 v[18:21], off, off offset:624
	s_wait_loadcnt_dscnt 0x800
	v_mul_f64_e32 v[148:149], v[2:3], v[28:29]
	v_mul_f64_e32 v[28:29], v[4:5], v[28:29]
	v_add_f64_e32 v[43:44], v[43:44], v[138:139]
	v_add_f64_e32 v[140:141], v[136:137], v[140:141]
	ds_load_b128 v[136:139], v1 offset:1120
	v_fma_f64 v[134:135], v[134:135], v[22:23], v[142:143]
	v_fma_f64 v[22:23], v[132:133], v[22:23], -v[24:25]
	s_wait_loadcnt_dscnt 0x700
	v_mul_f64_e32 v[132:133], v[136:137], v[32:33]
	v_mul_f64_e32 v[32:33], v[138:139], v[32:33]
	v_add_f64_e32 v[24:25], v[43:44], v[146:147]
	v_add_f64_e32 v[43:44], v[140:141], v[144:145]
	v_fma_f64 v[140:141], v[4:5], v[26:27], v[148:149]
	v_fma_f64 v[26:27], v[2:3], v[26:27], -v[28:29]
	v_fma_f64 v[132:133], v[138:139], v[30:31], v[132:133]
	v_fma_f64 v[30:31], v[136:137], v[30:31], -v[32:33]
	v_add_f64_e32 v[28:29], v[24:25], v[22:23]
	v_add_f64_e32 v[43:44], v[43:44], v[134:135]
	ds_load_b128 v[2:5], v1 offset:1136
	ds_load_b128 v[22:25], v1 offset:1152
	s_wait_loadcnt_dscnt 0x601
	v_mul_f64_e32 v[134:135], v[2:3], v[41:42]
	v_mul_f64_e32 v[41:42], v[4:5], v[41:42]
	s_wait_loadcnt_dscnt 0x500
	v_mul_f64_e32 v[32:33], v[22:23], v[130:131]
	v_add_f64_e32 v[26:27], v[28:29], v[26:27]
	v_add_f64_e32 v[28:29], v[43:44], v[140:141]
	v_mul_f64_e32 v[43:44], v[24:25], v[130:131]
	v_fma_f64 v[130:131], v[4:5], v[39:40], v[134:135]
	v_fma_f64 v[39:40], v[2:3], v[39:40], -v[41:42]
	v_fma_f64 v[24:25], v[24:25], v[128:129], v[32:33]
	v_add_f64_e32 v[30:31], v[26:27], v[30:31]
	v_add_f64_e32 v[41:42], v[28:29], v[132:133]
	ds_load_b128 v[2:5], v1 offset:1168
	ds_load_b128 v[26:29], v1 offset:1184
	v_fma_f64 v[22:23], v[22:23], v[128:129], -v[43:44]
	s_wait_loadcnt_dscnt 0x401
	v_mul_f64_e32 v[132:133], v[2:3], v[36:37]
	v_mul_f64_e32 v[36:37], v[4:5], v[36:37]
	v_add_f64_e32 v[30:31], v[30:31], v[39:40]
	v_add_f64_e32 v[32:33], v[41:42], v[130:131]
	s_wait_loadcnt_dscnt 0x300
	v_mul_f64_e32 v[39:40], v[26:27], v[8:9]
	v_mul_f64_e32 v[8:9], v[28:29], v[8:9]
	v_fma_f64 v[41:42], v[4:5], v[34:35], v[132:133]
	v_fma_f64 v[34:35], v[2:3], v[34:35], -v[36:37]
	v_add_f64_e32 v[30:31], v[30:31], v[22:23]
	v_add_f64_e32 v[32:33], v[32:33], v[24:25]
	ds_load_b128 v[2:5], v1 offset:1200
	ds_load_b128 v[22:25], v1 offset:1216
	v_fma_f64 v[28:29], v[28:29], v[6:7], v[39:40]
	v_fma_f64 v[6:7], v[26:27], v[6:7], -v[8:9]
	s_wait_loadcnt_dscnt 0x201
	v_mul_f64_e32 v[36:37], v[2:3], v[12:13]
	v_mul_f64_e32 v[12:13], v[4:5], v[12:13]
	v_add_f64_e32 v[8:9], v[30:31], v[34:35]
	v_add_f64_e32 v[26:27], v[32:33], v[41:42]
	s_wait_loadcnt_dscnt 0x100
	v_mul_f64_e32 v[30:31], v[22:23], v[16:17]
	v_mul_f64_e32 v[16:17], v[24:25], v[16:17]
	v_fma_f64 v[32:33], v[4:5], v[10:11], v[36:37]
	v_fma_f64 v[10:11], v[2:3], v[10:11], -v[12:13]
	ds_load_b128 v[2:5], v1 offset:1232
	v_add_f64_e32 v[6:7], v[8:9], v[6:7]
	v_add_f64_e32 v[8:9], v[26:27], v[28:29]
	v_fma_f64 v[24:25], v[24:25], v[14:15], v[30:31]
	v_fma_f64 v[14:15], v[22:23], v[14:15], -v[16:17]
	s_wait_loadcnt_dscnt 0x0
	v_mul_f64_e32 v[12:13], v[2:3], v[20:21]
	v_mul_f64_e32 v[20:21], v[4:5], v[20:21]
	v_add_f64_e32 v[6:7], v[6:7], v[10:11]
	v_add_f64_e32 v[8:9], v[8:9], v[32:33]
	s_delay_alu instid0(VALU_DEP_4) | instskip(NEXT) | instid1(VALU_DEP_4)
	v_fma_f64 v[4:5], v[4:5], v[18:19], v[12:13]
	v_fma_f64 v[2:3], v[2:3], v[18:19], -v[20:21]
	s_delay_alu instid0(VALU_DEP_4) | instskip(NEXT) | instid1(VALU_DEP_4)
	v_add_f64_e32 v[6:7], v[6:7], v[14:15]
	v_add_f64_e32 v[8:9], v[8:9], v[24:25]
	s_delay_alu instid0(VALU_DEP_2) | instskip(NEXT) | instid1(VALU_DEP_2)
	v_add_f64_e32 v[2:3], v[6:7], v[2:3]
	v_add_f64_e32 v[4:5], v[8:9], v[4:5]
	s_delay_alu instid0(VALU_DEP_2) | instskip(NEXT) | instid1(VALU_DEP_2)
	v_add_f64_e64 v[2:3], v[124:125], -v[2:3]
	v_add_f64_e64 v[4:5], v[126:127], -v[4:5]
	scratch_store_b128 off, v[2:5], off offset:224
	v_cmpx_lt_u32_e32 12, v0
	s_cbranch_execz .LBB102_223
; %bb.222:
	scratch_load_b128 v[5:8], off, s13
	v_dual_mov_b32 v2, v1 :: v_dual_mov_b32 v3, v1
	v_mov_b32_e32 v4, v1
	scratch_store_b128 off, v[1:4], off offset:208
	s_wait_loadcnt 0x0
	ds_store_b128 v38, v[5:8]
.LBB102_223:
	s_wait_alu 0xfffe
	s_or_b32 exec_lo, exec_lo, s0
	s_wait_storecnt_dscnt 0x0
	s_barrier_signal -1
	s_barrier_wait -1
	global_inv scope:SCOPE_SE
	s_clause 0x8
	scratch_load_b128 v[2:5], off, off offset:224
	scratch_load_b128 v[6:9], off, off offset:240
	scratch_load_b128 v[10:13], off, off offset:256
	scratch_load_b128 v[14:17], off, off offset:272
	scratch_load_b128 v[18:21], off, off offset:288
	scratch_load_b128 v[22:25], off, off offset:304
	scratch_load_b128 v[26:29], off, off offset:320
	scratch_load_b128 v[30:33], off, off offset:336
	scratch_load_b128 v[34:37], off, off offset:352
	ds_load_b128 v[39:42], v1 offset:832
	ds_load_b128 v[124:127], v1 offset:848
	s_clause 0x1
	scratch_load_b128 v[128:131], off, off offset:208
	scratch_load_b128 v[132:135], off, off offset:368
	s_mov_b32 s0, exec_lo
	ds_load_b128 v[136:139], v1 offset:880
	s_wait_loadcnt_dscnt 0xa02
	v_mul_f64_e32 v[43:44], v[41:42], v[4:5]
	v_mul_f64_e32 v[4:5], v[39:40], v[4:5]
	s_wait_loadcnt_dscnt 0x901
	v_mul_f64_e32 v[140:141], v[124:125], v[8:9]
	v_mul_f64_e32 v[8:9], v[126:127], v[8:9]
	s_delay_alu instid0(VALU_DEP_4) | instskip(NEXT) | instid1(VALU_DEP_4)
	v_fma_f64 v[43:44], v[39:40], v[2:3], -v[43:44]
	v_fma_f64 v[142:143], v[41:42], v[2:3], v[4:5]
	ds_load_b128 v[2:5], v1 offset:864
	scratch_load_b128 v[39:42], off, off offset:384
	v_fma_f64 v[126:127], v[126:127], v[6:7], v[140:141]
	v_fma_f64 v[124:125], v[124:125], v[6:7], -v[8:9]
	scratch_load_b128 v[6:9], off, off offset:400
	s_wait_loadcnt_dscnt 0xa00
	v_mul_f64_e32 v[144:145], v[2:3], v[12:13]
	v_mul_f64_e32 v[12:13], v[4:5], v[12:13]
	v_add_f64_e32 v[43:44], 0, v[43:44]
	v_add_f64_e32 v[140:141], 0, v[142:143]
	s_wait_loadcnt 0x9
	v_mul_f64_e32 v[142:143], v[136:137], v[16:17]
	v_mul_f64_e32 v[16:17], v[138:139], v[16:17]
	v_fma_f64 v[144:145], v[4:5], v[10:11], v[144:145]
	v_fma_f64 v[146:147], v[2:3], v[10:11], -v[12:13]
	ds_load_b128 v[2:5], v1 offset:896
	scratch_load_b128 v[10:13], off, off offset:416
	v_add_f64_e32 v[43:44], v[43:44], v[124:125]
	v_add_f64_e32 v[140:141], v[140:141], v[126:127]
	ds_load_b128 v[124:127], v1 offset:912
	v_fma_f64 v[138:139], v[138:139], v[14:15], v[142:143]
	v_fma_f64 v[136:137], v[136:137], v[14:15], -v[16:17]
	scratch_load_b128 v[14:17], off, off offset:432
	s_wait_loadcnt_dscnt 0xa01
	v_mul_f64_e32 v[148:149], v[2:3], v[20:21]
	v_mul_f64_e32 v[20:21], v[4:5], v[20:21]
	s_wait_loadcnt_dscnt 0x900
	v_mul_f64_e32 v[142:143], v[124:125], v[24:25]
	v_mul_f64_e32 v[24:25], v[126:127], v[24:25]
	v_add_f64_e32 v[43:44], v[43:44], v[146:147]
	v_add_f64_e32 v[140:141], v[140:141], v[144:145]
	v_fma_f64 v[144:145], v[4:5], v[18:19], v[148:149]
	v_fma_f64 v[146:147], v[2:3], v[18:19], -v[20:21]
	ds_load_b128 v[2:5], v1 offset:928
	scratch_load_b128 v[18:21], off, off offset:448
	v_fma_f64 v[126:127], v[126:127], v[22:23], v[142:143]
	v_fma_f64 v[124:125], v[124:125], v[22:23], -v[24:25]
	scratch_load_b128 v[22:25], off, off offset:464
	v_add_f64_e32 v[43:44], v[43:44], v[136:137]
	v_add_f64_e32 v[140:141], v[140:141], v[138:139]
	ds_load_b128 v[136:139], v1 offset:944
	s_wait_loadcnt_dscnt 0xa01
	v_mul_f64_e32 v[148:149], v[2:3], v[28:29]
	v_mul_f64_e32 v[28:29], v[4:5], v[28:29]
	s_wait_loadcnt_dscnt 0x900
	v_mul_f64_e32 v[142:143], v[136:137], v[32:33]
	v_mul_f64_e32 v[32:33], v[138:139], v[32:33]
	v_add_f64_e32 v[43:44], v[43:44], v[146:147]
	v_add_f64_e32 v[140:141], v[140:141], v[144:145]
	v_fma_f64 v[144:145], v[4:5], v[26:27], v[148:149]
	v_fma_f64 v[146:147], v[2:3], v[26:27], -v[28:29]
	ds_load_b128 v[2:5], v1 offset:960
	scratch_load_b128 v[26:29], off, off offset:480
	v_fma_f64 v[138:139], v[138:139], v[30:31], v[142:143]
	v_fma_f64 v[136:137], v[136:137], v[30:31], -v[32:33]
	scratch_load_b128 v[30:33], off, off offset:496
	v_add_f64_e32 v[43:44], v[43:44], v[124:125]
	v_add_f64_e32 v[140:141], v[140:141], v[126:127]
	ds_load_b128 v[124:127], v1 offset:976
	s_wait_loadcnt_dscnt 0xa01
	v_mul_f64_e32 v[148:149], v[2:3], v[36:37]
	v_mul_f64_e32 v[36:37], v[4:5], v[36:37]
	s_wait_loadcnt_dscnt 0x800
	v_mul_f64_e32 v[142:143], v[124:125], v[134:135]
	v_add_f64_e32 v[43:44], v[43:44], v[146:147]
	v_add_f64_e32 v[140:141], v[140:141], v[144:145]
	v_mul_f64_e32 v[144:145], v[126:127], v[134:135]
	v_fma_f64 v[146:147], v[4:5], v[34:35], v[148:149]
	v_fma_f64 v[148:149], v[2:3], v[34:35], -v[36:37]
	ds_load_b128 v[2:5], v1 offset:992
	scratch_load_b128 v[34:37], off, off offset:512
	v_fma_f64 v[126:127], v[126:127], v[132:133], v[142:143]
	v_add_f64_e32 v[43:44], v[43:44], v[136:137]
	v_add_f64_e32 v[138:139], v[140:141], v[138:139]
	ds_load_b128 v[134:137], v1 offset:1008
	v_fma_f64 v[124:125], v[124:125], v[132:133], -v[144:145]
	s_wait_loadcnt_dscnt 0x801
	v_mul_f64_e32 v[140:141], v[2:3], v[41:42]
	v_mul_f64_e32 v[150:151], v[4:5], v[41:42]
	s_wait_loadcnt_dscnt 0x700
	v_mul_f64_e32 v[142:143], v[134:135], v[8:9]
	v_mul_f64_e32 v[8:9], v[136:137], v[8:9]
	v_add_f64_e32 v[132:133], v[43:44], v[148:149]
	v_add_f64_e32 v[138:139], v[138:139], v[146:147]
	scratch_load_b128 v[41:44], off, off offset:528
	v_fma_f64 v[144:145], v[4:5], v[39:40], v[140:141]
	v_fma_f64 v[39:40], v[2:3], v[39:40], -v[150:151]
	ds_load_b128 v[2:5], v1 offset:1024
	v_fma_f64 v[136:137], v[136:137], v[6:7], v[142:143]
	v_fma_f64 v[134:135], v[134:135], v[6:7], -v[8:9]
	scratch_load_b128 v[6:9], off, off offset:560
	v_add_f64_e32 v[132:133], v[132:133], v[124:125]
	v_add_f64_e32 v[146:147], v[138:139], v[126:127]
	scratch_load_b128 v[124:127], off, off offset:544
	ds_load_b128 v[138:141], v1 offset:1040
	s_wait_loadcnt_dscnt 0x901
	v_mul_f64_e32 v[148:149], v[2:3], v[12:13]
	v_mul_f64_e32 v[12:13], v[4:5], v[12:13]
	s_wait_loadcnt_dscnt 0x800
	v_mul_f64_e32 v[142:143], v[138:139], v[16:17]
	v_mul_f64_e32 v[16:17], v[140:141], v[16:17]
	v_add_f64_e32 v[39:40], v[132:133], v[39:40]
	v_add_f64_e32 v[132:133], v[146:147], v[144:145]
	v_fma_f64 v[144:145], v[4:5], v[10:11], v[148:149]
	v_fma_f64 v[146:147], v[2:3], v[10:11], -v[12:13]
	ds_load_b128 v[2:5], v1 offset:1056
	scratch_load_b128 v[10:13], off, off offset:576
	v_fma_f64 v[140:141], v[140:141], v[14:15], v[142:143]
	v_fma_f64 v[138:139], v[138:139], v[14:15], -v[16:17]
	scratch_load_b128 v[14:17], off, off offset:592
	v_add_f64_e32 v[39:40], v[39:40], v[134:135]
	v_add_f64_e32 v[136:137], v[132:133], v[136:137]
	ds_load_b128 v[132:135], v1 offset:1072
	s_wait_loadcnt_dscnt 0x901
	v_mul_f64_e32 v[148:149], v[2:3], v[20:21]
	v_mul_f64_e32 v[20:21], v[4:5], v[20:21]
	s_wait_loadcnt_dscnt 0x800
	v_mul_f64_e32 v[142:143], v[132:133], v[24:25]
	v_mul_f64_e32 v[24:25], v[134:135], v[24:25]
	v_add_f64_e32 v[39:40], v[39:40], v[146:147]
	v_add_f64_e32 v[136:137], v[136:137], v[144:145]
	v_fma_f64 v[144:145], v[4:5], v[18:19], v[148:149]
	v_fma_f64 v[146:147], v[2:3], v[18:19], -v[20:21]
	ds_load_b128 v[2:5], v1 offset:1088
	scratch_load_b128 v[18:21], off, off offset:608
	v_fma_f64 v[134:135], v[134:135], v[22:23], v[142:143]
	v_fma_f64 v[132:133], v[132:133], v[22:23], -v[24:25]
	scratch_load_b128 v[22:25], off, off offset:624
	v_add_f64_e32 v[39:40], v[39:40], v[138:139]
	v_add_f64_e32 v[140:141], v[136:137], v[140:141]
	ds_load_b128 v[136:139], v1 offset:1104
	s_wait_loadcnt_dscnt 0x901
	v_mul_f64_e32 v[148:149], v[2:3], v[28:29]
	v_mul_f64_e32 v[28:29], v[4:5], v[28:29]
	s_wait_loadcnt_dscnt 0x800
	v_mul_f64_e32 v[142:143], v[136:137], v[32:33]
	v_mul_f64_e32 v[32:33], v[138:139], v[32:33]
	v_add_f64_e32 v[39:40], v[39:40], v[146:147]
	v_add_f64_e32 v[140:141], v[140:141], v[144:145]
	v_fma_f64 v[144:145], v[4:5], v[26:27], v[148:149]
	v_fma_f64 v[146:147], v[2:3], v[26:27], -v[28:29]
	ds_load_b128 v[2:5], v1 offset:1120
	ds_load_b128 v[26:29], v1 offset:1136
	v_fma_f64 v[138:139], v[138:139], v[30:31], v[142:143]
	v_fma_f64 v[30:31], v[136:137], v[30:31], -v[32:33]
	v_add_f64_e32 v[39:40], v[39:40], v[132:133]
	v_add_f64_e32 v[132:133], v[140:141], v[134:135]
	s_wait_loadcnt_dscnt 0x701
	v_mul_f64_e32 v[134:135], v[2:3], v[36:37]
	v_mul_f64_e32 v[36:37], v[4:5], v[36:37]
	s_delay_alu instid0(VALU_DEP_4) | instskip(NEXT) | instid1(VALU_DEP_4)
	v_add_f64_e32 v[32:33], v[39:40], v[146:147]
	v_add_f64_e32 v[39:40], v[132:133], v[144:145]
	s_delay_alu instid0(VALU_DEP_4) | instskip(NEXT) | instid1(VALU_DEP_4)
	v_fma_f64 v[134:135], v[4:5], v[34:35], v[134:135]
	v_fma_f64 v[34:35], v[2:3], v[34:35], -v[36:37]
	s_wait_loadcnt_dscnt 0x600
	v_mul_f64_e32 v[132:133], v[26:27], v[43:44]
	v_mul_f64_e32 v[43:44], v[28:29], v[43:44]
	v_add_f64_e32 v[36:37], v[32:33], v[30:31]
	v_add_f64_e32 v[39:40], v[39:40], v[138:139]
	ds_load_b128 v[2:5], v1 offset:1152
	ds_load_b128 v[30:33], v1 offset:1168
	v_fma_f64 v[28:29], v[28:29], v[41:42], v[132:133]
	v_fma_f64 v[26:27], v[26:27], v[41:42], -v[43:44]
	s_wait_loadcnt_dscnt 0x401
	v_mul_f64_e32 v[136:137], v[2:3], v[126:127]
	v_mul_f64_e32 v[126:127], v[4:5], v[126:127]
	v_add_f64_e32 v[34:35], v[36:37], v[34:35]
	v_add_f64_e32 v[36:37], v[39:40], v[134:135]
	s_wait_dscnt 0x0
	v_mul_f64_e32 v[39:40], v[30:31], v[8:9]
	v_mul_f64_e32 v[8:9], v[32:33], v[8:9]
	v_fma_f64 v[41:42], v[4:5], v[124:125], v[136:137]
	v_fma_f64 v[43:44], v[2:3], v[124:125], -v[126:127]
	v_add_f64_e32 v[34:35], v[34:35], v[26:27]
	v_add_f64_e32 v[36:37], v[36:37], v[28:29]
	ds_load_b128 v[2:5], v1 offset:1184
	ds_load_b128 v[26:29], v1 offset:1200
	v_fma_f64 v[32:33], v[32:33], v[6:7], v[39:40]
	v_fma_f64 v[6:7], v[30:31], v[6:7], -v[8:9]
	s_wait_loadcnt_dscnt 0x301
	v_mul_f64_e32 v[124:125], v[2:3], v[12:13]
	v_mul_f64_e32 v[12:13], v[4:5], v[12:13]
	v_add_f64_e32 v[8:9], v[34:35], v[43:44]
	v_add_f64_e32 v[30:31], v[36:37], v[41:42]
	s_wait_loadcnt_dscnt 0x200
	v_mul_f64_e32 v[34:35], v[26:27], v[16:17]
	v_mul_f64_e32 v[16:17], v[28:29], v[16:17]
	v_fma_f64 v[36:37], v[4:5], v[10:11], v[124:125]
	v_fma_f64 v[10:11], v[2:3], v[10:11], -v[12:13]
	v_add_f64_e32 v[12:13], v[8:9], v[6:7]
	v_add_f64_e32 v[30:31], v[30:31], v[32:33]
	ds_load_b128 v[2:5], v1 offset:1216
	ds_load_b128 v[6:9], v1 offset:1232
	v_fma_f64 v[28:29], v[28:29], v[14:15], v[34:35]
	v_fma_f64 v[14:15], v[26:27], v[14:15], -v[16:17]
	s_wait_loadcnt_dscnt 0x101
	v_mul_f64_e32 v[32:33], v[2:3], v[20:21]
	v_mul_f64_e32 v[20:21], v[4:5], v[20:21]
	s_wait_loadcnt_dscnt 0x0
	v_mul_f64_e32 v[16:17], v[6:7], v[24:25]
	v_mul_f64_e32 v[24:25], v[8:9], v[24:25]
	v_add_f64_e32 v[10:11], v[12:13], v[10:11]
	v_add_f64_e32 v[12:13], v[30:31], v[36:37]
	v_fma_f64 v[4:5], v[4:5], v[18:19], v[32:33]
	v_fma_f64 v[1:2], v[2:3], v[18:19], -v[20:21]
	v_fma_f64 v[8:9], v[8:9], v[22:23], v[16:17]
	v_fma_f64 v[6:7], v[6:7], v[22:23], -v[24:25]
	v_add_f64_e32 v[10:11], v[10:11], v[14:15]
	v_add_f64_e32 v[12:13], v[12:13], v[28:29]
	s_delay_alu instid0(VALU_DEP_2) | instskip(NEXT) | instid1(VALU_DEP_2)
	v_add_f64_e32 v[1:2], v[10:11], v[1:2]
	v_add_f64_e32 v[3:4], v[12:13], v[4:5]
	s_delay_alu instid0(VALU_DEP_2) | instskip(NEXT) | instid1(VALU_DEP_2)
	v_add_f64_e32 v[1:2], v[1:2], v[6:7]
	v_add_f64_e32 v[3:4], v[3:4], v[8:9]
	s_delay_alu instid0(VALU_DEP_2) | instskip(NEXT) | instid1(VALU_DEP_2)
	v_add_f64_e64 v[1:2], v[128:129], -v[1:2]
	v_add_f64_e64 v[3:4], v[130:131], -v[3:4]
	scratch_store_b128 off, v[1:4], off offset:208
	v_cmpx_lt_u32_e32 11, v0
	s_cbranch_execz .LBB102_225
; %bb.224:
	scratch_load_b128 v[1:4], off, s31
	v_mov_b32_e32 v5, 0
	s_delay_alu instid0(VALU_DEP_1)
	v_dual_mov_b32 v6, v5 :: v_dual_mov_b32 v7, v5
	v_mov_b32_e32 v8, v5
	scratch_store_b128 off, v[5:8], off offset:192
	s_wait_loadcnt 0x0
	ds_store_b128 v38, v[1:4]
.LBB102_225:
	s_wait_alu 0xfffe
	s_or_b32 exec_lo, exec_lo, s0
	s_wait_storecnt_dscnt 0x0
	s_barrier_signal -1
	s_barrier_wait -1
	global_inv scope:SCOPE_SE
	s_clause 0x7
	scratch_load_b128 v[2:5], off, off offset:208
	scratch_load_b128 v[6:9], off, off offset:224
	;; [unrolled: 1-line block ×8, first 2 shown]
	v_mov_b32_e32 v1, 0
	s_mov_b32 s0, exec_lo
	ds_load_b128 v[34:37], v1 offset:816
	s_clause 0x1
	scratch_load_b128 v[39:42], off, off offset:336
	scratch_load_b128 v[124:127], off, off offset:192
	ds_load_b128 v[128:131], v1 offset:832
	scratch_load_b128 v[132:135], off, off offset:352
	ds_load_b128 v[136:139], v1 offset:864
	s_wait_loadcnt_dscnt 0xa02
	v_mul_f64_e32 v[43:44], v[36:37], v[4:5]
	v_mul_f64_e32 v[4:5], v[34:35], v[4:5]
	s_delay_alu instid0(VALU_DEP_2) | instskip(NEXT) | instid1(VALU_DEP_2)
	v_fma_f64 v[43:44], v[34:35], v[2:3], -v[43:44]
	v_fma_f64 v[142:143], v[36:37], v[2:3], v[4:5]
	ds_load_b128 v[2:5], v1 offset:848
	s_wait_loadcnt_dscnt 0x902
	v_mul_f64_e32 v[140:141], v[128:129], v[8:9]
	v_mul_f64_e32 v[8:9], v[130:131], v[8:9]
	scratch_load_b128 v[34:37], off, off offset:368
	s_wait_loadcnt_dscnt 0x900
	v_mul_f64_e32 v[144:145], v[2:3], v[12:13]
	v_mul_f64_e32 v[12:13], v[4:5], v[12:13]
	v_add_f64_e32 v[43:44], 0, v[43:44]
	v_fma_f64 v[130:131], v[130:131], v[6:7], v[140:141]
	v_fma_f64 v[128:129], v[128:129], v[6:7], -v[8:9]
	v_add_f64_e32 v[140:141], 0, v[142:143]
	scratch_load_b128 v[6:9], off, off offset:384
	v_fma_f64 v[144:145], v[4:5], v[10:11], v[144:145]
	v_fma_f64 v[146:147], v[2:3], v[10:11], -v[12:13]
	ds_load_b128 v[2:5], v1 offset:880
	s_wait_loadcnt 0x9
	v_mul_f64_e32 v[142:143], v[136:137], v[16:17]
	v_mul_f64_e32 v[16:17], v[138:139], v[16:17]
	scratch_load_b128 v[10:13], off, off offset:400
	v_add_f64_e32 v[43:44], v[43:44], v[128:129]
	v_add_f64_e32 v[140:141], v[140:141], v[130:131]
	s_wait_loadcnt_dscnt 0x900
	v_mul_f64_e32 v[148:149], v[2:3], v[20:21]
	v_mul_f64_e32 v[20:21], v[4:5], v[20:21]
	ds_load_b128 v[128:131], v1 offset:896
	v_fma_f64 v[138:139], v[138:139], v[14:15], v[142:143]
	v_fma_f64 v[136:137], v[136:137], v[14:15], -v[16:17]
	scratch_load_b128 v[14:17], off, off offset:416
	v_add_f64_e32 v[43:44], v[43:44], v[146:147]
	v_add_f64_e32 v[140:141], v[140:141], v[144:145]
	v_fma_f64 v[144:145], v[4:5], v[18:19], v[148:149]
	v_fma_f64 v[146:147], v[2:3], v[18:19], -v[20:21]
	ds_load_b128 v[2:5], v1 offset:912
	s_wait_loadcnt_dscnt 0x901
	v_mul_f64_e32 v[142:143], v[128:129], v[24:25]
	v_mul_f64_e32 v[24:25], v[130:131], v[24:25]
	scratch_load_b128 v[18:21], off, off offset:432
	s_wait_loadcnt_dscnt 0x900
	v_mul_f64_e32 v[148:149], v[2:3], v[28:29]
	v_mul_f64_e32 v[28:29], v[4:5], v[28:29]
	v_add_f64_e32 v[43:44], v[43:44], v[136:137]
	v_add_f64_e32 v[140:141], v[140:141], v[138:139]
	ds_load_b128 v[136:139], v1 offset:928
	v_fma_f64 v[130:131], v[130:131], v[22:23], v[142:143]
	v_fma_f64 v[128:129], v[128:129], v[22:23], -v[24:25]
	scratch_load_b128 v[22:25], off, off offset:448
	v_add_f64_e32 v[43:44], v[43:44], v[146:147]
	v_add_f64_e32 v[140:141], v[140:141], v[144:145]
	v_fma_f64 v[144:145], v[4:5], v[26:27], v[148:149]
	v_fma_f64 v[146:147], v[2:3], v[26:27], -v[28:29]
	ds_load_b128 v[2:5], v1 offset:944
	s_wait_loadcnt_dscnt 0x901
	v_mul_f64_e32 v[142:143], v[136:137], v[32:33]
	v_mul_f64_e32 v[32:33], v[138:139], v[32:33]
	scratch_load_b128 v[26:29], off, off offset:464
	s_wait_loadcnt_dscnt 0x900
	v_mul_f64_e32 v[148:149], v[2:3], v[41:42]
	v_mul_f64_e32 v[41:42], v[4:5], v[41:42]
	v_add_f64_e32 v[43:44], v[43:44], v[128:129]
	v_add_f64_e32 v[140:141], v[140:141], v[130:131]
	ds_load_b128 v[128:131], v1 offset:960
	v_fma_f64 v[138:139], v[138:139], v[30:31], v[142:143]
	v_fma_f64 v[136:137], v[136:137], v[30:31], -v[32:33]
	scratch_load_b128 v[30:33], off, off offset:480
	v_add_f64_e32 v[43:44], v[43:44], v[146:147]
	v_add_f64_e32 v[140:141], v[140:141], v[144:145]
	v_fma_f64 v[146:147], v[4:5], v[39:40], v[148:149]
	v_fma_f64 v[148:149], v[2:3], v[39:40], -v[41:42]
	ds_load_b128 v[2:5], v1 offset:976
	s_wait_loadcnt_dscnt 0x801
	v_mul_f64_e32 v[142:143], v[128:129], v[134:135]
	v_mul_f64_e32 v[144:145], v[130:131], v[134:135]
	scratch_load_b128 v[39:42], off, off offset:496
	v_add_f64_e32 v[43:44], v[43:44], v[136:137]
	v_add_f64_e32 v[138:139], v[140:141], v[138:139]
	ds_load_b128 v[134:137], v1 offset:992
	v_fma_f64 v[142:143], v[130:131], v[132:133], v[142:143]
	v_fma_f64 v[132:133], v[128:129], v[132:133], -v[144:145]
	scratch_load_b128 v[128:131], off, off offset:512
	s_wait_loadcnt_dscnt 0x901
	v_mul_f64_e32 v[140:141], v[2:3], v[36:37]
	v_mul_f64_e32 v[36:37], v[4:5], v[36:37]
	v_add_f64_e32 v[43:44], v[43:44], v[148:149]
	v_add_f64_e32 v[138:139], v[138:139], v[146:147]
	s_delay_alu instid0(VALU_DEP_4) | instskip(NEXT) | instid1(VALU_DEP_4)
	v_fma_f64 v[146:147], v[4:5], v[34:35], v[140:141]
	v_fma_f64 v[148:149], v[2:3], v[34:35], -v[36:37]
	ds_load_b128 v[2:5], v1 offset:1008
	s_wait_loadcnt_dscnt 0x801
	v_mul_f64_e32 v[144:145], v[134:135], v[8:9]
	v_mul_f64_e32 v[8:9], v[136:137], v[8:9]
	scratch_load_b128 v[34:37], off, off offset:528
	v_add_f64_e32 v[43:44], v[43:44], v[132:133]
	v_add_f64_e32 v[132:133], v[138:139], v[142:143]
	s_wait_loadcnt_dscnt 0x800
	v_mul_f64_e32 v[142:143], v[2:3], v[12:13]
	v_mul_f64_e32 v[12:13], v[4:5], v[12:13]
	ds_load_b128 v[138:141], v1 offset:1024
	v_fma_f64 v[136:137], v[136:137], v[6:7], v[144:145]
	v_fma_f64 v[134:135], v[134:135], v[6:7], -v[8:9]
	scratch_load_b128 v[6:9], off, off offset:544
	v_add_f64_e32 v[43:44], v[43:44], v[148:149]
	v_add_f64_e32 v[132:133], v[132:133], v[146:147]
	v_fma_f64 v[142:143], v[4:5], v[10:11], v[142:143]
	v_fma_f64 v[146:147], v[2:3], v[10:11], -v[12:13]
	ds_load_b128 v[2:5], v1 offset:1040
	s_wait_loadcnt_dscnt 0x801
	v_mul_f64_e32 v[144:145], v[138:139], v[16:17]
	v_mul_f64_e32 v[16:17], v[140:141], v[16:17]
	scratch_load_b128 v[10:13], off, off offset:560
	s_wait_loadcnt_dscnt 0x800
	v_mul_f64_e32 v[148:149], v[2:3], v[20:21]
	v_mul_f64_e32 v[20:21], v[4:5], v[20:21]
	v_add_f64_e32 v[43:44], v[43:44], v[134:135]
	v_add_f64_e32 v[136:137], v[132:133], v[136:137]
	ds_load_b128 v[132:135], v1 offset:1056
	v_fma_f64 v[140:141], v[140:141], v[14:15], v[144:145]
	v_fma_f64 v[138:139], v[138:139], v[14:15], -v[16:17]
	scratch_load_b128 v[14:17], off, off offset:576
	v_fma_f64 v[144:145], v[4:5], v[18:19], v[148:149]
	v_add_f64_e32 v[43:44], v[43:44], v[146:147]
	v_add_f64_e32 v[136:137], v[136:137], v[142:143]
	v_fma_f64 v[146:147], v[2:3], v[18:19], -v[20:21]
	ds_load_b128 v[2:5], v1 offset:1072
	s_wait_loadcnt_dscnt 0x801
	v_mul_f64_e32 v[142:143], v[132:133], v[24:25]
	v_mul_f64_e32 v[24:25], v[134:135], v[24:25]
	scratch_load_b128 v[18:21], off, off offset:592
	s_wait_loadcnt_dscnt 0x800
	v_mul_f64_e32 v[148:149], v[2:3], v[28:29]
	v_mul_f64_e32 v[28:29], v[4:5], v[28:29]
	v_add_f64_e32 v[43:44], v[43:44], v[138:139]
	v_add_f64_e32 v[140:141], v[136:137], v[140:141]
	ds_load_b128 v[136:139], v1 offset:1088
	v_fma_f64 v[134:135], v[134:135], v[22:23], v[142:143]
	v_fma_f64 v[132:133], v[132:133], v[22:23], -v[24:25]
	scratch_load_b128 v[22:25], off, off offset:608
	v_add_f64_e32 v[43:44], v[43:44], v[146:147]
	v_add_f64_e32 v[140:141], v[140:141], v[144:145]
	v_fma_f64 v[144:145], v[4:5], v[26:27], v[148:149]
	v_fma_f64 v[146:147], v[2:3], v[26:27], -v[28:29]
	ds_load_b128 v[2:5], v1 offset:1104
	s_wait_loadcnt_dscnt 0x801
	v_mul_f64_e32 v[142:143], v[136:137], v[32:33]
	v_mul_f64_e32 v[32:33], v[138:139], v[32:33]
	scratch_load_b128 v[26:29], off, off offset:624
	s_wait_loadcnt_dscnt 0x800
	v_mul_f64_e32 v[148:149], v[2:3], v[41:42]
	v_mul_f64_e32 v[41:42], v[4:5], v[41:42]
	v_add_f64_e32 v[43:44], v[43:44], v[132:133]
	v_add_f64_e32 v[140:141], v[140:141], v[134:135]
	ds_load_b128 v[132:135], v1 offset:1120
	v_fma_f64 v[138:139], v[138:139], v[30:31], v[142:143]
	v_fma_f64 v[30:31], v[136:137], v[30:31], -v[32:33]
	s_wait_loadcnt_dscnt 0x700
	v_mul_f64_e32 v[136:137], v[132:133], v[130:131]
	v_mul_f64_e32 v[130:131], v[134:135], v[130:131]
	v_add_f64_e32 v[32:33], v[43:44], v[146:147]
	v_add_f64_e32 v[43:44], v[140:141], v[144:145]
	v_fma_f64 v[140:141], v[4:5], v[39:40], v[148:149]
	v_fma_f64 v[39:40], v[2:3], v[39:40], -v[41:42]
	v_fma_f64 v[134:135], v[134:135], v[128:129], v[136:137]
	v_fma_f64 v[128:129], v[132:133], v[128:129], -v[130:131]
	v_add_f64_e32 v[41:42], v[32:33], v[30:31]
	v_add_f64_e32 v[43:44], v[43:44], v[138:139]
	ds_load_b128 v[2:5], v1 offset:1136
	ds_load_b128 v[30:33], v1 offset:1152
	s_wait_loadcnt_dscnt 0x601
	v_mul_f64_e32 v[138:139], v[2:3], v[36:37]
	v_mul_f64_e32 v[36:37], v[4:5], v[36:37]
	v_add_f64_e32 v[39:40], v[41:42], v[39:40]
	v_add_f64_e32 v[41:42], v[43:44], v[140:141]
	s_wait_loadcnt_dscnt 0x500
	v_mul_f64_e32 v[43:44], v[30:31], v[8:9]
	v_mul_f64_e32 v[8:9], v[32:33], v[8:9]
	v_fma_f64 v[130:131], v[4:5], v[34:35], v[138:139]
	v_fma_f64 v[132:133], v[2:3], v[34:35], -v[36:37]
	ds_load_b128 v[2:5], v1 offset:1168
	ds_load_b128 v[34:37], v1 offset:1184
	v_add_f64_e32 v[39:40], v[39:40], v[128:129]
	v_add_f64_e32 v[41:42], v[41:42], v[134:135]
	v_fma_f64 v[32:33], v[32:33], v[6:7], v[43:44]
	v_fma_f64 v[6:7], v[30:31], v[6:7], -v[8:9]
	s_wait_loadcnt_dscnt 0x401
	v_mul_f64_e32 v[128:129], v[2:3], v[12:13]
	v_mul_f64_e32 v[12:13], v[4:5], v[12:13]
	v_add_f64_e32 v[8:9], v[39:40], v[132:133]
	v_add_f64_e32 v[30:31], v[41:42], v[130:131]
	s_wait_loadcnt_dscnt 0x300
	v_mul_f64_e32 v[39:40], v[34:35], v[16:17]
	v_mul_f64_e32 v[16:17], v[36:37], v[16:17]
	v_fma_f64 v[41:42], v[4:5], v[10:11], v[128:129]
	v_fma_f64 v[10:11], v[2:3], v[10:11], -v[12:13]
	v_add_f64_e32 v[12:13], v[8:9], v[6:7]
	v_add_f64_e32 v[30:31], v[30:31], v[32:33]
	ds_load_b128 v[2:5], v1 offset:1200
	ds_load_b128 v[6:9], v1 offset:1216
	v_fma_f64 v[36:37], v[36:37], v[14:15], v[39:40]
	v_fma_f64 v[14:15], v[34:35], v[14:15], -v[16:17]
	s_wait_loadcnt_dscnt 0x201
	v_mul_f64_e32 v[32:33], v[2:3], v[20:21]
	v_mul_f64_e32 v[20:21], v[4:5], v[20:21]
	s_wait_loadcnt_dscnt 0x100
	v_mul_f64_e32 v[16:17], v[6:7], v[24:25]
	v_mul_f64_e32 v[24:25], v[8:9], v[24:25]
	v_add_f64_e32 v[10:11], v[12:13], v[10:11]
	v_add_f64_e32 v[12:13], v[30:31], v[41:42]
	v_fma_f64 v[30:31], v[4:5], v[18:19], v[32:33]
	v_fma_f64 v[18:19], v[2:3], v[18:19], -v[20:21]
	ds_load_b128 v[2:5], v1 offset:1232
	v_fma_f64 v[8:9], v[8:9], v[22:23], v[16:17]
	v_fma_f64 v[6:7], v[6:7], v[22:23], -v[24:25]
	v_add_f64_e32 v[10:11], v[10:11], v[14:15]
	v_add_f64_e32 v[12:13], v[12:13], v[36:37]
	s_wait_loadcnt_dscnt 0x0
	v_mul_f64_e32 v[14:15], v[2:3], v[28:29]
	v_mul_f64_e32 v[20:21], v[4:5], v[28:29]
	s_delay_alu instid0(VALU_DEP_4) | instskip(NEXT) | instid1(VALU_DEP_4)
	v_add_f64_e32 v[10:11], v[10:11], v[18:19]
	v_add_f64_e32 v[12:13], v[12:13], v[30:31]
	s_delay_alu instid0(VALU_DEP_4) | instskip(NEXT) | instid1(VALU_DEP_4)
	v_fma_f64 v[4:5], v[4:5], v[26:27], v[14:15]
	v_fma_f64 v[2:3], v[2:3], v[26:27], -v[20:21]
	s_delay_alu instid0(VALU_DEP_4) | instskip(NEXT) | instid1(VALU_DEP_4)
	v_add_f64_e32 v[6:7], v[10:11], v[6:7]
	v_add_f64_e32 v[8:9], v[12:13], v[8:9]
	s_delay_alu instid0(VALU_DEP_2) | instskip(NEXT) | instid1(VALU_DEP_2)
	v_add_f64_e32 v[2:3], v[6:7], v[2:3]
	v_add_f64_e32 v[4:5], v[8:9], v[4:5]
	s_delay_alu instid0(VALU_DEP_2) | instskip(NEXT) | instid1(VALU_DEP_2)
	v_add_f64_e64 v[2:3], v[124:125], -v[2:3]
	v_add_f64_e64 v[4:5], v[126:127], -v[4:5]
	scratch_store_b128 off, v[2:5], off offset:192
	v_cmpx_lt_u32_e32 10, v0
	s_cbranch_execz .LBB102_227
; %bb.226:
	scratch_load_b128 v[5:8], off, s11
	v_dual_mov_b32 v2, v1 :: v_dual_mov_b32 v3, v1
	v_mov_b32_e32 v4, v1
	scratch_store_b128 off, v[1:4], off offset:176
	s_wait_loadcnt 0x0
	ds_store_b128 v38, v[5:8]
.LBB102_227:
	s_wait_alu 0xfffe
	s_or_b32 exec_lo, exec_lo, s0
	s_wait_storecnt_dscnt 0x0
	s_barrier_signal -1
	s_barrier_wait -1
	global_inv scope:SCOPE_SE
	s_clause 0x8
	scratch_load_b128 v[2:5], off, off offset:192
	scratch_load_b128 v[6:9], off, off offset:208
	;; [unrolled: 1-line block ×9, first 2 shown]
	ds_load_b128 v[39:42], v1 offset:800
	ds_load_b128 v[124:127], v1 offset:816
	s_clause 0x1
	scratch_load_b128 v[128:131], off, off offset:176
	scratch_load_b128 v[132:135], off, off offset:336
	s_mov_b32 s0, exec_lo
	ds_load_b128 v[136:139], v1 offset:848
	s_wait_loadcnt_dscnt 0xa02
	v_mul_f64_e32 v[43:44], v[41:42], v[4:5]
	v_mul_f64_e32 v[4:5], v[39:40], v[4:5]
	s_wait_loadcnt_dscnt 0x901
	v_mul_f64_e32 v[140:141], v[124:125], v[8:9]
	v_mul_f64_e32 v[8:9], v[126:127], v[8:9]
	s_delay_alu instid0(VALU_DEP_4) | instskip(NEXT) | instid1(VALU_DEP_4)
	v_fma_f64 v[43:44], v[39:40], v[2:3], -v[43:44]
	v_fma_f64 v[142:143], v[41:42], v[2:3], v[4:5]
	ds_load_b128 v[2:5], v1 offset:832
	scratch_load_b128 v[39:42], off, off offset:352
	v_fma_f64 v[126:127], v[126:127], v[6:7], v[140:141]
	v_fma_f64 v[124:125], v[124:125], v[6:7], -v[8:9]
	scratch_load_b128 v[6:9], off, off offset:368
	s_wait_loadcnt_dscnt 0xa00
	v_mul_f64_e32 v[144:145], v[2:3], v[12:13]
	v_mul_f64_e32 v[12:13], v[4:5], v[12:13]
	v_add_f64_e32 v[43:44], 0, v[43:44]
	v_add_f64_e32 v[140:141], 0, v[142:143]
	s_wait_loadcnt 0x9
	v_mul_f64_e32 v[142:143], v[136:137], v[16:17]
	v_mul_f64_e32 v[16:17], v[138:139], v[16:17]
	v_fma_f64 v[144:145], v[4:5], v[10:11], v[144:145]
	v_fma_f64 v[146:147], v[2:3], v[10:11], -v[12:13]
	ds_load_b128 v[2:5], v1 offset:864
	scratch_load_b128 v[10:13], off, off offset:384
	v_add_f64_e32 v[43:44], v[43:44], v[124:125]
	v_add_f64_e32 v[140:141], v[140:141], v[126:127]
	ds_load_b128 v[124:127], v1 offset:880
	v_fma_f64 v[138:139], v[138:139], v[14:15], v[142:143]
	v_fma_f64 v[136:137], v[136:137], v[14:15], -v[16:17]
	scratch_load_b128 v[14:17], off, off offset:400
	s_wait_loadcnt_dscnt 0xa01
	v_mul_f64_e32 v[148:149], v[2:3], v[20:21]
	v_mul_f64_e32 v[20:21], v[4:5], v[20:21]
	s_wait_loadcnt_dscnt 0x900
	v_mul_f64_e32 v[142:143], v[124:125], v[24:25]
	v_mul_f64_e32 v[24:25], v[126:127], v[24:25]
	v_add_f64_e32 v[43:44], v[43:44], v[146:147]
	v_add_f64_e32 v[140:141], v[140:141], v[144:145]
	v_fma_f64 v[144:145], v[4:5], v[18:19], v[148:149]
	v_fma_f64 v[146:147], v[2:3], v[18:19], -v[20:21]
	ds_load_b128 v[2:5], v1 offset:896
	scratch_load_b128 v[18:21], off, off offset:416
	v_fma_f64 v[126:127], v[126:127], v[22:23], v[142:143]
	v_fma_f64 v[124:125], v[124:125], v[22:23], -v[24:25]
	scratch_load_b128 v[22:25], off, off offset:432
	v_add_f64_e32 v[43:44], v[43:44], v[136:137]
	v_add_f64_e32 v[140:141], v[140:141], v[138:139]
	ds_load_b128 v[136:139], v1 offset:912
	s_wait_loadcnt_dscnt 0xa01
	v_mul_f64_e32 v[148:149], v[2:3], v[28:29]
	v_mul_f64_e32 v[28:29], v[4:5], v[28:29]
	s_wait_loadcnt_dscnt 0x900
	v_mul_f64_e32 v[142:143], v[136:137], v[32:33]
	v_mul_f64_e32 v[32:33], v[138:139], v[32:33]
	v_add_f64_e32 v[43:44], v[43:44], v[146:147]
	v_add_f64_e32 v[140:141], v[140:141], v[144:145]
	v_fma_f64 v[144:145], v[4:5], v[26:27], v[148:149]
	v_fma_f64 v[146:147], v[2:3], v[26:27], -v[28:29]
	ds_load_b128 v[2:5], v1 offset:928
	scratch_load_b128 v[26:29], off, off offset:448
	v_fma_f64 v[138:139], v[138:139], v[30:31], v[142:143]
	v_fma_f64 v[136:137], v[136:137], v[30:31], -v[32:33]
	scratch_load_b128 v[30:33], off, off offset:464
	v_add_f64_e32 v[43:44], v[43:44], v[124:125]
	v_add_f64_e32 v[140:141], v[140:141], v[126:127]
	ds_load_b128 v[124:127], v1 offset:944
	s_wait_loadcnt_dscnt 0xa01
	v_mul_f64_e32 v[148:149], v[2:3], v[36:37]
	v_mul_f64_e32 v[36:37], v[4:5], v[36:37]
	s_wait_loadcnt_dscnt 0x800
	v_mul_f64_e32 v[142:143], v[124:125], v[134:135]
	v_add_f64_e32 v[43:44], v[43:44], v[146:147]
	v_add_f64_e32 v[140:141], v[140:141], v[144:145]
	v_mul_f64_e32 v[144:145], v[126:127], v[134:135]
	v_fma_f64 v[146:147], v[4:5], v[34:35], v[148:149]
	v_fma_f64 v[148:149], v[2:3], v[34:35], -v[36:37]
	ds_load_b128 v[2:5], v1 offset:960
	scratch_load_b128 v[34:37], off, off offset:480
	v_fma_f64 v[126:127], v[126:127], v[132:133], v[142:143]
	v_add_f64_e32 v[43:44], v[43:44], v[136:137]
	v_add_f64_e32 v[138:139], v[140:141], v[138:139]
	ds_load_b128 v[134:137], v1 offset:976
	v_fma_f64 v[124:125], v[124:125], v[132:133], -v[144:145]
	s_wait_loadcnt_dscnt 0x801
	v_mul_f64_e32 v[140:141], v[2:3], v[41:42]
	v_mul_f64_e32 v[150:151], v[4:5], v[41:42]
	s_wait_loadcnt_dscnt 0x700
	v_mul_f64_e32 v[142:143], v[134:135], v[8:9]
	v_mul_f64_e32 v[8:9], v[136:137], v[8:9]
	v_add_f64_e32 v[132:133], v[43:44], v[148:149]
	v_add_f64_e32 v[138:139], v[138:139], v[146:147]
	scratch_load_b128 v[41:44], off, off offset:496
	v_fma_f64 v[144:145], v[4:5], v[39:40], v[140:141]
	v_fma_f64 v[39:40], v[2:3], v[39:40], -v[150:151]
	ds_load_b128 v[2:5], v1 offset:992
	v_fma_f64 v[136:137], v[136:137], v[6:7], v[142:143]
	v_fma_f64 v[134:135], v[134:135], v[6:7], -v[8:9]
	scratch_load_b128 v[6:9], off, off offset:528
	v_add_f64_e32 v[132:133], v[132:133], v[124:125]
	v_add_f64_e32 v[146:147], v[138:139], v[126:127]
	scratch_load_b128 v[124:127], off, off offset:512
	ds_load_b128 v[138:141], v1 offset:1008
	s_wait_loadcnt_dscnt 0x901
	v_mul_f64_e32 v[148:149], v[2:3], v[12:13]
	v_mul_f64_e32 v[12:13], v[4:5], v[12:13]
	s_wait_loadcnt_dscnt 0x800
	v_mul_f64_e32 v[142:143], v[138:139], v[16:17]
	v_mul_f64_e32 v[16:17], v[140:141], v[16:17]
	v_add_f64_e32 v[39:40], v[132:133], v[39:40]
	v_add_f64_e32 v[132:133], v[146:147], v[144:145]
	v_fma_f64 v[144:145], v[4:5], v[10:11], v[148:149]
	v_fma_f64 v[146:147], v[2:3], v[10:11], -v[12:13]
	ds_load_b128 v[2:5], v1 offset:1024
	scratch_load_b128 v[10:13], off, off offset:544
	v_fma_f64 v[140:141], v[140:141], v[14:15], v[142:143]
	v_fma_f64 v[138:139], v[138:139], v[14:15], -v[16:17]
	scratch_load_b128 v[14:17], off, off offset:560
	v_add_f64_e32 v[39:40], v[39:40], v[134:135]
	v_add_f64_e32 v[136:137], v[132:133], v[136:137]
	ds_load_b128 v[132:135], v1 offset:1040
	s_wait_loadcnt_dscnt 0x901
	v_mul_f64_e32 v[148:149], v[2:3], v[20:21]
	v_mul_f64_e32 v[20:21], v[4:5], v[20:21]
	s_wait_loadcnt_dscnt 0x800
	v_mul_f64_e32 v[142:143], v[132:133], v[24:25]
	v_mul_f64_e32 v[24:25], v[134:135], v[24:25]
	v_add_f64_e32 v[39:40], v[39:40], v[146:147]
	v_add_f64_e32 v[136:137], v[136:137], v[144:145]
	v_fma_f64 v[144:145], v[4:5], v[18:19], v[148:149]
	v_fma_f64 v[146:147], v[2:3], v[18:19], -v[20:21]
	ds_load_b128 v[2:5], v1 offset:1056
	scratch_load_b128 v[18:21], off, off offset:576
	v_fma_f64 v[134:135], v[134:135], v[22:23], v[142:143]
	v_fma_f64 v[132:133], v[132:133], v[22:23], -v[24:25]
	scratch_load_b128 v[22:25], off, off offset:592
	v_add_f64_e32 v[39:40], v[39:40], v[138:139]
	v_add_f64_e32 v[140:141], v[136:137], v[140:141]
	;; [unrolled: 18-line block ×3, first 2 shown]
	ds_load_b128 v[132:135], v1 offset:1104
	s_wait_loadcnt_dscnt 0x901
	v_mul_f64_e32 v[148:149], v[2:3], v[36:37]
	v_mul_f64_e32 v[36:37], v[4:5], v[36:37]
	v_add_f64_e32 v[39:40], v[39:40], v[146:147]
	v_add_f64_e32 v[140:141], v[140:141], v[144:145]
	s_delay_alu instid0(VALU_DEP_4) | instskip(NEXT) | instid1(VALU_DEP_4)
	v_fma_f64 v[144:145], v[4:5], v[34:35], v[148:149]
	v_fma_f64 v[146:147], v[2:3], v[34:35], -v[36:37]
	ds_load_b128 v[2:5], v1 offset:1120
	ds_load_b128 v[34:37], v1 offset:1136
	s_wait_loadcnt_dscnt 0x802
	v_mul_f64_e32 v[142:143], v[132:133], v[43:44]
	v_mul_f64_e32 v[43:44], v[134:135], v[43:44]
	v_add_f64_e32 v[39:40], v[39:40], v[136:137]
	v_add_f64_e32 v[136:137], v[140:141], v[138:139]
	s_wait_loadcnt_dscnt 0x601
	v_mul_f64_e32 v[138:139], v[2:3], v[126:127]
	v_mul_f64_e32 v[126:127], v[4:5], v[126:127]
	v_fma_f64 v[134:135], v[134:135], v[41:42], v[142:143]
	v_fma_f64 v[41:42], v[132:133], v[41:42], -v[43:44]
	s_wait_dscnt 0x0
	v_mul_f64_e32 v[132:133], v[34:35], v[8:9]
	v_mul_f64_e32 v[8:9], v[36:37], v[8:9]
	v_add_f64_e32 v[39:40], v[39:40], v[146:147]
	v_add_f64_e32 v[43:44], v[136:137], v[144:145]
	v_fma_f64 v[136:137], v[4:5], v[124:125], v[138:139]
	v_fma_f64 v[124:125], v[2:3], v[124:125], -v[126:127]
	v_fma_f64 v[36:37], v[36:37], v[6:7], v[132:133]
	v_fma_f64 v[6:7], v[34:35], v[6:7], -v[8:9]
	v_add_f64_e32 v[126:127], v[39:40], v[41:42]
	v_add_f64_e32 v[43:44], v[43:44], v[134:135]
	ds_load_b128 v[2:5], v1 offset:1152
	ds_load_b128 v[39:42], v1 offset:1168
	s_wait_loadcnt_dscnt 0x501
	v_mul_f64_e32 v[134:135], v[2:3], v[12:13]
	v_mul_f64_e32 v[12:13], v[4:5], v[12:13]
	v_add_f64_e32 v[8:9], v[126:127], v[124:125]
	v_add_f64_e32 v[34:35], v[43:44], v[136:137]
	s_wait_loadcnt_dscnt 0x400
	v_mul_f64_e32 v[43:44], v[39:40], v[16:17]
	v_mul_f64_e32 v[16:17], v[41:42], v[16:17]
	v_fma_f64 v[124:125], v[4:5], v[10:11], v[134:135]
	v_fma_f64 v[10:11], v[2:3], v[10:11], -v[12:13]
	v_add_f64_e32 v[12:13], v[8:9], v[6:7]
	v_add_f64_e32 v[34:35], v[34:35], v[36:37]
	ds_load_b128 v[2:5], v1 offset:1184
	ds_load_b128 v[6:9], v1 offset:1200
	v_fma_f64 v[41:42], v[41:42], v[14:15], v[43:44]
	v_fma_f64 v[14:15], v[39:40], v[14:15], -v[16:17]
	s_wait_loadcnt_dscnt 0x301
	v_mul_f64_e32 v[36:37], v[2:3], v[20:21]
	v_mul_f64_e32 v[20:21], v[4:5], v[20:21]
	s_wait_loadcnt_dscnt 0x200
	v_mul_f64_e32 v[16:17], v[6:7], v[24:25]
	v_mul_f64_e32 v[24:25], v[8:9], v[24:25]
	v_add_f64_e32 v[10:11], v[12:13], v[10:11]
	v_add_f64_e32 v[12:13], v[34:35], v[124:125]
	v_fma_f64 v[34:35], v[4:5], v[18:19], v[36:37]
	v_fma_f64 v[18:19], v[2:3], v[18:19], -v[20:21]
	v_fma_f64 v[8:9], v[8:9], v[22:23], v[16:17]
	v_fma_f64 v[6:7], v[6:7], v[22:23], -v[24:25]
	v_add_f64_e32 v[14:15], v[10:11], v[14:15]
	v_add_f64_e32 v[20:21], v[12:13], v[41:42]
	ds_load_b128 v[2:5], v1 offset:1216
	ds_load_b128 v[10:13], v1 offset:1232
	s_wait_loadcnt_dscnt 0x101
	v_mul_f64_e32 v[36:37], v[2:3], v[28:29]
	v_mul_f64_e32 v[28:29], v[4:5], v[28:29]
	v_add_f64_e32 v[14:15], v[14:15], v[18:19]
	v_add_f64_e32 v[16:17], v[20:21], v[34:35]
	s_wait_loadcnt_dscnt 0x0
	v_mul_f64_e32 v[18:19], v[10:11], v[32:33]
	v_mul_f64_e32 v[20:21], v[12:13], v[32:33]
	v_fma_f64 v[4:5], v[4:5], v[26:27], v[36:37]
	v_fma_f64 v[1:2], v[2:3], v[26:27], -v[28:29]
	v_add_f64_e32 v[6:7], v[14:15], v[6:7]
	v_add_f64_e32 v[8:9], v[16:17], v[8:9]
	v_fma_f64 v[12:13], v[12:13], v[30:31], v[18:19]
	v_fma_f64 v[10:11], v[10:11], v[30:31], -v[20:21]
	s_delay_alu instid0(VALU_DEP_4) | instskip(NEXT) | instid1(VALU_DEP_4)
	v_add_f64_e32 v[1:2], v[6:7], v[1:2]
	v_add_f64_e32 v[3:4], v[8:9], v[4:5]
	s_delay_alu instid0(VALU_DEP_2) | instskip(NEXT) | instid1(VALU_DEP_2)
	v_add_f64_e32 v[1:2], v[1:2], v[10:11]
	v_add_f64_e32 v[3:4], v[3:4], v[12:13]
	s_delay_alu instid0(VALU_DEP_2) | instskip(NEXT) | instid1(VALU_DEP_2)
	v_add_f64_e64 v[1:2], v[128:129], -v[1:2]
	v_add_f64_e64 v[3:4], v[130:131], -v[3:4]
	scratch_store_b128 off, v[1:4], off offset:176
	v_cmpx_lt_u32_e32 9, v0
	s_cbranch_execz .LBB102_229
; %bb.228:
	scratch_load_b128 v[1:4], off, s30
	v_mov_b32_e32 v5, 0
	s_delay_alu instid0(VALU_DEP_1)
	v_dual_mov_b32 v6, v5 :: v_dual_mov_b32 v7, v5
	v_mov_b32_e32 v8, v5
	scratch_store_b128 off, v[5:8], off offset:160
	s_wait_loadcnt 0x0
	ds_store_b128 v38, v[1:4]
.LBB102_229:
	s_wait_alu 0xfffe
	s_or_b32 exec_lo, exec_lo, s0
	s_wait_storecnt_dscnt 0x0
	s_barrier_signal -1
	s_barrier_wait -1
	global_inv scope:SCOPE_SE
	s_clause 0x7
	scratch_load_b128 v[2:5], off, off offset:176
	scratch_load_b128 v[6:9], off, off offset:192
	;; [unrolled: 1-line block ×8, first 2 shown]
	v_mov_b32_e32 v1, 0
	s_mov_b32 s0, exec_lo
	ds_load_b128 v[34:37], v1 offset:784
	s_clause 0x1
	scratch_load_b128 v[39:42], off, off offset:304
	scratch_load_b128 v[124:127], off, off offset:160
	ds_load_b128 v[128:131], v1 offset:800
	scratch_load_b128 v[132:135], off, off offset:320
	ds_load_b128 v[136:139], v1 offset:832
	s_wait_loadcnt_dscnt 0xa02
	v_mul_f64_e32 v[43:44], v[36:37], v[4:5]
	v_mul_f64_e32 v[4:5], v[34:35], v[4:5]
	s_delay_alu instid0(VALU_DEP_2) | instskip(NEXT) | instid1(VALU_DEP_2)
	v_fma_f64 v[43:44], v[34:35], v[2:3], -v[43:44]
	v_fma_f64 v[142:143], v[36:37], v[2:3], v[4:5]
	ds_load_b128 v[2:5], v1 offset:816
	s_wait_loadcnt_dscnt 0x902
	v_mul_f64_e32 v[140:141], v[128:129], v[8:9]
	v_mul_f64_e32 v[8:9], v[130:131], v[8:9]
	scratch_load_b128 v[34:37], off, off offset:336
	s_wait_loadcnt_dscnt 0x900
	v_mul_f64_e32 v[144:145], v[2:3], v[12:13]
	v_mul_f64_e32 v[12:13], v[4:5], v[12:13]
	v_add_f64_e32 v[43:44], 0, v[43:44]
	v_fma_f64 v[130:131], v[130:131], v[6:7], v[140:141]
	v_fma_f64 v[128:129], v[128:129], v[6:7], -v[8:9]
	v_add_f64_e32 v[140:141], 0, v[142:143]
	scratch_load_b128 v[6:9], off, off offset:352
	v_fma_f64 v[144:145], v[4:5], v[10:11], v[144:145]
	v_fma_f64 v[146:147], v[2:3], v[10:11], -v[12:13]
	ds_load_b128 v[2:5], v1 offset:848
	s_wait_loadcnt 0x9
	v_mul_f64_e32 v[142:143], v[136:137], v[16:17]
	v_mul_f64_e32 v[16:17], v[138:139], v[16:17]
	scratch_load_b128 v[10:13], off, off offset:368
	v_add_f64_e32 v[43:44], v[43:44], v[128:129]
	v_add_f64_e32 v[140:141], v[140:141], v[130:131]
	s_wait_loadcnt_dscnt 0x900
	v_mul_f64_e32 v[148:149], v[2:3], v[20:21]
	v_mul_f64_e32 v[20:21], v[4:5], v[20:21]
	ds_load_b128 v[128:131], v1 offset:864
	v_fma_f64 v[138:139], v[138:139], v[14:15], v[142:143]
	v_fma_f64 v[136:137], v[136:137], v[14:15], -v[16:17]
	scratch_load_b128 v[14:17], off, off offset:384
	v_add_f64_e32 v[43:44], v[43:44], v[146:147]
	v_add_f64_e32 v[140:141], v[140:141], v[144:145]
	v_fma_f64 v[144:145], v[4:5], v[18:19], v[148:149]
	v_fma_f64 v[146:147], v[2:3], v[18:19], -v[20:21]
	ds_load_b128 v[2:5], v1 offset:880
	s_wait_loadcnt_dscnt 0x901
	v_mul_f64_e32 v[142:143], v[128:129], v[24:25]
	v_mul_f64_e32 v[24:25], v[130:131], v[24:25]
	scratch_load_b128 v[18:21], off, off offset:400
	s_wait_loadcnt_dscnt 0x900
	v_mul_f64_e32 v[148:149], v[2:3], v[28:29]
	v_mul_f64_e32 v[28:29], v[4:5], v[28:29]
	v_add_f64_e32 v[43:44], v[43:44], v[136:137]
	v_add_f64_e32 v[140:141], v[140:141], v[138:139]
	ds_load_b128 v[136:139], v1 offset:896
	v_fma_f64 v[130:131], v[130:131], v[22:23], v[142:143]
	v_fma_f64 v[128:129], v[128:129], v[22:23], -v[24:25]
	scratch_load_b128 v[22:25], off, off offset:416
	v_add_f64_e32 v[43:44], v[43:44], v[146:147]
	v_add_f64_e32 v[140:141], v[140:141], v[144:145]
	v_fma_f64 v[144:145], v[4:5], v[26:27], v[148:149]
	v_fma_f64 v[146:147], v[2:3], v[26:27], -v[28:29]
	ds_load_b128 v[2:5], v1 offset:912
	s_wait_loadcnt_dscnt 0x901
	v_mul_f64_e32 v[142:143], v[136:137], v[32:33]
	v_mul_f64_e32 v[32:33], v[138:139], v[32:33]
	scratch_load_b128 v[26:29], off, off offset:432
	s_wait_loadcnt_dscnt 0x900
	v_mul_f64_e32 v[148:149], v[2:3], v[41:42]
	v_mul_f64_e32 v[41:42], v[4:5], v[41:42]
	v_add_f64_e32 v[43:44], v[43:44], v[128:129]
	v_add_f64_e32 v[140:141], v[140:141], v[130:131]
	ds_load_b128 v[128:131], v1 offset:928
	v_fma_f64 v[138:139], v[138:139], v[30:31], v[142:143]
	v_fma_f64 v[136:137], v[136:137], v[30:31], -v[32:33]
	scratch_load_b128 v[30:33], off, off offset:448
	v_add_f64_e32 v[43:44], v[43:44], v[146:147]
	v_add_f64_e32 v[140:141], v[140:141], v[144:145]
	v_fma_f64 v[146:147], v[4:5], v[39:40], v[148:149]
	v_fma_f64 v[148:149], v[2:3], v[39:40], -v[41:42]
	ds_load_b128 v[2:5], v1 offset:944
	s_wait_loadcnt_dscnt 0x801
	v_mul_f64_e32 v[142:143], v[128:129], v[134:135]
	v_mul_f64_e32 v[144:145], v[130:131], v[134:135]
	scratch_load_b128 v[39:42], off, off offset:464
	v_add_f64_e32 v[43:44], v[43:44], v[136:137]
	v_add_f64_e32 v[138:139], v[140:141], v[138:139]
	ds_load_b128 v[134:137], v1 offset:960
	v_fma_f64 v[142:143], v[130:131], v[132:133], v[142:143]
	v_fma_f64 v[132:133], v[128:129], v[132:133], -v[144:145]
	scratch_load_b128 v[128:131], off, off offset:480
	s_wait_loadcnt_dscnt 0x901
	v_mul_f64_e32 v[140:141], v[2:3], v[36:37]
	v_mul_f64_e32 v[36:37], v[4:5], v[36:37]
	v_add_f64_e32 v[43:44], v[43:44], v[148:149]
	v_add_f64_e32 v[138:139], v[138:139], v[146:147]
	s_delay_alu instid0(VALU_DEP_4) | instskip(NEXT) | instid1(VALU_DEP_4)
	v_fma_f64 v[146:147], v[4:5], v[34:35], v[140:141]
	v_fma_f64 v[148:149], v[2:3], v[34:35], -v[36:37]
	ds_load_b128 v[2:5], v1 offset:976
	s_wait_loadcnt_dscnt 0x801
	v_mul_f64_e32 v[144:145], v[134:135], v[8:9]
	v_mul_f64_e32 v[8:9], v[136:137], v[8:9]
	scratch_load_b128 v[34:37], off, off offset:496
	v_add_f64_e32 v[43:44], v[43:44], v[132:133]
	v_add_f64_e32 v[132:133], v[138:139], v[142:143]
	s_wait_loadcnt_dscnt 0x800
	v_mul_f64_e32 v[142:143], v[2:3], v[12:13]
	v_mul_f64_e32 v[12:13], v[4:5], v[12:13]
	ds_load_b128 v[138:141], v1 offset:992
	v_fma_f64 v[136:137], v[136:137], v[6:7], v[144:145]
	v_fma_f64 v[134:135], v[134:135], v[6:7], -v[8:9]
	scratch_load_b128 v[6:9], off, off offset:512
	v_add_f64_e32 v[43:44], v[43:44], v[148:149]
	v_add_f64_e32 v[132:133], v[132:133], v[146:147]
	v_fma_f64 v[142:143], v[4:5], v[10:11], v[142:143]
	v_fma_f64 v[146:147], v[2:3], v[10:11], -v[12:13]
	ds_load_b128 v[2:5], v1 offset:1008
	s_wait_loadcnt_dscnt 0x801
	v_mul_f64_e32 v[144:145], v[138:139], v[16:17]
	v_mul_f64_e32 v[16:17], v[140:141], v[16:17]
	scratch_load_b128 v[10:13], off, off offset:528
	s_wait_loadcnt_dscnt 0x800
	v_mul_f64_e32 v[148:149], v[2:3], v[20:21]
	v_mul_f64_e32 v[20:21], v[4:5], v[20:21]
	v_add_f64_e32 v[43:44], v[43:44], v[134:135]
	v_add_f64_e32 v[136:137], v[132:133], v[136:137]
	ds_load_b128 v[132:135], v1 offset:1024
	v_fma_f64 v[140:141], v[140:141], v[14:15], v[144:145]
	v_fma_f64 v[138:139], v[138:139], v[14:15], -v[16:17]
	scratch_load_b128 v[14:17], off, off offset:544
	v_fma_f64 v[144:145], v[4:5], v[18:19], v[148:149]
	v_add_f64_e32 v[43:44], v[43:44], v[146:147]
	v_add_f64_e32 v[136:137], v[136:137], v[142:143]
	v_fma_f64 v[146:147], v[2:3], v[18:19], -v[20:21]
	ds_load_b128 v[2:5], v1 offset:1040
	s_wait_loadcnt_dscnt 0x801
	v_mul_f64_e32 v[142:143], v[132:133], v[24:25]
	v_mul_f64_e32 v[24:25], v[134:135], v[24:25]
	scratch_load_b128 v[18:21], off, off offset:560
	s_wait_loadcnt_dscnt 0x800
	v_mul_f64_e32 v[148:149], v[2:3], v[28:29]
	v_mul_f64_e32 v[28:29], v[4:5], v[28:29]
	v_add_f64_e32 v[43:44], v[43:44], v[138:139]
	v_add_f64_e32 v[140:141], v[136:137], v[140:141]
	ds_load_b128 v[136:139], v1 offset:1056
	v_fma_f64 v[134:135], v[134:135], v[22:23], v[142:143]
	v_fma_f64 v[132:133], v[132:133], v[22:23], -v[24:25]
	scratch_load_b128 v[22:25], off, off offset:576
	v_add_f64_e32 v[43:44], v[43:44], v[146:147]
	v_add_f64_e32 v[140:141], v[140:141], v[144:145]
	v_fma_f64 v[144:145], v[4:5], v[26:27], v[148:149]
	v_fma_f64 v[146:147], v[2:3], v[26:27], -v[28:29]
	ds_load_b128 v[2:5], v1 offset:1072
	s_wait_loadcnt_dscnt 0x801
	v_mul_f64_e32 v[142:143], v[136:137], v[32:33]
	v_mul_f64_e32 v[32:33], v[138:139], v[32:33]
	scratch_load_b128 v[26:29], off, off offset:592
	s_wait_loadcnt_dscnt 0x800
	v_mul_f64_e32 v[148:149], v[2:3], v[41:42]
	v_mul_f64_e32 v[41:42], v[4:5], v[41:42]
	v_add_f64_e32 v[43:44], v[43:44], v[132:133]
	v_add_f64_e32 v[140:141], v[140:141], v[134:135]
	ds_load_b128 v[132:135], v1 offset:1088
	v_fma_f64 v[138:139], v[138:139], v[30:31], v[142:143]
	v_fma_f64 v[136:137], v[136:137], v[30:31], -v[32:33]
	scratch_load_b128 v[30:33], off, off offset:608
	v_add_f64_e32 v[43:44], v[43:44], v[146:147]
	v_add_f64_e32 v[140:141], v[140:141], v[144:145]
	v_fma_f64 v[144:145], v[4:5], v[39:40], v[148:149]
	v_fma_f64 v[146:147], v[2:3], v[39:40], -v[41:42]
	ds_load_b128 v[2:5], v1 offset:1104
	s_wait_loadcnt_dscnt 0x801
	v_mul_f64_e32 v[142:143], v[132:133], v[130:131]
	v_mul_f64_e32 v[130:131], v[134:135], v[130:131]
	scratch_load_b128 v[39:42], off, off offset:624
	s_wait_loadcnt_dscnt 0x800
	v_mul_f64_e32 v[148:149], v[2:3], v[36:37]
	v_add_f64_e32 v[43:44], v[43:44], v[136:137]
	v_add_f64_e32 v[140:141], v[140:141], v[138:139]
	v_mul_f64_e32 v[36:37], v[4:5], v[36:37]
	ds_load_b128 v[136:139], v1 offset:1120
	v_fma_f64 v[134:135], v[134:135], v[128:129], v[142:143]
	v_fma_f64 v[128:129], v[132:133], v[128:129], -v[130:131]
	s_wait_loadcnt_dscnt 0x700
	v_mul_f64_e32 v[132:133], v[136:137], v[8:9]
	v_add_f64_e32 v[43:44], v[43:44], v[146:147]
	v_add_f64_e32 v[130:131], v[140:141], v[144:145]
	v_mul_f64_e32 v[8:9], v[138:139], v[8:9]
	v_fma_f64 v[140:141], v[4:5], v[34:35], v[148:149]
	v_fma_f64 v[142:143], v[2:3], v[34:35], -v[36:37]
	ds_load_b128 v[2:5], v1 offset:1136
	ds_load_b128 v[34:37], v1 offset:1152
	v_fma_f64 v[132:133], v[138:139], v[6:7], v[132:133]
	v_add_f64_e32 v[43:44], v[43:44], v[128:129]
	v_add_f64_e32 v[128:129], v[130:131], v[134:135]
	s_wait_loadcnt_dscnt 0x601
	v_mul_f64_e32 v[130:131], v[2:3], v[12:13]
	v_mul_f64_e32 v[12:13], v[4:5], v[12:13]
	v_fma_f64 v[6:7], v[136:137], v[6:7], -v[8:9]
	v_add_f64_e32 v[8:9], v[43:44], v[142:143]
	v_add_f64_e32 v[43:44], v[128:129], v[140:141]
	s_wait_loadcnt_dscnt 0x500
	v_mul_f64_e32 v[128:129], v[34:35], v[16:17]
	v_mul_f64_e32 v[16:17], v[36:37], v[16:17]
	v_fma_f64 v[130:131], v[4:5], v[10:11], v[130:131]
	v_fma_f64 v[10:11], v[2:3], v[10:11], -v[12:13]
	v_add_f64_e32 v[12:13], v[8:9], v[6:7]
	v_add_f64_e32 v[43:44], v[43:44], v[132:133]
	ds_load_b128 v[2:5], v1 offset:1168
	ds_load_b128 v[6:9], v1 offset:1184
	v_fma_f64 v[36:37], v[36:37], v[14:15], v[128:129]
	v_fma_f64 v[14:15], v[34:35], v[14:15], -v[16:17]
	s_wait_loadcnt_dscnt 0x401
	v_mul_f64_e32 v[132:133], v[2:3], v[20:21]
	v_mul_f64_e32 v[20:21], v[4:5], v[20:21]
	s_wait_loadcnt_dscnt 0x300
	v_mul_f64_e32 v[16:17], v[6:7], v[24:25]
	v_mul_f64_e32 v[24:25], v[8:9], v[24:25]
	v_add_f64_e32 v[10:11], v[12:13], v[10:11]
	v_add_f64_e32 v[12:13], v[43:44], v[130:131]
	v_fma_f64 v[34:35], v[4:5], v[18:19], v[132:133]
	v_fma_f64 v[18:19], v[2:3], v[18:19], -v[20:21]
	v_fma_f64 v[8:9], v[8:9], v[22:23], v[16:17]
	v_fma_f64 v[6:7], v[6:7], v[22:23], -v[24:25]
	v_add_f64_e32 v[14:15], v[10:11], v[14:15]
	v_add_f64_e32 v[20:21], v[12:13], v[36:37]
	ds_load_b128 v[2:5], v1 offset:1200
	ds_load_b128 v[10:13], v1 offset:1216
	s_wait_loadcnt_dscnt 0x201
	v_mul_f64_e32 v[36:37], v[2:3], v[28:29]
	v_mul_f64_e32 v[28:29], v[4:5], v[28:29]
	v_add_f64_e32 v[14:15], v[14:15], v[18:19]
	v_add_f64_e32 v[16:17], v[20:21], v[34:35]
	s_wait_loadcnt_dscnt 0x100
	v_mul_f64_e32 v[18:19], v[10:11], v[32:33]
	v_mul_f64_e32 v[20:21], v[12:13], v[32:33]
	v_fma_f64 v[22:23], v[4:5], v[26:27], v[36:37]
	v_fma_f64 v[24:25], v[2:3], v[26:27], -v[28:29]
	ds_load_b128 v[2:5], v1 offset:1232
	v_add_f64_e32 v[6:7], v[14:15], v[6:7]
	v_add_f64_e32 v[8:9], v[16:17], v[8:9]
	v_fma_f64 v[12:13], v[12:13], v[30:31], v[18:19]
	v_fma_f64 v[10:11], v[10:11], v[30:31], -v[20:21]
	s_wait_loadcnt_dscnt 0x0
	v_mul_f64_e32 v[14:15], v[2:3], v[41:42]
	v_mul_f64_e32 v[16:17], v[4:5], v[41:42]
	v_add_f64_e32 v[6:7], v[6:7], v[24:25]
	v_add_f64_e32 v[8:9], v[8:9], v[22:23]
	s_delay_alu instid0(VALU_DEP_4) | instskip(NEXT) | instid1(VALU_DEP_4)
	v_fma_f64 v[4:5], v[4:5], v[39:40], v[14:15]
	v_fma_f64 v[2:3], v[2:3], v[39:40], -v[16:17]
	s_delay_alu instid0(VALU_DEP_4) | instskip(NEXT) | instid1(VALU_DEP_4)
	v_add_f64_e32 v[6:7], v[6:7], v[10:11]
	v_add_f64_e32 v[8:9], v[8:9], v[12:13]
	s_delay_alu instid0(VALU_DEP_2) | instskip(NEXT) | instid1(VALU_DEP_2)
	v_add_f64_e32 v[2:3], v[6:7], v[2:3]
	v_add_f64_e32 v[4:5], v[8:9], v[4:5]
	s_delay_alu instid0(VALU_DEP_2) | instskip(NEXT) | instid1(VALU_DEP_2)
	v_add_f64_e64 v[2:3], v[124:125], -v[2:3]
	v_add_f64_e64 v[4:5], v[126:127], -v[4:5]
	scratch_store_b128 off, v[2:5], off offset:160
	v_cmpx_lt_u32_e32 8, v0
	s_cbranch_execz .LBB102_231
; %bb.230:
	scratch_load_b128 v[5:8], off, s10
	v_dual_mov_b32 v2, v1 :: v_dual_mov_b32 v3, v1
	v_mov_b32_e32 v4, v1
	scratch_store_b128 off, v[1:4], off offset:144
	s_wait_loadcnt 0x0
	ds_store_b128 v38, v[5:8]
.LBB102_231:
	s_wait_alu 0xfffe
	s_or_b32 exec_lo, exec_lo, s0
	s_wait_storecnt_dscnt 0x0
	s_barrier_signal -1
	s_barrier_wait -1
	global_inv scope:SCOPE_SE
	s_clause 0x8
	scratch_load_b128 v[2:5], off, off offset:160
	scratch_load_b128 v[6:9], off, off offset:176
	;; [unrolled: 1-line block ×9, first 2 shown]
	ds_load_b128 v[39:42], v1 offset:768
	ds_load_b128 v[124:127], v1 offset:784
	s_clause 0x1
	scratch_load_b128 v[128:131], off, off offset:144
	scratch_load_b128 v[132:135], off, off offset:304
	s_mov_b32 s0, exec_lo
	ds_load_b128 v[136:139], v1 offset:816
	s_wait_loadcnt_dscnt 0xa02
	v_mul_f64_e32 v[43:44], v[41:42], v[4:5]
	v_mul_f64_e32 v[4:5], v[39:40], v[4:5]
	s_wait_loadcnt_dscnt 0x901
	v_mul_f64_e32 v[140:141], v[124:125], v[8:9]
	v_mul_f64_e32 v[8:9], v[126:127], v[8:9]
	s_delay_alu instid0(VALU_DEP_4) | instskip(NEXT) | instid1(VALU_DEP_4)
	v_fma_f64 v[43:44], v[39:40], v[2:3], -v[43:44]
	v_fma_f64 v[142:143], v[41:42], v[2:3], v[4:5]
	ds_load_b128 v[2:5], v1 offset:800
	scratch_load_b128 v[39:42], off, off offset:320
	v_fma_f64 v[126:127], v[126:127], v[6:7], v[140:141]
	v_fma_f64 v[124:125], v[124:125], v[6:7], -v[8:9]
	scratch_load_b128 v[6:9], off, off offset:336
	s_wait_loadcnt_dscnt 0xa00
	v_mul_f64_e32 v[144:145], v[2:3], v[12:13]
	v_mul_f64_e32 v[12:13], v[4:5], v[12:13]
	v_add_f64_e32 v[43:44], 0, v[43:44]
	v_add_f64_e32 v[140:141], 0, v[142:143]
	s_wait_loadcnt 0x9
	v_mul_f64_e32 v[142:143], v[136:137], v[16:17]
	v_mul_f64_e32 v[16:17], v[138:139], v[16:17]
	v_fma_f64 v[144:145], v[4:5], v[10:11], v[144:145]
	v_fma_f64 v[146:147], v[2:3], v[10:11], -v[12:13]
	ds_load_b128 v[2:5], v1 offset:832
	scratch_load_b128 v[10:13], off, off offset:352
	v_add_f64_e32 v[43:44], v[43:44], v[124:125]
	v_add_f64_e32 v[140:141], v[140:141], v[126:127]
	ds_load_b128 v[124:127], v1 offset:848
	v_fma_f64 v[138:139], v[138:139], v[14:15], v[142:143]
	v_fma_f64 v[136:137], v[136:137], v[14:15], -v[16:17]
	scratch_load_b128 v[14:17], off, off offset:368
	s_wait_loadcnt_dscnt 0xa01
	v_mul_f64_e32 v[148:149], v[2:3], v[20:21]
	v_mul_f64_e32 v[20:21], v[4:5], v[20:21]
	s_wait_loadcnt_dscnt 0x900
	v_mul_f64_e32 v[142:143], v[124:125], v[24:25]
	v_mul_f64_e32 v[24:25], v[126:127], v[24:25]
	v_add_f64_e32 v[43:44], v[43:44], v[146:147]
	v_add_f64_e32 v[140:141], v[140:141], v[144:145]
	v_fma_f64 v[144:145], v[4:5], v[18:19], v[148:149]
	v_fma_f64 v[146:147], v[2:3], v[18:19], -v[20:21]
	ds_load_b128 v[2:5], v1 offset:864
	scratch_load_b128 v[18:21], off, off offset:384
	v_fma_f64 v[126:127], v[126:127], v[22:23], v[142:143]
	v_fma_f64 v[124:125], v[124:125], v[22:23], -v[24:25]
	scratch_load_b128 v[22:25], off, off offset:400
	v_add_f64_e32 v[43:44], v[43:44], v[136:137]
	v_add_f64_e32 v[140:141], v[140:141], v[138:139]
	ds_load_b128 v[136:139], v1 offset:880
	s_wait_loadcnt_dscnt 0xa01
	v_mul_f64_e32 v[148:149], v[2:3], v[28:29]
	v_mul_f64_e32 v[28:29], v[4:5], v[28:29]
	s_wait_loadcnt_dscnt 0x900
	v_mul_f64_e32 v[142:143], v[136:137], v[32:33]
	v_mul_f64_e32 v[32:33], v[138:139], v[32:33]
	v_add_f64_e32 v[43:44], v[43:44], v[146:147]
	v_add_f64_e32 v[140:141], v[140:141], v[144:145]
	v_fma_f64 v[144:145], v[4:5], v[26:27], v[148:149]
	v_fma_f64 v[146:147], v[2:3], v[26:27], -v[28:29]
	ds_load_b128 v[2:5], v1 offset:896
	scratch_load_b128 v[26:29], off, off offset:416
	v_fma_f64 v[138:139], v[138:139], v[30:31], v[142:143]
	v_fma_f64 v[136:137], v[136:137], v[30:31], -v[32:33]
	scratch_load_b128 v[30:33], off, off offset:432
	v_add_f64_e32 v[43:44], v[43:44], v[124:125]
	v_add_f64_e32 v[140:141], v[140:141], v[126:127]
	ds_load_b128 v[124:127], v1 offset:912
	s_wait_loadcnt_dscnt 0xa01
	v_mul_f64_e32 v[148:149], v[2:3], v[36:37]
	v_mul_f64_e32 v[36:37], v[4:5], v[36:37]
	s_wait_loadcnt_dscnt 0x800
	v_mul_f64_e32 v[142:143], v[124:125], v[134:135]
	v_add_f64_e32 v[43:44], v[43:44], v[146:147]
	v_add_f64_e32 v[140:141], v[140:141], v[144:145]
	v_mul_f64_e32 v[144:145], v[126:127], v[134:135]
	v_fma_f64 v[146:147], v[4:5], v[34:35], v[148:149]
	v_fma_f64 v[148:149], v[2:3], v[34:35], -v[36:37]
	ds_load_b128 v[2:5], v1 offset:928
	scratch_load_b128 v[34:37], off, off offset:448
	v_fma_f64 v[126:127], v[126:127], v[132:133], v[142:143]
	v_add_f64_e32 v[43:44], v[43:44], v[136:137]
	v_add_f64_e32 v[138:139], v[140:141], v[138:139]
	ds_load_b128 v[134:137], v1 offset:944
	v_fma_f64 v[124:125], v[124:125], v[132:133], -v[144:145]
	s_wait_loadcnt_dscnt 0x801
	v_mul_f64_e32 v[140:141], v[2:3], v[41:42]
	v_mul_f64_e32 v[150:151], v[4:5], v[41:42]
	s_wait_loadcnt_dscnt 0x700
	v_mul_f64_e32 v[142:143], v[134:135], v[8:9]
	v_mul_f64_e32 v[8:9], v[136:137], v[8:9]
	v_add_f64_e32 v[132:133], v[43:44], v[148:149]
	v_add_f64_e32 v[138:139], v[138:139], v[146:147]
	scratch_load_b128 v[41:44], off, off offset:464
	v_fma_f64 v[144:145], v[4:5], v[39:40], v[140:141]
	v_fma_f64 v[39:40], v[2:3], v[39:40], -v[150:151]
	ds_load_b128 v[2:5], v1 offset:960
	v_fma_f64 v[136:137], v[136:137], v[6:7], v[142:143]
	v_fma_f64 v[134:135], v[134:135], v[6:7], -v[8:9]
	scratch_load_b128 v[6:9], off, off offset:496
	v_add_f64_e32 v[132:133], v[132:133], v[124:125]
	v_add_f64_e32 v[146:147], v[138:139], v[126:127]
	scratch_load_b128 v[124:127], off, off offset:480
	ds_load_b128 v[138:141], v1 offset:976
	s_wait_loadcnt_dscnt 0x901
	v_mul_f64_e32 v[148:149], v[2:3], v[12:13]
	v_mul_f64_e32 v[12:13], v[4:5], v[12:13]
	s_wait_loadcnt_dscnt 0x800
	v_mul_f64_e32 v[142:143], v[138:139], v[16:17]
	v_mul_f64_e32 v[16:17], v[140:141], v[16:17]
	v_add_f64_e32 v[39:40], v[132:133], v[39:40]
	v_add_f64_e32 v[132:133], v[146:147], v[144:145]
	v_fma_f64 v[144:145], v[4:5], v[10:11], v[148:149]
	v_fma_f64 v[146:147], v[2:3], v[10:11], -v[12:13]
	ds_load_b128 v[2:5], v1 offset:992
	scratch_load_b128 v[10:13], off, off offset:512
	v_fma_f64 v[140:141], v[140:141], v[14:15], v[142:143]
	v_fma_f64 v[138:139], v[138:139], v[14:15], -v[16:17]
	scratch_load_b128 v[14:17], off, off offset:528
	v_add_f64_e32 v[39:40], v[39:40], v[134:135]
	v_add_f64_e32 v[136:137], v[132:133], v[136:137]
	ds_load_b128 v[132:135], v1 offset:1008
	s_wait_loadcnt_dscnt 0x901
	v_mul_f64_e32 v[148:149], v[2:3], v[20:21]
	v_mul_f64_e32 v[20:21], v[4:5], v[20:21]
	s_wait_loadcnt_dscnt 0x800
	v_mul_f64_e32 v[142:143], v[132:133], v[24:25]
	v_mul_f64_e32 v[24:25], v[134:135], v[24:25]
	v_add_f64_e32 v[39:40], v[39:40], v[146:147]
	v_add_f64_e32 v[136:137], v[136:137], v[144:145]
	v_fma_f64 v[144:145], v[4:5], v[18:19], v[148:149]
	v_fma_f64 v[146:147], v[2:3], v[18:19], -v[20:21]
	ds_load_b128 v[2:5], v1 offset:1024
	scratch_load_b128 v[18:21], off, off offset:544
	v_fma_f64 v[134:135], v[134:135], v[22:23], v[142:143]
	v_fma_f64 v[132:133], v[132:133], v[22:23], -v[24:25]
	scratch_load_b128 v[22:25], off, off offset:560
	v_add_f64_e32 v[39:40], v[39:40], v[138:139]
	v_add_f64_e32 v[140:141], v[136:137], v[140:141]
	;; [unrolled: 18-line block ×3, first 2 shown]
	ds_load_b128 v[132:135], v1 offset:1072
	s_wait_loadcnt_dscnt 0x901
	v_mul_f64_e32 v[148:149], v[2:3], v[36:37]
	v_mul_f64_e32 v[36:37], v[4:5], v[36:37]
	v_add_f64_e32 v[39:40], v[39:40], v[146:147]
	v_add_f64_e32 v[140:141], v[140:141], v[144:145]
	s_delay_alu instid0(VALU_DEP_4) | instskip(NEXT) | instid1(VALU_DEP_4)
	v_fma_f64 v[144:145], v[4:5], v[34:35], v[148:149]
	v_fma_f64 v[146:147], v[2:3], v[34:35], -v[36:37]
	ds_load_b128 v[2:5], v1 offset:1088
	scratch_load_b128 v[34:37], off, off offset:608
	s_wait_loadcnt_dscnt 0x901
	v_mul_f64_e32 v[142:143], v[132:133], v[43:44]
	v_mul_f64_e32 v[43:44], v[134:135], v[43:44]
	v_add_f64_e32 v[39:40], v[39:40], v[136:137]
	v_add_f64_e32 v[140:141], v[140:141], v[138:139]
	ds_load_b128 v[136:139], v1 offset:1104
	s_wait_loadcnt_dscnt 0x701
	v_mul_f64_e32 v[148:149], v[2:3], v[126:127]
	v_mul_f64_e32 v[126:127], v[4:5], v[126:127]
	v_fma_f64 v[134:135], v[134:135], v[41:42], v[142:143]
	v_fma_f64 v[43:44], v[132:133], v[41:42], -v[43:44]
	s_wait_dscnt 0x0
	v_mul_f64_e32 v[142:143], v[136:137], v[8:9]
	v_mul_f64_e32 v[8:9], v[138:139], v[8:9]
	v_add_f64_e32 v[132:133], v[39:40], v[146:147]
	v_add_f64_e32 v[140:141], v[140:141], v[144:145]
	scratch_load_b128 v[39:42], off, off offset:624
	v_fma_f64 v[144:145], v[4:5], v[124:125], v[148:149]
	v_fma_f64 v[146:147], v[2:3], v[124:125], -v[126:127]
	ds_load_b128 v[2:5], v1 offset:1120
	ds_load_b128 v[124:127], v1 offset:1136
	v_fma_f64 v[138:139], v[138:139], v[6:7], v[142:143]
	v_fma_f64 v[6:7], v[136:137], v[6:7], -v[8:9]
	v_add_f64_e32 v[43:44], v[132:133], v[43:44]
	v_add_f64_e32 v[132:133], v[140:141], v[134:135]
	s_wait_loadcnt_dscnt 0x701
	v_mul_f64_e32 v[134:135], v[2:3], v[12:13]
	v_mul_f64_e32 v[12:13], v[4:5], v[12:13]
	s_delay_alu instid0(VALU_DEP_4) | instskip(NEXT) | instid1(VALU_DEP_4)
	v_add_f64_e32 v[8:9], v[43:44], v[146:147]
	v_add_f64_e32 v[43:44], v[132:133], v[144:145]
	s_wait_loadcnt_dscnt 0x600
	v_mul_f64_e32 v[132:133], v[124:125], v[16:17]
	v_mul_f64_e32 v[16:17], v[126:127], v[16:17]
	v_fma_f64 v[134:135], v[4:5], v[10:11], v[134:135]
	v_fma_f64 v[10:11], v[2:3], v[10:11], -v[12:13]
	v_add_f64_e32 v[12:13], v[8:9], v[6:7]
	v_add_f64_e32 v[43:44], v[43:44], v[138:139]
	ds_load_b128 v[2:5], v1 offset:1152
	ds_load_b128 v[6:9], v1 offset:1168
	v_fma_f64 v[126:127], v[126:127], v[14:15], v[132:133]
	v_fma_f64 v[14:15], v[124:125], v[14:15], -v[16:17]
	s_wait_loadcnt_dscnt 0x501
	v_mul_f64_e32 v[136:137], v[2:3], v[20:21]
	v_mul_f64_e32 v[20:21], v[4:5], v[20:21]
	s_wait_loadcnt_dscnt 0x400
	v_mul_f64_e32 v[16:17], v[6:7], v[24:25]
	v_mul_f64_e32 v[24:25], v[8:9], v[24:25]
	v_add_f64_e32 v[10:11], v[12:13], v[10:11]
	v_add_f64_e32 v[12:13], v[43:44], v[134:135]
	v_fma_f64 v[43:44], v[4:5], v[18:19], v[136:137]
	v_fma_f64 v[18:19], v[2:3], v[18:19], -v[20:21]
	v_fma_f64 v[8:9], v[8:9], v[22:23], v[16:17]
	v_fma_f64 v[6:7], v[6:7], v[22:23], -v[24:25]
	v_add_f64_e32 v[14:15], v[10:11], v[14:15]
	v_add_f64_e32 v[20:21], v[12:13], v[126:127]
	ds_load_b128 v[2:5], v1 offset:1184
	ds_load_b128 v[10:13], v1 offset:1200
	s_wait_loadcnt_dscnt 0x301
	v_mul_f64_e32 v[124:125], v[2:3], v[28:29]
	v_mul_f64_e32 v[28:29], v[4:5], v[28:29]
	v_add_f64_e32 v[14:15], v[14:15], v[18:19]
	v_add_f64_e32 v[16:17], v[20:21], v[43:44]
	s_wait_loadcnt_dscnt 0x200
	v_mul_f64_e32 v[18:19], v[10:11], v[32:33]
	v_mul_f64_e32 v[20:21], v[12:13], v[32:33]
	v_fma_f64 v[22:23], v[4:5], v[26:27], v[124:125]
	v_fma_f64 v[24:25], v[2:3], v[26:27], -v[28:29]
	v_add_f64_e32 v[14:15], v[14:15], v[6:7]
	v_add_f64_e32 v[16:17], v[16:17], v[8:9]
	ds_load_b128 v[2:5], v1 offset:1216
	ds_load_b128 v[6:9], v1 offset:1232
	v_fma_f64 v[12:13], v[12:13], v[30:31], v[18:19]
	v_fma_f64 v[10:11], v[10:11], v[30:31], -v[20:21]
	s_wait_loadcnt_dscnt 0x101
	v_mul_f64_e32 v[26:27], v[2:3], v[36:37]
	v_mul_f64_e32 v[28:29], v[4:5], v[36:37]
	v_add_f64_e32 v[14:15], v[14:15], v[24:25]
	v_add_f64_e32 v[16:17], v[16:17], v[22:23]
	s_wait_loadcnt_dscnt 0x0
	v_mul_f64_e32 v[18:19], v[6:7], v[41:42]
	v_mul_f64_e32 v[20:21], v[8:9], v[41:42]
	v_fma_f64 v[4:5], v[4:5], v[34:35], v[26:27]
	v_fma_f64 v[1:2], v[2:3], v[34:35], -v[28:29]
	v_add_f64_e32 v[10:11], v[14:15], v[10:11]
	v_add_f64_e32 v[12:13], v[16:17], v[12:13]
	v_fma_f64 v[8:9], v[8:9], v[39:40], v[18:19]
	v_fma_f64 v[6:7], v[6:7], v[39:40], -v[20:21]
	s_delay_alu instid0(VALU_DEP_4) | instskip(NEXT) | instid1(VALU_DEP_4)
	v_add_f64_e32 v[1:2], v[10:11], v[1:2]
	v_add_f64_e32 v[3:4], v[12:13], v[4:5]
	s_delay_alu instid0(VALU_DEP_2) | instskip(NEXT) | instid1(VALU_DEP_2)
	v_add_f64_e32 v[1:2], v[1:2], v[6:7]
	v_add_f64_e32 v[3:4], v[3:4], v[8:9]
	s_delay_alu instid0(VALU_DEP_2) | instskip(NEXT) | instid1(VALU_DEP_2)
	v_add_f64_e64 v[1:2], v[128:129], -v[1:2]
	v_add_f64_e64 v[3:4], v[130:131], -v[3:4]
	scratch_store_b128 off, v[1:4], off offset:144
	v_cmpx_lt_u32_e32 7, v0
	s_cbranch_execz .LBB102_233
; %bb.232:
	scratch_load_b128 v[1:4], off, s29
	v_mov_b32_e32 v5, 0
	s_delay_alu instid0(VALU_DEP_1)
	v_dual_mov_b32 v6, v5 :: v_dual_mov_b32 v7, v5
	v_mov_b32_e32 v8, v5
	scratch_store_b128 off, v[5:8], off offset:128
	s_wait_loadcnt 0x0
	ds_store_b128 v38, v[1:4]
.LBB102_233:
	s_wait_alu 0xfffe
	s_or_b32 exec_lo, exec_lo, s0
	s_wait_storecnt_dscnt 0x0
	s_barrier_signal -1
	s_barrier_wait -1
	global_inv scope:SCOPE_SE
	s_clause 0x7
	scratch_load_b128 v[2:5], off, off offset:144
	scratch_load_b128 v[6:9], off, off offset:160
	;; [unrolled: 1-line block ×8, first 2 shown]
	v_mov_b32_e32 v1, 0
	s_mov_b32 s0, exec_lo
	ds_load_b128 v[34:37], v1 offset:752
	s_clause 0x1
	scratch_load_b128 v[39:42], off, off offset:272
	scratch_load_b128 v[124:127], off, off offset:128
	ds_load_b128 v[128:131], v1 offset:768
	scratch_load_b128 v[132:135], off, off offset:288
	ds_load_b128 v[136:139], v1 offset:800
	s_wait_loadcnt_dscnt 0xa02
	v_mul_f64_e32 v[43:44], v[36:37], v[4:5]
	v_mul_f64_e32 v[4:5], v[34:35], v[4:5]
	s_delay_alu instid0(VALU_DEP_2) | instskip(NEXT) | instid1(VALU_DEP_2)
	v_fma_f64 v[43:44], v[34:35], v[2:3], -v[43:44]
	v_fma_f64 v[142:143], v[36:37], v[2:3], v[4:5]
	ds_load_b128 v[2:5], v1 offset:784
	s_wait_loadcnt_dscnt 0x902
	v_mul_f64_e32 v[140:141], v[128:129], v[8:9]
	v_mul_f64_e32 v[8:9], v[130:131], v[8:9]
	scratch_load_b128 v[34:37], off, off offset:304
	s_wait_loadcnt_dscnt 0x900
	v_mul_f64_e32 v[144:145], v[2:3], v[12:13]
	v_mul_f64_e32 v[12:13], v[4:5], v[12:13]
	v_add_f64_e32 v[43:44], 0, v[43:44]
	v_fma_f64 v[130:131], v[130:131], v[6:7], v[140:141]
	v_fma_f64 v[128:129], v[128:129], v[6:7], -v[8:9]
	v_add_f64_e32 v[140:141], 0, v[142:143]
	scratch_load_b128 v[6:9], off, off offset:320
	v_fma_f64 v[144:145], v[4:5], v[10:11], v[144:145]
	v_fma_f64 v[146:147], v[2:3], v[10:11], -v[12:13]
	ds_load_b128 v[2:5], v1 offset:816
	s_wait_loadcnt 0x9
	v_mul_f64_e32 v[142:143], v[136:137], v[16:17]
	v_mul_f64_e32 v[16:17], v[138:139], v[16:17]
	scratch_load_b128 v[10:13], off, off offset:336
	v_add_f64_e32 v[43:44], v[43:44], v[128:129]
	v_add_f64_e32 v[140:141], v[140:141], v[130:131]
	s_wait_loadcnt_dscnt 0x900
	v_mul_f64_e32 v[148:149], v[2:3], v[20:21]
	v_mul_f64_e32 v[20:21], v[4:5], v[20:21]
	ds_load_b128 v[128:131], v1 offset:832
	v_fma_f64 v[138:139], v[138:139], v[14:15], v[142:143]
	v_fma_f64 v[136:137], v[136:137], v[14:15], -v[16:17]
	scratch_load_b128 v[14:17], off, off offset:352
	v_add_f64_e32 v[43:44], v[43:44], v[146:147]
	v_add_f64_e32 v[140:141], v[140:141], v[144:145]
	v_fma_f64 v[144:145], v[4:5], v[18:19], v[148:149]
	v_fma_f64 v[146:147], v[2:3], v[18:19], -v[20:21]
	ds_load_b128 v[2:5], v1 offset:848
	s_wait_loadcnt_dscnt 0x901
	v_mul_f64_e32 v[142:143], v[128:129], v[24:25]
	v_mul_f64_e32 v[24:25], v[130:131], v[24:25]
	scratch_load_b128 v[18:21], off, off offset:368
	s_wait_loadcnt_dscnt 0x900
	v_mul_f64_e32 v[148:149], v[2:3], v[28:29]
	v_mul_f64_e32 v[28:29], v[4:5], v[28:29]
	v_add_f64_e32 v[43:44], v[43:44], v[136:137]
	v_add_f64_e32 v[140:141], v[140:141], v[138:139]
	ds_load_b128 v[136:139], v1 offset:864
	v_fma_f64 v[130:131], v[130:131], v[22:23], v[142:143]
	v_fma_f64 v[128:129], v[128:129], v[22:23], -v[24:25]
	scratch_load_b128 v[22:25], off, off offset:384
	v_add_f64_e32 v[43:44], v[43:44], v[146:147]
	v_add_f64_e32 v[140:141], v[140:141], v[144:145]
	v_fma_f64 v[144:145], v[4:5], v[26:27], v[148:149]
	v_fma_f64 v[146:147], v[2:3], v[26:27], -v[28:29]
	ds_load_b128 v[2:5], v1 offset:880
	s_wait_loadcnt_dscnt 0x901
	v_mul_f64_e32 v[142:143], v[136:137], v[32:33]
	v_mul_f64_e32 v[32:33], v[138:139], v[32:33]
	scratch_load_b128 v[26:29], off, off offset:400
	s_wait_loadcnt_dscnt 0x900
	v_mul_f64_e32 v[148:149], v[2:3], v[41:42]
	v_mul_f64_e32 v[41:42], v[4:5], v[41:42]
	v_add_f64_e32 v[43:44], v[43:44], v[128:129]
	v_add_f64_e32 v[140:141], v[140:141], v[130:131]
	ds_load_b128 v[128:131], v1 offset:896
	v_fma_f64 v[138:139], v[138:139], v[30:31], v[142:143]
	v_fma_f64 v[136:137], v[136:137], v[30:31], -v[32:33]
	scratch_load_b128 v[30:33], off, off offset:416
	v_add_f64_e32 v[43:44], v[43:44], v[146:147]
	v_add_f64_e32 v[140:141], v[140:141], v[144:145]
	v_fma_f64 v[146:147], v[4:5], v[39:40], v[148:149]
	v_fma_f64 v[148:149], v[2:3], v[39:40], -v[41:42]
	ds_load_b128 v[2:5], v1 offset:912
	s_wait_loadcnt_dscnt 0x801
	v_mul_f64_e32 v[142:143], v[128:129], v[134:135]
	v_mul_f64_e32 v[144:145], v[130:131], v[134:135]
	scratch_load_b128 v[39:42], off, off offset:432
	v_add_f64_e32 v[43:44], v[43:44], v[136:137]
	v_add_f64_e32 v[138:139], v[140:141], v[138:139]
	ds_load_b128 v[134:137], v1 offset:928
	v_fma_f64 v[142:143], v[130:131], v[132:133], v[142:143]
	v_fma_f64 v[132:133], v[128:129], v[132:133], -v[144:145]
	scratch_load_b128 v[128:131], off, off offset:448
	s_wait_loadcnt_dscnt 0x901
	v_mul_f64_e32 v[140:141], v[2:3], v[36:37]
	v_mul_f64_e32 v[36:37], v[4:5], v[36:37]
	v_add_f64_e32 v[43:44], v[43:44], v[148:149]
	v_add_f64_e32 v[138:139], v[138:139], v[146:147]
	s_delay_alu instid0(VALU_DEP_4) | instskip(NEXT) | instid1(VALU_DEP_4)
	v_fma_f64 v[146:147], v[4:5], v[34:35], v[140:141]
	v_fma_f64 v[148:149], v[2:3], v[34:35], -v[36:37]
	ds_load_b128 v[2:5], v1 offset:944
	s_wait_loadcnt_dscnt 0x801
	v_mul_f64_e32 v[144:145], v[134:135], v[8:9]
	v_mul_f64_e32 v[8:9], v[136:137], v[8:9]
	scratch_load_b128 v[34:37], off, off offset:464
	v_add_f64_e32 v[43:44], v[43:44], v[132:133]
	v_add_f64_e32 v[132:133], v[138:139], v[142:143]
	s_wait_loadcnt_dscnt 0x800
	v_mul_f64_e32 v[142:143], v[2:3], v[12:13]
	v_mul_f64_e32 v[12:13], v[4:5], v[12:13]
	ds_load_b128 v[138:141], v1 offset:960
	v_fma_f64 v[136:137], v[136:137], v[6:7], v[144:145]
	v_fma_f64 v[134:135], v[134:135], v[6:7], -v[8:9]
	scratch_load_b128 v[6:9], off, off offset:480
	v_add_f64_e32 v[43:44], v[43:44], v[148:149]
	v_add_f64_e32 v[132:133], v[132:133], v[146:147]
	v_fma_f64 v[142:143], v[4:5], v[10:11], v[142:143]
	v_fma_f64 v[146:147], v[2:3], v[10:11], -v[12:13]
	ds_load_b128 v[2:5], v1 offset:976
	s_wait_loadcnt_dscnt 0x801
	v_mul_f64_e32 v[144:145], v[138:139], v[16:17]
	v_mul_f64_e32 v[16:17], v[140:141], v[16:17]
	scratch_load_b128 v[10:13], off, off offset:496
	s_wait_loadcnt_dscnt 0x800
	v_mul_f64_e32 v[148:149], v[2:3], v[20:21]
	v_mul_f64_e32 v[20:21], v[4:5], v[20:21]
	v_add_f64_e32 v[43:44], v[43:44], v[134:135]
	v_add_f64_e32 v[136:137], v[132:133], v[136:137]
	ds_load_b128 v[132:135], v1 offset:992
	v_fma_f64 v[140:141], v[140:141], v[14:15], v[144:145]
	v_fma_f64 v[138:139], v[138:139], v[14:15], -v[16:17]
	scratch_load_b128 v[14:17], off, off offset:512
	v_fma_f64 v[144:145], v[4:5], v[18:19], v[148:149]
	v_add_f64_e32 v[43:44], v[43:44], v[146:147]
	v_add_f64_e32 v[136:137], v[136:137], v[142:143]
	v_fma_f64 v[146:147], v[2:3], v[18:19], -v[20:21]
	ds_load_b128 v[2:5], v1 offset:1008
	s_wait_loadcnt_dscnt 0x801
	v_mul_f64_e32 v[142:143], v[132:133], v[24:25]
	v_mul_f64_e32 v[24:25], v[134:135], v[24:25]
	scratch_load_b128 v[18:21], off, off offset:528
	s_wait_loadcnt_dscnt 0x800
	v_mul_f64_e32 v[148:149], v[2:3], v[28:29]
	v_mul_f64_e32 v[28:29], v[4:5], v[28:29]
	v_add_f64_e32 v[43:44], v[43:44], v[138:139]
	v_add_f64_e32 v[140:141], v[136:137], v[140:141]
	ds_load_b128 v[136:139], v1 offset:1024
	v_fma_f64 v[134:135], v[134:135], v[22:23], v[142:143]
	v_fma_f64 v[132:133], v[132:133], v[22:23], -v[24:25]
	scratch_load_b128 v[22:25], off, off offset:544
	v_add_f64_e32 v[43:44], v[43:44], v[146:147]
	v_add_f64_e32 v[140:141], v[140:141], v[144:145]
	v_fma_f64 v[144:145], v[4:5], v[26:27], v[148:149]
	v_fma_f64 v[146:147], v[2:3], v[26:27], -v[28:29]
	ds_load_b128 v[2:5], v1 offset:1040
	s_wait_loadcnt_dscnt 0x801
	v_mul_f64_e32 v[142:143], v[136:137], v[32:33]
	v_mul_f64_e32 v[32:33], v[138:139], v[32:33]
	scratch_load_b128 v[26:29], off, off offset:560
	s_wait_loadcnt_dscnt 0x800
	v_mul_f64_e32 v[148:149], v[2:3], v[41:42]
	v_mul_f64_e32 v[41:42], v[4:5], v[41:42]
	v_add_f64_e32 v[43:44], v[43:44], v[132:133]
	v_add_f64_e32 v[140:141], v[140:141], v[134:135]
	ds_load_b128 v[132:135], v1 offset:1056
	v_fma_f64 v[138:139], v[138:139], v[30:31], v[142:143]
	v_fma_f64 v[136:137], v[136:137], v[30:31], -v[32:33]
	scratch_load_b128 v[30:33], off, off offset:576
	v_add_f64_e32 v[43:44], v[43:44], v[146:147]
	v_add_f64_e32 v[140:141], v[140:141], v[144:145]
	v_fma_f64 v[144:145], v[4:5], v[39:40], v[148:149]
	v_fma_f64 v[146:147], v[2:3], v[39:40], -v[41:42]
	ds_load_b128 v[2:5], v1 offset:1072
	s_wait_loadcnt_dscnt 0x801
	v_mul_f64_e32 v[142:143], v[132:133], v[130:131]
	v_mul_f64_e32 v[130:131], v[134:135], v[130:131]
	scratch_load_b128 v[39:42], off, off offset:592
	s_wait_loadcnt_dscnt 0x800
	v_mul_f64_e32 v[148:149], v[2:3], v[36:37]
	v_add_f64_e32 v[43:44], v[43:44], v[136:137]
	v_add_f64_e32 v[140:141], v[140:141], v[138:139]
	v_mul_f64_e32 v[36:37], v[4:5], v[36:37]
	ds_load_b128 v[136:139], v1 offset:1088
	v_fma_f64 v[134:135], v[134:135], v[128:129], v[142:143]
	v_fma_f64 v[132:133], v[132:133], v[128:129], -v[130:131]
	scratch_load_b128 v[128:131], off, off offset:608
	v_add_f64_e32 v[43:44], v[43:44], v[146:147]
	v_add_f64_e32 v[140:141], v[140:141], v[144:145]
	v_fma_f64 v[144:145], v[4:5], v[34:35], v[148:149]
	v_fma_f64 v[146:147], v[2:3], v[34:35], -v[36:37]
	ds_load_b128 v[2:5], v1 offset:1104
	s_wait_loadcnt_dscnt 0x801
	v_mul_f64_e32 v[142:143], v[136:137], v[8:9]
	v_mul_f64_e32 v[8:9], v[138:139], v[8:9]
	scratch_load_b128 v[34:37], off, off offset:624
	s_wait_loadcnt_dscnt 0x800
	v_mul_f64_e32 v[148:149], v[2:3], v[12:13]
	v_mul_f64_e32 v[12:13], v[4:5], v[12:13]
	v_add_f64_e32 v[43:44], v[43:44], v[132:133]
	v_add_f64_e32 v[140:141], v[140:141], v[134:135]
	ds_load_b128 v[132:135], v1 offset:1120
	v_fma_f64 v[138:139], v[138:139], v[6:7], v[142:143]
	v_fma_f64 v[6:7], v[136:137], v[6:7], -v[8:9]
	s_wait_loadcnt_dscnt 0x700
	v_mul_f64_e32 v[136:137], v[132:133], v[16:17]
	v_mul_f64_e32 v[16:17], v[134:135], v[16:17]
	v_add_f64_e32 v[8:9], v[43:44], v[146:147]
	v_add_f64_e32 v[43:44], v[140:141], v[144:145]
	v_fma_f64 v[140:141], v[4:5], v[10:11], v[148:149]
	v_fma_f64 v[10:11], v[2:3], v[10:11], -v[12:13]
	v_fma_f64 v[134:135], v[134:135], v[14:15], v[136:137]
	v_fma_f64 v[14:15], v[132:133], v[14:15], -v[16:17]
	v_add_f64_e32 v[12:13], v[8:9], v[6:7]
	v_add_f64_e32 v[43:44], v[43:44], v[138:139]
	ds_load_b128 v[2:5], v1 offset:1136
	ds_load_b128 v[6:9], v1 offset:1152
	s_wait_loadcnt_dscnt 0x601
	v_mul_f64_e32 v[138:139], v[2:3], v[20:21]
	v_mul_f64_e32 v[20:21], v[4:5], v[20:21]
	s_wait_loadcnt_dscnt 0x500
	v_mul_f64_e32 v[16:17], v[6:7], v[24:25]
	v_mul_f64_e32 v[24:25], v[8:9], v[24:25]
	v_add_f64_e32 v[10:11], v[12:13], v[10:11]
	v_add_f64_e32 v[12:13], v[43:44], v[140:141]
	v_fma_f64 v[43:44], v[4:5], v[18:19], v[138:139]
	v_fma_f64 v[18:19], v[2:3], v[18:19], -v[20:21]
	v_fma_f64 v[8:9], v[8:9], v[22:23], v[16:17]
	v_fma_f64 v[6:7], v[6:7], v[22:23], -v[24:25]
	v_add_f64_e32 v[14:15], v[10:11], v[14:15]
	v_add_f64_e32 v[20:21], v[12:13], v[134:135]
	ds_load_b128 v[2:5], v1 offset:1168
	ds_load_b128 v[10:13], v1 offset:1184
	s_wait_loadcnt_dscnt 0x401
	v_mul_f64_e32 v[132:133], v[2:3], v[28:29]
	v_mul_f64_e32 v[28:29], v[4:5], v[28:29]
	v_add_f64_e32 v[14:15], v[14:15], v[18:19]
	v_add_f64_e32 v[16:17], v[20:21], v[43:44]
	s_wait_loadcnt_dscnt 0x300
	v_mul_f64_e32 v[18:19], v[10:11], v[32:33]
	v_mul_f64_e32 v[20:21], v[12:13], v[32:33]
	v_fma_f64 v[22:23], v[4:5], v[26:27], v[132:133]
	v_fma_f64 v[24:25], v[2:3], v[26:27], -v[28:29]
	v_add_f64_e32 v[14:15], v[14:15], v[6:7]
	v_add_f64_e32 v[16:17], v[16:17], v[8:9]
	ds_load_b128 v[2:5], v1 offset:1200
	ds_load_b128 v[6:9], v1 offset:1216
	v_fma_f64 v[12:13], v[12:13], v[30:31], v[18:19]
	v_fma_f64 v[10:11], v[10:11], v[30:31], -v[20:21]
	s_wait_loadcnt_dscnt 0x201
	v_mul_f64_e32 v[26:27], v[2:3], v[41:42]
	v_mul_f64_e32 v[28:29], v[4:5], v[41:42]
	s_wait_loadcnt_dscnt 0x100
	v_mul_f64_e32 v[18:19], v[6:7], v[130:131]
	v_mul_f64_e32 v[20:21], v[8:9], v[130:131]
	v_add_f64_e32 v[14:15], v[14:15], v[24:25]
	v_add_f64_e32 v[16:17], v[16:17], v[22:23]
	v_fma_f64 v[22:23], v[4:5], v[39:40], v[26:27]
	v_fma_f64 v[24:25], v[2:3], v[39:40], -v[28:29]
	ds_load_b128 v[2:5], v1 offset:1232
	v_fma_f64 v[8:9], v[8:9], v[128:129], v[18:19]
	v_fma_f64 v[6:7], v[6:7], v[128:129], -v[20:21]
	v_add_f64_e32 v[10:11], v[14:15], v[10:11]
	v_add_f64_e32 v[12:13], v[16:17], v[12:13]
	s_wait_loadcnt_dscnt 0x0
	v_mul_f64_e32 v[14:15], v[2:3], v[36:37]
	v_mul_f64_e32 v[16:17], v[4:5], v[36:37]
	s_delay_alu instid0(VALU_DEP_4) | instskip(NEXT) | instid1(VALU_DEP_4)
	v_add_f64_e32 v[10:11], v[10:11], v[24:25]
	v_add_f64_e32 v[12:13], v[12:13], v[22:23]
	s_delay_alu instid0(VALU_DEP_4) | instskip(NEXT) | instid1(VALU_DEP_4)
	v_fma_f64 v[4:5], v[4:5], v[34:35], v[14:15]
	v_fma_f64 v[2:3], v[2:3], v[34:35], -v[16:17]
	s_delay_alu instid0(VALU_DEP_4) | instskip(NEXT) | instid1(VALU_DEP_4)
	v_add_f64_e32 v[6:7], v[10:11], v[6:7]
	v_add_f64_e32 v[8:9], v[12:13], v[8:9]
	s_delay_alu instid0(VALU_DEP_2) | instskip(NEXT) | instid1(VALU_DEP_2)
	v_add_f64_e32 v[2:3], v[6:7], v[2:3]
	v_add_f64_e32 v[4:5], v[8:9], v[4:5]
	s_delay_alu instid0(VALU_DEP_2) | instskip(NEXT) | instid1(VALU_DEP_2)
	v_add_f64_e64 v[2:3], v[124:125], -v[2:3]
	v_add_f64_e64 v[4:5], v[126:127], -v[4:5]
	scratch_store_b128 off, v[2:5], off offset:128
	v_cmpx_lt_u32_e32 6, v0
	s_cbranch_execz .LBB102_235
; %bb.234:
	scratch_load_b128 v[5:8], off, s5
	v_dual_mov_b32 v2, v1 :: v_dual_mov_b32 v3, v1
	v_mov_b32_e32 v4, v1
	scratch_store_b128 off, v[1:4], off offset:112
	s_wait_loadcnt 0x0
	ds_store_b128 v38, v[5:8]
.LBB102_235:
	s_wait_alu 0xfffe
	s_or_b32 exec_lo, exec_lo, s0
	s_wait_storecnt_dscnt 0x0
	s_barrier_signal -1
	s_barrier_wait -1
	global_inv scope:SCOPE_SE
	s_clause 0x8
	scratch_load_b128 v[2:5], off, off offset:128
	scratch_load_b128 v[6:9], off, off offset:144
	;; [unrolled: 1-line block ×9, first 2 shown]
	ds_load_b128 v[39:42], v1 offset:736
	ds_load_b128 v[124:127], v1 offset:752
	s_clause 0x1
	scratch_load_b128 v[128:131], off, off offset:112
	scratch_load_b128 v[132:135], off, off offset:272
	s_mov_b32 s0, exec_lo
	ds_load_b128 v[136:139], v1 offset:784
	s_wait_loadcnt_dscnt 0xa02
	v_mul_f64_e32 v[43:44], v[41:42], v[4:5]
	v_mul_f64_e32 v[4:5], v[39:40], v[4:5]
	s_wait_loadcnt_dscnt 0x901
	v_mul_f64_e32 v[140:141], v[124:125], v[8:9]
	v_mul_f64_e32 v[8:9], v[126:127], v[8:9]
	s_delay_alu instid0(VALU_DEP_4) | instskip(NEXT) | instid1(VALU_DEP_4)
	v_fma_f64 v[43:44], v[39:40], v[2:3], -v[43:44]
	v_fma_f64 v[142:143], v[41:42], v[2:3], v[4:5]
	ds_load_b128 v[2:5], v1 offset:768
	scratch_load_b128 v[39:42], off, off offset:288
	v_fma_f64 v[126:127], v[126:127], v[6:7], v[140:141]
	v_fma_f64 v[124:125], v[124:125], v[6:7], -v[8:9]
	scratch_load_b128 v[6:9], off, off offset:304
	s_wait_loadcnt_dscnt 0xa00
	v_mul_f64_e32 v[144:145], v[2:3], v[12:13]
	v_mul_f64_e32 v[12:13], v[4:5], v[12:13]
	v_add_f64_e32 v[43:44], 0, v[43:44]
	v_add_f64_e32 v[140:141], 0, v[142:143]
	s_wait_loadcnt 0x9
	v_mul_f64_e32 v[142:143], v[136:137], v[16:17]
	v_mul_f64_e32 v[16:17], v[138:139], v[16:17]
	v_fma_f64 v[144:145], v[4:5], v[10:11], v[144:145]
	v_fma_f64 v[146:147], v[2:3], v[10:11], -v[12:13]
	ds_load_b128 v[2:5], v1 offset:800
	scratch_load_b128 v[10:13], off, off offset:320
	v_add_f64_e32 v[43:44], v[43:44], v[124:125]
	v_add_f64_e32 v[140:141], v[140:141], v[126:127]
	ds_load_b128 v[124:127], v1 offset:816
	v_fma_f64 v[138:139], v[138:139], v[14:15], v[142:143]
	v_fma_f64 v[136:137], v[136:137], v[14:15], -v[16:17]
	scratch_load_b128 v[14:17], off, off offset:336
	s_wait_loadcnt_dscnt 0xa01
	v_mul_f64_e32 v[148:149], v[2:3], v[20:21]
	v_mul_f64_e32 v[20:21], v[4:5], v[20:21]
	s_wait_loadcnt_dscnt 0x900
	v_mul_f64_e32 v[142:143], v[124:125], v[24:25]
	v_mul_f64_e32 v[24:25], v[126:127], v[24:25]
	v_add_f64_e32 v[43:44], v[43:44], v[146:147]
	v_add_f64_e32 v[140:141], v[140:141], v[144:145]
	v_fma_f64 v[144:145], v[4:5], v[18:19], v[148:149]
	v_fma_f64 v[146:147], v[2:3], v[18:19], -v[20:21]
	ds_load_b128 v[2:5], v1 offset:832
	scratch_load_b128 v[18:21], off, off offset:352
	v_fma_f64 v[126:127], v[126:127], v[22:23], v[142:143]
	v_fma_f64 v[124:125], v[124:125], v[22:23], -v[24:25]
	scratch_load_b128 v[22:25], off, off offset:368
	v_add_f64_e32 v[43:44], v[43:44], v[136:137]
	v_add_f64_e32 v[140:141], v[140:141], v[138:139]
	ds_load_b128 v[136:139], v1 offset:848
	s_wait_loadcnt_dscnt 0xa01
	v_mul_f64_e32 v[148:149], v[2:3], v[28:29]
	v_mul_f64_e32 v[28:29], v[4:5], v[28:29]
	s_wait_loadcnt_dscnt 0x900
	v_mul_f64_e32 v[142:143], v[136:137], v[32:33]
	v_mul_f64_e32 v[32:33], v[138:139], v[32:33]
	v_add_f64_e32 v[43:44], v[43:44], v[146:147]
	v_add_f64_e32 v[140:141], v[140:141], v[144:145]
	v_fma_f64 v[144:145], v[4:5], v[26:27], v[148:149]
	v_fma_f64 v[146:147], v[2:3], v[26:27], -v[28:29]
	ds_load_b128 v[2:5], v1 offset:864
	scratch_load_b128 v[26:29], off, off offset:384
	v_fma_f64 v[138:139], v[138:139], v[30:31], v[142:143]
	v_fma_f64 v[136:137], v[136:137], v[30:31], -v[32:33]
	scratch_load_b128 v[30:33], off, off offset:400
	v_add_f64_e32 v[43:44], v[43:44], v[124:125]
	v_add_f64_e32 v[140:141], v[140:141], v[126:127]
	ds_load_b128 v[124:127], v1 offset:880
	s_wait_loadcnt_dscnt 0xa01
	v_mul_f64_e32 v[148:149], v[2:3], v[36:37]
	v_mul_f64_e32 v[36:37], v[4:5], v[36:37]
	s_wait_loadcnt_dscnt 0x800
	v_mul_f64_e32 v[142:143], v[124:125], v[134:135]
	v_add_f64_e32 v[43:44], v[43:44], v[146:147]
	v_add_f64_e32 v[140:141], v[140:141], v[144:145]
	v_mul_f64_e32 v[144:145], v[126:127], v[134:135]
	v_fma_f64 v[146:147], v[4:5], v[34:35], v[148:149]
	v_fma_f64 v[148:149], v[2:3], v[34:35], -v[36:37]
	ds_load_b128 v[2:5], v1 offset:896
	scratch_load_b128 v[34:37], off, off offset:416
	v_fma_f64 v[126:127], v[126:127], v[132:133], v[142:143]
	v_add_f64_e32 v[43:44], v[43:44], v[136:137]
	v_add_f64_e32 v[138:139], v[140:141], v[138:139]
	ds_load_b128 v[134:137], v1 offset:912
	v_fma_f64 v[124:125], v[124:125], v[132:133], -v[144:145]
	s_wait_loadcnt_dscnt 0x801
	v_mul_f64_e32 v[140:141], v[2:3], v[41:42]
	v_mul_f64_e32 v[150:151], v[4:5], v[41:42]
	s_wait_loadcnt_dscnt 0x700
	v_mul_f64_e32 v[142:143], v[134:135], v[8:9]
	v_mul_f64_e32 v[8:9], v[136:137], v[8:9]
	v_add_f64_e32 v[132:133], v[43:44], v[148:149]
	v_add_f64_e32 v[138:139], v[138:139], v[146:147]
	scratch_load_b128 v[41:44], off, off offset:432
	v_fma_f64 v[144:145], v[4:5], v[39:40], v[140:141]
	v_fma_f64 v[39:40], v[2:3], v[39:40], -v[150:151]
	ds_load_b128 v[2:5], v1 offset:928
	v_fma_f64 v[136:137], v[136:137], v[6:7], v[142:143]
	v_fma_f64 v[134:135], v[134:135], v[6:7], -v[8:9]
	scratch_load_b128 v[6:9], off, off offset:464
	v_add_f64_e32 v[132:133], v[132:133], v[124:125]
	v_add_f64_e32 v[146:147], v[138:139], v[126:127]
	scratch_load_b128 v[124:127], off, off offset:448
	ds_load_b128 v[138:141], v1 offset:944
	s_wait_loadcnt_dscnt 0x901
	v_mul_f64_e32 v[148:149], v[2:3], v[12:13]
	v_mul_f64_e32 v[12:13], v[4:5], v[12:13]
	s_wait_loadcnt_dscnt 0x800
	v_mul_f64_e32 v[142:143], v[138:139], v[16:17]
	v_mul_f64_e32 v[16:17], v[140:141], v[16:17]
	v_add_f64_e32 v[39:40], v[132:133], v[39:40]
	v_add_f64_e32 v[132:133], v[146:147], v[144:145]
	v_fma_f64 v[144:145], v[4:5], v[10:11], v[148:149]
	v_fma_f64 v[146:147], v[2:3], v[10:11], -v[12:13]
	ds_load_b128 v[2:5], v1 offset:960
	scratch_load_b128 v[10:13], off, off offset:480
	v_fma_f64 v[140:141], v[140:141], v[14:15], v[142:143]
	v_fma_f64 v[138:139], v[138:139], v[14:15], -v[16:17]
	scratch_load_b128 v[14:17], off, off offset:496
	v_add_f64_e32 v[39:40], v[39:40], v[134:135]
	v_add_f64_e32 v[136:137], v[132:133], v[136:137]
	ds_load_b128 v[132:135], v1 offset:976
	s_wait_loadcnt_dscnt 0x901
	v_mul_f64_e32 v[148:149], v[2:3], v[20:21]
	v_mul_f64_e32 v[20:21], v[4:5], v[20:21]
	s_wait_loadcnt_dscnt 0x800
	v_mul_f64_e32 v[142:143], v[132:133], v[24:25]
	v_mul_f64_e32 v[24:25], v[134:135], v[24:25]
	v_add_f64_e32 v[39:40], v[39:40], v[146:147]
	v_add_f64_e32 v[136:137], v[136:137], v[144:145]
	v_fma_f64 v[144:145], v[4:5], v[18:19], v[148:149]
	v_fma_f64 v[146:147], v[2:3], v[18:19], -v[20:21]
	ds_load_b128 v[2:5], v1 offset:992
	scratch_load_b128 v[18:21], off, off offset:512
	v_fma_f64 v[134:135], v[134:135], v[22:23], v[142:143]
	v_fma_f64 v[132:133], v[132:133], v[22:23], -v[24:25]
	scratch_load_b128 v[22:25], off, off offset:528
	v_add_f64_e32 v[39:40], v[39:40], v[138:139]
	v_add_f64_e32 v[140:141], v[136:137], v[140:141]
	;; [unrolled: 18-line block ×3, first 2 shown]
	ds_load_b128 v[132:135], v1 offset:1040
	s_wait_loadcnt_dscnt 0x901
	v_mul_f64_e32 v[148:149], v[2:3], v[36:37]
	v_mul_f64_e32 v[36:37], v[4:5], v[36:37]
	v_add_f64_e32 v[39:40], v[39:40], v[146:147]
	v_add_f64_e32 v[140:141], v[140:141], v[144:145]
	s_delay_alu instid0(VALU_DEP_4) | instskip(NEXT) | instid1(VALU_DEP_4)
	v_fma_f64 v[144:145], v[4:5], v[34:35], v[148:149]
	v_fma_f64 v[146:147], v[2:3], v[34:35], -v[36:37]
	ds_load_b128 v[2:5], v1 offset:1056
	scratch_load_b128 v[34:37], off, off offset:576
	s_wait_loadcnt_dscnt 0x901
	v_mul_f64_e32 v[142:143], v[132:133], v[43:44]
	v_mul_f64_e32 v[43:44], v[134:135], v[43:44]
	v_add_f64_e32 v[39:40], v[39:40], v[136:137]
	v_add_f64_e32 v[140:141], v[140:141], v[138:139]
	ds_load_b128 v[136:139], v1 offset:1072
	s_wait_loadcnt_dscnt 0x701
	v_mul_f64_e32 v[148:149], v[2:3], v[126:127]
	v_mul_f64_e32 v[126:127], v[4:5], v[126:127]
	v_fma_f64 v[134:135], v[134:135], v[41:42], v[142:143]
	v_fma_f64 v[43:44], v[132:133], v[41:42], -v[43:44]
	s_wait_dscnt 0x0
	v_mul_f64_e32 v[142:143], v[136:137], v[8:9]
	v_mul_f64_e32 v[8:9], v[138:139], v[8:9]
	v_add_f64_e32 v[132:133], v[39:40], v[146:147]
	v_add_f64_e32 v[140:141], v[140:141], v[144:145]
	scratch_load_b128 v[39:42], off, off offset:592
	v_fma_f64 v[144:145], v[4:5], v[124:125], v[148:149]
	v_fma_f64 v[146:147], v[2:3], v[124:125], -v[126:127]
	ds_load_b128 v[2:5], v1 offset:1088
	scratch_load_b128 v[124:127], off, off offset:608
	v_fma_f64 v[138:139], v[138:139], v[6:7], v[142:143]
	v_fma_f64 v[136:137], v[136:137], v[6:7], -v[8:9]
	scratch_load_b128 v[6:9], off, off offset:624
	v_add_f64_e32 v[43:44], v[132:133], v[43:44]
	v_add_f64_e32 v[140:141], v[140:141], v[134:135]
	ds_load_b128 v[132:135], v1 offset:1104
	s_wait_loadcnt_dscnt 0x901
	v_mul_f64_e32 v[148:149], v[2:3], v[12:13]
	v_mul_f64_e32 v[12:13], v[4:5], v[12:13]
	s_wait_loadcnt_dscnt 0x800
	v_mul_f64_e32 v[142:143], v[132:133], v[16:17]
	v_mul_f64_e32 v[16:17], v[134:135], v[16:17]
	v_add_f64_e32 v[43:44], v[43:44], v[146:147]
	v_add_f64_e32 v[140:141], v[140:141], v[144:145]
	v_fma_f64 v[144:145], v[4:5], v[10:11], v[148:149]
	v_fma_f64 v[146:147], v[2:3], v[10:11], -v[12:13]
	ds_load_b128 v[2:5], v1 offset:1120
	ds_load_b128 v[10:13], v1 offset:1136
	v_fma_f64 v[134:135], v[134:135], v[14:15], v[142:143]
	v_fma_f64 v[14:15], v[132:133], v[14:15], -v[16:17]
	v_add_f64_e32 v[43:44], v[43:44], v[136:137]
	v_add_f64_e32 v[136:137], v[140:141], v[138:139]
	s_wait_loadcnt_dscnt 0x701
	v_mul_f64_e32 v[138:139], v[2:3], v[20:21]
	v_mul_f64_e32 v[20:21], v[4:5], v[20:21]
	s_wait_loadcnt_dscnt 0x600
	v_mul_f64_e32 v[132:133], v[10:11], v[24:25]
	v_mul_f64_e32 v[24:25], v[12:13], v[24:25]
	v_add_f64_e32 v[16:17], v[43:44], v[146:147]
	v_add_f64_e32 v[43:44], v[136:137], v[144:145]
	v_fma_f64 v[136:137], v[4:5], v[18:19], v[138:139]
	v_fma_f64 v[18:19], v[2:3], v[18:19], -v[20:21]
	v_fma_f64 v[12:13], v[12:13], v[22:23], v[132:133]
	v_fma_f64 v[10:11], v[10:11], v[22:23], -v[24:25]
	v_add_f64_e32 v[20:21], v[16:17], v[14:15]
	v_add_f64_e32 v[43:44], v[43:44], v[134:135]
	ds_load_b128 v[2:5], v1 offset:1152
	ds_load_b128 v[14:17], v1 offset:1168
	s_wait_loadcnt_dscnt 0x501
	v_mul_f64_e32 v[134:135], v[2:3], v[28:29]
	v_mul_f64_e32 v[28:29], v[4:5], v[28:29]
	s_wait_loadcnt_dscnt 0x400
	v_mul_f64_e32 v[22:23], v[14:15], v[32:33]
	v_mul_f64_e32 v[24:25], v[16:17], v[32:33]
	v_add_f64_e32 v[18:19], v[20:21], v[18:19]
	v_add_f64_e32 v[20:21], v[43:44], v[136:137]
	v_fma_f64 v[32:33], v[4:5], v[26:27], v[134:135]
	v_fma_f64 v[26:27], v[2:3], v[26:27], -v[28:29]
	v_fma_f64 v[16:17], v[16:17], v[30:31], v[22:23]
	v_fma_f64 v[14:15], v[14:15], v[30:31], -v[24:25]
	v_add_f64_e32 v[18:19], v[18:19], v[10:11]
	v_add_f64_e32 v[20:21], v[20:21], v[12:13]
	ds_load_b128 v[2:5], v1 offset:1184
	ds_load_b128 v[10:13], v1 offset:1200
	s_wait_loadcnt_dscnt 0x301
	v_mul_f64_e32 v[28:29], v[2:3], v[36:37]
	v_mul_f64_e32 v[36:37], v[4:5], v[36:37]
	v_add_f64_e32 v[18:19], v[18:19], v[26:27]
	v_add_f64_e32 v[20:21], v[20:21], v[32:33]
	s_wait_loadcnt_dscnt 0x200
	v_mul_f64_e32 v[22:23], v[10:11], v[41:42]
	v_mul_f64_e32 v[24:25], v[12:13], v[41:42]
	v_fma_f64 v[26:27], v[4:5], v[34:35], v[28:29]
	v_fma_f64 v[28:29], v[2:3], v[34:35], -v[36:37]
	v_add_f64_e32 v[18:19], v[18:19], v[14:15]
	v_add_f64_e32 v[20:21], v[20:21], v[16:17]
	ds_load_b128 v[2:5], v1 offset:1216
	ds_load_b128 v[14:17], v1 offset:1232
	v_fma_f64 v[12:13], v[12:13], v[39:40], v[22:23]
	v_fma_f64 v[10:11], v[10:11], v[39:40], -v[24:25]
	s_wait_loadcnt_dscnt 0x101
	v_mul_f64_e32 v[30:31], v[2:3], v[126:127]
	v_mul_f64_e32 v[32:33], v[4:5], v[126:127]
	s_wait_loadcnt_dscnt 0x0
	v_mul_f64_e32 v[22:23], v[14:15], v[8:9]
	v_mul_f64_e32 v[8:9], v[16:17], v[8:9]
	v_add_f64_e32 v[18:19], v[18:19], v[28:29]
	v_add_f64_e32 v[20:21], v[20:21], v[26:27]
	v_fma_f64 v[4:5], v[4:5], v[124:125], v[30:31]
	v_fma_f64 v[1:2], v[2:3], v[124:125], -v[32:33]
	v_fma_f64 v[16:17], v[16:17], v[6:7], v[22:23]
	v_fma_f64 v[6:7], v[14:15], v[6:7], -v[8:9]
	v_add_f64_e32 v[10:11], v[18:19], v[10:11]
	v_add_f64_e32 v[12:13], v[20:21], v[12:13]
	s_delay_alu instid0(VALU_DEP_2) | instskip(NEXT) | instid1(VALU_DEP_2)
	v_add_f64_e32 v[1:2], v[10:11], v[1:2]
	v_add_f64_e32 v[3:4], v[12:13], v[4:5]
	s_delay_alu instid0(VALU_DEP_2) | instskip(NEXT) | instid1(VALU_DEP_2)
	;; [unrolled: 3-line block ×3, first 2 shown]
	v_add_f64_e64 v[1:2], v[128:129], -v[1:2]
	v_add_f64_e64 v[3:4], v[130:131], -v[3:4]
	scratch_store_b128 off, v[1:4], off offset:112
	v_cmpx_lt_u32_e32 5, v0
	s_cbranch_execz .LBB102_237
; %bb.236:
	scratch_load_b128 v[1:4], off, s28
	v_mov_b32_e32 v5, 0
	s_delay_alu instid0(VALU_DEP_1)
	v_dual_mov_b32 v6, v5 :: v_dual_mov_b32 v7, v5
	v_mov_b32_e32 v8, v5
	scratch_store_b128 off, v[5:8], off offset:96
	s_wait_loadcnt 0x0
	ds_store_b128 v38, v[1:4]
.LBB102_237:
	s_wait_alu 0xfffe
	s_or_b32 exec_lo, exec_lo, s0
	s_wait_storecnt_dscnt 0x0
	s_barrier_signal -1
	s_barrier_wait -1
	global_inv scope:SCOPE_SE
	s_clause 0x7
	scratch_load_b128 v[2:5], off, off offset:112
	scratch_load_b128 v[6:9], off, off offset:128
	;; [unrolled: 1-line block ×8, first 2 shown]
	v_mov_b32_e32 v1, 0
	s_mov_b32 s0, exec_lo
	ds_load_b128 v[34:37], v1 offset:720
	s_clause 0x1
	scratch_load_b128 v[39:42], off, off offset:240
	scratch_load_b128 v[124:127], off, off offset:96
	ds_load_b128 v[128:131], v1 offset:736
	scratch_load_b128 v[132:135], off, off offset:256
	ds_load_b128 v[136:139], v1 offset:768
	s_wait_loadcnt_dscnt 0xa02
	v_mul_f64_e32 v[43:44], v[36:37], v[4:5]
	v_mul_f64_e32 v[4:5], v[34:35], v[4:5]
	s_delay_alu instid0(VALU_DEP_2) | instskip(NEXT) | instid1(VALU_DEP_2)
	v_fma_f64 v[43:44], v[34:35], v[2:3], -v[43:44]
	v_fma_f64 v[142:143], v[36:37], v[2:3], v[4:5]
	ds_load_b128 v[2:5], v1 offset:752
	s_wait_loadcnt_dscnt 0x902
	v_mul_f64_e32 v[140:141], v[128:129], v[8:9]
	v_mul_f64_e32 v[8:9], v[130:131], v[8:9]
	scratch_load_b128 v[34:37], off, off offset:272
	s_wait_loadcnt_dscnt 0x900
	v_mul_f64_e32 v[144:145], v[2:3], v[12:13]
	v_mul_f64_e32 v[12:13], v[4:5], v[12:13]
	v_add_f64_e32 v[43:44], 0, v[43:44]
	v_fma_f64 v[130:131], v[130:131], v[6:7], v[140:141]
	v_fma_f64 v[128:129], v[128:129], v[6:7], -v[8:9]
	v_add_f64_e32 v[140:141], 0, v[142:143]
	scratch_load_b128 v[6:9], off, off offset:288
	v_fma_f64 v[144:145], v[4:5], v[10:11], v[144:145]
	v_fma_f64 v[146:147], v[2:3], v[10:11], -v[12:13]
	ds_load_b128 v[2:5], v1 offset:784
	s_wait_loadcnt 0x9
	v_mul_f64_e32 v[142:143], v[136:137], v[16:17]
	v_mul_f64_e32 v[16:17], v[138:139], v[16:17]
	scratch_load_b128 v[10:13], off, off offset:304
	v_add_f64_e32 v[43:44], v[43:44], v[128:129]
	v_add_f64_e32 v[140:141], v[140:141], v[130:131]
	s_wait_loadcnt_dscnt 0x900
	v_mul_f64_e32 v[148:149], v[2:3], v[20:21]
	v_mul_f64_e32 v[20:21], v[4:5], v[20:21]
	ds_load_b128 v[128:131], v1 offset:800
	v_fma_f64 v[138:139], v[138:139], v[14:15], v[142:143]
	v_fma_f64 v[136:137], v[136:137], v[14:15], -v[16:17]
	scratch_load_b128 v[14:17], off, off offset:320
	v_add_f64_e32 v[43:44], v[43:44], v[146:147]
	v_add_f64_e32 v[140:141], v[140:141], v[144:145]
	v_fma_f64 v[144:145], v[4:5], v[18:19], v[148:149]
	v_fma_f64 v[146:147], v[2:3], v[18:19], -v[20:21]
	ds_load_b128 v[2:5], v1 offset:816
	s_wait_loadcnt_dscnt 0x901
	v_mul_f64_e32 v[142:143], v[128:129], v[24:25]
	v_mul_f64_e32 v[24:25], v[130:131], v[24:25]
	scratch_load_b128 v[18:21], off, off offset:336
	s_wait_loadcnt_dscnt 0x900
	v_mul_f64_e32 v[148:149], v[2:3], v[28:29]
	v_mul_f64_e32 v[28:29], v[4:5], v[28:29]
	v_add_f64_e32 v[43:44], v[43:44], v[136:137]
	v_add_f64_e32 v[140:141], v[140:141], v[138:139]
	ds_load_b128 v[136:139], v1 offset:832
	v_fma_f64 v[130:131], v[130:131], v[22:23], v[142:143]
	v_fma_f64 v[128:129], v[128:129], v[22:23], -v[24:25]
	scratch_load_b128 v[22:25], off, off offset:352
	v_add_f64_e32 v[43:44], v[43:44], v[146:147]
	v_add_f64_e32 v[140:141], v[140:141], v[144:145]
	v_fma_f64 v[144:145], v[4:5], v[26:27], v[148:149]
	v_fma_f64 v[146:147], v[2:3], v[26:27], -v[28:29]
	ds_load_b128 v[2:5], v1 offset:848
	s_wait_loadcnt_dscnt 0x901
	v_mul_f64_e32 v[142:143], v[136:137], v[32:33]
	v_mul_f64_e32 v[32:33], v[138:139], v[32:33]
	scratch_load_b128 v[26:29], off, off offset:368
	s_wait_loadcnt_dscnt 0x900
	v_mul_f64_e32 v[148:149], v[2:3], v[41:42]
	v_mul_f64_e32 v[41:42], v[4:5], v[41:42]
	v_add_f64_e32 v[43:44], v[43:44], v[128:129]
	v_add_f64_e32 v[140:141], v[140:141], v[130:131]
	ds_load_b128 v[128:131], v1 offset:864
	v_fma_f64 v[138:139], v[138:139], v[30:31], v[142:143]
	v_fma_f64 v[136:137], v[136:137], v[30:31], -v[32:33]
	scratch_load_b128 v[30:33], off, off offset:384
	v_add_f64_e32 v[43:44], v[43:44], v[146:147]
	v_add_f64_e32 v[140:141], v[140:141], v[144:145]
	v_fma_f64 v[146:147], v[4:5], v[39:40], v[148:149]
	v_fma_f64 v[148:149], v[2:3], v[39:40], -v[41:42]
	ds_load_b128 v[2:5], v1 offset:880
	s_wait_loadcnt_dscnt 0x801
	v_mul_f64_e32 v[142:143], v[128:129], v[134:135]
	v_mul_f64_e32 v[144:145], v[130:131], v[134:135]
	scratch_load_b128 v[39:42], off, off offset:400
	v_add_f64_e32 v[43:44], v[43:44], v[136:137]
	v_add_f64_e32 v[138:139], v[140:141], v[138:139]
	ds_load_b128 v[134:137], v1 offset:896
	v_fma_f64 v[142:143], v[130:131], v[132:133], v[142:143]
	v_fma_f64 v[132:133], v[128:129], v[132:133], -v[144:145]
	scratch_load_b128 v[128:131], off, off offset:416
	s_wait_loadcnt_dscnt 0x901
	v_mul_f64_e32 v[140:141], v[2:3], v[36:37]
	v_mul_f64_e32 v[36:37], v[4:5], v[36:37]
	v_add_f64_e32 v[43:44], v[43:44], v[148:149]
	v_add_f64_e32 v[138:139], v[138:139], v[146:147]
	s_delay_alu instid0(VALU_DEP_4) | instskip(NEXT) | instid1(VALU_DEP_4)
	v_fma_f64 v[146:147], v[4:5], v[34:35], v[140:141]
	v_fma_f64 v[148:149], v[2:3], v[34:35], -v[36:37]
	ds_load_b128 v[2:5], v1 offset:912
	s_wait_loadcnt_dscnt 0x801
	v_mul_f64_e32 v[144:145], v[134:135], v[8:9]
	v_mul_f64_e32 v[8:9], v[136:137], v[8:9]
	scratch_load_b128 v[34:37], off, off offset:432
	v_add_f64_e32 v[43:44], v[43:44], v[132:133]
	v_add_f64_e32 v[132:133], v[138:139], v[142:143]
	s_wait_loadcnt_dscnt 0x800
	v_mul_f64_e32 v[142:143], v[2:3], v[12:13]
	v_mul_f64_e32 v[12:13], v[4:5], v[12:13]
	ds_load_b128 v[138:141], v1 offset:928
	v_fma_f64 v[136:137], v[136:137], v[6:7], v[144:145]
	v_fma_f64 v[134:135], v[134:135], v[6:7], -v[8:9]
	scratch_load_b128 v[6:9], off, off offset:448
	v_add_f64_e32 v[43:44], v[43:44], v[148:149]
	v_add_f64_e32 v[132:133], v[132:133], v[146:147]
	v_fma_f64 v[142:143], v[4:5], v[10:11], v[142:143]
	v_fma_f64 v[146:147], v[2:3], v[10:11], -v[12:13]
	ds_load_b128 v[2:5], v1 offset:944
	s_wait_loadcnt_dscnt 0x801
	v_mul_f64_e32 v[144:145], v[138:139], v[16:17]
	v_mul_f64_e32 v[16:17], v[140:141], v[16:17]
	scratch_load_b128 v[10:13], off, off offset:464
	s_wait_loadcnt_dscnt 0x800
	v_mul_f64_e32 v[148:149], v[2:3], v[20:21]
	v_mul_f64_e32 v[20:21], v[4:5], v[20:21]
	v_add_f64_e32 v[43:44], v[43:44], v[134:135]
	v_add_f64_e32 v[136:137], v[132:133], v[136:137]
	ds_load_b128 v[132:135], v1 offset:960
	v_fma_f64 v[140:141], v[140:141], v[14:15], v[144:145]
	v_fma_f64 v[138:139], v[138:139], v[14:15], -v[16:17]
	scratch_load_b128 v[14:17], off, off offset:480
	v_fma_f64 v[144:145], v[4:5], v[18:19], v[148:149]
	v_add_f64_e32 v[43:44], v[43:44], v[146:147]
	v_add_f64_e32 v[136:137], v[136:137], v[142:143]
	v_fma_f64 v[146:147], v[2:3], v[18:19], -v[20:21]
	ds_load_b128 v[2:5], v1 offset:976
	s_wait_loadcnt_dscnt 0x801
	v_mul_f64_e32 v[142:143], v[132:133], v[24:25]
	v_mul_f64_e32 v[24:25], v[134:135], v[24:25]
	scratch_load_b128 v[18:21], off, off offset:496
	s_wait_loadcnt_dscnt 0x800
	v_mul_f64_e32 v[148:149], v[2:3], v[28:29]
	v_mul_f64_e32 v[28:29], v[4:5], v[28:29]
	v_add_f64_e32 v[43:44], v[43:44], v[138:139]
	v_add_f64_e32 v[140:141], v[136:137], v[140:141]
	ds_load_b128 v[136:139], v1 offset:992
	v_fma_f64 v[134:135], v[134:135], v[22:23], v[142:143]
	v_fma_f64 v[132:133], v[132:133], v[22:23], -v[24:25]
	scratch_load_b128 v[22:25], off, off offset:512
	v_add_f64_e32 v[43:44], v[43:44], v[146:147]
	v_add_f64_e32 v[140:141], v[140:141], v[144:145]
	v_fma_f64 v[144:145], v[4:5], v[26:27], v[148:149]
	v_fma_f64 v[146:147], v[2:3], v[26:27], -v[28:29]
	ds_load_b128 v[2:5], v1 offset:1008
	s_wait_loadcnt_dscnt 0x801
	v_mul_f64_e32 v[142:143], v[136:137], v[32:33]
	v_mul_f64_e32 v[32:33], v[138:139], v[32:33]
	scratch_load_b128 v[26:29], off, off offset:528
	s_wait_loadcnt_dscnt 0x800
	v_mul_f64_e32 v[148:149], v[2:3], v[41:42]
	v_mul_f64_e32 v[41:42], v[4:5], v[41:42]
	v_add_f64_e32 v[43:44], v[43:44], v[132:133]
	v_add_f64_e32 v[140:141], v[140:141], v[134:135]
	ds_load_b128 v[132:135], v1 offset:1024
	v_fma_f64 v[138:139], v[138:139], v[30:31], v[142:143]
	v_fma_f64 v[136:137], v[136:137], v[30:31], -v[32:33]
	scratch_load_b128 v[30:33], off, off offset:544
	v_add_f64_e32 v[43:44], v[43:44], v[146:147]
	v_add_f64_e32 v[140:141], v[140:141], v[144:145]
	v_fma_f64 v[144:145], v[4:5], v[39:40], v[148:149]
	v_fma_f64 v[146:147], v[2:3], v[39:40], -v[41:42]
	ds_load_b128 v[2:5], v1 offset:1040
	s_wait_loadcnt_dscnt 0x801
	v_mul_f64_e32 v[142:143], v[132:133], v[130:131]
	v_mul_f64_e32 v[130:131], v[134:135], v[130:131]
	scratch_load_b128 v[39:42], off, off offset:560
	s_wait_loadcnt_dscnt 0x800
	v_mul_f64_e32 v[148:149], v[2:3], v[36:37]
	v_add_f64_e32 v[43:44], v[43:44], v[136:137]
	v_add_f64_e32 v[140:141], v[140:141], v[138:139]
	v_mul_f64_e32 v[36:37], v[4:5], v[36:37]
	ds_load_b128 v[136:139], v1 offset:1056
	v_fma_f64 v[134:135], v[134:135], v[128:129], v[142:143]
	v_fma_f64 v[132:133], v[132:133], v[128:129], -v[130:131]
	scratch_load_b128 v[128:131], off, off offset:576
	v_add_f64_e32 v[43:44], v[43:44], v[146:147]
	v_add_f64_e32 v[140:141], v[140:141], v[144:145]
	v_fma_f64 v[144:145], v[4:5], v[34:35], v[148:149]
	v_fma_f64 v[146:147], v[2:3], v[34:35], -v[36:37]
	ds_load_b128 v[2:5], v1 offset:1072
	s_wait_loadcnt_dscnt 0x801
	v_mul_f64_e32 v[142:143], v[136:137], v[8:9]
	v_mul_f64_e32 v[8:9], v[138:139], v[8:9]
	scratch_load_b128 v[34:37], off, off offset:592
	s_wait_loadcnt_dscnt 0x800
	v_mul_f64_e32 v[148:149], v[2:3], v[12:13]
	v_mul_f64_e32 v[12:13], v[4:5], v[12:13]
	v_add_f64_e32 v[43:44], v[43:44], v[132:133]
	v_add_f64_e32 v[140:141], v[140:141], v[134:135]
	ds_load_b128 v[132:135], v1 offset:1088
	v_fma_f64 v[138:139], v[138:139], v[6:7], v[142:143]
	v_fma_f64 v[136:137], v[136:137], v[6:7], -v[8:9]
	scratch_load_b128 v[6:9], off, off offset:608
	v_add_f64_e32 v[43:44], v[43:44], v[146:147]
	v_add_f64_e32 v[140:141], v[140:141], v[144:145]
	v_fma_f64 v[144:145], v[4:5], v[10:11], v[148:149]
	v_fma_f64 v[146:147], v[2:3], v[10:11], -v[12:13]
	ds_load_b128 v[2:5], v1 offset:1104
	s_wait_loadcnt_dscnt 0x801
	v_mul_f64_e32 v[142:143], v[132:133], v[16:17]
	v_mul_f64_e32 v[16:17], v[134:135], v[16:17]
	scratch_load_b128 v[10:13], off, off offset:624
	s_wait_loadcnt_dscnt 0x800
	v_mul_f64_e32 v[148:149], v[2:3], v[20:21]
	v_mul_f64_e32 v[20:21], v[4:5], v[20:21]
	v_add_f64_e32 v[43:44], v[43:44], v[136:137]
	v_add_f64_e32 v[140:141], v[140:141], v[138:139]
	ds_load_b128 v[136:139], v1 offset:1120
	v_fma_f64 v[134:135], v[134:135], v[14:15], v[142:143]
	v_fma_f64 v[14:15], v[132:133], v[14:15], -v[16:17]
	s_wait_loadcnt_dscnt 0x700
	v_mul_f64_e32 v[132:133], v[136:137], v[24:25]
	v_mul_f64_e32 v[24:25], v[138:139], v[24:25]
	v_add_f64_e32 v[16:17], v[43:44], v[146:147]
	v_add_f64_e32 v[43:44], v[140:141], v[144:145]
	v_fma_f64 v[140:141], v[4:5], v[18:19], v[148:149]
	v_fma_f64 v[18:19], v[2:3], v[18:19], -v[20:21]
	v_fma_f64 v[132:133], v[138:139], v[22:23], v[132:133]
	v_fma_f64 v[22:23], v[136:137], v[22:23], -v[24:25]
	v_add_f64_e32 v[20:21], v[16:17], v[14:15]
	v_add_f64_e32 v[43:44], v[43:44], v[134:135]
	ds_load_b128 v[2:5], v1 offset:1136
	ds_load_b128 v[14:17], v1 offset:1152
	s_wait_loadcnt_dscnt 0x601
	v_mul_f64_e32 v[134:135], v[2:3], v[28:29]
	v_mul_f64_e32 v[28:29], v[4:5], v[28:29]
	s_wait_loadcnt_dscnt 0x500
	v_mul_f64_e32 v[24:25], v[14:15], v[32:33]
	v_mul_f64_e32 v[32:33], v[16:17], v[32:33]
	v_add_f64_e32 v[18:19], v[20:21], v[18:19]
	v_add_f64_e32 v[20:21], v[43:44], v[140:141]
	v_fma_f64 v[43:44], v[4:5], v[26:27], v[134:135]
	v_fma_f64 v[26:27], v[2:3], v[26:27], -v[28:29]
	v_fma_f64 v[16:17], v[16:17], v[30:31], v[24:25]
	v_fma_f64 v[14:15], v[14:15], v[30:31], -v[32:33]
	v_add_f64_e32 v[22:23], v[18:19], v[22:23]
	v_add_f64_e32 v[28:29], v[20:21], v[132:133]
	ds_load_b128 v[2:5], v1 offset:1168
	ds_load_b128 v[18:21], v1 offset:1184
	s_wait_loadcnt_dscnt 0x401
	v_mul_f64_e32 v[132:133], v[2:3], v[41:42]
	v_mul_f64_e32 v[41:42], v[4:5], v[41:42]
	v_add_f64_e32 v[22:23], v[22:23], v[26:27]
	v_add_f64_e32 v[24:25], v[28:29], v[43:44]
	s_wait_loadcnt_dscnt 0x300
	v_mul_f64_e32 v[26:27], v[18:19], v[130:131]
	v_mul_f64_e32 v[28:29], v[20:21], v[130:131]
	v_fma_f64 v[30:31], v[4:5], v[39:40], v[132:133]
	v_fma_f64 v[32:33], v[2:3], v[39:40], -v[41:42]
	v_add_f64_e32 v[22:23], v[22:23], v[14:15]
	v_add_f64_e32 v[24:25], v[24:25], v[16:17]
	ds_load_b128 v[2:5], v1 offset:1200
	ds_load_b128 v[14:17], v1 offset:1216
	v_fma_f64 v[20:21], v[20:21], v[128:129], v[26:27]
	v_fma_f64 v[18:19], v[18:19], v[128:129], -v[28:29]
	s_wait_loadcnt_dscnt 0x201
	v_mul_f64_e32 v[39:40], v[2:3], v[36:37]
	v_mul_f64_e32 v[36:37], v[4:5], v[36:37]
	s_wait_loadcnt_dscnt 0x100
	v_mul_f64_e32 v[26:27], v[14:15], v[8:9]
	v_mul_f64_e32 v[8:9], v[16:17], v[8:9]
	v_add_f64_e32 v[22:23], v[22:23], v[32:33]
	v_add_f64_e32 v[24:25], v[24:25], v[30:31]
	v_fma_f64 v[28:29], v[4:5], v[34:35], v[39:40]
	v_fma_f64 v[30:31], v[2:3], v[34:35], -v[36:37]
	ds_load_b128 v[2:5], v1 offset:1232
	v_fma_f64 v[16:17], v[16:17], v[6:7], v[26:27]
	v_fma_f64 v[6:7], v[14:15], v[6:7], -v[8:9]
	v_add_f64_e32 v[18:19], v[22:23], v[18:19]
	v_add_f64_e32 v[20:21], v[24:25], v[20:21]
	s_wait_loadcnt_dscnt 0x0
	v_mul_f64_e32 v[22:23], v[2:3], v[12:13]
	v_mul_f64_e32 v[12:13], v[4:5], v[12:13]
	s_delay_alu instid0(VALU_DEP_4) | instskip(NEXT) | instid1(VALU_DEP_4)
	v_add_f64_e32 v[8:9], v[18:19], v[30:31]
	v_add_f64_e32 v[14:15], v[20:21], v[28:29]
	s_delay_alu instid0(VALU_DEP_4) | instskip(NEXT) | instid1(VALU_DEP_4)
	v_fma_f64 v[4:5], v[4:5], v[10:11], v[22:23]
	v_fma_f64 v[2:3], v[2:3], v[10:11], -v[12:13]
	s_delay_alu instid0(VALU_DEP_4) | instskip(NEXT) | instid1(VALU_DEP_4)
	v_add_f64_e32 v[6:7], v[8:9], v[6:7]
	v_add_f64_e32 v[8:9], v[14:15], v[16:17]
	s_delay_alu instid0(VALU_DEP_2) | instskip(NEXT) | instid1(VALU_DEP_2)
	v_add_f64_e32 v[2:3], v[6:7], v[2:3]
	v_add_f64_e32 v[4:5], v[8:9], v[4:5]
	s_delay_alu instid0(VALU_DEP_2) | instskip(NEXT) | instid1(VALU_DEP_2)
	v_add_f64_e64 v[2:3], v[124:125], -v[2:3]
	v_add_f64_e64 v[4:5], v[126:127], -v[4:5]
	scratch_store_b128 off, v[2:5], off offset:96
	v_cmpx_lt_u32_e32 4, v0
	s_cbranch_execz .LBB102_239
; %bb.238:
	scratch_load_b128 v[5:8], off, s4
	v_dual_mov_b32 v2, v1 :: v_dual_mov_b32 v3, v1
	v_mov_b32_e32 v4, v1
	scratch_store_b128 off, v[1:4], off offset:80
	s_wait_loadcnt 0x0
	ds_store_b128 v38, v[5:8]
.LBB102_239:
	s_wait_alu 0xfffe
	s_or_b32 exec_lo, exec_lo, s0
	s_wait_storecnt_dscnt 0x0
	s_barrier_signal -1
	s_barrier_wait -1
	global_inv scope:SCOPE_SE
	s_clause 0x8
	scratch_load_b128 v[2:5], off, off offset:96
	scratch_load_b128 v[6:9], off, off offset:112
	;; [unrolled: 1-line block ×9, first 2 shown]
	ds_load_b128 v[39:42], v1 offset:704
	ds_load_b128 v[124:127], v1 offset:720
	s_clause 0x1
	scratch_load_b128 v[128:131], off, off offset:80
	scratch_load_b128 v[132:135], off, off offset:240
	s_mov_b32 s0, exec_lo
	ds_load_b128 v[136:139], v1 offset:752
	s_wait_loadcnt_dscnt 0xa02
	v_mul_f64_e32 v[43:44], v[41:42], v[4:5]
	v_mul_f64_e32 v[4:5], v[39:40], v[4:5]
	s_wait_loadcnt_dscnt 0x901
	v_mul_f64_e32 v[140:141], v[124:125], v[8:9]
	v_mul_f64_e32 v[8:9], v[126:127], v[8:9]
	s_delay_alu instid0(VALU_DEP_4) | instskip(NEXT) | instid1(VALU_DEP_4)
	v_fma_f64 v[43:44], v[39:40], v[2:3], -v[43:44]
	v_fma_f64 v[142:143], v[41:42], v[2:3], v[4:5]
	ds_load_b128 v[2:5], v1 offset:736
	scratch_load_b128 v[39:42], off, off offset:256
	v_fma_f64 v[126:127], v[126:127], v[6:7], v[140:141]
	v_fma_f64 v[124:125], v[124:125], v[6:7], -v[8:9]
	scratch_load_b128 v[6:9], off, off offset:272
	s_wait_loadcnt_dscnt 0xa00
	v_mul_f64_e32 v[144:145], v[2:3], v[12:13]
	v_mul_f64_e32 v[12:13], v[4:5], v[12:13]
	v_add_f64_e32 v[43:44], 0, v[43:44]
	v_add_f64_e32 v[140:141], 0, v[142:143]
	s_wait_loadcnt 0x9
	v_mul_f64_e32 v[142:143], v[136:137], v[16:17]
	v_mul_f64_e32 v[16:17], v[138:139], v[16:17]
	v_fma_f64 v[144:145], v[4:5], v[10:11], v[144:145]
	v_fma_f64 v[146:147], v[2:3], v[10:11], -v[12:13]
	ds_load_b128 v[2:5], v1 offset:768
	scratch_load_b128 v[10:13], off, off offset:288
	v_add_f64_e32 v[43:44], v[43:44], v[124:125]
	v_add_f64_e32 v[140:141], v[140:141], v[126:127]
	ds_load_b128 v[124:127], v1 offset:784
	v_fma_f64 v[138:139], v[138:139], v[14:15], v[142:143]
	v_fma_f64 v[136:137], v[136:137], v[14:15], -v[16:17]
	scratch_load_b128 v[14:17], off, off offset:304
	s_wait_loadcnt_dscnt 0xa01
	v_mul_f64_e32 v[148:149], v[2:3], v[20:21]
	v_mul_f64_e32 v[20:21], v[4:5], v[20:21]
	s_wait_loadcnt_dscnt 0x900
	v_mul_f64_e32 v[142:143], v[124:125], v[24:25]
	v_mul_f64_e32 v[24:25], v[126:127], v[24:25]
	v_add_f64_e32 v[43:44], v[43:44], v[146:147]
	v_add_f64_e32 v[140:141], v[140:141], v[144:145]
	v_fma_f64 v[144:145], v[4:5], v[18:19], v[148:149]
	v_fma_f64 v[146:147], v[2:3], v[18:19], -v[20:21]
	ds_load_b128 v[2:5], v1 offset:800
	scratch_load_b128 v[18:21], off, off offset:320
	v_fma_f64 v[126:127], v[126:127], v[22:23], v[142:143]
	v_fma_f64 v[124:125], v[124:125], v[22:23], -v[24:25]
	scratch_load_b128 v[22:25], off, off offset:336
	v_add_f64_e32 v[43:44], v[43:44], v[136:137]
	v_add_f64_e32 v[140:141], v[140:141], v[138:139]
	ds_load_b128 v[136:139], v1 offset:816
	s_wait_loadcnt_dscnt 0xa01
	v_mul_f64_e32 v[148:149], v[2:3], v[28:29]
	v_mul_f64_e32 v[28:29], v[4:5], v[28:29]
	s_wait_loadcnt_dscnt 0x900
	v_mul_f64_e32 v[142:143], v[136:137], v[32:33]
	v_mul_f64_e32 v[32:33], v[138:139], v[32:33]
	v_add_f64_e32 v[43:44], v[43:44], v[146:147]
	v_add_f64_e32 v[140:141], v[140:141], v[144:145]
	v_fma_f64 v[144:145], v[4:5], v[26:27], v[148:149]
	v_fma_f64 v[146:147], v[2:3], v[26:27], -v[28:29]
	ds_load_b128 v[2:5], v1 offset:832
	scratch_load_b128 v[26:29], off, off offset:352
	v_fma_f64 v[138:139], v[138:139], v[30:31], v[142:143]
	v_fma_f64 v[136:137], v[136:137], v[30:31], -v[32:33]
	scratch_load_b128 v[30:33], off, off offset:368
	v_add_f64_e32 v[43:44], v[43:44], v[124:125]
	v_add_f64_e32 v[140:141], v[140:141], v[126:127]
	ds_load_b128 v[124:127], v1 offset:848
	s_wait_loadcnt_dscnt 0xa01
	v_mul_f64_e32 v[148:149], v[2:3], v[36:37]
	v_mul_f64_e32 v[36:37], v[4:5], v[36:37]
	s_wait_loadcnt_dscnt 0x800
	v_mul_f64_e32 v[142:143], v[124:125], v[134:135]
	v_add_f64_e32 v[43:44], v[43:44], v[146:147]
	v_add_f64_e32 v[140:141], v[140:141], v[144:145]
	v_mul_f64_e32 v[144:145], v[126:127], v[134:135]
	v_fma_f64 v[146:147], v[4:5], v[34:35], v[148:149]
	v_fma_f64 v[148:149], v[2:3], v[34:35], -v[36:37]
	ds_load_b128 v[2:5], v1 offset:864
	scratch_load_b128 v[34:37], off, off offset:384
	v_fma_f64 v[126:127], v[126:127], v[132:133], v[142:143]
	v_add_f64_e32 v[43:44], v[43:44], v[136:137]
	v_add_f64_e32 v[138:139], v[140:141], v[138:139]
	ds_load_b128 v[134:137], v1 offset:880
	v_fma_f64 v[124:125], v[124:125], v[132:133], -v[144:145]
	s_wait_loadcnt_dscnt 0x801
	v_mul_f64_e32 v[140:141], v[2:3], v[41:42]
	v_mul_f64_e32 v[150:151], v[4:5], v[41:42]
	s_wait_loadcnt_dscnt 0x700
	v_mul_f64_e32 v[142:143], v[134:135], v[8:9]
	v_mul_f64_e32 v[8:9], v[136:137], v[8:9]
	v_add_f64_e32 v[132:133], v[43:44], v[148:149]
	v_add_f64_e32 v[138:139], v[138:139], v[146:147]
	scratch_load_b128 v[41:44], off, off offset:400
	v_fma_f64 v[144:145], v[4:5], v[39:40], v[140:141]
	v_fma_f64 v[39:40], v[2:3], v[39:40], -v[150:151]
	ds_load_b128 v[2:5], v1 offset:896
	v_fma_f64 v[136:137], v[136:137], v[6:7], v[142:143]
	v_fma_f64 v[134:135], v[134:135], v[6:7], -v[8:9]
	scratch_load_b128 v[6:9], off, off offset:432
	v_add_f64_e32 v[132:133], v[132:133], v[124:125]
	v_add_f64_e32 v[146:147], v[138:139], v[126:127]
	scratch_load_b128 v[124:127], off, off offset:416
	ds_load_b128 v[138:141], v1 offset:912
	s_wait_loadcnt_dscnt 0x901
	v_mul_f64_e32 v[148:149], v[2:3], v[12:13]
	v_mul_f64_e32 v[12:13], v[4:5], v[12:13]
	s_wait_loadcnt_dscnt 0x800
	v_mul_f64_e32 v[142:143], v[138:139], v[16:17]
	v_mul_f64_e32 v[16:17], v[140:141], v[16:17]
	v_add_f64_e32 v[39:40], v[132:133], v[39:40]
	v_add_f64_e32 v[132:133], v[146:147], v[144:145]
	v_fma_f64 v[144:145], v[4:5], v[10:11], v[148:149]
	v_fma_f64 v[146:147], v[2:3], v[10:11], -v[12:13]
	ds_load_b128 v[2:5], v1 offset:928
	scratch_load_b128 v[10:13], off, off offset:448
	v_fma_f64 v[140:141], v[140:141], v[14:15], v[142:143]
	v_fma_f64 v[138:139], v[138:139], v[14:15], -v[16:17]
	scratch_load_b128 v[14:17], off, off offset:464
	v_add_f64_e32 v[39:40], v[39:40], v[134:135]
	v_add_f64_e32 v[136:137], v[132:133], v[136:137]
	ds_load_b128 v[132:135], v1 offset:944
	s_wait_loadcnt_dscnt 0x901
	v_mul_f64_e32 v[148:149], v[2:3], v[20:21]
	v_mul_f64_e32 v[20:21], v[4:5], v[20:21]
	s_wait_loadcnt_dscnt 0x800
	v_mul_f64_e32 v[142:143], v[132:133], v[24:25]
	v_mul_f64_e32 v[24:25], v[134:135], v[24:25]
	v_add_f64_e32 v[39:40], v[39:40], v[146:147]
	v_add_f64_e32 v[136:137], v[136:137], v[144:145]
	v_fma_f64 v[144:145], v[4:5], v[18:19], v[148:149]
	v_fma_f64 v[146:147], v[2:3], v[18:19], -v[20:21]
	ds_load_b128 v[2:5], v1 offset:960
	scratch_load_b128 v[18:21], off, off offset:480
	v_fma_f64 v[134:135], v[134:135], v[22:23], v[142:143]
	v_fma_f64 v[132:133], v[132:133], v[22:23], -v[24:25]
	scratch_load_b128 v[22:25], off, off offset:496
	v_add_f64_e32 v[39:40], v[39:40], v[138:139]
	v_add_f64_e32 v[140:141], v[136:137], v[140:141]
	;; [unrolled: 18-line block ×3, first 2 shown]
	ds_load_b128 v[132:135], v1 offset:1008
	s_wait_loadcnt_dscnt 0x901
	v_mul_f64_e32 v[148:149], v[2:3], v[36:37]
	v_mul_f64_e32 v[36:37], v[4:5], v[36:37]
	v_add_f64_e32 v[39:40], v[39:40], v[146:147]
	v_add_f64_e32 v[140:141], v[140:141], v[144:145]
	s_delay_alu instid0(VALU_DEP_4) | instskip(NEXT) | instid1(VALU_DEP_4)
	v_fma_f64 v[144:145], v[4:5], v[34:35], v[148:149]
	v_fma_f64 v[146:147], v[2:3], v[34:35], -v[36:37]
	ds_load_b128 v[2:5], v1 offset:1024
	scratch_load_b128 v[34:37], off, off offset:544
	s_wait_loadcnt_dscnt 0x901
	v_mul_f64_e32 v[142:143], v[132:133], v[43:44]
	v_mul_f64_e32 v[43:44], v[134:135], v[43:44]
	v_add_f64_e32 v[39:40], v[39:40], v[136:137]
	v_add_f64_e32 v[140:141], v[140:141], v[138:139]
	ds_load_b128 v[136:139], v1 offset:1040
	s_wait_loadcnt_dscnt 0x701
	v_mul_f64_e32 v[148:149], v[2:3], v[126:127]
	v_mul_f64_e32 v[126:127], v[4:5], v[126:127]
	v_fma_f64 v[134:135], v[134:135], v[41:42], v[142:143]
	v_fma_f64 v[43:44], v[132:133], v[41:42], -v[43:44]
	s_wait_dscnt 0x0
	v_mul_f64_e32 v[142:143], v[136:137], v[8:9]
	v_mul_f64_e32 v[8:9], v[138:139], v[8:9]
	v_add_f64_e32 v[132:133], v[39:40], v[146:147]
	v_add_f64_e32 v[140:141], v[140:141], v[144:145]
	scratch_load_b128 v[39:42], off, off offset:560
	v_fma_f64 v[144:145], v[4:5], v[124:125], v[148:149]
	v_fma_f64 v[146:147], v[2:3], v[124:125], -v[126:127]
	ds_load_b128 v[2:5], v1 offset:1056
	scratch_load_b128 v[124:127], off, off offset:576
	v_fma_f64 v[138:139], v[138:139], v[6:7], v[142:143]
	v_fma_f64 v[136:137], v[136:137], v[6:7], -v[8:9]
	scratch_load_b128 v[6:9], off, off offset:592
	v_add_f64_e32 v[43:44], v[132:133], v[43:44]
	v_add_f64_e32 v[140:141], v[140:141], v[134:135]
	ds_load_b128 v[132:135], v1 offset:1072
	s_wait_loadcnt_dscnt 0x901
	v_mul_f64_e32 v[148:149], v[2:3], v[12:13]
	v_mul_f64_e32 v[12:13], v[4:5], v[12:13]
	s_wait_loadcnt_dscnt 0x800
	v_mul_f64_e32 v[142:143], v[132:133], v[16:17]
	v_mul_f64_e32 v[16:17], v[134:135], v[16:17]
	v_add_f64_e32 v[43:44], v[43:44], v[146:147]
	v_add_f64_e32 v[140:141], v[140:141], v[144:145]
	v_fma_f64 v[144:145], v[4:5], v[10:11], v[148:149]
	v_fma_f64 v[146:147], v[2:3], v[10:11], -v[12:13]
	ds_load_b128 v[2:5], v1 offset:1088
	scratch_load_b128 v[10:13], off, off offset:608
	v_fma_f64 v[134:135], v[134:135], v[14:15], v[142:143]
	v_fma_f64 v[132:133], v[132:133], v[14:15], -v[16:17]
	scratch_load_b128 v[14:17], off, off offset:624
	v_add_f64_e32 v[43:44], v[43:44], v[136:137]
	v_add_f64_e32 v[140:141], v[140:141], v[138:139]
	ds_load_b128 v[136:139], v1 offset:1104
	s_wait_loadcnt_dscnt 0x901
	v_mul_f64_e32 v[148:149], v[2:3], v[20:21]
	v_mul_f64_e32 v[20:21], v[4:5], v[20:21]
	s_wait_loadcnt_dscnt 0x800
	v_mul_f64_e32 v[142:143], v[136:137], v[24:25]
	v_mul_f64_e32 v[24:25], v[138:139], v[24:25]
	v_add_f64_e32 v[43:44], v[43:44], v[146:147]
	v_add_f64_e32 v[140:141], v[140:141], v[144:145]
	v_fma_f64 v[144:145], v[4:5], v[18:19], v[148:149]
	v_fma_f64 v[146:147], v[2:3], v[18:19], -v[20:21]
	ds_load_b128 v[2:5], v1 offset:1120
	ds_load_b128 v[18:21], v1 offset:1136
	v_fma_f64 v[138:139], v[138:139], v[22:23], v[142:143]
	v_fma_f64 v[22:23], v[136:137], v[22:23], -v[24:25]
	v_add_f64_e32 v[43:44], v[43:44], v[132:133]
	v_add_f64_e32 v[132:133], v[140:141], v[134:135]
	s_wait_loadcnt_dscnt 0x701
	v_mul_f64_e32 v[134:135], v[2:3], v[28:29]
	v_mul_f64_e32 v[28:29], v[4:5], v[28:29]
	s_delay_alu instid0(VALU_DEP_4) | instskip(NEXT) | instid1(VALU_DEP_4)
	v_add_f64_e32 v[24:25], v[43:44], v[146:147]
	v_add_f64_e32 v[43:44], v[132:133], v[144:145]
	s_wait_loadcnt_dscnt 0x600
	v_mul_f64_e32 v[132:133], v[18:19], v[32:33]
	v_mul_f64_e32 v[32:33], v[20:21], v[32:33]
	v_fma_f64 v[134:135], v[4:5], v[26:27], v[134:135]
	v_fma_f64 v[26:27], v[2:3], v[26:27], -v[28:29]
	v_add_f64_e32 v[28:29], v[24:25], v[22:23]
	v_add_f64_e32 v[43:44], v[43:44], v[138:139]
	ds_load_b128 v[2:5], v1 offset:1152
	ds_load_b128 v[22:25], v1 offset:1168
	v_fma_f64 v[20:21], v[20:21], v[30:31], v[132:133]
	v_fma_f64 v[18:19], v[18:19], v[30:31], -v[32:33]
	s_wait_loadcnt_dscnt 0x501
	v_mul_f64_e32 v[136:137], v[2:3], v[36:37]
	v_mul_f64_e32 v[36:37], v[4:5], v[36:37]
	v_add_f64_e32 v[26:27], v[28:29], v[26:27]
	v_add_f64_e32 v[28:29], v[43:44], v[134:135]
	s_wait_loadcnt_dscnt 0x400
	v_mul_f64_e32 v[30:31], v[22:23], v[41:42]
	v_mul_f64_e32 v[32:33], v[24:25], v[41:42]
	v_fma_f64 v[41:42], v[4:5], v[34:35], v[136:137]
	v_fma_f64 v[34:35], v[2:3], v[34:35], -v[36:37]
	v_add_f64_e32 v[26:27], v[26:27], v[18:19]
	v_add_f64_e32 v[28:29], v[28:29], v[20:21]
	ds_load_b128 v[2:5], v1 offset:1184
	ds_load_b128 v[18:21], v1 offset:1200
	v_fma_f64 v[24:25], v[24:25], v[39:40], v[30:31]
	v_fma_f64 v[22:23], v[22:23], v[39:40], -v[32:33]
	s_wait_loadcnt_dscnt 0x301
	v_mul_f64_e32 v[36:37], v[2:3], v[126:127]
	v_mul_f64_e32 v[43:44], v[4:5], v[126:127]
	s_wait_loadcnt_dscnt 0x200
	v_mul_f64_e32 v[30:31], v[18:19], v[8:9]
	v_mul_f64_e32 v[8:9], v[20:21], v[8:9]
	v_add_f64_e32 v[26:27], v[26:27], v[34:35]
	v_add_f64_e32 v[28:29], v[28:29], v[41:42]
	v_fma_f64 v[32:33], v[4:5], v[124:125], v[36:37]
	v_fma_f64 v[34:35], v[2:3], v[124:125], -v[43:44]
	v_fma_f64 v[20:21], v[20:21], v[6:7], v[30:31]
	v_fma_f64 v[6:7], v[18:19], v[6:7], -v[8:9]
	v_add_f64_e32 v[26:27], v[26:27], v[22:23]
	v_add_f64_e32 v[28:29], v[28:29], v[24:25]
	ds_load_b128 v[2:5], v1 offset:1216
	ds_load_b128 v[22:25], v1 offset:1232
	s_wait_loadcnt_dscnt 0x101
	v_mul_f64_e32 v[36:37], v[2:3], v[12:13]
	v_mul_f64_e32 v[12:13], v[4:5], v[12:13]
	v_add_f64_e32 v[8:9], v[26:27], v[34:35]
	v_add_f64_e32 v[18:19], v[28:29], v[32:33]
	s_wait_loadcnt_dscnt 0x0
	v_mul_f64_e32 v[26:27], v[22:23], v[16:17]
	v_mul_f64_e32 v[16:17], v[24:25], v[16:17]
	v_fma_f64 v[4:5], v[4:5], v[10:11], v[36:37]
	v_fma_f64 v[1:2], v[2:3], v[10:11], -v[12:13]
	v_add_f64_e32 v[6:7], v[8:9], v[6:7]
	v_add_f64_e32 v[8:9], v[18:19], v[20:21]
	v_fma_f64 v[10:11], v[24:25], v[14:15], v[26:27]
	v_fma_f64 v[12:13], v[22:23], v[14:15], -v[16:17]
	s_delay_alu instid0(VALU_DEP_4) | instskip(NEXT) | instid1(VALU_DEP_4)
	v_add_f64_e32 v[1:2], v[6:7], v[1:2]
	v_add_f64_e32 v[3:4], v[8:9], v[4:5]
	s_delay_alu instid0(VALU_DEP_2) | instskip(NEXT) | instid1(VALU_DEP_2)
	v_add_f64_e32 v[1:2], v[1:2], v[12:13]
	v_add_f64_e32 v[3:4], v[3:4], v[10:11]
	s_delay_alu instid0(VALU_DEP_2) | instskip(NEXT) | instid1(VALU_DEP_2)
	v_add_f64_e64 v[1:2], v[128:129], -v[1:2]
	v_add_f64_e64 v[3:4], v[130:131], -v[3:4]
	scratch_store_b128 off, v[1:4], off offset:80
	v_cmpx_lt_u32_e32 3, v0
	s_cbranch_execz .LBB102_241
; %bb.240:
	scratch_load_b128 v[1:4], off, s27
	v_mov_b32_e32 v5, 0
	s_delay_alu instid0(VALU_DEP_1)
	v_dual_mov_b32 v6, v5 :: v_dual_mov_b32 v7, v5
	v_mov_b32_e32 v8, v5
	scratch_store_b128 off, v[5:8], off offset:64
	s_wait_loadcnt 0x0
	ds_store_b128 v38, v[1:4]
.LBB102_241:
	s_wait_alu 0xfffe
	s_or_b32 exec_lo, exec_lo, s0
	s_wait_storecnt_dscnt 0x0
	s_barrier_signal -1
	s_barrier_wait -1
	global_inv scope:SCOPE_SE
	s_clause 0x7
	scratch_load_b128 v[2:5], off, off offset:80
	scratch_load_b128 v[6:9], off, off offset:96
	;; [unrolled: 1-line block ×8, first 2 shown]
	v_mov_b32_e32 v1, 0
	s_mov_b32 s0, exec_lo
	ds_load_b128 v[39:42], v1 offset:688
	s_clause 0x1
	scratch_load_b128 v[34:37], off, off offset:208
	scratch_load_b128 v[124:127], off, off offset:64
	ds_load_b128 v[128:131], v1 offset:704
	scratch_load_b128 v[132:135], off, off offset:224
	ds_load_b128 v[136:139], v1 offset:736
	s_wait_loadcnt_dscnt 0xa02
	v_mul_f64_e32 v[43:44], v[41:42], v[4:5]
	v_mul_f64_e32 v[4:5], v[39:40], v[4:5]
	s_delay_alu instid0(VALU_DEP_2) | instskip(NEXT) | instid1(VALU_DEP_2)
	v_fma_f64 v[43:44], v[39:40], v[2:3], -v[43:44]
	v_fma_f64 v[142:143], v[41:42], v[2:3], v[4:5]
	ds_load_b128 v[2:5], v1 offset:720
	s_wait_loadcnt_dscnt 0x902
	v_mul_f64_e32 v[140:141], v[128:129], v[8:9]
	v_mul_f64_e32 v[8:9], v[130:131], v[8:9]
	scratch_load_b128 v[39:42], off, off offset:240
	s_wait_loadcnt_dscnt 0x900
	v_mul_f64_e32 v[144:145], v[2:3], v[12:13]
	v_mul_f64_e32 v[12:13], v[4:5], v[12:13]
	v_add_f64_e32 v[43:44], 0, v[43:44]
	v_fma_f64 v[130:131], v[130:131], v[6:7], v[140:141]
	v_fma_f64 v[128:129], v[128:129], v[6:7], -v[8:9]
	v_add_f64_e32 v[140:141], 0, v[142:143]
	scratch_load_b128 v[6:9], off, off offset:256
	v_fma_f64 v[144:145], v[4:5], v[10:11], v[144:145]
	v_fma_f64 v[146:147], v[2:3], v[10:11], -v[12:13]
	ds_load_b128 v[2:5], v1 offset:752
	s_wait_loadcnt 0x9
	v_mul_f64_e32 v[142:143], v[136:137], v[16:17]
	v_mul_f64_e32 v[16:17], v[138:139], v[16:17]
	scratch_load_b128 v[10:13], off, off offset:272
	v_add_f64_e32 v[43:44], v[43:44], v[128:129]
	v_add_f64_e32 v[140:141], v[140:141], v[130:131]
	s_wait_loadcnt_dscnt 0x900
	v_mul_f64_e32 v[148:149], v[2:3], v[20:21]
	v_mul_f64_e32 v[20:21], v[4:5], v[20:21]
	ds_load_b128 v[128:131], v1 offset:768
	v_fma_f64 v[138:139], v[138:139], v[14:15], v[142:143]
	v_fma_f64 v[136:137], v[136:137], v[14:15], -v[16:17]
	scratch_load_b128 v[14:17], off, off offset:288
	v_add_f64_e32 v[43:44], v[43:44], v[146:147]
	v_add_f64_e32 v[140:141], v[140:141], v[144:145]
	v_fma_f64 v[144:145], v[4:5], v[18:19], v[148:149]
	v_fma_f64 v[146:147], v[2:3], v[18:19], -v[20:21]
	ds_load_b128 v[2:5], v1 offset:784
	s_wait_loadcnt_dscnt 0x901
	v_mul_f64_e32 v[142:143], v[128:129], v[24:25]
	v_mul_f64_e32 v[24:25], v[130:131], v[24:25]
	scratch_load_b128 v[18:21], off, off offset:304
	s_wait_loadcnt_dscnt 0x900
	v_mul_f64_e32 v[148:149], v[2:3], v[28:29]
	v_mul_f64_e32 v[28:29], v[4:5], v[28:29]
	v_add_f64_e32 v[43:44], v[43:44], v[136:137]
	v_add_f64_e32 v[140:141], v[140:141], v[138:139]
	ds_load_b128 v[136:139], v1 offset:800
	v_fma_f64 v[130:131], v[130:131], v[22:23], v[142:143]
	v_fma_f64 v[128:129], v[128:129], v[22:23], -v[24:25]
	scratch_load_b128 v[22:25], off, off offset:320
	v_add_f64_e32 v[43:44], v[43:44], v[146:147]
	v_add_f64_e32 v[140:141], v[140:141], v[144:145]
	v_fma_f64 v[144:145], v[4:5], v[26:27], v[148:149]
	v_fma_f64 v[146:147], v[2:3], v[26:27], -v[28:29]
	ds_load_b128 v[2:5], v1 offset:816
	s_wait_loadcnt_dscnt 0x901
	v_mul_f64_e32 v[142:143], v[136:137], v[32:33]
	v_mul_f64_e32 v[32:33], v[138:139], v[32:33]
	scratch_load_b128 v[26:29], off, off offset:336
	s_wait_loadcnt_dscnt 0x900
	v_mul_f64_e32 v[148:149], v[2:3], v[36:37]
	v_mul_f64_e32 v[36:37], v[4:5], v[36:37]
	v_add_f64_e32 v[43:44], v[43:44], v[128:129]
	v_add_f64_e32 v[140:141], v[140:141], v[130:131]
	ds_load_b128 v[128:131], v1 offset:832
	v_fma_f64 v[138:139], v[138:139], v[30:31], v[142:143]
	v_fma_f64 v[136:137], v[136:137], v[30:31], -v[32:33]
	scratch_load_b128 v[30:33], off, off offset:352
	v_add_f64_e32 v[43:44], v[43:44], v[146:147]
	v_add_f64_e32 v[140:141], v[140:141], v[144:145]
	v_fma_f64 v[146:147], v[4:5], v[34:35], v[148:149]
	v_fma_f64 v[148:149], v[2:3], v[34:35], -v[36:37]
	ds_load_b128 v[2:5], v1 offset:848
	s_wait_loadcnt_dscnt 0x801
	v_mul_f64_e32 v[142:143], v[128:129], v[134:135]
	v_mul_f64_e32 v[144:145], v[130:131], v[134:135]
	scratch_load_b128 v[34:37], off, off offset:368
	v_add_f64_e32 v[43:44], v[43:44], v[136:137]
	v_add_f64_e32 v[138:139], v[140:141], v[138:139]
	ds_load_b128 v[134:137], v1 offset:864
	v_fma_f64 v[130:131], v[130:131], v[132:133], v[142:143]
	v_fma_f64 v[128:129], v[128:129], v[132:133], -v[144:145]
	s_wait_loadcnt_dscnt 0x801
	v_mul_f64_e32 v[140:141], v[2:3], v[41:42]
	v_mul_f64_e32 v[150:151], v[4:5], v[41:42]
	v_add_f64_e32 v[132:133], v[43:44], v[148:149]
	v_add_f64_e32 v[138:139], v[138:139], v[146:147]
	scratch_load_b128 v[41:44], off, off offset:384
	v_fma_f64 v[144:145], v[4:5], v[39:40], v[140:141]
	v_fma_f64 v[39:40], v[2:3], v[39:40], -v[150:151]
	ds_load_b128 v[2:5], v1 offset:880
	s_wait_loadcnt_dscnt 0x801
	v_mul_f64_e32 v[142:143], v[134:135], v[8:9]
	v_mul_f64_e32 v[8:9], v[136:137], v[8:9]
	v_add_f64_e32 v[132:133], v[132:133], v[128:129]
	v_add_f64_e32 v[146:147], v[138:139], v[130:131]
	scratch_load_b128 v[128:131], off, off offset:400
	s_wait_loadcnt_dscnt 0x800
	v_mul_f64_e32 v[148:149], v[2:3], v[12:13]
	v_mul_f64_e32 v[12:13], v[4:5], v[12:13]
	ds_load_b128 v[138:141], v1 offset:896
	v_fma_f64 v[136:137], v[136:137], v[6:7], v[142:143]
	v_fma_f64 v[134:135], v[134:135], v[6:7], -v[8:9]
	scratch_load_b128 v[6:9], off, off offset:416
	v_add_f64_e32 v[39:40], v[132:133], v[39:40]
	v_add_f64_e32 v[132:133], v[146:147], v[144:145]
	v_fma_f64 v[144:145], v[4:5], v[10:11], v[148:149]
	v_fma_f64 v[146:147], v[2:3], v[10:11], -v[12:13]
	ds_load_b128 v[2:5], v1 offset:912
	s_wait_loadcnt_dscnt 0x801
	v_mul_f64_e32 v[142:143], v[138:139], v[16:17]
	v_mul_f64_e32 v[16:17], v[140:141], v[16:17]
	scratch_load_b128 v[10:13], off, off offset:432
	s_wait_loadcnt_dscnt 0x800
	v_mul_f64_e32 v[148:149], v[2:3], v[20:21]
	v_mul_f64_e32 v[20:21], v[4:5], v[20:21]
	v_add_f64_e32 v[39:40], v[39:40], v[134:135]
	v_add_f64_e32 v[136:137], v[132:133], v[136:137]
	ds_load_b128 v[132:135], v1 offset:928
	v_fma_f64 v[140:141], v[140:141], v[14:15], v[142:143]
	v_fma_f64 v[138:139], v[138:139], v[14:15], -v[16:17]
	scratch_load_b128 v[14:17], off, off offset:448
	v_add_f64_e32 v[39:40], v[39:40], v[146:147]
	v_add_f64_e32 v[136:137], v[136:137], v[144:145]
	v_fma_f64 v[144:145], v[4:5], v[18:19], v[148:149]
	v_fma_f64 v[146:147], v[2:3], v[18:19], -v[20:21]
	ds_load_b128 v[2:5], v1 offset:944
	s_wait_loadcnt_dscnt 0x801
	v_mul_f64_e32 v[142:143], v[132:133], v[24:25]
	v_mul_f64_e32 v[24:25], v[134:135], v[24:25]
	scratch_load_b128 v[18:21], off, off offset:464
	s_wait_loadcnt_dscnt 0x800
	v_mul_f64_e32 v[148:149], v[2:3], v[28:29]
	v_mul_f64_e32 v[28:29], v[4:5], v[28:29]
	v_add_f64_e32 v[39:40], v[39:40], v[138:139]
	v_add_f64_e32 v[140:141], v[136:137], v[140:141]
	ds_load_b128 v[136:139], v1 offset:960
	v_fma_f64 v[134:135], v[134:135], v[22:23], v[142:143]
	v_fma_f64 v[132:133], v[132:133], v[22:23], -v[24:25]
	scratch_load_b128 v[22:25], off, off offset:480
	v_add_f64_e32 v[39:40], v[39:40], v[146:147]
	v_add_f64_e32 v[140:141], v[140:141], v[144:145]
	v_fma_f64 v[144:145], v[4:5], v[26:27], v[148:149]
	v_fma_f64 v[146:147], v[2:3], v[26:27], -v[28:29]
	ds_load_b128 v[2:5], v1 offset:976
	s_wait_loadcnt_dscnt 0x801
	v_mul_f64_e32 v[142:143], v[136:137], v[32:33]
	v_mul_f64_e32 v[32:33], v[138:139], v[32:33]
	scratch_load_b128 v[26:29], off, off offset:496
	s_wait_loadcnt_dscnt 0x800
	v_mul_f64_e32 v[148:149], v[2:3], v[36:37]
	v_mul_f64_e32 v[36:37], v[4:5], v[36:37]
	v_add_f64_e32 v[39:40], v[39:40], v[132:133]
	v_add_f64_e32 v[140:141], v[140:141], v[134:135]
	ds_load_b128 v[132:135], v1 offset:992
	v_fma_f64 v[138:139], v[138:139], v[30:31], v[142:143]
	v_fma_f64 v[136:137], v[136:137], v[30:31], -v[32:33]
	scratch_load_b128 v[30:33], off, off offset:512
	v_add_f64_e32 v[39:40], v[39:40], v[146:147]
	v_add_f64_e32 v[140:141], v[140:141], v[144:145]
	v_fma_f64 v[144:145], v[4:5], v[34:35], v[148:149]
	v_fma_f64 v[146:147], v[2:3], v[34:35], -v[36:37]
	ds_load_b128 v[2:5], v1 offset:1008
	scratch_load_b128 v[34:37], off, off offset:528
	s_wait_loadcnt_dscnt 0x901
	v_mul_f64_e32 v[142:143], v[132:133], v[43:44]
	v_mul_f64_e32 v[43:44], v[134:135], v[43:44]
	v_add_f64_e32 v[39:40], v[39:40], v[136:137]
	v_add_f64_e32 v[140:141], v[140:141], v[138:139]
	ds_load_b128 v[136:139], v1 offset:1024
	s_wait_loadcnt_dscnt 0x801
	v_mul_f64_e32 v[148:149], v[2:3], v[130:131]
	v_mul_f64_e32 v[130:131], v[4:5], v[130:131]
	v_fma_f64 v[134:135], v[134:135], v[41:42], v[142:143]
	v_fma_f64 v[43:44], v[132:133], v[41:42], -v[43:44]
	v_add_f64_e32 v[132:133], v[39:40], v[146:147]
	v_add_f64_e32 v[140:141], v[140:141], v[144:145]
	scratch_load_b128 v[39:42], off, off offset:544
	v_fma_f64 v[144:145], v[4:5], v[128:129], v[148:149]
	v_fma_f64 v[146:147], v[2:3], v[128:129], -v[130:131]
	ds_load_b128 v[2:5], v1 offset:1040
	s_wait_loadcnt_dscnt 0x801
	v_mul_f64_e32 v[142:143], v[136:137], v[8:9]
	v_mul_f64_e32 v[8:9], v[138:139], v[8:9]
	scratch_load_b128 v[128:131], off, off offset:560
	v_add_f64_e32 v[43:44], v[132:133], v[43:44]
	v_add_f64_e32 v[140:141], v[140:141], v[134:135]
	s_wait_loadcnt_dscnt 0x800
	v_mul_f64_e32 v[148:149], v[2:3], v[12:13]
	v_mul_f64_e32 v[12:13], v[4:5], v[12:13]
	ds_load_b128 v[132:135], v1 offset:1056
	v_fma_f64 v[138:139], v[138:139], v[6:7], v[142:143]
	v_fma_f64 v[136:137], v[136:137], v[6:7], -v[8:9]
	scratch_load_b128 v[6:9], off, off offset:576
	v_add_f64_e32 v[43:44], v[43:44], v[146:147]
	v_add_f64_e32 v[140:141], v[140:141], v[144:145]
	v_fma_f64 v[144:145], v[4:5], v[10:11], v[148:149]
	v_fma_f64 v[146:147], v[2:3], v[10:11], -v[12:13]
	ds_load_b128 v[2:5], v1 offset:1072
	s_wait_loadcnt_dscnt 0x801
	v_mul_f64_e32 v[142:143], v[132:133], v[16:17]
	v_mul_f64_e32 v[16:17], v[134:135], v[16:17]
	scratch_load_b128 v[10:13], off, off offset:592
	s_wait_loadcnt_dscnt 0x800
	v_mul_f64_e32 v[148:149], v[2:3], v[20:21]
	v_mul_f64_e32 v[20:21], v[4:5], v[20:21]
	v_add_f64_e32 v[43:44], v[43:44], v[136:137]
	v_add_f64_e32 v[140:141], v[140:141], v[138:139]
	ds_load_b128 v[136:139], v1 offset:1088
	v_fma_f64 v[134:135], v[134:135], v[14:15], v[142:143]
	v_fma_f64 v[132:133], v[132:133], v[14:15], -v[16:17]
	scratch_load_b128 v[14:17], off, off offset:608
	v_add_f64_e32 v[43:44], v[43:44], v[146:147]
	v_add_f64_e32 v[140:141], v[140:141], v[144:145]
	v_fma_f64 v[144:145], v[4:5], v[18:19], v[148:149]
	v_fma_f64 v[146:147], v[2:3], v[18:19], -v[20:21]
	ds_load_b128 v[2:5], v1 offset:1104
	s_wait_loadcnt_dscnt 0x801
	v_mul_f64_e32 v[142:143], v[136:137], v[24:25]
	v_mul_f64_e32 v[24:25], v[138:139], v[24:25]
	scratch_load_b128 v[18:21], off, off offset:624
	s_wait_loadcnt_dscnt 0x800
	v_mul_f64_e32 v[148:149], v[2:3], v[28:29]
	v_mul_f64_e32 v[28:29], v[4:5], v[28:29]
	v_add_f64_e32 v[43:44], v[43:44], v[132:133]
	v_add_f64_e32 v[140:141], v[140:141], v[134:135]
	ds_load_b128 v[132:135], v1 offset:1120
	v_fma_f64 v[138:139], v[138:139], v[22:23], v[142:143]
	v_fma_f64 v[22:23], v[136:137], v[22:23], -v[24:25]
	s_wait_loadcnt_dscnt 0x700
	v_mul_f64_e32 v[136:137], v[132:133], v[32:33]
	v_mul_f64_e32 v[32:33], v[134:135], v[32:33]
	v_add_f64_e32 v[24:25], v[43:44], v[146:147]
	v_add_f64_e32 v[43:44], v[140:141], v[144:145]
	v_fma_f64 v[140:141], v[4:5], v[26:27], v[148:149]
	v_fma_f64 v[26:27], v[2:3], v[26:27], -v[28:29]
	v_fma_f64 v[134:135], v[134:135], v[30:31], v[136:137]
	v_fma_f64 v[30:31], v[132:133], v[30:31], -v[32:33]
	v_add_f64_e32 v[28:29], v[24:25], v[22:23]
	v_add_f64_e32 v[43:44], v[43:44], v[138:139]
	ds_load_b128 v[2:5], v1 offset:1136
	ds_load_b128 v[22:25], v1 offset:1152
	s_wait_loadcnt_dscnt 0x601
	v_mul_f64_e32 v[138:139], v[2:3], v[36:37]
	v_mul_f64_e32 v[36:37], v[4:5], v[36:37]
	v_add_f64_e32 v[26:27], v[28:29], v[26:27]
	v_add_f64_e32 v[28:29], v[43:44], v[140:141]
	s_wait_loadcnt_dscnt 0x500
	v_mul_f64_e32 v[32:33], v[22:23], v[41:42]
	v_mul_f64_e32 v[41:42], v[24:25], v[41:42]
	v_fma_f64 v[43:44], v[4:5], v[34:35], v[138:139]
	v_fma_f64 v[34:35], v[2:3], v[34:35], -v[36:37]
	v_add_f64_e32 v[30:31], v[26:27], v[30:31]
	v_add_f64_e32 v[36:37], v[28:29], v[134:135]
	ds_load_b128 v[2:5], v1 offset:1168
	ds_load_b128 v[26:29], v1 offset:1184
	v_fma_f64 v[24:25], v[24:25], v[39:40], v[32:33]
	v_fma_f64 v[22:23], v[22:23], v[39:40], -v[41:42]
	s_wait_loadcnt_dscnt 0x401
	v_mul_f64_e32 v[132:133], v[2:3], v[130:131]
	v_mul_f64_e32 v[130:131], v[4:5], v[130:131]
	v_add_f64_e32 v[30:31], v[30:31], v[34:35]
	v_add_f64_e32 v[32:33], v[36:37], v[43:44]
	s_wait_loadcnt_dscnt 0x300
	v_mul_f64_e32 v[34:35], v[26:27], v[8:9]
	v_mul_f64_e32 v[8:9], v[28:29], v[8:9]
	v_fma_f64 v[36:37], v[4:5], v[128:129], v[132:133]
	v_fma_f64 v[39:40], v[2:3], v[128:129], -v[130:131]
	v_add_f64_e32 v[30:31], v[30:31], v[22:23]
	v_add_f64_e32 v[32:33], v[32:33], v[24:25]
	ds_load_b128 v[2:5], v1 offset:1200
	ds_load_b128 v[22:25], v1 offset:1216
	v_fma_f64 v[28:29], v[28:29], v[6:7], v[34:35]
	v_fma_f64 v[6:7], v[26:27], v[6:7], -v[8:9]
	s_wait_loadcnt_dscnt 0x201
	v_mul_f64_e32 v[41:42], v[2:3], v[12:13]
	v_mul_f64_e32 v[12:13], v[4:5], v[12:13]
	v_add_f64_e32 v[8:9], v[30:31], v[39:40]
	v_add_f64_e32 v[26:27], v[32:33], v[36:37]
	s_wait_loadcnt_dscnt 0x100
	v_mul_f64_e32 v[30:31], v[22:23], v[16:17]
	v_mul_f64_e32 v[16:17], v[24:25], v[16:17]
	v_fma_f64 v[32:33], v[4:5], v[10:11], v[41:42]
	v_fma_f64 v[10:11], v[2:3], v[10:11], -v[12:13]
	ds_load_b128 v[2:5], v1 offset:1232
	v_add_f64_e32 v[6:7], v[8:9], v[6:7]
	v_add_f64_e32 v[8:9], v[26:27], v[28:29]
	v_fma_f64 v[24:25], v[24:25], v[14:15], v[30:31]
	v_fma_f64 v[14:15], v[22:23], v[14:15], -v[16:17]
	s_wait_loadcnt_dscnt 0x0
	v_mul_f64_e32 v[12:13], v[2:3], v[20:21]
	v_mul_f64_e32 v[20:21], v[4:5], v[20:21]
	v_add_f64_e32 v[6:7], v[6:7], v[10:11]
	v_add_f64_e32 v[8:9], v[8:9], v[32:33]
	s_delay_alu instid0(VALU_DEP_4) | instskip(NEXT) | instid1(VALU_DEP_4)
	v_fma_f64 v[4:5], v[4:5], v[18:19], v[12:13]
	v_fma_f64 v[2:3], v[2:3], v[18:19], -v[20:21]
	s_delay_alu instid0(VALU_DEP_4) | instskip(NEXT) | instid1(VALU_DEP_4)
	v_add_f64_e32 v[6:7], v[6:7], v[14:15]
	v_add_f64_e32 v[8:9], v[8:9], v[24:25]
	s_delay_alu instid0(VALU_DEP_2) | instskip(NEXT) | instid1(VALU_DEP_2)
	v_add_f64_e32 v[2:3], v[6:7], v[2:3]
	v_add_f64_e32 v[4:5], v[8:9], v[4:5]
	s_delay_alu instid0(VALU_DEP_2) | instskip(NEXT) | instid1(VALU_DEP_2)
	v_add_f64_e64 v[2:3], v[124:125], -v[2:3]
	v_add_f64_e64 v[4:5], v[126:127], -v[4:5]
	scratch_store_b128 off, v[2:5], off offset:64
	v_cmpx_lt_u32_e32 2, v0
	s_cbranch_execz .LBB102_243
; %bb.242:
	scratch_load_b128 v[5:8], off, s46
	v_dual_mov_b32 v2, v1 :: v_dual_mov_b32 v3, v1
	v_mov_b32_e32 v4, v1
	scratch_store_b128 off, v[1:4], off offset:48
	s_wait_loadcnt 0x0
	ds_store_b128 v38, v[5:8]
.LBB102_243:
	s_wait_alu 0xfffe
	s_or_b32 exec_lo, exec_lo, s0
	s_wait_storecnt_dscnt 0x0
	s_barrier_signal -1
	s_barrier_wait -1
	global_inv scope:SCOPE_SE
	s_clause 0x8
	scratch_load_b128 v[2:5], off, off offset:64
	scratch_load_b128 v[6:9], off, off offset:80
	;; [unrolled: 1-line block ×9, first 2 shown]
	ds_load_b128 v[39:42], v1 offset:672
	ds_load_b128 v[124:127], v1 offset:688
	s_clause 0x1
	scratch_load_b128 v[128:131], off, off offset:48
	scratch_load_b128 v[132:135], off, off offset:208
	s_mov_b32 s0, exec_lo
	ds_load_b128 v[136:139], v1 offset:720
	s_wait_loadcnt_dscnt 0xa02
	v_mul_f64_e32 v[43:44], v[41:42], v[4:5]
	v_mul_f64_e32 v[4:5], v[39:40], v[4:5]
	s_wait_loadcnt_dscnt 0x901
	v_mul_f64_e32 v[140:141], v[124:125], v[8:9]
	v_mul_f64_e32 v[8:9], v[126:127], v[8:9]
	s_delay_alu instid0(VALU_DEP_4) | instskip(NEXT) | instid1(VALU_DEP_4)
	v_fma_f64 v[43:44], v[39:40], v[2:3], -v[43:44]
	v_fma_f64 v[142:143], v[41:42], v[2:3], v[4:5]
	ds_load_b128 v[2:5], v1 offset:704
	scratch_load_b128 v[39:42], off, off offset:224
	v_fma_f64 v[126:127], v[126:127], v[6:7], v[140:141]
	v_fma_f64 v[124:125], v[124:125], v[6:7], -v[8:9]
	scratch_load_b128 v[6:9], off, off offset:240
	s_wait_loadcnt_dscnt 0xa00
	v_mul_f64_e32 v[144:145], v[2:3], v[12:13]
	v_mul_f64_e32 v[12:13], v[4:5], v[12:13]
	v_add_f64_e32 v[43:44], 0, v[43:44]
	v_add_f64_e32 v[140:141], 0, v[142:143]
	s_wait_loadcnt 0x9
	v_mul_f64_e32 v[142:143], v[136:137], v[16:17]
	v_mul_f64_e32 v[16:17], v[138:139], v[16:17]
	v_fma_f64 v[144:145], v[4:5], v[10:11], v[144:145]
	v_fma_f64 v[146:147], v[2:3], v[10:11], -v[12:13]
	ds_load_b128 v[2:5], v1 offset:736
	scratch_load_b128 v[10:13], off, off offset:256
	v_add_f64_e32 v[43:44], v[43:44], v[124:125]
	v_add_f64_e32 v[140:141], v[140:141], v[126:127]
	ds_load_b128 v[124:127], v1 offset:752
	v_fma_f64 v[138:139], v[138:139], v[14:15], v[142:143]
	v_fma_f64 v[136:137], v[136:137], v[14:15], -v[16:17]
	scratch_load_b128 v[14:17], off, off offset:272
	s_wait_loadcnt_dscnt 0xa01
	v_mul_f64_e32 v[148:149], v[2:3], v[20:21]
	v_mul_f64_e32 v[20:21], v[4:5], v[20:21]
	s_wait_loadcnt_dscnt 0x900
	v_mul_f64_e32 v[142:143], v[124:125], v[24:25]
	v_mul_f64_e32 v[24:25], v[126:127], v[24:25]
	v_add_f64_e32 v[43:44], v[43:44], v[146:147]
	v_add_f64_e32 v[140:141], v[140:141], v[144:145]
	v_fma_f64 v[144:145], v[4:5], v[18:19], v[148:149]
	v_fma_f64 v[146:147], v[2:3], v[18:19], -v[20:21]
	ds_load_b128 v[2:5], v1 offset:768
	scratch_load_b128 v[18:21], off, off offset:288
	v_fma_f64 v[126:127], v[126:127], v[22:23], v[142:143]
	v_fma_f64 v[124:125], v[124:125], v[22:23], -v[24:25]
	scratch_load_b128 v[22:25], off, off offset:304
	v_add_f64_e32 v[43:44], v[43:44], v[136:137]
	v_add_f64_e32 v[140:141], v[140:141], v[138:139]
	ds_load_b128 v[136:139], v1 offset:784
	s_wait_loadcnt_dscnt 0xa01
	v_mul_f64_e32 v[148:149], v[2:3], v[28:29]
	v_mul_f64_e32 v[28:29], v[4:5], v[28:29]
	s_wait_loadcnt_dscnt 0x900
	v_mul_f64_e32 v[142:143], v[136:137], v[32:33]
	v_mul_f64_e32 v[32:33], v[138:139], v[32:33]
	v_add_f64_e32 v[43:44], v[43:44], v[146:147]
	v_add_f64_e32 v[140:141], v[140:141], v[144:145]
	v_fma_f64 v[144:145], v[4:5], v[26:27], v[148:149]
	v_fma_f64 v[146:147], v[2:3], v[26:27], -v[28:29]
	ds_load_b128 v[2:5], v1 offset:800
	scratch_load_b128 v[26:29], off, off offset:320
	v_fma_f64 v[138:139], v[138:139], v[30:31], v[142:143]
	v_fma_f64 v[136:137], v[136:137], v[30:31], -v[32:33]
	scratch_load_b128 v[30:33], off, off offset:336
	v_add_f64_e32 v[43:44], v[43:44], v[124:125]
	v_add_f64_e32 v[140:141], v[140:141], v[126:127]
	ds_load_b128 v[124:127], v1 offset:816
	s_wait_loadcnt_dscnt 0xa01
	v_mul_f64_e32 v[148:149], v[2:3], v[36:37]
	v_mul_f64_e32 v[36:37], v[4:5], v[36:37]
	s_wait_loadcnt_dscnt 0x800
	v_mul_f64_e32 v[142:143], v[124:125], v[134:135]
	v_add_f64_e32 v[43:44], v[43:44], v[146:147]
	v_add_f64_e32 v[140:141], v[140:141], v[144:145]
	v_mul_f64_e32 v[144:145], v[126:127], v[134:135]
	v_fma_f64 v[146:147], v[4:5], v[34:35], v[148:149]
	v_fma_f64 v[148:149], v[2:3], v[34:35], -v[36:37]
	ds_load_b128 v[2:5], v1 offset:832
	scratch_load_b128 v[34:37], off, off offset:352
	v_fma_f64 v[126:127], v[126:127], v[132:133], v[142:143]
	v_add_f64_e32 v[43:44], v[43:44], v[136:137]
	v_add_f64_e32 v[138:139], v[140:141], v[138:139]
	ds_load_b128 v[134:137], v1 offset:848
	v_fma_f64 v[124:125], v[124:125], v[132:133], -v[144:145]
	s_wait_loadcnt_dscnt 0x801
	v_mul_f64_e32 v[140:141], v[2:3], v[41:42]
	v_mul_f64_e32 v[150:151], v[4:5], v[41:42]
	s_wait_loadcnt_dscnt 0x700
	v_mul_f64_e32 v[142:143], v[134:135], v[8:9]
	v_mul_f64_e32 v[8:9], v[136:137], v[8:9]
	v_add_f64_e32 v[132:133], v[43:44], v[148:149]
	v_add_f64_e32 v[138:139], v[138:139], v[146:147]
	scratch_load_b128 v[41:44], off, off offset:368
	v_fma_f64 v[144:145], v[4:5], v[39:40], v[140:141]
	v_fma_f64 v[39:40], v[2:3], v[39:40], -v[150:151]
	ds_load_b128 v[2:5], v1 offset:864
	v_fma_f64 v[136:137], v[136:137], v[6:7], v[142:143]
	v_fma_f64 v[134:135], v[134:135], v[6:7], -v[8:9]
	scratch_load_b128 v[6:9], off, off offset:400
	v_add_f64_e32 v[132:133], v[132:133], v[124:125]
	v_add_f64_e32 v[146:147], v[138:139], v[126:127]
	scratch_load_b128 v[124:127], off, off offset:384
	ds_load_b128 v[138:141], v1 offset:880
	s_wait_loadcnt_dscnt 0x901
	v_mul_f64_e32 v[148:149], v[2:3], v[12:13]
	v_mul_f64_e32 v[12:13], v[4:5], v[12:13]
	s_wait_loadcnt_dscnt 0x800
	v_mul_f64_e32 v[142:143], v[138:139], v[16:17]
	v_mul_f64_e32 v[16:17], v[140:141], v[16:17]
	v_add_f64_e32 v[39:40], v[132:133], v[39:40]
	v_add_f64_e32 v[132:133], v[146:147], v[144:145]
	v_fma_f64 v[144:145], v[4:5], v[10:11], v[148:149]
	v_fma_f64 v[146:147], v[2:3], v[10:11], -v[12:13]
	ds_load_b128 v[2:5], v1 offset:896
	scratch_load_b128 v[10:13], off, off offset:416
	v_fma_f64 v[140:141], v[140:141], v[14:15], v[142:143]
	v_fma_f64 v[138:139], v[138:139], v[14:15], -v[16:17]
	scratch_load_b128 v[14:17], off, off offset:432
	v_add_f64_e32 v[39:40], v[39:40], v[134:135]
	v_add_f64_e32 v[136:137], v[132:133], v[136:137]
	ds_load_b128 v[132:135], v1 offset:912
	s_wait_loadcnt_dscnt 0x901
	v_mul_f64_e32 v[148:149], v[2:3], v[20:21]
	v_mul_f64_e32 v[20:21], v[4:5], v[20:21]
	s_wait_loadcnt_dscnt 0x800
	v_mul_f64_e32 v[142:143], v[132:133], v[24:25]
	v_mul_f64_e32 v[24:25], v[134:135], v[24:25]
	v_add_f64_e32 v[39:40], v[39:40], v[146:147]
	v_add_f64_e32 v[136:137], v[136:137], v[144:145]
	v_fma_f64 v[144:145], v[4:5], v[18:19], v[148:149]
	v_fma_f64 v[146:147], v[2:3], v[18:19], -v[20:21]
	ds_load_b128 v[2:5], v1 offset:928
	scratch_load_b128 v[18:21], off, off offset:448
	v_fma_f64 v[134:135], v[134:135], v[22:23], v[142:143]
	v_fma_f64 v[132:133], v[132:133], v[22:23], -v[24:25]
	scratch_load_b128 v[22:25], off, off offset:464
	v_add_f64_e32 v[39:40], v[39:40], v[138:139]
	v_add_f64_e32 v[140:141], v[136:137], v[140:141]
	;; [unrolled: 18-line block ×3, first 2 shown]
	ds_load_b128 v[132:135], v1 offset:976
	s_wait_loadcnt_dscnt 0x901
	v_mul_f64_e32 v[148:149], v[2:3], v[36:37]
	v_mul_f64_e32 v[36:37], v[4:5], v[36:37]
	v_add_f64_e32 v[39:40], v[39:40], v[146:147]
	v_add_f64_e32 v[140:141], v[140:141], v[144:145]
	s_delay_alu instid0(VALU_DEP_4) | instskip(NEXT) | instid1(VALU_DEP_4)
	v_fma_f64 v[144:145], v[4:5], v[34:35], v[148:149]
	v_fma_f64 v[146:147], v[2:3], v[34:35], -v[36:37]
	ds_load_b128 v[2:5], v1 offset:992
	scratch_load_b128 v[34:37], off, off offset:512
	s_wait_loadcnt_dscnt 0x901
	v_mul_f64_e32 v[142:143], v[132:133], v[43:44]
	v_mul_f64_e32 v[43:44], v[134:135], v[43:44]
	v_add_f64_e32 v[39:40], v[39:40], v[136:137]
	v_add_f64_e32 v[140:141], v[140:141], v[138:139]
	ds_load_b128 v[136:139], v1 offset:1008
	s_wait_loadcnt_dscnt 0x701
	v_mul_f64_e32 v[148:149], v[2:3], v[126:127]
	v_mul_f64_e32 v[126:127], v[4:5], v[126:127]
	v_fma_f64 v[134:135], v[134:135], v[41:42], v[142:143]
	v_fma_f64 v[43:44], v[132:133], v[41:42], -v[43:44]
	s_wait_dscnt 0x0
	v_mul_f64_e32 v[142:143], v[136:137], v[8:9]
	v_mul_f64_e32 v[8:9], v[138:139], v[8:9]
	v_add_f64_e32 v[132:133], v[39:40], v[146:147]
	v_add_f64_e32 v[140:141], v[140:141], v[144:145]
	scratch_load_b128 v[39:42], off, off offset:528
	v_fma_f64 v[144:145], v[4:5], v[124:125], v[148:149]
	v_fma_f64 v[146:147], v[2:3], v[124:125], -v[126:127]
	ds_load_b128 v[2:5], v1 offset:1024
	scratch_load_b128 v[124:127], off, off offset:544
	v_fma_f64 v[138:139], v[138:139], v[6:7], v[142:143]
	v_fma_f64 v[136:137], v[136:137], v[6:7], -v[8:9]
	scratch_load_b128 v[6:9], off, off offset:560
	v_add_f64_e32 v[43:44], v[132:133], v[43:44]
	v_add_f64_e32 v[140:141], v[140:141], v[134:135]
	ds_load_b128 v[132:135], v1 offset:1040
	s_wait_loadcnt_dscnt 0x901
	v_mul_f64_e32 v[148:149], v[2:3], v[12:13]
	v_mul_f64_e32 v[12:13], v[4:5], v[12:13]
	s_wait_loadcnt_dscnt 0x800
	v_mul_f64_e32 v[142:143], v[132:133], v[16:17]
	v_mul_f64_e32 v[16:17], v[134:135], v[16:17]
	v_add_f64_e32 v[43:44], v[43:44], v[146:147]
	v_add_f64_e32 v[140:141], v[140:141], v[144:145]
	v_fma_f64 v[144:145], v[4:5], v[10:11], v[148:149]
	v_fma_f64 v[146:147], v[2:3], v[10:11], -v[12:13]
	ds_load_b128 v[2:5], v1 offset:1056
	scratch_load_b128 v[10:13], off, off offset:576
	v_fma_f64 v[134:135], v[134:135], v[14:15], v[142:143]
	v_fma_f64 v[132:133], v[132:133], v[14:15], -v[16:17]
	scratch_load_b128 v[14:17], off, off offset:592
	v_add_f64_e32 v[43:44], v[43:44], v[136:137]
	v_add_f64_e32 v[140:141], v[140:141], v[138:139]
	ds_load_b128 v[136:139], v1 offset:1072
	s_wait_loadcnt_dscnt 0x901
	v_mul_f64_e32 v[148:149], v[2:3], v[20:21]
	v_mul_f64_e32 v[20:21], v[4:5], v[20:21]
	s_wait_loadcnt_dscnt 0x800
	v_mul_f64_e32 v[142:143], v[136:137], v[24:25]
	v_mul_f64_e32 v[24:25], v[138:139], v[24:25]
	v_add_f64_e32 v[43:44], v[43:44], v[146:147]
	v_add_f64_e32 v[140:141], v[140:141], v[144:145]
	;; [unrolled: 18-line block ×3, first 2 shown]
	v_fma_f64 v[144:145], v[4:5], v[26:27], v[148:149]
	v_fma_f64 v[146:147], v[2:3], v[26:27], -v[28:29]
	ds_load_b128 v[2:5], v1 offset:1120
	ds_load_b128 v[26:29], v1 offset:1136
	v_fma_f64 v[134:135], v[134:135], v[30:31], v[142:143]
	v_fma_f64 v[30:31], v[132:133], v[30:31], -v[32:33]
	v_add_f64_e32 v[43:44], v[43:44], v[136:137]
	v_add_f64_e32 v[136:137], v[140:141], v[138:139]
	s_wait_loadcnt_dscnt 0x701
	v_mul_f64_e32 v[138:139], v[2:3], v[36:37]
	v_mul_f64_e32 v[36:37], v[4:5], v[36:37]
	s_delay_alu instid0(VALU_DEP_4) | instskip(NEXT) | instid1(VALU_DEP_4)
	v_add_f64_e32 v[32:33], v[43:44], v[146:147]
	v_add_f64_e32 v[43:44], v[136:137], v[144:145]
	s_delay_alu instid0(VALU_DEP_4) | instskip(NEXT) | instid1(VALU_DEP_4)
	v_fma_f64 v[136:137], v[4:5], v[34:35], v[138:139]
	v_fma_f64 v[34:35], v[2:3], v[34:35], -v[36:37]
	s_wait_loadcnt_dscnt 0x600
	v_mul_f64_e32 v[132:133], v[26:27], v[41:42]
	v_mul_f64_e32 v[41:42], v[28:29], v[41:42]
	v_add_f64_e32 v[36:37], v[32:33], v[30:31]
	v_add_f64_e32 v[43:44], v[43:44], v[134:135]
	ds_load_b128 v[2:5], v1 offset:1152
	ds_load_b128 v[30:33], v1 offset:1168
	v_fma_f64 v[28:29], v[28:29], v[39:40], v[132:133]
	v_fma_f64 v[26:27], v[26:27], v[39:40], -v[41:42]
	s_wait_loadcnt_dscnt 0x501
	v_mul_f64_e32 v[134:135], v[2:3], v[126:127]
	v_mul_f64_e32 v[126:127], v[4:5], v[126:127]
	s_wait_loadcnt_dscnt 0x400
	v_mul_f64_e32 v[39:40], v[30:31], v[8:9]
	v_mul_f64_e32 v[8:9], v[32:33], v[8:9]
	v_add_f64_e32 v[34:35], v[36:37], v[34:35]
	v_add_f64_e32 v[36:37], v[43:44], v[136:137]
	v_fma_f64 v[41:42], v[4:5], v[124:125], v[134:135]
	v_fma_f64 v[43:44], v[2:3], v[124:125], -v[126:127]
	v_fma_f64 v[32:33], v[32:33], v[6:7], v[39:40]
	v_fma_f64 v[6:7], v[30:31], v[6:7], -v[8:9]
	v_add_f64_e32 v[34:35], v[34:35], v[26:27]
	v_add_f64_e32 v[36:37], v[36:37], v[28:29]
	ds_load_b128 v[2:5], v1 offset:1184
	ds_load_b128 v[26:29], v1 offset:1200
	s_wait_loadcnt_dscnt 0x301
	v_mul_f64_e32 v[124:125], v[2:3], v[12:13]
	v_mul_f64_e32 v[12:13], v[4:5], v[12:13]
	v_add_f64_e32 v[8:9], v[34:35], v[43:44]
	v_add_f64_e32 v[30:31], v[36:37], v[41:42]
	s_wait_loadcnt_dscnt 0x200
	v_mul_f64_e32 v[34:35], v[26:27], v[16:17]
	v_mul_f64_e32 v[16:17], v[28:29], v[16:17]
	v_fma_f64 v[36:37], v[4:5], v[10:11], v[124:125]
	v_fma_f64 v[10:11], v[2:3], v[10:11], -v[12:13]
	v_add_f64_e32 v[12:13], v[8:9], v[6:7]
	v_add_f64_e32 v[30:31], v[30:31], v[32:33]
	ds_load_b128 v[2:5], v1 offset:1216
	ds_load_b128 v[6:9], v1 offset:1232
	v_fma_f64 v[28:29], v[28:29], v[14:15], v[34:35]
	v_fma_f64 v[14:15], v[26:27], v[14:15], -v[16:17]
	s_wait_loadcnt_dscnt 0x101
	v_mul_f64_e32 v[32:33], v[2:3], v[20:21]
	v_mul_f64_e32 v[20:21], v[4:5], v[20:21]
	s_wait_loadcnt_dscnt 0x0
	v_mul_f64_e32 v[16:17], v[6:7], v[24:25]
	v_mul_f64_e32 v[24:25], v[8:9], v[24:25]
	v_add_f64_e32 v[10:11], v[12:13], v[10:11]
	v_add_f64_e32 v[12:13], v[30:31], v[36:37]
	v_fma_f64 v[4:5], v[4:5], v[18:19], v[32:33]
	v_fma_f64 v[1:2], v[2:3], v[18:19], -v[20:21]
	v_fma_f64 v[8:9], v[8:9], v[22:23], v[16:17]
	v_fma_f64 v[6:7], v[6:7], v[22:23], -v[24:25]
	v_add_f64_e32 v[10:11], v[10:11], v[14:15]
	v_add_f64_e32 v[12:13], v[12:13], v[28:29]
	s_delay_alu instid0(VALU_DEP_2) | instskip(NEXT) | instid1(VALU_DEP_2)
	v_add_f64_e32 v[1:2], v[10:11], v[1:2]
	v_add_f64_e32 v[3:4], v[12:13], v[4:5]
	s_delay_alu instid0(VALU_DEP_2) | instskip(NEXT) | instid1(VALU_DEP_2)
	;; [unrolled: 3-line block ×3, first 2 shown]
	v_add_f64_e64 v[1:2], v[128:129], -v[1:2]
	v_add_f64_e64 v[3:4], v[130:131], -v[3:4]
	scratch_store_b128 off, v[1:4], off offset:48
	v_cmpx_lt_u32_e32 1, v0
	s_cbranch_execz .LBB102_245
; %bb.244:
	scratch_load_b128 v[1:4], off, s47
	v_mov_b32_e32 v5, 0
	s_delay_alu instid0(VALU_DEP_1)
	v_dual_mov_b32 v6, v5 :: v_dual_mov_b32 v7, v5
	v_mov_b32_e32 v8, v5
	scratch_store_b128 off, v[5:8], off offset:32
	s_wait_loadcnt 0x0
	ds_store_b128 v38, v[1:4]
.LBB102_245:
	s_wait_alu 0xfffe
	s_or_b32 exec_lo, exec_lo, s0
	s_wait_storecnt_dscnt 0x0
	s_barrier_signal -1
	s_barrier_wait -1
	global_inv scope:SCOPE_SE
	s_clause 0x7
	scratch_load_b128 v[2:5], off, off offset:48
	scratch_load_b128 v[6:9], off, off offset:64
	;; [unrolled: 1-line block ×8, first 2 shown]
	v_mov_b32_e32 v1, 0
	s_mov_b32 s0, exec_lo
	ds_load_b128 v[39:42], v1 offset:656
	s_clause 0x1
	scratch_load_b128 v[34:37], off, off offset:176
	scratch_load_b128 v[124:127], off, off offset:32
	ds_load_b128 v[128:131], v1 offset:672
	scratch_load_b128 v[132:135], off, off offset:192
	ds_load_b128 v[136:139], v1 offset:704
	s_wait_loadcnt_dscnt 0xa02
	v_mul_f64_e32 v[43:44], v[41:42], v[4:5]
	v_mul_f64_e32 v[4:5], v[39:40], v[4:5]
	s_delay_alu instid0(VALU_DEP_2) | instskip(NEXT) | instid1(VALU_DEP_2)
	v_fma_f64 v[43:44], v[39:40], v[2:3], -v[43:44]
	v_fma_f64 v[142:143], v[41:42], v[2:3], v[4:5]
	ds_load_b128 v[2:5], v1 offset:688
	s_wait_loadcnt_dscnt 0x902
	v_mul_f64_e32 v[140:141], v[128:129], v[8:9]
	v_mul_f64_e32 v[8:9], v[130:131], v[8:9]
	scratch_load_b128 v[39:42], off, off offset:208
	s_wait_loadcnt_dscnt 0x900
	v_mul_f64_e32 v[144:145], v[2:3], v[12:13]
	v_mul_f64_e32 v[12:13], v[4:5], v[12:13]
	v_add_f64_e32 v[43:44], 0, v[43:44]
	v_fma_f64 v[130:131], v[130:131], v[6:7], v[140:141]
	v_fma_f64 v[128:129], v[128:129], v[6:7], -v[8:9]
	v_add_f64_e32 v[140:141], 0, v[142:143]
	scratch_load_b128 v[6:9], off, off offset:224
	v_fma_f64 v[144:145], v[4:5], v[10:11], v[144:145]
	v_fma_f64 v[146:147], v[2:3], v[10:11], -v[12:13]
	ds_load_b128 v[2:5], v1 offset:720
	s_wait_loadcnt 0x9
	v_mul_f64_e32 v[142:143], v[136:137], v[16:17]
	v_mul_f64_e32 v[16:17], v[138:139], v[16:17]
	scratch_load_b128 v[10:13], off, off offset:240
	v_add_f64_e32 v[43:44], v[43:44], v[128:129]
	v_add_f64_e32 v[140:141], v[140:141], v[130:131]
	s_wait_loadcnt_dscnt 0x900
	v_mul_f64_e32 v[148:149], v[2:3], v[20:21]
	v_mul_f64_e32 v[20:21], v[4:5], v[20:21]
	ds_load_b128 v[128:131], v1 offset:736
	v_fma_f64 v[138:139], v[138:139], v[14:15], v[142:143]
	v_fma_f64 v[136:137], v[136:137], v[14:15], -v[16:17]
	scratch_load_b128 v[14:17], off, off offset:256
	v_add_f64_e32 v[43:44], v[43:44], v[146:147]
	v_add_f64_e32 v[140:141], v[140:141], v[144:145]
	v_fma_f64 v[144:145], v[4:5], v[18:19], v[148:149]
	v_fma_f64 v[146:147], v[2:3], v[18:19], -v[20:21]
	ds_load_b128 v[2:5], v1 offset:752
	s_wait_loadcnt_dscnt 0x901
	v_mul_f64_e32 v[142:143], v[128:129], v[24:25]
	v_mul_f64_e32 v[24:25], v[130:131], v[24:25]
	scratch_load_b128 v[18:21], off, off offset:272
	s_wait_loadcnt_dscnt 0x900
	v_mul_f64_e32 v[148:149], v[2:3], v[28:29]
	v_mul_f64_e32 v[28:29], v[4:5], v[28:29]
	v_add_f64_e32 v[43:44], v[43:44], v[136:137]
	v_add_f64_e32 v[140:141], v[140:141], v[138:139]
	ds_load_b128 v[136:139], v1 offset:768
	v_fma_f64 v[130:131], v[130:131], v[22:23], v[142:143]
	v_fma_f64 v[128:129], v[128:129], v[22:23], -v[24:25]
	scratch_load_b128 v[22:25], off, off offset:288
	v_add_f64_e32 v[43:44], v[43:44], v[146:147]
	v_add_f64_e32 v[140:141], v[140:141], v[144:145]
	v_fma_f64 v[144:145], v[4:5], v[26:27], v[148:149]
	v_fma_f64 v[146:147], v[2:3], v[26:27], -v[28:29]
	ds_load_b128 v[2:5], v1 offset:784
	s_wait_loadcnt_dscnt 0x901
	v_mul_f64_e32 v[142:143], v[136:137], v[32:33]
	v_mul_f64_e32 v[32:33], v[138:139], v[32:33]
	scratch_load_b128 v[26:29], off, off offset:304
	s_wait_loadcnt_dscnt 0x900
	v_mul_f64_e32 v[148:149], v[2:3], v[36:37]
	v_mul_f64_e32 v[36:37], v[4:5], v[36:37]
	v_add_f64_e32 v[43:44], v[43:44], v[128:129]
	v_add_f64_e32 v[140:141], v[140:141], v[130:131]
	ds_load_b128 v[128:131], v1 offset:800
	v_fma_f64 v[138:139], v[138:139], v[30:31], v[142:143]
	v_fma_f64 v[136:137], v[136:137], v[30:31], -v[32:33]
	scratch_load_b128 v[30:33], off, off offset:320
	v_add_f64_e32 v[43:44], v[43:44], v[146:147]
	v_add_f64_e32 v[140:141], v[140:141], v[144:145]
	v_fma_f64 v[146:147], v[4:5], v[34:35], v[148:149]
	v_fma_f64 v[148:149], v[2:3], v[34:35], -v[36:37]
	ds_load_b128 v[2:5], v1 offset:816
	s_wait_loadcnt_dscnt 0x801
	v_mul_f64_e32 v[142:143], v[128:129], v[134:135]
	v_mul_f64_e32 v[144:145], v[130:131], v[134:135]
	scratch_load_b128 v[34:37], off, off offset:336
	v_add_f64_e32 v[43:44], v[43:44], v[136:137]
	v_add_f64_e32 v[138:139], v[140:141], v[138:139]
	ds_load_b128 v[134:137], v1 offset:832
	v_fma_f64 v[130:131], v[130:131], v[132:133], v[142:143]
	v_fma_f64 v[128:129], v[128:129], v[132:133], -v[144:145]
	s_wait_loadcnt_dscnt 0x801
	v_mul_f64_e32 v[140:141], v[2:3], v[41:42]
	v_mul_f64_e32 v[150:151], v[4:5], v[41:42]
	v_add_f64_e32 v[132:133], v[43:44], v[148:149]
	v_add_f64_e32 v[138:139], v[138:139], v[146:147]
	scratch_load_b128 v[41:44], off, off offset:352
	v_fma_f64 v[144:145], v[4:5], v[39:40], v[140:141]
	v_fma_f64 v[39:40], v[2:3], v[39:40], -v[150:151]
	ds_load_b128 v[2:5], v1 offset:848
	s_wait_loadcnt_dscnt 0x801
	v_mul_f64_e32 v[142:143], v[134:135], v[8:9]
	v_mul_f64_e32 v[8:9], v[136:137], v[8:9]
	v_add_f64_e32 v[132:133], v[132:133], v[128:129]
	v_add_f64_e32 v[146:147], v[138:139], v[130:131]
	scratch_load_b128 v[128:131], off, off offset:368
	s_wait_loadcnt_dscnt 0x800
	v_mul_f64_e32 v[148:149], v[2:3], v[12:13]
	v_mul_f64_e32 v[12:13], v[4:5], v[12:13]
	ds_load_b128 v[138:141], v1 offset:864
	v_fma_f64 v[136:137], v[136:137], v[6:7], v[142:143]
	v_fma_f64 v[134:135], v[134:135], v[6:7], -v[8:9]
	scratch_load_b128 v[6:9], off, off offset:384
	v_add_f64_e32 v[39:40], v[132:133], v[39:40]
	v_add_f64_e32 v[132:133], v[146:147], v[144:145]
	v_fma_f64 v[144:145], v[4:5], v[10:11], v[148:149]
	v_fma_f64 v[146:147], v[2:3], v[10:11], -v[12:13]
	ds_load_b128 v[2:5], v1 offset:880
	s_wait_loadcnt_dscnt 0x801
	v_mul_f64_e32 v[142:143], v[138:139], v[16:17]
	v_mul_f64_e32 v[16:17], v[140:141], v[16:17]
	scratch_load_b128 v[10:13], off, off offset:400
	s_wait_loadcnt_dscnt 0x800
	v_mul_f64_e32 v[148:149], v[2:3], v[20:21]
	v_mul_f64_e32 v[20:21], v[4:5], v[20:21]
	v_add_f64_e32 v[39:40], v[39:40], v[134:135]
	v_add_f64_e32 v[136:137], v[132:133], v[136:137]
	ds_load_b128 v[132:135], v1 offset:896
	v_fma_f64 v[140:141], v[140:141], v[14:15], v[142:143]
	v_fma_f64 v[138:139], v[138:139], v[14:15], -v[16:17]
	scratch_load_b128 v[14:17], off, off offset:416
	v_add_f64_e32 v[39:40], v[39:40], v[146:147]
	v_add_f64_e32 v[136:137], v[136:137], v[144:145]
	v_fma_f64 v[144:145], v[4:5], v[18:19], v[148:149]
	v_fma_f64 v[146:147], v[2:3], v[18:19], -v[20:21]
	ds_load_b128 v[2:5], v1 offset:912
	s_wait_loadcnt_dscnt 0x801
	v_mul_f64_e32 v[142:143], v[132:133], v[24:25]
	v_mul_f64_e32 v[24:25], v[134:135], v[24:25]
	scratch_load_b128 v[18:21], off, off offset:432
	s_wait_loadcnt_dscnt 0x800
	v_mul_f64_e32 v[148:149], v[2:3], v[28:29]
	v_mul_f64_e32 v[28:29], v[4:5], v[28:29]
	v_add_f64_e32 v[39:40], v[39:40], v[138:139]
	v_add_f64_e32 v[140:141], v[136:137], v[140:141]
	;; [unrolled: 18-line block ×3, first 2 shown]
	ds_load_b128 v[132:135], v1 offset:960
	v_fma_f64 v[138:139], v[138:139], v[30:31], v[142:143]
	v_fma_f64 v[136:137], v[136:137], v[30:31], -v[32:33]
	scratch_load_b128 v[30:33], off, off offset:480
	v_add_f64_e32 v[39:40], v[39:40], v[146:147]
	v_add_f64_e32 v[140:141], v[140:141], v[144:145]
	v_fma_f64 v[144:145], v[4:5], v[34:35], v[148:149]
	v_fma_f64 v[146:147], v[2:3], v[34:35], -v[36:37]
	ds_load_b128 v[2:5], v1 offset:976
	scratch_load_b128 v[34:37], off, off offset:496
	s_wait_loadcnt_dscnt 0x901
	v_mul_f64_e32 v[142:143], v[132:133], v[43:44]
	v_mul_f64_e32 v[43:44], v[134:135], v[43:44]
	v_add_f64_e32 v[39:40], v[39:40], v[136:137]
	v_add_f64_e32 v[140:141], v[140:141], v[138:139]
	ds_load_b128 v[136:139], v1 offset:992
	s_wait_loadcnt_dscnt 0x801
	v_mul_f64_e32 v[148:149], v[2:3], v[130:131]
	v_mul_f64_e32 v[130:131], v[4:5], v[130:131]
	v_fma_f64 v[134:135], v[134:135], v[41:42], v[142:143]
	v_fma_f64 v[43:44], v[132:133], v[41:42], -v[43:44]
	v_add_f64_e32 v[132:133], v[39:40], v[146:147]
	v_add_f64_e32 v[140:141], v[140:141], v[144:145]
	scratch_load_b128 v[39:42], off, off offset:512
	v_fma_f64 v[144:145], v[4:5], v[128:129], v[148:149]
	v_fma_f64 v[146:147], v[2:3], v[128:129], -v[130:131]
	ds_load_b128 v[2:5], v1 offset:1008
	s_wait_loadcnt_dscnt 0x801
	v_mul_f64_e32 v[142:143], v[136:137], v[8:9]
	v_mul_f64_e32 v[8:9], v[138:139], v[8:9]
	scratch_load_b128 v[128:131], off, off offset:528
	v_add_f64_e32 v[43:44], v[132:133], v[43:44]
	v_add_f64_e32 v[140:141], v[140:141], v[134:135]
	s_wait_loadcnt_dscnt 0x800
	v_mul_f64_e32 v[148:149], v[2:3], v[12:13]
	v_mul_f64_e32 v[12:13], v[4:5], v[12:13]
	ds_load_b128 v[132:135], v1 offset:1024
	v_fma_f64 v[138:139], v[138:139], v[6:7], v[142:143]
	v_fma_f64 v[136:137], v[136:137], v[6:7], -v[8:9]
	scratch_load_b128 v[6:9], off, off offset:544
	v_add_f64_e32 v[43:44], v[43:44], v[146:147]
	v_add_f64_e32 v[140:141], v[140:141], v[144:145]
	v_fma_f64 v[144:145], v[4:5], v[10:11], v[148:149]
	v_fma_f64 v[146:147], v[2:3], v[10:11], -v[12:13]
	ds_load_b128 v[2:5], v1 offset:1040
	s_wait_loadcnt_dscnt 0x801
	v_mul_f64_e32 v[142:143], v[132:133], v[16:17]
	v_mul_f64_e32 v[16:17], v[134:135], v[16:17]
	scratch_load_b128 v[10:13], off, off offset:560
	s_wait_loadcnt_dscnt 0x800
	v_mul_f64_e32 v[148:149], v[2:3], v[20:21]
	v_mul_f64_e32 v[20:21], v[4:5], v[20:21]
	v_add_f64_e32 v[43:44], v[43:44], v[136:137]
	v_add_f64_e32 v[140:141], v[140:141], v[138:139]
	ds_load_b128 v[136:139], v1 offset:1056
	v_fma_f64 v[134:135], v[134:135], v[14:15], v[142:143]
	v_fma_f64 v[132:133], v[132:133], v[14:15], -v[16:17]
	scratch_load_b128 v[14:17], off, off offset:576
	v_add_f64_e32 v[43:44], v[43:44], v[146:147]
	v_add_f64_e32 v[140:141], v[140:141], v[144:145]
	v_fma_f64 v[144:145], v[4:5], v[18:19], v[148:149]
	v_fma_f64 v[146:147], v[2:3], v[18:19], -v[20:21]
	ds_load_b128 v[2:5], v1 offset:1072
	s_wait_loadcnt_dscnt 0x801
	v_mul_f64_e32 v[142:143], v[136:137], v[24:25]
	v_mul_f64_e32 v[24:25], v[138:139], v[24:25]
	scratch_load_b128 v[18:21], off, off offset:592
	s_wait_loadcnt_dscnt 0x800
	v_mul_f64_e32 v[148:149], v[2:3], v[28:29]
	v_mul_f64_e32 v[28:29], v[4:5], v[28:29]
	v_add_f64_e32 v[43:44], v[43:44], v[132:133]
	v_add_f64_e32 v[140:141], v[140:141], v[134:135]
	;; [unrolled: 18-line block ×3, first 2 shown]
	ds_load_b128 v[136:139], v1 offset:1120
	v_fma_f64 v[134:135], v[134:135], v[30:31], v[142:143]
	v_fma_f64 v[30:31], v[132:133], v[30:31], -v[32:33]
	v_add_f64_e32 v[32:33], v[43:44], v[146:147]
	v_add_f64_e32 v[43:44], v[140:141], v[144:145]
	v_fma_f64 v[140:141], v[4:5], v[34:35], v[148:149]
	v_fma_f64 v[34:35], v[2:3], v[34:35], -v[36:37]
	s_wait_loadcnt_dscnt 0x700
	v_mul_f64_e32 v[132:133], v[136:137], v[41:42]
	v_mul_f64_e32 v[41:42], v[138:139], v[41:42]
	v_add_f64_e32 v[36:37], v[32:33], v[30:31]
	v_add_f64_e32 v[43:44], v[43:44], v[134:135]
	ds_load_b128 v[2:5], v1 offset:1136
	ds_load_b128 v[30:33], v1 offset:1152
	v_fma_f64 v[132:133], v[138:139], v[39:40], v[132:133]
	v_fma_f64 v[39:40], v[136:137], v[39:40], -v[41:42]
	s_wait_loadcnt_dscnt 0x601
	v_mul_f64_e32 v[134:135], v[2:3], v[130:131]
	v_mul_f64_e32 v[130:131], v[4:5], v[130:131]
	v_add_f64_e32 v[34:35], v[36:37], v[34:35]
	v_add_f64_e32 v[36:37], v[43:44], v[140:141]
	s_wait_loadcnt_dscnt 0x500
	v_mul_f64_e32 v[41:42], v[30:31], v[8:9]
	v_mul_f64_e32 v[8:9], v[32:33], v[8:9]
	v_fma_f64 v[43:44], v[4:5], v[128:129], v[134:135]
	v_fma_f64 v[128:129], v[2:3], v[128:129], -v[130:131]
	v_add_f64_e32 v[39:40], v[34:35], v[39:40]
	v_add_f64_e32 v[130:131], v[36:37], v[132:133]
	ds_load_b128 v[2:5], v1 offset:1168
	ds_load_b128 v[34:37], v1 offset:1184
	v_fma_f64 v[32:33], v[32:33], v[6:7], v[41:42]
	v_fma_f64 v[6:7], v[30:31], v[6:7], -v[8:9]
	s_wait_loadcnt_dscnt 0x401
	v_mul_f64_e32 v[132:133], v[2:3], v[12:13]
	v_mul_f64_e32 v[12:13], v[4:5], v[12:13]
	v_add_f64_e32 v[8:9], v[39:40], v[128:129]
	v_add_f64_e32 v[30:31], v[130:131], v[43:44]
	s_wait_loadcnt_dscnt 0x300
	v_mul_f64_e32 v[39:40], v[34:35], v[16:17]
	v_mul_f64_e32 v[16:17], v[36:37], v[16:17]
	v_fma_f64 v[41:42], v[4:5], v[10:11], v[132:133]
	v_fma_f64 v[10:11], v[2:3], v[10:11], -v[12:13]
	v_add_f64_e32 v[12:13], v[8:9], v[6:7]
	v_add_f64_e32 v[30:31], v[30:31], v[32:33]
	ds_load_b128 v[2:5], v1 offset:1200
	ds_load_b128 v[6:9], v1 offset:1216
	v_fma_f64 v[36:37], v[36:37], v[14:15], v[39:40]
	v_fma_f64 v[14:15], v[34:35], v[14:15], -v[16:17]
	s_wait_loadcnt_dscnt 0x201
	v_mul_f64_e32 v[32:33], v[2:3], v[20:21]
	v_mul_f64_e32 v[20:21], v[4:5], v[20:21]
	s_wait_loadcnt_dscnt 0x100
	v_mul_f64_e32 v[16:17], v[6:7], v[24:25]
	v_mul_f64_e32 v[24:25], v[8:9], v[24:25]
	v_add_f64_e32 v[10:11], v[12:13], v[10:11]
	v_add_f64_e32 v[12:13], v[30:31], v[41:42]
	v_fma_f64 v[30:31], v[4:5], v[18:19], v[32:33]
	v_fma_f64 v[18:19], v[2:3], v[18:19], -v[20:21]
	ds_load_b128 v[2:5], v1 offset:1232
	v_fma_f64 v[8:9], v[8:9], v[22:23], v[16:17]
	v_fma_f64 v[6:7], v[6:7], v[22:23], -v[24:25]
	v_add_f64_e32 v[10:11], v[10:11], v[14:15]
	v_add_f64_e32 v[12:13], v[12:13], v[36:37]
	s_wait_loadcnt_dscnt 0x0
	v_mul_f64_e32 v[14:15], v[2:3], v[28:29]
	v_mul_f64_e32 v[20:21], v[4:5], v[28:29]
	s_delay_alu instid0(VALU_DEP_4) | instskip(NEXT) | instid1(VALU_DEP_4)
	v_add_f64_e32 v[10:11], v[10:11], v[18:19]
	v_add_f64_e32 v[12:13], v[12:13], v[30:31]
	s_delay_alu instid0(VALU_DEP_4) | instskip(NEXT) | instid1(VALU_DEP_4)
	v_fma_f64 v[4:5], v[4:5], v[26:27], v[14:15]
	v_fma_f64 v[2:3], v[2:3], v[26:27], -v[20:21]
	s_delay_alu instid0(VALU_DEP_4) | instskip(NEXT) | instid1(VALU_DEP_4)
	v_add_f64_e32 v[6:7], v[10:11], v[6:7]
	v_add_f64_e32 v[8:9], v[12:13], v[8:9]
	s_delay_alu instid0(VALU_DEP_2) | instskip(NEXT) | instid1(VALU_DEP_2)
	v_add_f64_e32 v[2:3], v[6:7], v[2:3]
	v_add_f64_e32 v[4:5], v[8:9], v[4:5]
	s_delay_alu instid0(VALU_DEP_2) | instskip(NEXT) | instid1(VALU_DEP_2)
	v_add_f64_e64 v[2:3], v[124:125], -v[2:3]
	v_add_f64_e64 v[4:5], v[126:127], -v[4:5]
	scratch_store_b128 off, v[2:5], off offset:32
	v_cmpx_ne_u32_e32 0, v0
	s_cbranch_execz .LBB102_247
; %bb.246:
	scratch_load_b128 v[5:8], off, off offset:16
	v_dual_mov_b32 v2, v1 :: v_dual_mov_b32 v3, v1
	v_mov_b32_e32 v4, v1
	scratch_store_b128 off, v[1:4], off offset:16
	s_wait_loadcnt 0x0
	ds_store_b128 v38, v[5:8]
.LBB102_247:
	s_wait_alu 0xfffe
	s_or_b32 exec_lo, exec_lo, s0
	s_wait_storecnt_dscnt 0x0
	s_barrier_signal -1
	s_barrier_wait -1
	global_inv scope:SCOPE_SE
	s_clause 0x8
	scratch_load_b128 v[2:5], off, off offset:32
	scratch_load_b128 v[6:9], off, off offset:48
	;; [unrolled: 1-line block ×9, first 2 shown]
	ds_load_b128 v[42:45], v1 offset:640
	ds_load_b128 v[38:41], v1 offset:656
	s_clause 0x1
	scratch_load_b128 v[124:127], off, off offset:16
	scratch_load_b128 v[128:131], off, off offset:176
	s_and_b32 vcc_lo, exec_lo, s12
	s_wait_loadcnt_dscnt 0xa01
	v_mul_f64_e32 v[132:133], v[44:45], v[4:5]
	v_mul_f64_e32 v[4:5], v[42:43], v[4:5]
	s_wait_loadcnt_dscnt 0x900
	v_mul_f64_e32 v[136:137], v[38:39], v[8:9]
	v_mul_f64_e32 v[8:9], v[40:41], v[8:9]
	s_delay_alu instid0(VALU_DEP_4) | instskip(NEXT) | instid1(VALU_DEP_4)
	v_fma_f64 v[138:139], v[42:43], v[2:3], -v[132:133]
	v_fma_f64 v[140:141], v[44:45], v[2:3], v[4:5]
	ds_load_b128 v[2:5], v1 offset:672
	ds_load_b128 v[132:135], v1 offset:688
	scratch_load_b128 v[42:45], off, off offset:192
	v_fma_f64 v[40:41], v[40:41], v[6:7], v[136:137]
	v_fma_f64 v[38:39], v[38:39], v[6:7], -v[8:9]
	scratch_load_b128 v[6:9], off, off offset:208
	s_wait_loadcnt_dscnt 0xa01
	v_mul_f64_e32 v[142:143], v[2:3], v[12:13]
	v_mul_f64_e32 v[12:13], v[4:5], v[12:13]
	v_add_f64_e32 v[136:137], 0, v[138:139]
	v_add_f64_e32 v[138:139], 0, v[140:141]
	s_wait_loadcnt_dscnt 0x900
	v_mul_f64_e32 v[140:141], v[132:133], v[16:17]
	v_mul_f64_e32 v[16:17], v[134:135], v[16:17]
	v_fma_f64 v[142:143], v[4:5], v[10:11], v[142:143]
	v_fma_f64 v[144:145], v[2:3], v[10:11], -v[12:13]
	ds_load_b128 v[2:5], v1 offset:704
	scratch_load_b128 v[10:13], off, off offset:224
	v_add_f64_e32 v[136:137], v[136:137], v[38:39]
	v_add_f64_e32 v[138:139], v[138:139], v[40:41]
	ds_load_b128 v[38:41], v1 offset:720
	v_fma_f64 v[134:135], v[134:135], v[14:15], v[140:141]
	v_fma_f64 v[132:133], v[132:133], v[14:15], -v[16:17]
	scratch_load_b128 v[14:17], off, off offset:240
	s_wait_loadcnt_dscnt 0xa01
	v_mul_f64_e32 v[146:147], v[2:3], v[20:21]
	v_mul_f64_e32 v[20:21], v[4:5], v[20:21]
	s_wait_loadcnt_dscnt 0x900
	v_mul_f64_e32 v[140:141], v[38:39], v[24:25]
	v_mul_f64_e32 v[24:25], v[40:41], v[24:25]
	v_add_f64_e32 v[136:137], v[136:137], v[144:145]
	v_add_f64_e32 v[138:139], v[138:139], v[142:143]
	v_fma_f64 v[142:143], v[4:5], v[18:19], v[146:147]
	v_fma_f64 v[144:145], v[2:3], v[18:19], -v[20:21]
	ds_load_b128 v[2:5], v1 offset:736
	scratch_load_b128 v[18:21], off, off offset:256
	v_fma_f64 v[40:41], v[40:41], v[22:23], v[140:141]
	v_fma_f64 v[38:39], v[38:39], v[22:23], -v[24:25]
	scratch_load_b128 v[22:25], off, off offset:272
	v_add_f64_e32 v[136:137], v[136:137], v[132:133]
	v_add_f64_e32 v[138:139], v[138:139], v[134:135]
	ds_load_b128 v[132:135], v1 offset:752
	s_wait_loadcnt_dscnt 0xa01
	v_mul_f64_e32 v[146:147], v[2:3], v[28:29]
	v_mul_f64_e32 v[28:29], v[4:5], v[28:29]
	s_wait_loadcnt_dscnt 0x900
	v_mul_f64_e32 v[140:141], v[132:133], v[32:33]
	v_mul_f64_e32 v[32:33], v[134:135], v[32:33]
	v_add_f64_e32 v[136:137], v[136:137], v[144:145]
	v_add_f64_e32 v[138:139], v[138:139], v[142:143]
	v_fma_f64 v[142:143], v[4:5], v[26:27], v[146:147]
	v_fma_f64 v[144:145], v[2:3], v[26:27], -v[28:29]
	ds_load_b128 v[2:5], v1 offset:768
	scratch_load_b128 v[26:29], off, off offset:288
	v_fma_f64 v[134:135], v[134:135], v[30:31], v[140:141]
	v_fma_f64 v[132:133], v[132:133], v[30:31], -v[32:33]
	scratch_load_b128 v[30:33], off, off offset:304
	v_add_f64_e32 v[136:137], v[136:137], v[38:39]
	v_add_f64_e32 v[138:139], v[138:139], v[40:41]
	ds_load_b128 v[38:41], v1 offset:784
	s_wait_loadcnt_dscnt 0xa01
	v_mul_f64_e32 v[146:147], v[2:3], v[36:37]
	v_mul_f64_e32 v[36:37], v[4:5], v[36:37]
	s_wait_loadcnt_dscnt 0x800
	v_mul_f64_e32 v[140:141], v[38:39], v[130:131]
	v_add_f64_e32 v[136:137], v[136:137], v[144:145]
	v_add_f64_e32 v[138:139], v[138:139], v[142:143]
	v_mul_f64_e32 v[142:143], v[40:41], v[130:131]
	v_fma_f64 v[144:145], v[4:5], v[34:35], v[146:147]
	v_fma_f64 v[146:147], v[2:3], v[34:35], -v[36:37]
	ds_load_b128 v[2:5], v1 offset:800
	scratch_load_b128 v[34:37], off, off offset:320
	v_fma_f64 v[140:141], v[40:41], v[128:129], v[140:141]
	v_add_f64_e32 v[136:137], v[136:137], v[132:133]
	v_add_f64_e32 v[134:135], v[138:139], v[134:135]
	ds_load_b128 v[130:133], v1 offset:816
	v_fma_f64 v[128:129], v[38:39], v[128:129], -v[142:143]
	scratch_load_b128 v[38:41], off, off offset:336
	s_wait_loadcnt_dscnt 0x901
	v_mul_f64_e32 v[138:139], v[2:3], v[44:45]
	v_mul_f64_e32 v[44:45], v[4:5], v[44:45]
	s_wait_loadcnt_dscnt 0x800
	v_mul_f64_e32 v[142:143], v[130:131], v[8:9]
	v_mul_f64_e32 v[8:9], v[132:133], v[8:9]
	v_add_f64_e32 v[136:137], v[136:137], v[146:147]
	v_add_f64_e32 v[134:135], v[134:135], v[144:145]
	v_fma_f64 v[138:139], v[4:5], v[42:43], v[138:139]
	v_fma_f64 v[144:145], v[2:3], v[42:43], -v[44:45]
	ds_load_b128 v[2:5], v1 offset:832
	scratch_load_b128 v[42:45], off, off offset:352
	v_fma_f64 v[132:133], v[132:133], v[6:7], v[142:143]
	v_fma_f64 v[130:131], v[130:131], v[6:7], -v[8:9]
	scratch_load_b128 v[6:9], off, off offset:368
	v_add_f64_e32 v[128:129], v[136:137], v[128:129]
	v_add_f64_e32 v[140:141], v[134:135], v[140:141]
	ds_load_b128 v[134:137], v1 offset:848
	s_wait_loadcnt_dscnt 0x901
	v_mul_f64_e32 v[146:147], v[2:3], v[12:13]
	v_mul_f64_e32 v[12:13], v[4:5], v[12:13]
	v_add_f64_e32 v[128:129], v[128:129], v[144:145]
	v_add_f64_e32 v[138:139], v[140:141], v[138:139]
	s_wait_loadcnt_dscnt 0x800
	v_mul_f64_e32 v[140:141], v[134:135], v[16:17]
	v_mul_f64_e32 v[16:17], v[136:137], v[16:17]
	v_fma_f64 v[142:143], v[4:5], v[10:11], v[146:147]
	v_fma_f64 v[144:145], v[2:3], v[10:11], -v[12:13]
	ds_load_b128 v[2:5], v1 offset:864
	scratch_load_b128 v[10:13], off, off offset:384
	v_add_f64_e32 v[146:147], v[128:129], v[130:131]
	v_add_f64_e32 v[132:133], v[138:139], v[132:133]
	ds_load_b128 v[128:131], v1 offset:880
	s_wait_loadcnt_dscnt 0x801
	v_mul_f64_e32 v[138:139], v[2:3], v[20:21]
	v_mul_f64_e32 v[20:21], v[4:5], v[20:21]
	v_fma_f64 v[136:137], v[136:137], v[14:15], v[140:141]
	v_fma_f64 v[134:135], v[134:135], v[14:15], -v[16:17]
	scratch_load_b128 v[14:17], off, off offset:400
	v_add_f64_e32 v[140:141], v[146:147], v[144:145]
	v_add_f64_e32 v[132:133], v[132:133], v[142:143]
	s_wait_loadcnt_dscnt 0x800
	v_mul_f64_e32 v[142:143], v[128:129], v[24:25]
	v_mul_f64_e32 v[24:25], v[130:131], v[24:25]
	v_fma_f64 v[138:139], v[4:5], v[18:19], v[138:139]
	v_fma_f64 v[144:145], v[2:3], v[18:19], -v[20:21]
	ds_load_b128 v[2:5], v1 offset:896
	scratch_load_b128 v[18:21], off, off offset:416
	v_add_f64_e32 v[140:141], v[140:141], v[134:135]
	v_add_f64_e32 v[136:137], v[132:133], v[136:137]
	ds_load_b128 v[132:135], v1 offset:912
	s_wait_loadcnt_dscnt 0x801
	v_mul_f64_e32 v[146:147], v[2:3], v[28:29]
	v_mul_f64_e32 v[28:29], v[4:5], v[28:29]
	v_fma_f64 v[130:131], v[130:131], v[22:23], v[142:143]
	v_fma_f64 v[128:129], v[128:129], v[22:23], -v[24:25]
	scratch_load_b128 v[22:25], off, off offset:432
	;; [unrolled: 18-line block ×4, first 2 shown]
	s_wait_loadcnt_dscnt 0x800
	v_mul_f64_e32 v[140:141], v[132:133], v[8:9]
	v_mul_f64_e32 v[8:9], v[134:135], v[8:9]
	v_add_f64_e32 v[138:139], v[138:139], v[144:145]
	v_add_f64_e32 v[136:137], v[136:137], v[142:143]
	v_fma_f64 v[142:143], v[4:5], v[42:43], v[146:147]
	v_fma_f64 v[144:145], v[2:3], v[42:43], -v[44:45]
	ds_load_b128 v[2:5], v1 offset:992
	scratch_load_b128 v[42:45], off, off offset:512
	v_fma_f64 v[134:135], v[134:135], v[6:7], v[140:141]
	v_fma_f64 v[132:133], v[132:133], v[6:7], -v[8:9]
	scratch_load_b128 v[6:9], off, off offset:528
	v_add_f64_e32 v[138:139], v[138:139], v[128:129]
	v_add_f64_e32 v[136:137], v[136:137], v[130:131]
	ds_load_b128 v[128:131], v1 offset:1008
	s_wait_loadcnt_dscnt 0x901
	v_mul_f64_e32 v[146:147], v[2:3], v[12:13]
	v_mul_f64_e32 v[12:13], v[4:5], v[12:13]
	s_wait_loadcnt_dscnt 0x800
	v_mul_f64_e32 v[140:141], v[128:129], v[16:17]
	v_mul_f64_e32 v[16:17], v[130:131], v[16:17]
	v_add_f64_e32 v[138:139], v[138:139], v[144:145]
	v_add_f64_e32 v[136:137], v[136:137], v[142:143]
	v_fma_f64 v[142:143], v[4:5], v[10:11], v[146:147]
	v_fma_f64 v[144:145], v[2:3], v[10:11], -v[12:13]
	ds_load_b128 v[2:5], v1 offset:1024
	scratch_load_b128 v[10:13], off, off offset:544
	v_fma_f64 v[130:131], v[130:131], v[14:15], v[140:141]
	v_fma_f64 v[128:129], v[128:129], v[14:15], -v[16:17]
	scratch_load_b128 v[14:17], off, off offset:560
	v_add_f64_e32 v[138:139], v[138:139], v[132:133]
	v_add_f64_e32 v[136:137], v[136:137], v[134:135]
	ds_load_b128 v[132:135], v1 offset:1040
	s_wait_loadcnt_dscnt 0x901
	v_mul_f64_e32 v[146:147], v[2:3], v[20:21]
	v_mul_f64_e32 v[20:21], v[4:5], v[20:21]
	;; [unrolled: 18-line block ×4, first 2 shown]
	s_wait_loadcnt_dscnt 0x800
	v_mul_f64_e32 v[140:141], v[132:133], v[40:41]
	v_mul_f64_e32 v[40:41], v[134:135], v[40:41]
	v_add_f64_e32 v[138:139], v[138:139], v[144:145]
	v_add_f64_e32 v[136:137], v[136:137], v[142:143]
	v_fma_f64 v[142:143], v[4:5], v[34:35], v[146:147]
	v_fma_f64 v[144:145], v[2:3], v[34:35], -v[36:37]
	ds_load_b128 v[2:5], v1 offset:1120
	ds_load_b128 v[34:37], v1 offset:1136
	v_fma_f64 v[134:135], v[134:135], v[38:39], v[140:141]
	v_fma_f64 v[38:39], v[132:133], v[38:39], -v[40:41]
	v_add_f64_e32 v[128:129], v[138:139], v[128:129]
	v_add_f64_e32 v[130:131], v[136:137], v[130:131]
	s_wait_loadcnt_dscnt 0x701
	v_mul_f64_e32 v[136:137], v[2:3], v[44:45]
	v_mul_f64_e32 v[44:45], v[4:5], v[44:45]
	s_delay_alu instid0(VALU_DEP_4) | instskip(NEXT) | instid1(VALU_DEP_4)
	v_add_f64_e32 v[40:41], v[128:129], v[144:145]
	v_add_f64_e32 v[128:129], v[130:131], v[142:143]
	s_wait_loadcnt_dscnt 0x600
	v_mul_f64_e32 v[130:131], v[34:35], v[8:9]
	v_mul_f64_e32 v[8:9], v[36:37], v[8:9]
	v_fma_f64 v[132:133], v[4:5], v[42:43], v[136:137]
	v_fma_f64 v[42:43], v[2:3], v[42:43], -v[44:45]
	v_add_f64_e32 v[44:45], v[40:41], v[38:39]
	v_add_f64_e32 v[128:129], v[128:129], v[134:135]
	ds_load_b128 v[2:5], v1 offset:1152
	ds_load_b128 v[38:41], v1 offset:1168
	v_fma_f64 v[36:37], v[36:37], v[6:7], v[130:131]
	v_fma_f64 v[6:7], v[34:35], v[6:7], -v[8:9]
	s_wait_loadcnt_dscnt 0x501
	v_mul_f64_e32 v[134:135], v[2:3], v[12:13]
	v_mul_f64_e32 v[12:13], v[4:5], v[12:13]
	v_add_f64_e32 v[8:9], v[44:45], v[42:43]
	v_add_f64_e32 v[34:35], v[128:129], v[132:133]
	s_wait_loadcnt_dscnt 0x400
	v_mul_f64_e32 v[42:43], v[38:39], v[16:17]
	v_mul_f64_e32 v[16:17], v[40:41], v[16:17]
	v_fma_f64 v[44:45], v[4:5], v[10:11], v[134:135]
	v_fma_f64 v[10:11], v[2:3], v[10:11], -v[12:13]
	v_add_f64_e32 v[12:13], v[8:9], v[6:7]
	v_add_f64_e32 v[34:35], v[34:35], v[36:37]
	ds_load_b128 v[2:5], v1 offset:1184
	ds_load_b128 v[6:9], v1 offset:1200
	v_fma_f64 v[40:41], v[40:41], v[14:15], v[42:43]
	v_fma_f64 v[14:15], v[38:39], v[14:15], -v[16:17]
	s_wait_loadcnt_dscnt 0x301
	v_mul_f64_e32 v[36:37], v[2:3], v[20:21]
	v_mul_f64_e32 v[20:21], v[4:5], v[20:21]
	s_wait_loadcnt_dscnt 0x200
	v_mul_f64_e32 v[16:17], v[6:7], v[24:25]
	v_mul_f64_e32 v[24:25], v[8:9], v[24:25]
	v_add_f64_e32 v[10:11], v[12:13], v[10:11]
	v_add_f64_e32 v[12:13], v[34:35], v[44:45]
	v_fma_f64 v[34:35], v[4:5], v[18:19], v[36:37]
	v_fma_f64 v[18:19], v[2:3], v[18:19], -v[20:21]
	v_fma_f64 v[8:9], v[8:9], v[22:23], v[16:17]
	v_fma_f64 v[6:7], v[6:7], v[22:23], -v[24:25]
	v_add_f64_e32 v[14:15], v[10:11], v[14:15]
	v_add_f64_e32 v[20:21], v[12:13], v[40:41]
	ds_load_b128 v[2:5], v1 offset:1216
	ds_load_b128 v[10:13], v1 offset:1232
	s_wait_loadcnt_dscnt 0x101
	v_mul_f64_e32 v[0:1], v[2:3], v[28:29]
	v_mul_f64_e32 v[28:29], v[4:5], v[28:29]
	v_add_f64_e32 v[14:15], v[14:15], v[18:19]
	v_add_f64_e32 v[16:17], v[20:21], v[34:35]
	s_wait_loadcnt_dscnt 0x0
	v_mul_f64_e32 v[18:19], v[10:11], v[32:33]
	v_mul_f64_e32 v[20:21], v[12:13], v[32:33]
	v_fma_f64 v[0:1], v[4:5], v[26:27], v[0:1]
	v_fma_f64 v[2:3], v[2:3], v[26:27], -v[28:29]
	v_add_f64_e32 v[4:5], v[14:15], v[6:7]
	v_add_f64_e32 v[6:7], v[16:17], v[8:9]
	v_fma_f64 v[8:9], v[12:13], v[30:31], v[18:19]
	v_fma_f64 v[10:11], v[10:11], v[30:31], -v[20:21]
	s_delay_alu instid0(VALU_DEP_4) | instskip(NEXT) | instid1(VALU_DEP_4)
	v_add_f64_e32 v[2:3], v[4:5], v[2:3]
	v_add_f64_e32 v[0:1], v[6:7], v[0:1]
	s_delay_alu instid0(VALU_DEP_2) | instskip(NEXT) | instid1(VALU_DEP_2)
	v_add_f64_e32 v[2:3], v[2:3], v[10:11]
	v_add_f64_e32 v[4:5], v[0:1], v[8:9]
	s_delay_alu instid0(VALU_DEP_2) | instskip(NEXT) | instid1(VALU_DEP_2)
	v_add_f64_e64 v[0:1], v[124:125], -v[2:3]
	v_add_f64_e64 v[2:3], v[126:127], -v[4:5]
	scratch_store_b128 off, v[0:3], off offset:16
	s_wait_alu 0xfffe
	s_cbranch_vccz .LBB102_324
; %bb.248:
	v_mov_b32_e32 v0, 0
	global_load_b32 v1, v0, s[2:3] offset:148
	s_wait_loadcnt 0x0
	v_cmp_ne_u32_e32 vcc_lo, 38, v1
	s_cbranch_vccz .LBB102_250
; %bb.249:
	v_lshlrev_b32_e32 v1, 4, v1
	s_delay_alu instid0(VALU_DEP_1)
	v_add_nc_u32_e32 v9, 16, v1
	s_clause 0x1
	scratch_load_b128 v[1:4], v9, off offset:-16
	scratch_load_b128 v[5:8], off, s45
	s_wait_loadcnt 0x1
	scratch_store_b128 off, v[1:4], s45
	s_wait_loadcnt 0x0
	scratch_store_b128 v9, v[5:8], off offset:-16
.LBB102_250:
	global_load_b32 v0, v0, s[2:3] offset:144
	s_wait_loadcnt 0x0
	v_cmp_eq_u32_e32 vcc_lo, 37, v0
	s_cbranch_vccnz .LBB102_252
; %bb.251:
	v_lshlrev_b32_e32 v0, 4, v0
	s_delay_alu instid0(VALU_DEP_1)
	v_add_nc_u32_e32 v8, 16, v0
	s_clause 0x1
	scratch_load_b128 v[0:3], v8, off offset:-16
	scratch_load_b128 v[4:7], off, s25
	s_wait_loadcnt 0x1
	scratch_store_b128 off, v[0:3], s25
	s_wait_loadcnt 0x0
	scratch_store_b128 v8, v[4:7], off offset:-16
.LBB102_252:
	v_mov_b32_e32 v0, 0
	global_load_b32 v1, v0, s[2:3] offset:140
	s_wait_loadcnt 0x0
	v_cmp_eq_u32_e32 vcc_lo, 36, v1
	s_cbranch_vccnz .LBB102_254
; %bb.253:
	v_lshlrev_b32_e32 v1, 4, v1
	s_delay_alu instid0(VALU_DEP_1)
	v_add_nc_u32_e32 v9, 16, v1
	s_clause 0x1
	scratch_load_b128 v[1:4], v9, off offset:-16
	scratch_load_b128 v[5:8], off, s44
	s_wait_loadcnt 0x1
	scratch_store_b128 off, v[1:4], s44
	s_wait_loadcnt 0x0
	scratch_store_b128 v9, v[5:8], off offset:-16
.LBB102_254:
	global_load_b32 v0, v0, s[2:3] offset:136
	s_wait_loadcnt 0x0
	v_cmp_eq_u32_e32 vcc_lo, 35, v0
	s_cbranch_vccnz .LBB102_256
; %bb.255:
	v_lshlrev_b32_e32 v0, 4, v0
	s_delay_alu instid0(VALU_DEP_1)
	v_add_nc_u32_e32 v8, 16, v0
	s_clause 0x1
	scratch_load_b128 v[0:3], v8, off offset:-16
	scratch_load_b128 v[4:7], off, s24
	s_wait_loadcnt 0x1
	scratch_store_b128 off, v[0:3], s24
	s_wait_loadcnt 0x0
	scratch_store_b128 v8, v[4:7], off offset:-16
.LBB102_256:
	v_mov_b32_e32 v0, 0
	global_load_b32 v1, v0, s[2:3] offset:132
	s_wait_loadcnt 0x0
	v_cmp_eq_u32_e32 vcc_lo, 34, v1
	s_cbranch_vccnz .LBB102_258
; %bb.257:
	v_lshlrev_b32_e32 v1, 4, v1
	s_delay_alu instid0(VALU_DEP_1)
	v_add_nc_u32_e32 v9, 16, v1
	s_clause 0x1
	scratch_load_b128 v[1:4], v9, off offset:-16
	scratch_load_b128 v[5:8], off, s43
	s_wait_loadcnt 0x1
	scratch_store_b128 off, v[1:4], s43
	s_wait_loadcnt 0x0
	scratch_store_b128 v9, v[5:8], off offset:-16
.LBB102_258:
	;; [unrolled: 33-line block ×18, first 2 shown]
	global_load_b32 v0, v0, s[2:3]
	s_wait_loadcnt 0x0
	v_cmp_eq_u32_e32 vcc_lo, 1, v0
	s_cbranch_vccnz .LBB102_324
; %bb.323:
	v_lshlrev_b32_e32 v0, 4, v0
	s_delay_alu instid0(VALU_DEP_1)
	v_add_nc_u32_e32 v8, 16, v0
	scratch_load_b128 v[0:3], v8, off offset:-16
	scratch_load_b128 v[4:7], off, off offset:16
	s_wait_loadcnt 0x1
	scratch_store_b128 off, v[0:3], off offset:16
	s_wait_loadcnt 0x0
	scratch_store_b128 v8, v[4:7], off offset:-16
.LBB102_324:
	scratch_load_b128 v[0:3], off, off offset:16
	s_wait_loadcnt 0x0
	flat_store_b128 v[46:47], v[0:3]
	scratch_load_b128 v[0:3], off, s47
	s_wait_loadcnt 0x0
	flat_store_b128 v[48:49], v[0:3]
	scratch_load_b128 v[0:3], off, s46
	;; [unrolled: 3-line block ×38, first 2 shown]
	s_wait_loadcnt 0x0
	flat_store_b128 v[122:123], v[0:3]
	s_nop 0
	s_sendmsg sendmsg(MSG_DEALLOC_VGPRS)
	s_endpgm
	.section	.rodata,"a",@progbits
	.p2align	6, 0x0
	.amdhsa_kernel _ZN9rocsolver6v33100L18getri_kernel_smallILi39E19rocblas_complex_numIdEPKPS3_EEvT1_iilPiilS8_bb
		.amdhsa_group_segment_fixed_size 1256
		.amdhsa_private_segment_fixed_size 656
		.amdhsa_kernarg_size 60
		.amdhsa_user_sgpr_count 2
		.amdhsa_user_sgpr_dispatch_ptr 0
		.amdhsa_user_sgpr_queue_ptr 0
		.amdhsa_user_sgpr_kernarg_segment_ptr 1
		.amdhsa_user_sgpr_dispatch_id 0
		.amdhsa_user_sgpr_private_segment_size 0
		.amdhsa_wavefront_size32 1
		.amdhsa_uses_dynamic_stack 0
		.amdhsa_enable_private_segment 1
		.amdhsa_system_sgpr_workgroup_id_x 1
		.amdhsa_system_sgpr_workgroup_id_y 0
		.amdhsa_system_sgpr_workgroup_id_z 0
		.amdhsa_system_sgpr_workgroup_info 0
		.amdhsa_system_vgpr_workitem_id 0
		.amdhsa_next_free_vgpr 152
		.amdhsa_next_free_sgpr 51
		.amdhsa_reserve_vcc 1
		.amdhsa_float_round_mode_32 0
		.amdhsa_float_round_mode_16_64 0
		.amdhsa_float_denorm_mode_32 3
		.amdhsa_float_denorm_mode_16_64 3
		.amdhsa_fp16_overflow 0
		.amdhsa_workgroup_processor_mode 1
		.amdhsa_memory_ordered 1
		.amdhsa_forward_progress 1
		.amdhsa_inst_pref_size 255
		.amdhsa_round_robin_scheduling 0
		.amdhsa_exception_fp_ieee_invalid_op 0
		.amdhsa_exception_fp_denorm_src 0
		.amdhsa_exception_fp_ieee_div_zero 0
		.amdhsa_exception_fp_ieee_overflow 0
		.amdhsa_exception_fp_ieee_underflow 0
		.amdhsa_exception_fp_ieee_inexact 0
		.amdhsa_exception_int_div_zero 0
	.end_amdhsa_kernel
	.section	.text._ZN9rocsolver6v33100L18getri_kernel_smallILi39E19rocblas_complex_numIdEPKPS3_EEvT1_iilPiilS8_bb,"axG",@progbits,_ZN9rocsolver6v33100L18getri_kernel_smallILi39E19rocblas_complex_numIdEPKPS3_EEvT1_iilPiilS8_bb,comdat
.Lfunc_end102:
	.size	_ZN9rocsolver6v33100L18getri_kernel_smallILi39E19rocblas_complex_numIdEPKPS3_EEvT1_iilPiilS8_bb, .Lfunc_end102-_ZN9rocsolver6v33100L18getri_kernel_smallILi39E19rocblas_complex_numIdEPKPS3_EEvT1_iilPiilS8_bb
                                        ; -- End function
	.set _ZN9rocsolver6v33100L18getri_kernel_smallILi39E19rocblas_complex_numIdEPKPS3_EEvT1_iilPiilS8_bb.num_vgpr, 152
	.set _ZN9rocsolver6v33100L18getri_kernel_smallILi39E19rocblas_complex_numIdEPKPS3_EEvT1_iilPiilS8_bb.num_agpr, 0
	.set _ZN9rocsolver6v33100L18getri_kernel_smallILi39E19rocblas_complex_numIdEPKPS3_EEvT1_iilPiilS8_bb.numbered_sgpr, 51
	.set _ZN9rocsolver6v33100L18getri_kernel_smallILi39E19rocblas_complex_numIdEPKPS3_EEvT1_iilPiilS8_bb.num_named_barrier, 0
	.set _ZN9rocsolver6v33100L18getri_kernel_smallILi39E19rocblas_complex_numIdEPKPS3_EEvT1_iilPiilS8_bb.private_seg_size, 656
	.set _ZN9rocsolver6v33100L18getri_kernel_smallILi39E19rocblas_complex_numIdEPKPS3_EEvT1_iilPiilS8_bb.uses_vcc, 1
	.set _ZN9rocsolver6v33100L18getri_kernel_smallILi39E19rocblas_complex_numIdEPKPS3_EEvT1_iilPiilS8_bb.uses_flat_scratch, 1
	.set _ZN9rocsolver6v33100L18getri_kernel_smallILi39E19rocblas_complex_numIdEPKPS3_EEvT1_iilPiilS8_bb.has_dyn_sized_stack, 0
	.set _ZN9rocsolver6v33100L18getri_kernel_smallILi39E19rocblas_complex_numIdEPKPS3_EEvT1_iilPiilS8_bb.has_recursion, 0
	.set _ZN9rocsolver6v33100L18getri_kernel_smallILi39E19rocblas_complex_numIdEPKPS3_EEvT1_iilPiilS8_bb.has_indirect_call, 0
	.section	.AMDGPU.csdata,"",@progbits
; Kernel info:
; codeLenInByte = 68020
; TotalNumSgprs: 53
; NumVgprs: 152
; ScratchSize: 656
; MemoryBound: 0
; FloatMode: 240
; IeeeMode: 1
; LDSByteSize: 1256 bytes/workgroup (compile time only)
; SGPRBlocks: 0
; VGPRBlocks: 18
; NumSGPRsForWavesPerEU: 53
; NumVGPRsForWavesPerEU: 152
; Occupancy: 9
; WaveLimiterHint : 1
; COMPUTE_PGM_RSRC2:SCRATCH_EN: 1
; COMPUTE_PGM_RSRC2:USER_SGPR: 2
; COMPUTE_PGM_RSRC2:TRAP_HANDLER: 0
; COMPUTE_PGM_RSRC2:TGID_X_EN: 1
; COMPUTE_PGM_RSRC2:TGID_Y_EN: 0
; COMPUTE_PGM_RSRC2:TGID_Z_EN: 0
; COMPUTE_PGM_RSRC2:TIDIG_COMP_CNT: 0
	.section	.text._ZN9rocsolver6v33100L18getri_kernel_smallILi40E19rocblas_complex_numIdEPKPS3_EEvT1_iilPiilS8_bb,"axG",@progbits,_ZN9rocsolver6v33100L18getri_kernel_smallILi40E19rocblas_complex_numIdEPKPS3_EEvT1_iilPiilS8_bb,comdat
	.globl	_ZN9rocsolver6v33100L18getri_kernel_smallILi40E19rocblas_complex_numIdEPKPS3_EEvT1_iilPiilS8_bb ; -- Begin function _ZN9rocsolver6v33100L18getri_kernel_smallILi40E19rocblas_complex_numIdEPKPS3_EEvT1_iilPiilS8_bb
	.p2align	8
	.type	_ZN9rocsolver6v33100L18getri_kernel_smallILi40E19rocblas_complex_numIdEPKPS3_EEvT1_iilPiilS8_bb,@function
_ZN9rocsolver6v33100L18getri_kernel_smallILi40E19rocblas_complex_numIdEPKPS3_EEvT1_iilPiilS8_bb: ; @_ZN9rocsolver6v33100L18getri_kernel_smallILi40E19rocblas_complex_numIdEPKPS3_EEvT1_iilPiilS8_bb
; %bb.0:
	s_mov_b32 s2, exec_lo
	v_cmpx_gt_u32_e32 40, v0
	s_cbranch_execz .LBB103_174
; %bb.1:
	s_clause 0x1
	s_load_b32 s13, s[0:1], 0x38
	s_load_b64 s[2:3], s[0:1], 0x0
	s_mov_b32 s8, ttmp9
	s_load_b128 s[4:7], s[0:1], 0x28
	s_wait_kmcnt 0x0
	s_bitcmp1_b32 s13, 8
	s_cselect_b32 s12, -1, 0
	s_ashr_i32 s9, ttmp9, 31
	s_delay_alu instid0(SALU_CYCLE_1) | instskip(NEXT) | instid1(SALU_CYCLE_1)
	s_lshl_b64 s[10:11], s[8:9], 3
	s_add_nc_u64 s[2:3], s[2:3], s[10:11]
	s_load_b64 s[10:11], s[2:3], 0x0
	s_bfe_u32 s2, s13, 0x10008
	s_delay_alu instid0(SALU_CYCLE_1)
	s_cmp_eq_u32 s2, 0
                                        ; implicit-def: $sgpr2_sgpr3
	s_cbranch_scc1 .LBB103_3
; %bb.2:
	s_load_b96 s[16:18], s[0:1], 0x18
	s_mul_u64 s[2:3], s[4:5], s[8:9]
	s_delay_alu instid0(SALU_CYCLE_1)
	s_lshl_b64 s[2:3], s[2:3], 2
	s_wait_kmcnt 0x0
	s_ashr_i32 s5, s18, 31
	s_mov_b32 s4, s18
	s_add_nc_u64 s[2:3], s[16:17], s[2:3]
	s_lshl_b64 s[4:5], s[4:5], 2
	s_delay_alu instid0(SALU_CYCLE_1)
	s_add_nc_u64 s[2:3], s[2:3], s[4:5]
.LBB103_3:
	s_clause 0x1
	s_load_b64 s[4:5], s[0:1], 0x8
	s_load_b32 s49, s[0:1], 0x38
	v_lshlrev_b32_e32 v13, 4, v0
	s_mov_b32 s48, 32
	s_mov_b32 s47, 48
	;; [unrolled: 1-line block ×3, first 2 shown]
	s_movk_i32 s28, 0x50
	s_wait_kmcnt 0x0
	s_ashr_i32 s1, s4, 31
	s_mov_b32 s0, s4
	v_add3_u32 v5, s5, s5, v0
	s_lshl_b64 s[0:1], s[0:1], 4
	s_delay_alu instid0(SALU_CYCLE_1)
	s_add_nc_u64 s[0:1], s[10:11], s[0:1]
	s_ashr_i32 s11, s5, 31
	v_add_co_u32 v46, s4, s0, v13
	s_wait_alu 0xf1ff
	v_add_co_ci_u32_e64 v47, null, s1, 0, s4
	s_mov_b32 s10, s5
	v_ashrrev_i32_e32 v6, 31, v5
	s_lshl_b64 s[10:11], s[10:11], 4
	flat_load_b128 v[1:4], v[46:47]
	v_add_co_u32 v48, vcc_lo, v46, s10
	s_delay_alu instid0(VALU_DEP_1) | instskip(SKIP_2) | instid1(VALU_DEP_2)
	v_add_co_ci_u32_e64 v49, null, s11, v47, vcc_lo
	v_lshlrev_b64_e32 v[6:7], 4, v[5:6]
	v_add_nc_u32_e32 v5, s5, v5
	v_add_co_u32 v50, vcc_lo, s0, v6
	s_wait_alu 0xfffd
	s_delay_alu instid0(VALU_DEP_3) | instskip(NEXT) | instid1(VALU_DEP_3)
	v_add_co_ci_u32_e64 v51, null, s1, v7, vcc_lo
	v_ashrrev_i32_e32 v6, 31, v5
	s_delay_alu instid0(VALU_DEP_1) | instskip(SKIP_1) | instid1(VALU_DEP_2)
	v_lshlrev_b64_e32 v[6:7], 4, v[5:6]
	v_add_nc_u32_e32 v5, s5, v5
	v_add_co_u32 v52, vcc_lo, s0, v6
	s_wait_alu 0xfffd
	s_delay_alu instid0(VALU_DEP_3) | instskip(NEXT) | instid1(VALU_DEP_3)
	v_add_co_ci_u32_e64 v53, null, s1, v7, vcc_lo
	v_ashrrev_i32_e32 v6, 31, v5
	s_delay_alu instid0(VALU_DEP_1) | instskip(SKIP_1) | instid1(VALU_DEP_2)
	;; [unrolled: 8-line block ×20, first 2 shown]
	v_lshlrev_b64_e32 v[6:7], 4, v[5:6]
	v_add_nc_u32_e32 v5, s5, v5
	v_add_co_u32 v90, vcc_lo, s0, v6
	s_wait_alu 0xfffd
	s_delay_alu instid0(VALU_DEP_3) | instskip(NEXT) | instid1(VALU_DEP_3)
	v_add_co_ci_u32_e64 v91, null, s1, v7, vcc_lo
	v_ashrrev_i32_e32 v6, 31, v5
	s_delay_alu instid0(VALU_DEP_1)
	v_lshlrev_b64_e32 v[6:7], 4, v[5:6]
	s_wait_loadcnt_dscnt 0x0
	scratch_store_b128 off, v[1:4], off offset:16
	flat_load_b128 v[1:4], v[48:49]
	v_add_nc_u32_e32 v5, s5, v5
	v_add_co_u32 v92, vcc_lo, s0, v6
	s_wait_alu 0xfffd
	v_add_co_ci_u32_e64 v93, null, s1, v7, vcc_lo
	s_delay_alu instid0(VALU_DEP_3) | instskip(NEXT) | instid1(VALU_DEP_1)
	v_ashrrev_i32_e32 v6, 31, v5
	v_lshlrev_b64_e32 v[6:7], 4, v[5:6]
	v_add_nc_u32_e32 v5, s5, v5
	s_delay_alu instid0(VALU_DEP_2) | instskip(SKIP_1) | instid1(VALU_DEP_3)
	v_add_co_u32 v94, vcc_lo, s0, v6
	s_wait_alu 0xfffd
	v_add_co_ci_u32_e64 v95, null, s1, v7, vcc_lo
	s_delay_alu instid0(VALU_DEP_3) | instskip(NEXT) | instid1(VALU_DEP_1)
	v_ashrrev_i32_e32 v6, 31, v5
	v_lshlrev_b64_e32 v[6:7], 4, v[5:6]
	v_add_nc_u32_e32 v5, s5, v5
	s_delay_alu instid0(VALU_DEP_2) | instskip(SKIP_1) | instid1(VALU_DEP_3)
	;; [unrolled: 8-line block ×15, first 2 shown]
	v_add_co_u32 v122, vcc_lo, s0, v6
	s_wait_alu 0xfffd
	v_add_co_ci_u32_e64 v123, null, s1, v7, vcc_lo
	s_delay_alu instid0(VALU_DEP_3) | instskip(NEXT) | instid1(VALU_DEP_1)
	v_ashrrev_i32_e32 v6, 31, v5
	v_lshlrev_b64_e32 v[5:6], 4, v[5:6]
	s_delay_alu instid0(VALU_DEP_1) | instskip(SKIP_1) | instid1(VALU_DEP_2)
	v_add_co_u32 v124, vcc_lo, s0, v5
	s_wait_alu 0xfffd
	v_add_co_ci_u32_e64 v125, null, s1, v6, vcc_lo
	s_movk_i32 s0, 0x50
	s_movk_i32 s1, 0x70
	s_wait_alu 0xfffe
	s_add_co_i32 s4, s0, 16
	s_movk_i32 s0, 0x60
	s_add_co_i32 s5, s1, 16
	s_wait_alu 0xfffe
	s_add_co_i32 s29, s0, 16
	s_movk_i32 s0, 0x80
	s_movk_i32 s1, 0x90
	s_wait_alu 0xfffe
	s_add_co_i32 s30, s0, 16
	s_add_co_i32 s10, s1, 16
	s_movk_i32 s0, 0xa0
	s_movk_i32 s1, 0xb0
	s_wait_alu 0xfffe
	s_add_co_i32 s31, s0, 16
	;; [unrolled: 5-line block ×16, first 2 shown]
	s_add_co_i32 s26, s1, 16
	s_bitcmp0_b32 s49, 0
	s_mov_b32 s1, -1
	s_wait_loadcnt_dscnt 0x0
	scratch_store_b128 off, v[1:4], off offset:32
	flat_load_b128 v[1:4], v[50:51]
	s_wait_loadcnt_dscnt 0x0
	scratch_store_b128 off, v[1:4], off offset:48
	flat_load_b128 v[1:4], v[52:53]
	;; [unrolled: 3-line block ×38, first 2 shown]
	s_wait_loadcnt_dscnt 0x0
	scratch_store_b128 off, v[1:4], off offset:640
	s_cbranch_scc1 .LBB103_172
; %bb.4:
	v_cmp_eq_u32_e64 s0, 0, v0
	s_and_saveexec_b32 s1, s0
; %bb.5:
	v_mov_b32_e32 v1, 0
	ds_store_b32 v1, v1 offset:1280
; %bb.6:
	s_wait_alu 0xfffe
	s_or_b32 exec_lo, exec_lo, s1
	s_wait_storecnt_dscnt 0x0
	s_barrier_signal -1
	s_barrier_wait -1
	global_inv scope:SCOPE_SE
	scratch_load_b128 v[1:4], v13, off offset:16
	s_wait_loadcnt 0x0
	v_cmp_eq_f64_e32 vcc_lo, 0, v[1:2]
	v_cmp_eq_f64_e64 s1, 0, v[3:4]
	s_and_b32 s1, vcc_lo, s1
	s_wait_alu 0xfffe
	s_and_saveexec_b32 s49, s1
	s_cbranch_execz .LBB103_10
; %bb.7:
	v_mov_b32_e32 v1, 0
	s_mov_b32 s50, 0
	ds_load_b32 v2, v1 offset:1280
	s_wait_dscnt 0x0
	v_readfirstlane_b32 s1, v2
	v_add_nc_u32_e32 v2, 1, v0
	s_cmp_eq_u32 s1, 0
	s_delay_alu instid0(VALU_DEP_1) | instskip(SKIP_1) | instid1(SALU_CYCLE_1)
	v_cmp_gt_i32_e32 vcc_lo, s1, v2
	s_cselect_b32 s51, -1, 0
	s_or_b32 s51, s51, vcc_lo
	s_delay_alu instid0(SALU_CYCLE_1)
	s_and_b32 exec_lo, exec_lo, s51
	s_cbranch_execz .LBB103_10
; %bb.8:
	v_mov_b32_e32 v3, s1
.LBB103_9:                              ; =>This Inner Loop Header: Depth=1
	ds_cmpstore_rtn_b32 v3, v1, v2, v3 offset:1280
	s_wait_dscnt 0x0
	v_cmp_ne_u32_e32 vcc_lo, 0, v3
	v_cmp_le_i32_e64 s1, v3, v2
	s_and_b32 s1, vcc_lo, s1
	s_wait_alu 0xfffe
	s_and_b32 s1, exec_lo, s1
	s_wait_alu 0xfffe
	s_or_b32 s50, s1, s50
	s_delay_alu instid0(SALU_CYCLE_1)
	s_and_not1_b32 exec_lo, exec_lo, s50
	s_cbranch_execnz .LBB103_9
.LBB103_10:
	s_or_b32 exec_lo, exec_lo, s49
	v_mov_b32_e32 v1, 0
	s_barrier_signal -1
	s_barrier_wait -1
	global_inv scope:SCOPE_SE
	ds_load_b32 v2, v1 offset:1280
	s_and_saveexec_b32 s1, s0
	s_cbranch_execz .LBB103_12
; %bb.11:
	s_lshl_b64 s[50:51], s[8:9], 2
	s_delay_alu instid0(SALU_CYCLE_1)
	s_add_nc_u64 s[50:51], s[6:7], s[50:51]
	s_wait_dscnt 0x0
	global_store_b32 v1, v2, s[50:51]
.LBB103_12:
	s_wait_alu 0xfffe
	s_or_b32 exec_lo, exec_lo, s1
	s_wait_dscnt 0x0
	v_cmp_ne_u32_e32 vcc_lo, 0, v2
	s_mov_b32 s1, 0
	s_cbranch_vccnz .LBB103_172
; %bb.13:
	v_add_nc_u32_e32 v14, 16, v13
                                        ; implicit-def: $vgpr1_vgpr2
                                        ; implicit-def: $vgpr9_vgpr10
	scratch_load_b128 v[5:8], v14, off
	s_wait_loadcnt 0x0
	v_cmp_ngt_f64_e64 s1, |v[5:6]|, |v[7:8]|
	s_wait_alu 0xfffe
	s_and_saveexec_b32 s49, s1
	s_delay_alu instid0(SALU_CYCLE_1)
	s_xor_b32 s1, exec_lo, s49
	s_cbranch_execz .LBB103_15
; %bb.14:
	v_div_scale_f64 v[1:2], null, v[7:8], v[7:8], v[5:6]
	v_div_scale_f64 v[11:12], vcc_lo, v[5:6], v[7:8], v[5:6]
	s_delay_alu instid0(VALU_DEP_2) | instskip(NEXT) | instid1(TRANS32_DEP_1)
	v_rcp_f64_e32 v[3:4], v[1:2]
	v_fma_f64 v[9:10], -v[1:2], v[3:4], 1.0
	s_delay_alu instid0(VALU_DEP_1) | instskip(NEXT) | instid1(VALU_DEP_1)
	v_fma_f64 v[3:4], v[3:4], v[9:10], v[3:4]
	v_fma_f64 v[9:10], -v[1:2], v[3:4], 1.0
	s_delay_alu instid0(VALU_DEP_1) | instskip(NEXT) | instid1(VALU_DEP_1)
	v_fma_f64 v[3:4], v[3:4], v[9:10], v[3:4]
	v_mul_f64_e32 v[9:10], v[11:12], v[3:4]
	s_delay_alu instid0(VALU_DEP_1) | instskip(SKIP_1) | instid1(VALU_DEP_1)
	v_fma_f64 v[1:2], -v[1:2], v[9:10], v[11:12]
	s_wait_alu 0xfffd
	v_div_fmas_f64 v[1:2], v[1:2], v[3:4], v[9:10]
	s_delay_alu instid0(VALU_DEP_1) | instskip(NEXT) | instid1(VALU_DEP_1)
	v_div_fixup_f64 v[1:2], v[1:2], v[7:8], v[5:6]
	v_fma_f64 v[3:4], v[5:6], v[1:2], v[7:8]
	s_delay_alu instid0(VALU_DEP_1) | instskip(SKIP_1) | instid1(VALU_DEP_2)
	v_div_scale_f64 v[5:6], null, v[3:4], v[3:4], 1.0
	v_div_scale_f64 v[11:12], vcc_lo, 1.0, v[3:4], 1.0
	v_rcp_f64_e32 v[7:8], v[5:6]
	s_delay_alu instid0(TRANS32_DEP_1) | instskip(NEXT) | instid1(VALU_DEP_1)
	v_fma_f64 v[9:10], -v[5:6], v[7:8], 1.0
	v_fma_f64 v[7:8], v[7:8], v[9:10], v[7:8]
	s_delay_alu instid0(VALU_DEP_1) | instskip(NEXT) | instid1(VALU_DEP_1)
	v_fma_f64 v[9:10], -v[5:6], v[7:8], 1.0
	v_fma_f64 v[7:8], v[7:8], v[9:10], v[7:8]
	s_delay_alu instid0(VALU_DEP_1) | instskip(NEXT) | instid1(VALU_DEP_1)
	v_mul_f64_e32 v[9:10], v[11:12], v[7:8]
	v_fma_f64 v[5:6], -v[5:6], v[9:10], v[11:12]
	s_wait_alu 0xfffd
	s_delay_alu instid0(VALU_DEP_1) | instskip(NEXT) | instid1(VALU_DEP_1)
	v_div_fmas_f64 v[5:6], v[5:6], v[7:8], v[9:10]
	v_div_fixup_f64 v[3:4], v[5:6], v[3:4], 1.0
                                        ; implicit-def: $vgpr5_vgpr6
	s_delay_alu instid0(VALU_DEP_1) | instskip(SKIP_1) | instid1(VALU_DEP_2)
	v_mul_f64_e32 v[1:2], v[1:2], v[3:4]
	v_xor_b32_e32 v4, 0x80000000, v4
	v_xor_b32_e32 v10, 0x80000000, v2
	s_delay_alu instid0(VALU_DEP_3)
	v_mov_b32_e32 v9, v1
.LBB103_15:
	s_wait_alu 0xfffe
	s_and_not1_saveexec_b32 s1, s1
	s_cbranch_execz .LBB103_17
; %bb.16:
	v_div_scale_f64 v[1:2], null, v[5:6], v[5:6], v[7:8]
	v_div_scale_f64 v[11:12], vcc_lo, v[7:8], v[5:6], v[7:8]
	s_delay_alu instid0(VALU_DEP_2) | instskip(NEXT) | instid1(TRANS32_DEP_1)
	v_rcp_f64_e32 v[3:4], v[1:2]
	v_fma_f64 v[9:10], -v[1:2], v[3:4], 1.0
	s_delay_alu instid0(VALU_DEP_1) | instskip(NEXT) | instid1(VALU_DEP_1)
	v_fma_f64 v[3:4], v[3:4], v[9:10], v[3:4]
	v_fma_f64 v[9:10], -v[1:2], v[3:4], 1.0
	s_delay_alu instid0(VALU_DEP_1) | instskip(NEXT) | instid1(VALU_DEP_1)
	v_fma_f64 v[3:4], v[3:4], v[9:10], v[3:4]
	v_mul_f64_e32 v[9:10], v[11:12], v[3:4]
	s_delay_alu instid0(VALU_DEP_1) | instskip(SKIP_1) | instid1(VALU_DEP_1)
	v_fma_f64 v[1:2], -v[1:2], v[9:10], v[11:12]
	s_wait_alu 0xfffd
	v_div_fmas_f64 v[1:2], v[1:2], v[3:4], v[9:10]
	s_delay_alu instid0(VALU_DEP_1) | instskip(NEXT) | instid1(VALU_DEP_1)
	v_div_fixup_f64 v[3:4], v[1:2], v[5:6], v[7:8]
	v_fma_f64 v[1:2], v[7:8], v[3:4], v[5:6]
	s_delay_alu instid0(VALU_DEP_1) | instskip(NEXT) | instid1(VALU_DEP_1)
	v_div_scale_f64 v[5:6], null, v[1:2], v[1:2], 1.0
	v_rcp_f64_e32 v[7:8], v[5:6]
	s_delay_alu instid0(TRANS32_DEP_1) | instskip(NEXT) | instid1(VALU_DEP_1)
	v_fma_f64 v[9:10], -v[5:6], v[7:8], 1.0
	v_fma_f64 v[7:8], v[7:8], v[9:10], v[7:8]
	s_delay_alu instid0(VALU_DEP_1) | instskip(NEXT) | instid1(VALU_DEP_1)
	v_fma_f64 v[9:10], -v[5:6], v[7:8], 1.0
	v_fma_f64 v[7:8], v[7:8], v[9:10], v[7:8]
	v_div_scale_f64 v[9:10], vcc_lo, 1.0, v[1:2], 1.0
	s_delay_alu instid0(VALU_DEP_1) | instskip(NEXT) | instid1(VALU_DEP_1)
	v_mul_f64_e32 v[11:12], v[9:10], v[7:8]
	v_fma_f64 v[5:6], -v[5:6], v[11:12], v[9:10]
	s_wait_alu 0xfffd
	s_delay_alu instid0(VALU_DEP_1) | instskip(NEXT) | instid1(VALU_DEP_1)
	v_div_fmas_f64 v[5:6], v[5:6], v[7:8], v[11:12]
	v_div_fixup_f64 v[1:2], v[5:6], v[1:2], 1.0
	s_delay_alu instid0(VALU_DEP_1)
	v_mul_f64_e64 v[3:4], v[3:4], -v[1:2]
	v_xor_b32_e32 v10, 0x80000000, v2
	v_mov_b32_e32 v9, v1
.LBB103_17:
	s_wait_alu 0xfffe
	s_or_b32 exec_lo, exec_lo, s1
	scratch_store_b128 v14, v[1:4], off
	scratch_load_b128 v[15:18], off, s48
	v_xor_b32_e32 v12, 0x80000000, v4
	v_mov_b32_e32 v11, v3
	v_add_nc_u32_e32 v5, 0x280, v13
	ds_store_b128 v13, v[9:12]
	s_wait_loadcnt 0x0
	ds_store_b128 v13, v[15:18] offset:640
	s_wait_storecnt_dscnt 0x0
	s_barrier_signal -1
	s_barrier_wait -1
	global_inv scope:SCOPE_SE
	s_and_saveexec_b32 s1, s0
	s_cbranch_execz .LBB103_19
; %bb.18:
	scratch_load_b128 v[1:4], v14, off
	ds_load_b128 v[6:9], v5
	v_mov_b32_e32 v10, 0
	ds_load_b128 v[15:18], v10 offset:16
	s_wait_loadcnt_dscnt 0x1
	v_mul_f64_e32 v[10:11], v[6:7], v[3:4]
	v_mul_f64_e32 v[3:4], v[8:9], v[3:4]
	s_delay_alu instid0(VALU_DEP_2) | instskip(NEXT) | instid1(VALU_DEP_2)
	v_fma_f64 v[8:9], v[8:9], v[1:2], v[10:11]
	v_fma_f64 v[1:2], v[6:7], v[1:2], -v[3:4]
	s_delay_alu instid0(VALU_DEP_2) | instskip(NEXT) | instid1(VALU_DEP_2)
	v_add_f64_e32 v[3:4], 0, v[8:9]
	v_add_f64_e32 v[1:2], 0, v[1:2]
	s_wait_dscnt 0x0
	s_delay_alu instid0(VALU_DEP_2) | instskip(NEXT) | instid1(VALU_DEP_2)
	v_mul_f64_e32 v[6:7], v[3:4], v[17:18]
	v_mul_f64_e32 v[8:9], v[1:2], v[17:18]
	s_delay_alu instid0(VALU_DEP_2) | instskip(NEXT) | instid1(VALU_DEP_2)
	v_fma_f64 v[1:2], v[1:2], v[15:16], -v[6:7]
	v_fma_f64 v[3:4], v[3:4], v[15:16], v[8:9]
	scratch_store_b128 off, v[1:4], off offset:32
.LBB103_19:
	s_wait_alu 0xfffe
	s_or_b32 exec_lo, exec_lo, s1
	s_wait_loadcnt 0x0
	s_wait_storecnt 0x0
	s_barrier_signal -1
	s_barrier_wait -1
	global_inv scope:SCOPE_SE
	scratch_load_b128 v[1:4], off, s47
	s_mov_b32 s1, exec_lo
	s_wait_loadcnt 0x0
	ds_store_b128 v5, v[1:4]
	s_wait_dscnt 0x0
	s_barrier_signal -1
	s_barrier_wait -1
	global_inv scope:SCOPE_SE
	v_cmpx_gt_u32_e32 2, v0
	s_cbranch_execz .LBB103_23
; %bb.20:
	scratch_load_b128 v[1:4], v14, off
	ds_load_b128 v[6:9], v5
	s_wait_loadcnt_dscnt 0x0
	v_mul_f64_e32 v[10:11], v[8:9], v[3:4]
	v_mul_f64_e32 v[3:4], v[6:7], v[3:4]
	s_delay_alu instid0(VALU_DEP_2) | instskip(NEXT) | instid1(VALU_DEP_2)
	v_fma_f64 v[6:7], v[6:7], v[1:2], -v[10:11]
	v_fma_f64 v[3:4], v[8:9], v[1:2], v[3:4]
	s_delay_alu instid0(VALU_DEP_2) | instskip(NEXT) | instid1(VALU_DEP_2)
	v_add_f64_e32 v[1:2], 0, v[6:7]
	v_add_f64_e32 v[3:4], 0, v[3:4]
	s_and_saveexec_b32 s49, s0
	s_cbranch_execz .LBB103_22
; %bb.21:
	scratch_load_b128 v[6:9], off, off offset:32
	v_mov_b32_e32 v10, 0
	ds_load_b128 v[15:18], v10 offset:656
	s_wait_loadcnt_dscnt 0x0
	v_mul_f64_e32 v[10:11], v[15:16], v[8:9]
	v_mul_f64_e32 v[8:9], v[17:18], v[8:9]
	s_delay_alu instid0(VALU_DEP_2) | instskip(NEXT) | instid1(VALU_DEP_2)
	v_fma_f64 v[10:11], v[17:18], v[6:7], v[10:11]
	v_fma_f64 v[6:7], v[15:16], v[6:7], -v[8:9]
	s_delay_alu instid0(VALU_DEP_2) | instskip(NEXT) | instid1(VALU_DEP_2)
	v_add_f64_e32 v[3:4], v[3:4], v[10:11]
	v_add_f64_e32 v[1:2], v[1:2], v[6:7]
.LBB103_22:
	s_or_b32 exec_lo, exec_lo, s49
	v_mov_b32_e32 v6, 0
	ds_load_b128 v[6:9], v6 offset:32
	s_wait_dscnt 0x0
	v_mul_f64_e32 v[10:11], v[3:4], v[8:9]
	v_mul_f64_e32 v[8:9], v[1:2], v[8:9]
	s_delay_alu instid0(VALU_DEP_2) | instskip(NEXT) | instid1(VALU_DEP_2)
	v_fma_f64 v[1:2], v[1:2], v[6:7], -v[10:11]
	v_fma_f64 v[3:4], v[3:4], v[6:7], v[8:9]
	scratch_store_b128 off, v[1:4], off offset:48
.LBB103_23:
	s_wait_alu 0xfffe
	s_or_b32 exec_lo, exec_lo, s1
	s_wait_loadcnt 0x0
	s_wait_storecnt 0x0
	s_barrier_signal -1
	s_barrier_wait -1
	global_inv scope:SCOPE_SE
	scratch_load_b128 v[1:4], off, s27
	v_add_nc_u32_e32 v6, -1, v0
	s_mov_b32 s0, exec_lo
	s_wait_loadcnt 0x0
	ds_store_b128 v5, v[1:4]
	s_wait_dscnt 0x0
	s_barrier_signal -1
	s_barrier_wait -1
	global_inv scope:SCOPE_SE
	v_cmpx_gt_u32_e32 3, v0
	s_cbranch_execz .LBB103_27
; %bb.24:
	v_dual_mov_b32 v1, 0 :: v_dual_add_nc_u32 v8, 0x280, v13
	v_mov_b32_e32 v3, 0
	v_dual_mov_b32 v2, 0 :: v_dual_add_nc_u32 v7, -1, v0
	v_mov_b32_e32 v4, 0
	v_or_b32_e32 v9, 8, v14
	s_mov_b32 s1, 0
.LBB103_25:                             ; =>This Inner Loop Header: Depth=1
	scratch_load_b128 v[15:18], v9, off offset:-8
	ds_load_b128 v[19:22], v8
	v_add_nc_u32_e32 v7, 1, v7
	v_add_nc_u32_e32 v8, 16, v8
	v_add_nc_u32_e32 v9, 16, v9
	s_delay_alu instid0(VALU_DEP_3)
	v_cmp_lt_u32_e32 vcc_lo, 1, v7
	s_wait_alu 0xfffe
	s_or_b32 s1, vcc_lo, s1
	s_wait_loadcnt_dscnt 0x0
	v_mul_f64_e32 v[10:11], v[21:22], v[17:18]
	v_mul_f64_e32 v[17:18], v[19:20], v[17:18]
	s_delay_alu instid0(VALU_DEP_2) | instskip(NEXT) | instid1(VALU_DEP_2)
	v_fma_f64 v[10:11], v[19:20], v[15:16], -v[10:11]
	v_fma_f64 v[15:16], v[21:22], v[15:16], v[17:18]
	s_delay_alu instid0(VALU_DEP_2) | instskip(NEXT) | instid1(VALU_DEP_2)
	v_add_f64_e32 v[3:4], v[3:4], v[10:11]
	v_add_f64_e32 v[1:2], v[1:2], v[15:16]
	s_wait_alu 0xfffe
	s_and_not1_b32 exec_lo, exec_lo, s1
	s_cbranch_execnz .LBB103_25
; %bb.26:
	s_or_b32 exec_lo, exec_lo, s1
	v_mov_b32_e32 v7, 0
	ds_load_b128 v[7:10], v7 offset:48
	s_wait_dscnt 0x0
	v_mul_f64_e32 v[11:12], v[1:2], v[9:10]
	v_mul_f64_e32 v[15:16], v[3:4], v[9:10]
	s_delay_alu instid0(VALU_DEP_2) | instskip(NEXT) | instid1(VALU_DEP_2)
	v_fma_f64 v[9:10], v[3:4], v[7:8], -v[11:12]
	v_fma_f64 v[11:12], v[1:2], v[7:8], v[15:16]
	scratch_store_b128 off, v[9:12], off offset:64
.LBB103_27:
	s_wait_alu 0xfffe
	s_or_b32 exec_lo, exec_lo, s0
	s_wait_loadcnt 0x0
	s_wait_storecnt 0x0
	s_barrier_signal -1
	s_barrier_wait -1
	global_inv scope:SCOPE_SE
	scratch_load_b128 v[1:4], off, s28
	s_mov_b32 s0, exec_lo
	s_wait_loadcnt 0x0
	ds_store_b128 v5, v[1:4]
	s_wait_dscnt 0x0
	s_barrier_signal -1
	s_barrier_wait -1
	global_inv scope:SCOPE_SE
	v_cmpx_gt_u32_e32 4, v0
	s_cbranch_execz .LBB103_31
; %bb.28:
	v_dual_mov_b32 v1, 0 :: v_dual_add_nc_u32 v8, 0x280, v13
	v_mov_b32_e32 v3, 0
	v_dual_mov_b32 v2, 0 :: v_dual_add_nc_u32 v7, -1, v0
	v_mov_b32_e32 v4, 0
	v_or_b32_e32 v9, 8, v14
	s_mov_b32 s1, 0
.LBB103_29:                             ; =>This Inner Loop Header: Depth=1
	scratch_load_b128 v[15:18], v9, off offset:-8
	ds_load_b128 v[19:22], v8
	v_add_nc_u32_e32 v7, 1, v7
	v_add_nc_u32_e32 v8, 16, v8
	v_add_nc_u32_e32 v9, 16, v9
	s_delay_alu instid0(VALU_DEP_3)
	v_cmp_lt_u32_e32 vcc_lo, 2, v7
	s_wait_alu 0xfffe
	s_or_b32 s1, vcc_lo, s1
	s_wait_loadcnt_dscnt 0x0
	v_mul_f64_e32 v[10:11], v[21:22], v[17:18]
	v_mul_f64_e32 v[17:18], v[19:20], v[17:18]
	s_delay_alu instid0(VALU_DEP_2) | instskip(NEXT) | instid1(VALU_DEP_2)
	v_fma_f64 v[10:11], v[19:20], v[15:16], -v[10:11]
	v_fma_f64 v[15:16], v[21:22], v[15:16], v[17:18]
	s_delay_alu instid0(VALU_DEP_2) | instskip(NEXT) | instid1(VALU_DEP_2)
	v_add_f64_e32 v[3:4], v[3:4], v[10:11]
	v_add_f64_e32 v[1:2], v[1:2], v[15:16]
	s_wait_alu 0xfffe
	s_and_not1_b32 exec_lo, exec_lo, s1
	s_cbranch_execnz .LBB103_29
; %bb.30:
	s_or_b32 exec_lo, exec_lo, s1
	v_mov_b32_e32 v7, 0
	ds_load_b128 v[7:10], v7 offset:64
	s_wait_dscnt 0x0
	v_mul_f64_e32 v[11:12], v[1:2], v[9:10]
	v_mul_f64_e32 v[15:16], v[3:4], v[9:10]
	s_delay_alu instid0(VALU_DEP_2) | instskip(NEXT) | instid1(VALU_DEP_2)
	v_fma_f64 v[9:10], v[3:4], v[7:8], -v[11:12]
	v_fma_f64 v[11:12], v[1:2], v[7:8], v[15:16]
	scratch_store_b128 off, v[9:12], off offset:80
.LBB103_31:
	s_wait_alu 0xfffe
	s_or_b32 exec_lo, exec_lo, s0
	s_wait_loadcnt 0x0
	s_wait_storecnt 0x0
	s_barrier_signal -1
	s_barrier_wait -1
	global_inv scope:SCOPE_SE
	scratch_load_b128 v[1:4], off, s4
	;; [unrolled: 58-line block ×19, first 2 shown]
	s_mov_b32 s0, exec_lo
	s_wait_loadcnt 0x0
	ds_store_b128 v5, v[1:4]
	s_wait_dscnt 0x0
	s_barrier_signal -1
	s_barrier_wait -1
	global_inv scope:SCOPE_SE
	v_cmpx_gt_u32_e32 22, v0
	s_cbranch_execz .LBB103_103
; %bb.100:
	v_dual_mov_b32 v1, 0 :: v_dual_add_nc_u32 v8, 0x280, v13
	v_mov_b32_e32 v3, 0
	v_dual_mov_b32 v2, 0 :: v_dual_add_nc_u32 v7, -1, v0
	v_mov_b32_e32 v4, 0
	v_or_b32_e32 v9, 8, v14
	s_mov_b32 s1, 0
.LBB103_101:                            ; =>This Inner Loop Header: Depth=1
	scratch_load_b128 v[15:18], v9, off offset:-8
	ds_load_b128 v[19:22], v8
	v_add_nc_u32_e32 v7, 1, v7
	v_add_nc_u32_e32 v8, 16, v8
	v_add_nc_u32_e32 v9, 16, v9
	s_delay_alu instid0(VALU_DEP_3)
	v_cmp_lt_u32_e32 vcc_lo, 20, v7
	s_wait_alu 0xfffe
	s_or_b32 s1, vcc_lo, s1
	s_wait_loadcnt_dscnt 0x0
	v_mul_f64_e32 v[10:11], v[21:22], v[17:18]
	v_mul_f64_e32 v[17:18], v[19:20], v[17:18]
	s_delay_alu instid0(VALU_DEP_2) | instskip(NEXT) | instid1(VALU_DEP_2)
	v_fma_f64 v[10:11], v[19:20], v[15:16], -v[10:11]
	v_fma_f64 v[15:16], v[21:22], v[15:16], v[17:18]
	s_delay_alu instid0(VALU_DEP_2) | instskip(NEXT) | instid1(VALU_DEP_2)
	v_add_f64_e32 v[3:4], v[3:4], v[10:11]
	v_add_f64_e32 v[1:2], v[1:2], v[15:16]
	s_wait_alu 0xfffe
	s_and_not1_b32 exec_lo, exec_lo, s1
	s_cbranch_execnz .LBB103_101
; %bb.102:
	s_or_b32 exec_lo, exec_lo, s1
	v_mov_b32_e32 v7, 0
	ds_load_b128 v[7:10], v7 offset:352
	s_wait_dscnt 0x0
	v_mul_f64_e32 v[11:12], v[1:2], v[9:10]
	v_mul_f64_e32 v[15:16], v[3:4], v[9:10]
	s_delay_alu instid0(VALU_DEP_2) | instskip(NEXT) | instid1(VALU_DEP_2)
	v_fma_f64 v[9:10], v[3:4], v[7:8], -v[11:12]
	v_fma_f64 v[11:12], v[1:2], v[7:8], v[15:16]
	scratch_store_b128 off, v[9:12], off offset:368
.LBB103_103:
	s_wait_alu 0xfffe
	s_or_b32 exec_lo, exec_lo, s0
	s_wait_loadcnt 0x0
	s_wait_storecnt 0x0
	s_barrier_signal -1
	s_barrier_wait -1
	global_inv scope:SCOPE_SE
	scratch_load_b128 v[1:4], off, s18
	s_mov_b32 s0, exec_lo
	s_wait_loadcnt 0x0
	ds_store_b128 v5, v[1:4]
	s_wait_dscnt 0x0
	s_barrier_signal -1
	s_barrier_wait -1
	global_inv scope:SCOPE_SE
	v_cmpx_gt_u32_e32 23, v0
	s_cbranch_execz .LBB103_107
; %bb.104:
	v_dual_mov_b32 v1, 0 :: v_dual_add_nc_u32 v8, 0x280, v13
	v_mov_b32_e32 v3, 0
	v_dual_mov_b32 v2, 0 :: v_dual_add_nc_u32 v7, -1, v0
	v_mov_b32_e32 v4, 0
	v_or_b32_e32 v9, 8, v14
	s_mov_b32 s1, 0
.LBB103_105:                            ; =>This Inner Loop Header: Depth=1
	scratch_load_b128 v[15:18], v9, off offset:-8
	ds_load_b128 v[19:22], v8
	v_add_nc_u32_e32 v7, 1, v7
	v_add_nc_u32_e32 v8, 16, v8
	v_add_nc_u32_e32 v9, 16, v9
	s_delay_alu instid0(VALU_DEP_3)
	v_cmp_lt_u32_e32 vcc_lo, 21, v7
	s_wait_alu 0xfffe
	s_or_b32 s1, vcc_lo, s1
	s_wait_loadcnt_dscnt 0x0
	v_mul_f64_e32 v[10:11], v[21:22], v[17:18]
	v_mul_f64_e32 v[17:18], v[19:20], v[17:18]
	s_delay_alu instid0(VALU_DEP_2) | instskip(NEXT) | instid1(VALU_DEP_2)
	v_fma_f64 v[10:11], v[19:20], v[15:16], -v[10:11]
	v_fma_f64 v[15:16], v[21:22], v[15:16], v[17:18]
	s_delay_alu instid0(VALU_DEP_2) | instskip(NEXT) | instid1(VALU_DEP_2)
	v_add_f64_e32 v[3:4], v[3:4], v[10:11]
	v_add_f64_e32 v[1:2], v[1:2], v[15:16]
	s_wait_alu 0xfffe
	s_and_not1_b32 exec_lo, exec_lo, s1
	s_cbranch_execnz .LBB103_105
; %bb.106:
	s_or_b32 exec_lo, exec_lo, s1
	v_mov_b32_e32 v7, 0
	ds_load_b128 v[7:10], v7 offset:368
	s_wait_dscnt 0x0
	v_mul_f64_e32 v[11:12], v[1:2], v[9:10]
	v_mul_f64_e32 v[15:16], v[3:4], v[9:10]
	s_delay_alu instid0(VALU_DEP_2) | instskip(NEXT) | instid1(VALU_DEP_2)
	v_fma_f64 v[9:10], v[3:4], v[7:8], -v[11:12]
	v_fma_f64 v[11:12], v[1:2], v[7:8], v[15:16]
	scratch_store_b128 off, v[9:12], off offset:384
.LBB103_107:
	s_wait_alu 0xfffe
	s_or_b32 exec_lo, exec_lo, s0
	s_wait_loadcnt 0x0
	s_wait_storecnt 0x0
	s_barrier_signal -1
	s_barrier_wait -1
	global_inv scope:SCOPE_SE
	scratch_load_b128 v[1:4], off, s39
	;; [unrolled: 58-line block ×17, first 2 shown]
	s_mov_b32 s0, exec_lo
	s_wait_loadcnt 0x0
	ds_store_b128 v5, v[1:4]
	s_wait_dscnt 0x0
	s_barrier_signal -1
	s_barrier_wait -1
	global_inv scope:SCOPE_SE
	v_cmpx_ne_u32_e32 39, v0
	s_cbranch_execz .LBB103_171
; %bb.168:
	v_mov_b32_e32 v1, 0
	v_dual_mov_b32 v2, 0 :: v_dual_mov_b32 v3, 0
	v_mov_b32_e32 v4, 0
	v_or_b32_e32 v7, 8, v14
	s_mov_b32 s1, 0
.LBB103_169:                            ; =>This Inner Loop Header: Depth=1
	scratch_load_b128 v[8:11], v7, off offset:-8
	ds_load_b128 v[12:15], v5
	v_add_nc_u32_e32 v6, 1, v6
	v_add_nc_u32_e32 v5, 16, v5
	;; [unrolled: 1-line block ×3, first 2 shown]
	s_delay_alu instid0(VALU_DEP_3)
	v_cmp_lt_u32_e32 vcc_lo, 37, v6
	s_wait_alu 0xfffe
	s_or_b32 s1, vcc_lo, s1
	s_wait_loadcnt_dscnt 0x0
	v_mul_f64_e32 v[16:17], v[14:15], v[10:11]
	v_mul_f64_e32 v[10:11], v[12:13], v[10:11]
	s_delay_alu instid0(VALU_DEP_2) | instskip(NEXT) | instid1(VALU_DEP_2)
	v_fma_f64 v[12:13], v[12:13], v[8:9], -v[16:17]
	v_fma_f64 v[8:9], v[14:15], v[8:9], v[10:11]
	s_delay_alu instid0(VALU_DEP_2) | instskip(NEXT) | instid1(VALU_DEP_2)
	v_add_f64_e32 v[3:4], v[3:4], v[12:13]
	v_add_f64_e32 v[1:2], v[1:2], v[8:9]
	s_wait_alu 0xfffe
	s_and_not1_b32 exec_lo, exec_lo, s1
	s_cbranch_execnz .LBB103_169
; %bb.170:
	s_or_b32 exec_lo, exec_lo, s1
	v_mov_b32_e32 v5, 0
	ds_load_b128 v[5:8], v5 offset:624
	s_wait_dscnt 0x0
	v_mul_f64_e32 v[9:10], v[1:2], v[7:8]
	v_mul_f64_e32 v[7:8], v[3:4], v[7:8]
	s_delay_alu instid0(VALU_DEP_2) | instskip(NEXT) | instid1(VALU_DEP_2)
	v_fma_f64 v[3:4], v[3:4], v[5:6], -v[9:10]
	v_fma_f64 v[5:6], v[1:2], v[5:6], v[7:8]
	scratch_store_b128 off, v[3:6], off offset:640
.LBB103_171:
	s_wait_alu 0xfffe
	s_or_b32 exec_lo, exec_lo, s0
	s_mov_b32 s1, -1
	s_wait_loadcnt 0x0
	s_wait_storecnt 0x0
	s_barrier_signal -1
	s_barrier_wait -1
	global_inv scope:SCOPE_SE
.LBB103_172:
	s_wait_alu 0xfffe
	s_and_b32 vcc_lo, exec_lo, s1
	s_wait_alu 0xfffe
	s_cbranch_vccz .LBB103_174
; %bb.173:
	v_mov_b32_e32 v1, 0
	s_lshl_b64 s[0:1], s[8:9], 2
	s_wait_alu 0xfffe
	s_add_nc_u64 s[0:1], s[6:7], s[0:1]
	global_load_b32 v1, v1, s[0:1]
	s_wait_loadcnt 0x0
	v_cmp_ne_u32_e32 vcc_lo, 0, v1
	s_cbranch_vccz .LBB103_175
.LBB103_174:
	s_nop 0
	s_sendmsg sendmsg(MSG_DEALLOC_VGPRS)
	s_endpgm
.LBB103_175:
	v_lshl_add_u32 v126, v0, 4, 0x280
	s_mov_b32 s0, exec_lo
	v_cmpx_eq_u32_e32 39, v0
	s_cbranch_execz .LBB103_177
; %bb.176:
	scratch_load_b128 v[1:4], off, s46
	v_mov_b32_e32 v5, 0
	s_delay_alu instid0(VALU_DEP_1)
	v_dual_mov_b32 v6, v5 :: v_dual_mov_b32 v7, v5
	v_mov_b32_e32 v8, v5
	scratch_store_b128 off, v[5:8], off offset:624
	s_wait_loadcnt 0x0
	ds_store_b128 v126, v[1:4]
.LBB103_177:
	s_wait_alu 0xfffe
	s_or_b32 exec_lo, exec_lo, s0
	s_wait_storecnt_dscnt 0x0
	s_barrier_signal -1
	s_barrier_wait -1
	global_inv scope:SCOPE_SE
	s_clause 0x1
	scratch_load_b128 v[2:5], off, off offset:640
	scratch_load_b128 v[6:9], off, off offset:624
	v_mov_b32_e32 v1, 0
	s_mov_b32 s0, exec_lo
	ds_load_b128 v[10:13], v1 offset:1264
	s_wait_loadcnt_dscnt 0x100
	v_mul_f64_e32 v[14:15], v[12:13], v[4:5]
	v_mul_f64_e32 v[4:5], v[10:11], v[4:5]
	s_delay_alu instid0(VALU_DEP_2) | instskip(NEXT) | instid1(VALU_DEP_2)
	v_fma_f64 v[10:11], v[10:11], v[2:3], -v[14:15]
	v_fma_f64 v[2:3], v[12:13], v[2:3], v[4:5]
	s_delay_alu instid0(VALU_DEP_2) | instskip(NEXT) | instid1(VALU_DEP_2)
	v_add_f64_e32 v[4:5], 0, v[10:11]
	v_add_f64_e32 v[10:11], 0, v[2:3]
	s_wait_loadcnt 0x0
	s_delay_alu instid0(VALU_DEP_2) | instskip(NEXT) | instid1(VALU_DEP_2)
	v_add_f64_e64 v[2:3], v[6:7], -v[4:5]
	v_add_f64_e64 v[4:5], v[8:9], -v[10:11]
	scratch_store_b128 off, v[2:5], off offset:624
	v_cmpx_lt_u32_e32 37, v0
	s_cbranch_execz .LBB103_179
; %bb.178:
	scratch_load_b128 v[5:8], off, s25
	v_dual_mov_b32 v2, v1 :: v_dual_mov_b32 v3, v1
	v_mov_b32_e32 v4, v1
	scratch_store_b128 off, v[1:4], off offset:608
	s_wait_loadcnt 0x0
	ds_store_b128 v126, v[5:8]
.LBB103_179:
	s_wait_alu 0xfffe
	s_or_b32 exec_lo, exec_lo, s0
	s_wait_storecnt_dscnt 0x0
	s_barrier_signal -1
	s_barrier_wait -1
	global_inv scope:SCOPE_SE
	s_clause 0x2
	scratch_load_b128 v[2:5], off, off offset:624
	scratch_load_b128 v[6:9], off, off offset:640
	;; [unrolled: 1-line block ×3, first 2 shown]
	ds_load_b128 v[14:17], v1 offset:1248
	ds_load_b128 v[18:21], v1 offset:1264
	s_mov_b32 s0, exec_lo
	s_wait_loadcnt_dscnt 0x201
	v_mul_f64_e32 v[22:23], v[16:17], v[4:5]
	v_mul_f64_e32 v[4:5], v[14:15], v[4:5]
	s_wait_loadcnt_dscnt 0x100
	v_mul_f64_e32 v[24:25], v[18:19], v[8:9]
	v_mul_f64_e32 v[8:9], v[20:21], v[8:9]
	s_delay_alu instid0(VALU_DEP_4) | instskip(NEXT) | instid1(VALU_DEP_4)
	v_fma_f64 v[14:15], v[14:15], v[2:3], -v[22:23]
	v_fma_f64 v[1:2], v[16:17], v[2:3], v[4:5]
	s_delay_alu instid0(VALU_DEP_4) | instskip(NEXT) | instid1(VALU_DEP_4)
	v_fma_f64 v[3:4], v[20:21], v[6:7], v[24:25]
	v_fma_f64 v[5:6], v[18:19], v[6:7], -v[8:9]
	s_delay_alu instid0(VALU_DEP_4) | instskip(NEXT) | instid1(VALU_DEP_4)
	v_add_f64_e32 v[7:8], 0, v[14:15]
	v_add_f64_e32 v[1:2], 0, v[1:2]
	s_delay_alu instid0(VALU_DEP_2) | instskip(NEXT) | instid1(VALU_DEP_2)
	v_add_f64_e32 v[5:6], v[7:8], v[5:6]
	v_add_f64_e32 v[3:4], v[1:2], v[3:4]
	s_wait_loadcnt 0x0
	s_delay_alu instid0(VALU_DEP_2) | instskip(NEXT) | instid1(VALU_DEP_2)
	v_add_f64_e64 v[1:2], v[10:11], -v[5:6]
	v_add_f64_e64 v[3:4], v[12:13], -v[3:4]
	scratch_store_b128 off, v[1:4], off offset:608
	v_cmpx_lt_u32_e32 36, v0
	s_cbranch_execz .LBB103_181
; %bb.180:
	scratch_load_b128 v[1:4], off, s45
	v_mov_b32_e32 v5, 0
	s_delay_alu instid0(VALU_DEP_1)
	v_dual_mov_b32 v6, v5 :: v_dual_mov_b32 v7, v5
	v_mov_b32_e32 v8, v5
	scratch_store_b128 off, v[5:8], off offset:592
	s_wait_loadcnt 0x0
	ds_store_b128 v126, v[1:4]
.LBB103_181:
	s_wait_alu 0xfffe
	s_or_b32 exec_lo, exec_lo, s0
	s_wait_storecnt_dscnt 0x0
	s_barrier_signal -1
	s_barrier_wait -1
	global_inv scope:SCOPE_SE
	s_clause 0x3
	scratch_load_b128 v[2:5], off, off offset:608
	scratch_load_b128 v[6:9], off, off offset:624
	;; [unrolled: 1-line block ×4, first 2 shown]
	v_mov_b32_e32 v1, 0
	ds_load_b128 v[18:21], v1 offset:1232
	ds_load_b128 v[22:25], v1 offset:1248
	s_mov_b32 s0, exec_lo
	s_wait_loadcnt_dscnt 0x301
	v_mul_f64_e32 v[26:27], v[20:21], v[4:5]
	v_mul_f64_e32 v[4:5], v[18:19], v[4:5]
	s_wait_loadcnt_dscnt 0x200
	v_mul_f64_e32 v[28:29], v[22:23], v[8:9]
	v_mul_f64_e32 v[8:9], v[24:25], v[8:9]
	s_delay_alu instid0(VALU_DEP_4) | instskip(NEXT) | instid1(VALU_DEP_4)
	v_fma_f64 v[18:19], v[18:19], v[2:3], -v[26:27]
	v_fma_f64 v[20:21], v[20:21], v[2:3], v[4:5]
	ds_load_b128 v[2:5], v1 offset:1264
	v_fma_f64 v[24:25], v[24:25], v[6:7], v[28:29]
	v_fma_f64 v[6:7], v[22:23], v[6:7], -v[8:9]
	s_wait_loadcnt_dscnt 0x100
	v_mul_f64_e32 v[26:27], v[2:3], v[12:13]
	v_mul_f64_e32 v[12:13], v[4:5], v[12:13]
	v_add_f64_e32 v[8:9], 0, v[18:19]
	v_add_f64_e32 v[18:19], 0, v[20:21]
	s_delay_alu instid0(VALU_DEP_4) | instskip(NEXT) | instid1(VALU_DEP_4)
	v_fma_f64 v[4:5], v[4:5], v[10:11], v[26:27]
	v_fma_f64 v[2:3], v[2:3], v[10:11], -v[12:13]
	s_delay_alu instid0(VALU_DEP_4) | instskip(NEXT) | instid1(VALU_DEP_4)
	v_add_f64_e32 v[6:7], v[8:9], v[6:7]
	v_add_f64_e32 v[8:9], v[18:19], v[24:25]
	s_delay_alu instid0(VALU_DEP_2) | instskip(NEXT) | instid1(VALU_DEP_2)
	v_add_f64_e32 v[2:3], v[6:7], v[2:3]
	v_add_f64_e32 v[4:5], v[8:9], v[4:5]
	s_wait_loadcnt 0x0
	s_delay_alu instid0(VALU_DEP_2) | instskip(NEXT) | instid1(VALU_DEP_2)
	v_add_f64_e64 v[2:3], v[14:15], -v[2:3]
	v_add_f64_e64 v[4:5], v[16:17], -v[4:5]
	scratch_store_b128 off, v[2:5], off offset:592
	v_cmpx_lt_u32_e32 35, v0
	s_cbranch_execz .LBB103_183
; %bb.182:
	scratch_load_b128 v[5:8], off, s24
	v_dual_mov_b32 v2, v1 :: v_dual_mov_b32 v3, v1
	v_mov_b32_e32 v4, v1
	scratch_store_b128 off, v[1:4], off offset:576
	s_wait_loadcnt 0x0
	ds_store_b128 v126, v[5:8]
.LBB103_183:
	s_wait_alu 0xfffe
	s_or_b32 exec_lo, exec_lo, s0
	s_wait_storecnt_dscnt 0x0
	s_barrier_signal -1
	s_barrier_wait -1
	global_inv scope:SCOPE_SE
	s_clause 0x4
	scratch_load_b128 v[2:5], off, off offset:592
	scratch_load_b128 v[6:9], off, off offset:608
	;; [unrolled: 1-line block ×5, first 2 shown]
	ds_load_b128 v[22:25], v1 offset:1216
	ds_load_b128 v[26:29], v1 offset:1232
	s_mov_b32 s0, exec_lo
	s_wait_loadcnt_dscnt 0x401
	v_mul_f64_e32 v[30:31], v[24:25], v[4:5]
	v_mul_f64_e32 v[4:5], v[22:23], v[4:5]
	s_wait_loadcnt_dscnt 0x300
	v_mul_f64_e32 v[32:33], v[26:27], v[8:9]
	v_mul_f64_e32 v[8:9], v[28:29], v[8:9]
	s_delay_alu instid0(VALU_DEP_4) | instskip(NEXT) | instid1(VALU_DEP_4)
	v_fma_f64 v[30:31], v[22:23], v[2:3], -v[30:31]
	v_fma_f64 v[34:35], v[24:25], v[2:3], v[4:5]
	ds_load_b128 v[2:5], v1 offset:1248
	ds_load_b128 v[22:25], v1 offset:1264
	v_fma_f64 v[28:29], v[28:29], v[6:7], v[32:33]
	v_fma_f64 v[6:7], v[26:27], v[6:7], -v[8:9]
	s_wait_loadcnt_dscnt 0x201
	v_mul_f64_e32 v[36:37], v[2:3], v[12:13]
	v_mul_f64_e32 v[12:13], v[4:5], v[12:13]
	v_add_f64_e32 v[8:9], 0, v[30:31]
	v_add_f64_e32 v[26:27], 0, v[34:35]
	s_wait_loadcnt_dscnt 0x100
	v_mul_f64_e32 v[30:31], v[22:23], v[16:17]
	v_mul_f64_e32 v[16:17], v[24:25], v[16:17]
	v_fma_f64 v[4:5], v[4:5], v[10:11], v[36:37]
	v_fma_f64 v[1:2], v[2:3], v[10:11], -v[12:13]
	v_add_f64_e32 v[6:7], v[8:9], v[6:7]
	v_add_f64_e32 v[8:9], v[26:27], v[28:29]
	v_fma_f64 v[10:11], v[24:25], v[14:15], v[30:31]
	v_fma_f64 v[12:13], v[22:23], v[14:15], -v[16:17]
	s_delay_alu instid0(VALU_DEP_4) | instskip(NEXT) | instid1(VALU_DEP_4)
	v_add_f64_e32 v[1:2], v[6:7], v[1:2]
	v_add_f64_e32 v[3:4], v[8:9], v[4:5]
	s_delay_alu instid0(VALU_DEP_2) | instskip(NEXT) | instid1(VALU_DEP_2)
	v_add_f64_e32 v[1:2], v[1:2], v[12:13]
	v_add_f64_e32 v[3:4], v[3:4], v[10:11]
	s_wait_loadcnt 0x0
	s_delay_alu instid0(VALU_DEP_2) | instskip(NEXT) | instid1(VALU_DEP_2)
	v_add_f64_e64 v[1:2], v[18:19], -v[1:2]
	v_add_f64_e64 v[3:4], v[20:21], -v[3:4]
	scratch_store_b128 off, v[1:4], off offset:576
	v_cmpx_lt_u32_e32 34, v0
	s_cbranch_execz .LBB103_185
; %bb.184:
	scratch_load_b128 v[1:4], off, s44
	v_mov_b32_e32 v5, 0
	s_delay_alu instid0(VALU_DEP_1)
	v_dual_mov_b32 v6, v5 :: v_dual_mov_b32 v7, v5
	v_mov_b32_e32 v8, v5
	scratch_store_b128 off, v[5:8], off offset:560
	s_wait_loadcnt 0x0
	ds_store_b128 v126, v[1:4]
.LBB103_185:
	s_wait_alu 0xfffe
	s_or_b32 exec_lo, exec_lo, s0
	s_wait_storecnt_dscnt 0x0
	s_barrier_signal -1
	s_barrier_wait -1
	global_inv scope:SCOPE_SE
	s_clause 0x5
	scratch_load_b128 v[2:5], off, off offset:576
	scratch_load_b128 v[6:9], off, off offset:592
	scratch_load_b128 v[10:13], off, off offset:608
	scratch_load_b128 v[14:17], off, off offset:624
	scratch_load_b128 v[18:21], off, off offset:640
	scratch_load_b128 v[22:25], off, off offset:560
	v_mov_b32_e32 v1, 0
	ds_load_b128 v[26:29], v1 offset:1200
	ds_load_b128 v[30:33], v1 offset:1216
	s_mov_b32 s0, exec_lo
	s_wait_loadcnt_dscnt 0x501
	v_mul_f64_e32 v[34:35], v[28:29], v[4:5]
	v_mul_f64_e32 v[4:5], v[26:27], v[4:5]
	s_wait_loadcnt_dscnt 0x400
	v_mul_f64_e32 v[36:37], v[30:31], v[8:9]
	v_mul_f64_e32 v[8:9], v[32:33], v[8:9]
	s_delay_alu instid0(VALU_DEP_4) | instskip(NEXT) | instid1(VALU_DEP_4)
	v_fma_f64 v[34:35], v[26:27], v[2:3], -v[34:35]
	v_fma_f64 v[38:39], v[28:29], v[2:3], v[4:5]
	ds_load_b128 v[2:5], v1 offset:1232
	ds_load_b128 v[26:29], v1 offset:1248
	v_fma_f64 v[32:33], v[32:33], v[6:7], v[36:37]
	v_fma_f64 v[6:7], v[30:31], v[6:7], -v[8:9]
	s_wait_loadcnt_dscnt 0x301
	v_mul_f64_e32 v[40:41], v[2:3], v[12:13]
	v_mul_f64_e32 v[12:13], v[4:5], v[12:13]
	v_add_f64_e32 v[8:9], 0, v[34:35]
	v_add_f64_e32 v[30:31], 0, v[38:39]
	s_wait_loadcnt_dscnt 0x200
	v_mul_f64_e32 v[34:35], v[26:27], v[16:17]
	v_mul_f64_e32 v[16:17], v[28:29], v[16:17]
	v_fma_f64 v[36:37], v[4:5], v[10:11], v[40:41]
	v_fma_f64 v[10:11], v[2:3], v[10:11], -v[12:13]
	ds_load_b128 v[2:5], v1 offset:1264
	v_add_f64_e32 v[6:7], v[8:9], v[6:7]
	v_add_f64_e32 v[8:9], v[30:31], v[32:33]
	v_fma_f64 v[28:29], v[28:29], v[14:15], v[34:35]
	v_fma_f64 v[14:15], v[26:27], v[14:15], -v[16:17]
	s_wait_loadcnt_dscnt 0x100
	v_mul_f64_e32 v[12:13], v[2:3], v[20:21]
	v_mul_f64_e32 v[20:21], v[4:5], v[20:21]
	v_add_f64_e32 v[6:7], v[6:7], v[10:11]
	v_add_f64_e32 v[8:9], v[8:9], v[36:37]
	s_delay_alu instid0(VALU_DEP_4) | instskip(NEXT) | instid1(VALU_DEP_4)
	v_fma_f64 v[4:5], v[4:5], v[18:19], v[12:13]
	v_fma_f64 v[2:3], v[2:3], v[18:19], -v[20:21]
	s_delay_alu instid0(VALU_DEP_4) | instskip(NEXT) | instid1(VALU_DEP_4)
	v_add_f64_e32 v[6:7], v[6:7], v[14:15]
	v_add_f64_e32 v[8:9], v[8:9], v[28:29]
	s_delay_alu instid0(VALU_DEP_2) | instskip(NEXT) | instid1(VALU_DEP_2)
	v_add_f64_e32 v[2:3], v[6:7], v[2:3]
	v_add_f64_e32 v[4:5], v[8:9], v[4:5]
	s_wait_loadcnt 0x0
	s_delay_alu instid0(VALU_DEP_2) | instskip(NEXT) | instid1(VALU_DEP_2)
	v_add_f64_e64 v[2:3], v[22:23], -v[2:3]
	v_add_f64_e64 v[4:5], v[24:25], -v[4:5]
	scratch_store_b128 off, v[2:5], off offset:560
	v_cmpx_lt_u32_e32 33, v0
	s_cbranch_execz .LBB103_187
; %bb.186:
	scratch_load_b128 v[5:8], off, s23
	v_dual_mov_b32 v2, v1 :: v_dual_mov_b32 v3, v1
	v_mov_b32_e32 v4, v1
	scratch_store_b128 off, v[1:4], off offset:544
	s_wait_loadcnt 0x0
	ds_store_b128 v126, v[5:8]
.LBB103_187:
	s_wait_alu 0xfffe
	s_or_b32 exec_lo, exec_lo, s0
	s_wait_storecnt_dscnt 0x0
	s_barrier_signal -1
	s_barrier_wait -1
	global_inv scope:SCOPE_SE
	s_clause 0x5
	scratch_load_b128 v[2:5], off, off offset:560
	scratch_load_b128 v[6:9], off, off offset:576
	;; [unrolled: 1-line block ×6, first 2 shown]
	ds_load_b128 v[26:29], v1 offset:1184
	ds_load_b128 v[34:37], v1 offset:1200
	scratch_load_b128 v[30:33], off, off offset:544
	s_mov_b32 s0, exec_lo
	s_wait_loadcnt_dscnt 0x601
	v_mul_f64_e32 v[38:39], v[28:29], v[4:5]
	v_mul_f64_e32 v[4:5], v[26:27], v[4:5]
	s_wait_loadcnt_dscnt 0x500
	v_mul_f64_e32 v[40:41], v[34:35], v[8:9]
	v_mul_f64_e32 v[8:9], v[36:37], v[8:9]
	s_delay_alu instid0(VALU_DEP_4) | instskip(NEXT) | instid1(VALU_DEP_4)
	v_fma_f64 v[38:39], v[26:27], v[2:3], -v[38:39]
	v_fma_f64 v[42:43], v[28:29], v[2:3], v[4:5]
	ds_load_b128 v[2:5], v1 offset:1216
	ds_load_b128 v[26:29], v1 offset:1232
	v_fma_f64 v[36:37], v[36:37], v[6:7], v[40:41]
	v_fma_f64 v[6:7], v[34:35], v[6:7], -v[8:9]
	s_wait_loadcnt_dscnt 0x401
	v_mul_f64_e32 v[44:45], v[2:3], v[12:13]
	v_mul_f64_e32 v[12:13], v[4:5], v[12:13]
	v_add_f64_e32 v[8:9], 0, v[38:39]
	v_add_f64_e32 v[34:35], 0, v[42:43]
	s_wait_loadcnt_dscnt 0x300
	v_mul_f64_e32 v[38:39], v[26:27], v[16:17]
	v_mul_f64_e32 v[16:17], v[28:29], v[16:17]
	v_fma_f64 v[40:41], v[4:5], v[10:11], v[44:45]
	v_fma_f64 v[10:11], v[2:3], v[10:11], -v[12:13]
	v_add_f64_e32 v[12:13], v[8:9], v[6:7]
	v_add_f64_e32 v[34:35], v[34:35], v[36:37]
	ds_load_b128 v[2:5], v1 offset:1248
	ds_load_b128 v[6:9], v1 offset:1264
	v_fma_f64 v[28:29], v[28:29], v[14:15], v[38:39]
	v_fma_f64 v[14:15], v[26:27], v[14:15], -v[16:17]
	s_wait_loadcnt_dscnt 0x201
	v_mul_f64_e32 v[36:37], v[2:3], v[20:21]
	v_mul_f64_e32 v[20:21], v[4:5], v[20:21]
	s_wait_loadcnt_dscnt 0x100
	v_mul_f64_e32 v[16:17], v[6:7], v[24:25]
	v_mul_f64_e32 v[24:25], v[8:9], v[24:25]
	v_add_f64_e32 v[10:11], v[12:13], v[10:11]
	v_add_f64_e32 v[12:13], v[34:35], v[40:41]
	v_fma_f64 v[4:5], v[4:5], v[18:19], v[36:37]
	v_fma_f64 v[1:2], v[2:3], v[18:19], -v[20:21]
	v_fma_f64 v[8:9], v[8:9], v[22:23], v[16:17]
	v_fma_f64 v[6:7], v[6:7], v[22:23], -v[24:25]
	v_add_f64_e32 v[10:11], v[10:11], v[14:15]
	v_add_f64_e32 v[12:13], v[12:13], v[28:29]
	s_delay_alu instid0(VALU_DEP_2) | instskip(NEXT) | instid1(VALU_DEP_2)
	v_add_f64_e32 v[1:2], v[10:11], v[1:2]
	v_add_f64_e32 v[3:4], v[12:13], v[4:5]
	s_delay_alu instid0(VALU_DEP_2) | instskip(NEXT) | instid1(VALU_DEP_2)
	v_add_f64_e32 v[1:2], v[1:2], v[6:7]
	v_add_f64_e32 v[3:4], v[3:4], v[8:9]
	s_wait_loadcnt 0x0
	s_delay_alu instid0(VALU_DEP_2) | instskip(NEXT) | instid1(VALU_DEP_2)
	v_add_f64_e64 v[1:2], v[30:31], -v[1:2]
	v_add_f64_e64 v[3:4], v[32:33], -v[3:4]
	scratch_store_b128 off, v[1:4], off offset:544
	v_cmpx_lt_u32_e32 32, v0
	s_cbranch_execz .LBB103_189
; %bb.188:
	scratch_load_b128 v[1:4], off, s43
	v_mov_b32_e32 v5, 0
	s_delay_alu instid0(VALU_DEP_1)
	v_dual_mov_b32 v6, v5 :: v_dual_mov_b32 v7, v5
	v_mov_b32_e32 v8, v5
	scratch_store_b128 off, v[5:8], off offset:528
	s_wait_loadcnt 0x0
	ds_store_b128 v126, v[1:4]
.LBB103_189:
	s_wait_alu 0xfffe
	s_or_b32 exec_lo, exec_lo, s0
	s_wait_storecnt_dscnt 0x0
	s_barrier_signal -1
	s_barrier_wait -1
	global_inv scope:SCOPE_SE
	s_clause 0x6
	scratch_load_b128 v[2:5], off, off offset:544
	scratch_load_b128 v[6:9], off, off offset:560
	;; [unrolled: 1-line block ×7, first 2 shown]
	v_mov_b32_e32 v1, 0
	scratch_load_b128 v[34:37], off, off offset:528
	s_mov_b32 s0, exec_lo
	ds_load_b128 v[30:33], v1 offset:1168
	ds_load_b128 v[38:41], v1 offset:1184
	s_wait_loadcnt_dscnt 0x701
	v_mul_f64_e32 v[42:43], v[32:33], v[4:5]
	v_mul_f64_e32 v[4:5], v[30:31], v[4:5]
	s_wait_loadcnt_dscnt 0x600
	v_mul_f64_e32 v[44:45], v[38:39], v[8:9]
	v_mul_f64_e32 v[8:9], v[40:41], v[8:9]
	s_delay_alu instid0(VALU_DEP_4) | instskip(NEXT) | instid1(VALU_DEP_4)
	v_fma_f64 v[42:43], v[30:31], v[2:3], -v[42:43]
	v_fma_f64 v[127:128], v[32:33], v[2:3], v[4:5]
	ds_load_b128 v[2:5], v1 offset:1200
	ds_load_b128 v[30:33], v1 offset:1216
	v_fma_f64 v[40:41], v[40:41], v[6:7], v[44:45]
	v_fma_f64 v[6:7], v[38:39], v[6:7], -v[8:9]
	s_wait_loadcnt_dscnt 0x501
	v_mul_f64_e32 v[129:130], v[2:3], v[12:13]
	v_mul_f64_e32 v[12:13], v[4:5], v[12:13]
	v_add_f64_e32 v[8:9], 0, v[42:43]
	v_add_f64_e32 v[38:39], 0, v[127:128]
	s_wait_loadcnt_dscnt 0x400
	v_mul_f64_e32 v[42:43], v[30:31], v[16:17]
	v_mul_f64_e32 v[16:17], v[32:33], v[16:17]
	v_fma_f64 v[44:45], v[4:5], v[10:11], v[129:130]
	v_fma_f64 v[10:11], v[2:3], v[10:11], -v[12:13]
	v_add_f64_e32 v[12:13], v[8:9], v[6:7]
	v_add_f64_e32 v[38:39], v[38:39], v[40:41]
	ds_load_b128 v[2:5], v1 offset:1232
	ds_load_b128 v[6:9], v1 offset:1248
	v_fma_f64 v[32:33], v[32:33], v[14:15], v[42:43]
	v_fma_f64 v[14:15], v[30:31], v[14:15], -v[16:17]
	s_wait_loadcnt_dscnt 0x301
	v_mul_f64_e32 v[40:41], v[2:3], v[20:21]
	v_mul_f64_e32 v[20:21], v[4:5], v[20:21]
	s_wait_loadcnt_dscnt 0x200
	v_mul_f64_e32 v[16:17], v[6:7], v[24:25]
	v_mul_f64_e32 v[24:25], v[8:9], v[24:25]
	v_add_f64_e32 v[10:11], v[12:13], v[10:11]
	v_add_f64_e32 v[12:13], v[38:39], v[44:45]
	v_fma_f64 v[30:31], v[4:5], v[18:19], v[40:41]
	v_fma_f64 v[18:19], v[2:3], v[18:19], -v[20:21]
	ds_load_b128 v[2:5], v1 offset:1264
	v_fma_f64 v[8:9], v[8:9], v[22:23], v[16:17]
	v_fma_f64 v[6:7], v[6:7], v[22:23], -v[24:25]
	v_add_f64_e32 v[10:11], v[10:11], v[14:15]
	v_add_f64_e32 v[12:13], v[12:13], v[32:33]
	s_wait_loadcnt_dscnt 0x100
	v_mul_f64_e32 v[14:15], v[2:3], v[28:29]
	v_mul_f64_e32 v[20:21], v[4:5], v[28:29]
	s_delay_alu instid0(VALU_DEP_4) | instskip(NEXT) | instid1(VALU_DEP_4)
	v_add_f64_e32 v[10:11], v[10:11], v[18:19]
	v_add_f64_e32 v[12:13], v[12:13], v[30:31]
	s_delay_alu instid0(VALU_DEP_4) | instskip(NEXT) | instid1(VALU_DEP_4)
	v_fma_f64 v[4:5], v[4:5], v[26:27], v[14:15]
	v_fma_f64 v[2:3], v[2:3], v[26:27], -v[20:21]
	s_delay_alu instid0(VALU_DEP_4) | instskip(NEXT) | instid1(VALU_DEP_4)
	v_add_f64_e32 v[6:7], v[10:11], v[6:7]
	v_add_f64_e32 v[8:9], v[12:13], v[8:9]
	s_delay_alu instid0(VALU_DEP_2) | instskip(NEXT) | instid1(VALU_DEP_2)
	v_add_f64_e32 v[2:3], v[6:7], v[2:3]
	v_add_f64_e32 v[4:5], v[8:9], v[4:5]
	s_wait_loadcnt 0x0
	s_delay_alu instid0(VALU_DEP_2) | instskip(NEXT) | instid1(VALU_DEP_2)
	v_add_f64_e64 v[2:3], v[34:35], -v[2:3]
	v_add_f64_e64 v[4:5], v[36:37], -v[4:5]
	scratch_store_b128 off, v[2:5], off offset:528
	v_cmpx_lt_u32_e32 31, v0
	s_cbranch_execz .LBB103_191
; %bb.190:
	scratch_load_b128 v[5:8], off, s22
	v_dual_mov_b32 v2, v1 :: v_dual_mov_b32 v3, v1
	v_mov_b32_e32 v4, v1
	scratch_store_b128 off, v[1:4], off offset:512
	s_wait_loadcnt 0x0
	ds_store_b128 v126, v[5:8]
.LBB103_191:
	s_wait_alu 0xfffe
	s_or_b32 exec_lo, exec_lo, s0
	s_wait_storecnt_dscnt 0x0
	s_barrier_signal -1
	s_barrier_wait -1
	global_inv scope:SCOPE_SE
	s_clause 0x7
	scratch_load_b128 v[2:5], off, off offset:528
	scratch_load_b128 v[6:9], off, off offset:544
	;; [unrolled: 1-line block ×8, first 2 shown]
	ds_load_b128 v[34:37], v1 offset:1152
	ds_load_b128 v[38:41], v1 offset:1168
	scratch_load_b128 v[42:45], off, off offset:512
	s_mov_b32 s0, exec_lo
	s_wait_loadcnt_dscnt 0x801
	v_mul_f64_e32 v[127:128], v[36:37], v[4:5]
	v_mul_f64_e32 v[4:5], v[34:35], v[4:5]
	s_wait_loadcnt_dscnt 0x700
	v_mul_f64_e32 v[129:130], v[38:39], v[8:9]
	v_mul_f64_e32 v[8:9], v[40:41], v[8:9]
	s_delay_alu instid0(VALU_DEP_4) | instskip(NEXT) | instid1(VALU_DEP_4)
	v_fma_f64 v[127:128], v[34:35], v[2:3], -v[127:128]
	v_fma_f64 v[131:132], v[36:37], v[2:3], v[4:5]
	ds_load_b128 v[2:5], v1 offset:1184
	ds_load_b128 v[34:37], v1 offset:1200
	v_fma_f64 v[40:41], v[40:41], v[6:7], v[129:130]
	v_fma_f64 v[6:7], v[38:39], v[6:7], -v[8:9]
	s_wait_loadcnt_dscnt 0x601
	v_mul_f64_e32 v[133:134], v[2:3], v[12:13]
	v_mul_f64_e32 v[12:13], v[4:5], v[12:13]
	v_add_f64_e32 v[8:9], 0, v[127:128]
	v_add_f64_e32 v[38:39], 0, v[131:132]
	s_wait_loadcnt_dscnt 0x500
	v_mul_f64_e32 v[127:128], v[34:35], v[16:17]
	v_mul_f64_e32 v[16:17], v[36:37], v[16:17]
	v_fma_f64 v[129:130], v[4:5], v[10:11], v[133:134]
	v_fma_f64 v[10:11], v[2:3], v[10:11], -v[12:13]
	v_add_f64_e32 v[12:13], v[8:9], v[6:7]
	v_add_f64_e32 v[38:39], v[38:39], v[40:41]
	ds_load_b128 v[2:5], v1 offset:1216
	ds_load_b128 v[6:9], v1 offset:1232
	v_fma_f64 v[36:37], v[36:37], v[14:15], v[127:128]
	v_fma_f64 v[14:15], v[34:35], v[14:15], -v[16:17]
	s_wait_loadcnt_dscnt 0x401
	v_mul_f64_e32 v[40:41], v[2:3], v[20:21]
	v_mul_f64_e32 v[20:21], v[4:5], v[20:21]
	s_wait_loadcnt_dscnt 0x300
	v_mul_f64_e32 v[16:17], v[6:7], v[24:25]
	v_mul_f64_e32 v[24:25], v[8:9], v[24:25]
	v_add_f64_e32 v[10:11], v[12:13], v[10:11]
	v_add_f64_e32 v[12:13], v[38:39], v[129:130]
	v_fma_f64 v[34:35], v[4:5], v[18:19], v[40:41]
	v_fma_f64 v[18:19], v[2:3], v[18:19], -v[20:21]
	v_fma_f64 v[8:9], v[8:9], v[22:23], v[16:17]
	v_fma_f64 v[6:7], v[6:7], v[22:23], -v[24:25]
	v_add_f64_e32 v[14:15], v[10:11], v[14:15]
	v_add_f64_e32 v[20:21], v[12:13], v[36:37]
	ds_load_b128 v[2:5], v1 offset:1248
	ds_load_b128 v[10:13], v1 offset:1264
	s_wait_loadcnt_dscnt 0x201
	v_mul_f64_e32 v[36:37], v[2:3], v[28:29]
	v_mul_f64_e32 v[28:29], v[4:5], v[28:29]
	v_add_f64_e32 v[14:15], v[14:15], v[18:19]
	v_add_f64_e32 v[16:17], v[20:21], v[34:35]
	s_wait_loadcnt_dscnt 0x100
	v_mul_f64_e32 v[18:19], v[10:11], v[32:33]
	v_mul_f64_e32 v[20:21], v[12:13], v[32:33]
	v_fma_f64 v[4:5], v[4:5], v[26:27], v[36:37]
	v_fma_f64 v[1:2], v[2:3], v[26:27], -v[28:29]
	v_add_f64_e32 v[6:7], v[14:15], v[6:7]
	v_add_f64_e32 v[8:9], v[16:17], v[8:9]
	v_fma_f64 v[12:13], v[12:13], v[30:31], v[18:19]
	v_fma_f64 v[10:11], v[10:11], v[30:31], -v[20:21]
	s_delay_alu instid0(VALU_DEP_4) | instskip(NEXT) | instid1(VALU_DEP_4)
	v_add_f64_e32 v[1:2], v[6:7], v[1:2]
	v_add_f64_e32 v[3:4], v[8:9], v[4:5]
	s_delay_alu instid0(VALU_DEP_2) | instskip(NEXT) | instid1(VALU_DEP_2)
	v_add_f64_e32 v[1:2], v[1:2], v[10:11]
	v_add_f64_e32 v[3:4], v[3:4], v[12:13]
	s_wait_loadcnt 0x0
	s_delay_alu instid0(VALU_DEP_2) | instskip(NEXT) | instid1(VALU_DEP_2)
	v_add_f64_e64 v[1:2], v[42:43], -v[1:2]
	v_add_f64_e64 v[3:4], v[44:45], -v[3:4]
	scratch_store_b128 off, v[1:4], off offset:512
	v_cmpx_lt_u32_e32 30, v0
	s_cbranch_execz .LBB103_193
; %bb.192:
	scratch_load_b128 v[1:4], off, s42
	v_mov_b32_e32 v5, 0
	s_delay_alu instid0(VALU_DEP_1)
	v_dual_mov_b32 v6, v5 :: v_dual_mov_b32 v7, v5
	v_mov_b32_e32 v8, v5
	scratch_store_b128 off, v[5:8], off offset:496
	s_wait_loadcnt 0x0
	ds_store_b128 v126, v[1:4]
.LBB103_193:
	s_wait_alu 0xfffe
	s_or_b32 exec_lo, exec_lo, s0
	s_wait_storecnt_dscnt 0x0
	s_barrier_signal -1
	s_barrier_wait -1
	global_inv scope:SCOPE_SE
	s_clause 0x7
	scratch_load_b128 v[2:5], off, off offset:512
	scratch_load_b128 v[6:9], off, off offset:528
	;; [unrolled: 1-line block ×8, first 2 shown]
	v_mov_b32_e32 v1, 0
	s_mov_b32 s0, exec_lo
	ds_load_b128 v[34:37], v1 offset:1136
	s_clause 0x1
	scratch_load_b128 v[38:41], off, off offset:640
	scratch_load_b128 v[42:45], off, off offset:496
	ds_load_b128 v[127:130], v1 offset:1152
	s_wait_loadcnt_dscnt 0x901
	v_mul_f64_e32 v[131:132], v[36:37], v[4:5]
	v_mul_f64_e32 v[4:5], v[34:35], v[4:5]
	s_wait_loadcnt_dscnt 0x800
	v_mul_f64_e32 v[133:134], v[127:128], v[8:9]
	v_mul_f64_e32 v[8:9], v[129:130], v[8:9]
	s_delay_alu instid0(VALU_DEP_4) | instskip(NEXT) | instid1(VALU_DEP_4)
	v_fma_f64 v[131:132], v[34:35], v[2:3], -v[131:132]
	v_fma_f64 v[135:136], v[36:37], v[2:3], v[4:5]
	ds_load_b128 v[2:5], v1 offset:1168
	ds_load_b128 v[34:37], v1 offset:1184
	v_fma_f64 v[129:130], v[129:130], v[6:7], v[133:134]
	v_fma_f64 v[6:7], v[127:128], v[6:7], -v[8:9]
	s_wait_loadcnt_dscnt 0x701
	v_mul_f64_e32 v[137:138], v[2:3], v[12:13]
	v_mul_f64_e32 v[12:13], v[4:5], v[12:13]
	v_add_f64_e32 v[8:9], 0, v[131:132]
	v_add_f64_e32 v[127:128], 0, v[135:136]
	s_wait_loadcnt_dscnt 0x600
	v_mul_f64_e32 v[131:132], v[34:35], v[16:17]
	v_mul_f64_e32 v[16:17], v[36:37], v[16:17]
	v_fma_f64 v[133:134], v[4:5], v[10:11], v[137:138]
	v_fma_f64 v[10:11], v[2:3], v[10:11], -v[12:13]
	v_add_f64_e32 v[12:13], v[8:9], v[6:7]
	v_add_f64_e32 v[127:128], v[127:128], v[129:130]
	ds_load_b128 v[2:5], v1 offset:1200
	ds_load_b128 v[6:9], v1 offset:1216
	v_fma_f64 v[36:37], v[36:37], v[14:15], v[131:132]
	v_fma_f64 v[14:15], v[34:35], v[14:15], -v[16:17]
	s_wait_loadcnt_dscnt 0x501
	v_mul_f64_e32 v[129:130], v[2:3], v[20:21]
	v_mul_f64_e32 v[20:21], v[4:5], v[20:21]
	s_wait_loadcnt_dscnt 0x400
	v_mul_f64_e32 v[16:17], v[6:7], v[24:25]
	v_mul_f64_e32 v[24:25], v[8:9], v[24:25]
	v_add_f64_e32 v[10:11], v[12:13], v[10:11]
	v_add_f64_e32 v[12:13], v[127:128], v[133:134]
	v_fma_f64 v[34:35], v[4:5], v[18:19], v[129:130]
	v_fma_f64 v[18:19], v[2:3], v[18:19], -v[20:21]
	v_fma_f64 v[8:9], v[8:9], v[22:23], v[16:17]
	v_fma_f64 v[6:7], v[6:7], v[22:23], -v[24:25]
	v_add_f64_e32 v[14:15], v[10:11], v[14:15]
	v_add_f64_e32 v[20:21], v[12:13], v[36:37]
	ds_load_b128 v[2:5], v1 offset:1232
	ds_load_b128 v[10:13], v1 offset:1248
	s_wait_loadcnt_dscnt 0x301
	v_mul_f64_e32 v[36:37], v[2:3], v[28:29]
	v_mul_f64_e32 v[28:29], v[4:5], v[28:29]
	v_add_f64_e32 v[14:15], v[14:15], v[18:19]
	v_add_f64_e32 v[16:17], v[20:21], v[34:35]
	s_wait_loadcnt_dscnt 0x200
	v_mul_f64_e32 v[18:19], v[10:11], v[32:33]
	v_mul_f64_e32 v[20:21], v[12:13], v[32:33]
	v_fma_f64 v[22:23], v[4:5], v[26:27], v[36:37]
	v_fma_f64 v[24:25], v[2:3], v[26:27], -v[28:29]
	ds_load_b128 v[2:5], v1 offset:1264
	v_add_f64_e32 v[6:7], v[14:15], v[6:7]
	v_add_f64_e32 v[8:9], v[16:17], v[8:9]
	v_fma_f64 v[12:13], v[12:13], v[30:31], v[18:19]
	v_fma_f64 v[10:11], v[10:11], v[30:31], -v[20:21]
	s_wait_loadcnt_dscnt 0x100
	v_mul_f64_e32 v[14:15], v[2:3], v[40:41]
	v_mul_f64_e32 v[16:17], v[4:5], v[40:41]
	v_add_f64_e32 v[6:7], v[6:7], v[24:25]
	v_add_f64_e32 v[8:9], v[8:9], v[22:23]
	s_delay_alu instid0(VALU_DEP_4) | instskip(NEXT) | instid1(VALU_DEP_4)
	v_fma_f64 v[4:5], v[4:5], v[38:39], v[14:15]
	v_fma_f64 v[2:3], v[2:3], v[38:39], -v[16:17]
	s_delay_alu instid0(VALU_DEP_4) | instskip(NEXT) | instid1(VALU_DEP_4)
	v_add_f64_e32 v[6:7], v[6:7], v[10:11]
	v_add_f64_e32 v[8:9], v[8:9], v[12:13]
	s_delay_alu instid0(VALU_DEP_2) | instskip(NEXT) | instid1(VALU_DEP_2)
	v_add_f64_e32 v[2:3], v[6:7], v[2:3]
	v_add_f64_e32 v[4:5], v[8:9], v[4:5]
	s_wait_loadcnt 0x0
	s_delay_alu instid0(VALU_DEP_2) | instskip(NEXT) | instid1(VALU_DEP_2)
	v_add_f64_e64 v[2:3], v[42:43], -v[2:3]
	v_add_f64_e64 v[4:5], v[44:45], -v[4:5]
	scratch_store_b128 off, v[2:5], off offset:496
	v_cmpx_lt_u32_e32 29, v0
	s_cbranch_execz .LBB103_195
; %bb.194:
	scratch_load_b128 v[5:8], off, s21
	v_dual_mov_b32 v2, v1 :: v_dual_mov_b32 v3, v1
	v_mov_b32_e32 v4, v1
	scratch_store_b128 off, v[1:4], off offset:480
	s_wait_loadcnt 0x0
	ds_store_b128 v126, v[5:8]
.LBB103_195:
	s_wait_alu 0xfffe
	s_or_b32 exec_lo, exec_lo, s0
	s_wait_storecnt_dscnt 0x0
	s_barrier_signal -1
	s_barrier_wait -1
	global_inv scope:SCOPE_SE
	s_clause 0x8
	scratch_load_b128 v[2:5], off, off offset:496
	scratch_load_b128 v[6:9], off, off offset:512
	;; [unrolled: 1-line block ×9, first 2 shown]
	ds_load_b128 v[38:41], v1 offset:1120
	ds_load_b128 v[42:45], v1 offset:1136
	s_clause 0x1
	scratch_load_b128 v[127:130], off, off offset:480
	scratch_load_b128 v[131:134], off, off offset:640
	s_mov_b32 s0, exec_lo
	s_wait_loadcnt_dscnt 0xa01
	v_mul_f64_e32 v[135:136], v[40:41], v[4:5]
	v_mul_f64_e32 v[4:5], v[38:39], v[4:5]
	s_wait_loadcnt_dscnt 0x900
	v_mul_f64_e32 v[137:138], v[42:43], v[8:9]
	v_mul_f64_e32 v[8:9], v[44:45], v[8:9]
	s_delay_alu instid0(VALU_DEP_4) | instskip(NEXT) | instid1(VALU_DEP_4)
	v_fma_f64 v[135:136], v[38:39], v[2:3], -v[135:136]
	v_fma_f64 v[139:140], v[40:41], v[2:3], v[4:5]
	ds_load_b128 v[2:5], v1 offset:1152
	ds_load_b128 v[38:41], v1 offset:1168
	v_fma_f64 v[44:45], v[44:45], v[6:7], v[137:138]
	v_fma_f64 v[6:7], v[42:43], v[6:7], -v[8:9]
	s_wait_loadcnt_dscnt 0x801
	v_mul_f64_e32 v[141:142], v[2:3], v[12:13]
	v_mul_f64_e32 v[12:13], v[4:5], v[12:13]
	v_add_f64_e32 v[8:9], 0, v[135:136]
	v_add_f64_e32 v[42:43], 0, v[139:140]
	s_wait_loadcnt_dscnt 0x700
	v_mul_f64_e32 v[135:136], v[38:39], v[16:17]
	v_mul_f64_e32 v[16:17], v[40:41], v[16:17]
	v_fma_f64 v[137:138], v[4:5], v[10:11], v[141:142]
	v_fma_f64 v[10:11], v[2:3], v[10:11], -v[12:13]
	v_add_f64_e32 v[12:13], v[8:9], v[6:7]
	v_add_f64_e32 v[42:43], v[42:43], v[44:45]
	ds_load_b128 v[2:5], v1 offset:1184
	ds_load_b128 v[6:9], v1 offset:1200
	v_fma_f64 v[40:41], v[40:41], v[14:15], v[135:136]
	v_fma_f64 v[14:15], v[38:39], v[14:15], -v[16:17]
	s_wait_loadcnt_dscnt 0x601
	v_mul_f64_e32 v[44:45], v[2:3], v[20:21]
	v_mul_f64_e32 v[20:21], v[4:5], v[20:21]
	s_wait_loadcnt_dscnt 0x500
	v_mul_f64_e32 v[16:17], v[6:7], v[24:25]
	v_mul_f64_e32 v[24:25], v[8:9], v[24:25]
	v_add_f64_e32 v[10:11], v[12:13], v[10:11]
	v_add_f64_e32 v[12:13], v[42:43], v[137:138]
	v_fma_f64 v[38:39], v[4:5], v[18:19], v[44:45]
	v_fma_f64 v[18:19], v[2:3], v[18:19], -v[20:21]
	v_fma_f64 v[8:9], v[8:9], v[22:23], v[16:17]
	v_fma_f64 v[6:7], v[6:7], v[22:23], -v[24:25]
	v_add_f64_e32 v[14:15], v[10:11], v[14:15]
	v_add_f64_e32 v[20:21], v[12:13], v[40:41]
	ds_load_b128 v[2:5], v1 offset:1216
	ds_load_b128 v[10:13], v1 offset:1232
	s_wait_loadcnt_dscnt 0x401
	v_mul_f64_e32 v[40:41], v[2:3], v[28:29]
	v_mul_f64_e32 v[28:29], v[4:5], v[28:29]
	v_add_f64_e32 v[14:15], v[14:15], v[18:19]
	v_add_f64_e32 v[16:17], v[20:21], v[38:39]
	s_wait_loadcnt_dscnt 0x300
	v_mul_f64_e32 v[18:19], v[10:11], v[32:33]
	v_mul_f64_e32 v[20:21], v[12:13], v[32:33]
	v_fma_f64 v[22:23], v[4:5], v[26:27], v[40:41]
	v_fma_f64 v[24:25], v[2:3], v[26:27], -v[28:29]
	v_add_f64_e32 v[14:15], v[14:15], v[6:7]
	v_add_f64_e32 v[16:17], v[16:17], v[8:9]
	ds_load_b128 v[2:5], v1 offset:1248
	ds_load_b128 v[6:9], v1 offset:1264
	v_fma_f64 v[12:13], v[12:13], v[30:31], v[18:19]
	v_fma_f64 v[10:11], v[10:11], v[30:31], -v[20:21]
	s_wait_loadcnt_dscnt 0x201
	v_mul_f64_e32 v[26:27], v[2:3], v[36:37]
	v_mul_f64_e32 v[28:29], v[4:5], v[36:37]
	s_wait_loadcnt_dscnt 0x0
	v_mul_f64_e32 v[18:19], v[6:7], v[133:134]
	v_mul_f64_e32 v[20:21], v[8:9], v[133:134]
	v_add_f64_e32 v[14:15], v[14:15], v[24:25]
	v_add_f64_e32 v[16:17], v[16:17], v[22:23]
	v_fma_f64 v[4:5], v[4:5], v[34:35], v[26:27]
	v_fma_f64 v[1:2], v[2:3], v[34:35], -v[28:29]
	v_fma_f64 v[8:9], v[8:9], v[131:132], v[18:19]
	v_fma_f64 v[6:7], v[6:7], v[131:132], -v[20:21]
	v_add_f64_e32 v[10:11], v[14:15], v[10:11]
	v_add_f64_e32 v[12:13], v[16:17], v[12:13]
	s_delay_alu instid0(VALU_DEP_2) | instskip(NEXT) | instid1(VALU_DEP_2)
	v_add_f64_e32 v[1:2], v[10:11], v[1:2]
	v_add_f64_e32 v[3:4], v[12:13], v[4:5]
	s_delay_alu instid0(VALU_DEP_2) | instskip(NEXT) | instid1(VALU_DEP_2)
	;; [unrolled: 3-line block ×3, first 2 shown]
	v_add_f64_e64 v[1:2], v[127:128], -v[1:2]
	v_add_f64_e64 v[3:4], v[129:130], -v[3:4]
	scratch_store_b128 off, v[1:4], off offset:480
	v_cmpx_lt_u32_e32 28, v0
	s_cbranch_execz .LBB103_197
; %bb.196:
	scratch_load_b128 v[1:4], off, s41
	v_mov_b32_e32 v5, 0
	s_delay_alu instid0(VALU_DEP_1)
	v_dual_mov_b32 v6, v5 :: v_dual_mov_b32 v7, v5
	v_mov_b32_e32 v8, v5
	scratch_store_b128 off, v[5:8], off offset:464
	s_wait_loadcnt 0x0
	ds_store_b128 v126, v[1:4]
.LBB103_197:
	s_wait_alu 0xfffe
	s_or_b32 exec_lo, exec_lo, s0
	s_wait_storecnt_dscnt 0x0
	s_barrier_signal -1
	s_barrier_wait -1
	global_inv scope:SCOPE_SE
	s_clause 0x7
	scratch_load_b128 v[2:5], off, off offset:480
	scratch_load_b128 v[6:9], off, off offset:496
	;; [unrolled: 1-line block ×8, first 2 shown]
	v_mov_b32_e32 v1, 0
	s_mov_b32 s0, exec_lo
	ds_load_b128 v[34:37], v1 offset:1104
	s_clause 0x1
	scratch_load_b128 v[38:41], off, off offset:608
	scratch_load_b128 v[42:45], off, off offset:464
	ds_load_b128 v[127:130], v1 offset:1120
	scratch_load_b128 v[131:134], off, off offset:624
	s_wait_loadcnt_dscnt 0xa01
	v_mul_f64_e32 v[135:136], v[36:37], v[4:5]
	v_mul_f64_e32 v[4:5], v[34:35], v[4:5]
	s_delay_alu instid0(VALU_DEP_2) | instskip(NEXT) | instid1(VALU_DEP_2)
	v_fma_f64 v[141:142], v[34:35], v[2:3], -v[135:136]
	v_fma_f64 v[143:144], v[36:37], v[2:3], v[4:5]
	ds_load_b128 v[2:5], v1 offset:1136
	s_wait_loadcnt_dscnt 0x901
	v_mul_f64_e32 v[139:140], v[127:128], v[8:9]
	v_mul_f64_e32 v[8:9], v[129:130], v[8:9]
	scratch_load_b128 v[34:37], off, off offset:640
	ds_load_b128 v[135:138], v1 offset:1152
	s_wait_loadcnt_dscnt 0x901
	v_mul_f64_e32 v[145:146], v[2:3], v[12:13]
	v_mul_f64_e32 v[12:13], v[4:5], v[12:13]
	v_fma_f64 v[129:130], v[129:130], v[6:7], v[139:140]
	v_fma_f64 v[6:7], v[127:128], v[6:7], -v[8:9]
	v_add_f64_e32 v[8:9], 0, v[141:142]
	v_add_f64_e32 v[127:128], 0, v[143:144]
	s_wait_loadcnt_dscnt 0x800
	v_mul_f64_e32 v[139:140], v[135:136], v[16:17]
	v_mul_f64_e32 v[16:17], v[137:138], v[16:17]
	v_fma_f64 v[141:142], v[4:5], v[10:11], v[145:146]
	v_fma_f64 v[10:11], v[2:3], v[10:11], -v[12:13]
	v_add_f64_e32 v[12:13], v[8:9], v[6:7]
	v_add_f64_e32 v[127:128], v[127:128], v[129:130]
	ds_load_b128 v[2:5], v1 offset:1168
	ds_load_b128 v[6:9], v1 offset:1184
	v_fma_f64 v[137:138], v[137:138], v[14:15], v[139:140]
	v_fma_f64 v[14:15], v[135:136], v[14:15], -v[16:17]
	s_wait_loadcnt_dscnt 0x701
	v_mul_f64_e32 v[129:130], v[2:3], v[20:21]
	v_mul_f64_e32 v[20:21], v[4:5], v[20:21]
	s_wait_loadcnt_dscnt 0x600
	v_mul_f64_e32 v[16:17], v[6:7], v[24:25]
	v_mul_f64_e32 v[24:25], v[8:9], v[24:25]
	v_add_f64_e32 v[10:11], v[12:13], v[10:11]
	v_add_f64_e32 v[12:13], v[127:128], v[141:142]
	v_fma_f64 v[127:128], v[4:5], v[18:19], v[129:130]
	v_fma_f64 v[18:19], v[2:3], v[18:19], -v[20:21]
	v_fma_f64 v[8:9], v[8:9], v[22:23], v[16:17]
	v_fma_f64 v[6:7], v[6:7], v[22:23], -v[24:25]
	v_add_f64_e32 v[14:15], v[10:11], v[14:15]
	v_add_f64_e32 v[20:21], v[12:13], v[137:138]
	ds_load_b128 v[2:5], v1 offset:1200
	ds_load_b128 v[10:13], v1 offset:1216
	s_wait_loadcnt_dscnt 0x501
	v_mul_f64_e32 v[129:130], v[2:3], v[28:29]
	v_mul_f64_e32 v[28:29], v[4:5], v[28:29]
	v_add_f64_e32 v[14:15], v[14:15], v[18:19]
	v_add_f64_e32 v[16:17], v[20:21], v[127:128]
	s_wait_loadcnt_dscnt 0x400
	v_mul_f64_e32 v[18:19], v[10:11], v[32:33]
	v_mul_f64_e32 v[20:21], v[12:13], v[32:33]
	v_fma_f64 v[22:23], v[4:5], v[26:27], v[129:130]
	v_fma_f64 v[24:25], v[2:3], v[26:27], -v[28:29]
	v_add_f64_e32 v[14:15], v[14:15], v[6:7]
	v_add_f64_e32 v[16:17], v[16:17], v[8:9]
	ds_load_b128 v[2:5], v1 offset:1232
	ds_load_b128 v[6:9], v1 offset:1248
	v_fma_f64 v[12:13], v[12:13], v[30:31], v[18:19]
	v_fma_f64 v[10:11], v[10:11], v[30:31], -v[20:21]
	s_wait_loadcnt_dscnt 0x301
	v_mul_f64_e32 v[26:27], v[2:3], v[40:41]
	v_mul_f64_e32 v[28:29], v[4:5], v[40:41]
	s_wait_loadcnt_dscnt 0x100
	v_mul_f64_e32 v[18:19], v[6:7], v[133:134]
	v_mul_f64_e32 v[20:21], v[8:9], v[133:134]
	v_add_f64_e32 v[14:15], v[14:15], v[24:25]
	v_add_f64_e32 v[16:17], v[16:17], v[22:23]
	v_fma_f64 v[22:23], v[4:5], v[38:39], v[26:27]
	v_fma_f64 v[24:25], v[2:3], v[38:39], -v[28:29]
	ds_load_b128 v[2:5], v1 offset:1264
	v_fma_f64 v[8:9], v[8:9], v[131:132], v[18:19]
	v_fma_f64 v[6:7], v[6:7], v[131:132], -v[20:21]
	v_add_f64_e32 v[10:11], v[14:15], v[10:11]
	v_add_f64_e32 v[12:13], v[16:17], v[12:13]
	s_wait_loadcnt_dscnt 0x0
	v_mul_f64_e32 v[14:15], v[2:3], v[36:37]
	v_mul_f64_e32 v[16:17], v[4:5], v[36:37]
	s_delay_alu instid0(VALU_DEP_4) | instskip(NEXT) | instid1(VALU_DEP_4)
	v_add_f64_e32 v[10:11], v[10:11], v[24:25]
	v_add_f64_e32 v[12:13], v[12:13], v[22:23]
	s_delay_alu instid0(VALU_DEP_4) | instskip(NEXT) | instid1(VALU_DEP_4)
	v_fma_f64 v[4:5], v[4:5], v[34:35], v[14:15]
	v_fma_f64 v[2:3], v[2:3], v[34:35], -v[16:17]
	s_delay_alu instid0(VALU_DEP_4) | instskip(NEXT) | instid1(VALU_DEP_4)
	v_add_f64_e32 v[6:7], v[10:11], v[6:7]
	v_add_f64_e32 v[8:9], v[12:13], v[8:9]
	s_delay_alu instid0(VALU_DEP_2) | instskip(NEXT) | instid1(VALU_DEP_2)
	v_add_f64_e32 v[2:3], v[6:7], v[2:3]
	v_add_f64_e32 v[4:5], v[8:9], v[4:5]
	s_delay_alu instid0(VALU_DEP_2) | instskip(NEXT) | instid1(VALU_DEP_2)
	v_add_f64_e64 v[2:3], v[42:43], -v[2:3]
	v_add_f64_e64 v[4:5], v[44:45], -v[4:5]
	scratch_store_b128 off, v[2:5], off offset:464
	v_cmpx_lt_u32_e32 27, v0
	s_cbranch_execz .LBB103_199
; %bb.198:
	scratch_load_b128 v[5:8], off, s20
	v_dual_mov_b32 v2, v1 :: v_dual_mov_b32 v3, v1
	v_mov_b32_e32 v4, v1
	scratch_store_b128 off, v[1:4], off offset:448
	s_wait_loadcnt 0x0
	ds_store_b128 v126, v[5:8]
.LBB103_199:
	s_wait_alu 0xfffe
	s_or_b32 exec_lo, exec_lo, s0
	s_wait_storecnt_dscnt 0x0
	s_barrier_signal -1
	s_barrier_wait -1
	global_inv scope:SCOPE_SE
	s_clause 0x8
	scratch_load_b128 v[2:5], off, off offset:464
	scratch_load_b128 v[6:9], off, off offset:480
	scratch_load_b128 v[10:13], off, off offset:496
	scratch_load_b128 v[14:17], off, off offset:512
	scratch_load_b128 v[18:21], off, off offset:528
	scratch_load_b128 v[22:25], off, off offset:544
	scratch_load_b128 v[26:29], off, off offset:560
	scratch_load_b128 v[30:33], off, off offset:576
	scratch_load_b128 v[34:37], off, off offset:592
	ds_load_b128 v[38:41], v1 offset:1088
	ds_load_b128 v[42:45], v1 offset:1104
	s_clause 0x1
	scratch_load_b128 v[127:130], off, off offset:448
	scratch_load_b128 v[131:134], off, off offset:608
	s_mov_b32 s0, exec_lo
	s_wait_loadcnt_dscnt 0xa01
	v_mul_f64_e32 v[135:136], v[40:41], v[4:5]
	v_mul_f64_e32 v[4:5], v[38:39], v[4:5]
	s_wait_loadcnt_dscnt 0x900
	v_mul_f64_e32 v[139:140], v[42:43], v[8:9]
	v_mul_f64_e32 v[8:9], v[44:45], v[8:9]
	s_delay_alu instid0(VALU_DEP_4) | instskip(NEXT) | instid1(VALU_DEP_4)
	v_fma_f64 v[141:142], v[38:39], v[2:3], -v[135:136]
	v_fma_f64 v[143:144], v[40:41], v[2:3], v[4:5]
	ds_load_b128 v[2:5], v1 offset:1120
	ds_load_b128 v[135:138], v1 offset:1136
	scratch_load_b128 v[38:41], off, off offset:624
	v_fma_f64 v[44:45], v[44:45], v[6:7], v[139:140]
	v_fma_f64 v[42:43], v[42:43], v[6:7], -v[8:9]
	scratch_load_b128 v[6:9], off, off offset:640
	s_wait_loadcnt_dscnt 0xa01
	v_mul_f64_e32 v[145:146], v[2:3], v[12:13]
	v_mul_f64_e32 v[12:13], v[4:5], v[12:13]
	v_add_f64_e32 v[139:140], 0, v[141:142]
	v_add_f64_e32 v[141:142], 0, v[143:144]
	s_wait_loadcnt_dscnt 0x900
	v_mul_f64_e32 v[143:144], v[135:136], v[16:17]
	v_mul_f64_e32 v[16:17], v[137:138], v[16:17]
	v_fma_f64 v[145:146], v[4:5], v[10:11], v[145:146]
	v_fma_f64 v[147:148], v[2:3], v[10:11], -v[12:13]
	ds_load_b128 v[2:5], v1 offset:1152
	ds_load_b128 v[10:13], v1 offset:1168
	v_add_f64_e32 v[42:43], v[139:140], v[42:43]
	v_add_f64_e32 v[44:45], v[141:142], v[44:45]
	v_fma_f64 v[137:138], v[137:138], v[14:15], v[143:144]
	v_fma_f64 v[14:15], v[135:136], v[14:15], -v[16:17]
	s_wait_loadcnt_dscnt 0x801
	v_mul_f64_e32 v[139:140], v[2:3], v[20:21]
	v_mul_f64_e32 v[20:21], v[4:5], v[20:21]
	v_add_f64_e32 v[16:17], v[42:43], v[147:148]
	v_add_f64_e32 v[42:43], v[44:45], v[145:146]
	s_wait_loadcnt_dscnt 0x700
	v_mul_f64_e32 v[44:45], v[10:11], v[24:25]
	v_mul_f64_e32 v[24:25], v[12:13], v[24:25]
	v_fma_f64 v[135:136], v[4:5], v[18:19], v[139:140]
	v_fma_f64 v[18:19], v[2:3], v[18:19], -v[20:21]
	v_add_f64_e32 v[20:21], v[16:17], v[14:15]
	v_add_f64_e32 v[42:43], v[42:43], v[137:138]
	ds_load_b128 v[2:5], v1 offset:1184
	ds_load_b128 v[14:17], v1 offset:1200
	v_fma_f64 v[12:13], v[12:13], v[22:23], v[44:45]
	v_fma_f64 v[10:11], v[10:11], v[22:23], -v[24:25]
	s_wait_loadcnt_dscnt 0x601
	v_mul_f64_e32 v[137:138], v[2:3], v[28:29]
	v_mul_f64_e32 v[28:29], v[4:5], v[28:29]
	s_wait_loadcnt_dscnt 0x500
	v_mul_f64_e32 v[22:23], v[14:15], v[32:33]
	v_mul_f64_e32 v[24:25], v[16:17], v[32:33]
	v_add_f64_e32 v[18:19], v[20:21], v[18:19]
	v_add_f64_e32 v[20:21], v[42:43], v[135:136]
	v_fma_f64 v[32:33], v[4:5], v[26:27], v[137:138]
	v_fma_f64 v[26:27], v[2:3], v[26:27], -v[28:29]
	v_fma_f64 v[16:17], v[16:17], v[30:31], v[22:23]
	v_fma_f64 v[14:15], v[14:15], v[30:31], -v[24:25]
	v_add_f64_e32 v[18:19], v[18:19], v[10:11]
	v_add_f64_e32 v[20:21], v[20:21], v[12:13]
	ds_load_b128 v[2:5], v1 offset:1216
	ds_load_b128 v[10:13], v1 offset:1232
	s_wait_loadcnt_dscnt 0x401
	v_mul_f64_e32 v[28:29], v[2:3], v[36:37]
	v_mul_f64_e32 v[36:37], v[4:5], v[36:37]
	s_wait_loadcnt_dscnt 0x200
	v_mul_f64_e32 v[22:23], v[10:11], v[133:134]
	v_mul_f64_e32 v[24:25], v[12:13], v[133:134]
	v_add_f64_e32 v[18:19], v[18:19], v[26:27]
	v_add_f64_e32 v[20:21], v[20:21], v[32:33]
	v_fma_f64 v[26:27], v[4:5], v[34:35], v[28:29]
	v_fma_f64 v[28:29], v[2:3], v[34:35], -v[36:37]
	v_fma_f64 v[12:13], v[12:13], v[131:132], v[22:23]
	v_fma_f64 v[10:11], v[10:11], v[131:132], -v[24:25]
	v_add_f64_e32 v[18:19], v[18:19], v[14:15]
	v_add_f64_e32 v[20:21], v[20:21], v[16:17]
	ds_load_b128 v[2:5], v1 offset:1248
	ds_load_b128 v[14:17], v1 offset:1264
	s_wait_loadcnt_dscnt 0x101
	v_mul_f64_e32 v[30:31], v[2:3], v[40:41]
	v_mul_f64_e32 v[32:33], v[4:5], v[40:41]
	s_wait_loadcnt_dscnt 0x0
	v_mul_f64_e32 v[22:23], v[14:15], v[8:9]
	v_mul_f64_e32 v[8:9], v[16:17], v[8:9]
	v_add_f64_e32 v[18:19], v[18:19], v[28:29]
	v_add_f64_e32 v[20:21], v[20:21], v[26:27]
	v_fma_f64 v[4:5], v[4:5], v[38:39], v[30:31]
	v_fma_f64 v[1:2], v[2:3], v[38:39], -v[32:33]
	v_fma_f64 v[16:17], v[16:17], v[6:7], v[22:23]
	v_fma_f64 v[6:7], v[14:15], v[6:7], -v[8:9]
	v_add_f64_e32 v[10:11], v[18:19], v[10:11]
	v_add_f64_e32 v[12:13], v[20:21], v[12:13]
	s_delay_alu instid0(VALU_DEP_2) | instskip(NEXT) | instid1(VALU_DEP_2)
	v_add_f64_e32 v[1:2], v[10:11], v[1:2]
	v_add_f64_e32 v[3:4], v[12:13], v[4:5]
	s_delay_alu instid0(VALU_DEP_2) | instskip(NEXT) | instid1(VALU_DEP_2)
	;; [unrolled: 3-line block ×3, first 2 shown]
	v_add_f64_e64 v[1:2], v[127:128], -v[1:2]
	v_add_f64_e64 v[3:4], v[129:130], -v[3:4]
	scratch_store_b128 off, v[1:4], off offset:448
	v_cmpx_lt_u32_e32 26, v0
	s_cbranch_execz .LBB103_201
; %bb.200:
	scratch_load_b128 v[1:4], off, s40
	v_mov_b32_e32 v5, 0
	s_delay_alu instid0(VALU_DEP_1)
	v_dual_mov_b32 v6, v5 :: v_dual_mov_b32 v7, v5
	v_mov_b32_e32 v8, v5
	scratch_store_b128 off, v[5:8], off offset:432
	s_wait_loadcnt 0x0
	ds_store_b128 v126, v[1:4]
.LBB103_201:
	s_wait_alu 0xfffe
	s_or_b32 exec_lo, exec_lo, s0
	s_wait_storecnt_dscnt 0x0
	s_barrier_signal -1
	s_barrier_wait -1
	global_inv scope:SCOPE_SE
	s_clause 0x7
	scratch_load_b128 v[2:5], off, off offset:448
	scratch_load_b128 v[6:9], off, off offset:464
	scratch_load_b128 v[10:13], off, off offset:480
	scratch_load_b128 v[14:17], off, off offset:496
	scratch_load_b128 v[18:21], off, off offset:512
	scratch_load_b128 v[22:25], off, off offset:528
	scratch_load_b128 v[26:29], off, off offset:544
	scratch_load_b128 v[30:33], off, off offset:560
	v_mov_b32_e32 v1, 0
	s_mov_b32 s0, exec_lo
	ds_load_b128 v[34:37], v1 offset:1072
	s_clause 0x1
	scratch_load_b128 v[38:41], off, off offset:576
	scratch_load_b128 v[42:45], off, off offset:432
	ds_load_b128 v[127:130], v1 offset:1088
	scratch_load_b128 v[131:134], off, off offset:592
	s_wait_loadcnt_dscnt 0xa01
	v_mul_f64_e32 v[135:136], v[36:37], v[4:5]
	v_mul_f64_e32 v[4:5], v[34:35], v[4:5]
	s_delay_alu instid0(VALU_DEP_2) | instskip(NEXT) | instid1(VALU_DEP_2)
	v_fma_f64 v[141:142], v[34:35], v[2:3], -v[135:136]
	v_fma_f64 v[143:144], v[36:37], v[2:3], v[4:5]
	ds_load_b128 v[2:5], v1 offset:1104
	s_wait_loadcnt_dscnt 0x901
	v_mul_f64_e32 v[139:140], v[127:128], v[8:9]
	v_mul_f64_e32 v[8:9], v[129:130], v[8:9]
	scratch_load_b128 v[34:37], off, off offset:608
	ds_load_b128 v[135:138], v1 offset:1120
	s_wait_loadcnt_dscnt 0x901
	v_mul_f64_e32 v[145:146], v[2:3], v[12:13]
	v_mul_f64_e32 v[12:13], v[4:5], v[12:13]
	v_fma_f64 v[129:130], v[129:130], v[6:7], v[139:140]
	v_fma_f64 v[127:128], v[127:128], v[6:7], -v[8:9]
	v_add_f64_e32 v[139:140], 0, v[141:142]
	v_add_f64_e32 v[141:142], 0, v[143:144]
	scratch_load_b128 v[6:9], off, off offset:624
	v_fma_f64 v[145:146], v[4:5], v[10:11], v[145:146]
	v_fma_f64 v[147:148], v[2:3], v[10:11], -v[12:13]
	ds_load_b128 v[2:5], v1 offset:1136
	s_wait_loadcnt_dscnt 0x901
	v_mul_f64_e32 v[143:144], v[135:136], v[16:17]
	v_mul_f64_e32 v[16:17], v[137:138], v[16:17]
	scratch_load_b128 v[10:13], off, off offset:640
	v_add_f64_e32 v[139:140], v[139:140], v[127:128]
	v_add_f64_e32 v[141:142], v[141:142], v[129:130]
	s_wait_loadcnt_dscnt 0x900
	v_mul_f64_e32 v[149:150], v[2:3], v[20:21]
	v_mul_f64_e32 v[20:21], v[4:5], v[20:21]
	ds_load_b128 v[127:130], v1 offset:1152
	v_fma_f64 v[137:138], v[137:138], v[14:15], v[143:144]
	v_fma_f64 v[14:15], v[135:136], v[14:15], -v[16:17]
	v_add_f64_e32 v[16:17], v[139:140], v[147:148]
	v_add_f64_e32 v[135:136], v[141:142], v[145:146]
	s_wait_loadcnt_dscnt 0x800
	v_mul_f64_e32 v[139:140], v[127:128], v[24:25]
	v_mul_f64_e32 v[24:25], v[129:130], v[24:25]
	v_fma_f64 v[141:142], v[4:5], v[18:19], v[149:150]
	v_fma_f64 v[18:19], v[2:3], v[18:19], -v[20:21]
	v_add_f64_e32 v[20:21], v[16:17], v[14:15]
	v_add_f64_e32 v[135:136], v[135:136], v[137:138]
	ds_load_b128 v[2:5], v1 offset:1168
	ds_load_b128 v[14:17], v1 offset:1184
	v_fma_f64 v[129:130], v[129:130], v[22:23], v[139:140]
	v_fma_f64 v[22:23], v[127:128], v[22:23], -v[24:25]
	s_wait_loadcnt_dscnt 0x701
	v_mul_f64_e32 v[137:138], v[2:3], v[28:29]
	v_mul_f64_e32 v[28:29], v[4:5], v[28:29]
	s_wait_loadcnt_dscnt 0x600
	v_mul_f64_e32 v[24:25], v[14:15], v[32:33]
	v_mul_f64_e32 v[32:33], v[16:17], v[32:33]
	v_add_f64_e32 v[18:19], v[20:21], v[18:19]
	v_add_f64_e32 v[20:21], v[135:136], v[141:142]
	v_fma_f64 v[127:128], v[4:5], v[26:27], v[137:138]
	v_fma_f64 v[26:27], v[2:3], v[26:27], -v[28:29]
	v_fma_f64 v[16:17], v[16:17], v[30:31], v[24:25]
	v_fma_f64 v[14:15], v[14:15], v[30:31], -v[32:33]
	v_add_f64_e32 v[22:23], v[18:19], v[22:23]
	v_add_f64_e32 v[28:29], v[20:21], v[129:130]
	ds_load_b128 v[2:5], v1 offset:1200
	ds_load_b128 v[18:21], v1 offset:1216
	s_wait_loadcnt_dscnt 0x501
	v_mul_f64_e32 v[129:130], v[2:3], v[40:41]
	v_mul_f64_e32 v[40:41], v[4:5], v[40:41]
	v_add_f64_e32 v[22:23], v[22:23], v[26:27]
	v_add_f64_e32 v[24:25], v[28:29], v[127:128]
	s_wait_loadcnt_dscnt 0x300
	v_mul_f64_e32 v[26:27], v[18:19], v[133:134]
	v_mul_f64_e32 v[28:29], v[20:21], v[133:134]
	v_fma_f64 v[30:31], v[4:5], v[38:39], v[129:130]
	v_fma_f64 v[32:33], v[2:3], v[38:39], -v[40:41]
	v_add_f64_e32 v[22:23], v[22:23], v[14:15]
	v_add_f64_e32 v[24:25], v[24:25], v[16:17]
	ds_load_b128 v[2:5], v1 offset:1232
	ds_load_b128 v[14:17], v1 offset:1248
	v_fma_f64 v[20:21], v[20:21], v[131:132], v[26:27]
	v_fma_f64 v[18:19], v[18:19], v[131:132], -v[28:29]
	s_wait_loadcnt_dscnt 0x201
	v_mul_f64_e32 v[38:39], v[2:3], v[36:37]
	v_mul_f64_e32 v[36:37], v[4:5], v[36:37]
	v_add_f64_e32 v[22:23], v[22:23], v[32:33]
	v_add_f64_e32 v[24:25], v[24:25], v[30:31]
	s_wait_loadcnt_dscnt 0x100
	v_mul_f64_e32 v[26:27], v[14:15], v[8:9]
	v_mul_f64_e32 v[8:9], v[16:17], v[8:9]
	v_fma_f64 v[28:29], v[4:5], v[34:35], v[38:39]
	v_fma_f64 v[30:31], v[2:3], v[34:35], -v[36:37]
	ds_load_b128 v[2:5], v1 offset:1264
	v_add_f64_e32 v[18:19], v[22:23], v[18:19]
	v_add_f64_e32 v[20:21], v[24:25], v[20:21]
	s_wait_loadcnt_dscnt 0x0
	v_mul_f64_e32 v[22:23], v[2:3], v[12:13]
	v_mul_f64_e32 v[12:13], v[4:5], v[12:13]
	v_fma_f64 v[16:17], v[16:17], v[6:7], v[26:27]
	v_fma_f64 v[6:7], v[14:15], v[6:7], -v[8:9]
	v_add_f64_e32 v[8:9], v[18:19], v[30:31]
	v_add_f64_e32 v[14:15], v[20:21], v[28:29]
	v_fma_f64 v[4:5], v[4:5], v[10:11], v[22:23]
	v_fma_f64 v[2:3], v[2:3], v[10:11], -v[12:13]
	s_delay_alu instid0(VALU_DEP_4) | instskip(NEXT) | instid1(VALU_DEP_4)
	v_add_f64_e32 v[6:7], v[8:9], v[6:7]
	v_add_f64_e32 v[8:9], v[14:15], v[16:17]
	s_delay_alu instid0(VALU_DEP_2) | instskip(NEXT) | instid1(VALU_DEP_2)
	v_add_f64_e32 v[2:3], v[6:7], v[2:3]
	v_add_f64_e32 v[4:5], v[8:9], v[4:5]
	s_delay_alu instid0(VALU_DEP_2) | instskip(NEXT) | instid1(VALU_DEP_2)
	v_add_f64_e64 v[2:3], v[42:43], -v[2:3]
	v_add_f64_e64 v[4:5], v[44:45], -v[4:5]
	scratch_store_b128 off, v[2:5], off offset:432
	v_cmpx_lt_u32_e32 25, v0
	s_cbranch_execz .LBB103_203
; %bb.202:
	scratch_load_b128 v[5:8], off, s19
	v_dual_mov_b32 v2, v1 :: v_dual_mov_b32 v3, v1
	v_mov_b32_e32 v4, v1
	scratch_store_b128 off, v[1:4], off offset:416
	s_wait_loadcnt 0x0
	ds_store_b128 v126, v[5:8]
.LBB103_203:
	s_wait_alu 0xfffe
	s_or_b32 exec_lo, exec_lo, s0
	s_wait_storecnt_dscnt 0x0
	s_barrier_signal -1
	s_barrier_wait -1
	global_inv scope:SCOPE_SE
	s_clause 0x8
	scratch_load_b128 v[2:5], off, off offset:432
	scratch_load_b128 v[6:9], off, off offset:448
	;; [unrolled: 1-line block ×9, first 2 shown]
	ds_load_b128 v[38:41], v1 offset:1056
	ds_load_b128 v[42:45], v1 offset:1072
	s_clause 0x1
	scratch_load_b128 v[127:130], off, off offset:416
	scratch_load_b128 v[131:134], off, off offset:576
	s_mov_b32 s0, exec_lo
	s_wait_loadcnt_dscnt 0xa01
	v_mul_f64_e32 v[135:136], v[40:41], v[4:5]
	v_mul_f64_e32 v[4:5], v[38:39], v[4:5]
	s_wait_loadcnt_dscnt 0x900
	v_mul_f64_e32 v[139:140], v[42:43], v[8:9]
	v_mul_f64_e32 v[8:9], v[44:45], v[8:9]
	s_delay_alu instid0(VALU_DEP_4) | instskip(NEXT) | instid1(VALU_DEP_4)
	v_fma_f64 v[141:142], v[38:39], v[2:3], -v[135:136]
	v_fma_f64 v[143:144], v[40:41], v[2:3], v[4:5]
	ds_load_b128 v[2:5], v1 offset:1088
	ds_load_b128 v[135:138], v1 offset:1104
	scratch_load_b128 v[38:41], off, off offset:592
	v_fma_f64 v[44:45], v[44:45], v[6:7], v[139:140]
	v_fma_f64 v[42:43], v[42:43], v[6:7], -v[8:9]
	scratch_load_b128 v[6:9], off, off offset:608
	s_wait_loadcnt_dscnt 0xa01
	v_mul_f64_e32 v[145:146], v[2:3], v[12:13]
	v_mul_f64_e32 v[12:13], v[4:5], v[12:13]
	v_add_f64_e32 v[139:140], 0, v[141:142]
	v_add_f64_e32 v[141:142], 0, v[143:144]
	s_wait_loadcnt_dscnt 0x900
	v_mul_f64_e32 v[143:144], v[135:136], v[16:17]
	v_mul_f64_e32 v[16:17], v[137:138], v[16:17]
	v_fma_f64 v[145:146], v[4:5], v[10:11], v[145:146]
	v_fma_f64 v[147:148], v[2:3], v[10:11], -v[12:13]
	ds_load_b128 v[2:5], v1 offset:1120
	scratch_load_b128 v[10:13], off, off offset:624
	v_add_f64_e32 v[139:140], v[139:140], v[42:43]
	v_add_f64_e32 v[141:142], v[141:142], v[44:45]
	ds_load_b128 v[42:45], v1 offset:1136
	v_fma_f64 v[137:138], v[137:138], v[14:15], v[143:144]
	v_fma_f64 v[135:136], v[135:136], v[14:15], -v[16:17]
	scratch_load_b128 v[14:17], off, off offset:640
	s_wait_loadcnt_dscnt 0xa01
	v_mul_f64_e32 v[149:150], v[2:3], v[20:21]
	v_mul_f64_e32 v[20:21], v[4:5], v[20:21]
	s_wait_loadcnt_dscnt 0x900
	v_mul_f64_e32 v[143:144], v[42:43], v[24:25]
	v_mul_f64_e32 v[24:25], v[44:45], v[24:25]
	v_add_f64_e32 v[139:140], v[139:140], v[147:148]
	v_add_f64_e32 v[141:142], v[141:142], v[145:146]
	v_fma_f64 v[145:146], v[4:5], v[18:19], v[149:150]
	v_fma_f64 v[147:148], v[2:3], v[18:19], -v[20:21]
	ds_load_b128 v[2:5], v1 offset:1152
	ds_load_b128 v[18:21], v1 offset:1168
	v_fma_f64 v[44:45], v[44:45], v[22:23], v[143:144]
	v_fma_f64 v[22:23], v[42:43], v[22:23], -v[24:25]
	v_add_f64_e32 v[135:136], v[139:140], v[135:136]
	v_add_f64_e32 v[137:138], v[141:142], v[137:138]
	s_wait_loadcnt_dscnt 0x801
	v_mul_f64_e32 v[139:140], v[2:3], v[28:29]
	v_mul_f64_e32 v[28:29], v[4:5], v[28:29]
	s_delay_alu instid0(VALU_DEP_4) | instskip(NEXT) | instid1(VALU_DEP_4)
	v_add_f64_e32 v[24:25], v[135:136], v[147:148]
	v_add_f64_e32 v[42:43], v[137:138], v[145:146]
	s_wait_loadcnt_dscnt 0x700
	v_mul_f64_e32 v[135:136], v[18:19], v[32:33]
	v_mul_f64_e32 v[32:33], v[20:21], v[32:33]
	v_fma_f64 v[137:138], v[4:5], v[26:27], v[139:140]
	v_fma_f64 v[26:27], v[2:3], v[26:27], -v[28:29]
	v_add_f64_e32 v[28:29], v[24:25], v[22:23]
	v_add_f64_e32 v[42:43], v[42:43], v[44:45]
	ds_load_b128 v[2:5], v1 offset:1184
	ds_load_b128 v[22:25], v1 offset:1200
	v_fma_f64 v[20:21], v[20:21], v[30:31], v[135:136]
	v_fma_f64 v[18:19], v[18:19], v[30:31], -v[32:33]
	s_wait_loadcnt_dscnt 0x601
	v_mul_f64_e32 v[44:45], v[2:3], v[36:37]
	v_mul_f64_e32 v[36:37], v[4:5], v[36:37]
	s_wait_loadcnt_dscnt 0x400
	v_mul_f64_e32 v[30:31], v[22:23], v[133:134]
	v_mul_f64_e32 v[32:33], v[24:25], v[133:134]
	v_add_f64_e32 v[26:27], v[28:29], v[26:27]
	v_add_f64_e32 v[28:29], v[42:43], v[137:138]
	v_fma_f64 v[42:43], v[4:5], v[34:35], v[44:45]
	v_fma_f64 v[34:35], v[2:3], v[34:35], -v[36:37]
	v_fma_f64 v[24:25], v[24:25], v[131:132], v[30:31]
	v_fma_f64 v[22:23], v[22:23], v[131:132], -v[32:33]
	v_add_f64_e32 v[26:27], v[26:27], v[18:19]
	v_add_f64_e32 v[28:29], v[28:29], v[20:21]
	ds_load_b128 v[2:5], v1 offset:1216
	ds_load_b128 v[18:21], v1 offset:1232
	s_wait_loadcnt_dscnt 0x301
	v_mul_f64_e32 v[36:37], v[2:3], v[40:41]
	v_mul_f64_e32 v[40:41], v[4:5], v[40:41]
	s_wait_loadcnt_dscnt 0x200
	v_mul_f64_e32 v[30:31], v[18:19], v[8:9]
	v_mul_f64_e32 v[8:9], v[20:21], v[8:9]
	v_add_f64_e32 v[26:27], v[26:27], v[34:35]
	v_add_f64_e32 v[28:29], v[28:29], v[42:43]
	v_fma_f64 v[32:33], v[4:5], v[38:39], v[36:37]
	v_fma_f64 v[34:35], v[2:3], v[38:39], -v[40:41]
	v_fma_f64 v[20:21], v[20:21], v[6:7], v[30:31]
	v_fma_f64 v[6:7], v[18:19], v[6:7], -v[8:9]
	v_add_f64_e32 v[26:27], v[26:27], v[22:23]
	v_add_f64_e32 v[28:29], v[28:29], v[24:25]
	ds_load_b128 v[2:5], v1 offset:1248
	ds_load_b128 v[22:25], v1 offset:1264
	s_wait_loadcnt_dscnt 0x101
	v_mul_f64_e32 v[36:37], v[2:3], v[12:13]
	v_mul_f64_e32 v[12:13], v[4:5], v[12:13]
	v_add_f64_e32 v[8:9], v[26:27], v[34:35]
	v_add_f64_e32 v[18:19], v[28:29], v[32:33]
	s_wait_loadcnt_dscnt 0x0
	v_mul_f64_e32 v[26:27], v[22:23], v[16:17]
	v_mul_f64_e32 v[16:17], v[24:25], v[16:17]
	v_fma_f64 v[4:5], v[4:5], v[10:11], v[36:37]
	v_fma_f64 v[1:2], v[2:3], v[10:11], -v[12:13]
	v_add_f64_e32 v[6:7], v[8:9], v[6:7]
	v_add_f64_e32 v[8:9], v[18:19], v[20:21]
	v_fma_f64 v[10:11], v[24:25], v[14:15], v[26:27]
	v_fma_f64 v[12:13], v[22:23], v[14:15], -v[16:17]
	s_delay_alu instid0(VALU_DEP_4) | instskip(NEXT) | instid1(VALU_DEP_4)
	v_add_f64_e32 v[1:2], v[6:7], v[1:2]
	v_add_f64_e32 v[3:4], v[8:9], v[4:5]
	s_delay_alu instid0(VALU_DEP_2) | instskip(NEXT) | instid1(VALU_DEP_2)
	v_add_f64_e32 v[1:2], v[1:2], v[12:13]
	v_add_f64_e32 v[3:4], v[3:4], v[10:11]
	s_delay_alu instid0(VALU_DEP_2) | instskip(NEXT) | instid1(VALU_DEP_2)
	v_add_f64_e64 v[1:2], v[127:128], -v[1:2]
	v_add_f64_e64 v[3:4], v[129:130], -v[3:4]
	scratch_store_b128 off, v[1:4], off offset:416
	v_cmpx_lt_u32_e32 24, v0
	s_cbranch_execz .LBB103_205
; %bb.204:
	scratch_load_b128 v[1:4], off, s39
	v_mov_b32_e32 v5, 0
	s_delay_alu instid0(VALU_DEP_1)
	v_dual_mov_b32 v6, v5 :: v_dual_mov_b32 v7, v5
	v_mov_b32_e32 v8, v5
	scratch_store_b128 off, v[5:8], off offset:400
	s_wait_loadcnt 0x0
	ds_store_b128 v126, v[1:4]
.LBB103_205:
	s_wait_alu 0xfffe
	s_or_b32 exec_lo, exec_lo, s0
	s_wait_storecnt_dscnt 0x0
	s_barrier_signal -1
	s_barrier_wait -1
	global_inv scope:SCOPE_SE
	s_clause 0x7
	scratch_load_b128 v[2:5], off, off offset:416
	scratch_load_b128 v[6:9], off, off offset:432
	;; [unrolled: 1-line block ×8, first 2 shown]
	v_mov_b32_e32 v1, 0
	s_mov_b32 s0, exec_lo
	ds_load_b128 v[34:37], v1 offset:1040
	s_clause 0x1
	scratch_load_b128 v[38:41], off, off offset:544
	scratch_load_b128 v[42:45], off, off offset:400
	ds_load_b128 v[127:130], v1 offset:1056
	scratch_load_b128 v[131:134], off, off offset:560
	s_wait_loadcnt_dscnt 0xa01
	v_mul_f64_e32 v[135:136], v[36:37], v[4:5]
	v_mul_f64_e32 v[4:5], v[34:35], v[4:5]
	s_delay_alu instid0(VALU_DEP_2) | instskip(NEXT) | instid1(VALU_DEP_2)
	v_fma_f64 v[141:142], v[34:35], v[2:3], -v[135:136]
	v_fma_f64 v[143:144], v[36:37], v[2:3], v[4:5]
	ds_load_b128 v[2:5], v1 offset:1072
	s_wait_loadcnt_dscnt 0x901
	v_mul_f64_e32 v[139:140], v[127:128], v[8:9]
	v_mul_f64_e32 v[8:9], v[129:130], v[8:9]
	scratch_load_b128 v[34:37], off, off offset:576
	ds_load_b128 v[135:138], v1 offset:1088
	s_wait_loadcnt_dscnt 0x901
	v_mul_f64_e32 v[145:146], v[2:3], v[12:13]
	v_mul_f64_e32 v[12:13], v[4:5], v[12:13]
	v_fma_f64 v[129:130], v[129:130], v[6:7], v[139:140]
	v_fma_f64 v[127:128], v[127:128], v[6:7], -v[8:9]
	v_add_f64_e32 v[139:140], 0, v[141:142]
	v_add_f64_e32 v[141:142], 0, v[143:144]
	scratch_load_b128 v[6:9], off, off offset:592
	v_fma_f64 v[145:146], v[4:5], v[10:11], v[145:146]
	v_fma_f64 v[147:148], v[2:3], v[10:11], -v[12:13]
	ds_load_b128 v[2:5], v1 offset:1104
	s_wait_loadcnt_dscnt 0x901
	v_mul_f64_e32 v[143:144], v[135:136], v[16:17]
	v_mul_f64_e32 v[16:17], v[137:138], v[16:17]
	scratch_load_b128 v[10:13], off, off offset:608
	v_add_f64_e32 v[139:140], v[139:140], v[127:128]
	v_add_f64_e32 v[141:142], v[141:142], v[129:130]
	s_wait_loadcnt_dscnt 0x900
	v_mul_f64_e32 v[149:150], v[2:3], v[20:21]
	v_mul_f64_e32 v[20:21], v[4:5], v[20:21]
	ds_load_b128 v[127:130], v1 offset:1120
	v_fma_f64 v[137:138], v[137:138], v[14:15], v[143:144]
	v_fma_f64 v[135:136], v[135:136], v[14:15], -v[16:17]
	scratch_load_b128 v[14:17], off, off offset:624
	v_add_f64_e32 v[139:140], v[139:140], v[147:148]
	v_add_f64_e32 v[141:142], v[141:142], v[145:146]
	v_fma_f64 v[145:146], v[4:5], v[18:19], v[149:150]
	v_fma_f64 v[147:148], v[2:3], v[18:19], -v[20:21]
	ds_load_b128 v[2:5], v1 offset:1136
	s_wait_loadcnt_dscnt 0x901
	v_mul_f64_e32 v[143:144], v[127:128], v[24:25]
	v_mul_f64_e32 v[24:25], v[129:130], v[24:25]
	scratch_load_b128 v[18:21], off, off offset:640
	s_wait_loadcnt_dscnt 0x900
	v_mul_f64_e32 v[149:150], v[2:3], v[28:29]
	v_mul_f64_e32 v[28:29], v[4:5], v[28:29]
	v_add_f64_e32 v[139:140], v[139:140], v[135:136]
	v_add_f64_e32 v[141:142], v[141:142], v[137:138]
	ds_load_b128 v[135:138], v1 offset:1152
	v_fma_f64 v[129:130], v[129:130], v[22:23], v[143:144]
	v_fma_f64 v[22:23], v[127:128], v[22:23], -v[24:25]
	v_add_f64_e32 v[24:25], v[139:140], v[147:148]
	v_add_f64_e32 v[127:128], v[141:142], v[145:146]
	s_wait_loadcnt_dscnt 0x800
	v_mul_f64_e32 v[139:140], v[135:136], v[32:33]
	v_mul_f64_e32 v[32:33], v[137:138], v[32:33]
	v_fma_f64 v[141:142], v[4:5], v[26:27], v[149:150]
	v_fma_f64 v[26:27], v[2:3], v[26:27], -v[28:29]
	v_add_f64_e32 v[28:29], v[24:25], v[22:23]
	v_add_f64_e32 v[127:128], v[127:128], v[129:130]
	ds_load_b128 v[2:5], v1 offset:1168
	ds_load_b128 v[22:25], v1 offset:1184
	v_fma_f64 v[137:138], v[137:138], v[30:31], v[139:140]
	v_fma_f64 v[30:31], v[135:136], v[30:31], -v[32:33]
	s_wait_loadcnt_dscnt 0x701
	v_mul_f64_e32 v[129:130], v[2:3], v[40:41]
	v_mul_f64_e32 v[40:41], v[4:5], v[40:41]
	s_wait_loadcnt_dscnt 0x500
	v_mul_f64_e32 v[32:33], v[22:23], v[133:134]
	v_add_f64_e32 v[26:27], v[28:29], v[26:27]
	v_add_f64_e32 v[28:29], v[127:128], v[141:142]
	v_mul_f64_e32 v[127:128], v[24:25], v[133:134]
	v_fma_f64 v[129:130], v[4:5], v[38:39], v[129:130]
	v_fma_f64 v[38:39], v[2:3], v[38:39], -v[40:41]
	v_fma_f64 v[24:25], v[24:25], v[131:132], v[32:33]
	v_add_f64_e32 v[30:31], v[26:27], v[30:31]
	v_add_f64_e32 v[40:41], v[28:29], v[137:138]
	ds_load_b128 v[2:5], v1 offset:1200
	ds_load_b128 v[26:29], v1 offset:1216
	v_fma_f64 v[22:23], v[22:23], v[131:132], -v[127:128]
	s_wait_loadcnt_dscnt 0x401
	v_mul_f64_e32 v[133:134], v[2:3], v[36:37]
	v_mul_f64_e32 v[36:37], v[4:5], v[36:37]
	v_add_f64_e32 v[30:31], v[30:31], v[38:39]
	v_add_f64_e32 v[32:33], v[40:41], v[129:130]
	s_wait_loadcnt_dscnt 0x300
	v_mul_f64_e32 v[38:39], v[26:27], v[8:9]
	v_mul_f64_e32 v[8:9], v[28:29], v[8:9]
	v_fma_f64 v[40:41], v[4:5], v[34:35], v[133:134]
	v_fma_f64 v[34:35], v[2:3], v[34:35], -v[36:37]
	v_add_f64_e32 v[30:31], v[30:31], v[22:23]
	v_add_f64_e32 v[32:33], v[32:33], v[24:25]
	ds_load_b128 v[2:5], v1 offset:1232
	ds_load_b128 v[22:25], v1 offset:1248
	v_fma_f64 v[28:29], v[28:29], v[6:7], v[38:39]
	v_fma_f64 v[6:7], v[26:27], v[6:7], -v[8:9]
	s_wait_loadcnt_dscnt 0x201
	v_mul_f64_e32 v[36:37], v[2:3], v[12:13]
	v_mul_f64_e32 v[12:13], v[4:5], v[12:13]
	v_add_f64_e32 v[8:9], v[30:31], v[34:35]
	v_add_f64_e32 v[26:27], v[32:33], v[40:41]
	s_wait_loadcnt_dscnt 0x100
	v_mul_f64_e32 v[30:31], v[22:23], v[16:17]
	v_mul_f64_e32 v[16:17], v[24:25], v[16:17]
	v_fma_f64 v[32:33], v[4:5], v[10:11], v[36:37]
	v_fma_f64 v[10:11], v[2:3], v[10:11], -v[12:13]
	ds_load_b128 v[2:5], v1 offset:1264
	v_add_f64_e32 v[6:7], v[8:9], v[6:7]
	v_add_f64_e32 v[8:9], v[26:27], v[28:29]
	v_fma_f64 v[24:25], v[24:25], v[14:15], v[30:31]
	v_fma_f64 v[14:15], v[22:23], v[14:15], -v[16:17]
	s_wait_loadcnt_dscnt 0x0
	v_mul_f64_e32 v[12:13], v[2:3], v[20:21]
	v_mul_f64_e32 v[20:21], v[4:5], v[20:21]
	v_add_f64_e32 v[6:7], v[6:7], v[10:11]
	v_add_f64_e32 v[8:9], v[8:9], v[32:33]
	s_delay_alu instid0(VALU_DEP_4) | instskip(NEXT) | instid1(VALU_DEP_4)
	v_fma_f64 v[4:5], v[4:5], v[18:19], v[12:13]
	v_fma_f64 v[2:3], v[2:3], v[18:19], -v[20:21]
	s_delay_alu instid0(VALU_DEP_4) | instskip(NEXT) | instid1(VALU_DEP_4)
	v_add_f64_e32 v[6:7], v[6:7], v[14:15]
	v_add_f64_e32 v[8:9], v[8:9], v[24:25]
	s_delay_alu instid0(VALU_DEP_2) | instskip(NEXT) | instid1(VALU_DEP_2)
	v_add_f64_e32 v[2:3], v[6:7], v[2:3]
	v_add_f64_e32 v[4:5], v[8:9], v[4:5]
	s_delay_alu instid0(VALU_DEP_2) | instskip(NEXT) | instid1(VALU_DEP_2)
	v_add_f64_e64 v[2:3], v[42:43], -v[2:3]
	v_add_f64_e64 v[4:5], v[44:45], -v[4:5]
	scratch_store_b128 off, v[2:5], off offset:400
	v_cmpx_lt_u32_e32 23, v0
	s_cbranch_execz .LBB103_207
; %bb.206:
	scratch_load_b128 v[5:8], off, s18
	v_dual_mov_b32 v2, v1 :: v_dual_mov_b32 v3, v1
	v_mov_b32_e32 v4, v1
	scratch_store_b128 off, v[1:4], off offset:384
	s_wait_loadcnt 0x0
	ds_store_b128 v126, v[5:8]
.LBB103_207:
	s_wait_alu 0xfffe
	s_or_b32 exec_lo, exec_lo, s0
	s_wait_storecnt_dscnt 0x0
	s_barrier_signal -1
	s_barrier_wait -1
	global_inv scope:SCOPE_SE
	s_clause 0x8
	scratch_load_b128 v[2:5], off, off offset:400
	scratch_load_b128 v[6:9], off, off offset:416
	;; [unrolled: 1-line block ×9, first 2 shown]
	ds_load_b128 v[38:41], v1 offset:1024
	ds_load_b128 v[42:45], v1 offset:1040
	s_clause 0x1
	scratch_load_b128 v[127:130], off, off offset:384
	scratch_load_b128 v[131:134], off, off offset:544
	s_mov_b32 s0, exec_lo
	s_wait_loadcnt_dscnt 0xa01
	v_mul_f64_e32 v[135:136], v[40:41], v[4:5]
	v_mul_f64_e32 v[4:5], v[38:39], v[4:5]
	s_wait_loadcnt_dscnt 0x900
	v_mul_f64_e32 v[139:140], v[42:43], v[8:9]
	v_mul_f64_e32 v[8:9], v[44:45], v[8:9]
	s_delay_alu instid0(VALU_DEP_4) | instskip(NEXT) | instid1(VALU_DEP_4)
	v_fma_f64 v[141:142], v[38:39], v[2:3], -v[135:136]
	v_fma_f64 v[143:144], v[40:41], v[2:3], v[4:5]
	ds_load_b128 v[2:5], v1 offset:1056
	ds_load_b128 v[135:138], v1 offset:1072
	scratch_load_b128 v[38:41], off, off offset:560
	v_fma_f64 v[44:45], v[44:45], v[6:7], v[139:140]
	v_fma_f64 v[42:43], v[42:43], v[6:7], -v[8:9]
	scratch_load_b128 v[6:9], off, off offset:576
	s_wait_loadcnt_dscnt 0xa01
	v_mul_f64_e32 v[145:146], v[2:3], v[12:13]
	v_mul_f64_e32 v[12:13], v[4:5], v[12:13]
	v_add_f64_e32 v[139:140], 0, v[141:142]
	v_add_f64_e32 v[141:142], 0, v[143:144]
	s_wait_loadcnt_dscnt 0x900
	v_mul_f64_e32 v[143:144], v[135:136], v[16:17]
	v_mul_f64_e32 v[16:17], v[137:138], v[16:17]
	v_fma_f64 v[145:146], v[4:5], v[10:11], v[145:146]
	v_fma_f64 v[147:148], v[2:3], v[10:11], -v[12:13]
	ds_load_b128 v[2:5], v1 offset:1088
	scratch_load_b128 v[10:13], off, off offset:592
	v_add_f64_e32 v[139:140], v[139:140], v[42:43]
	v_add_f64_e32 v[141:142], v[141:142], v[44:45]
	ds_load_b128 v[42:45], v1 offset:1104
	v_fma_f64 v[137:138], v[137:138], v[14:15], v[143:144]
	v_fma_f64 v[135:136], v[135:136], v[14:15], -v[16:17]
	scratch_load_b128 v[14:17], off, off offset:608
	s_wait_loadcnt_dscnt 0xa01
	v_mul_f64_e32 v[149:150], v[2:3], v[20:21]
	v_mul_f64_e32 v[20:21], v[4:5], v[20:21]
	s_wait_loadcnt_dscnt 0x900
	v_mul_f64_e32 v[143:144], v[42:43], v[24:25]
	v_mul_f64_e32 v[24:25], v[44:45], v[24:25]
	v_add_f64_e32 v[139:140], v[139:140], v[147:148]
	v_add_f64_e32 v[141:142], v[141:142], v[145:146]
	v_fma_f64 v[145:146], v[4:5], v[18:19], v[149:150]
	v_fma_f64 v[147:148], v[2:3], v[18:19], -v[20:21]
	ds_load_b128 v[2:5], v1 offset:1120
	scratch_load_b128 v[18:21], off, off offset:624
	v_fma_f64 v[44:45], v[44:45], v[22:23], v[143:144]
	v_fma_f64 v[42:43], v[42:43], v[22:23], -v[24:25]
	scratch_load_b128 v[22:25], off, off offset:640
	v_add_f64_e32 v[139:140], v[139:140], v[135:136]
	v_add_f64_e32 v[141:142], v[141:142], v[137:138]
	ds_load_b128 v[135:138], v1 offset:1136
	s_wait_loadcnt_dscnt 0xa01
	v_mul_f64_e32 v[149:150], v[2:3], v[28:29]
	v_mul_f64_e32 v[28:29], v[4:5], v[28:29]
	s_wait_loadcnt_dscnt 0x900
	v_mul_f64_e32 v[143:144], v[135:136], v[32:33]
	v_mul_f64_e32 v[32:33], v[137:138], v[32:33]
	v_add_f64_e32 v[139:140], v[139:140], v[147:148]
	v_add_f64_e32 v[141:142], v[141:142], v[145:146]
	v_fma_f64 v[145:146], v[4:5], v[26:27], v[149:150]
	v_fma_f64 v[147:148], v[2:3], v[26:27], -v[28:29]
	ds_load_b128 v[2:5], v1 offset:1152
	ds_load_b128 v[26:29], v1 offset:1168
	v_fma_f64 v[137:138], v[137:138], v[30:31], v[143:144]
	v_fma_f64 v[30:31], v[135:136], v[30:31], -v[32:33]
	v_add_f64_e32 v[42:43], v[139:140], v[42:43]
	v_add_f64_e32 v[44:45], v[141:142], v[44:45]
	s_wait_loadcnt_dscnt 0x801
	v_mul_f64_e32 v[139:140], v[2:3], v[36:37]
	v_mul_f64_e32 v[36:37], v[4:5], v[36:37]
	s_delay_alu instid0(VALU_DEP_4) | instskip(NEXT) | instid1(VALU_DEP_4)
	v_add_f64_e32 v[32:33], v[42:43], v[147:148]
	v_add_f64_e32 v[42:43], v[44:45], v[145:146]
	s_wait_loadcnt_dscnt 0x600
	v_mul_f64_e32 v[44:45], v[26:27], v[133:134]
	v_mul_f64_e32 v[133:134], v[28:29], v[133:134]
	v_fma_f64 v[135:136], v[4:5], v[34:35], v[139:140]
	v_fma_f64 v[34:35], v[2:3], v[34:35], -v[36:37]
	v_add_f64_e32 v[36:37], v[32:33], v[30:31]
	v_add_f64_e32 v[42:43], v[42:43], v[137:138]
	ds_load_b128 v[2:5], v1 offset:1184
	ds_load_b128 v[30:33], v1 offset:1200
	v_fma_f64 v[28:29], v[28:29], v[131:132], v[44:45]
	v_fma_f64 v[26:27], v[26:27], v[131:132], -v[133:134]
	s_wait_loadcnt_dscnt 0x501
	v_mul_f64_e32 v[137:138], v[2:3], v[40:41]
	v_mul_f64_e32 v[40:41], v[4:5], v[40:41]
	v_add_f64_e32 v[34:35], v[36:37], v[34:35]
	v_add_f64_e32 v[36:37], v[42:43], v[135:136]
	s_wait_loadcnt_dscnt 0x400
	v_mul_f64_e32 v[42:43], v[30:31], v[8:9]
	v_mul_f64_e32 v[8:9], v[32:33], v[8:9]
	v_fma_f64 v[44:45], v[4:5], v[38:39], v[137:138]
	v_fma_f64 v[38:39], v[2:3], v[38:39], -v[40:41]
	v_add_f64_e32 v[34:35], v[34:35], v[26:27]
	v_add_f64_e32 v[36:37], v[36:37], v[28:29]
	ds_load_b128 v[2:5], v1 offset:1216
	ds_load_b128 v[26:29], v1 offset:1232
	v_fma_f64 v[32:33], v[32:33], v[6:7], v[42:43]
	v_fma_f64 v[6:7], v[30:31], v[6:7], -v[8:9]
	s_wait_loadcnt_dscnt 0x301
	v_mul_f64_e32 v[40:41], v[2:3], v[12:13]
	v_mul_f64_e32 v[12:13], v[4:5], v[12:13]
	;; [unrolled: 16-line block ×3, first 2 shown]
	s_wait_loadcnt_dscnt 0x0
	v_mul_f64_e32 v[16:17], v[6:7], v[24:25]
	v_mul_f64_e32 v[24:25], v[8:9], v[24:25]
	v_add_f64_e32 v[10:11], v[12:13], v[10:11]
	v_add_f64_e32 v[12:13], v[30:31], v[36:37]
	v_fma_f64 v[4:5], v[4:5], v[18:19], v[32:33]
	v_fma_f64 v[1:2], v[2:3], v[18:19], -v[20:21]
	v_fma_f64 v[8:9], v[8:9], v[22:23], v[16:17]
	v_fma_f64 v[6:7], v[6:7], v[22:23], -v[24:25]
	v_add_f64_e32 v[10:11], v[10:11], v[14:15]
	v_add_f64_e32 v[12:13], v[12:13], v[28:29]
	s_delay_alu instid0(VALU_DEP_2) | instskip(NEXT) | instid1(VALU_DEP_2)
	v_add_f64_e32 v[1:2], v[10:11], v[1:2]
	v_add_f64_e32 v[3:4], v[12:13], v[4:5]
	s_delay_alu instid0(VALU_DEP_2) | instskip(NEXT) | instid1(VALU_DEP_2)
	;; [unrolled: 3-line block ×3, first 2 shown]
	v_add_f64_e64 v[1:2], v[127:128], -v[1:2]
	v_add_f64_e64 v[3:4], v[129:130], -v[3:4]
	scratch_store_b128 off, v[1:4], off offset:384
	v_cmpx_lt_u32_e32 22, v0
	s_cbranch_execz .LBB103_209
; %bb.208:
	scratch_load_b128 v[1:4], off, s38
	v_mov_b32_e32 v5, 0
	s_delay_alu instid0(VALU_DEP_1)
	v_dual_mov_b32 v6, v5 :: v_dual_mov_b32 v7, v5
	v_mov_b32_e32 v8, v5
	scratch_store_b128 off, v[5:8], off offset:368
	s_wait_loadcnt 0x0
	ds_store_b128 v126, v[1:4]
.LBB103_209:
	s_wait_alu 0xfffe
	s_or_b32 exec_lo, exec_lo, s0
	s_wait_storecnt_dscnt 0x0
	s_barrier_signal -1
	s_barrier_wait -1
	global_inv scope:SCOPE_SE
	s_clause 0x7
	scratch_load_b128 v[2:5], off, off offset:384
	scratch_load_b128 v[6:9], off, off offset:400
	;; [unrolled: 1-line block ×8, first 2 shown]
	v_mov_b32_e32 v1, 0
	s_mov_b32 s0, exec_lo
	ds_load_b128 v[34:37], v1 offset:1008
	s_clause 0x1
	scratch_load_b128 v[38:41], off, off offset:512
	scratch_load_b128 v[42:45], off, off offset:368
	ds_load_b128 v[127:130], v1 offset:1024
	scratch_load_b128 v[131:134], off, off offset:528
	s_wait_loadcnt_dscnt 0xa01
	v_mul_f64_e32 v[135:136], v[36:37], v[4:5]
	v_mul_f64_e32 v[4:5], v[34:35], v[4:5]
	s_delay_alu instid0(VALU_DEP_2) | instskip(NEXT) | instid1(VALU_DEP_2)
	v_fma_f64 v[141:142], v[34:35], v[2:3], -v[135:136]
	v_fma_f64 v[143:144], v[36:37], v[2:3], v[4:5]
	ds_load_b128 v[2:5], v1 offset:1040
	s_wait_loadcnt_dscnt 0x901
	v_mul_f64_e32 v[139:140], v[127:128], v[8:9]
	v_mul_f64_e32 v[8:9], v[129:130], v[8:9]
	scratch_load_b128 v[34:37], off, off offset:544
	ds_load_b128 v[135:138], v1 offset:1056
	s_wait_loadcnt_dscnt 0x901
	v_mul_f64_e32 v[145:146], v[2:3], v[12:13]
	v_mul_f64_e32 v[12:13], v[4:5], v[12:13]
	v_fma_f64 v[129:130], v[129:130], v[6:7], v[139:140]
	v_fma_f64 v[127:128], v[127:128], v[6:7], -v[8:9]
	v_add_f64_e32 v[139:140], 0, v[141:142]
	v_add_f64_e32 v[141:142], 0, v[143:144]
	scratch_load_b128 v[6:9], off, off offset:560
	v_fma_f64 v[145:146], v[4:5], v[10:11], v[145:146]
	v_fma_f64 v[147:148], v[2:3], v[10:11], -v[12:13]
	ds_load_b128 v[2:5], v1 offset:1072
	s_wait_loadcnt_dscnt 0x901
	v_mul_f64_e32 v[143:144], v[135:136], v[16:17]
	v_mul_f64_e32 v[16:17], v[137:138], v[16:17]
	scratch_load_b128 v[10:13], off, off offset:576
	v_add_f64_e32 v[139:140], v[139:140], v[127:128]
	v_add_f64_e32 v[141:142], v[141:142], v[129:130]
	s_wait_loadcnt_dscnt 0x900
	v_mul_f64_e32 v[149:150], v[2:3], v[20:21]
	v_mul_f64_e32 v[20:21], v[4:5], v[20:21]
	ds_load_b128 v[127:130], v1 offset:1088
	v_fma_f64 v[137:138], v[137:138], v[14:15], v[143:144]
	v_fma_f64 v[135:136], v[135:136], v[14:15], -v[16:17]
	scratch_load_b128 v[14:17], off, off offset:592
	v_add_f64_e32 v[139:140], v[139:140], v[147:148]
	v_add_f64_e32 v[141:142], v[141:142], v[145:146]
	v_fma_f64 v[145:146], v[4:5], v[18:19], v[149:150]
	v_fma_f64 v[147:148], v[2:3], v[18:19], -v[20:21]
	ds_load_b128 v[2:5], v1 offset:1104
	s_wait_loadcnt_dscnt 0x901
	v_mul_f64_e32 v[143:144], v[127:128], v[24:25]
	v_mul_f64_e32 v[24:25], v[129:130], v[24:25]
	scratch_load_b128 v[18:21], off, off offset:608
	s_wait_loadcnt_dscnt 0x900
	v_mul_f64_e32 v[149:150], v[2:3], v[28:29]
	v_mul_f64_e32 v[28:29], v[4:5], v[28:29]
	v_add_f64_e32 v[139:140], v[139:140], v[135:136]
	v_add_f64_e32 v[141:142], v[141:142], v[137:138]
	ds_load_b128 v[135:138], v1 offset:1120
	v_fma_f64 v[129:130], v[129:130], v[22:23], v[143:144]
	v_fma_f64 v[127:128], v[127:128], v[22:23], -v[24:25]
	scratch_load_b128 v[22:25], off, off offset:624
	v_add_f64_e32 v[139:140], v[139:140], v[147:148]
	v_add_f64_e32 v[141:142], v[141:142], v[145:146]
	v_fma_f64 v[145:146], v[4:5], v[26:27], v[149:150]
	v_fma_f64 v[147:148], v[2:3], v[26:27], -v[28:29]
	ds_load_b128 v[2:5], v1 offset:1136
	s_wait_loadcnt_dscnt 0x901
	v_mul_f64_e32 v[143:144], v[135:136], v[32:33]
	v_mul_f64_e32 v[32:33], v[137:138], v[32:33]
	scratch_load_b128 v[26:29], off, off offset:640
	s_wait_loadcnt_dscnt 0x900
	v_mul_f64_e32 v[149:150], v[2:3], v[40:41]
	v_mul_f64_e32 v[40:41], v[4:5], v[40:41]
	v_add_f64_e32 v[139:140], v[139:140], v[127:128]
	v_add_f64_e32 v[141:142], v[141:142], v[129:130]
	ds_load_b128 v[127:130], v1 offset:1152
	v_fma_f64 v[137:138], v[137:138], v[30:31], v[143:144]
	v_fma_f64 v[30:31], v[135:136], v[30:31], -v[32:33]
	v_add_f64_e32 v[32:33], v[139:140], v[147:148]
	v_add_f64_e32 v[135:136], v[141:142], v[145:146]
	s_wait_loadcnt_dscnt 0x700
	v_mul_f64_e32 v[139:140], v[127:128], v[133:134]
	v_mul_f64_e32 v[133:134], v[129:130], v[133:134]
	v_fma_f64 v[141:142], v[4:5], v[38:39], v[149:150]
	v_fma_f64 v[38:39], v[2:3], v[38:39], -v[40:41]
	v_add_f64_e32 v[40:41], v[32:33], v[30:31]
	v_add_f64_e32 v[135:136], v[135:136], v[137:138]
	ds_load_b128 v[2:5], v1 offset:1168
	ds_load_b128 v[30:33], v1 offset:1184
	v_fma_f64 v[129:130], v[129:130], v[131:132], v[139:140]
	v_fma_f64 v[127:128], v[127:128], v[131:132], -v[133:134]
	s_wait_loadcnt_dscnt 0x601
	v_mul_f64_e32 v[137:138], v[2:3], v[36:37]
	v_mul_f64_e32 v[36:37], v[4:5], v[36:37]
	v_add_f64_e32 v[38:39], v[40:41], v[38:39]
	v_add_f64_e32 v[40:41], v[135:136], v[141:142]
	s_wait_loadcnt_dscnt 0x500
	v_mul_f64_e32 v[131:132], v[30:31], v[8:9]
	v_mul_f64_e32 v[8:9], v[32:33], v[8:9]
	v_fma_f64 v[133:134], v[4:5], v[34:35], v[137:138]
	v_fma_f64 v[135:136], v[2:3], v[34:35], -v[36:37]
	ds_load_b128 v[2:5], v1 offset:1200
	ds_load_b128 v[34:37], v1 offset:1216
	v_add_f64_e32 v[38:39], v[38:39], v[127:128]
	v_add_f64_e32 v[40:41], v[40:41], v[129:130]
	s_wait_loadcnt_dscnt 0x401
	v_mul_f64_e32 v[127:128], v[2:3], v[12:13]
	v_mul_f64_e32 v[12:13], v[4:5], v[12:13]
	v_fma_f64 v[32:33], v[32:33], v[6:7], v[131:132]
	v_fma_f64 v[6:7], v[30:31], v[6:7], -v[8:9]
	v_add_f64_e32 v[8:9], v[38:39], v[135:136]
	v_add_f64_e32 v[30:31], v[40:41], v[133:134]
	s_wait_loadcnt_dscnt 0x300
	v_mul_f64_e32 v[38:39], v[34:35], v[16:17]
	v_mul_f64_e32 v[16:17], v[36:37], v[16:17]
	v_fma_f64 v[40:41], v[4:5], v[10:11], v[127:128]
	v_fma_f64 v[10:11], v[2:3], v[10:11], -v[12:13]
	v_add_f64_e32 v[12:13], v[8:9], v[6:7]
	v_add_f64_e32 v[30:31], v[30:31], v[32:33]
	ds_load_b128 v[2:5], v1 offset:1232
	ds_load_b128 v[6:9], v1 offset:1248
	v_fma_f64 v[36:37], v[36:37], v[14:15], v[38:39]
	v_fma_f64 v[14:15], v[34:35], v[14:15], -v[16:17]
	s_wait_loadcnt_dscnt 0x201
	v_mul_f64_e32 v[32:33], v[2:3], v[20:21]
	v_mul_f64_e32 v[20:21], v[4:5], v[20:21]
	s_wait_loadcnt_dscnt 0x100
	v_mul_f64_e32 v[16:17], v[6:7], v[24:25]
	v_mul_f64_e32 v[24:25], v[8:9], v[24:25]
	v_add_f64_e32 v[10:11], v[12:13], v[10:11]
	v_add_f64_e32 v[12:13], v[30:31], v[40:41]
	v_fma_f64 v[30:31], v[4:5], v[18:19], v[32:33]
	v_fma_f64 v[18:19], v[2:3], v[18:19], -v[20:21]
	ds_load_b128 v[2:5], v1 offset:1264
	v_fma_f64 v[8:9], v[8:9], v[22:23], v[16:17]
	v_fma_f64 v[6:7], v[6:7], v[22:23], -v[24:25]
	v_add_f64_e32 v[10:11], v[10:11], v[14:15]
	v_add_f64_e32 v[12:13], v[12:13], v[36:37]
	s_wait_loadcnt_dscnt 0x0
	v_mul_f64_e32 v[14:15], v[2:3], v[28:29]
	v_mul_f64_e32 v[20:21], v[4:5], v[28:29]
	s_delay_alu instid0(VALU_DEP_4) | instskip(NEXT) | instid1(VALU_DEP_4)
	v_add_f64_e32 v[10:11], v[10:11], v[18:19]
	v_add_f64_e32 v[12:13], v[12:13], v[30:31]
	s_delay_alu instid0(VALU_DEP_4) | instskip(NEXT) | instid1(VALU_DEP_4)
	v_fma_f64 v[4:5], v[4:5], v[26:27], v[14:15]
	v_fma_f64 v[2:3], v[2:3], v[26:27], -v[20:21]
	s_delay_alu instid0(VALU_DEP_4) | instskip(NEXT) | instid1(VALU_DEP_4)
	v_add_f64_e32 v[6:7], v[10:11], v[6:7]
	v_add_f64_e32 v[8:9], v[12:13], v[8:9]
	s_delay_alu instid0(VALU_DEP_2) | instskip(NEXT) | instid1(VALU_DEP_2)
	v_add_f64_e32 v[2:3], v[6:7], v[2:3]
	v_add_f64_e32 v[4:5], v[8:9], v[4:5]
	s_delay_alu instid0(VALU_DEP_2) | instskip(NEXT) | instid1(VALU_DEP_2)
	v_add_f64_e64 v[2:3], v[42:43], -v[2:3]
	v_add_f64_e64 v[4:5], v[44:45], -v[4:5]
	scratch_store_b128 off, v[2:5], off offset:368
	v_cmpx_lt_u32_e32 21, v0
	s_cbranch_execz .LBB103_211
; %bb.210:
	scratch_load_b128 v[5:8], off, s17
	v_dual_mov_b32 v2, v1 :: v_dual_mov_b32 v3, v1
	v_mov_b32_e32 v4, v1
	scratch_store_b128 off, v[1:4], off offset:352
	s_wait_loadcnt 0x0
	ds_store_b128 v126, v[5:8]
.LBB103_211:
	s_wait_alu 0xfffe
	s_or_b32 exec_lo, exec_lo, s0
	s_wait_storecnt_dscnt 0x0
	s_barrier_signal -1
	s_barrier_wait -1
	global_inv scope:SCOPE_SE
	s_clause 0x8
	scratch_load_b128 v[2:5], off, off offset:368
	scratch_load_b128 v[6:9], off, off offset:384
	;; [unrolled: 1-line block ×9, first 2 shown]
	ds_load_b128 v[38:41], v1 offset:992
	ds_load_b128 v[42:45], v1 offset:1008
	s_clause 0x1
	scratch_load_b128 v[127:130], off, off offset:352
	scratch_load_b128 v[131:134], off, off offset:512
	s_mov_b32 s0, exec_lo
	s_wait_loadcnt_dscnt 0xa01
	v_mul_f64_e32 v[135:136], v[40:41], v[4:5]
	v_mul_f64_e32 v[4:5], v[38:39], v[4:5]
	s_wait_loadcnt_dscnt 0x900
	v_mul_f64_e32 v[139:140], v[42:43], v[8:9]
	v_mul_f64_e32 v[8:9], v[44:45], v[8:9]
	s_delay_alu instid0(VALU_DEP_4) | instskip(NEXT) | instid1(VALU_DEP_4)
	v_fma_f64 v[141:142], v[38:39], v[2:3], -v[135:136]
	v_fma_f64 v[143:144], v[40:41], v[2:3], v[4:5]
	ds_load_b128 v[2:5], v1 offset:1024
	ds_load_b128 v[135:138], v1 offset:1040
	scratch_load_b128 v[38:41], off, off offset:528
	v_fma_f64 v[44:45], v[44:45], v[6:7], v[139:140]
	v_fma_f64 v[42:43], v[42:43], v[6:7], -v[8:9]
	scratch_load_b128 v[6:9], off, off offset:544
	s_wait_loadcnt_dscnt 0xa01
	v_mul_f64_e32 v[145:146], v[2:3], v[12:13]
	v_mul_f64_e32 v[12:13], v[4:5], v[12:13]
	v_add_f64_e32 v[139:140], 0, v[141:142]
	v_add_f64_e32 v[141:142], 0, v[143:144]
	s_wait_loadcnt_dscnt 0x900
	v_mul_f64_e32 v[143:144], v[135:136], v[16:17]
	v_mul_f64_e32 v[16:17], v[137:138], v[16:17]
	v_fma_f64 v[145:146], v[4:5], v[10:11], v[145:146]
	v_fma_f64 v[147:148], v[2:3], v[10:11], -v[12:13]
	ds_load_b128 v[2:5], v1 offset:1056
	scratch_load_b128 v[10:13], off, off offset:560
	v_add_f64_e32 v[139:140], v[139:140], v[42:43]
	v_add_f64_e32 v[141:142], v[141:142], v[44:45]
	ds_load_b128 v[42:45], v1 offset:1072
	v_fma_f64 v[137:138], v[137:138], v[14:15], v[143:144]
	v_fma_f64 v[135:136], v[135:136], v[14:15], -v[16:17]
	scratch_load_b128 v[14:17], off, off offset:576
	s_wait_loadcnt_dscnt 0xa01
	v_mul_f64_e32 v[149:150], v[2:3], v[20:21]
	v_mul_f64_e32 v[20:21], v[4:5], v[20:21]
	s_wait_loadcnt_dscnt 0x900
	v_mul_f64_e32 v[143:144], v[42:43], v[24:25]
	v_mul_f64_e32 v[24:25], v[44:45], v[24:25]
	v_add_f64_e32 v[139:140], v[139:140], v[147:148]
	v_add_f64_e32 v[141:142], v[141:142], v[145:146]
	v_fma_f64 v[145:146], v[4:5], v[18:19], v[149:150]
	v_fma_f64 v[147:148], v[2:3], v[18:19], -v[20:21]
	ds_load_b128 v[2:5], v1 offset:1088
	scratch_load_b128 v[18:21], off, off offset:592
	v_fma_f64 v[44:45], v[44:45], v[22:23], v[143:144]
	v_fma_f64 v[42:43], v[42:43], v[22:23], -v[24:25]
	scratch_load_b128 v[22:25], off, off offset:608
	v_add_f64_e32 v[139:140], v[139:140], v[135:136]
	v_add_f64_e32 v[141:142], v[141:142], v[137:138]
	ds_load_b128 v[135:138], v1 offset:1104
	s_wait_loadcnt_dscnt 0xa01
	v_mul_f64_e32 v[149:150], v[2:3], v[28:29]
	v_mul_f64_e32 v[28:29], v[4:5], v[28:29]
	s_wait_loadcnt_dscnt 0x900
	v_mul_f64_e32 v[143:144], v[135:136], v[32:33]
	v_mul_f64_e32 v[32:33], v[137:138], v[32:33]
	v_add_f64_e32 v[139:140], v[139:140], v[147:148]
	v_add_f64_e32 v[141:142], v[141:142], v[145:146]
	v_fma_f64 v[145:146], v[4:5], v[26:27], v[149:150]
	v_fma_f64 v[147:148], v[2:3], v[26:27], -v[28:29]
	ds_load_b128 v[2:5], v1 offset:1120
	scratch_load_b128 v[26:29], off, off offset:624
	v_fma_f64 v[137:138], v[137:138], v[30:31], v[143:144]
	v_fma_f64 v[135:136], v[135:136], v[30:31], -v[32:33]
	scratch_load_b128 v[30:33], off, off offset:640
	v_add_f64_e32 v[139:140], v[139:140], v[42:43]
	v_add_f64_e32 v[141:142], v[141:142], v[44:45]
	ds_load_b128 v[42:45], v1 offset:1136
	s_wait_loadcnt_dscnt 0xa01
	v_mul_f64_e32 v[149:150], v[2:3], v[36:37]
	v_mul_f64_e32 v[36:37], v[4:5], v[36:37]
	s_wait_loadcnt_dscnt 0x800
	v_mul_f64_e32 v[143:144], v[42:43], v[133:134]
	v_mul_f64_e32 v[133:134], v[44:45], v[133:134]
	v_add_f64_e32 v[139:140], v[139:140], v[147:148]
	v_add_f64_e32 v[141:142], v[141:142], v[145:146]
	v_fma_f64 v[145:146], v[4:5], v[34:35], v[149:150]
	v_fma_f64 v[147:148], v[2:3], v[34:35], -v[36:37]
	ds_load_b128 v[2:5], v1 offset:1152
	ds_load_b128 v[34:37], v1 offset:1168
	v_fma_f64 v[44:45], v[44:45], v[131:132], v[143:144]
	v_fma_f64 v[42:43], v[42:43], v[131:132], -v[133:134]
	v_add_f64_e32 v[135:136], v[139:140], v[135:136]
	v_add_f64_e32 v[137:138], v[141:142], v[137:138]
	s_wait_loadcnt_dscnt 0x701
	v_mul_f64_e32 v[139:140], v[2:3], v[40:41]
	v_mul_f64_e32 v[40:41], v[4:5], v[40:41]
	s_delay_alu instid0(VALU_DEP_4) | instskip(NEXT) | instid1(VALU_DEP_4)
	v_add_f64_e32 v[131:132], v[135:136], v[147:148]
	v_add_f64_e32 v[133:134], v[137:138], v[145:146]
	s_wait_loadcnt_dscnt 0x600
	v_mul_f64_e32 v[135:136], v[34:35], v[8:9]
	v_mul_f64_e32 v[8:9], v[36:37], v[8:9]
	v_fma_f64 v[137:138], v[4:5], v[38:39], v[139:140]
	v_fma_f64 v[139:140], v[2:3], v[38:39], -v[40:41]
	ds_load_b128 v[2:5], v1 offset:1184
	ds_load_b128 v[38:41], v1 offset:1200
	v_add_f64_e32 v[42:43], v[131:132], v[42:43]
	v_add_f64_e32 v[44:45], v[133:134], v[44:45]
	v_fma_f64 v[36:37], v[36:37], v[6:7], v[135:136]
	s_wait_loadcnt_dscnt 0x501
	v_mul_f64_e32 v[131:132], v[2:3], v[12:13]
	v_mul_f64_e32 v[12:13], v[4:5], v[12:13]
	v_fma_f64 v[6:7], v[34:35], v[6:7], -v[8:9]
	v_add_f64_e32 v[8:9], v[42:43], v[139:140]
	v_add_f64_e32 v[34:35], v[44:45], v[137:138]
	s_wait_loadcnt_dscnt 0x400
	v_mul_f64_e32 v[42:43], v[38:39], v[16:17]
	v_mul_f64_e32 v[16:17], v[40:41], v[16:17]
	v_fma_f64 v[44:45], v[4:5], v[10:11], v[131:132]
	v_fma_f64 v[10:11], v[2:3], v[10:11], -v[12:13]
	v_add_f64_e32 v[12:13], v[8:9], v[6:7]
	v_add_f64_e32 v[34:35], v[34:35], v[36:37]
	ds_load_b128 v[2:5], v1 offset:1216
	ds_load_b128 v[6:9], v1 offset:1232
	v_fma_f64 v[40:41], v[40:41], v[14:15], v[42:43]
	v_fma_f64 v[14:15], v[38:39], v[14:15], -v[16:17]
	s_wait_loadcnt_dscnt 0x301
	v_mul_f64_e32 v[36:37], v[2:3], v[20:21]
	v_mul_f64_e32 v[20:21], v[4:5], v[20:21]
	s_wait_loadcnt_dscnt 0x200
	v_mul_f64_e32 v[16:17], v[6:7], v[24:25]
	v_mul_f64_e32 v[24:25], v[8:9], v[24:25]
	v_add_f64_e32 v[10:11], v[12:13], v[10:11]
	v_add_f64_e32 v[12:13], v[34:35], v[44:45]
	v_fma_f64 v[34:35], v[4:5], v[18:19], v[36:37]
	v_fma_f64 v[18:19], v[2:3], v[18:19], -v[20:21]
	v_fma_f64 v[8:9], v[8:9], v[22:23], v[16:17]
	v_fma_f64 v[6:7], v[6:7], v[22:23], -v[24:25]
	v_add_f64_e32 v[14:15], v[10:11], v[14:15]
	v_add_f64_e32 v[20:21], v[12:13], v[40:41]
	ds_load_b128 v[2:5], v1 offset:1248
	ds_load_b128 v[10:13], v1 offset:1264
	s_wait_loadcnt_dscnt 0x101
	v_mul_f64_e32 v[36:37], v[2:3], v[28:29]
	v_mul_f64_e32 v[28:29], v[4:5], v[28:29]
	v_add_f64_e32 v[14:15], v[14:15], v[18:19]
	v_add_f64_e32 v[16:17], v[20:21], v[34:35]
	s_wait_loadcnt_dscnt 0x0
	v_mul_f64_e32 v[18:19], v[10:11], v[32:33]
	v_mul_f64_e32 v[20:21], v[12:13], v[32:33]
	v_fma_f64 v[4:5], v[4:5], v[26:27], v[36:37]
	v_fma_f64 v[1:2], v[2:3], v[26:27], -v[28:29]
	v_add_f64_e32 v[6:7], v[14:15], v[6:7]
	v_add_f64_e32 v[8:9], v[16:17], v[8:9]
	v_fma_f64 v[12:13], v[12:13], v[30:31], v[18:19]
	v_fma_f64 v[10:11], v[10:11], v[30:31], -v[20:21]
	s_delay_alu instid0(VALU_DEP_4) | instskip(NEXT) | instid1(VALU_DEP_4)
	v_add_f64_e32 v[1:2], v[6:7], v[1:2]
	v_add_f64_e32 v[3:4], v[8:9], v[4:5]
	s_delay_alu instid0(VALU_DEP_2) | instskip(NEXT) | instid1(VALU_DEP_2)
	v_add_f64_e32 v[1:2], v[1:2], v[10:11]
	v_add_f64_e32 v[3:4], v[3:4], v[12:13]
	s_delay_alu instid0(VALU_DEP_2) | instskip(NEXT) | instid1(VALU_DEP_2)
	v_add_f64_e64 v[1:2], v[127:128], -v[1:2]
	v_add_f64_e64 v[3:4], v[129:130], -v[3:4]
	scratch_store_b128 off, v[1:4], off offset:352
	v_cmpx_lt_u32_e32 20, v0
	s_cbranch_execz .LBB103_213
; %bb.212:
	scratch_load_b128 v[1:4], off, s37
	v_mov_b32_e32 v5, 0
	s_delay_alu instid0(VALU_DEP_1)
	v_dual_mov_b32 v6, v5 :: v_dual_mov_b32 v7, v5
	v_mov_b32_e32 v8, v5
	scratch_store_b128 off, v[5:8], off offset:336
	s_wait_loadcnt 0x0
	ds_store_b128 v126, v[1:4]
.LBB103_213:
	s_wait_alu 0xfffe
	s_or_b32 exec_lo, exec_lo, s0
	s_wait_storecnt_dscnt 0x0
	s_barrier_signal -1
	s_barrier_wait -1
	global_inv scope:SCOPE_SE
	s_clause 0x7
	scratch_load_b128 v[2:5], off, off offset:352
	scratch_load_b128 v[6:9], off, off offset:368
	;; [unrolled: 1-line block ×8, first 2 shown]
	v_mov_b32_e32 v1, 0
	s_mov_b32 s0, exec_lo
	ds_load_b128 v[34:37], v1 offset:976
	s_clause 0x1
	scratch_load_b128 v[38:41], off, off offset:480
	scratch_load_b128 v[42:45], off, off offset:336
	ds_load_b128 v[127:130], v1 offset:992
	scratch_load_b128 v[131:134], off, off offset:496
	s_wait_loadcnt_dscnt 0xa01
	v_mul_f64_e32 v[135:136], v[36:37], v[4:5]
	v_mul_f64_e32 v[4:5], v[34:35], v[4:5]
	s_delay_alu instid0(VALU_DEP_2) | instskip(NEXT) | instid1(VALU_DEP_2)
	v_fma_f64 v[141:142], v[34:35], v[2:3], -v[135:136]
	v_fma_f64 v[143:144], v[36:37], v[2:3], v[4:5]
	ds_load_b128 v[2:5], v1 offset:1008
	s_wait_loadcnt_dscnt 0x901
	v_mul_f64_e32 v[139:140], v[127:128], v[8:9]
	v_mul_f64_e32 v[8:9], v[129:130], v[8:9]
	scratch_load_b128 v[34:37], off, off offset:512
	ds_load_b128 v[135:138], v1 offset:1024
	s_wait_loadcnt_dscnt 0x901
	v_mul_f64_e32 v[145:146], v[2:3], v[12:13]
	v_mul_f64_e32 v[12:13], v[4:5], v[12:13]
	v_fma_f64 v[129:130], v[129:130], v[6:7], v[139:140]
	v_fma_f64 v[127:128], v[127:128], v[6:7], -v[8:9]
	v_add_f64_e32 v[139:140], 0, v[141:142]
	v_add_f64_e32 v[141:142], 0, v[143:144]
	scratch_load_b128 v[6:9], off, off offset:528
	v_fma_f64 v[145:146], v[4:5], v[10:11], v[145:146]
	v_fma_f64 v[147:148], v[2:3], v[10:11], -v[12:13]
	ds_load_b128 v[2:5], v1 offset:1040
	s_wait_loadcnt_dscnt 0x901
	v_mul_f64_e32 v[143:144], v[135:136], v[16:17]
	v_mul_f64_e32 v[16:17], v[137:138], v[16:17]
	scratch_load_b128 v[10:13], off, off offset:544
	v_add_f64_e32 v[139:140], v[139:140], v[127:128]
	v_add_f64_e32 v[141:142], v[141:142], v[129:130]
	s_wait_loadcnt_dscnt 0x900
	v_mul_f64_e32 v[149:150], v[2:3], v[20:21]
	v_mul_f64_e32 v[20:21], v[4:5], v[20:21]
	ds_load_b128 v[127:130], v1 offset:1056
	v_fma_f64 v[137:138], v[137:138], v[14:15], v[143:144]
	v_fma_f64 v[135:136], v[135:136], v[14:15], -v[16:17]
	scratch_load_b128 v[14:17], off, off offset:560
	v_add_f64_e32 v[139:140], v[139:140], v[147:148]
	v_add_f64_e32 v[141:142], v[141:142], v[145:146]
	v_fma_f64 v[145:146], v[4:5], v[18:19], v[149:150]
	v_fma_f64 v[147:148], v[2:3], v[18:19], -v[20:21]
	ds_load_b128 v[2:5], v1 offset:1072
	s_wait_loadcnt_dscnt 0x901
	v_mul_f64_e32 v[143:144], v[127:128], v[24:25]
	v_mul_f64_e32 v[24:25], v[129:130], v[24:25]
	scratch_load_b128 v[18:21], off, off offset:576
	s_wait_loadcnt_dscnt 0x900
	v_mul_f64_e32 v[149:150], v[2:3], v[28:29]
	v_mul_f64_e32 v[28:29], v[4:5], v[28:29]
	v_add_f64_e32 v[139:140], v[139:140], v[135:136]
	v_add_f64_e32 v[141:142], v[141:142], v[137:138]
	ds_load_b128 v[135:138], v1 offset:1088
	v_fma_f64 v[129:130], v[129:130], v[22:23], v[143:144]
	v_fma_f64 v[127:128], v[127:128], v[22:23], -v[24:25]
	scratch_load_b128 v[22:25], off, off offset:592
	v_add_f64_e32 v[139:140], v[139:140], v[147:148]
	v_add_f64_e32 v[141:142], v[141:142], v[145:146]
	v_fma_f64 v[145:146], v[4:5], v[26:27], v[149:150]
	v_fma_f64 v[147:148], v[2:3], v[26:27], -v[28:29]
	ds_load_b128 v[2:5], v1 offset:1104
	s_wait_loadcnt_dscnt 0x901
	v_mul_f64_e32 v[143:144], v[135:136], v[32:33]
	v_mul_f64_e32 v[32:33], v[137:138], v[32:33]
	scratch_load_b128 v[26:29], off, off offset:608
	s_wait_loadcnt_dscnt 0x900
	v_mul_f64_e32 v[149:150], v[2:3], v[40:41]
	v_mul_f64_e32 v[40:41], v[4:5], v[40:41]
	v_add_f64_e32 v[139:140], v[139:140], v[127:128]
	v_add_f64_e32 v[141:142], v[141:142], v[129:130]
	ds_load_b128 v[127:130], v1 offset:1120
	v_fma_f64 v[137:138], v[137:138], v[30:31], v[143:144]
	v_fma_f64 v[135:136], v[135:136], v[30:31], -v[32:33]
	scratch_load_b128 v[30:33], off, off offset:624
	v_add_f64_e32 v[139:140], v[139:140], v[147:148]
	v_add_f64_e32 v[141:142], v[141:142], v[145:146]
	v_fma_f64 v[147:148], v[4:5], v[38:39], v[149:150]
	v_fma_f64 v[149:150], v[2:3], v[38:39], -v[40:41]
	ds_load_b128 v[2:5], v1 offset:1136
	s_wait_loadcnt_dscnt 0x801
	v_mul_f64_e32 v[143:144], v[127:128], v[133:134]
	v_mul_f64_e32 v[145:146], v[129:130], v[133:134]
	scratch_load_b128 v[38:41], off, off offset:640
	v_add_f64_e32 v[139:140], v[139:140], v[135:136]
	v_add_f64_e32 v[137:138], v[141:142], v[137:138]
	ds_load_b128 v[133:136], v1 offset:1152
	v_fma_f64 v[129:130], v[129:130], v[131:132], v[143:144]
	v_fma_f64 v[127:128], v[127:128], v[131:132], -v[145:146]
	s_wait_loadcnt_dscnt 0x801
	v_mul_f64_e32 v[141:142], v[2:3], v[36:37]
	v_mul_f64_e32 v[36:37], v[4:5], v[36:37]
	v_add_f64_e32 v[131:132], v[139:140], v[149:150]
	v_add_f64_e32 v[137:138], v[137:138], v[147:148]
	s_delay_alu instid0(VALU_DEP_4) | instskip(NEXT) | instid1(VALU_DEP_4)
	v_fma_f64 v[141:142], v[4:5], v[34:35], v[141:142]
	v_fma_f64 v[143:144], v[2:3], v[34:35], -v[36:37]
	s_wait_loadcnt_dscnt 0x700
	v_mul_f64_e32 v[139:140], v[133:134], v[8:9]
	v_mul_f64_e32 v[8:9], v[135:136], v[8:9]
	ds_load_b128 v[2:5], v1 offset:1168
	ds_load_b128 v[34:37], v1 offset:1184
	v_add_f64_e32 v[127:128], v[131:132], v[127:128]
	v_add_f64_e32 v[129:130], v[137:138], v[129:130]
	s_wait_loadcnt_dscnt 0x601
	v_mul_f64_e32 v[131:132], v[2:3], v[12:13]
	v_mul_f64_e32 v[12:13], v[4:5], v[12:13]
	v_fma_f64 v[135:136], v[135:136], v[6:7], v[139:140]
	v_fma_f64 v[6:7], v[133:134], v[6:7], -v[8:9]
	v_add_f64_e32 v[8:9], v[127:128], v[143:144]
	v_add_f64_e32 v[127:128], v[129:130], v[141:142]
	s_wait_loadcnt_dscnt 0x500
	v_mul_f64_e32 v[129:130], v[34:35], v[16:17]
	v_mul_f64_e32 v[16:17], v[36:37], v[16:17]
	v_fma_f64 v[131:132], v[4:5], v[10:11], v[131:132]
	v_fma_f64 v[10:11], v[2:3], v[10:11], -v[12:13]
	v_add_f64_e32 v[12:13], v[8:9], v[6:7]
	v_add_f64_e32 v[127:128], v[127:128], v[135:136]
	ds_load_b128 v[2:5], v1 offset:1200
	ds_load_b128 v[6:9], v1 offset:1216
	v_fma_f64 v[36:37], v[36:37], v[14:15], v[129:130]
	v_fma_f64 v[14:15], v[34:35], v[14:15], -v[16:17]
	s_wait_loadcnt_dscnt 0x401
	v_mul_f64_e32 v[133:134], v[2:3], v[20:21]
	v_mul_f64_e32 v[20:21], v[4:5], v[20:21]
	s_wait_loadcnt_dscnt 0x300
	v_mul_f64_e32 v[16:17], v[6:7], v[24:25]
	v_mul_f64_e32 v[24:25], v[8:9], v[24:25]
	v_add_f64_e32 v[10:11], v[12:13], v[10:11]
	v_add_f64_e32 v[12:13], v[127:128], v[131:132]
	v_fma_f64 v[34:35], v[4:5], v[18:19], v[133:134]
	v_fma_f64 v[18:19], v[2:3], v[18:19], -v[20:21]
	v_fma_f64 v[8:9], v[8:9], v[22:23], v[16:17]
	v_fma_f64 v[6:7], v[6:7], v[22:23], -v[24:25]
	v_add_f64_e32 v[14:15], v[10:11], v[14:15]
	v_add_f64_e32 v[20:21], v[12:13], v[36:37]
	ds_load_b128 v[2:5], v1 offset:1232
	ds_load_b128 v[10:13], v1 offset:1248
	s_wait_loadcnt_dscnt 0x201
	v_mul_f64_e32 v[36:37], v[2:3], v[28:29]
	v_mul_f64_e32 v[28:29], v[4:5], v[28:29]
	v_add_f64_e32 v[14:15], v[14:15], v[18:19]
	v_add_f64_e32 v[16:17], v[20:21], v[34:35]
	s_wait_loadcnt_dscnt 0x100
	v_mul_f64_e32 v[18:19], v[10:11], v[32:33]
	v_mul_f64_e32 v[20:21], v[12:13], v[32:33]
	v_fma_f64 v[22:23], v[4:5], v[26:27], v[36:37]
	v_fma_f64 v[24:25], v[2:3], v[26:27], -v[28:29]
	ds_load_b128 v[2:5], v1 offset:1264
	v_add_f64_e32 v[6:7], v[14:15], v[6:7]
	v_add_f64_e32 v[8:9], v[16:17], v[8:9]
	v_fma_f64 v[12:13], v[12:13], v[30:31], v[18:19]
	v_fma_f64 v[10:11], v[10:11], v[30:31], -v[20:21]
	s_wait_loadcnt_dscnt 0x0
	v_mul_f64_e32 v[14:15], v[2:3], v[40:41]
	v_mul_f64_e32 v[16:17], v[4:5], v[40:41]
	v_add_f64_e32 v[6:7], v[6:7], v[24:25]
	v_add_f64_e32 v[8:9], v[8:9], v[22:23]
	s_delay_alu instid0(VALU_DEP_4) | instskip(NEXT) | instid1(VALU_DEP_4)
	v_fma_f64 v[4:5], v[4:5], v[38:39], v[14:15]
	v_fma_f64 v[2:3], v[2:3], v[38:39], -v[16:17]
	s_delay_alu instid0(VALU_DEP_4) | instskip(NEXT) | instid1(VALU_DEP_4)
	v_add_f64_e32 v[6:7], v[6:7], v[10:11]
	v_add_f64_e32 v[8:9], v[8:9], v[12:13]
	s_delay_alu instid0(VALU_DEP_2) | instskip(NEXT) | instid1(VALU_DEP_2)
	v_add_f64_e32 v[2:3], v[6:7], v[2:3]
	v_add_f64_e32 v[4:5], v[8:9], v[4:5]
	s_delay_alu instid0(VALU_DEP_2) | instskip(NEXT) | instid1(VALU_DEP_2)
	v_add_f64_e64 v[2:3], v[42:43], -v[2:3]
	v_add_f64_e64 v[4:5], v[44:45], -v[4:5]
	scratch_store_b128 off, v[2:5], off offset:336
	v_cmpx_lt_u32_e32 19, v0
	s_cbranch_execz .LBB103_215
; %bb.214:
	scratch_load_b128 v[5:8], off, s16
	v_dual_mov_b32 v2, v1 :: v_dual_mov_b32 v3, v1
	v_mov_b32_e32 v4, v1
	scratch_store_b128 off, v[1:4], off offset:320
	s_wait_loadcnt 0x0
	ds_store_b128 v126, v[5:8]
.LBB103_215:
	s_wait_alu 0xfffe
	s_or_b32 exec_lo, exec_lo, s0
	s_wait_storecnt_dscnt 0x0
	s_barrier_signal -1
	s_barrier_wait -1
	global_inv scope:SCOPE_SE
	s_clause 0x8
	scratch_load_b128 v[2:5], off, off offset:336
	scratch_load_b128 v[6:9], off, off offset:352
	;; [unrolled: 1-line block ×9, first 2 shown]
	ds_load_b128 v[38:41], v1 offset:960
	ds_load_b128 v[42:45], v1 offset:976
	s_clause 0x1
	scratch_load_b128 v[127:130], off, off offset:320
	scratch_load_b128 v[131:134], off, off offset:480
	s_mov_b32 s0, exec_lo
	s_wait_loadcnt_dscnt 0xa01
	v_mul_f64_e32 v[135:136], v[40:41], v[4:5]
	v_mul_f64_e32 v[4:5], v[38:39], v[4:5]
	s_wait_loadcnt_dscnt 0x900
	v_mul_f64_e32 v[139:140], v[42:43], v[8:9]
	v_mul_f64_e32 v[8:9], v[44:45], v[8:9]
	s_delay_alu instid0(VALU_DEP_4) | instskip(NEXT) | instid1(VALU_DEP_4)
	v_fma_f64 v[141:142], v[38:39], v[2:3], -v[135:136]
	v_fma_f64 v[143:144], v[40:41], v[2:3], v[4:5]
	ds_load_b128 v[2:5], v1 offset:992
	ds_load_b128 v[135:138], v1 offset:1008
	scratch_load_b128 v[38:41], off, off offset:496
	v_fma_f64 v[44:45], v[44:45], v[6:7], v[139:140]
	v_fma_f64 v[42:43], v[42:43], v[6:7], -v[8:9]
	scratch_load_b128 v[6:9], off, off offset:512
	s_wait_loadcnt_dscnt 0xa01
	v_mul_f64_e32 v[145:146], v[2:3], v[12:13]
	v_mul_f64_e32 v[12:13], v[4:5], v[12:13]
	v_add_f64_e32 v[139:140], 0, v[141:142]
	v_add_f64_e32 v[141:142], 0, v[143:144]
	s_wait_loadcnt_dscnt 0x900
	v_mul_f64_e32 v[143:144], v[135:136], v[16:17]
	v_mul_f64_e32 v[16:17], v[137:138], v[16:17]
	v_fma_f64 v[145:146], v[4:5], v[10:11], v[145:146]
	v_fma_f64 v[147:148], v[2:3], v[10:11], -v[12:13]
	ds_load_b128 v[2:5], v1 offset:1024
	scratch_load_b128 v[10:13], off, off offset:528
	v_add_f64_e32 v[139:140], v[139:140], v[42:43]
	v_add_f64_e32 v[141:142], v[141:142], v[44:45]
	ds_load_b128 v[42:45], v1 offset:1040
	v_fma_f64 v[137:138], v[137:138], v[14:15], v[143:144]
	v_fma_f64 v[135:136], v[135:136], v[14:15], -v[16:17]
	scratch_load_b128 v[14:17], off, off offset:544
	s_wait_loadcnt_dscnt 0xa01
	v_mul_f64_e32 v[149:150], v[2:3], v[20:21]
	v_mul_f64_e32 v[20:21], v[4:5], v[20:21]
	s_wait_loadcnt_dscnt 0x900
	v_mul_f64_e32 v[143:144], v[42:43], v[24:25]
	v_mul_f64_e32 v[24:25], v[44:45], v[24:25]
	v_add_f64_e32 v[139:140], v[139:140], v[147:148]
	v_add_f64_e32 v[141:142], v[141:142], v[145:146]
	v_fma_f64 v[145:146], v[4:5], v[18:19], v[149:150]
	v_fma_f64 v[147:148], v[2:3], v[18:19], -v[20:21]
	ds_load_b128 v[2:5], v1 offset:1056
	scratch_load_b128 v[18:21], off, off offset:560
	v_fma_f64 v[44:45], v[44:45], v[22:23], v[143:144]
	v_fma_f64 v[42:43], v[42:43], v[22:23], -v[24:25]
	scratch_load_b128 v[22:25], off, off offset:576
	v_add_f64_e32 v[139:140], v[139:140], v[135:136]
	v_add_f64_e32 v[141:142], v[141:142], v[137:138]
	ds_load_b128 v[135:138], v1 offset:1072
	s_wait_loadcnt_dscnt 0xa01
	v_mul_f64_e32 v[149:150], v[2:3], v[28:29]
	v_mul_f64_e32 v[28:29], v[4:5], v[28:29]
	s_wait_loadcnt_dscnt 0x900
	v_mul_f64_e32 v[143:144], v[135:136], v[32:33]
	v_mul_f64_e32 v[32:33], v[137:138], v[32:33]
	v_add_f64_e32 v[139:140], v[139:140], v[147:148]
	v_add_f64_e32 v[141:142], v[141:142], v[145:146]
	v_fma_f64 v[145:146], v[4:5], v[26:27], v[149:150]
	v_fma_f64 v[147:148], v[2:3], v[26:27], -v[28:29]
	ds_load_b128 v[2:5], v1 offset:1088
	scratch_load_b128 v[26:29], off, off offset:592
	v_fma_f64 v[137:138], v[137:138], v[30:31], v[143:144]
	v_fma_f64 v[135:136], v[135:136], v[30:31], -v[32:33]
	scratch_load_b128 v[30:33], off, off offset:608
	v_add_f64_e32 v[139:140], v[139:140], v[42:43]
	v_add_f64_e32 v[141:142], v[141:142], v[44:45]
	ds_load_b128 v[42:45], v1 offset:1104
	s_wait_loadcnt_dscnt 0xa01
	v_mul_f64_e32 v[149:150], v[2:3], v[36:37]
	v_mul_f64_e32 v[36:37], v[4:5], v[36:37]
	s_wait_loadcnt_dscnt 0x800
	v_mul_f64_e32 v[143:144], v[42:43], v[133:134]
	v_add_f64_e32 v[139:140], v[139:140], v[147:148]
	v_add_f64_e32 v[141:142], v[141:142], v[145:146]
	v_mul_f64_e32 v[145:146], v[44:45], v[133:134]
	v_fma_f64 v[147:148], v[4:5], v[34:35], v[149:150]
	v_fma_f64 v[149:150], v[2:3], v[34:35], -v[36:37]
	ds_load_b128 v[2:5], v1 offset:1120
	scratch_load_b128 v[34:37], off, off offset:624
	v_fma_f64 v[44:45], v[44:45], v[131:132], v[143:144]
	v_add_f64_e32 v[139:140], v[139:140], v[135:136]
	v_add_f64_e32 v[137:138], v[141:142], v[137:138]
	ds_load_b128 v[133:136], v1 offset:1136
	v_fma_f64 v[131:132], v[42:43], v[131:132], -v[145:146]
	s_wait_loadcnt_dscnt 0x801
	v_mul_f64_e32 v[141:142], v[2:3], v[40:41]
	v_mul_f64_e32 v[151:152], v[4:5], v[40:41]
	scratch_load_b128 v[40:43], off, off offset:640
	s_wait_loadcnt_dscnt 0x800
	v_mul_f64_e32 v[143:144], v[133:134], v[8:9]
	v_mul_f64_e32 v[8:9], v[135:136], v[8:9]
	v_add_f64_e32 v[139:140], v[139:140], v[149:150]
	v_add_f64_e32 v[137:138], v[137:138], v[147:148]
	v_fma_f64 v[141:142], v[4:5], v[38:39], v[141:142]
	v_fma_f64 v[38:39], v[2:3], v[38:39], -v[151:152]
	v_fma_f64 v[135:136], v[135:136], v[6:7], v[143:144]
	v_fma_f64 v[6:7], v[133:134], v[6:7], -v[8:9]
	v_add_f64_e32 v[131:132], v[139:140], v[131:132]
	v_add_f64_e32 v[44:45], v[137:138], v[44:45]
	ds_load_b128 v[2:5], v1 offset:1152
	ds_load_b128 v[137:140], v1 offset:1168
	s_wait_loadcnt_dscnt 0x701
	v_mul_f64_e32 v[145:146], v[2:3], v[12:13]
	v_mul_f64_e32 v[12:13], v[4:5], v[12:13]
	v_add_f64_e32 v[8:9], v[131:132], v[38:39]
	v_add_f64_e32 v[38:39], v[44:45], v[141:142]
	s_wait_loadcnt_dscnt 0x600
	v_mul_f64_e32 v[44:45], v[137:138], v[16:17]
	v_mul_f64_e32 v[16:17], v[139:140], v[16:17]
	v_fma_f64 v[131:132], v[4:5], v[10:11], v[145:146]
	v_fma_f64 v[10:11], v[2:3], v[10:11], -v[12:13]
	v_add_f64_e32 v[12:13], v[8:9], v[6:7]
	v_add_f64_e32 v[38:39], v[38:39], v[135:136]
	ds_load_b128 v[2:5], v1 offset:1184
	ds_load_b128 v[6:9], v1 offset:1200
	v_fma_f64 v[44:45], v[139:140], v[14:15], v[44:45]
	v_fma_f64 v[14:15], v[137:138], v[14:15], -v[16:17]
	s_wait_loadcnt_dscnt 0x501
	v_mul_f64_e32 v[133:134], v[2:3], v[20:21]
	v_mul_f64_e32 v[20:21], v[4:5], v[20:21]
	s_wait_loadcnt_dscnt 0x400
	v_mul_f64_e32 v[16:17], v[6:7], v[24:25]
	v_mul_f64_e32 v[24:25], v[8:9], v[24:25]
	v_add_f64_e32 v[10:11], v[12:13], v[10:11]
	v_add_f64_e32 v[12:13], v[38:39], v[131:132]
	v_fma_f64 v[38:39], v[4:5], v[18:19], v[133:134]
	v_fma_f64 v[18:19], v[2:3], v[18:19], -v[20:21]
	v_fma_f64 v[8:9], v[8:9], v[22:23], v[16:17]
	v_fma_f64 v[6:7], v[6:7], v[22:23], -v[24:25]
	v_add_f64_e32 v[14:15], v[10:11], v[14:15]
	v_add_f64_e32 v[20:21], v[12:13], v[44:45]
	ds_load_b128 v[2:5], v1 offset:1216
	ds_load_b128 v[10:13], v1 offset:1232
	s_wait_loadcnt_dscnt 0x301
	v_mul_f64_e32 v[44:45], v[2:3], v[28:29]
	v_mul_f64_e32 v[28:29], v[4:5], v[28:29]
	v_add_f64_e32 v[14:15], v[14:15], v[18:19]
	v_add_f64_e32 v[16:17], v[20:21], v[38:39]
	s_wait_loadcnt_dscnt 0x200
	v_mul_f64_e32 v[18:19], v[10:11], v[32:33]
	v_mul_f64_e32 v[20:21], v[12:13], v[32:33]
	v_fma_f64 v[22:23], v[4:5], v[26:27], v[44:45]
	v_fma_f64 v[24:25], v[2:3], v[26:27], -v[28:29]
	v_add_f64_e32 v[14:15], v[14:15], v[6:7]
	v_add_f64_e32 v[16:17], v[16:17], v[8:9]
	ds_load_b128 v[2:5], v1 offset:1248
	ds_load_b128 v[6:9], v1 offset:1264
	v_fma_f64 v[12:13], v[12:13], v[30:31], v[18:19]
	v_fma_f64 v[10:11], v[10:11], v[30:31], -v[20:21]
	s_wait_loadcnt_dscnt 0x101
	v_mul_f64_e32 v[26:27], v[2:3], v[36:37]
	v_mul_f64_e32 v[28:29], v[4:5], v[36:37]
	s_wait_loadcnt_dscnt 0x0
	v_mul_f64_e32 v[18:19], v[6:7], v[42:43]
	v_add_f64_e32 v[14:15], v[14:15], v[24:25]
	v_add_f64_e32 v[16:17], v[16:17], v[22:23]
	v_mul_f64_e32 v[20:21], v[8:9], v[42:43]
	v_fma_f64 v[4:5], v[4:5], v[34:35], v[26:27]
	v_fma_f64 v[1:2], v[2:3], v[34:35], -v[28:29]
	v_fma_f64 v[8:9], v[8:9], v[40:41], v[18:19]
	v_add_f64_e32 v[10:11], v[14:15], v[10:11]
	v_add_f64_e32 v[12:13], v[16:17], v[12:13]
	v_fma_f64 v[6:7], v[6:7], v[40:41], -v[20:21]
	s_delay_alu instid0(VALU_DEP_3) | instskip(NEXT) | instid1(VALU_DEP_3)
	v_add_f64_e32 v[1:2], v[10:11], v[1:2]
	v_add_f64_e32 v[3:4], v[12:13], v[4:5]
	s_delay_alu instid0(VALU_DEP_2) | instskip(NEXT) | instid1(VALU_DEP_2)
	v_add_f64_e32 v[1:2], v[1:2], v[6:7]
	v_add_f64_e32 v[3:4], v[3:4], v[8:9]
	s_delay_alu instid0(VALU_DEP_2) | instskip(NEXT) | instid1(VALU_DEP_2)
	v_add_f64_e64 v[1:2], v[127:128], -v[1:2]
	v_add_f64_e64 v[3:4], v[129:130], -v[3:4]
	scratch_store_b128 off, v[1:4], off offset:320
	v_cmpx_lt_u32_e32 18, v0
	s_cbranch_execz .LBB103_217
; %bb.216:
	scratch_load_b128 v[1:4], off, s36
	v_mov_b32_e32 v5, 0
	s_delay_alu instid0(VALU_DEP_1)
	v_dual_mov_b32 v6, v5 :: v_dual_mov_b32 v7, v5
	v_mov_b32_e32 v8, v5
	scratch_store_b128 off, v[5:8], off offset:304
	s_wait_loadcnt 0x0
	ds_store_b128 v126, v[1:4]
.LBB103_217:
	s_wait_alu 0xfffe
	s_or_b32 exec_lo, exec_lo, s0
	s_wait_storecnt_dscnt 0x0
	s_barrier_signal -1
	s_barrier_wait -1
	global_inv scope:SCOPE_SE
	s_clause 0x7
	scratch_load_b128 v[2:5], off, off offset:320
	scratch_load_b128 v[6:9], off, off offset:336
	;; [unrolled: 1-line block ×8, first 2 shown]
	v_mov_b32_e32 v1, 0
	s_mov_b32 s0, exec_lo
	ds_load_b128 v[34:37], v1 offset:944
	s_clause 0x1
	scratch_load_b128 v[38:41], off, off offset:448
	scratch_load_b128 v[42:45], off, off offset:304
	ds_load_b128 v[127:130], v1 offset:960
	scratch_load_b128 v[131:134], off, off offset:464
	s_wait_loadcnt_dscnt 0xa01
	v_mul_f64_e32 v[135:136], v[36:37], v[4:5]
	v_mul_f64_e32 v[4:5], v[34:35], v[4:5]
	s_delay_alu instid0(VALU_DEP_2) | instskip(NEXT) | instid1(VALU_DEP_2)
	v_fma_f64 v[141:142], v[34:35], v[2:3], -v[135:136]
	v_fma_f64 v[143:144], v[36:37], v[2:3], v[4:5]
	ds_load_b128 v[2:5], v1 offset:976
	s_wait_loadcnt_dscnt 0x901
	v_mul_f64_e32 v[139:140], v[127:128], v[8:9]
	v_mul_f64_e32 v[8:9], v[129:130], v[8:9]
	scratch_load_b128 v[34:37], off, off offset:480
	ds_load_b128 v[135:138], v1 offset:992
	s_wait_loadcnt_dscnt 0x901
	v_mul_f64_e32 v[145:146], v[2:3], v[12:13]
	v_mul_f64_e32 v[12:13], v[4:5], v[12:13]
	v_fma_f64 v[129:130], v[129:130], v[6:7], v[139:140]
	v_fma_f64 v[127:128], v[127:128], v[6:7], -v[8:9]
	v_add_f64_e32 v[139:140], 0, v[141:142]
	v_add_f64_e32 v[141:142], 0, v[143:144]
	scratch_load_b128 v[6:9], off, off offset:496
	v_fma_f64 v[145:146], v[4:5], v[10:11], v[145:146]
	v_fma_f64 v[147:148], v[2:3], v[10:11], -v[12:13]
	ds_load_b128 v[2:5], v1 offset:1008
	s_wait_loadcnt_dscnt 0x901
	v_mul_f64_e32 v[143:144], v[135:136], v[16:17]
	v_mul_f64_e32 v[16:17], v[137:138], v[16:17]
	scratch_load_b128 v[10:13], off, off offset:512
	v_add_f64_e32 v[139:140], v[139:140], v[127:128]
	v_add_f64_e32 v[141:142], v[141:142], v[129:130]
	s_wait_loadcnt_dscnt 0x900
	v_mul_f64_e32 v[149:150], v[2:3], v[20:21]
	v_mul_f64_e32 v[20:21], v[4:5], v[20:21]
	ds_load_b128 v[127:130], v1 offset:1024
	v_fma_f64 v[137:138], v[137:138], v[14:15], v[143:144]
	v_fma_f64 v[135:136], v[135:136], v[14:15], -v[16:17]
	scratch_load_b128 v[14:17], off, off offset:528
	v_add_f64_e32 v[139:140], v[139:140], v[147:148]
	v_add_f64_e32 v[141:142], v[141:142], v[145:146]
	v_fma_f64 v[145:146], v[4:5], v[18:19], v[149:150]
	v_fma_f64 v[147:148], v[2:3], v[18:19], -v[20:21]
	ds_load_b128 v[2:5], v1 offset:1040
	s_wait_loadcnt_dscnt 0x901
	v_mul_f64_e32 v[143:144], v[127:128], v[24:25]
	v_mul_f64_e32 v[24:25], v[129:130], v[24:25]
	scratch_load_b128 v[18:21], off, off offset:544
	s_wait_loadcnt_dscnt 0x900
	v_mul_f64_e32 v[149:150], v[2:3], v[28:29]
	v_mul_f64_e32 v[28:29], v[4:5], v[28:29]
	v_add_f64_e32 v[139:140], v[139:140], v[135:136]
	v_add_f64_e32 v[141:142], v[141:142], v[137:138]
	ds_load_b128 v[135:138], v1 offset:1056
	v_fma_f64 v[129:130], v[129:130], v[22:23], v[143:144]
	v_fma_f64 v[127:128], v[127:128], v[22:23], -v[24:25]
	scratch_load_b128 v[22:25], off, off offset:560
	v_add_f64_e32 v[139:140], v[139:140], v[147:148]
	v_add_f64_e32 v[141:142], v[141:142], v[145:146]
	v_fma_f64 v[145:146], v[4:5], v[26:27], v[149:150]
	v_fma_f64 v[147:148], v[2:3], v[26:27], -v[28:29]
	ds_load_b128 v[2:5], v1 offset:1072
	s_wait_loadcnt_dscnt 0x901
	v_mul_f64_e32 v[143:144], v[135:136], v[32:33]
	v_mul_f64_e32 v[32:33], v[137:138], v[32:33]
	scratch_load_b128 v[26:29], off, off offset:576
	s_wait_loadcnt_dscnt 0x900
	v_mul_f64_e32 v[149:150], v[2:3], v[40:41]
	v_mul_f64_e32 v[40:41], v[4:5], v[40:41]
	v_add_f64_e32 v[139:140], v[139:140], v[127:128]
	v_add_f64_e32 v[141:142], v[141:142], v[129:130]
	ds_load_b128 v[127:130], v1 offset:1088
	v_fma_f64 v[137:138], v[137:138], v[30:31], v[143:144]
	v_fma_f64 v[135:136], v[135:136], v[30:31], -v[32:33]
	scratch_load_b128 v[30:33], off, off offset:592
	v_add_f64_e32 v[139:140], v[139:140], v[147:148]
	v_add_f64_e32 v[141:142], v[141:142], v[145:146]
	v_fma_f64 v[147:148], v[4:5], v[38:39], v[149:150]
	v_fma_f64 v[149:150], v[2:3], v[38:39], -v[40:41]
	ds_load_b128 v[2:5], v1 offset:1104
	s_wait_loadcnt_dscnt 0x801
	v_mul_f64_e32 v[143:144], v[127:128], v[133:134]
	v_mul_f64_e32 v[145:146], v[129:130], v[133:134]
	scratch_load_b128 v[38:41], off, off offset:608
	v_add_f64_e32 v[139:140], v[139:140], v[135:136]
	v_add_f64_e32 v[137:138], v[141:142], v[137:138]
	ds_load_b128 v[133:136], v1 offset:1120
	v_fma_f64 v[143:144], v[129:130], v[131:132], v[143:144]
	v_fma_f64 v[131:132], v[127:128], v[131:132], -v[145:146]
	scratch_load_b128 v[127:130], off, off offset:624
	s_wait_loadcnt_dscnt 0x901
	v_mul_f64_e32 v[141:142], v[2:3], v[36:37]
	v_mul_f64_e32 v[36:37], v[4:5], v[36:37]
	v_add_f64_e32 v[139:140], v[139:140], v[149:150]
	v_add_f64_e32 v[137:138], v[137:138], v[147:148]
	s_delay_alu instid0(VALU_DEP_4) | instskip(NEXT) | instid1(VALU_DEP_4)
	v_fma_f64 v[141:142], v[4:5], v[34:35], v[141:142]
	v_fma_f64 v[147:148], v[2:3], v[34:35], -v[36:37]
	ds_load_b128 v[2:5], v1 offset:1136
	s_wait_loadcnt_dscnt 0x801
	v_mul_f64_e32 v[145:146], v[133:134], v[8:9]
	v_mul_f64_e32 v[8:9], v[135:136], v[8:9]
	scratch_load_b128 v[34:37], off, off offset:640
	s_wait_loadcnt_dscnt 0x800
	v_mul_f64_e32 v[149:150], v[2:3], v[12:13]
	v_add_f64_e32 v[131:132], v[139:140], v[131:132]
	v_add_f64_e32 v[143:144], v[137:138], v[143:144]
	v_mul_f64_e32 v[12:13], v[4:5], v[12:13]
	ds_load_b128 v[137:140], v1 offset:1152
	v_fma_f64 v[135:136], v[135:136], v[6:7], v[145:146]
	v_fma_f64 v[6:7], v[133:134], v[6:7], -v[8:9]
	s_wait_loadcnt_dscnt 0x700
	v_mul_f64_e32 v[133:134], v[137:138], v[16:17]
	v_add_f64_e32 v[8:9], v[131:132], v[147:148]
	v_add_f64_e32 v[131:132], v[143:144], v[141:142]
	v_mul_f64_e32 v[16:17], v[139:140], v[16:17]
	v_fma_f64 v[141:142], v[4:5], v[10:11], v[149:150]
	v_fma_f64 v[10:11], v[2:3], v[10:11], -v[12:13]
	v_fma_f64 v[133:134], v[139:140], v[14:15], v[133:134]
	v_add_f64_e32 v[12:13], v[8:9], v[6:7]
	v_add_f64_e32 v[131:132], v[131:132], v[135:136]
	ds_load_b128 v[2:5], v1 offset:1168
	ds_load_b128 v[6:9], v1 offset:1184
	v_fma_f64 v[14:15], v[137:138], v[14:15], -v[16:17]
	s_wait_loadcnt_dscnt 0x601
	v_mul_f64_e32 v[135:136], v[2:3], v[20:21]
	v_mul_f64_e32 v[20:21], v[4:5], v[20:21]
	s_wait_loadcnt_dscnt 0x500
	v_mul_f64_e32 v[16:17], v[6:7], v[24:25]
	v_mul_f64_e32 v[24:25], v[8:9], v[24:25]
	v_add_f64_e32 v[10:11], v[12:13], v[10:11]
	v_add_f64_e32 v[12:13], v[131:132], v[141:142]
	v_fma_f64 v[131:132], v[4:5], v[18:19], v[135:136]
	v_fma_f64 v[18:19], v[2:3], v[18:19], -v[20:21]
	v_fma_f64 v[8:9], v[8:9], v[22:23], v[16:17]
	v_fma_f64 v[6:7], v[6:7], v[22:23], -v[24:25]
	v_add_f64_e32 v[14:15], v[10:11], v[14:15]
	v_add_f64_e32 v[20:21], v[12:13], v[133:134]
	ds_load_b128 v[2:5], v1 offset:1200
	ds_load_b128 v[10:13], v1 offset:1216
	s_wait_loadcnt_dscnt 0x401
	v_mul_f64_e32 v[133:134], v[2:3], v[28:29]
	v_mul_f64_e32 v[28:29], v[4:5], v[28:29]
	v_add_f64_e32 v[14:15], v[14:15], v[18:19]
	v_add_f64_e32 v[16:17], v[20:21], v[131:132]
	s_wait_loadcnt_dscnt 0x300
	v_mul_f64_e32 v[18:19], v[10:11], v[32:33]
	v_mul_f64_e32 v[20:21], v[12:13], v[32:33]
	v_fma_f64 v[22:23], v[4:5], v[26:27], v[133:134]
	v_fma_f64 v[24:25], v[2:3], v[26:27], -v[28:29]
	v_add_f64_e32 v[14:15], v[14:15], v[6:7]
	v_add_f64_e32 v[16:17], v[16:17], v[8:9]
	ds_load_b128 v[2:5], v1 offset:1232
	ds_load_b128 v[6:9], v1 offset:1248
	v_fma_f64 v[12:13], v[12:13], v[30:31], v[18:19]
	v_fma_f64 v[10:11], v[10:11], v[30:31], -v[20:21]
	s_wait_loadcnt_dscnt 0x201
	v_mul_f64_e32 v[26:27], v[2:3], v[40:41]
	v_mul_f64_e32 v[28:29], v[4:5], v[40:41]
	s_wait_loadcnt_dscnt 0x100
	v_mul_f64_e32 v[18:19], v[6:7], v[129:130]
	v_mul_f64_e32 v[20:21], v[8:9], v[129:130]
	v_add_f64_e32 v[14:15], v[14:15], v[24:25]
	v_add_f64_e32 v[16:17], v[16:17], v[22:23]
	v_fma_f64 v[22:23], v[4:5], v[38:39], v[26:27]
	v_fma_f64 v[24:25], v[2:3], v[38:39], -v[28:29]
	ds_load_b128 v[2:5], v1 offset:1264
	v_fma_f64 v[8:9], v[8:9], v[127:128], v[18:19]
	v_fma_f64 v[6:7], v[6:7], v[127:128], -v[20:21]
	v_add_f64_e32 v[10:11], v[14:15], v[10:11]
	v_add_f64_e32 v[12:13], v[16:17], v[12:13]
	s_wait_loadcnt_dscnt 0x0
	v_mul_f64_e32 v[14:15], v[2:3], v[36:37]
	v_mul_f64_e32 v[16:17], v[4:5], v[36:37]
	s_delay_alu instid0(VALU_DEP_4) | instskip(NEXT) | instid1(VALU_DEP_4)
	v_add_f64_e32 v[10:11], v[10:11], v[24:25]
	v_add_f64_e32 v[12:13], v[12:13], v[22:23]
	s_delay_alu instid0(VALU_DEP_4) | instskip(NEXT) | instid1(VALU_DEP_4)
	v_fma_f64 v[4:5], v[4:5], v[34:35], v[14:15]
	v_fma_f64 v[2:3], v[2:3], v[34:35], -v[16:17]
	s_delay_alu instid0(VALU_DEP_4) | instskip(NEXT) | instid1(VALU_DEP_4)
	v_add_f64_e32 v[6:7], v[10:11], v[6:7]
	v_add_f64_e32 v[8:9], v[12:13], v[8:9]
	s_delay_alu instid0(VALU_DEP_2) | instskip(NEXT) | instid1(VALU_DEP_2)
	v_add_f64_e32 v[2:3], v[6:7], v[2:3]
	v_add_f64_e32 v[4:5], v[8:9], v[4:5]
	s_delay_alu instid0(VALU_DEP_2) | instskip(NEXT) | instid1(VALU_DEP_2)
	v_add_f64_e64 v[2:3], v[42:43], -v[2:3]
	v_add_f64_e64 v[4:5], v[44:45], -v[4:5]
	scratch_store_b128 off, v[2:5], off offset:304
	v_cmpx_lt_u32_e32 17, v0
	s_cbranch_execz .LBB103_219
; %bb.218:
	scratch_load_b128 v[5:8], off, s15
	v_dual_mov_b32 v2, v1 :: v_dual_mov_b32 v3, v1
	v_mov_b32_e32 v4, v1
	scratch_store_b128 off, v[1:4], off offset:288
	s_wait_loadcnt 0x0
	ds_store_b128 v126, v[5:8]
.LBB103_219:
	s_wait_alu 0xfffe
	s_or_b32 exec_lo, exec_lo, s0
	s_wait_storecnt_dscnt 0x0
	s_barrier_signal -1
	s_barrier_wait -1
	global_inv scope:SCOPE_SE
	s_clause 0x8
	scratch_load_b128 v[2:5], off, off offset:304
	scratch_load_b128 v[6:9], off, off offset:320
	;; [unrolled: 1-line block ×9, first 2 shown]
	ds_load_b128 v[38:41], v1 offset:928
	ds_load_b128 v[42:45], v1 offset:944
	s_clause 0x1
	scratch_load_b128 v[127:130], off, off offset:288
	scratch_load_b128 v[131:134], off, off offset:448
	s_mov_b32 s0, exec_lo
	s_wait_loadcnt_dscnt 0xa01
	v_mul_f64_e32 v[135:136], v[40:41], v[4:5]
	v_mul_f64_e32 v[4:5], v[38:39], v[4:5]
	s_wait_loadcnt_dscnt 0x900
	v_mul_f64_e32 v[139:140], v[42:43], v[8:9]
	v_mul_f64_e32 v[8:9], v[44:45], v[8:9]
	s_delay_alu instid0(VALU_DEP_4) | instskip(NEXT) | instid1(VALU_DEP_4)
	v_fma_f64 v[141:142], v[38:39], v[2:3], -v[135:136]
	v_fma_f64 v[143:144], v[40:41], v[2:3], v[4:5]
	ds_load_b128 v[2:5], v1 offset:960
	ds_load_b128 v[135:138], v1 offset:976
	scratch_load_b128 v[38:41], off, off offset:464
	v_fma_f64 v[44:45], v[44:45], v[6:7], v[139:140]
	v_fma_f64 v[42:43], v[42:43], v[6:7], -v[8:9]
	scratch_load_b128 v[6:9], off, off offset:480
	s_wait_loadcnt_dscnt 0xa01
	v_mul_f64_e32 v[145:146], v[2:3], v[12:13]
	v_mul_f64_e32 v[12:13], v[4:5], v[12:13]
	v_add_f64_e32 v[139:140], 0, v[141:142]
	v_add_f64_e32 v[141:142], 0, v[143:144]
	s_wait_loadcnt_dscnt 0x900
	v_mul_f64_e32 v[143:144], v[135:136], v[16:17]
	v_mul_f64_e32 v[16:17], v[137:138], v[16:17]
	v_fma_f64 v[145:146], v[4:5], v[10:11], v[145:146]
	v_fma_f64 v[147:148], v[2:3], v[10:11], -v[12:13]
	ds_load_b128 v[2:5], v1 offset:992
	scratch_load_b128 v[10:13], off, off offset:496
	v_add_f64_e32 v[139:140], v[139:140], v[42:43]
	v_add_f64_e32 v[141:142], v[141:142], v[44:45]
	ds_load_b128 v[42:45], v1 offset:1008
	v_fma_f64 v[137:138], v[137:138], v[14:15], v[143:144]
	v_fma_f64 v[135:136], v[135:136], v[14:15], -v[16:17]
	scratch_load_b128 v[14:17], off, off offset:512
	s_wait_loadcnt_dscnt 0xa01
	v_mul_f64_e32 v[149:150], v[2:3], v[20:21]
	v_mul_f64_e32 v[20:21], v[4:5], v[20:21]
	s_wait_loadcnt_dscnt 0x900
	v_mul_f64_e32 v[143:144], v[42:43], v[24:25]
	v_mul_f64_e32 v[24:25], v[44:45], v[24:25]
	v_add_f64_e32 v[139:140], v[139:140], v[147:148]
	v_add_f64_e32 v[141:142], v[141:142], v[145:146]
	v_fma_f64 v[145:146], v[4:5], v[18:19], v[149:150]
	v_fma_f64 v[147:148], v[2:3], v[18:19], -v[20:21]
	ds_load_b128 v[2:5], v1 offset:1024
	scratch_load_b128 v[18:21], off, off offset:528
	v_fma_f64 v[44:45], v[44:45], v[22:23], v[143:144]
	v_fma_f64 v[42:43], v[42:43], v[22:23], -v[24:25]
	scratch_load_b128 v[22:25], off, off offset:544
	v_add_f64_e32 v[139:140], v[139:140], v[135:136]
	v_add_f64_e32 v[141:142], v[141:142], v[137:138]
	ds_load_b128 v[135:138], v1 offset:1040
	s_wait_loadcnt_dscnt 0xa01
	v_mul_f64_e32 v[149:150], v[2:3], v[28:29]
	v_mul_f64_e32 v[28:29], v[4:5], v[28:29]
	s_wait_loadcnt_dscnt 0x900
	v_mul_f64_e32 v[143:144], v[135:136], v[32:33]
	v_mul_f64_e32 v[32:33], v[137:138], v[32:33]
	v_add_f64_e32 v[139:140], v[139:140], v[147:148]
	v_add_f64_e32 v[141:142], v[141:142], v[145:146]
	v_fma_f64 v[145:146], v[4:5], v[26:27], v[149:150]
	v_fma_f64 v[147:148], v[2:3], v[26:27], -v[28:29]
	ds_load_b128 v[2:5], v1 offset:1056
	scratch_load_b128 v[26:29], off, off offset:560
	v_fma_f64 v[137:138], v[137:138], v[30:31], v[143:144]
	v_fma_f64 v[135:136], v[135:136], v[30:31], -v[32:33]
	scratch_load_b128 v[30:33], off, off offset:576
	v_add_f64_e32 v[139:140], v[139:140], v[42:43]
	v_add_f64_e32 v[141:142], v[141:142], v[44:45]
	ds_load_b128 v[42:45], v1 offset:1072
	s_wait_loadcnt_dscnt 0xa01
	v_mul_f64_e32 v[149:150], v[2:3], v[36:37]
	v_mul_f64_e32 v[36:37], v[4:5], v[36:37]
	s_wait_loadcnt_dscnt 0x800
	v_mul_f64_e32 v[143:144], v[42:43], v[133:134]
	v_add_f64_e32 v[139:140], v[139:140], v[147:148]
	v_add_f64_e32 v[141:142], v[141:142], v[145:146]
	v_mul_f64_e32 v[145:146], v[44:45], v[133:134]
	v_fma_f64 v[147:148], v[4:5], v[34:35], v[149:150]
	v_fma_f64 v[149:150], v[2:3], v[34:35], -v[36:37]
	ds_load_b128 v[2:5], v1 offset:1088
	scratch_load_b128 v[34:37], off, off offset:592
	v_fma_f64 v[44:45], v[44:45], v[131:132], v[143:144]
	v_add_f64_e32 v[139:140], v[139:140], v[135:136]
	v_add_f64_e32 v[137:138], v[141:142], v[137:138]
	ds_load_b128 v[133:136], v1 offset:1104
	v_fma_f64 v[131:132], v[42:43], v[131:132], -v[145:146]
	s_wait_loadcnt_dscnt 0x801
	v_mul_f64_e32 v[141:142], v[2:3], v[40:41]
	v_mul_f64_e32 v[151:152], v[4:5], v[40:41]
	scratch_load_b128 v[40:43], off, off offset:608
	s_wait_loadcnt_dscnt 0x800
	v_mul_f64_e32 v[145:146], v[133:134], v[8:9]
	v_mul_f64_e32 v[8:9], v[135:136], v[8:9]
	v_add_f64_e32 v[139:140], v[139:140], v[149:150]
	v_add_f64_e32 v[137:138], v[137:138], v[147:148]
	v_fma_f64 v[147:148], v[4:5], v[38:39], v[141:142]
	v_fma_f64 v[38:39], v[2:3], v[38:39], -v[151:152]
	ds_load_b128 v[2:5], v1 offset:1120
	ds_load_b128 v[141:144], v1 offset:1136
	v_fma_f64 v[135:136], v[135:136], v[6:7], v[145:146]
	v_fma_f64 v[133:134], v[133:134], v[6:7], -v[8:9]
	scratch_load_b128 v[6:9], off, off offset:640
	v_add_f64_e32 v[131:132], v[139:140], v[131:132]
	v_add_f64_e32 v[44:45], v[137:138], v[44:45]
	scratch_load_b128 v[137:140], off, off offset:624
	s_wait_loadcnt_dscnt 0x901
	v_mul_f64_e32 v[149:150], v[2:3], v[12:13]
	v_mul_f64_e32 v[12:13], v[4:5], v[12:13]
	v_add_f64_e32 v[38:39], v[131:132], v[38:39]
	v_add_f64_e32 v[44:45], v[44:45], v[147:148]
	s_wait_loadcnt_dscnt 0x800
	v_mul_f64_e32 v[131:132], v[141:142], v[16:17]
	v_mul_f64_e32 v[16:17], v[143:144], v[16:17]
	v_fma_f64 v[145:146], v[4:5], v[10:11], v[149:150]
	v_fma_f64 v[147:148], v[2:3], v[10:11], -v[12:13]
	ds_load_b128 v[2:5], v1 offset:1152
	ds_load_b128 v[10:13], v1 offset:1168
	v_add_f64_e32 v[38:39], v[38:39], v[133:134]
	v_add_f64_e32 v[44:45], v[44:45], v[135:136]
	s_wait_loadcnt_dscnt 0x701
	v_mul_f64_e32 v[133:134], v[2:3], v[20:21]
	v_mul_f64_e32 v[20:21], v[4:5], v[20:21]
	v_fma_f64 v[131:132], v[143:144], v[14:15], v[131:132]
	v_fma_f64 v[14:15], v[141:142], v[14:15], -v[16:17]
	v_add_f64_e32 v[16:17], v[38:39], v[147:148]
	v_add_f64_e32 v[38:39], v[44:45], v[145:146]
	s_wait_loadcnt_dscnt 0x600
	v_mul_f64_e32 v[44:45], v[10:11], v[24:25]
	v_mul_f64_e32 v[24:25], v[12:13], v[24:25]
	v_fma_f64 v[133:134], v[4:5], v[18:19], v[133:134]
	v_fma_f64 v[18:19], v[2:3], v[18:19], -v[20:21]
	v_add_f64_e32 v[20:21], v[16:17], v[14:15]
	v_add_f64_e32 v[38:39], v[38:39], v[131:132]
	ds_load_b128 v[2:5], v1 offset:1184
	ds_load_b128 v[14:17], v1 offset:1200
	v_fma_f64 v[12:13], v[12:13], v[22:23], v[44:45]
	v_fma_f64 v[10:11], v[10:11], v[22:23], -v[24:25]
	s_wait_loadcnt_dscnt 0x501
	v_mul_f64_e32 v[131:132], v[2:3], v[28:29]
	v_mul_f64_e32 v[28:29], v[4:5], v[28:29]
	s_wait_loadcnt_dscnt 0x400
	v_mul_f64_e32 v[22:23], v[14:15], v[32:33]
	v_mul_f64_e32 v[24:25], v[16:17], v[32:33]
	v_add_f64_e32 v[18:19], v[20:21], v[18:19]
	v_add_f64_e32 v[20:21], v[38:39], v[133:134]
	v_fma_f64 v[32:33], v[4:5], v[26:27], v[131:132]
	v_fma_f64 v[26:27], v[2:3], v[26:27], -v[28:29]
	v_fma_f64 v[16:17], v[16:17], v[30:31], v[22:23]
	v_fma_f64 v[14:15], v[14:15], v[30:31], -v[24:25]
	v_add_f64_e32 v[18:19], v[18:19], v[10:11]
	v_add_f64_e32 v[20:21], v[20:21], v[12:13]
	ds_load_b128 v[2:5], v1 offset:1216
	ds_load_b128 v[10:13], v1 offset:1232
	s_wait_loadcnt_dscnt 0x301
	v_mul_f64_e32 v[28:29], v[2:3], v[36:37]
	v_mul_f64_e32 v[36:37], v[4:5], v[36:37]
	s_wait_loadcnt_dscnt 0x200
	v_mul_f64_e32 v[22:23], v[10:11], v[42:43]
	v_add_f64_e32 v[18:19], v[18:19], v[26:27]
	v_add_f64_e32 v[20:21], v[20:21], v[32:33]
	v_mul_f64_e32 v[24:25], v[12:13], v[42:43]
	v_fma_f64 v[26:27], v[4:5], v[34:35], v[28:29]
	v_fma_f64 v[28:29], v[2:3], v[34:35], -v[36:37]
	v_fma_f64 v[12:13], v[12:13], v[40:41], v[22:23]
	v_add_f64_e32 v[18:19], v[18:19], v[14:15]
	v_add_f64_e32 v[20:21], v[20:21], v[16:17]
	ds_load_b128 v[2:5], v1 offset:1248
	ds_load_b128 v[14:17], v1 offset:1264
	v_fma_f64 v[10:11], v[10:11], v[40:41], -v[24:25]
	s_wait_loadcnt_dscnt 0x1
	v_mul_f64_e32 v[30:31], v[2:3], v[139:140]
	v_mul_f64_e32 v[32:33], v[4:5], v[139:140]
	s_wait_dscnt 0x0
	v_mul_f64_e32 v[22:23], v[14:15], v[8:9]
	v_mul_f64_e32 v[8:9], v[16:17], v[8:9]
	v_add_f64_e32 v[18:19], v[18:19], v[28:29]
	v_add_f64_e32 v[20:21], v[20:21], v[26:27]
	v_fma_f64 v[4:5], v[4:5], v[137:138], v[30:31]
	v_fma_f64 v[1:2], v[2:3], v[137:138], -v[32:33]
	v_fma_f64 v[16:17], v[16:17], v[6:7], v[22:23]
	v_fma_f64 v[6:7], v[14:15], v[6:7], -v[8:9]
	v_add_f64_e32 v[10:11], v[18:19], v[10:11]
	v_add_f64_e32 v[12:13], v[20:21], v[12:13]
	s_delay_alu instid0(VALU_DEP_2) | instskip(NEXT) | instid1(VALU_DEP_2)
	v_add_f64_e32 v[1:2], v[10:11], v[1:2]
	v_add_f64_e32 v[3:4], v[12:13], v[4:5]
	s_delay_alu instid0(VALU_DEP_2) | instskip(NEXT) | instid1(VALU_DEP_2)
	;; [unrolled: 3-line block ×3, first 2 shown]
	v_add_f64_e64 v[1:2], v[127:128], -v[1:2]
	v_add_f64_e64 v[3:4], v[129:130], -v[3:4]
	scratch_store_b128 off, v[1:4], off offset:288
	v_cmpx_lt_u32_e32 16, v0
	s_cbranch_execz .LBB103_221
; %bb.220:
	scratch_load_b128 v[1:4], off, s35
	v_mov_b32_e32 v5, 0
	s_delay_alu instid0(VALU_DEP_1)
	v_dual_mov_b32 v6, v5 :: v_dual_mov_b32 v7, v5
	v_mov_b32_e32 v8, v5
	scratch_store_b128 off, v[5:8], off offset:272
	s_wait_loadcnt 0x0
	ds_store_b128 v126, v[1:4]
.LBB103_221:
	s_wait_alu 0xfffe
	s_or_b32 exec_lo, exec_lo, s0
	s_wait_storecnt_dscnt 0x0
	s_barrier_signal -1
	s_barrier_wait -1
	global_inv scope:SCOPE_SE
	s_clause 0x7
	scratch_load_b128 v[2:5], off, off offset:288
	scratch_load_b128 v[6:9], off, off offset:304
	;; [unrolled: 1-line block ×8, first 2 shown]
	v_mov_b32_e32 v1, 0
	s_mov_b32 s0, exec_lo
	ds_load_b128 v[34:37], v1 offset:912
	s_clause 0x1
	scratch_load_b128 v[38:41], off, off offset:416
	scratch_load_b128 v[42:45], off, off offset:272
	ds_load_b128 v[127:130], v1 offset:928
	scratch_load_b128 v[131:134], off, off offset:432
	s_wait_loadcnt_dscnt 0xa01
	v_mul_f64_e32 v[135:136], v[36:37], v[4:5]
	v_mul_f64_e32 v[4:5], v[34:35], v[4:5]
	s_delay_alu instid0(VALU_DEP_2) | instskip(NEXT) | instid1(VALU_DEP_2)
	v_fma_f64 v[141:142], v[34:35], v[2:3], -v[135:136]
	v_fma_f64 v[143:144], v[36:37], v[2:3], v[4:5]
	ds_load_b128 v[2:5], v1 offset:944
	s_wait_loadcnt_dscnt 0x901
	v_mul_f64_e32 v[139:140], v[127:128], v[8:9]
	v_mul_f64_e32 v[8:9], v[129:130], v[8:9]
	scratch_load_b128 v[34:37], off, off offset:448
	ds_load_b128 v[135:138], v1 offset:960
	s_wait_loadcnt_dscnt 0x901
	v_mul_f64_e32 v[145:146], v[2:3], v[12:13]
	v_mul_f64_e32 v[12:13], v[4:5], v[12:13]
	v_fma_f64 v[129:130], v[129:130], v[6:7], v[139:140]
	v_fma_f64 v[127:128], v[127:128], v[6:7], -v[8:9]
	v_add_f64_e32 v[139:140], 0, v[141:142]
	v_add_f64_e32 v[141:142], 0, v[143:144]
	scratch_load_b128 v[6:9], off, off offset:464
	v_fma_f64 v[145:146], v[4:5], v[10:11], v[145:146]
	v_fma_f64 v[147:148], v[2:3], v[10:11], -v[12:13]
	ds_load_b128 v[2:5], v1 offset:976
	s_wait_loadcnt_dscnt 0x901
	v_mul_f64_e32 v[143:144], v[135:136], v[16:17]
	v_mul_f64_e32 v[16:17], v[137:138], v[16:17]
	scratch_load_b128 v[10:13], off, off offset:480
	v_add_f64_e32 v[139:140], v[139:140], v[127:128]
	v_add_f64_e32 v[141:142], v[141:142], v[129:130]
	s_wait_loadcnt_dscnt 0x900
	v_mul_f64_e32 v[149:150], v[2:3], v[20:21]
	v_mul_f64_e32 v[20:21], v[4:5], v[20:21]
	ds_load_b128 v[127:130], v1 offset:992
	v_fma_f64 v[137:138], v[137:138], v[14:15], v[143:144]
	v_fma_f64 v[135:136], v[135:136], v[14:15], -v[16:17]
	scratch_load_b128 v[14:17], off, off offset:496
	v_add_f64_e32 v[139:140], v[139:140], v[147:148]
	v_add_f64_e32 v[141:142], v[141:142], v[145:146]
	v_fma_f64 v[145:146], v[4:5], v[18:19], v[149:150]
	v_fma_f64 v[147:148], v[2:3], v[18:19], -v[20:21]
	ds_load_b128 v[2:5], v1 offset:1008
	s_wait_loadcnt_dscnt 0x901
	v_mul_f64_e32 v[143:144], v[127:128], v[24:25]
	v_mul_f64_e32 v[24:25], v[129:130], v[24:25]
	scratch_load_b128 v[18:21], off, off offset:512
	s_wait_loadcnt_dscnt 0x900
	v_mul_f64_e32 v[149:150], v[2:3], v[28:29]
	v_mul_f64_e32 v[28:29], v[4:5], v[28:29]
	v_add_f64_e32 v[139:140], v[139:140], v[135:136]
	v_add_f64_e32 v[141:142], v[141:142], v[137:138]
	ds_load_b128 v[135:138], v1 offset:1024
	v_fma_f64 v[129:130], v[129:130], v[22:23], v[143:144]
	v_fma_f64 v[127:128], v[127:128], v[22:23], -v[24:25]
	scratch_load_b128 v[22:25], off, off offset:528
	v_add_f64_e32 v[139:140], v[139:140], v[147:148]
	v_add_f64_e32 v[141:142], v[141:142], v[145:146]
	v_fma_f64 v[145:146], v[4:5], v[26:27], v[149:150]
	v_fma_f64 v[147:148], v[2:3], v[26:27], -v[28:29]
	ds_load_b128 v[2:5], v1 offset:1040
	s_wait_loadcnt_dscnt 0x901
	v_mul_f64_e32 v[143:144], v[135:136], v[32:33]
	v_mul_f64_e32 v[32:33], v[137:138], v[32:33]
	scratch_load_b128 v[26:29], off, off offset:544
	s_wait_loadcnt_dscnt 0x900
	v_mul_f64_e32 v[149:150], v[2:3], v[40:41]
	v_mul_f64_e32 v[40:41], v[4:5], v[40:41]
	v_add_f64_e32 v[139:140], v[139:140], v[127:128]
	v_add_f64_e32 v[141:142], v[141:142], v[129:130]
	ds_load_b128 v[127:130], v1 offset:1056
	v_fma_f64 v[137:138], v[137:138], v[30:31], v[143:144]
	v_fma_f64 v[135:136], v[135:136], v[30:31], -v[32:33]
	scratch_load_b128 v[30:33], off, off offset:560
	v_add_f64_e32 v[139:140], v[139:140], v[147:148]
	v_add_f64_e32 v[141:142], v[141:142], v[145:146]
	v_fma_f64 v[147:148], v[4:5], v[38:39], v[149:150]
	v_fma_f64 v[149:150], v[2:3], v[38:39], -v[40:41]
	ds_load_b128 v[2:5], v1 offset:1072
	s_wait_loadcnt_dscnt 0x801
	v_mul_f64_e32 v[143:144], v[127:128], v[133:134]
	v_mul_f64_e32 v[145:146], v[129:130], v[133:134]
	scratch_load_b128 v[38:41], off, off offset:576
	v_add_f64_e32 v[139:140], v[139:140], v[135:136]
	v_add_f64_e32 v[137:138], v[141:142], v[137:138]
	ds_load_b128 v[133:136], v1 offset:1088
	v_fma_f64 v[143:144], v[129:130], v[131:132], v[143:144]
	v_fma_f64 v[131:132], v[127:128], v[131:132], -v[145:146]
	scratch_load_b128 v[127:130], off, off offset:592
	s_wait_loadcnt_dscnt 0x901
	v_mul_f64_e32 v[141:142], v[2:3], v[36:37]
	v_mul_f64_e32 v[36:37], v[4:5], v[36:37]
	v_add_f64_e32 v[139:140], v[139:140], v[149:150]
	v_add_f64_e32 v[137:138], v[137:138], v[147:148]
	s_delay_alu instid0(VALU_DEP_4) | instskip(NEXT) | instid1(VALU_DEP_4)
	v_fma_f64 v[141:142], v[4:5], v[34:35], v[141:142]
	v_fma_f64 v[147:148], v[2:3], v[34:35], -v[36:37]
	ds_load_b128 v[2:5], v1 offset:1104
	s_wait_loadcnt_dscnt 0x801
	v_mul_f64_e32 v[145:146], v[133:134], v[8:9]
	v_mul_f64_e32 v[8:9], v[135:136], v[8:9]
	scratch_load_b128 v[34:37], off, off offset:608
	s_wait_loadcnt_dscnt 0x800
	v_mul_f64_e32 v[149:150], v[2:3], v[12:13]
	v_add_f64_e32 v[131:132], v[139:140], v[131:132]
	v_add_f64_e32 v[143:144], v[137:138], v[143:144]
	v_mul_f64_e32 v[12:13], v[4:5], v[12:13]
	ds_load_b128 v[137:140], v1 offset:1120
	v_fma_f64 v[135:136], v[135:136], v[6:7], v[145:146]
	v_fma_f64 v[133:134], v[133:134], v[6:7], -v[8:9]
	scratch_load_b128 v[6:9], off, off offset:624
	v_fma_f64 v[145:146], v[4:5], v[10:11], v[149:150]
	v_add_f64_e32 v[131:132], v[131:132], v[147:148]
	v_add_f64_e32 v[141:142], v[143:144], v[141:142]
	v_fma_f64 v[147:148], v[2:3], v[10:11], -v[12:13]
	ds_load_b128 v[2:5], v1 offset:1136
	s_wait_loadcnt_dscnt 0x801
	v_mul_f64_e32 v[143:144], v[137:138], v[16:17]
	v_mul_f64_e32 v[16:17], v[139:140], v[16:17]
	scratch_load_b128 v[10:13], off, off offset:640
	v_add_f64_e32 v[149:150], v[131:132], v[133:134]
	v_add_f64_e32 v[135:136], v[141:142], v[135:136]
	s_wait_loadcnt_dscnt 0x800
	v_mul_f64_e32 v[141:142], v[2:3], v[20:21]
	v_mul_f64_e32 v[20:21], v[4:5], v[20:21]
	v_fma_f64 v[139:140], v[139:140], v[14:15], v[143:144]
	v_fma_f64 v[14:15], v[137:138], v[14:15], -v[16:17]
	ds_load_b128 v[131:134], v1 offset:1152
	s_wait_loadcnt_dscnt 0x700
	v_mul_f64_e32 v[137:138], v[131:132], v[24:25]
	v_mul_f64_e32 v[24:25], v[133:134], v[24:25]
	v_add_f64_e32 v[16:17], v[149:150], v[147:148]
	v_add_f64_e32 v[135:136], v[135:136], v[145:146]
	v_fma_f64 v[141:142], v[4:5], v[18:19], v[141:142]
	v_fma_f64 v[18:19], v[2:3], v[18:19], -v[20:21]
	v_fma_f64 v[133:134], v[133:134], v[22:23], v[137:138]
	v_fma_f64 v[22:23], v[131:132], v[22:23], -v[24:25]
	v_add_f64_e32 v[20:21], v[16:17], v[14:15]
	v_add_f64_e32 v[135:136], v[135:136], v[139:140]
	ds_load_b128 v[2:5], v1 offset:1168
	ds_load_b128 v[14:17], v1 offset:1184
	s_wait_loadcnt_dscnt 0x601
	v_mul_f64_e32 v[139:140], v[2:3], v[28:29]
	v_mul_f64_e32 v[28:29], v[4:5], v[28:29]
	s_wait_loadcnt_dscnt 0x500
	v_mul_f64_e32 v[24:25], v[14:15], v[32:33]
	v_mul_f64_e32 v[32:33], v[16:17], v[32:33]
	v_add_f64_e32 v[18:19], v[20:21], v[18:19]
	v_add_f64_e32 v[20:21], v[135:136], v[141:142]
	v_fma_f64 v[131:132], v[4:5], v[26:27], v[139:140]
	v_fma_f64 v[26:27], v[2:3], v[26:27], -v[28:29]
	v_fma_f64 v[16:17], v[16:17], v[30:31], v[24:25]
	v_fma_f64 v[14:15], v[14:15], v[30:31], -v[32:33]
	v_add_f64_e32 v[22:23], v[18:19], v[22:23]
	v_add_f64_e32 v[28:29], v[20:21], v[133:134]
	ds_load_b128 v[2:5], v1 offset:1200
	ds_load_b128 v[18:21], v1 offset:1216
	s_wait_loadcnt_dscnt 0x401
	v_mul_f64_e32 v[133:134], v[2:3], v[40:41]
	v_mul_f64_e32 v[40:41], v[4:5], v[40:41]
	v_add_f64_e32 v[22:23], v[22:23], v[26:27]
	v_add_f64_e32 v[24:25], v[28:29], v[131:132]
	s_wait_loadcnt_dscnt 0x300
	v_mul_f64_e32 v[26:27], v[18:19], v[129:130]
	v_mul_f64_e32 v[28:29], v[20:21], v[129:130]
	v_fma_f64 v[30:31], v[4:5], v[38:39], v[133:134]
	v_fma_f64 v[32:33], v[2:3], v[38:39], -v[40:41]
	v_add_f64_e32 v[22:23], v[22:23], v[14:15]
	v_add_f64_e32 v[24:25], v[24:25], v[16:17]
	ds_load_b128 v[2:5], v1 offset:1232
	ds_load_b128 v[14:17], v1 offset:1248
	v_fma_f64 v[20:21], v[20:21], v[127:128], v[26:27]
	v_fma_f64 v[18:19], v[18:19], v[127:128], -v[28:29]
	s_wait_loadcnt_dscnt 0x201
	v_mul_f64_e32 v[38:39], v[2:3], v[36:37]
	v_mul_f64_e32 v[36:37], v[4:5], v[36:37]
	s_wait_loadcnt_dscnt 0x100
	v_mul_f64_e32 v[26:27], v[14:15], v[8:9]
	v_mul_f64_e32 v[8:9], v[16:17], v[8:9]
	v_add_f64_e32 v[22:23], v[22:23], v[32:33]
	v_add_f64_e32 v[24:25], v[24:25], v[30:31]
	v_fma_f64 v[28:29], v[4:5], v[34:35], v[38:39]
	v_fma_f64 v[30:31], v[2:3], v[34:35], -v[36:37]
	ds_load_b128 v[2:5], v1 offset:1264
	v_fma_f64 v[16:17], v[16:17], v[6:7], v[26:27]
	v_fma_f64 v[6:7], v[14:15], v[6:7], -v[8:9]
	v_add_f64_e32 v[18:19], v[22:23], v[18:19]
	v_add_f64_e32 v[20:21], v[24:25], v[20:21]
	s_wait_loadcnt_dscnt 0x0
	v_mul_f64_e32 v[22:23], v[2:3], v[12:13]
	v_mul_f64_e32 v[12:13], v[4:5], v[12:13]
	s_delay_alu instid0(VALU_DEP_4) | instskip(NEXT) | instid1(VALU_DEP_4)
	v_add_f64_e32 v[8:9], v[18:19], v[30:31]
	v_add_f64_e32 v[14:15], v[20:21], v[28:29]
	s_delay_alu instid0(VALU_DEP_4) | instskip(NEXT) | instid1(VALU_DEP_4)
	v_fma_f64 v[4:5], v[4:5], v[10:11], v[22:23]
	v_fma_f64 v[2:3], v[2:3], v[10:11], -v[12:13]
	s_delay_alu instid0(VALU_DEP_4) | instskip(NEXT) | instid1(VALU_DEP_4)
	v_add_f64_e32 v[6:7], v[8:9], v[6:7]
	v_add_f64_e32 v[8:9], v[14:15], v[16:17]
	s_delay_alu instid0(VALU_DEP_2) | instskip(NEXT) | instid1(VALU_DEP_2)
	v_add_f64_e32 v[2:3], v[6:7], v[2:3]
	v_add_f64_e32 v[4:5], v[8:9], v[4:5]
	s_delay_alu instid0(VALU_DEP_2) | instskip(NEXT) | instid1(VALU_DEP_2)
	v_add_f64_e64 v[2:3], v[42:43], -v[2:3]
	v_add_f64_e64 v[4:5], v[44:45], -v[4:5]
	scratch_store_b128 off, v[2:5], off offset:272
	v_cmpx_lt_u32_e32 15, v0
	s_cbranch_execz .LBB103_223
; %bb.222:
	scratch_load_b128 v[5:8], off, s14
	v_dual_mov_b32 v2, v1 :: v_dual_mov_b32 v3, v1
	v_mov_b32_e32 v4, v1
	scratch_store_b128 off, v[1:4], off offset:256
	s_wait_loadcnt 0x0
	ds_store_b128 v126, v[5:8]
.LBB103_223:
	s_wait_alu 0xfffe
	s_or_b32 exec_lo, exec_lo, s0
	s_wait_storecnt_dscnt 0x0
	s_barrier_signal -1
	s_barrier_wait -1
	global_inv scope:SCOPE_SE
	s_clause 0x8
	scratch_load_b128 v[2:5], off, off offset:272
	scratch_load_b128 v[6:9], off, off offset:288
	;; [unrolled: 1-line block ×9, first 2 shown]
	ds_load_b128 v[38:41], v1 offset:896
	ds_load_b128 v[42:45], v1 offset:912
	s_clause 0x1
	scratch_load_b128 v[127:130], off, off offset:256
	scratch_load_b128 v[131:134], off, off offset:416
	s_mov_b32 s0, exec_lo
	s_wait_loadcnt_dscnt 0xa01
	v_mul_f64_e32 v[135:136], v[40:41], v[4:5]
	v_mul_f64_e32 v[4:5], v[38:39], v[4:5]
	s_wait_loadcnt_dscnt 0x900
	v_mul_f64_e32 v[139:140], v[42:43], v[8:9]
	v_mul_f64_e32 v[8:9], v[44:45], v[8:9]
	s_delay_alu instid0(VALU_DEP_4) | instskip(NEXT) | instid1(VALU_DEP_4)
	v_fma_f64 v[141:142], v[38:39], v[2:3], -v[135:136]
	v_fma_f64 v[143:144], v[40:41], v[2:3], v[4:5]
	ds_load_b128 v[2:5], v1 offset:928
	ds_load_b128 v[135:138], v1 offset:944
	scratch_load_b128 v[38:41], off, off offset:432
	v_fma_f64 v[44:45], v[44:45], v[6:7], v[139:140]
	v_fma_f64 v[42:43], v[42:43], v[6:7], -v[8:9]
	scratch_load_b128 v[6:9], off, off offset:448
	s_wait_loadcnt_dscnt 0xa01
	v_mul_f64_e32 v[145:146], v[2:3], v[12:13]
	v_mul_f64_e32 v[12:13], v[4:5], v[12:13]
	v_add_f64_e32 v[139:140], 0, v[141:142]
	v_add_f64_e32 v[141:142], 0, v[143:144]
	s_wait_loadcnt_dscnt 0x900
	v_mul_f64_e32 v[143:144], v[135:136], v[16:17]
	v_mul_f64_e32 v[16:17], v[137:138], v[16:17]
	v_fma_f64 v[145:146], v[4:5], v[10:11], v[145:146]
	v_fma_f64 v[147:148], v[2:3], v[10:11], -v[12:13]
	ds_load_b128 v[2:5], v1 offset:960
	scratch_load_b128 v[10:13], off, off offset:464
	v_add_f64_e32 v[139:140], v[139:140], v[42:43]
	v_add_f64_e32 v[141:142], v[141:142], v[44:45]
	ds_load_b128 v[42:45], v1 offset:976
	v_fma_f64 v[137:138], v[137:138], v[14:15], v[143:144]
	v_fma_f64 v[135:136], v[135:136], v[14:15], -v[16:17]
	scratch_load_b128 v[14:17], off, off offset:480
	s_wait_loadcnt_dscnt 0xa01
	v_mul_f64_e32 v[149:150], v[2:3], v[20:21]
	v_mul_f64_e32 v[20:21], v[4:5], v[20:21]
	s_wait_loadcnt_dscnt 0x900
	v_mul_f64_e32 v[143:144], v[42:43], v[24:25]
	v_mul_f64_e32 v[24:25], v[44:45], v[24:25]
	v_add_f64_e32 v[139:140], v[139:140], v[147:148]
	v_add_f64_e32 v[141:142], v[141:142], v[145:146]
	v_fma_f64 v[145:146], v[4:5], v[18:19], v[149:150]
	v_fma_f64 v[147:148], v[2:3], v[18:19], -v[20:21]
	ds_load_b128 v[2:5], v1 offset:992
	scratch_load_b128 v[18:21], off, off offset:496
	v_fma_f64 v[44:45], v[44:45], v[22:23], v[143:144]
	v_fma_f64 v[42:43], v[42:43], v[22:23], -v[24:25]
	scratch_load_b128 v[22:25], off, off offset:512
	v_add_f64_e32 v[139:140], v[139:140], v[135:136]
	v_add_f64_e32 v[141:142], v[141:142], v[137:138]
	ds_load_b128 v[135:138], v1 offset:1008
	s_wait_loadcnt_dscnt 0xa01
	v_mul_f64_e32 v[149:150], v[2:3], v[28:29]
	v_mul_f64_e32 v[28:29], v[4:5], v[28:29]
	s_wait_loadcnt_dscnt 0x900
	v_mul_f64_e32 v[143:144], v[135:136], v[32:33]
	v_mul_f64_e32 v[32:33], v[137:138], v[32:33]
	v_add_f64_e32 v[139:140], v[139:140], v[147:148]
	v_add_f64_e32 v[141:142], v[141:142], v[145:146]
	v_fma_f64 v[145:146], v[4:5], v[26:27], v[149:150]
	v_fma_f64 v[147:148], v[2:3], v[26:27], -v[28:29]
	ds_load_b128 v[2:5], v1 offset:1024
	scratch_load_b128 v[26:29], off, off offset:528
	v_fma_f64 v[137:138], v[137:138], v[30:31], v[143:144]
	v_fma_f64 v[135:136], v[135:136], v[30:31], -v[32:33]
	scratch_load_b128 v[30:33], off, off offset:544
	v_add_f64_e32 v[139:140], v[139:140], v[42:43]
	v_add_f64_e32 v[141:142], v[141:142], v[44:45]
	ds_load_b128 v[42:45], v1 offset:1040
	s_wait_loadcnt_dscnt 0xa01
	v_mul_f64_e32 v[149:150], v[2:3], v[36:37]
	v_mul_f64_e32 v[36:37], v[4:5], v[36:37]
	s_wait_loadcnt_dscnt 0x800
	v_mul_f64_e32 v[143:144], v[42:43], v[133:134]
	v_add_f64_e32 v[139:140], v[139:140], v[147:148]
	v_add_f64_e32 v[141:142], v[141:142], v[145:146]
	v_mul_f64_e32 v[145:146], v[44:45], v[133:134]
	v_fma_f64 v[147:148], v[4:5], v[34:35], v[149:150]
	v_fma_f64 v[149:150], v[2:3], v[34:35], -v[36:37]
	ds_load_b128 v[2:5], v1 offset:1056
	scratch_load_b128 v[34:37], off, off offset:560
	v_fma_f64 v[44:45], v[44:45], v[131:132], v[143:144]
	v_add_f64_e32 v[139:140], v[139:140], v[135:136]
	v_add_f64_e32 v[137:138], v[141:142], v[137:138]
	ds_load_b128 v[133:136], v1 offset:1072
	v_fma_f64 v[131:132], v[42:43], v[131:132], -v[145:146]
	s_wait_loadcnt_dscnt 0x801
	v_mul_f64_e32 v[141:142], v[2:3], v[40:41]
	v_mul_f64_e32 v[151:152], v[4:5], v[40:41]
	scratch_load_b128 v[40:43], off, off offset:576
	s_wait_loadcnt_dscnt 0x800
	v_mul_f64_e32 v[145:146], v[133:134], v[8:9]
	v_mul_f64_e32 v[8:9], v[135:136], v[8:9]
	v_add_f64_e32 v[139:140], v[139:140], v[149:150]
	v_add_f64_e32 v[137:138], v[137:138], v[147:148]
	v_fma_f64 v[147:148], v[4:5], v[38:39], v[141:142]
	v_fma_f64 v[38:39], v[2:3], v[38:39], -v[151:152]
	ds_load_b128 v[2:5], v1 offset:1088
	ds_load_b128 v[141:144], v1 offset:1104
	v_fma_f64 v[135:136], v[135:136], v[6:7], v[145:146]
	v_fma_f64 v[133:134], v[133:134], v[6:7], -v[8:9]
	scratch_load_b128 v[6:9], off, off offset:608
	v_add_f64_e32 v[131:132], v[139:140], v[131:132]
	v_add_f64_e32 v[44:45], v[137:138], v[44:45]
	scratch_load_b128 v[137:140], off, off offset:592
	s_wait_loadcnt_dscnt 0x901
	v_mul_f64_e32 v[149:150], v[2:3], v[12:13]
	v_mul_f64_e32 v[12:13], v[4:5], v[12:13]
	s_wait_loadcnt_dscnt 0x800
	v_mul_f64_e32 v[145:146], v[141:142], v[16:17]
	v_mul_f64_e32 v[16:17], v[143:144], v[16:17]
	v_add_f64_e32 v[38:39], v[131:132], v[38:39]
	v_add_f64_e32 v[44:45], v[44:45], v[147:148]
	v_fma_f64 v[147:148], v[4:5], v[10:11], v[149:150]
	v_fma_f64 v[149:150], v[2:3], v[10:11], -v[12:13]
	ds_load_b128 v[2:5], v1 offset:1120
	scratch_load_b128 v[10:13], off, off offset:624
	v_fma_f64 v[143:144], v[143:144], v[14:15], v[145:146]
	v_fma_f64 v[141:142], v[141:142], v[14:15], -v[16:17]
	scratch_load_b128 v[14:17], off, off offset:640
	v_add_f64_e32 v[38:39], v[38:39], v[133:134]
	v_add_f64_e32 v[44:45], v[44:45], v[135:136]
	ds_load_b128 v[131:134], v1 offset:1136
	s_wait_loadcnt_dscnt 0x901
	v_mul_f64_e32 v[135:136], v[2:3], v[20:21]
	v_mul_f64_e32 v[20:21], v[4:5], v[20:21]
	s_wait_loadcnt_dscnt 0x800
	v_mul_f64_e32 v[145:146], v[131:132], v[24:25]
	v_mul_f64_e32 v[24:25], v[133:134], v[24:25]
	v_add_f64_e32 v[38:39], v[38:39], v[149:150]
	v_add_f64_e32 v[44:45], v[44:45], v[147:148]
	v_fma_f64 v[135:136], v[4:5], v[18:19], v[135:136]
	v_fma_f64 v[147:148], v[2:3], v[18:19], -v[20:21]
	ds_load_b128 v[2:5], v1 offset:1152
	ds_load_b128 v[18:21], v1 offset:1168
	v_fma_f64 v[133:134], v[133:134], v[22:23], v[145:146]
	v_fma_f64 v[22:23], v[131:132], v[22:23], -v[24:25]
	v_add_f64_e32 v[38:39], v[38:39], v[141:142]
	v_add_f64_e32 v[44:45], v[44:45], v[143:144]
	s_wait_loadcnt_dscnt 0x701
	v_mul_f64_e32 v[141:142], v[2:3], v[28:29]
	v_mul_f64_e32 v[28:29], v[4:5], v[28:29]
	s_delay_alu instid0(VALU_DEP_4) | instskip(NEXT) | instid1(VALU_DEP_4)
	v_add_f64_e32 v[24:25], v[38:39], v[147:148]
	v_add_f64_e32 v[38:39], v[44:45], v[135:136]
	s_wait_loadcnt_dscnt 0x600
	v_mul_f64_e32 v[44:45], v[18:19], v[32:33]
	v_mul_f64_e32 v[32:33], v[20:21], v[32:33]
	v_fma_f64 v[131:132], v[4:5], v[26:27], v[141:142]
	v_fma_f64 v[26:27], v[2:3], v[26:27], -v[28:29]
	v_add_f64_e32 v[28:29], v[24:25], v[22:23]
	v_add_f64_e32 v[38:39], v[38:39], v[133:134]
	ds_load_b128 v[2:5], v1 offset:1184
	ds_load_b128 v[22:25], v1 offset:1200
	v_fma_f64 v[20:21], v[20:21], v[30:31], v[44:45]
	v_fma_f64 v[18:19], v[18:19], v[30:31], -v[32:33]
	s_wait_loadcnt_dscnt 0x501
	v_mul_f64_e32 v[133:134], v[2:3], v[36:37]
	v_mul_f64_e32 v[36:37], v[4:5], v[36:37]
	s_wait_loadcnt_dscnt 0x400
	v_mul_f64_e32 v[30:31], v[22:23], v[42:43]
	v_add_f64_e32 v[26:27], v[28:29], v[26:27]
	v_add_f64_e32 v[28:29], v[38:39], v[131:132]
	v_mul_f64_e32 v[32:33], v[24:25], v[42:43]
	v_fma_f64 v[38:39], v[4:5], v[34:35], v[133:134]
	v_fma_f64 v[34:35], v[2:3], v[34:35], -v[36:37]
	v_fma_f64 v[24:25], v[24:25], v[40:41], v[30:31]
	v_add_f64_e32 v[26:27], v[26:27], v[18:19]
	v_add_f64_e32 v[28:29], v[28:29], v[20:21]
	ds_load_b128 v[2:5], v1 offset:1216
	ds_load_b128 v[18:21], v1 offset:1232
	v_fma_f64 v[22:23], v[22:23], v[40:41], -v[32:33]
	s_wait_loadcnt_dscnt 0x201
	v_mul_f64_e32 v[36:37], v[2:3], v[139:140]
	v_mul_f64_e32 v[42:43], v[4:5], v[139:140]
	s_wait_dscnt 0x0
	v_mul_f64_e32 v[30:31], v[18:19], v[8:9]
	v_mul_f64_e32 v[8:9], v[20:21], v[8:9]
	v_add_f64_e32 v[26:27], v[26:27], v[34:35]
	v_add_f64_e32 v[28:29], v[28:29], v[38:39]
	v_fma_f64 v[32:33], v[4:5], v[137:138], v[36:37]
	v_fma_f64 v[34:35], v[2:3], v[137:138], -v[42:43]
	v_fma_f64 v[20:21], v[20:21], v[6:7], v[30:31]
	v_fma_f64 v[6:7], v[18:19], v[6:7], -v[8:9]
	v_add_f64_e32 v[26:27], v[26:27], v[22:23]
	v_add_f64_e32 v[28:29], v[28:29], v[24:25]
	ds_load_b128 v[2:5], v1 offset:1248
	ds_load_b128 v[22:25], v1 offset:1264
	s_wait_loadcnt_dscnt 0x101
	v_mul_f64_e32 v[36:37], v[2:3], v[12:13]
	v_mul_f64_e32 v[12:13], v[4:5], v[12:13]
	v_add_f64_e32 v[8:9], v[26:27], v[34:35]
	v_add_f64_e32 v[18:19], v[28:29], v[32:33]
	s_wait_loadcnt_dscnt 0x0
	v_mul_f64_e32 v[26:27], v[22:23], v[16:17]
	v_mul_f64_e32 v[16:17], v[24:25], v[16:17]
	v_fma_f64 v[4:5], v[4:5], v[10:11], v[36:37]
	v_fma_f64 v[1:2], v[2:3], v[10:11], -v[12:13]
	v_add_f64_e32 v[6:7], v[8:9], v[6:7]
	v_add_f64_e32 v[8:9], v[18:19], v[20:21]
	v_fma_f64 v[10:11], v[24:25], v[14:15], v[26:27]
	v_fma_f64 v[12:13], v[22:23], v[14:15], -v[16:17]
	s_delay_alu instid0(VALU_DEP_4) | instskip(NEXT) | instid1(VALU_DEP_4)
	v_add_f64_e32 v[1:2], v[6:7], v[1:2]
	v_add_f64_e32 v[3:4], v[8:9], v[4:5]
	s_delay_alu instid0(VALU_DEP_2) | instskip(NEXT) | instid1(VALU_DEP_2)
	v_add_f64_e32 v[1:2], v[1:2], v[12:13]
	v_add_f64_e32 v[3:4], v[3:4], v[10:11]
	s_delay_alu instid0(VALU_DEP_2) | instskip(NEXT) | instid1(VALU_DEP_2)
	v_add_f64_e64 v[1:2], v[127:128], -v[1:2]
	v_add_f64_e64 v[3:4], v[129:130], -v[3:4]
	scratch_store_b128 off, v[1:4], off offset:256
	v_cmpx_lt_u32_e32 14, v0
	s_cbranch_execz .LBB103_225
; %bb.224:
	scratch_load_b128 v[1:4], off, s34
	v_mov_b32_e32 v5, 0
	s_delay_alu instid0(VALU_DEP_1)
	v_dual_mov_b32 v6, v5 :: v_dual_mov_b32 v7, v5
	v_mov_b32_e32 v8, v5
	scratch_store_b128 off, v[5:8], off offset:240
	s_wait_loadcnt 0x0
	ds_store_b128 v126, v[1:4]
.LBB103_225:
	s_wait_alu 0xfffe
	s_or_b32 exec_lo, exec_lo, s0
	s_wait_storecnt_dscnt 0x0
	s_barrier_signal -1
	s_barrier_wait -1
	global_inv scope:SCOPE_SE
	s_clause 0x7
	scratch_load_b128 v[2:5], off, off offset:256
	scratch_load_b128 v[6:9], off, off offset:272
	scratch_load_b128 v[10:13], off, off offset:288
	scratch_load_b128 v[14:17], off, off offset:304
	scratch_load_b128 v[18:21], off, off offset:320
	scratch_load_b128 v[22:25], off, off offset:336
	scratch_load_b128 v[26:29], off, off offset:352
	scratch_load_b128 v[30:33], off, off offset:368
	v_mov_b32_e32 v1, 0
	s_mov_b32 s0, exec_lo
	ds_load_b128 v[34:37], v1 offset:880
	s_clause 0x1
	scratch_load_b128 v[38:41], off, off offset:384
	scratch_load_b128 v[42:45], off, off offset:240
	ds_load_b128 v[127:130], v1 offset:896
	scratch_load_b128 v[131:134], off, off offset:400
	s_wait_loadcnt_dscnt 0xa01
	v_mul_f64_e32 v[135:136], v[36:37], v[4:5]
	v_mul_f64_e32 v[4:5], v[34:35], v[4:5]
	s_delay_alu instid0(VALU_DEP_2) | instskip(NEXT) | instid1(VALU_DEP_2)
	v_fma_f64 v[141:142], v[34:35], v[2:3], -v[135:136]
	v_fma_f64 v[143:144], v[36:37], v[2:3], v[4:5]
	ds_load_b128 v[2:5], v1 offset:912
	s_wait_loadcnt_dscnt 0x901
	v_mul_f64_e32 v[139:140], v[127:128], v[8:9]
	v_mul_f64_e32 v[8:9], v[129:130], v[8:9]
	scratch_load_b128 v[34:37], off, off offset:416
	ds_load_b128 v[135:138], v1 offset:928
	s_wait_loadcnt_dscnt 0x901
	v_mul_f64_e32 v[145:146], v[2:3], v[12:13]
	v_mul_f64_e32 v[12:13], v[4:5], v[12:13]
	v_fma_f64 v[129:130], v[129:130], v[6:7], v[139:140]
	v_fma_f64 v[127:128], v[127:128], v[6:7], -v[8:9]
	v_add_f64_e32 v[139:140], 0, v[141:142]
	v_add_f64_e32 v[141:142], 0, v[143:144]
	scratch_load_b128 v[6:9], off, off offset:432
	v_fma_f64 v[145:146], v[4:5], v[10:11], v[145:146]
	v_fma_f64 v[147:148], v[2:3], v[10:11], -v[12:13]
	ds_load_b128 v[2:5], v1 offset:944
	s_wait_loadcnt_dscnt 0x901
	v_mul_f64_e32 v[143:144], v[135:136], v[16:17]
	v_mul_f64_e32 v[16:17], v[137:138], v[16:17]
	scratch_load_b128 v[10:13], off, off offset:448
	v_add_f64_e32 v[139:140], v[139:140], v[127:128]
	v_add_f64_e32 v[141:142], v[141:142], v[129:130]
	s_wait_loadcnt_dscnt 0x900
	v_mul_f64_e32 v[149:150], v[2:3], v[20:21]
	v_mul_f64_e32 v[20:21], v[4:5], v[20:21]
	ds_load_b128 v[127:130], v1 offset:960
	v_fma_f64 v[137:138], v[137:138], v[14:15], v[143:144]
	v_fma_f64 v[135:136], v[135:136], v[14:15], -v[16:17]
	scratch_load_b128 v[14:17], off, off offset:464
	v_add_f64_e32 v[139:140], v[139:140], v[147:148]
	v_add_f64_e32 v[141:142], v[141:142], v[145:146]
	v_fma_f64 v[145:146], v[4:5], v[18:19], v[149:150]
	v_fma_f64 v[147:148], v[2:3], v[18:19], -v[20:21]
	ds_load_b128 v[2:5], v1 offset:976
	s_wait_loadcnt_dscnt 0x901
	v_mul_f64_e32 v[143:144], v[127:128], v[24:25]
	v_mul_f64_e32 v[24:25], v[129:130], v[24:25]
	scratch_load_b128 v[18:21], off, off offset:480
	s_wait_loadcnt_dscnt 0x900
	v_mul_f64_e32 v[149:150], v[2:3], v[28:29]
	v_mul_f64_e32 v[28:29], v[4:5], v[28:29]
	v_add_f64_e32 v[139:140], v[139:140], v[135:136]
	v_add_f64_e32 v[141:142], v[141:142], v[137:138]
	ds_load_b128 v[135:138], v1 offset:992
	v_fma_f64 v[129:130], v[129:130], v[22:23], v[143:144]
	v_fma_f64 v[127:128], v[127:128], v[22:23], -v[24:25]
	scratch_load_b128 v[22:25], off, off offset:496
	v_add_f64_e32 v[139:140], v[139:140], v[147:148]
	v_add_f64_e32 v[141:142], v[141:142], v[145:146]
	v_fma_f64 v[145:146], v[4:5], v[26:27], v[149:150]
	v_fma_f64 v[147:148], v[2:3], v[26:27], -v[28:29]
	ds_load_b128 v[2:5], v1 offset:1008
	s_wait_loadcnt_dscnt 0x901
	v_mul_f64_e32 v[143:144], v[135:136], v[32:33]
	v_mul_f64_e32 v[32:33], v[137:138], v[32:33]
	scratch_load_b128 v[26:29], off, off offset:512
	s_wait_loadcnt_dscnt 0x900
	v_mul_f64_e32 v[149:150], v[2:3], v[40:41]
	v_mul_f64_e32 v[40:41], v[4:5], v[40:41]
	v_add_f64_e32 v[139:140], v[139:140], v[127:128]
	v_add_f64_e32 v[141:142], v[141:142], v[129:130]
	ds_load_b128 v[127:130], v1 offset:1024
	v_fma_f64 v[137:138], v[137:138], v[30:31], v[143:144]
	v_fma_f64 v[135:136], v[135:136], v[30:31], -v[32:33]
	scratch_load_b128 v[30:33], off, off offset:528
	v_add_f64_e32 v[139:140], v[139:140], v[147:148]
	v_add_f64_e32 v[141:142], v[141:142], v[145:146]
	v_fma_f64 v[147:148], v[4:5], v[38:39], v[149:150]
	v_fma_f64 v[149:150], v[2:3], v[38:39], -v[40:41]
	ds_load_b128 v[2:5], v1 offset:1040
	s_wait_loadcnt_dscnt 0x801
	v_mul_f64_e32 v[143:144], v[127:128], v[133:134]
	v_mul_f64_e32 v[145:146], v[129:130], v[133:134]
	scratch_load_b128 v[38:41], off, off offset:544
	v_add_f64_e32 v[139:140], v[139:140], v[135:136]
	v_add_f64_e32 v[137:138], v[141:142], v[137:138]
	ds_load_b128 v[133:136], v1 offset:1056
	v_fma_f64 v[143:144], v[129:130], v[131:132], v[143:144]
	v_fma_f64 v[131:132], v[127:128], v[131:132], -v[145:146]
	scratch_load_b128 v[127:130], off, off offset:560
	s_wait_loadcnt_dscnt 0x901
	v_mul_f64_e32 v[141:142], v[2:3], v[36:37]
	v_mul_f64_e32 v[36:37], v[4:5], v[36:37]
	v_add_f64_e32 v[139:140], v[139:140], v[149:150]
	v_add_f64_e32 v[137:138], v[137:138], v[147:148]
	s_delay_alu instid0(VALU_DEP_4) | instskip(NEXT) | instid1(VALU_DEP_4)
	v_fma_f64 v[141:142], v[4:5], v[34:35], v[141:142]
	v_fma_f64 v[147:148], v[2:3], v[34:35], -v[36:37]
	ds_load_b128 v[2:5], v1 offset:1072
	s_wait_loadcnt_dscnt 0x801
	v_mul_f64_e32 v[145:146], v[133:134], v[8:9]
	v_mul_f64_e32 v[8:9], v[135:136], v[8:9]
	scratch_load_b128 v[34:37], off, off offset:576
	s_wait_loadcnt_dscnt 0x800
	v_mul_f64_e32 v[149:150], v[2:3], v[12:13]
	v_add_f64_e32 v[131:132], v[139:140], v[131:132]
	v_add_f64_e32 v[143:144], v[137:138], v[143:144]
	v_mul_f64_e32 v[12:13], v[4:5], v[12:13]
	ds_load_b128 v[137:140], v1 offset:1088
	v_fma_f64 v[135:136], v[135:136], v[6:7], v[145:146]
	v_fma_f64 v[133:134], v[133:134], v[6:7], -v[8:9]
	scratch_load_b128 v[6:9], off, off offset:592
	v_fma_f64 v[145:146], v[4:5], v[10:11], v[149:150]
	v_add_f64_e32 v[131:132], v[131:132], v[147:148]
	v_add_f64_e32 v[141:142], v[143:144], v[141:142]
	v_fma_f64 v[147:148], v[2:3], v[10:11], -v[12:13]
	ds_load_b128 v[2:5], v1 offset:1104
	s_wait_loadcnt_dscnt 0x801
	v_mul_f64_e32 v[143:144], v[137:138], v[16:17]
	v_mul_f64_e32 v[16:17], v[139:140], v[16:17]
	scratch_load_b128 v[10:13], off, off offset:608
	v_add_f64_e32 v[149:150], v[131:132], v[133:134]
	v_add_f64_e32 v[135:136], v[141:142], v[135:136]
	s_wait_loadcnt_dscnt 0x800
	v_mul_f64_e32 v[141:142], v[2:3], v[20:21]
	v_mul_f64_e32 v[20:21], v[4:5], v[20:21]
	v_fma_f64 v[139:140], v[139:140], v[14:15], v[143:144]
	v_fma_f64 v[137:138], v[137:138], v[14:15], -v[16:17]
	ds_load_b128 v[131:134], v1 offset:1120
	scratch_load_b128 v[14:17], off, off offset:624
	v_add_f64_e32 v[143:144], v[149:150], v[147:148]
	v_add_f64_e32 v[135:136], v[135:136], v[145:146]
	v_fma_f64 v[141:142], v[4:5], v[18:19], v[141:142]
	v_fma_f64 v[147:148], v[2:3], v[18:19], -v[20:21]
	ds_load_b128 v[2:5], v1 offset:1136
	s_wait_loadcnt_dscnt 0x801
	v_mul_f64_e32 v[145:146], v[131:132], v[24:25]
	v_mul_f64_e32 v[24:25], v[133:134], v[24:25]
	scratch_load_b128 v[18:21], off, off offset:640
	s_wait_loadcnt_dscnt 0x800
	v_mul_f64_e32 v[149:150], v[2:3], v[28:29]
	v_mul_f64_e32 v[28:29], v[4:5], v[28:29]
	v_add_f64_e32 v[143:144], v[143:144], v[137:138]
	v_add_f64_e32 v[139:140], v[135:136], v[139:140]
	ds_load_b128 v[135:138], v1 offset:1152
	v_fma_f64 v[133:134], v[133:134], v[22:23], v[145:146]
	v_fma_f64 v[22:23], v[131:132], v[22:23], -v[24:25]
	v_add_f64_e32 v[24:25], v[143:144], v[147:148]
	v_add_f64_e32 v[131:132], v[139:140], v[141:142]
	s_wait_loadcnt_dscnt 0x700
	v_mul_f64_e32 v[139:140], v[135:136], v[32:33]
	v_mul_f64_e32 v[32:33], v[137:138], v[32:33]
	v_fma_f64 v[141:142], v[4:5], v[26:27], v[149:150]
	v_fma_f64 v[26:27], v[2:3], v[26:27], -v[28:29]
	v_add_f64_e32 v[28:29], v[24:25], v[22:23]
	v_add_f64_e32 v[131:132], v[131:132], v[133:134]
	ds_load_b128 v[2:5], v1 offset:1168
	ds_load_b128 v[22:25], v1 offset:1184
	v_fma_f64 v[137:138], v[137:138], v[30:31], v[139:140]
	v_fma_f64 v[30:31], v[135:136], v[30:31], -v[32:33]
	s_wait_loadcnt_dscnt 0x601
	v_mul_f64_e32 v[133:134], v[2:3], v[40:41]
	v_mul_f64_e32 v[40:41], v[4:5], v[40:41]
	s_wait_loadcnt_dscnt 0x500
	v_mul_f64_e32 v[32:33], v[22:23], v[129:130]
	v_mul_f64_e32 v[129:130], v[24:25], v[129:130]
	v_add_f64_e32 v[26:27], v[28:29], v[26:27]
	v_add_f64_e32 v[28:29], v[131:132], v[141:142]
	v_fma_f64 v[131:132], v[4:5], v[38:39], v[133:134]
	v_fma_f64 v[38:39], v[2:3], v[38:39], -v[40:41]
	v_fma_f64 v[24:25], v[24:25], v[127:128], v[32:33]
	v_fma_f64 v[22:23], v[22:23], v[127:128], -v[129:130]
	v_add_f64_e32 v[30:31], v[26:27], v[30:31]
	v_add_f64_e32 v[40:41], v[28:29], v[137:138]
	ds_load_b128 v[2:5], v1 offset:1200
	ds_load_b128 v[26:29], v1 offset:1216
	s_wait_loadcnt_dscnt 0x401
	v_mul_f64_e32 v[133:134], v[2:3], v[36:37]
	v_mul_f64_e32 v[36:37], v[4:5], v[36:37]
	v_add_f64_e32 v[30:31], v[30:31], v[38:39]
	v_add_f64_e32 v[32:33], v[40:41], v[131:132]
	s_wait_loadcnt_dscnt 0x300
	v_mul_f64_e32 v[38:39], v[26:27], v[8:9]
	v_mul_f64_e32 v[8:9], v[28:29], v[8:9]
	v_fma_f64 v[40:41], v[4:5], v[34:35], v[133:134]
	v_fma_f64 v[34:35], v[2:3], v[34:35], -v[36:37]
	v_add_f64_e32 v[30:31], v[30:31], v[22:23]
	v_add_f64_e32 v[32:33], v[32:33], v[24:25]
	ds_load_b128 v[2:5], v1 offset:1232
	ds_load_b128 v[22:25], v1 offset:1248
	v_fma_f64 v[28:29], v[28:29], v[6:7], v[38:39]
	v_fma_f64 v[6:7], v[26:27], v[6:7], -v[8:9]
	s_wait_loadcnt_dscnt 0x201
	v_mul_f64_e32 v[36:37], v[2:3], v[12:13]
	v_mul_f64_e32 v[12:13], v[4:5], v[12:13]
	v_add_f64_e32 v[8:9], v[30:31], v[34:35]
	v_add_f64_e32 v[26:27], v[32:33], v[40:41]
	s_wait_loadcnt_dscnt 0x100
	v_mul_f64_e32 v[30:31], v[22:23], v[16:17]
	v_mul_f64_e32 v[16:17], v[24:25], v[16:17]
	v_fma_f64 v[32:33], v[4:5], v[10:11], v[36:37]
	v_fma_f64 v[10:11], v[2:3], v[10:11], -v[12:13]
	ds_load_b128 v[2:5], v1 offset:1264
	v_add_f64_e32 v[6:7], v[8:9], v[6:7]
	v_add_f64_e32 v[8:9], v[26:27], v[28:29]
	v_fma_f64 v[24:25], v[24:25], v[14:15], v[30:31]
	v_fma_f64 v[14:15], v[22:23], v[14:15], -v[16:17]
	s_wait_loadcnt_dscnt 0x0
	v_mul_f64_e32 v[12:13], v[2:3], v[20:21]
	v_mul_f64_e32 v[20:21], v[4:5], v[20:21]
	v_add_f64_e32 v[6:7], v[6:7], v[10:11]
	v_add_f64_e32 v[8:9], v[8:9], v[32:33]
	s_delay_alu instid0(VALU_DEP_4) | instskip(NEXT) | instid1(VALU_DEP_4)
	v_fma_f64 v[4:5], v[4:5], v[18:19], v[12:13]
	v_fma_f64 v[2:3], v[2:3], v[18:19], -v[20:21]
	s_delay_alu instid0(VALU_DEP_4) | instskip(NEXT) | instid1(VALU_DEP_4)
	v_add_f64_e32 v[6:7], v[6:7], v[14:15]
	v_add_f64_e32 v[8:9], v[8:9], v[24:25]
	s_delay_alu instid0(VALU_DEP_2) | instskip(NEXT) | instid1(VALU_DEP_2)
	v_add_f64_e32 v[2:3], v[6:7], v[2:3]
	v_add_f64_e32 v[4:5], v[8:9], v[4:5]
	s_delay_alu instid0(VALU_DEP_2) | instskip(NEXT) | instid1(VALU_DEP_2)
	v_add_f64_e64 v[2:3], v[42:43], -v[2:3]
	v_add_f64_e64 v[4:5], v[44:45], -v[4:5]
	scratch_store_b128 off, v[2:5], off offset:240
	v_cmpx_lt_u32_e32 13, v0
	s_cbranch_execz .LBB103_227
; %bb.226:
	scratch_load_b128 v[5:8], off, s13
	v_dual_mov_b32 v2, v1 :: v_dual_mov_b32 v3, v1
	v_mov_b32_e32 v4, v1
	scratch_store_b128 off, v[1:4], off offset:224
	s_wait_loadcnt 0x0
	ds_store_b128 v126, v[5:8]
.LBB103_227:
	s_wait_alu 0xfffe
	s_or_b32 exec_lo, exec_lo, s0
	s_wait_storecnt_dscnt 0x0
	s_barrier_signal -1
	s_barrier_wait -1
	global_inv scope:SCOPE_SE
	s_clause 0x8
	scratch_load_b128 v[2:5], off, off offset:240
	scratch_load_b128 v[6:9], off, off offset:256
	;; [unrolled: 1-line block ×9, first 2 shown]
	ds_load_b128 v[38:41], v1 offset:864
	ds_load_b128 v[42:45], v1 offset:880
	s_clause 0x1
	scratch_load_b128 v[127:130], off, off offset:224
	scratch_load_b128 v[131:134], off, off offset:384
	s_mov_b32 s0, exec_lo
	s_wait_loadcnt_dscnt 0xa01
	v_mul_f64_e32 v[135:136], v[40:41], v[4:5]
	v_mul_f64_e32 v[4:5], v[38:39], v[4:5]
	s_wait_loadcnt_dscnt 0x900
	v_mul_f64_e32 v[139:140], v[42:43], v[8:9]
	v_mul_f64_e32 v[8:9], v[44:45], v[8:9]
	s_delay_alu instid0(VALU_DEP_4) | instskip(NEXT) | instid1(VALU_DEP_4)
	v_fma_f64 v[141:142], v[38:39], v[2:3], -v[135:136]
	v_fma_f64 v[143:144], v[40:41], v[2:3], v[4:5]
	ds_load_b128 v[2:5], v1 offset:896
	ds_load_b128 v[135:138], v1 offset:912
	scratch_load_b128 v[38:41], off, off offset:400
	v_fma_f64 v[44:45], v[44:45], v[6:7], v[139:140]
	v_fma_f64 v[42:43], v[42:43], v[6:7], -v[8:9]
	scratch_load_b128 v[6:9], off, off offset:416
	s_wait_loadcnt_dscnt 0xa01
	v_mul_f64_e32 v[145:146], v[2:3], v[12:13]
	v_mul_f64_e32 v[12:13], v[4:5], v[12:13]
	v_add_f64_e32 v[139:140], 0, v[141:142]
	v_add_f64_e32 v[141:142], 0, v[143:144]
	s_wait_loadcnt_dscnt 0x900
	v_mul_f64_e32 v[143:144], v[135:136], v[16:17]
	v_mul_f64_e32 v[16:17], v[137:138], v[16:17]
	v_fma_f64 v[145:146], v[4:5], v[10:11], v[145:146]
	v_fma_f64 v[147:148], v[2:3], v[10:11], -v[12:13]
	ds_load_b128 v[2:5], v1 offset:928
	scratch_load_b128 v[10:13], off, off offset:432
	v_add_f64_e32 v[139:140], v[139:140], v[42:43]
	v_add_f64_e32 v[141:142], v[141:142], v[44:45]
	ds_load_b128 v[42:45], v1 offset:944
	v_fma_f64 v[137:138], v[137:138], v[14:15], v[143:144]
	v_fma_f64 v[135:136], v[135:136], v[14:15], -v[16:17]
	scratch_load_b128 v[14:17], off, off offset:448
	s_wait_loadcnt_dscnt 0xa01
	v_mul_f64_e32 v[149:150], v[2:3], v[20:21]
	v_mul_f64_e32 v[20:21], v[4:5], v[20:21]
	s_wait_loadcnt_dscnt 0x900
	v_mul_f64_e32 v[143:144], v[42:43], v[24:25]
	v_mul_f64_e32 v[24:25], v[44:45], v[24:25]
	v_add_f64_e32 v[139:140], v[139:140], v[147:148]
	v_add_f64_e32 v[141:142], v[141:142], v[145:146]
	v_fma_f64 v[145:146], v[4:5], v[18:19], v[149:150]
	v_fma_f64 v[147:148], v[2:3], v[18:19], -v[20:21]
	ds_load_b128 v[2:5], v1 offset:960
	scratch_load_b128 v[18:21], off, off offset:464
	v_fma_f64 v[44:45], v[44:45], v[22:23], v[143:144]
	v_fma_f64 v[42:43], v[42:43], v[22:23], -v[24:25]
	scratch_load_b128 v[22:25], off, off offset:480
	v_add_f64_e32 v[139:140], v[139:140], v[135:136]
	v_add_f64_e32 v[141:142], v[141:142], v[137:138]
	ds_load_b128 v[135:138], v1 offset:976
	s_wait_loadcnt_dscnt 0xa01
	v_mul_f64_e32 v[149:150], v[2:3], v[28:29]
	v_mul_f64_e32 v[28:29], v[4:5], v[28:29]
	s_wait_loadcnt_dscnt 0x900
	v_mul_f64_e32 v[143:144], v[135:136], v[32:33]
	v_mul_f64_e32 v[32:33], v[137:138], v[32:33]
	v_add_f64_e32 v[139:140], v[139:140], v[147:148]
	v_add_f64_e32 v[141:142], v[141:142], v[145:146]
	v_fma_f64 v[145:146], v[4:5], v[26:27], v[149:150]
	v_fma_f64 v[147:148], v[2:3], v[26:27], -v[28:29]
	ds_load_b128 v[2:5], v1 offset:992
	scratch_load_b128 v[26:29], off, off offset:496
	v_fma_f64 v[137:138], v[137:138], v[30:31], v[143:144]
	v_fma_f64 v[135:136], v[135:136], v[30:31], -v[32:33]
	scratch_load_b128 v[30:33], off, off offset:512
	v_add_f64_e32 v[139:140], v[139:140], v[42:43]
	v_add_f64_e32 v[141:142], v[141:142], v[44:45]
	ds_load_b128 v[42:45], v1 offset:1008
	s_wait_loadcnt_dscnt 0xa01
	v_mul_f64_e32 v[149:150], v[2:3], v[36:37]
	v_mul_f64_e32 v[36:37], v[4:5], v[36:37]
	s_wait_loadcnt_dscnt 0x800
	v_mul_f64_e32 v[143:144], v[42:43], v[133:134]
	v_add_f64_e32 v[139:140], v[139:140], v[147:148]
	v_add_f64_e32 v[141:142], v[141:142], v[145:146]
	v_mul_f64_e32 v[145:146], v[44:45], v[133:134]
	v_fma_f64 v[147:148], v[4:5], v[34:35], v[149:150]
	v_fma_f64 v[149:150], v[2:3], v[34:35], -v[36:37]
	ds_load_b128 v[2:5], v1 offset:1024
	scratch_load_b128 v[34:37], off, off offset:528
	v_fma_f64 v[44:45], v[44:45], v[131:132], v[143:144]
	v_add_f64_e32 v[139:140], v[139:140], v[135:136]
	v_add_f64_e32 v[137:138], v[141:142], v[137:138]
	ds_load_b128 v[133:136], v1 offset:1040
	v_fma_f64 v[131:132], v[42:43], v[131:132], -v[145:146]
	s_wait_loadcnt_dscnt 0x801
	v_mul_f64_e32 v[141:142], v[2:3], v[40:41]
	v_mul_f64_e32 v[151:152], v[4:5], v[40:41]
	scratch_load_b128 v[40:43], off, off offset:544
	s_wait_loadcnt_dscnt 0x800
	v_mul_f64_e32 v[145:146], v[133:134], v[8:9]
	v_mul_f64_e32 v[8:9], v[135:136], v[8:9]
	v_add_f64_e32 v[139:140], v[139:140], v[149:150]
	v_add_f64_e32 v[137:138], v[137:138], v[147:148]
	v_fma_f64 v[147:148], v[4:5], v[38:39], v[141:142]
	v_fma_f64 v[38:39], v[2:3], v[38:39], -v[151:152]
	ds_load_b128 v[2:5], v1 offset:1056
	ds_load_b128 v[141:144], v1 offset:1072
	v_fma_f64 v[135:136], v[135:136], v[6:7], v[145:146]
	v_fma_f64 v[133:134], v[133:134], v[6:7], -v[8:9]
	scratch_load_b128 v[6:9], off, off offset:576
	v_add_f64_e32 v[131:132], v[139:140], v[131:132]
	v_add_f64_e32 v[44:45], v[137:138], v[44:45]
	scratch_load_b128 v[137:140], off, off offset:560
	s_wait_loadcnt_dscnt 0x901
	v_mul_f64_e32 v[149:150], v[2:3], v[12:13]
	v_mul_f64_e32 v[12:13], v[4:5], v[12:13]
	s_wait_loadcnt_dscnt 0x800
	v_mul_f64_e32 v[145:146], v[141:142], v[16:17]
	v_mul_f64_e32 v[16:17], v[143:144], v[16:17]
	v_add_f64_e32 v[38:39], v[131:132], v[38:39]
	v_add_f64_e32 v[44:45], v[44:45], v[147:148]
	v_fma_f64 v[147:148], v[4:5], v[10:11], v[149:150]
	v_fma_f64 v[149:150], v[2:3], v[10:11], -v[12:13]
	ds_load_b128 v[2:5], v1 offset:1088
	scratch_load_b128 v[10:13], off, off offset:592
	v_fma_f64 v[143:144], v[143:144], v[14:15], v[145:146]
	v_fma_f64 v[141:142], v[141:142], v[14:15], -v[16:17]
	scratch_load_b128 v[14:17], off, off offset:608
	v_add_f64_e32 v[38:39], v[38:39], v[133:134]
	v_add_f64_e32 v[44:45], v[44:45], v[135:136]
	ds_load_b128 v[131:134], v1 offset:1104
	s_wait_loadcnt_dscnt 0x901
	v_mul_f64_e32 v[135:136], v[2:3], v[20:21]
	v_mul_f64_e32 v[20:21], v[4:5], v[20:21]
	s_wait_loadcnt_dscnt 0x800
	v_mul_f64_e32 v[145:146], v[131:132], v[24:25]
	v_mul_f64_e32 v[24:25], v[133:134], v[24:25]
	v_add_f64_e32 v[38:39], v[38:39], v[149:150]
	v_add_f64_e32 v[44:45], v[44:45], v[147:148]
	v_fma_f64 v[135:136], v[4:5], v[18:19], v[135:136]
	v_fma_f64 v[147:148], v[2:3], v[18:19], -v[20:21]
	ds_load_b128 v[2:5], v1 offset:1120
	scratch_load_b128 v[18:21], off, off offset:624
	v_fma_f64 v[133:134], v[133:134], v[22:23], v[145:146]
	v_fma_f64 v[131:132], v[131:132], v[22:23], -v[24:25]
	scratch_load_b128 v[22:25], off, off offset:640
	v_add_f64_e32 v[38:39], v[38:39], v[141:142]
	v_add_f64_e32 v[44:45], v[44:45], v[143:144]
	ds_load_b128 v[141:144], v1 offset:1136
	s_wait_loadcnt_dscnt 0x901
	v_mul_f64_e32 v[149:150], v[2:3], v[28:29]
	v_mul_f64_e32 v[28:29], v[4:5], v[28:29]
	v_add_f64_e32 v[38:39], v[38:39], v[147:148]
	v_add_f64_e32 v[44:45], v[44:45], v[135:136]
	s_wait_loadcnt_dscnt 0x800
	v_mul_f64_e32 v[135:136], v[141:142], v[32:33]
	v_mul_f64_e32 v[32:33], v[143:144], v[32:33]
	v_fma_f64 v[145:146], v[4:5], v[26:27], v[149:150]
	v_fma_f64 v[147:148], v[2:3], v[26:27], -v[28:29]
	ds_load_b128 v[2:5], v1 offset:1152
	ds_load_b128 v[26:29], v1 offset:1168
	v_add_f64_e32 v[38:39], v[38:39], v[131:132]
	v_add_f64_e32 v[44:45], v[44:45], v[133:134]
	s_wait_loadcnt_dscnt 0x701
	v_mul_f64_e32 v[131:132], v[2:3], v[36:37]
	v_mul_f64_e32 v[36:37], v[4:5], v[36:37]
	v_fma_f64 v[133:134], v[143:144], v[30:31], v[135:136]
	v_fma_f64 v[30:31], v[141:142], v[30:31], -v[32:33]
	v_add_f64_e32 v[32:33], v[38:39], v[147:148]
	v_add_f64_e32 v[38:39], v[44:45], v[145:146]
	s_wait_loadcnt_dscnt 0x600
	v_mul_f64_e32 v[44:45], v[26:27], v[42:43]
	v_mul_f64_e32 v[42:43], v[28:29], v[42:43]
	v_fma_f64 v[131:132], v[4:5], v[34:35], v[131:132]
	v_fma_f64 v[34:35], v[2:3], v[34:35], -v[36:37]
	v_add_f64_e32 v[36:37], v[32:33], v[30:31]
	v_add_f64_e32 v[38:39], v[38:39], v[133:134]
	ds_load_b128 v[2:5], v1 offset:1184
	ds_load_b128 v[30:33], v1 offset:1200
	v_fma_f64 v[28:29], v[28:29], v[40:41], v[44:45]
	v_fma_f64 v[26:27], v[26:27], v[40:41], -v[42:43]
	s_wait_loadcnt_dscnt 0x401
	v_mul_f64_e32 v[133:134], v[2:3], v[139:140]
	v_mul_f64_e32 v[135:136], v[4:5], v[139:140]
	v_add_f64_e32 v[34:35], v[36:37], v[34:35]
	v_add_f64_e32 v[36:37], v[38:39], v[131:132]
	s_wait_dscnt 0x0
	v_mul_f64_e32 v[38:39], v[30:31], v[8:9]
	v_mul_f64_e32 v[8:9], v[32:33], v[8:9]
	v_fma_f64 v[40:41], v[4:5], v[137:138], v[133:134]
	v_fma_f64 v[42:43], v[2:3], v[137:138], -v[135:136]
	v_add_f64_e32 v[34:35], v[34:35], v[26:27]
	v_add_f64_e32 v[36:37], v[36:37], v[28:29]
	ds_load_b128 v[2:5], v1 offset:1216
	ds_load_b128 v[26:29], v1 offset:1232
	v_fma_f64 v[32:33], v[32:33], v[6:7], v[38:39]
	v_fma_f64 v[6:7], v[30:31], v[6:7], -v[8:9]
	s_wait_loadcnt_dscnt 0x301
	v_mul_f64_e32 v[44:45], v[2:3], v[12:13]
	v_mul_f64_e32 v[12:13], v[4:5], v[12:13]
	v_add_f64_e32 v[8:9], v[34:35], v[42:43]
	v_add_f64_e32 v[30:31], v[36:37], v[40:41]
	s_wait_loadcnt_dscnt 0x200
	v_mul_f64_e32 v[34:35], v[26:27], v[16:17]
	v_mul_f64_e32 v[16:17], v[28:29], v[16:17]
	v_fma_f64 v[36:37], v[4:5], v[10:11], v[44:45]
	v_fma_f64 v[10:11], v[2:3], v[10:11], -v[12:13]
	v_add_f64_e32 v[12:13], v[8:9], v[6:7]
	v_add_f64_e32 v[30:31], v[30:31], v[32:33]
	ds_load_b128 v[2:5], v1 offset:1248
	ds_load_b128 v[6:9], v1 offset:1264
	v_fma_f64 v[28:29], v[28:29], v[14:15], v[34:35]
	v_fma_f64 v[14:15], v[26:27], v[14:15], -v[16:17]
	s_wait_loadcnt_dscnt 0x101
	v_mul_f64_e32 v[32:33], v[2:3], v[20:21]
	v_mul_f64_e32 v[20:21], v[4:5], v[20:21]
	s_wait_loadcnt_dscnt 0x0
	v_mul_f64_e32 v[16:17], v[6:7], v[24:25]
	v_mul_f64_e32 v[24:25], v[8:9], v[24:25]
	v_add_f64_e32 v[10:11], v[12:13], v[10:11]
	v_add_f64_e32 v[12:13], v[30:31], v[36:37]
	v_fma_f64 v[4:5], v[4:5], v[18:19], v[32:33]
	v_fma_f64 v[1:2], v[2:3], v[18:19], -v[20:21]
	v_fma_f64 v[8:9], v[8:9], v[22:23], v[16:17]
	v_fma_f64 v[6:7], v[6:7], v[22:23], -v[24:25]
	v_add_f64_e32 v[10:11], v[10:11], v[14:15]
	v_add_f64_e32 v[12:13], v[12:13], v[28:29]
	s_delay_alu instid0(VALU_DEP_2) | instskip(NEXT) | instid1(VALU_DEP_2)
	v_add_f64_e32 v[1:2], v[10:11], v[1:2]
	v_add_f64_e32 v[3:4], v[12:13], v[4:5]
	s_delay_alu instid0(VALU_DEP_2) | instskip(NEXT) | instid1(VALU_DEP_2)
	;; [unrolled: 3-line block ×3, first 2 shown]
	v_add_f64_e64 v[1:2], v[127:128], -v[1:2]
	v_add_f64_e64 v[3:4], v[129:130], -v[3:4]
	scratch_store_b128 off, v[1:4], off offset:224
	v_cmpx_lt_u32_e32 12, v0
	s_cbranch_execz .LBB103_229
; %bb.228:
	scratch_load_b128 v[1:4], off, s33
	v_mov_b32_e32 v5, 0
	s_delay_alu instid0(VALU_DEP_1)
	v_dual_mov_b32 v6, v5 :: v_dual_mov_b32 v7, v5
	v_mov_b32_e32 v8, v5
	scratch_store_b128 off, v[5:8], off offset:208
	s_wait_loadcnt 0x0
	ds_store_b128 v126, v[1:4]
.LBB103_229:
	s_wait_alu 0xfffe
	s_or_b32 exec_lo, exec_lo, s0
	s_wait_storecnt_dscnt 0x0
	s_barrier_signal -1
	s_barrier_wait -1
	global_inv scope:SCOPE_SE
	s_clause 0x7
	scratch_load_b128 v[2:5], off, off offset:224
	scratch_load_b128 v[6:9], off, off offset:240
	;; [unrolled: 1-line block ×8, first 2 shown]
	v_mov_b32_e32 v1, 0
	s_mov_b32 s0, exec_lo
	ds_load_b128 v[34:37], v1 offset:848
	s_clause 0x1
	scratch_load_b128 v[38:41], off, off offset:352
	scratch_load_b128 v[42:45], off, off offset:208
	ds_load_b128 v[127:130], v1 offset:864
	scratch_load_b128 v[131:134], off, off offset:368
	s_wait_loadcnt_dscnt 0xa01
	v_mul_f64_e32 v[135:136], v[36:37], v[4:5]
	v_mul_f64_e32 v[4:5], v[34:35], v[4:5]
	s_delay_alu instid0(VALU_DEP_2) | instskip(NEXT) | instid1(VALU_DEP_2)
	v_fma_f64 v[141:142], v[34:35], v[2:3], -v[135:136]
	v_fma_f64 v[143:144], v[36:37], v[2:3], v[4:5]
	ds_load_b128 v[2:5], v1 offset:880
	s_wait_loadcnt_dscnt 0x901
	v_mul_f64_e32 v[139:140], v[127:128], v[8:9]
	v_mul_f64_e32 v[8:9], v[129:130], v[8:9]
	scratch_load_b128 v[34:37], off, off offset:384
	ds_load_b128 v[135:138], v1 offset:896
	s_wait_loadcnt_dscnt 0x901
	v_mul_f64_e32 v[145:146], v[2:3], v[12:13]
	v_mul_f64_e32 v[12:13], v[4:5], v[12:13]
	v_fma_f64 v[129:130], v[129:130], v[6:7], v[139:140]
	v_fma_f64 v[127:128], v[127:128], v[6:7], -v[8:9]
	v_add_f64_e32 v[139:140], 0, v[141:142]
	v_add_f64_e32 v[141:142], 0, v[143:144]
	scratch_load_b128 v[6:9], off, off offset:400
	v_fma_f64 v[145:146], v[4:5], v[10:11], v[145:146]
	v_fma_f64 v[147:148], v[2:3], v[10:11], -v[12:13]
	ds_load_b128 v[2:5], v1 offset:912
	s_wait_loadcnt_dscnt 0x901
	v_mul_f64_e32 v[143:144], v[135:136], v[16:17]
	v_mul_f64_e32 v[16:17], v[137:138], v[16:17]
	scratch_load_b128 v[10:13], off, off offset:416
	v_add_f64_e32 v[139:140], v[139:140], v[127:128]
	v_add_f64_e32 v[141:142], v[141:142], v[129:130]
	s_wait_loadcnt_dscnt 0x900
	v_mul_f64_e32 v[149:150], v[2:3], v[20:21]
	v_mul_f64_e32 v[20:21], v[4:5], v[20:21]
	ds_load_b128 v[127:130], v1 offset:928
	v_fma_f64 v[137:138], v[137:138], v[14:15], v[143:144]
	v_fma_f64 v[135:136], v[135:136], v[14:15], -v[16:17]
	scratch_load_b128 v[14:17], off, off offset:432
	v_add_f64_e32 v[139:140], v[139:140], v[147:148]
	v_add_f64_e32 v[141:142], v[141:142], v[145:146]
	v_fma_f64 v[145:146], v[4:5], v[18:19], v[149:150]
	v_fma_f64 v[147:148], v[2:3], v[18:19], -v[20:21]
	ds_load_b128 v[2:5], v1 offset:944
	s_wait_loadcnt_dscnt 0x901
	v_mul_f64_e32 v[143:144], v[127:128], v[24:25]
	v_mul_f64_e32 v[24:25], v[129:130], v[24:25]
	scratch_load_b128 v[18:21], off, off offset:448
	s_wait_loadcnt_dscnt 0x900
	v_mul_f64_e32 v[149:150], v[2:3], v[28:29]
	v_mul_f64_e32 v[28:29], v[4:5], v[28:29]
	v_add_f64_e32 v[139:140], v[139:140], v[135:136]
	v_add_f64_e32 v[141:142], v[141:142], v[137:138]
	ds_load_b128 v[135:138], v1 offset:960
	v_fma_f64 v[129:130], v[129:130], v[22:23], v[143:144]
	v_fma_f64 v[127:128], v[127:128], v[22:23], -v[24:25]
	scratch_load_b128 v[22:25], off, off offset:464
	v_add_f64_e32 v[139:140], v[139:140], v[147:148]
	v_add_f64_e32 v[141:142], v[141:142], v[145:146]
	v_fma_f64 v[145:146], v[4:5], v[26:27], v[149:150]
	v_fma_f64 v[147:148], v[2:3], v[26:27], -v[28:29]
	ds_load_b128 v[2:5], v1 offset:976
	s_wait_loadcnt_dscnt 0x901
	v_mul_f64_e32 v[143:144], v[135:136], v[32:33]
	v_mul_f64_e32 v[32:33], v[137:138], v[32:33]
	scratch_load_b128 v[26:29], off, off offset:480
	s_wait_loadcnt_dscnt 0x900
	v_mul_f64_e32 v[149:150], v[2:3], v[40:41]
	v_mul_f64_e32 v[40:41], v[4:5], v[40:41]
	v_add_f64_e32 v[139:140], v[139:140], v[127:128]
	v_add_f64_e32 v[141:142], v[141:142], v[129:130]
	ds_load_b128 v[127:130], v1 offset:992
	v_fma_f64 v[137:138], v[137:138], v[30:31], v[143:144]
	v_fma_f64 v[135:136], v[135:136], v[30:31], -v[32:33]
	scratch_load_b128 v[30:33], off, off offset:496
	v_add_f64_e32 v[139:140], v[139:140], v[147:148]
	v_add_f64_e32 v[141:142], v[141:142], v[145:146]
	v_fma_f64 v[147:148], v[4:5], v[38:39], v[149:150]
	v_fma_f64 v[149:150], v[2:3], v[38:39], -v[40:41]
	ds_load_b128 v[2:5], v1 offset:1008
	s_wait_loadcnt_dscnt 0x801
	v_mul_f64_e32 v[143:144], v[127:128], v[133:134]
	v_mul_f64_e32 v[145:146], v[129:130], v[133:134]
	scratch_load_b128 v[38:41], off, off offset:512
	v_add_f64_e32 v[139:140], v[139:140], v[135:136]
	v_add_f64_e32 v[137:138], v[141:142], v[137:138]
	ds_load_b128 v[133:136], v1 offset:1024
	v_fma_f64 v[143:144], v[129:130], v[131:132], v[143:144]
	v_fma_f64 v[131:132], v[127:128], v[131:132], -v[145:146]
	scratch_load_b128 v[127:130], off, off offset:528
	s_wait_loadcnt_dscnt 0x901
	v_mul_f64_e32 v[141:142], v[2:3], v[36:37]
	v_mul_f64_e32 v[36:37], v[4:5], v[36:37]
	v_add_f64_e32 v[139:140], v[139:140], v[149:150]
	v_add_f64_e32 v[137:138], v[137:138], v[147:148]
	s_delay_alu instid0(VALU_DEP_4) | instskip(NEXT) | instid1(VALU_DEP_4)
	v_fma_f64 v[141:142], v[4:5], v[34:35], v[141:142]
	v_fma_f64 v[147:148], v[2:3], v[34:35], -v[36:37]
	ds_load_b128 v[2:5], v1 offset:1040
	s_wait_loadcnt_dscnt 0x801
	v_mul_f64_e32 v[145:146], v[133:134], v[8:9]
	v_mul_f64_e32 v[8:9], v[135:136], v[8:9]
	scratch_load_b128 v[34:37], off, off offset:544
	s_wait_loadcnt_dscnt 0x800
	v_mul_f64_e32 v[149:150], v[2:3], v[12:13]
	v_add_f64_e32 v[131:132], v[139:140], v[131:132]
	v_add_f64_e32 v[143:144], v[137:138], v[143:144]
	v_mul_f64_e32 v[12:13], v[4:5], v[12:13]
	ds_load_b128 v[137:140], v1 offset:1056
	v_fma_f64 v[135:136], v[135:136], v[6:7], v[145:146]
	v_fma_f64 v[133:134], v[133:134], v[6:7], -v[8:9]
	scratch_load_b128 v[6:9], off, off offset:560
	v_fma_f64 v[145:146], v[4:5], v[10:11], v[149:150]
	v_add_f64_e32 v[131:132], v[131:132], v[147:148]
	v_add_f64_e32 v[141:142], v[143:144], v[141:142]
	v_fma_f64 v[147:148], v[2:3], v[10:11], -v[12:13]
	ds_load_b128 v[2:5], v1 offset:1072
	s_wait_loadcnt_dscnt 0x801
	v_mul_f64_e32 v[143:144], v[137:138], v[16:17]
	v_mul_f64_e32 v[16:17], v[139:140], v[16:17]
	scratch_load_b128 v[10:13], off, off offset:576
	v_add_f64_e32 v[149:150], v[131:132], v[133:134]
	v_add_f64_e32 v[135:136], v[141:142], v[135:136]
	s_wait_loadcnt_dscnt 0x800
	v_mul_f64_e32 v[141:142], v[2:3], v[20:21]
	v_mul_f64_e32 v[20:21], v[4:5], v[20:21]
	v_fma_f64 v[139:140], v[139:140], v[14:15], v[143:144]
	v_fma_f64 v[137:138], v[137:138], v[14:15], -v[16:17]
	ds_load_b128 v[131:134], v1 offset:1088
	scratch_load_b128 v[14:17], off, off offset:592
	v_add_f64_e32 v[143:144], v[149:150], v[147:148]
	v_add_f64_e32 v[135:136], v[135:136], v[145:146]
	v_fma_f64 v[141:142], v[4:5], v[18:19], v[141:142]
	v_fma_f64 v[147:148], v[2:3], v[18:19], -v[20:21]
	ds_load_b128 v[2:5], v1 offset:1104
	s_wait_loadcnt_dscnt 0x801
	v_mul_f64_e32 v[145:146], v[131:132], v[24:25]
	v_mul_f64_e32 v[24:25], v[133:134], v[24:25]
	scratch_load_b128 v[18:21], off, off offset:608
	s_wait_loadcnt_dscnt 0x800
	v_mul_f64_e32 v[149:150], v[2:3], v[28:29]
	v_mul_f64_e32 v[28:29], v[4:5], v[28:29]
	v_add_f64_e32 v[143:144], v[143:144], v[137:138]
	v_add_f64_e32 v[139:140], v[135:136], v[139:140]
	ds_load_b128 v[135:138], v1 offset:1120
	v_fma_f64 v[133:134], v[133:134], v[22:23], v[145:146]
	v_fma_f64 v[131:132], v[131:132], v[22:23], -v[24:25]
	scratch_load_b128 v[22:25], off, off offset:624
	v_fma_f64 v[145:146], v[4:5], v[26:27], v[149:150]
	v_add_f64_e32 v[143:144], v[143:144], v[147:148]
	v_add_f64_e32 v[139:140], v[139:140], v[141:142]
	v_fma_f64 v[147:148], v[2:3], v[26:27], -v[28:29]
	ds_load_b128 v[2:5], v1 offset:1136
	s_wait_loadcnt_dscnt 0x801
	v_mul_f64_e32 v[141:142], v[135:136], v[32:33]
	v_mul_f64_e32 v[32:33], v[137:138], v[32:33]
	scratch_load_b128 v[26:29], off, off offset:640
	s_wait_loadcnt_dscnt 0x800
	v_mul_f64_e32 v[149:150], v[2:3], v[40:41]
	v_mul_f64_e32 v[40:41], v[4:5], v[40:41]
	v_add_f64_e32 v[143:144], v[143:144], v[131:132]
	v_add_f64_e32 v[139:140], v[139:140], v[133:134]
	ds_load_b128 v[131:134], v1 offset:1152
	v_fma_f64 v[137:138], v[137:138], v[30:31], v[141:142]
	v_fma_f64 v[30:31], v[135:136], v[30:31], -v[32:33]
	v_fma_f64 v[141:142], v[4:5], v[38:39], v[149:150]
	v_fma_f64 v[38:39], v[2:3], v[38:39], -v[40:41]
	v_add_f64_e32 v[32:33], v[143:144], v[147:148]
	v_add_f64_e32 v[135:136], v[139:140], v[145:146]
	s_wait_loadcnt_dscnt 0x700
	v_mul_f64_e32 v[139:140], v[131:132], v[129:130]
	v_mul_f64_e32 v[129:130], v[133:134], v[129:130]
	s_delay_alu instid0(VALU_DEP_4) | instskip(NEXT) | instid1(VALU_DEP_4)
	v_add_f64_e32 v[40:41], v[32:33], v[30:31]
	v_add_f64_e32 v[135:136], v[135:136], v[137:138]
	ds_load_b128 v[2:5], v1 offset:1168
	ds_load_b128 v[30:33], v1 offset:1184
	v_fma_f64 v[133:134], v[133:134], v[127:128], v[139:140]
	v_fma_f64 v[127:128], v[131:132], v[127:128], -v[129:130]
	s_wait_loadcnt_dscnt 0x601
	v_mul_f64_e32 v[137:138], v[2:3], v[36:37]
	v_mul_f64_e32 v[36:37], v[4:5], v[36:37]
	s_wait_loadcnt_dscnt 0x500
	v_mul_f64_e32 v[129:130], v[30:31], v[8:9]
	v_mul_f64_e32 v[8:9], v[32:33], v[8:9]
	v_add_f64_e32 v[38:39], v[40:41], v[38:39]
	v_add_f64_e32 v[40:41], v[135:136], v[141:142]
	v_fma_f64 v[131:132], v[4:5], v[34:35], v[137:138]
	v_fma_f64 v[135:136], v[2:3], v[34:35], -v[36:37]
	ds_load_b128 v[2:5], v1 offset:1200
	ds_load_b128 v[34:37], v1 offset:1216
	v_fma_f64 v[32:33], v[32:33], v[6:7], v[129:130]
	v_fma_f64 v[6:7], v[30:31], v[6:7], -v[8:9]
	v_add_f64_e32 v[38:39], v[38:39], v[127:128]
	v_add_f64_e32 v[40:41], v[40:41], v[133:134]
	s_wait_loadcnt_dscnt 0x401
	v_mul_f64_e32 v[127:128], v[2:3], v[12:13]
	v_mul_f64_e32 v[12:13], v[4:5], v[12:13]
	s_delay_alu instid0(VALU_DEP_4) | instskip(NEXT) | instid1(VALU_DEP_4)
	v_add_f64_e32 v[8:9], v[38:39], v[135:136]
	v_add_f64_e32 v[30:31], v[40:41], v[131:132]
	s_wait_loadcnt_dscnt 0x300
	v_mul_f64_e32 v[38:39], v[34:35], v[16:17]
	v_mul_f64_e32 v[16:17], v[36:37], v[16:17]
	v_fma_f64 v[40:41], v[4:5], v[10:11], v[127:128]
	v_fma_f64 v[10:11], v[2:3], v[10:11], -v[12:13]
	v_add_f64_e32 v[12:13], v[8:9], v[6:7]
	v_add_f64_e32 v[30:31], v[30:31], v[32:33]
	ds_load_b128 v[2:5], v1 offset:1232
	ds_load_b128 v[6:9], v1 offset:1248
	v_fma_f64 v[36:37], v[36:37], v[14:15], v[38:39]
	v_fma_f64 v[14:15], v[34:35], v[14:15], -v[16:17]
	s_wait_loadcnt_dscnt 0x201
	v_mul_f64_e32 v[32:33], v[2:3], v[20:21]
	v_mul_f64_e32 v[20:21], v[4:5], v[20:21]
	s_wait_loadcnt_dscnt 0x100
	v_mul_f64_e32 v[16:17], v[6:7], v[24:25]
	v_mul_f64_e32 v[24:25], v[8:9], v[24:25]
	v_add_f64_e32 v[10:11], v[12:13], v[10:11]
	v_add_f64_e32 v[12:13], v[30:31], v[40:41]
	v_fma_f64 v[30:31], v[4:5], v[18:19], v[32:33]
	v_fma_f64 v[18:19], v[2:3], v[18:19], -v[20:21]
	ds_load_b128 v[2:5], v1 offset:1264
	v_fma_f64 v[8:9], v[8:9], v[22:23], v[16:17]
	v_fma_f64 v[6:7], v[6:7], v[22:23], -v[24:25]
	v_add_f64_e32 v[10:11], v[10:11], v[14:15]
	v_add_f64_e32 v[12:13], v[12:13], v[36:37]
	s_wait_loadcnt_dscnt 0x0
	v_mul_f64_e32 v[14:15], v[2:3], v[28:29]
	v_mul_f64_e32 v[20:21], v[4:5], v[28:29]
	s_delay_alu instid0(VALU_DEP_4) | instskip(NEXT) | instid1(VALU_DEP_4)
	v_add_f64_e32 v[10:11], v[10:11], v[18:19]
	v_add_f64_e32 v[12:13], v[12:13], v[30:31]
	s_delay_alu instid0(VALU_DEP_4) | instskip(NEXT) | instid1(VALU_DEP_4)
	v_fma_f64 v[4:5], v[4:5], v[26:27], v[14:15]
	v_fma_f64 v[2:3], v[2:3], v[26:27], -v[20:21]
	s_delay_alu instid0(VALU_DEP_4) | instskip(NEXT) | instid1(VALU_DEP_4)
	v_add_f64_e32 v[6:7], v[10:11], v[6:7]
	v_add_f64_e32 v[8:9], v[12:13], v[8:9]
	s_delay_alu instid0(VALU_DEP_2) | instskip(NEXT) | instid1(VALU_DEP_2)
	v_add_f64_e32 v[2:3], v[6:7], v[2:3]
	v_add_f64_e32 v[4:5], v[8:9], v[4:5]
	s_delay_alu instid0(VALU_DEP_2) | instskip(NEXT) | instid1(VALU_DEP_2)
	v_add_f64_e64 v[2:3], v[42:43], -v[2:3]
	v_add_f64_e64 v[4:5], v[44:45], -v[4:5]
	scratch_store_b128 off, v[2:5], off offset:208
	v_cmpx_lt_u32_e32 11, v0
	s_cbranch_execz .LBB103_231
; %bb.230:
	scratch_load_b128 v[5:8], off, s11
	v_dual_mov_b32 v2, v1 :: v_dual_mov_b32 v3, v1
	v_mov_b32_e32 v4, v1
	scratch_store_b128 off, v[1:4], off offset:192
	s_wait_loadcnt 0x0
	ds_store_b128 v126, v[5:8]
.LBB103_231:
	s_wait_alu 0xfffe
	s_or_b32 exec_lo, exec_lo, s0
	s_wait_storecnt_dscnt 0x0
	s_barrier_signal -1
	s_barrier_wait -1
	global_inv scope:SCOPE_SE
	s_clause 0x8
	scratch_load_b128 v[2:5], off, off offset:208
	scratch_load_b128 v[6:9], off, off offset:224
	;; [unrolled: 1-line block ×9, first 2 shown]
	ds_load_b128 v[38:41], v1 offset:832
	ds_load_b128 v[42:45], v1 offset:848
	s_clause 0x1
	scratch_load_b128 v[127:130], off, off offset:192
	scratch_load_b128 v[131:134], off, off offset:352
	s_mov_b32 s0, exec_lo
	s_wait_loadcnt_dscnt 0xa01
	v_mul_f64_e32 v[135:136], v[40:41], v[4:5]
	v_mul_f64_e32 v[4:5], v[38:39], v[4:5]
	s_wait_loadcnt_dscnt 0x900
	v_mul_f64_e32 v[139:140], v[42:43], v[8:9]
	v_mul_f64_e32 v[8:9], v[44:45], v[8:9]
	s_delay_alu instid0(VALU_DEP_4) | instskip(NEXT) | instid1(VALU_DEP_4)
	v_fma_f64 v[141:142], v[38:39], v[2:3], -v[135:136]
	v_fma_f64 v[143:144], v[40:41], v[2:3], v[4:5]
	ds_load_b128 v[2:5], v1 offset:864
	ds_load_b128 v[135:138], v1 offset:880
	scratch_load_b128 v[38:41], off, off offset:368
	v_fma_f64 v[44:45], v[44:45], v[6:7], v[139:140]
	v_fma_f64 v[42:43], v[42:43], v[6:7], -v[8:9]
	scratch_load_b128 v[6:9], off, off offset:384
	s_wait_loadcnt_dscnt 0xa01
	v_mul_f64_e32 v[145:146], v[2:3], v[12:13]
	v_mul_f64_e32 v[12:13], v[4:5], v[12:13]
	v_add_f64_e32 v[139:140], 0, v[141:142]
	v_add_f64_e32 v[141:142], 0, v[143:144]
	s_wait_loadcnt_dscnt 0x900
	v_mul_f64_e32 v[143:144], v[135:136], v[16:17]
	v_mul_f64_e32 v[16:17], v[137:138], v[16:17]
	v_fma_f64 v[145:146], v[4:5], v[10:11], v[145:146]
	v_fma_f64 v[147:148], v[2:3], v[10:11], -v[12:13]
	ds_load_b128 v[2:5], v1 offset:896
	scratch_load_b128 v[10:13], off, off offset:400
	v_add_f64_e32 v[139:140], v[139:140], v[42:43]
	v_add_f64_e32 v[141:142], v[141:142], v[44:45]
	ds_load_b128 v[42:45], v1 offset:912
	v_fma_f64 v[137:138], v[137:138], v[14:15], v[143:144]
	v_fma_f64 v[135:136], v[135:136], v[14:15], -v[16:17]
	scratch_load_b128 v[14:17], off, off offset:416
	s_wait_loadcnt_dscnt 0xa01
	v_mul_f64_e32 v[149:150], v[2:3], v[20:21]
	v_mul_f64_e32 v[20:21], v[4:5], v[20:21]
	s_wait_loadcnt_dscnt 0x900
	v_mul_f64_e32 v[143:144], v[42:43], v[24:25]
	v_mul_f64_e32 v[24:25], v[44:45], v[24:25]
	v_add_f64_e32 v[139:140], v[139:140], v[147:148]
	v_add_f64_e32 v[141:142], v[141:142], v[145:146]
	v_fma_f64 v[145:146], v[4:5], v[18:19], v[149:150]
	v_fma_f64 v[147:148], v[2:3], v[18:19], -v[20:21]
	ds_load_b128 v[2:5], v1 offset:928
	scratch_load_b128 v[18:21], off, off offset:432
	v_fma_f64 v[44:45], v[44:45], v[22:23], v[143:144]
	v_fma_f64 v[42:43], v[42:43], v[22:23], -v[24:25]
	scratch_load_b128 v[22:25], off, off offset:448
	v_add_f64_e32 v[139:140], v[139:140], v[135:136]
	v_add_f64_e32 v[141:142], v[141:142], v[137:138]
	ds_load_b128 v[135:138], v1 offset:944
	s_wait_loadcnt_dscnt 0xa01
	v_mul_f64_e32 v[149:150], v[2:3], v[28:29]
	v_mul_f64_e32 v[28:29], v[4:5], v[28:29]
	s_wait_loadcnt_dscnt 0x900
	v_mul_f64_e32 v[143:144], v[135:136], v[32:33]
	v_mul_f64_e32 v[32:33], v[137:138], v[32:33]
	v_add_f64_e32 v[139:140], v[139:140], v[147:148]
	v_add_f64_e32 v[141:142], v[141:142], v[145:146]
	v_fma_f64 v[145:146], v[4:5], v[26:27], v[149:150]
	v_fma_f64 v[147:148], v[2:3], v[26:27], -v[28:29]
	ds_load_b128 v[2:5], v1 offset:960
	scratch_load_b128 v[26:29], off, off offset:464
	v_fma_f64 v[137:138], v[137:138], v[30:31], v[143:144]
	v_fma_f64 v[135:136], v[135:136], v[30:31], -v[32:33]
	scratch_load_b128 v[30:33], off, off offset:480
	v_add_f64_e32 v[139:140], v[139:140], v[42:43]
	v_add_f64_e32 v[141:142], v[141:142], v[44:45]
	ds_load_b128 v[42:45], v1 offset:976
	s_wait_loadcnt_dscnt 0xa01
	v_mul_f64_e32 v[149:150], v[2:3], v[36:37]
	v_mul_f64_e32 v[36:37], v[4:5], v[36:37]
	s_wait_loadcnt_dscnt 0x800
	v_mul_f64_e32 v[143:144], v[42:43], v[133:134]
	v_add_f64_e32 v[139:140], v[139:140], v[147:148]
	v_add_f64_e32 v[141:142], v[141:142], v[145:146]
	v_mul_f64_e32 v[145:146], v[44:45], v[133:134]
	v_fma_f64 v[147:148], v[4:5], v[34:35], v[149:150]
	v_fma_f64 v[149:150], v[2:3], v[34:35], -v[36:37]
	ds_load_b128 v[2:5], v1 offset:992
	scratch_load_b128 v[34:37], off, off offset:496
	v_fma_f64 v[44:45], v[44:45], v[131:132], v[143:144]
	v_add_f64_e32 v[139:140], v[139:140], v[135:136]
	v_add_f64_e32 v[137:138], v[141:142], v[137:138]
	ds_load_b128 v[133:136], v1 offset:1008
	v_fma_f64 v[131:132], v[42:43], v[131:132], -v[145:146]
	s_wait_loadcnt_dscnt 0x801
	v_mul_f64_e32 v[141:142], v[2:3], v[40:41]
	v_mul_f64_e32 v[151:152], v[4:5], v[40:41]
	scratch_load_b128 v[40:43], off, off offset:512
	s_wait_loadcnt_dscnt 0x800
	v_mul_f64_e32 v[145:146], v[133:134], v[8:9]
	v_mul_f64_e32 v[8:9], v[135:136], v[8:9]
	v_add_f64_e32 v[139:140], v[139:140], v[149:150]
	v_add_f64_e32 v[137:138], v[137:138], v[147:148]
	v_fma_f64 v[147:148], v[4:5], v[38:39], v[141:142]
	v_fma_f64 v[38:39], v[2:3], v[38:39], -v[151:152]
	ds_load_b128 v[2:5], v1 offset:1024
	ds_load_b128 v[141:144], v1 offset:1040
	v_fma_f64 v[135:136], v[135:136], v[6:7], v[145:146]
	v_fma_f64 v[133:134], v[133:134], v[6:7], -v[8:9]
	scratch_load_b128 v[6:9], off, off offset:544
	v_add_f64_e32 v[131:132], v[139:140], v[131:132]
	v_add_f64_e32 v[44:45], v[137:138], v[44:45]
	scratch_load_b128 v[137:140], off, off offset:528
	s_wait_loadcnt_dscnt 0x901
	v_mul_f64_e32 v[149:150], v[2:3], v[12:13]
	v_mul_f64_e32 v[12:13], v[4:5], v[12:13]
	s_wait_loadcnt_dscnt 0x800
	v_mul_f64_e32 v[145:146], v[141:142], v[16:17]
	v_mul_f64_e32 v[16:17], v[143:144], v[16:17]
	v_add_f64_e32 v[38:39], v[131:132], v[38:39]
	v_add_f64_e32 v[44:45], v[44:45], v[147:148]
	v_fma_f64 v[147:148], v[4:5], v[10:11], v[149:150]
	v_fma_f64 v[149:150], v[2:3], v[10:11], -v[12:13]
	ds_load_b128 v[2:5], v1 offset:1056
	scratch_load_b128 v[10:13], off, off offset:560
	v_fma_f64 v[143:144], v[143:144], v[14:15], v[145:146]
	v_fma_f64 v[141:142], v[141:142], v[14:15], -v[16:17]
	scratch_load_b128 v[14:17], off, off offset:576
	v_add_f64_e32 v[38:39], v[38:39], v[133:134]
	v_add_f64_e32 v[44:45], v[44:45], v[135:136]
	ds_load_b128 v[131:134], v1 offset:1072
	s_wait_loadcnt_dscnt 0x901
	v_mul_f64_e32 v[135:136], v[2:3], v[20:21]
	v_mul_f64_e32 v[20:21], v[4:5], v[20:21]
	s_wait_loadcnt_dscnt 0x800
	v_mul_f64_e32 v[145:146], v[131:132], v[24:25]
	v_mul_f64_e32 v[24:25], v[133:134], v[24:25]
	v_add_f64_e32 v[38:39], v[38:39], v[149:150]
	v_add_f64_e32 v[44:45], v[44:45], v[147:148]
	v_fma_f64 v[135:136], v[4:5], v[18:19], v[135:136]
	v_fma_f64 v[147:148], v[2:3], v[18:19], -v[20:21]
	ds_load_b128 v[2:5], v1 offset:1088
	scratch_load_b128 v[18:21], off, off offset:592
	v_fma_f64 v[133:134], v[133:134], v[22:23], v[145:146]
	v_fma_f64 v[131:132], v[131:132], v[22:23], -v[24:25]
	scratch_load_b128 v[22:25], off, off offset:608
	v_add_f64_e32 v[38:39], v[38:39], v[141:142]
	v_add_f64_e32 v[44:45], v[44:45], v[143:144]
	ds_load_b128 v[141:144], v1 offset:1104
	s_wait_loadcnt_dscnt 0x901
	v_mul_f64_e32 v[149:150], v[2:3], v[28:29]
	v_mul_f64_e32 v[28:29], v[4:5], v[28:29]
	v_add_f64_e32 v[38:39], v[38:39], v[147:148]
	v_add_f64_e32 v[44:45], v[44:45], v[135:136]
	s_wait_loadcnt_dscnt 0x800
	v_mul_f64_e32 v[135:136], v[141:142], v[32:33]
	v_mul_f64_e32 v[32:33], v[143:144], v[32:33]
	v_fma_f64 v[145:146], v[4:5], v[26:27], v[149:150]
	v_fma_f64 v[147:148], v[2:3], v[26:27], -v[28:29]
	ds_load_b128 v[2:5], v1 offset:1120
	scratch_load_b128 v[26:29], off, off offset:624
	v_add_f64_e32 v[38:39], v[38:39], v[131:132]
	v_add_f64_e32 v[44:45], v[44:45], v[133:134]
	ds_load_b128 v[131:134], v1 offset:1136
	s_wait_loadcnt_dscnt 0x801
	v_mul_f64_e32 v[149:150], v[2:3], v[36:37]
	v_mul_f64_e32 v[36:37], v[4:5], v[36:37]
	v_fma_f64 v[135:136], v[143:144], v[30:31], v[135:136]
	v_fma_f64 v[141:142], v[141:142], v[30:31], -v[32:33]
	scratch_load_b128 v[30:33], off, off offset:640
	s_wait_loadcnt_dscnt 0x800
	v_mul_f64_e32 v[143:144], v[131:132], v[42:43]
	v_add_f64_e32 v[38:39], v[38:39], v[147:148]
	v_add_f64_e32 v[44:45], v[44:45], v[145:146]
	v_mul_f64_e32 v[42:43], v[133:134], v[42:43]
	v_fma_f64 v[145:146], v[4:5], v[34:35], v[149:150]
	v_fma_f64 v[147:148], v[2:3], v[34:35], -v[36:37]
	ds_load_b128 v[2:5], v1 offset:1152
	ds_load_b128 v[34:37], v1 offset:1168
	v_fma_f64 v[133:134], v[133:134], v[40:41], v[143:144]
	v_add_f64_e32 v[38:39], v[38:39], v[141:142]
	v_add_f64_e32 v[44:45], v[44:45], v[135:136]
	v_fma_f64 v[40:41], v[131:132], v[40:41], -v[42:43]
	s_wait_loadcnt_dscnt 0x601
	v_mul_f64_e32 v[135:136], v[2:3], v[139:140]
	v_mul_f64_e32 v[139:140], v[4:5], v[139:140]
	v_add_f64_e32 v[38:39], v[38:39], v[147:148]
	v_add_f64_e32 v[42:43], v[44:45], v[145:146]
	s_wait_dscnt 0x0
	v_mul_f64_e32 v[44:45], v[34:35], v[8:9]
	v_mul_f64_e32 v[8:9], v[36:37], v[8:9]
	v_fma_f64 v[131:132], v[4:5], v[137:138], v[135:136]
	v_fma_f64 v[135:136], v[2:3], v[137:138], -v[139:140]
	v_add_f64_e32 v[137:138], v[38:39], v[40:41]
	v_add_f64_e32 v[42:43], v[42:43], v[133:134]
	ds_load_b128 v[2:5], v1 offset:1184
	ds_load_b128 v[38:41], v1 offset:1200
	v_fma_f64 v[36:37], v[36:37], v[6:7], v[44:45]
	v_fma_f64 v[6:7], v[34:35], v[6:7], -v[8:9]
	s_wait_loadcnt_dscnt 0x501
	v_mul_f64_e32 v[133:134], v[2:3], v[12:13]
	v_mul_f64_e32 v[12:13], v[4:5], v[12:13]
	v_add_f64_e32 v[8:9], v[137:138], v[135:136]
	v_add_f64_e32 v[34:35], v[42:43], v[131:132]
	s_wait_loadcnt_dscnt 0x400
	v_mul_f64_e32 v[42:43], v[38:39], v[16:17]
	v_mul_f64_e32 v[16:17], v[40:41], v[16:17]
	v_fma_f64 v[44:45], v[4:5], v[10:11], v[133:134]
	v_fma_f64 v[10:11], v[2:3], v[10:11], -v[12:13]
	v_add_f64_e32 v[12:13], v[8:9], v[6:7]
	v_add_f64_e32 v[34:35], v[34:35], v[36:37]
	ds_load_b128 v[2:5], v1 offset:1216
	ds_load_b128 v[6:9], v1 offset:1232
	v_fma_f64 v[40:41], v[40:41], v[14:15], v[42:43]
	v_fma_f64 v[14:15], v[38:39], v[14:15], -v[16:17]
	s_wait_loadcnt_dscnt 0x301
	v_mul_f64_e32 v[36:37], v[2:3], v[20:21]
	v_mul_f64_e32 v[20:21], v[4:5], v[20:21]
	s_wait_loadcnt_dscnt 0x200
	v_mul_f64_e32 v[16:17], v[6:7], v[24:25]
	v_mul_f64_e32 v[24:25], v[8:9], v[24:25]
	v_add_f64_e32 v[10:11], v[12:13], v[10:11]
	v_add_f64_e32 v[12:13], v[34:35], v[44:45]
	v_fma_f64 v[34:35], v[4:5], v[18:19], v[36:37]
	v_fma_f64 v[18:19], v[2:3], v[18:19], -v[20:21]
	v_fma_f64 v[8:9], v[8:9], v[22:23], v[16:17]
	v_fma_f64 v[6:7], v[6:7], v[22:23], -v[24:25]
	v_add_f64_e32 v[14:15], v[10:11], v[14:15]
	v_add_f64_e32 v[20:21], v[12:13], v[40:41]
	ds_load_b128 v[2:5], v1 offset:1248
	ds_load_b128 v[10:13], v1 offset:1264
	s_wait_loadcnt_dscnt 0x101
	v_mul_f64_e32 v[36:37], v[2:3], v[28:29]
	v_mul_f64_e32 v[28:29], v[4:5], v[28:29]
	v_add_f64_e32 v[14:15], v[14:15], v[18:19]
	v_add_f64_e32 v[16:17], v[20:21], v[34:35]
	s_wait_loadcnt_dscnt 0x0
	v_mul_f64_e32 v[18:19], v[10:11], v[32:33]
	v_mul_f64_e32 v[20:21], v[12:13], v[32:33]
	v_fma_f64 v[4:5], v[4:5], v[26:27], v[36:37]
	v_fma_f64 v[1:2], v[2:3], v[26:27], -v[28:29]
	v_add_f64_e32 v[6:7], v[14:15], v[6:7]
	v_add_f64_e32 v[8:9], v[16:17], v[8:9]
	v_fma_f64 v[12:13], v[12:13], v[30:31], v[18:19]
	v_fma_f64 v[10:11], v[10:11], v[30:31], -v[20:21]
	s_delay_alu instid0(VALU_DEP_4) | instskip(NEXT) | instid1(VALU_DEP_4)
	v_add_f64_e32 v[1:2], v[6:7], v[1:2]
	v_add_f64_e32 v[3:4], v[8:9], v[4:5]
	s_delay_alu instid0(VALU_DEP_2) | instskip(NEXT) | instid1(VALU_DEP_2)
	v_add_f64_e32 v[1:2], v[1:2], v[10:11]
	v_add_f64_e32 v[3:4], v[3:4], v[12:13]
	s_delay_alu instid0(VALU_DEP_2) | instskip(NEXT) | instid1(VALU_DEP_2)
	v_add_f64_e64 v[1:2], v[127:128], -v[1:2]
	v_add_f64_e64 v[3:4], v[129:130], -v[3:4]
	scratch_store_b128 off, v[1:4], off offset:192
	v_cmpx_lt_u32_e32 10, v0
	s_cbranch_execz .LBB103_233
; %bb.232:
	scratch_load_b128 v[1:4], off, s31
	v_mov_b32_e32 v5, 0
	s_delay_alu instid0(VALU_DEP_1)
	v_dual_mov_b32 v6, v5 :: v_dual_mov_b32 v7, v5
	v_mov_b32_e32 v8, v5
	scratch_store_b128 off, v[5:8], off offset:176
	s_wait_loadcnt 0x0
	ds_store_b128 v126, v[1:4]
.LBB103_233:
	s_wait_alu 0xfffe
	s_or_b32 exec_lo, exec_lo, s0
	s_wait_storecnt_dscnt 0x0
	s_barrier_signal -1
	s_barrier_wait -1
	global_inv scope:SCOPE_SE
	s_clause 0x7
	scratch_load_b128 v[2:5], off, off offset:192
	scratch_load_b128 v[6:9], off, off offset:208
	scratch_load_b128 v[10:13], off, off offset:224
	scratch_load_b128 v[14:17], off, off offset:240
	scratch_load_b128 v[18:21], off, off offset:256
	scratch_load_b128 v[22:25], off, off offset:272
	scratch_load_b128 v[26:29], off, off offset:288
	scratch_load_b128 v[30:33], off, off offset:304
	v_mov_b32_e32 v1, 0
	s_mov_b32 s0, exec_lo
	ds_load_b128 v[34:37], v1 offset:816
	s_clause 0x1
	scratch_load_b128 v[38:41], off, off offset:320
	scratch_load_b128 v[42:45], off, off offset:176
	ds_load_b128 v[127:130], v1 offset:832
	scratch_load_b128 v[131:134], off, off offset:336
	s_wait_loadcnt_dscnt 0xa01
	v_mul_f64_e32 v[135:136], v[36:37], v[4:5]
	v_mul_f64_e32 v[4:5], v[34:35], v[4:5]
	s_delay_alu instid0(VALU_DEP_2) | instskip(NEXT) | instid1(VALU_DEP_2)
	v_fma_f64 v[141:142], v[34:35], v[2:3], -v[135:136]
	v_fma_f64 v[143:144], v[36:37], v[2:3], v[4:5]
	ds_load_b128 v[2:5], v1 offset:848
	s_wait_loadcnt_dscnt 0x901
	v_mul_f64_e32 v[139:140], v[127:128], v[8:9]
	v_mul_f64_e32 v[8:9], v[129:130], v[8:9]
	scratch_load_b128 v[34:37], off, off offset:352
	ds_load_b128 v[135:138], v1 offset:864
	s_wait_loadcnt_dscnt 0x901
	v_mul_f64_e32 v[145:146], v[2:3], v[12:13]
	v_mul_f64_e32 v[12:13], v[4:5], v[12:13]
	v_fma_f64 v[129:130], v[129:130], v[6:7], v[139:140]
	v_fma_f64 v[127:128], v[127:128], v[6:7], -v[8:9]
	v_add_f64_e32 v[139:140], 0, v[141:142]
	v_add_f64_e32 v[141:142], 0, v[143:144]
	scratch_load_b128 v[6:9], off, off offset:368
	v_fma_f64 v[145:146], v[4:5], v[10:11], v[145:146]
	v_fma_f64 v[147:148], v[2:3], v[10:11], -v[12:13]
	ds_load_b128 v[2:5], v1 offset:880
	s_wait_loadcnt_dscnt 0x901
	v_mul_f64_e32 v[143:144], v[135:136], v[16:17]
	v_mul_f64_e32 v[16:17], v[137:138], v[16:17]
	scratch_load_b128 v[10:13], off, off offset:384
	v_add_f64_e32 v[139:140], v[139:140], v[127:128]
	v_add_f64_e32 v[141:142], v[141:142], v[129:130]
	s_wait_loadcnt_dscnt 0x900
	v_mul_f64_e32 v[149:150], v[2:3], v[20:21]
	v_mul_f64_e32 v[20:21], v[4:5], v[20:21]
	ds_load_b128 v[127:130], v1 offset:896
	v_fma_f64 v[137:138], v[137:138], v[14:15], v[143:144]
	v_fma_f64 v[135:136], v[135:136], v[14:15], -v[16:17]
	scratch_load_b128 v[14:17], off, off offset:400
	v_add_f64_e32 v[139:140], v[139:140], v[147:148]
	v_add_f64_e32 v[141:142], v[141:142], v[145:146]
	v_fma_f64 v[145:146], v[4:5], v[18:19], v[149:150]
	v_fma_f64 v[147:148], v[2:3], v[18:19], -v[20:21]
	ds_load_b128 v[2:5], v1 offset:912
	s_wait_loadcnt_dscnt 0x901
	v_mul_f64_e32 v[143:144], v[127:128], v[24:25]
	v_mul_f64_e32 v[24:25], v[129:130], v[24:25]
	scratch_load_b128 v[18:21], off, off offset:416
	s_wait_loadcnt_dscnt 0x900
	v_mul_f64_e32 v[149:150], v[2:3], v[28:29]
	v_mul_f64_e32 v[28:29], v[4:5], v[28:29]
	v_add_f64_e32 v[139:140], v[139:140], v[135:136]
	v_add_f64_e32 v[141:142], v[141:142], v[137:138]
	ds_load_b128 v[135:138], v1 offset:928
	v_fma_f64 v[129:130], v[129:130], v[22:23], v[143:144]
	v_fma_f64 v[127:128], v[127:128], v[22:23], -v[24:25]
	scratch_load_b128 v[22:25], off, off offset:432
	v_add_f64_e32 v[139:140], v[139:140], v[147:148]
	v_add_f64_e32 v[141:142], v[141:142], v[145:146]
	v_fma_f64 v[145:146], v[4:5], v[26:27], v[149:150]
	v_fma_f64 v[147:148], v[2:3], v[26:27], -v[28:29]
	ds_load_b128 v[2:5], v1 offset:944
	s_wait_loadcnt_dscnt 0x901
	v_mul_f64_e32 v[143:144], v[135:136], v[32:33]
	v_mul_f64_e32 v[32:33], v[137:138], v[32:33]
	scratch_load_b128 v[26:29], off, off offset:448
	s_wait_loadcnt_dscnt 0x900
	v_mul_f64_e32 v[149:150], v[2:3], v[40:41]
	v_mul_f64_e32 v[40:41], v[4:5], v[40:41]
	v_add_f64_e32 v[139:140], v[139:140], v[127:128]
	v_add_f64_e32 v[141:142], v[141:142], v[129:130]
	ds_load_b128 v[127:130], v1 offset:960
	v_fma_f64 v[137:138], v[137:138], v[30:31], v[143:144]
	v_fma_f64 v[135:136], v[135:136], v[30:31], -v[32:33]
	scratch_load_b128 v[30:33], off, off offset:464
	v_add_f64_e32 v[139:140], v[139:140], v[147:148]
	v_add_f64_e32 v[141:142], v[141:142], v[145:146]
	v_fma_f64 v[147:148], v[4:5], v[38:39], v[149:150]
	v_fma_f64 v[149:150], v[2:3], v[38:39], -v[40:41]
	ds_load_b128 v[2:5], v1 offset:976
	s_wait_loadcnt_dscnt 0x801
	v_mul_f64_e32 v[143:144], v[127:128], v[133:134]
	v_mul_f64_e32 v[145:146], v[129:130], v[133:134]
	scratch_load_b128 v[38:41], off, off offset:480
	v_add_f64_e32 v[139:140], v[139:140], v[135:136]
	v_add_f64_e32 v[137:138], v[141:142], v[137:138]
	ds_load_b128 v[133:136], v1 offset:992
	v_fma_f64 v[143:144], v[129:130], v[131:132], v[143:144]
	v_fma_f64 v[131:132], v[127:128], v[131:132], -v[145:146]
	scratch_load_b128 v[127:130], off, off offset:496
	s_wait_loadcnt_dscnt 0x901
	v_mul_f64_e32 v[141:142], v[2:3], v[36:37]
	v_mul_f64_e32 v[36:37], v[4:5], v[36:37]
	v_add_f64_e32 v[139:140], v[139:140], v[149:150]
	v_add_f64_e32 v[137:138], v[137:138], v[147:148]
	s_delay_alu instid0(VALU_DEP_4) | instskip(NEXT) | instid1(VALU_DEP_4)
	v_fma_f64 v[141:142], v[4:5], v[34:35], v[141:142]
	v_fma_f64 v[147:148], v[2:3], v[34:35], -v[36:37]
	ds_load_b128 v[2:5], v1 offset:1008
	s_wait_loadcnt_dscnt 0x801
	v_mul_f64_e32 v[145:146], v[133:134], v[8:9]
	v_mul_f64_e32 v[8:9], v[135:136], v[8:9]
	scratch_load_b128 v[34:37], off, off offset:512
	s_wait_loadcnt_dscnt 0x800
	v_mul_f64_e32 v[149:150], v[2:3], v[12:13]
	v_add_f64_e32 v[131:132], v[139:140], v[131:132]
	v_add_f64_e32 v[143:144], v[137:138], v[143:144]
	v_mul_f64_e32 v[12:13], v[4:5], v[12:13]
	ds_load_b128 v[137:140], v1 offset:1024
	v_fma_f64 v[135:136], v[135:136], v[6:7], v[145:146]
	v_fma_f64 v[133:134], v[133:134], v[6:7], -v[8:9]
	scratch_load_b128 v[6:9], off, off offset:528
	v_fma_f64 v[145:146], v[4:5], v[10:11], v[149:150]
	v_add_f64_e32 v[131:132], v[131:132], v[147:148]
	v_add_f64_e32 v[141:142], v[143:144], v[141:142]
	v_fma_f64 v[147:148], v[2:3], v[10:11], -v[12:13]
	ds_load_b128 v[2:5], v1 offset:1040
	s_wait_loadcnt_dscnt 0x801
	v_mul_f64_e32 v[143:144], v[137:138], v[16:17]
	v_mul_f64_e32 v[16:17], v[139:140], v[16:17]
	scratch_load_b128 v[10:13], off, off offset:544
	v_add_f64_e32 v[149:150], v[131:132], v[133:134]
	v_add_f64_e32 v[135:136], v[141:142], v[135:136]
	s_wait_loadcnt_dscnt 0x800
	v_mul_f64_e32 v[141:142], v[2:3], v[20:21]
	v_mul_f64_e32 v[20:21], v[4:5], v[20:21]
	v_fma_f64 v[139:140], v[139:140], v[14:15], v[143:144]
	v_fma_f64 v[137:138], v[137:138], v[14:15], -v[16:17]
	ds_load_b128 v[131:134], v1 offset:1056
	scratch_load_b128 v[14:17], off, off offset:560
	v_add_f64_e32 v[143:144], v[149:150], v[147:148]
	v_add_f64_e32 v[135:136], v[135:136], v[145:146]
	v_fma_f64 v[141:142], v[4:5], v[18:19], v[141:142]
	v_fma_f64 v[147:148], v[2:3], v[18:19], -v[20:21]
	ds_load_b128 v[2:5], v1 offset:1072
	s_wait_loadcnt_dscnt 0x801
	v_mul_f64_e32 v[145:146], v[131:132], v[24:25]
	v_mul_f64_e32 v[24:25], v[133:134], v[24:25]
	scratch_load_b128 v[18:21], off, off offset:576
	s_wait_loadcnt_dscnt 0x800
	v_mul_f64_e32 v[149:150], v[2:3], v[28:29]
	v_mul_f64_e32 v[28:29], v[4:5], v[28:29]
	v_add_f64_e32 v[143:144], v[143:144], v[137:138]
	v_add_f64_e32 v[139:140], v[135:136], v[139:140]
	ds_load_b128 v[135:138], v1 offset:1088
	v_fma_f64 v[133:134], v[133:134], v[22:23], v[145:146]
	v_fma_f64 v[131:132], v[131:132], v[22:23], -v[24:25]
	scratch_load_b128 v[22:25], off, off offset:592
	v_fma_f64 v[145:146], v[4:5], v[26:27], v[149:150]
	v_add_f64_e32 v[143:144], v[143:144], v[147:148]
	v_add_f64_e32 v[139:140], v[139:140], v[141:142]
	v_fma_f64 v[147:148], v[2:3], v[26:27], -v[28:29]
	ds_load_b128 v[2:5], v1 offset:1104
	s_wait_loadcnt_dscnt 0x801
	v_mul_f64_e32 v[141:142], v[135:136], v[32:33]
	v_mul_f64_e32 v[32:33], v[137:138], v[32:33]
	scratch_load_b128 v[26:29], off, off offset:608
	s_wait_loadcnt_dscnt 0x800
	v_mul_f64_e32 v[149:150], v[2:3], v[40:41]
	v_mul_f64_e32 v[40:41], v[4:5], v[40:41]
	v_add_f64_e32 v[143:144], v[143:144], v[131:132]
	v_add_f64_e32 v[139:140], v[139:140], v[133:134]
	ds_load_b128 v[131:134], v1 offset:1120
	v_fma_f64 v[137:138], v[137:138], v[30:31], v[141:142]
	v_fma_f64 v[135:136], v[135:136], v[30:31], -v[32:33]
	scratch_load_b128 v[30:33], off, off offset:624
	v_add_f64_e32 v[141:142], v[143:144], v[147:148]
	v_add_f64_e32 v[139:140], v[139:140], v[145:146]
	v_fma_f64 v[145:146], v[4:5], v[38:39], v[149:150]
	v_fma_f64 v[147:148], v[2:3], v[38:39], -v[40:41]
	ds_load_b128 v[2:5], v1 offset:1136
	s_wait_loadcnt_dscnt 0x801
	v_mul_f64_e32 v[143:144], v[131:132], v[129:130]
	v_mul_f64_e32 v[129:130], v[133:134], v[129:130]
	scratch_load_b128 v[38:41], off, off offset:640
	s_wait_loadcnt_dscnt 0x800
	v_mul_f64_e32 v[149:150], v[2:3], v[36:37]
	v_mul_f64_e32 v[36:37], v[4:5], v[36:37]
	v_add_f64_e32 v[141:142], v[141:142], v[135:136]
	v_add_f64_e32 v[139:140], v[139:140], v[137:138]
	ds_load_b128 v[135:138], v1 offset:1152
	v_fma_f64 v[133:134], v[133:134], v[127:128], v[143:144]
	v_fma_f64 v[127:128], v[131:132], v[127:128], -v[129:130]
	v_fma_f64 v[143:144], v[2:3], v[34:35], -v[36:37]
	v_add_f64_e32 v[129:130], v[141:142], v[147:148]
	v_add_f64_e32 v[131:132], v[139:140], v[145:146]
	s_wait_loadcnt_dscnt 0x700
	v_mul_f64_e32 v[139:140], v[135:136], v[8:9]
	v_mul_f64_e32 v[8:9], v[137:138], v[8:9]
	v_fma_f64 v[141:142], v[4:5], v[34:35], v[149:150]
	ds_load_b128 v[2:5], v1 offset:1168
	ds_load_b128 v[34:37], v1 offset:1184
	v_add_f64_e32 v[127:128], v[129:130], v[127:128]
	v_add_f64_e32 v[129:130], v[131:132], v[133:134]
	s_wait_loadcnt_dscnt 0x601
	v_mul_f64_e32 v[131:132], v[2:3], v[12:13]
	v_mul_f64_e32 v[12:13], v[4:5], v[12:13]
	v_fma_f64 v[133:134], v[137:138], v[6:7], v[139:140]
	v_fma_f64 v[6:7], v[135:136], v[6:7], -v[8:9]
	v_add_f64_e32 v[8:9], v[127:128], v[143:144]
	v_add_f64_e32 v[127:128], v[129:130], v[141:142]
	s_wait_loadcnt_dscnt 0x500
	v_mul_f64_e32 v[129:130], v[34:35], v[16:17]
	v_mul_f64_e32 v[16:17], v[36:37], v[16:17]
	v_fma_f64 v[131:132], v[4:5], v[10:11], v[131:132]
	v_fma_f64 v[10:11], v[2:3], v[10:11], -v[12:13]
	v_add_f64_e32 v[12:13], v[8:9], v[6:7]
	v_add_f64_e32 v[127:128], v[127:128], v[133:134]
	ds_load_b128 v[2:5], v1 offset:1200
	ds_load_b128 v[6:9], v1 offset:1216
	v_fma_f64 v[36:37], v[36:37], v[14:15], v[129:130]
	v_fma_f64 v[14:15], v[34:35], v[14:15], -v[16:17]
	s_wait_loadcnt_dscnt 0x401
	v_mul_f64_e32 v[133:134], v[2:3], v[20:21]
	v_mul_f64_e32 v[20:21], v[4:5], v[20:21]
	s_wait_loadcnt_dscnt 0x300
	v_mul_f64_e32 v[16:17], v[6:7], v[24:25]
	v_mul_f64_e32 v[24:25], v[8:9], v[24:25]
	v_add_f64_e32 v[10:11], v[12:13], v[10:11]
	v_add_f64_e32 v[12:13], v[127:128], v[131:132]
	v_fma_f64 v[34:35], v[4:5], v[18:19], v[133:134]
	v_fma_f64 v[18:19], v[2:3], v[18:19], -v[20:21]
	v_fma_f64 v[8:9], v[8:9], v[22:23], v[16:17]
	v_fma_f64 v[6:7], v[6:7], v[22:23], -v[24:25]
	v_add_f64_e32 v[14:15], v[10:11], v[14:15]
	v_add_f64_e32 v[20:21], v[12:13], v[36:37]
	ds_load_b128 v[2:5], v1 offset:1232
	ds_load_b128 v[10:13], v1 offset:1248
	s_wait_loadcnt_dscnt 0x201
	v_mul_f64_e32 v[36:37], v[2:3], v[28:29]
	v_mul_f64_e32 v[28:29], v[4:5], v[28:29]
	v_add_f64_e32 v[14:15], v[14:15], v[18:19]
	v_add_f64_e32 v[16:17], v[20:21], v[34:35]
	s_wait_loadcnt_dscnt 0x100
	v_mul_f64_e32 v[18:19], v[10:11], v[32:33]
	v_mul_f64_e32 v[20:21], v[12:13], v[32:33]
	v_fma_f64 v[22:23], v[4:5], v[26:27], v[36:37]
	v_fma_f64 v[24:25], v[2:3], v[26:27], -v[28:29]
	ds_load_b128 v[2:5], v1 offset:1264
	v_add_f64_e32 v[6:7], v[14:15], v[6:7]
	v_add_f64_e32 v[8:9], v[16:17], v[8:9]
	v_fma_f64 v[12:13], v[12:13], v[30:31], v[18:19]
	v_fma_f64 v[10:11], v[10:11], v[30:31], -v[20:21]
	s_wait_loadcnt_dscnt 0x0
	v_mul_f64_e32 v[14:15], v[2:3], v[40:41]
	v_mul_f64_e32 v[16:17], v[4:5], v[40:41]
	v_add_f64_e32 v[6:7], v[6:7], v[24:25]
	v_add_f64_e32 v[8:9], v[8:9], v[22:23]
	s_delay_alu instid0(VALU_DEP_4) | instskip(NEXT) | instid1(VALU_DEP_4)
	v_fma_f64 v[4:5], v[4:5], v[38:39], v[14:15]
	v_fma_f64 v[2:3], v[2:3], v[38:39], -v[16:17]
	s_delay_alu instid0(VALU_DEP_4) | instskip(NEXT) | instid1(VALU_DEP_4)
	v_add_f64_e32 v[6:7], v[6:7], v[10:11]
	v_add_f64_e32 v[8:9], v[8:9], v[12:13]
	s_delay_alu instid0(VALU_DEP_2) | instskip(NEXT) | instid1(VALU_DEP_2)
	v_add_f64_e32 v[2:3], v[6:7], v[2:3]
	v_add_f64_e32 v[4:5], v[8:9], v[4:5]
	s_delay_alu instid0(VALU_DEP_2) | instskip(NEXT) | instid1(VALU_DEP_2)
	v_add_f64_e64 v[2:3], v[42:43], -v[2:3]
	v_add_f64_e64 v[4:5], v[44:45], -v[4:5]
	scratch_store_b128 off, v[2:5], off offset:176
	v_cmpx_lt_u32_e32 9, v0
	s_cbranch_execz .LBB103_235
; %bb.234:
	scratch_load_b128 v[5:8], off, s10
	v_dual_mov_b32 v2, v1 :: v_dual_mov_b32 v3, v1
	v_mov_b32_e32 v4, v1
	scratch_store_b128 off, v[1:4], off offset:160
	s_wait_loadcnt 0x0
	ds_store_b128 v126, v[5:8]
.LBB103_235:
	s_wait_alu 0xfffe
	s_or_b32 exec_lo, exec_lo, s0
	s_wait_storecnt_dscnt 0x0
	s_barrier_signal -1
	s_barrier_wait -1
	global_inv scope:SCOPE_SE
	s_clause 0x8
	scratch_load_b128 v[2:5], off, off offset:176
	scratch_load_b128 v[6:9], off, off offset:192
	;; [unrolled: 1-line block ×9, first 2 shown]
	ds_load_b128 v[38:41], v1 offset:800
	ds_load_b128 v[42:45], v1 offset:816
	s_clause 0x1
	scratch_load_b128 v[127:130], off, off offset:160
	scratch_load_b128 v[131:134], off, off offset:320
	s_mov_b32 s0, exec_lo
	s_wait_loadcnt_dscnt 0xa01
	v_mul_f64_e32 v[135:136], v[40:41], v[4:5]
	v_mul_f64_e32 v[4:5], v[38:39], v[4:5]
	s_wait_loadcnt_dscnt 0x900
	v_mul_f64_e32 v[139:140], v[42:43], v[8:9]
	v_mul_f64_e32 v[8:9], v[44:45], v[8:9]
	s_delay_alu instid0(VALU_DEP_4) | instskip(NEXT) | instid1(VALU_DEP_4)
	v_fma_f64 v[141:142], v[38:39], v[2:3], -v[135:136]
	v_fma_f64 v[143:144], v[40:41], v[2:3], v[4:5]
	ds_load_b128 v[2:5], v1 offset:832
	ds_load_b128 v[135:138], v1 offset:848
	scratch_load_b128 v[38:41], off, off offset:336
	v_fma_f64 v[44:45], v[44:45], v[6:7], v[139:140]
	v_fma_f64 v[42:43], v[42:43], v[6:7], -v[8:9]
	scratch_load_b128 v[6:9], off, off offset:352
	s_wait_loadcnt_dscnt 0xa01
	v_mul_f64_e32 v[145:146], v[2:3], v[12:13]
	v_mul_f64_e32 v[12:13], v[4:5], v[12:13]
	v_add_f64_e32 v[139:140], 0, v[141:142]
	v_add_f64_e32 v[141:142], 0, v[143:144]
	s_wait_loadcnt_dscnt 0x900
	v_mul_f64_e32 v[143:144], v[135:136], v[16:17]
	v_mul_f64_e32 v[16:17], v[137:138], v[16:17]
	v_fma_f64 v[145:146], v[4:5], v[10:11], v[145:146]
	v_fma_f64 v[147:148], v[2:3], v[10:11], -v[12:13]
	ds_load_b128 v[2:5], v1 offset:864
	scratch_load_b128 v[10:13], off, off offset:368
	v_add_f64_e32 v[139:140], v[139:140], v[42:43]
	v_add_f64_e32 v[141:142], v[141:142], v[44:45]
	ds_load_b128 v[42:45], v1 offset:880
	v_fma_f64 v[137:138], v[137:138], v[14:15], v[143:144]
	v_fma_f64 v[135:136], v[135:136], v[14:15], -v[16:17]
	scratch_load_b128 v[14:17], off, off offset:384
	s_wait_loadcnt_dscnt 0xa01
	v_mul_f64_e32 v[149:150], v[2:3], v[20:21]
	v_mul_f64_e32 v[20:21], v[4:5], v[20:21]
	s_wait_loadcnt_dscnt 0x900
	v_mul_f64_e32 v[143:144], v[42:43], v[24:25]
	v_mul_f64_e32 v[24:25], v[44:45], v[24:25]
	v_add_f64_e32 v[139:140], v[139:140], v[147:148]
	v_add_f64_e32 v[141:142], v[141:142], v[145:146]
	v_fma_f64 v[145:146], v[4:5], v[18:19], v[149:150]
	v_fma_f64 v[147:148], v[2:3], v[18:19], -v[20:21]
	ds_load_b128 v[2:5], v1 offset:896
	scratch_load_b128 v[18:21], off, off offset:400
	v_fma_f64 v[44:45], v[44:45], v[22:23], v[143:144]
	v_fma_f64 v[42:43], v[42:43], v[22:23], -v[24:25]
	scratch_load_b128 v[22:25], off, off offset:416
	v_add_f64_e32 v[139:140], v[139:140], v[135:136]
	v_add_f64_e32 v[141:142], v[141:142], v[137:138]
	ds_load_b128 v[135:138], v1 offset:912
	s_wait_loadcnt_dscnt 0xa01
	v_mul_f64_e32 v[149:150], v[2:3], v[28:29]
	v_mul_f64_e32 v[28:29], v[4:5], v[28:29]
	s_wait_loadcnt_dscnt 0x900
	v_mul_f64_e32 v[143:144], v[135:136], v[32:33]
	v_mul_f64_e32 v[32:33], v[137:138], v[32:33]
	v_add_f64_e32 v[139:140], v[139:140], v[147:148]
	v_add_f64_e32 v[141:142], v[141:142], v[145:146]
	v_fma_f64 v[145:146], v[4:5], v[26:27], v[149:150]
	v_fma_f64 v[147:148], v[2:3], v[26:27], -v[28:29]
	ds_load_b128 v[2:5], v1 offset:928
	scratch_load_b128 v[26:29], off, off offset:432
	v_fma_f64 v[137:138], v[137:138], v[30:31], v[143:144]
	v_fma_f64 v[135:136], v[135:136], v[30:31], -v[32:33]
	scratch_load_b128 v[30:33], off, off offset:448
	v_add_f64_e32 v[139:140], v[139:140], v[42:43]
	v_add_f64_e32 v[141:142], v[141:142], v[44:45]
	ds_load_b128 v[42:45], v1 offset:944
	s_wait_loadcnt_dscnt 0xa01
	v_mul_f64_e32 v[149:150], v[2:3], v[36:37]
	v_mul_f64_e32 v[36:37], v[4:5], v[36:37]
	s_wait_loadcnt_dscnt 0x800
	v_mul_f64_e32 v[143:144], v[42:43], v[133:134]
	v_add_f64_e32 v[139:140], v[139:140], v[147:148]
	v_add_f64_e32 v[141:142], v[141:142], v[145:146]
	v_mul_f64_e32 v[145:146], v[44:45], v[133:134]
	v_fma_f64 v[147:148], v[4:5], v[34:35], v[149:150]
	v_fma_f64 v[149:150], v[2:3], v[34:35], -v[36:37]
	ds_load_b128 v[2:5], v1 offset:960
	scratch_load_b128 v[34:37], off, off offset:464
	v_fma_f64 v[44:45], v[44:45], v[131:132], v[143:144]
	v_add_f64_e32 v[139:140], v[139:140], v[135:136]
	v_add_f64_e32 v[137:138], v[141:142], v[137:138]
	ds_load_b128 v[133:136], v1 offset:976
	v_fma_f64 v[131:132], v[42:43], v[131:132], -v[145:146]
	s_wait_loadcnt_dscnt 0x801
	v_mul_f64_e32 v[141:142], v[2:3], v[40:41]
	v_mul_f64_e32 v[151:152], v[4:5], v[40:41]
	scratch_load_b128 v[40:43], off, off offset:480
	s_wait_loadcnt_dscnt 0x800
	v_mul_f64_e32 v[145:146], v[133:134], v[8:9]
	v_mul_f64_e32 v[8:9], v[135:136], v[8:9]
	v_add_f64_e32 v[139:140], v[139:140], v[149:150]
	v_add_f64_e32 v[137:138], v[137:138], v[147:148]
	v_fma_f64 v[147:148], v[4:5], v[38:39], v[141:142]
	v_fma_f64 v[38:39], v[2:3], v[38:39], -v[151:152]
	ds_load_b128 v[2:5], v1 offset:992
	ds_load_b128 v[141:144], v1 offset:1008
	v_fma_f64 v[135:136], v[135:136], v[6:7], v[145:146]
	v_fma_f64 v[133:134], v[133:134], v[6:7], -v[8:9]
	scratch_load_b128 v[6:9], off, off offset:512
	v_add_f64_e32 v[131:132], v[139:140], v[131:132]
	v_add_f64_e32 v[44:45], v[137:138], v[44:45]
	scratch_load_b128 v[137:140], off, off offset:496
	s_wait_loadcnt_dscnt 0x901
	v_mul_f64_e32 v[149:150], v[2:3], v[12:13]
	v_mul_f64_e32 v[12:13], v[4:5], v[12:13]
	s_wait_loadcnt_dscnt 0x800
	v_mul_f64_e32 v[145:146], v[141:142], v[16:17]
	v_mul_f64_e32 v[16:17], v[143:144], v[16:17]
	v_add_f64_e32 v[38:39], v[131:132], v[38:39]
	v_add_f64_e32 v[44:45], v[44:45], v[147:148]
	v_fma_f64 v[147:148], v[4:5], v[10:11], v[149:150]
	v_fma_f64 v[149:150], v[2:3], v[10:11], -v[12:13]
	ds_load_b128 v[2:5], v1 offset:1024
	scratch_load_b128 v[10:13], off, off offset:528
	v_fma_f64 v[143:144], v[143:144], v[14:15], v[145:146]
	v_fma_f64 v[141:142], v[141:142], v[14:15], -v[16:17]
	scratch_load_b128 v[14:17], off, off offset:544
	v_add_f64_e32 v[38:39], v[38:39], v[133:134]
	v_add_f64_e32 v[44:45], v[44:45], v[135:136]
	ds_load_b128 v[131:134], v1 offset:1040
	s_wait_loadcnt_dscnt 0x901
	v_mul_f64_e32 v[135:136], v[2:3], v[20:21]
	v_mul_f64_e32 v[20:21], v[4:5], v[20:21]
	s_wait_loadcnt_dscnt 0x800
	v_mul_f64_e32 v[145:146], v[131:132], v[24:25]
	v_mul_f64_e32 v[24:25], v[133:134], v[24:25]
	v_add_f64_e32 v[38:39], v[38:39], v[149:150]
	v_add_f64_e32 v[44:45], v[44:45], v[147:148]
	v_fma_f64 v[135:136], v[4:5], v[18:19], v[135:136]
	v_fma_f64 v[147:148], v[2:3], v[18:19], -v[20:21]
	ds_load_b128 v[2:5], v1 offset:1056
	scratch_load_b128 v[18:21], off, off offset:560
	v_fma_f64 v[133:134], v[133:134], v[22:23], v[145:146]
	v_fma_f64 v[131:132], v[131:132], v[22:23], -v[24:25]
	scratch_load_b128 v[22:25], off, off offset:576
	v_add_f64_e32 v[38:39], v[38:39], v[141:142]
	v_add_f64_e32 v[44:45], v[44:45], v[143:144]
	ds_load_b128 v[141:144], v1 offset:1072
	s_wait_loadcnt_dscnt 0x901
	v_mul_f64_e32 v[149:150], v[2:3], v[28:29]
	v_mul_f64_e32 v[28:29], v[4:5], v[28:29]
	v_add_f64_e32 v[38:39], v[38:39], v[147:148]
	v_add_f64_e32 v[44:45], v[44:45], v[135:136]
	s_wait_loadcnt_dscnt 0x800
	v_mul_f64_e32 v[135:136], v[141:142], v[32:33]
	v_mul_f64_e32 v[32:33], v[143:144], v[32:33]
	v_fma_f64 v[145:146], v[4:5], v[26:27], v[149:150]
	v_fma_f64 v[147:148], v[2:3], v[26:27], -v[28:29]
	ds_load_b128 v[2:5], v1 offset:1088
	scratch_load_b128 v[26:29], off, off offset:592
	v_add_f64_e32 v[38:39], v[38:39], v[131:132]
	v_add_f64_e32 v[44:45], v[44:45], v[133:134]
	ds_load_b128 v[131:134], v1 offset:1104
	s_wait_loadcnt_dscnt 0x801
	v_mul_f64_e32 v[149:150], v[2:3], v[36:37]
	v_mul_f64_e32 v[36:37], v[4:5], v[36:37]
	v_fma_f64 v[135:136], v[143:144], v[30:31], v[135:136]
	v_fma_f64 v[141:142], v[141:142], v[30:31], -v[32:33]
	scratch_load_b128 v[30:33], off, off offset:608
	s_wait_loadcnt_dscnt 0x800
	v_mul_f64_e32 v[143:144], v[131:132], v[42:43]
	v_add_f64_e32 v[38:39], v[38:39], v[147:148]
	v_add_f64_e32 v[44:45], v[44:45], v[145:146]
	v_mul_f64_e32 v[145:146], v[133:134], v[42:43]
	v_fma_f64 v[147:148], v[4:5], v[34:35], v[149:150]
	v_fma_f64 v[149:150], v[2:3], v[34:35], -v[36:37]
	ds_load_b128 v[2:5], v1 offset:1120
	scratch_load_b128 v[34:37], off, off offset:624
	v_fma_f64 v[133:134], v[133:134], v[40:41], v[143:144]
	v_add_f64_e32 v[38:39], v[38:39], v[141:142]
	v_add_f64_e32 v[135:136], v[44:45], v[135:136]
	ds_load_b128 v[42:45], v1 offset:1136
	v_fma_f64 v[131:132], v[131:132], v[40:41], -v[145:146]
	s_wait_loadcnt_dscnt 0x701
	v_mul_f64_e32 v[141:142], v[2:3], v[139:140]
	v_mul_f64_e32 v[139:140], v[4:5], v[139:140]
	s_wait_dscnt 0x0
	v_mul_f64_e32 v[145:146], v[42:43], v[8:9]
	v_mul_f64_e32 v[8:9], v[44:45], v[8:9]
	v_add_f64_e32 v[143:144], v[38:39], v[149:150]
	v_add_f64_e32 v[135:136], v[135:136], v[147:148]
	scratch_load_b128 v[38:41], off, off offset:640
	v_fma_f64 v[141:142], v[4:5], v[137:138], v[141:142]
	v_fma_f64 v[137:138], v[2:3], v[137:138], -v[139:140]
	v_fma_f64 v[44:45], v[44:45], v[6:7], v[145:146]
	v_fma_f64 v[6:7], v[42:43], v[6:7], -v[8:9]
	v_add_f64_e32 v[139:140], v[143:144], v[131:132]
	v_add_f64_e32 v[135:136], v[135:136], v[133:134]
	ds_load_b128 v[2:5], v1 offset:1152
	ds_load_b128 v[131:134], v1 offset:1168
	s_wait_loadcnt_dscnt 0x701
	v_mul_f64_e32 v[143:144], v[2:3], v[12:13]
	v_mul_f64_e32 v[12:13], v[4:5], v[12:13]
	v_add_f64_e32 v[8:9], v[139:140], v[137:138]
	v_add_f64_e32 v[42:43], v[135:136], v[141:142]
	s_wait_loadcnt_dscnt 0x600
	v_mul_f64_e32 v[135:136], v[131:132], v[16:17]
	v_mul_f64_e32 v[16:17], v[133:134], v[16:17]
	v_fma_f64 v[137:138], v[4:5], v[10:11], v[143:144]
	v_fma_f64 v[10:11], v[2:3], v[10:11], -v[12:13]
	v_add_f64_e32 v[12:13], v[8:9], v[6:7]
	v_add_f64_e32 v[42:43], v[42:43], v[44:45]
	ds_load_b128 v[2:5], v1 offset:1184
	ds_load_b128 v[6:9], v1 offset:1200
	v_fma_f64 v[133:134], v[133:134], v[14:15], v[135:136]
	v_fma_f64 v[14:15], v[131:132], v[14:15], -v[16:17]
	s_wait_loadcnt_dscnt 0x501
	v_mul_f64_e32 v[44:45], v[2:3], v[20:21]
	v_mul_f64_e32 v[20:21], v[4:5], v[20:21]
	s_wait_loadcnt_dscnt 0x400
	v_mul_f64_e32 v[16:17], v[6:7], v[24:25]
	v_mul_f64_e32 v[24:25], v[8:9], v[24:25]
	v_add_f64_e32 v[10:11], v[12:13], v[10:11]
	v_add_f64_e32 v[12:13], v[42:43], v[137:138]
	v_fma_f64 v[42:43], v[4:5], v[18:19], v[44:45]
	v_fma_f64 v[18:19], v[2:3], v[18:19], -v[20:21]
	v_fma_f64 v[8:9], v[8:9], v[22:23], v[16:17]
	v_fma_f64 v[6:7], v[6:7], v[22:23], -v[24:25]
	v_add_f64_e32 v[14:15], v[10:11], v[14:15]
	v_add_f64_e32 v[20:21], v[12:13], v[133:134]
	ds_load_b128 v[2:5], v1 offset:1216
	ds_load_b128 v[10:13], v1 offset:1232
	s_wait_loadcnt_dscnt 0x301
	v_mul_f64_e32 v[44:45], v[2:3], v[28:29]
	v_mul_f64_e32 v[28:29], v[4:5], v[28:29]
	v_add_f64_e32 v[14:15], v[14:15], v[18:19]
	v_add_f64_e32 v[16:17], v[20:21], v[42:43]
	s_wait_loadcnt_dscnt 0x200
	v_mul_f64_e32 v[18:19], v[10:11], v[32:33]
	v_mul_f64_e32 v[20:21], v[12:13], v[32:33]
	v_fma_f64 v[22:23], v[4:5], v[26:27], v[44:45]
	v_fma_f64 v[24:25], v[2:3], v[26:27], -v[28:29]
	v_add_f64_e32 v[14:15], v[14:15], v[6:7]
	v_add_f64_e32 v[16:17], v[16:17], v[8:9]
	ds_load_b128 v[2:5], v1 offset:1248
	ds_load_b128 v[6:9], v1 offset:1264
	v_fma_f64 v[12:13], v[12:13], v[30:31], v[18:19]
	v_fma_f64 v[10:11], v[10:11], v[30:31], -v[20:21]
	s_wait_loadcnt_dscnt 0x101
	v_mul_f64_e32 v[26:27], v[2:3], v[36:37]
	v_mul_f64_e32 v[28:29], v[4:5], v[36:37]
	v_add_f64_e32 v[14:15], v[14:15], v[24:25]
	v_add_f64_e32 v[16:17], v[16:17], v[22:23]
	s_wait_loadcnt_dscnt 0x0
	v_mul_f64_e32 v[18:19], v[6:7], v[40:41]
	v_mul_f64_e32 v[20:21], v[8:9], v[40:41]
	v_fma_f64 v[4:5], v[4:5], v[34:35], v[26:27]
	v_fma_f64 v[1:2], v[2:3], v[34:35], -v[28:29]
	v_add_f64_e32 v[10:11], v[14:15], v[10:11]
	v_add_f64_e32 v[12:13], v[16:17], v[12:13]
	v_fma_f64 v[8:9], v[8:9], v[38:39], v[18:19]
	v_fma_f64 v[6:7], v[6:7], v[38:39], -v[20:21]
	s_delay_alu instid0(VALU_DEP_4) | instskip(NEXT) | instid1(VALU_DEP_4)
	v_add_f64_e32 v[1:2], v[10:11], v[1:2]
	v_add_f64_e32 v[3:4], v[12:13], v[4:5]
	s_delay_alu instid0(VALU_DEP_2) | instskip(NEXT) | instid1(VALU_DEP_2)
	v_add_f64_e32 v[1:2], v[1:2], v[6:7]
	v_add_f64_e32 v[3:4], v[3:4], v[8:9]
	s_delay_alu instid0(VALU_DEP_2) | instskip(NEXT) | instid1(VALU_DEP_2)
	v_add_f64_e64 v[1:2], v[127:128], -v[1:2]
	v_add_f64_e64 v[3:4], v[129:130], -v[3:4]
	scratch_store_b128 off, v[1:4], off offset:160
	v_cmpx_lt_u32_e32 8, v0
	s_cbranch_execz .LBB103_237
; %bb.236:
	scratch_load_b128 v[1:4], off, s30
	v_mov_b32_e32 v5, 0
	s_delay_alu instid0(VALU_DEP_1)
	v_dual_mov_b32 v6, v5 :: v_dual_mov_b32 v7, v5
	v_mov_b32_e32 v8, v5
	scratch_store_b128 off, v[5:8], off offset:144
	s_wait_loadcnt 0x0
	ds_store_b128 v126, v[1:4]
.LBB103_237:
	s_wait_alu 0xfffe
	s_or_b32 exec_lo, exec_lo, s0
	s_wait_storecnt_dscnt 0x0
	s_barrier_signal -1
	s_barrier_wait -1
	global_inv scope:SCOPE_SE
	s_clause 0x7
	scratch_load_b128 v[2:5], off, off offset:160
	scratch_load_b128 v[6:9], off, off offset:176
	;; [unrolled: 1-line block ×8, first 2 shown]
	v_mov_b32_e32 v1, 0
	s_mov_b32 s0, exec_lo
	ds_load_b128 v[34:37], v1 offset:784
	s_clause 0x1
	scratch_load_b128 v[38:41], off, off offset:288
	scratch_load_b128 v[42:45], off, off offset:144
	ds_load_b128 v[127:130], v1 offset:800
	scratch_load_b128 v[131:134], off, off offset:304
	s_wait_loadcnt_dscnt 0xa01
	v_mul_f64_e32 v[135:136], v[36:37], v[4:5]
	v_mul_f64_e32 v[4:5], v[34:35], v[4:5]
	s_delay_alu instid0(VALU_DEP_2) | instskip(NEXT) | instid1(VALU_DEP_2)
	v_fma_f64 v[141:142], v[34:35], v[2:3], -v[135:136]
	v_fma_f64 v[143:144], v[36:37], v[2:3], v[4:5]
	ds_load_b128 v[2:5], v1 offset:816
	s_wait_loadcnt_dscnt 0x901
	v_mul_f64_e32 v[139:140], v[127:128], v[8:9]
	v_mul_f64_e32 v[8:9], v[129:130], v[8:9]
	scratch_load_b128 v[34:37], off, off offset:320
	ds_load_b128 v[135:138], v1 offset:832
	s_wait_loadcnt_dscnt 0x901
	v_mul_f64_e32 v[145:146], v[2:3], v[12:13]
	v_mul_f64_e32 v[12:13], v[4:5], v[12:13]
	v_fma_f64 v[129:130], v[129:130], v[6:7], v[139:140]
	v_fma_f64 v[127:128], v[127:128], v[6:7], -v[8:9]
	v_add_f64_e32 v[139:140], 0, v[141:142]
	v_add_f64_e32 v[141:142], 0, v[143:144]
	scratch_load_b128 v[6:9], off, off offset:336
	v_fma_f64 v[145:146], v[4:5], v[10:11], v[145:146]
	v_fma_f64 v[147:148], v[2:3], v[10:11], -v[12:13]
	ds_load_b128 v[2:5], v1 offset:848
	s_wait_loadcnt_dscnt 0x901
	v_mul_f64_e32 v[143:144], v[135:136], v[16:17]
	v_mul_f64_e32 v[16:17], v[137:138], v[16:17]
	scratch_load_b128 v[10:13], off, off offset:352
	v_add_f64_e32 v[139:140], v[139:140], v[127:128]
	v_add_f64_e32 v[141:142], v[141:142], v[129:130]
	s_wait_loadcnt_dscnt 0x900
	v_mul_f64_e32 v[149:150], v[2:3], v[20:21]
	v_mul_f64_e32 v[20:21], v[4:5], v[20:21]
	ds_load_b128 v[127:130], v1 offset:864
	v_fma_f64 v[137:138], v[137:138], v[14:15], v[143:144]
	v_fma_f64 v[135:136], v[135:136], v[14:15], -v[16:17]
	scratch_load_b128 v[14:17], off, off offset:368
	v_add_f64_e32 v[139:140], v[139:140], v[147:148]
	v_add_f64_e32 v[141:142], v[141:142], v[145:146]
	v_fma_f64 v[145:146], v[4:5], v[18:19], v[149:150]
	v_fma_f64 v[147:148], v[2:3], v[18:19], -v[20:21]
	ds_load_b128 v[2:5], v1 offset:880
	s_wait_loadcnt_dscnt 0x901
	v_mul_f64_e32 v[143:144], v[127:128], v[24:25]
	v_mul_f64_e32 v[24:25], v[129:130], v[24:25]
	scratch_load_b128 v[18:21], off, off offset:384
	s_wait_loadcnt_dscnt 0x900
	v_mul_f64_e32 v[149:150], v[2:3], v[28:29]
	v_mul_f64_e32 v[28:29], v[4:5], v[28:29]
	v_add_f64_e32 v[139:140], v[139:140], v[135:136]
	v_add_f64_e32 v[141:142], v[141:142], v[137:138]
	ds_load_b128 v[135:138], v1 offset:896
	v_fma_f64 v[129:130], v[129:130], v[22:23], v[143:144]
	v_fma_f64 v[127:128], v[127:128], v[22:23], -v[24:25]
	scratch_load_b128 v[22:25], off, off offset:400
	v_add_f64_e32 v[139:140], v[139:140], v[147:148]
	v_add_f64_e32 v[141:142], v[141:142], v[145:146]
	v_fma_f64 v[145:146], v[4:5], v[26:27], v[149:150]
	v_fma_f64 v[147:148], v[2:3], v[26:27], -v[28:29]
	ds_load_b128 v[2:5], v1 offset:912
	s_wait_loadcnt_dscnt 0x901
	v_mul_f64_e32 v[143:144], v[135:136], v[32:33]
	v_mul_f64_e32 v[32:33], v[137:138], v[32:33]
	scratch_load_b128 v[26:29], off, off offset:416
	s_wait_loadcnt_dscnt 0x900
	v_mul_f64_e32 v[149:150], v[2:3], v[40:41]
	v_mul_f64_e32 v[40:41], v[4:5], v[40:41]
	v_add_f64_e32 v[139:140], v[139:140], v[127:128]
	v_add_f64_e32 v[141:142], v[141:142], v[129:130]
	ds_load_b128 v[127:130], v1 offset:928
	v_fma_f64 v[137:138], v[137:138], v[30:31], v[143:144]
	v_fma_f64 v[135:136], v[135:136], v[30:31], -v[32:33]
	scratch_load_b128 v[30:33], off, off offset:432
	v_add_f64_e32 v[139:140], v[139:140], v[147:148]
	v_add_f64_e32 v[141:142], v[141:142], v[145:146]
	v_fma_f64 v[147:148], v[4:5], v[38:39], v[149:150]
	v_fma_f64 v[149:150], v[2:3], v[38:39], -v[40:41]
	ds_load_b128 v[2:5], v1 offset:944
	s_wait_loadcnt_dscnt 0x801
	v_mul_f64_e32 v[143:144], v[127:128], v[133:134]
	v_mul_f64_e32 v[145:146], v[129:130], v[133:134]
	scratch_load_b128 v[38:41], off, off offset:448
	v_add_f64_e32 v[139:140], v[139:140], v[135:136]
	v_add_f64_e32 v[137:138], v[141:142], v[137:138]
	ds_load_b128 v[133:136], v1 offset:960
	v_fma_f64 v[143:144], v[129:130], v[131:132], v[143:144]
	v_fma_f64 v[131:132], v[127:128], v[131:132], -v[145:146]
	scratch_load_b128 v[127:130], off, off offset:464
	s_wait_loadcnt_dscnt 0x901
	v_mul_f64_e32 v[141:142], v[2:3], v[36:37]
	v_mul_f64_e32 v[36:37], v[4:5], v[36:37]
	v_add_f64_e32 v[139:140], v[139:140], v[149:150]
	v_add_f64_e32 v[137:138], v[137:138], v[147:148]
	s_delay_alu instid0(VALU_DEP_4) | instskip(NEXT) | instid1(VALU_DEP_4)
	v_fma_f64 v[141:142], v[4:5], v[34:35], v[141:142]
	v_fma_f64 v[147:148], v[2:3], v[34:35], -v[36:37]
	ds_load_b128 v[2:5], v1 offset:976
	s_wait_loadcnt_dscnt 0x801
	v_mul_f64_e32 v[145:146], v[133:134], v[8:9]
	v_mul_f64_e32 v[8:9], v[135:136], v[8:9]
	scratch_load_b128 v[34:37], off, off offset:480
	s_wait_loadcnt_dscnt 0x800
	v_mul_f64_e32 v[149:150], v[2:3], v[12:13]
	v_add_f64_e32 v[131:132], v[139:140], v[131:132]
	v_add_f64_e32 v[143:144], v[137:138], v[143:144]
	v_mul_f64_e32 v[12:13], v[4:5], v[12:13]
	ds_load_b128 v[137:140], v1 offset:992
	v_fma_f64 v[135:136], v[135:136], v[6:7], v[145:146]
	v_fma_f64 v[133:134], v[133:134], v[6:7], -v[8:9]
	scratch_load_b128 v[6:9], off, off offset:496
	v_fma_f64 v[145:146], v[4:5], v[10:11], v[149:150]
	v_add_f64_e32 v[131:132], v[131:132], v[147:148]
	v_add_f64_e32 v[141:142], v[143:144], v[141:142]
	v_fma_f64 v[147:148], v[2:3], v[10:11], -v[12:13]
	ds_load_b128 v[2:5], v1 offset:1008
	s_wait_loadcnt_dscnt 0x801
	v_mul_f64_e32 v[143:144], v[137:138], v[16:17]
	v_mul_f64_e32 v[16:17], v[139:140], v[16:17]
	scratch_load_b128 v[10:13], off, off offset:512
	v_add_f64_e32 v[149:150], v[131:132], v[133:134]
	v_add_f64_e32 v[135:136], v[141:142], v[135:136]
	s_wait_loadcnt_dscnt 0x800
	v_mul_f64_e32 v[141:142], v[2:3], v[20:21]
	v_mul_f64_e32 v[20:21], v[4:5], v[20:21]
	v_fma_f64 v[139:140], v[139:140], v[14:15], v[143:144]
	v_fma_f64 v[137:138], v[137:138], v[14:15], -v[16:17]
	ds_load_b128 v[131:134], v1 offset:1024
	scratch_load_b128 v[14:17], off, off offset:528
	v_add_f64_e32 v[143:144], v[149:150], v[147:148]
	v_add_f64_e32 v[135:136], v[135:136], v[145:146]
	v_fma_f64 v[141:142], v[4:5], v[18:19], v[141:142]
	v_fma_f64 v[147:148], v[2:3], v[18:19], -v[20:21]
	ds_load_b128 v[2:5], v1 offset:1040
	s_wait_loadcnt_dscnt 0x801
	v_mul_f64_e32 v[145:146], v[131:132], v[24:25]
	v_mul_f64_e32 v[24:25], v[133:134], v[24:25]
	scratch_load_b128 v[18:21], off, off offset:544
	s_wait_loadcnt_dscnt 0x800
	v_mul_f64_e32 v[149:150], v[2:3], v[28:29]
	v_mul_f64_e32 v[28:29], v[4:5], v[28:29]
	v_add_f64_e32 v[143:144], v[143:144], v[137:138]
	v_add_f64_e32 v[139:140], v[135:136], v[139:140]
	ds_load_b128 v[135:138], v1 offset:1056
	v_fma_f64 v[133:134], v[133:134], v[22:23], v[145:146]
	v_fma_f64 v[131:132], v[131:132], v[22:23], -v[24:25]
	scratch_load_b128 v[22:25], off, off offset:560
	v_fma_f64 v[145:146], v[4:5], v[26:27], v[149:150]
	v_add_f64_e32 v[143:144], v[143:144], v[147:148]
	v_add_f64_e32 v[139:140], v[139:140], v[141:142]
	v_fma_f64 v[147:148], v[2:3], v[26:27], -v[28:29]
	ds_load_b128 v[2:5], v1 offset:1072
	s_wait_loadcnt_dscnt 0x801
	v_mul_f64_e32 v[141:142], v[135:136], v[32:33]
	v_mul_f64_e32 v[32:33], v[137:138], v[32:33]
	scratch_load_b128 v[26:29], off, off offset:576
	s_wait_loadcnt_dscnt 0x800
	v_mul_f64_e32 v[149:150], v[2:3], v[40:41]
	v_mul_f64_e32 v[40:41], v[4:5], v[40:41]
	v_add_f64_e32 v[143:144], v[143:144], v[131:132]
	v_add_f64_e32 v[139:140], v[139:140], v[133:134]
	ds_load_b128 v[131:134], v1 offset:1088
	v_fma_f64 v[137:138], v[137:138], v[30:31], v[141:142]
	v_fma_f64 v[135:136], v[135:136], v[30:31], -v[32:33]
	scratch_load_b128 v[30:33], off, off offset:592
	v_add_f64_e32 v[141:142], v[143:144], v[147:148]
	v_add_f64_e32 v[139:140], v[139:140], v[145:146]
	v_fma_f64 v[145:146], v[4:5], v[38:39], v[149:150]
	v_fma_f64 v[147:148], v[2:3], v[38:39], -v[40:41]
	ds_load_b128 v[2:5], v1 offset:1104
	s_wait_loadcnt_dscnt 0x801
	v_mul_f64_e32 v[143:144], v[131:132], v[129:130]
	v_mul_f64_e32 v[129:130], v[133:134], v[129:130]
	scratch_load_b128 v[38:41], off, off offset:608
	s_wait_loadcnt_dscnt 0x800
	v_mul_f64_e32 v[149:150], v[2:3], v[36:37]
	v_mul_f64_e32 v[36:37], v[4:5], v[36:37]
	v_add_f64_e32 v[141:142], v[141:142], v[135:136]
	v_add_f64_e32 v[139:140], v[139:140], v[137:138]
	ds_load_b128 v[135:138], v1 offset:1120
	v_fma_f64 v[133:134], v[133:134], v[127:128], v[143:144]
	v_fma_f64 v[131:132], v[131:132], v[127:128], -v[129:130]
	scratch_load_b128 v[127:130], off, off offset:624
	v_add_f64_e32 v[141:142], v[141:142], v[147:148]
	v_add_f64_e32 v[139:140], v[139:140], v[145:146]
	v_fma_f64 v[145:146], v[4:5], v[34:35], v[149:150]
	v_fma_f64 v[147:148], v[2:3], v[34:35], -v[36:37]
	ds_load_b128 v[2:5], v1 offset:1136
	s_wait_loadcnt_dscnt 0x801
	v_mul_f64_e32 v[143:144], v[135:136], v[8:9]
	v_mul_f64_e32 v[8:9], v[137:138], v[8:9]
	scratch_load_b128 v[34:37], off, off offset:640
	s_wait_loadcnt_dscnt 0x800
	v_mul_f64_e32 v[149:150], v[2:3], v[12:13]
	v_mul_f64_e32 v[12:13], v[4:5], v[12:13]
	v_add_f64_e32 v[141:142], v[141:142], v[131:132]
	v_add_f64_e32 v[139:140], v[139:140], v[133:134]
	ds_load_b128 v[131:134], v1 offset:1152
	v_fma_f64 v[137:138], v[137:138], v[6:7], v[143:144]
	v_fma_f64 v[6:7], v[135:136], v[6:7], -v[8:9]
	v_add_f64_e32 v[8:9], v[141:142], v[147:148]
	v_add_f64_e32 v[135:136], v[139:140], v[145:146]
	s_wait_loadcnt_dscnt 0x700
	v_mul_f64_e32 v[139:140], v[131:132], v[16:17]
	v_mul_f64_e32 v[16:17], v[133:134], v[16:17]
	v_fma_f64 v[141:142], v[4:5], v[10:11], v[149:150]
	v_fma_f64 v[10:11], v[2:3], v[10:11], -v[12:13]
	v_add_f64_e32 v[12:13], v[8:9], v[6:7]
	v_add_f64_e32 v[135:136], v[135:136], v[137:138]
	ds_load_b128 v[2:5], v1 offset:1168
	ds_load_b128 v[6:9], v1 offset:1184
	v_fma_f64 v[133:134], v[133:134], v[14:15], v[139:140]
	v_fma_f64 v[14:15], v[131:132], v[14:15], -v[16:17]
	s_wait_loadcnt_dscnt 0x601
	v_mul_f64_e32 v[137:138], v[2:3], v[20:21]
	v_mul_f64_e32 v[20:21], v[4:5], v[20:21]
	s_wait_loadcnt_dscnt 0x500
	v_mul_f64_e32 v[16:17], v[6:7], v[24:25]
	v_mul_f64_e32 v[24:25], v[8:9], v[24:25]
	v_add_f64_e32 v[10:11], v[12:13], v[10:11]
	v_add_f64_e32 v[12:13], v[135:136], v[141:142]
	v_fma_f64 v[131:132], v[4:5], v[18:19], v[137:138]
	v_fma_f64 v[18:19], v[2:3], v[18:19], -v[20:21]
	v_fma_f64 v[8:9], v[8:9], v[22:23], v[16:17]
	v_fma_f64 v[6:7], v[6:7], v[22:23], -v[24:25]
	v_add_f64_e32 v[14:15], v[10:11], v[14:15]
	v_add_f64_e32 v[20:21], v[12:13], v[133:134]
	ds_load_b128 v[2:5], v1 offset:1200
	ds_load_b128 v[10:13], v1 offset:1216
	s_wait_loadcnt_dscnt 0x401
	v_mul_f64_e32 v[133:134], v[2:3], v[28:29]
	v_mul_f64_e32 v[28:29], v[4:5], v[28:29]
	v_add_f64_e32 v[14:15], v[14:15], v[18:19]
	v_add_f64_e32 v[16:17], v[20:21], v[131:132]
	s_wait_loadcnt_dscnt 0x300
	v_mul_f64_e32 v[18:19], v[10:11], v[32:33]
	v_mul_f64_e32 v[20:21], v[12:13], v[32:33]
	v_fma_f64 v[22:23], v[4:5], v[26:27], v[133:134]
	v_fma_f64 v[24:25], v[2:3], v[26:27], -v[28:29]
	v_add_f64_e32 v[14:15], v[14:15], v[6:7]
	v_add_f64_e32 v[16:17], v[16:17], v[8:9]
	ds_load_b128 v[2:5], v1 offset:1232
	ds_load_b128 v[6:9], v1 offset:1248
	v_fma_f64 v[12:13], v[12:13], v[30:31], v[18:19]
	v_fma_f64 v[10:11], v[10:11], v[30:31], -v[20:21]
	s_wait_loadcnt_dscnt 0x201
	v_mul_f64_e32 v[26:27], v[2:3], v[40:41]
	v_mul_f64_e32 v[28:29], v[4:5], v[40:41]
	s_wait_loadcnt_dscnt 0x100
	v_mul_f64_e32 v[18:19], v[6:7], v[129:130]
	v_mul_f64_e32 v[20:21], v[8:9], v[129:130]
	v_add_f64_e32 v[14:15], v[14:15], v[24:25]
	v_add_f64_e32 v[16:17], v[16:17], v[22:23]
	v_fma_f64 v[22:23], v[4:5], v[38:39], v[26:27]
	v_fma_f64 v[24:25], v[2:3], v[38:39], -v[28:29]
	ds_load_b128 v[2:5], v1 offset:1264
	v_fma_f64 v[8:9], v[8:9], v[127:128], v[18:19]
	v_fma_f64 v[6:7], v[6:7], v[127:128], -v[20:21]
	v_add_f64_e32 v[10:11], v[14:15], v[10:11]
	v_add_f64_e32 v[12:13], v[16:17], v[12:13]
	s_wait_loadcnt_dscnt 0x0
	v_mul_f64_e32 v[14:15], v[2:3], v[36:37]
	v_mul_f64_e32 v[16:17], v[4:5], v[36:37]
	s_delay_alu instid0(VALU_DEP_4) | instskip(NEXT) | instid1(VALU_DEP_4)
	v_add_f64_e32 v[10:11], v[10:11], v[24:25]
	v_add_f64_e32 v[12:13], v[12:13], v[22:23]
	s_delay_alu instid0(VALU_DEP_4) | instskip(NEXT) | instid1(VALU_DEP_4)
	v_fma_f64 v[4:5], v[4:5], v[34:35], v[14:15]
	v_fma_f64 v[2:3], v[2:3], v[34:35], -v[16:17]
	s_delay_alu instid0(VALU_DEP_4) | instskip(NEXT) | instid1(VALU_DEP_4)
	v_add_f64_e32 v[6:7], v[10:11], v[6:7]
	v_add_f64_e32 v[8:9], v[12:13], v[8:9]
	s_delay_alu instid0(VALU_DEP_2) | instskip(NEXT) | instid1(VALU_DEP_2)
	v_add_f64_e32 v[2:3], v[6:7], v[2:3]
	v_add_f64_e32 v[4:5], v[8:9], v[4:5]
	s_delay_alu instid0(VALU_DEP_2) | instskip(NEXT) | instid1(VALU_DEP_2)
	v_add_f64_e64 v[2:3], v[42:43], -v[2:3]
	v_add_f64_e64 v[4:5], v[44:45], -v[4:5]
	scratch_store_b128 off, v[2:5], off offset:144
	v_cmpx_lt_u32_e32 7, v0
	s_cbranch_execz .LBB103_239
; %bb.238:
	scratch_load_b128 v[5:8], off, s5
	v_dual_mov_b32 v2, v1 :: v_dual_mov_b32 v3, v1
	v_mov_b32_e32 v4, v1
	scratch_store_b128 off, v[1:4], off offset:128
	s_wait_loadcnt 0x0
	ds_store_b128 v126, v[5:8]
.LBB103_239:
	s_wait_alu 0xfffe
	s_or_b32 exec_lo, exec_lo, s0
	s_wait_storecnt_dscnt 0x0
	s_barrier_signal -1
	s_barrier_wait -1
	global_inv scope:SCOPE_SE
	s_clause 0x8
	scratch_load_b128 v[2:5], off, off offset:144
	scratch_load_b128 v[6:9], off, off offset:160
	;; [unrolled: 1-line block ×9, first 2 shown]
	ds_load_b128 v[38:41], v1 offset:768
	ds_load_b128 v[42:45], v1 offset:784
	s_clause 0x1
	scratch_load_b128 v[127:130], off, off offset:128
	scratch_load_b128 v[131:134], off, off offset:288
	s_mov_b32 s0, exec_lo
	s_wait_loadcnt_dscnt 0xa01
	v_mul_f64_e32 v[135:136], v[40:41], v[4:5]
	v_mul_f64_e32 v[4:5], v[38:39], v[4:5]
	s_wait_loadcnt_dscnt 0x900
	v_mul_f64_e32 v[139:140], v[42:43], v[8:9]
	v_mul_f64_e32 v[8:9], v[44:45], v[8:9]
	s_delay_alu instid0(VALU_DEP_4) | instskip(NEXT) | instid1(VALU_DEP_4)
	v_fma_f64 v[141:142], v[38:39], v[2:3], -v[135:136]
	v_fma_f64 v[143:144], v[40:41], v[2:3], v[4:5]
	ds_load_b128 v[2:5], v1 offset:800
	ds_load_b128 v[135:138], v1 offset:816
	scratch_load_b128 v[38:41], off, off offset:304
	v_fma_f64 v[44:45], v[44:45], v[6:7], v[139:140]
	v_fma_f64 v[42:43], v[42:43], v[6:7], -v[8:9]
	scratch_load_b128 v[6:9], off, off offset:320
	s_wait_loadcnt_dscnt 0xa01
	v_mul_f64_e32 v[145:146], v[2:3], v[12:13]
	v_mul_f64_e32 v[12:13], v[4:5], v[12:13]
	v_add_f64_e32 v[139:140], 0, v[141:142]
	v_add_f64_e32 v[141:142], 0, v[143:144]
	s_wait_loadcnt_dscnt 0x900
	v_mul_f64_e32 v[143:144], v[135:136], v[16:17]
	v_mul_f64_e32 v[16:17], v[137:138], v[16:17]
	v_fma_f64 v[145:146], v[4:5], v[10:11], v[145:146]
	v_fma_f64 v[147:148], v[2:3], v[10:11], -v[12:13]
	ds_load_b128 v[2:5], v1 offset:832
	scratch_load_b128 v[10:13], off, off offset:336
	v_add_f64_e32 v[139:140], v[139:140], v[42:43]
	v_add_f64_e32 v[141:142], v[141:142], v[44:45]
	ds_load_b128 v[42:45], v1 offset:848
	v_fma_f64 v[137:138], v[137:138], v[14:15], v[143:144]
	v_fma_f64 v[135:136], v[135:136], v[14:15], -v[16:17]
	scratch_load_b128 v[14:17], off, off offset:352
	s_wait_loadcnt_dscnt 0xa01
	v_mul_f64_e32 v[149:150], v[2:3], v[20:21]
	v_mul_f64_e32 v[20:21], v[4:5], v[20:21]
	s_wait_loadcnt_dscnt 0x900
	v_mul_f64_e32 v[143:144], v[42:43], v[24:25]
	v_mul_f64_e32 v[24:25], v[44:45], v[24:25]
	v_add_f64_e32 v[139:140], v[139:140], v[147:148]
	v_add_f64_e32 v[141:142], v[141:142], v[145:146]
	v_fma_f64 v[145:146], v[4:5], v[18:19], v[149:150]
	v_fma_f64 v[147:148], v[2:3], v[18:19], -v[20:21]
	ds_load_b128 v[2:5], v1 offset:864
	scratch_load_b128 v[18:21], off, off offset:368
	v_fma_f64 v[44:45], v[44:45], v[22:23], v[143:144]
	v_fma_f64 v[42:43], v[42:43], v[22:23], -v[24:25]
	scratch_load_b128 v[22:25], off, off offset:384
	v_add_f64_e32 v[139:140], v[139:140], v[135:136]
	v_add_f64_e32 v[141:142], v[141:142], v[137:138]
	ds_load_b128 v[135:138], v1 offset:880
	s_wait_loadcnt_dscnt 0xa01
	v_mul_f64_e32 v[149:150], v[2:3], v[28:29]
	v_mul_f64_e32 v[28:29], v[4:5], v[28:29]
	s_wait_loadcnt_dscnt 0x900
	v_mul_f64_e32 v[143:144], v[135:136], v[32:33]
	v_mul_f64_e32 v[32:33], v[137:138], v[32:33]
	v_add_f64_e32 v[139:140], v[139:140], v[147:148]
	v_add_f64_e32 v[141:142], v[141:142], v[145:146]
	v_fma_f64 v[145:146], v[4:5], v[26:27], v[149:150]
	v_fma_f64 v[147:148], v[2:3], v[26:27], -v[28:29]
	ds_load_b128 v[2:5], v1 offset:896
	scratch_load_b128 v[26:29], off, off offset:400
	v_fma_f64 v[137:138], v[137:138], v[30:31], v[143:144]
	v_fma_f64 v[135:136], v[135:136], v[30:31], -v[32:33]
	scratch_load_b128 v[30:33], off, off offset:416
	v_add_f64_e32 v[139:140], v[139:140], v[42:43]
	v_add_f64_e32 v[141:142], v[141:142], v[44:45]
	ds_load_b128 v[42:45], v1 offset:912
	s_wait_loadcnt_dscnt 0xa01
	v_mul_f64_e32 v[149:150], v[2:3], v[36:37]
	v_mul_f64_e32 v[36:37], v[4:5], v[36:37]
	s_wait_loadcnt_dscnt 0x800
	v_mul_f64_e32 v[143:144], v[42:43], v[133:134]
	v_add_f64_e32 v[139:140], v[139:140], v[147:148]
	v_add_f64_e32 v[141:142], v[141:142], v[145:146]
	v_mul_f64_e32 v[145:146], v[44:45], v[133:134]
	v_fma_f64 v[147:148], v[4:5], v[34:35], v[149:150]
	v_fma_f64 v[149:150], v[2:3], v[34:35], -v[36:37]
	ds_load_b128 v[2:5], v1 offset:928
	scratch_load_b128 v[34:37], off, off offset:432
	v_fma_f64 v[44:45], v[44:45], v[131:132], v[143:144]
	v_add_f64_e32 v[139:140], v[139:140], v[135:136]
	v_add_f64_e32 v[137:138], v[141:142], v[137:138]
	ds_load_b128 v[133:136], v1 offset:944
	v_fma_f64 v[131:132], v[42:43], v[131:132], -v[145:146]
	s_wait_loadcnt_dscnt 0x801
	v_mul_f64_e32 v[141:142], v[2:3], v[40:41]
	v_mul_f64_e32 v[151:152], v[4:5], v[40:41]
	scratch_load_b128 v[40:43], off, off offset:448
	s_wait_loadcnt_dscnt 0x800
	v_mul_f64_e32 v[145:146], v[133:134], v[8:9]
	v_mul_f64_e32 v[8:9], v[135:136], v[8:9]
	v_add_f64_e32 v[139:140], v[139:140], v[149:150]
	v_add_f64_e32 v[137:138], v[137:138], v[147:148]
	v_fma_f64 v[147:148], v[4:5], v[38:39], v[141:142]
	v_fma_f64 v[38:39], v[2:3], v[38:39], -v[151:152]
	ds_load_b128 v[2:5], v1 offset:960
	ds_load_b128 v[141:144], v1 offset:976
	v_fma_f64 v[135:136], v[135:136], v[6:7], v[145:146]
	v_fma_f64 v[133:134], v[133:134], v[6:7], -v[8:9]
	scratch_load_b128 v[6:9], off, off offset:480
	v_add_f64_e32 v[131:132], v[139:140], v[131:132]
	v_add_f64_e32 v[44:45], v[137:138], v[44:45]
	scratch_load_b128 v[137:140], off, off offset:464
	s_wait_loadcnt_dscnt 0x901
	v_mul_f64_e32 v[149:150], v[2:3], v[12:13]
	v_mul_f64_e32 v[12:13], v[4:5], v[12:13]
	s_wait_loadcnt_dscnt 0x800
	v_mul_f64_e32 v[145:146], v[141:142], v[16:17]
	v_mul_f64_e32 v[16:17], v[143:144], v[16:17]
	v_add_f64_e32 v[38:39], v[131:132], v[38:39]
	v_add_f64_e32 v[44:45], v[44:45], v[147:148]
	v_fma_f64 v[147:148], v[4:5], v[10:11], v[149:150]
	v_fma_f64 v[149:150], v[2:3], v[10:11], -v[12:13]
	ds_load_b128 v[2:5], v1 offset:992
	scratch_load_b128 v[10:13], off, off offset:496
	v_fma_f64 v[143:144], v[143:144], v[14:15], v[145:146]
	v_fma_f64 v[141:142], v[141:142], v[14:15], -v[16:17]
	scratch_load_b128 v[14:17], off, off offset:512
	v_add_f64_e32 v[38:39], v[38:39], v[133:134]
	v_add_f64_e32 v[44:45], v[44:45], v[135:136]
	ds_load_b128 v[131:134], v1 offset:1008
	s_wait_loadcnt_dscnt 0x901
	v_mul_f64_e32 v[135:136], v[2:3], v[20:21]
	v_mul_f64_e32 v[20:21], v[4:5], v[20:21]
	s_wait_loadcnt_dscnt 0x800
	v_mul_f64_e32 v[145:146], v[131:132], v[24:25]
	v_mul_f64_e32 v[24:25], v[133:134], v[24:25]
	v_add_f64_e32 v[38:39], v[38:39], v[149:150]
	v_add_f64_e32 v[44:45], v[44:45], v[147:148]
	v_fma_f64 v[135:136], v[4:5], v[18:19], v[135:136]
	v_fma_f64 v[147:148], v[2:3], v[18:19], -v[20:21]
	ds_load_b128 v[2:5], v1 offset:1024
	scratch_load_b128 v[18:21], off, off offset:528
	v_fma_f64 v[133:134], v[133:134], v[22:23], v[145:146]
	v_fma_f64 v[131:132], v[131:132], v[22:23], -v[24:25]
	scratch_load_b128 v[22:25], off, off offset:544
	v_add_f64_e32 v[38:39], v[38:39], v[141:142]
	v_add_f64_e32 v[44:45], v[44:45], v[143:144]
	ds_load_b128 v[141:144], v1 offset:1040
	s_wait_loadcnt_dscnt 0x901
	v_mul_f64_e32 v[149:150], v[2:3], v[28:29]
	v_mul_f64_e32 v[28:29], v[4:5], v[28:29]
	v_add_f64_e32 v[38:39], v[38:39], v[147:148]
	v_add_f64_e32 v[44:45], v[44:45], v[135:136]
	s_wait_loadcnt_dscnt 0x800
	v_mul_f64_e32 v[135:136], v[141:142], v[32:33]
	v_mul_f64_e32 v[32:33], v[143:144], v[32:33]
	v_fma_f64 v[145:146], v[4:5], v[26:27], v[149:150]
	v_fma_f64 v[147:148], v[2:3], v[26:27], -v[28:29]
	ds_load_b128 v[2:5], v1 offset:1056
	scratch_load_b128 v[26:29], off, off offset:560
	v_add_f64_e32 v[38:39], v[38:39], v[131:132]
	v_add_f64_e32 v[44:45], v[44:45], v[133:134]
	ds_load_b128 v[131:134], v1 offset:1072
	s_wait_loadcnt_dscnt 0x801
	v_mul_f64_e32 v[149:150], v[2:3], v[36:37]
	v_mul_f64_e32 v[36:37], v[4:5], v[36:37]
	v_fma_f64 v[135:136], v[143:144], v[30:31], v[135:136]
	v_fma_f64 v[141:142], v[141:142], v[30:31], -v[32:33]
	scratch_load_b128 v[30:33], off, off offset:576
	s_wait_loadcnt_dscnt 0x800
	v_mul_f64_e32 v[143:144], v[131:132], v[42:43]
	v_add_f64_e32 v[38:39], v[38:39], v[147:148]
	v_add_f64_e32 v[44:45], v[44:45], v[145:146]
	v_mul_f64_e32 v[145:146], v[133:134], v[42:43]
	v_fma_f64 v[147:148], v[4:5], v[34:35], v[149:150]
	v_fma_f64 v[149:150], v[2:3], v[34:35], -v[36:37]
	ds_load_b128 v[2:5], v1 offset:1088
	scratch_load_b128 v[34:37], off, off offset:592
	v_fma_f64 v[133:134], v[133:134], v[40:41], v[143:144]
	v_add_f64_e32 v[38:39], v[38:39], v[141:142]
	v_add_f64_e32 v[135:136], v[44:45], v[135:136]
	ds_load_b128 v[42:45], v1 offset:1104
	v_fma_f64 v[131:132], v[131:132], v[40:41], -v[145:146]
	s_wait_loadcnt_dscnt 0x701
	v_mul_f64_e32 v[141:142], v[2:3], v[139:140]
	v_mul_f64_e32 v[139:140], v[4:5], v[139:140]
	s_wait_dscnt 0x0
	v_mul_f64_e32 v[145:146], v[42:43], v[8:9]
	v_mul_f64_e32 v[8:9], v[44:45], v[8:9]
	v_add_f64_e32 v[143:144], v[38:39], v[149:150]
	v_add_f64_e32 v[135:136], v[135:136], v[147:148]
	scratch_load_b128 v[38:41], off, off offset:608
	v_fma_f64 v[141:142], v[4:5], v[137:138], v[141:142]
	v_fma_f64 v[139:140], v[2:3], v[137:138], -v[139:140]
	ds_load_b128 v[2:5], v1 offset:1120
	v_fma_f64 v[44:45], v[44:45], v[6:7], v[145:146]
	v_fma_f64 v[42:43], v[42:43], v[6:7], -v[8:9]
	scratch_load_b128 v[6:9], off, off offset:640
	v_add_f64_e32 v[143:144], v[143:144], v[131:132]
	v_add_f64_e32 v[147:148], v[135:136], v[133:134]
	scratch_load_b128 v[131:134], off, off offset:624
	ds_load_b128 v[135:138], v1 offset:1136
	s_wait_loadcnt_dscnt 0x901
	v_mul_f64_e32 v[149:150], v[2:3], v[12:13]
	v_mul_f64_e32 v[12:13], v[4:5], v[12:13]
	v_add_f64_e32 v[139:140], v[143:144], v[139:140]
	v_add_f64_e32 v[141:142], v[147:148], v[141:142]
	s_wait_loadcnt_dscnt 0x800
	v_mul_f64_e32 v[143:144], v[135:136], v[16:17]
	v_mul_f64_e32 v[16:17], v[137:138], v[16:17]
	v_fma_f64 v[145:146], v[4:5], v[10:11], v[149:150]
	v_fma_f64 v[147:148], v[2:3], v[10:11], -v[12:13]
	ds_load_b128 v[2:5], v1 offset:1152
	ds_load_b128 v[10:13], v1 offset:1168
	v_add_f64_e32 v[42:43], v[139:140], v[42:43]
	v_add_f64_e32 v[44:45], v[141:142], v[44:45]
	s_wait_loadcnt_dscnt 0x701
	v_mul_f64_e32 v[139:140], v[2:3], v[20:21]
	v_mul_f64_e32 v[20:21], v[4:5], v[20:21]
	v_fma_f64 v[137:138], v[137:138], v[14:15], v[143:144]
	v_fma_f64 v[14:15], v[135:136], v[14:15], -v[16:17]
	v_add_f64_e32 v[16:17], v[42:43], v[147:148]
	v_add_f64_e32 v[42:43], v[44:45], v[145:146]
	s_wait_loadcnt_dscnt 0x600
	v_mul_f64_e32 v[44:45], v[10:11], v[24:25]
	v_mul_f64_e32 v[24:25], v[12:13], v[24:25]
	v_fma_f64 v[135:136], v[4:5], v[18:19], v[139:140]
	v_fma_f64 v[18:19], v[2:3], v[18:19], -v[20:21]
	v_add_f64_e32 v[20:21], v[16:17], v[14:15]
	v_add_f64_e32 v[42:43], v[42:43], v[137:138]
	ds_load_b128 v[2:5], v1 offset:1184
	ds_load_b128 v[14:17], v1 offset:1200
	v_fma_f64 v[12:13], v[12:13], v[22:23], v[44:45]
	v_fma_f64 v[10:11], v[10:11], v[22:23], -v[24:25]
	s_wait_loadcnt_dscnt 0x501
	v_mul_f64_e32 v[137:138], v[2:3], v[28:29]
	v_mul_f64_e32 v[28:29], v[4:5], v[28:29]
	s_wait_loadcnt_dscnt 0x400
	v_mul_f64_e32 v[22:23], v[14:15], v[32:33]
	v_mul_f64_e32 v[24:25], v[16:17], v[32:33]
	v_add_f64_e32 v[18:19], v[20:21], v[18:19]
	v_add_f64_e32 v[20:21], v[42:43], v[135:136]
	v_fma_f64 v[32:33], v[4:5], v[26:27], v[137:138]
	v_fma_f64 v[26:27], v[2:3], v[26:27], -v[28:29]
	v_fma_f64 v[16:17], v[16:17], v[30:31], v[22:23]
	v_fma_f64 v[14:15], v[14:15], v[30:31], -v[24:25]
	v_add_f64_e32 v[18:19], v[18:19], v[10:11]
	v_add_f64_e32 v[20:21], v[20:21], v[12:13]
	ds_load_b128 v[2:5], v1 offset:1216
	ds_load_b128 v[10:13], v1 offset:1232
	s_wait_loadcnt_dscnt 0x301
	v_mul_f64_e32 v[28:29], v[2:3], v[36:37]
	v_mul_f64_e32 v[36:37], v[4:5], v[36:37]
	v_add_f64_e32 v[18:19], v[18:19], v[26:27]
	v_add_f64_e32 v[20:21], v[20:21], v[32:33]
	s_wait_loadcnt_dscnt 0x200
	v_mul_f64_e32 v[22:23], v[10:11], v[40:41]
	v_mul_f64_e32 v[24:25], v[12:13], v[40:41]
	v_fma_f64 v[26:27], v[4:5], v[34:35], v[28:29]
	v_fma_f64 v[28:29], v[2:3], v[34:35], -v[36:37]
	v_add_f64_e32 v[18:19], v[18:19], v[14:15]
	v_add_f64_e32 v[20:21], v[20:21], v[16:17]
	ds_load_b128 v[2:5], v1 offset:1248
	ds_load_b128 v[14:17], v1 offset:1264
	v_fma_f64 v[12:13], v[12:13], v[38:39], v[22:23]
	v_fma_f64 v[10:11], v[10:11], v[38:39], -v[24:25]
	s_wait_loadcnt_dscnt 0x1
	v_mul_f64_e32 v[30:31], v[2:3], v[133:134]
	v_mul_f64_e32 v[32:33], v[4:5], v[133:134]
	s_wait_dscnt 0x0
	v_mul_f64_e32 v[22:23], v[14:15], v[8:9]
	v_mul_f64_e32 v[8:9], v[16:17], v[8:9]
	v_add_f64_e32 v[18:19], v[18:19], v[28:29]
	v_add_f64_e32 v[20:21], v[20:21], v[26:27]
	v_fma_f64 v[4:5], v[4:5], v[131:132], v[30:31]
	v_fma_f64 v[1:2], v[2:3], v[131:132], -v[32:33]
	v_fma_f64 v[16:17], v[16:17], v[6:7], v[22:23]
	v_fma_f64 v[6:7], v[14:15], v[6:7], -v[8:9]
	v_add_f64_e32 v[10:11], v[18:19], v[10:11]
	v_add_f64_e32 v[12:13], v[20:21], v[12:13]
	s_delay_alu instid0(VALU_DEP_2) | instskip(NEXT) | instid1(VALU_DEP_2)
	v_add_f64_e32 v[1:2], v[10:11], v[1:2]
	v_add_f64_e32 v[3:4], v[12:13], v[4:5]
	s_delay_alu instid0(VALU_DEP_2) | instskip(NEXT) | instid1(VALU_DEP_2)
	;; [unrolled: 3-line block ×3, first 2 shown]
	v_add_f64_e64 v[1:2], v[127:128], -v[1:2]
	v_add_f64_e64 v[3:4], v[129:130], -v[3:4]
	scratch_store_b128 off, v[1:4], off offset:128
	v_cmpx_lt_u32_e32 6, v0
	s_cbranch_execz .LBB103_241
; %bb.240:
	scratch_load_b128 v[1:4], off, s29
	v_mov_b32_e32 v5, 0
	s_delay_alu instid0(VALU_DEP_1)
	v_dual_mov_b32 v6, v5 :: v_dual_mov_b32 v7, v5
	v_mov_b32_e32 v8, v5
	scratch_store_b128 off, v[5:8], off offset:112
	s_wait_loadcnt 0x0
	ds_store_b128 v126, v[1:4]
.LBB103_241:
	s_wait_alu 0xfffe
	s_or_b32 exec_lo, exec_lo, s0
	s_wait_storecnt_dscnt 0x0
	s_barrier_signal -1
	s_barrier_wait -1
	global_inv scope:SCOPE_SE
	s_clause 0x7
	scratch_load_b128 v[2:5], off, off offset:128
	scratch_load_b128 v[6:9], off, off offset:144
	scratch_load_b128 v[10:13], off, off offset:160
	scratch_load_b128 v[14:17], off, off offset:176
	scratch_load_b128 v[18:21], off, off offset:192
	scratch_load_b128 v[22:25], off, off offset:208
	scratch_load_b128 v[26:29], off, off offset:224
	scratch_load_b128 v[30:33], off, off offset:240
	v_mov_b32_e32 v1, 0
	s_mov_b32 s0, exec_lo
	ds_load_b128 v[34:37], v1 offset:752
	s_clause 0x1
	scratch_load_b128 v[38:41], off, off offset:256
	scratch_load_b128 v[42:45], off, off offset:112
	ds_load_b128 v[127:130], v1 offset:768
	scratch_load_b128 v[131:134], off, off offset:272
	s_wait_loadcnt_dscnt 0xa01
	v_mul_f64_e32 v[135:136], v[36:37], v[4:5]
	v_mul_f64_e32 v[4:5], v[34:35], v[4:5]
	s_delay_alu instid0(VALU_DEP_2) | instskip(NEXT) | instid1(VALU_DEP_2)
	v_fma_f64 v[141:142], v[34:35], v[2:3], -v[135:136]
	v_fma_f64 v[143:144], v[36:37], v[2:3], v[4:5]
	ds_load_b128 v[2:5], v1 offset:784
	s_wait_loadcnt_dscnt 0x901
	v_mul_f64_e32 v[139:140], v[127:128], v[8:9]
	v_mul_f64_e32 v[8:9], v[129:130], v[8:9]
	scratch_load_b128 v[34:37], off, off offset:288
	ds_load_b128 v[135:138], v1 offset:800
	s_wait_loadcnt_dscnt 0x901
	v_mul_f64_e32 v[145:146], v[2:3], v[12:13]
	v_mul_f64_e32 v[12:13], v[4:5], v[12:13]
	v_fma_f64 v[129:130], v[129:130], v[6:7], v[139:140]
	v_fma_f64 v[127:128], v[127:128], v[6:7], -v[8:9]
	v_add_f64_e32 v[139:140], 0, v[141:142]
	v_add_f64_e32 v[141:142], 0, v[143:144]
	scratch_load_b128 v[6:9], off, off offset:304
	v_fma_f64 v[145:146], v[4:5], v[10:11], v[145:146]
	v_fma_f64 v[147:148], v[2:3], v[10:11], -v[12:13]
	ds_load_b128 v[2:5], v1 offset:816
	s_wait_loadcnt_dscnt 0x901
	v_mul_f64_e32 v[143:144], v[135:136], v[16:17]
	v_mul_f64_e32 v[16:17], v[137:138], v[16:17]
	scratch_load_b128 v[10:13], off, off offset:320
	v_add_f64_e32 v[139:140], v[139:140], v[127:128]
	v_add_f64_e32 v[141:142], v[141:142], v[129:130]
	s_wait_loadcnt_dscnt 0x900
	v_mul_f64_e32 v[149:150], v[2:3], v[20:21]
	v_mul_f64_e32 v[20:21], v[4:5], v[20:21]
	ds_load_b128 v[127:130], v1 offset:832
	v_fma_f64 v[137:138], v[137:138], v[14:15], v[143:144]
	v_fma_f64 v[135:136], v[135:136], v[14:15], -v[16:17]
	scratch_load_b128 v[14:17], off, off offset:336
	v_add_f64_e32 v[139:140], v[139:140], v[147:148]
	v_add_f64_e32 v[141:142], v[141:142], v[145:146]
	v_fma_f64 v[145:146], v[4:5], v[18:19], v[149:150]
	v_fma_f64 v[147:148], v[2:3], v[18:19], -v[20:21]
	ds_load_b128 v[2:5], v1 offset:848
	s_wait_loadcnt_dscnt 0x901
	v_mul_f64_e32 v[143:144], v[127:128], v[24:25]
	v_mul_f64_e32 v[24:25], v[129:130], v[24:25]
	scratch_load_b128 v[18:21], off, off offset:352
	s_wait_loadcnt_dscnt 0x900
	v_mul_f64_e32 v[149:150], v[2:3], v[28:29]
	v_mul_f64_e32 v[28:29], v[4:5], v[28:29]
	v_add_f64_e32 v[139:140], v[139:140], v[135:136]
	v_add_f64_e32 v[141:142], v[141:142], v[137:138]
	ds_load_b128 v[135:138], v1 offset:864
	v_fma_f64 v[129:130], v[129:130], v[22:23], v[143:144]
	v_fma_f64 v[127:128], v[127:128], v[22:23], -v[24:25]
	scratch_load_b128 v[22:25], off, off offset:368
	v_add_f64_e32 v[139:140], v[139:140], v[147:148]
	v_add_f64_e32 v[141:142], v[141:142], v[145:146]
	v_fma_f64 v[145:146], v[4:5], v[26:27], v[149:150]
	v_fma_f64 v[147:148], v[2:3], v[26:27], -v[28:29]
	ds_load_b128 v[2:5], v1 offset:880
	s_wait_loadcnt_dscnt 0x901
	v_mul_f64_e32 v[143:144], v[135:136], v[32:33]
	v_mul_f64_e32 v[32:33], v[137:138], v[32:33]
	scratch_load_b128 v[26:29], off, off offset:384
	s_wait_loadcnt_dscnt 0x900
	v_mul_f64_e32 v[149:150], v[2:3], v[40:41]
	v_mul_f64_e32 v[40:41], v[4:5], v[40:41]
	v_add_f64_e32 v[139:140], v[139:140], v[127:128]
	v_add_f64_e32 v[141:142], v[141:142], v[129:130]
	ds_load_b128 v[127:130], v1 offset:896
	v_fma_f64 v[137:138], v[137:138], v[30:31], v[143:144]
	v_fma_f64 v[135:136], v[135:136], v[30:31], -v[32:33]
	scratch_load_b128 v[30:33], off, off offset:400
	v_add_f64_e32 v[139:140], v[139:140], v[147:148]
	v_add_f64_e32 v[141:142], v[141:142], v[145:146]
	v_fma_f64 v[147:148], v[4:5], v[38:39], v[149:150]
	v_fma_f64 v[149:150], v[2:3], v[38:39], -v[40:41]
	ds_load_b128 v[2:5], v1 offset:912
	s_wait_loadcnt_dscnt 0x801
	v_mul_f64_e32 v[143:144], v[127:128], v[133:134]
	v_mul_f64_e32 v[145:146], v[129:130], v[133:134]
	scratch_load_b128 v[38:41], off, off offset:416
	v_add_f64_e32 v[139:140], v[139:140], v[135:136]
	v_add_f64_e32 v[137:138], v[141:142], v[137:138]
	ds_load_b128 v[133:136], v1 offset:928
	v_fma_f64 v[143:144], v[129:130], v[131:132], v[143:144]
	v_fma_f64 v[131:132], v[127:128], v[131:132], -v[145:146]
	scratch_load_b128 v[127:130], off, off offset:432
	s_wait_loadcnt_dscnt 0x901
	v_mul_f64_e32 v[141:142], v[2:3], v[36:37]
	v_mul_f64_e32 v[36:37], v[4:5], v[36:37]
	v_add_f64_e32 v[139:140], v[139:140], v[149:150]
	v_add_f64_e32 v[137:138], v[137:138], v[147:148]
	s_delay_alu instid0(VALU_DEP_4) | instskip(NEXT) | instid1(VALU_DEP_4)
	v_fma_f64 v[141:142], v[4:5], v[34:35], v[141:142]
	v_fma_f64 v[147:148], v[2:3], v[34:35], -v[36:37]
	ds_load_b128 v[2:5], v1 offset:944
	s_wait_loadcnt_dscnt 0x801
	v_mul_f64_e32 v[145:146], v[133:134], v[8:9]
	v_mul_f64_e32 v[8:9], v[135:136], v[8:9]
	scratch_load_b128 v[34:37], off, off offset:448
	s_wait_loadcnt_dscnt 0x800
	v_mul_f64_e32 v[149:150], v[2:3], v[12:13]
	v_add_f64_e32 v[131:132], v[139:140], v[131:132]
	v_add_f64_e32 v[143:144], v[137:138], v[143:144]
	v_mul_f64_e32 v[12:13], v[4:5], v[12:13]
	ds_load_b128 v[137:140], v1 offset:960
	v_fma_f64 v[135:136], v[135:136], v[6:7], v[145:146]
	v_fma_f64 v[133:134], v[133:134], v[6:7], -v[8:9]
	scratch_load_b128 v[6:9], off, off offset:464
	v_fma_f64 v[145:146], v[4:5], v[10:11], v[149:150]
	v_add_f64_e32 v[131:132], v[131:132], v[147:148]
	v_add_f64_e32 v[141:142], v[143:144], v[141:142]
	v_fma_f64 v[147:148], v[2:3], v[10:11], -v[12:13]
	ds_load_b128 v[2:5], v1 offset:976
	s_wait_loadcnt_dscnt 0x801
	v_mul_f64_e32 v[143:144], v[137:138], v[16:17]
	v_mul_f64_e32 v[16:17], v[139:140], v[16:17]
	scratch_load_b128 v[10:13], off, off offset:480
	v_add_f64_e32 v[149:150], v[131:132], v[133:134]
	v_add_f64_e32 v[135:136], v[141:142], v[135:136]
	s_wait_loadcnt_dscnt 0x800
	v_mul_f64_e32 v[141:142], v[2:3], v[20:21]
	v_mul_f64_e32 v[20:21], v[4:5], v[20:21]
	v_fma_f64 v[139:140], v[139:140], v[14:15], v[143:144]
	v_fma_f64 v[137:138], v[137:138], v[14:15], -v[16:17]
	ds_load_b128 v[131:134], v1 offset:992
	scratch_load_b128 v[14:17], off, off offset:496
	v_add_f64_e32 v[143:144], v[149:150], v[147:148]
	v_add_f64_e32 v[135:136], v[135:136], v[145:146]
	v_fma_f64 v[141:142], v[4:5], v[18:19], v[141:142]
	v_fma_f64 v[147:148], v[2:3], v[18:19], -v[20:21]
	ds_load_b128 v[2:5], v1 offset:1008
	s_wait_loadcnt_dscnt 0x801
	v_mul_f64_e32 v[145:146], v[131:132], v[24:25]
	v_mul_f64_e32 v[24:25], v[133:134], v[24:25]
	scratch_load_b128 v[18:21], off, off offset:512
	s_wait_loadcnt_dscnt 0x800
	v_mul_f64_e32 v[149:150], v[2:3], v[28:29]
	v_mul_f64_e32 v[28:29], v[4:5], v[28:29]
	v_add_f64_e32 v[143:144], v[143:144], v[137:138]
	v_add_f64_e32 v[139:140], v[135:136], v[139:140]
	ds_load_b128 v[135:138], v1 offset:1024
	v_fma_f64 v[133:134], v[133:134], v[22:23], v[145:146]
	v_fma_f64 v[131:132], v[131:132], v[22:23], -v[24:25]
	scratch_load_b128 v[22:25], off, off offset:528
	v_fma_f64 v[145:146], v[4:5], v[26:27], v[149:150]
	v_add_f64_e32 v[143:144], v[143:144], v[147:148]
	v_add_f64_e32 v[139:140], v[139:140], v[141:142]
	v_fma_f64 v[147:148], v[2:3], v[26:27], -v[28:29]
	ds_load_b128 v[2:5], v1 offset:1040
	s_wait_loadcnt_dscnt 0x801
	v_mul_f64_e32 v[141:142], v[135:136], v[32:33]
	v_mul_f64_e32 v[32:33], v[137:138], v[32:33]
	scratch_load_b128 v[26:29], off, off offset:544
	s_wait_loadcnt_dscnt 0x800
	v_mul_f64_e32 v[149:150], v[2:3], v[40:41]
	v_mul_f64_e32 v[40:41], v[4:5], v[40:41]
	v_add_f64_e32 v[143:144], v[143:144], v[131:132]
	v_add_f64_e32 v[139:140], v[139:140], v[133:134]
	ds_load_b128 v[131:134], v1 offset:1056
	v_fma_f64 v[137:138], v[137:138], v[30:31], v[141:142]
	v_fma_f64 v[135:136], v[135:136], v[30:31], -v[32:33]
	scratch_load_b128 v[30:33], off, off offset:560
	v_add_f64_e32 v[141:142], v[143:144], v[147:148]
	v_add_f64_e32 v[139:140], v[139:140], v[145:146]
	v_fma_f64 v[145:146], v[4:5], v[38:39], v[149:150]
	v_fma_f64 v[147:148], v[2:3], v[38:39], -v[40:41]
	ds_load_b128 v[2:5], v1 offset:1072
	s_wait_loadcnt_dscnt 0x801
	v_mul_f64_e32 v[143:144], v[131:132], v[129:130]
	v_mul_f64_e32 v[129:130], v[133:134], v[129:130]
	scratch_load_b128 v[38:41], off, off offset:576
	s_wait_loadcnt_dscnt 0x800
	v_mul_f64_e32 v[149:150], v[2:3], v[36:37]
	v_mul_f64_e32 v[36:37], v[4:5], v[36:37]
	v_add_f64_e32 v[141:142], v[141:142], v[135:136]
	v_add_f64_e32 v[139:140], v[139:140], v[137:138]
	ds_load_b128 v[135:138], v1 offset:1088
	v_fma_f64 v[133:134], v[133:134], v[127:128], v[143:144]
	v_fma_f64 v[131:132], v[131:132], v[127:128], -v[129:130]
	scratch_load_b128 v[127:130], off, off offset:592
	v_add_f64_e32 v[141:142], v[141:142], v[147:148]
	v_add_f64_e32 v[139:140], v[139:140], v[145:146]
	v_fma_f64 v[145:146], v[4:5], v[34:35], v[149:150]
	;; [unrolled: 18-line block ×3, first 2 shown]
	v_fma_f64 v[147:148], v[2:3], v[10:11], -v[12:13]
	ds_load_b128 v[2:5], v1 offset:1136
	s_wait_loadcnt_dscnt 0x801
	v_mul_f64_e32 v[143:144], v[131:132], v[16:17]
	v_mul_f64_e32 v[16:17], v[133:134], v[16:17]
	scratch_load_b128 v[10:13], off, off offset:640
	s_wait_loadcnt_dscnt 0x800
	v_mul_f64_e32 v[149:150], v[2:3], v[20:21]
	v_mul_f64_e32 v[20:21], v[4:5], v[20:21]
	v_add_f64_e32 v[141:142], v[141:142], v[135:136]
	v_add_f64_e32 v[139:140], v[139:140], v[137:138]
	ds_load_b128 v[135:138], v1 offset:1152
	v_fma_f64 v[133:134], v[133:134], v[14:15], v[143:144]
	v_fma_f64 v[14:15], v[131:132], v[14:15], -v[16:17]
	v_add_f64_e32 v[16:17], v[141:142], v[147:148]
	v_add_f64_e32 v[131:132], v[139:140], v[145:146]
	s_wait_loadcnt_dscnt 0x700
	v_mul_f64_e32 v[139:140], v[135:136], v[24:25]
	v_mul_f64_e32 v[24:25], v[137:138], v[24:25]
	v_fma_f64 v[141:142], v[4:5], v[18:19], v[149:150]
	v_fma_f64 v[18:19], v[2:3], v[18:19], -v[20:21]
	v_add_f64_e32 v[20:21], v[16:17], v[14:15]
	v_add_f64_e32 v[131:132], v[131:132], v[133:134]
	ds_load_b128 v[2:5], v1 offset:1168
	ds_load_b128 v[14:17], v1 offset:1184
	v_fma_f64 v[137:138], v[137:138], v[22:23], v[139:140]
	v_fma_f64 v[22:23], v[135:136], v[22:23], -v[24:25]
	s_wait_loadcnt_dscnt 0x601
	v_mul_f64_e32 v[133:134], v[2:3], v[28:29]
	v_mul_f64_e32 v[28:29], v[4:5], v[28:29]
	s_wait_loadcnt_dscnt 0x500
	v_mul_f64_e32 v[24:25], v[14:15], v[32:33]
	v_mul_f64_e32 v[32:33], v[16:17], v[32:33]
	v_add_f64_e32 v[18:19], v[20:21], v[18:19]
	v_add_f64_e32 v[20:21], v[131:132], v[141:142]
	v_fma_f64 v[131:132], v[4:5], v[26:27], v[133:134]
	v_fma_f64 v[26:27], v[2:3], v[26:27], -v[28:29]
	v_fma_f64 v[16:17], v[16:17], v[30:31], v[24:25]
	v_fma_f64 v[14:15], v[14:15], v[30:31], -v[32:33]
	v_add_f64_e32 v[22:23], v[18:19], v[22:23]
	v_add_f64_e32 v[28:29], v[20:21], v[137:138]
	ds_load_b128 v[2:5], v1 offset:1200
	ds_load_b128 v[18:21], v1 offset:1216
	s_wait_loadcnt_dscnt 0x401
	v_mul_f64_e32 v[133:134], v[2:3], v[40:41]
	v_mul_f64_e32 v[40:41], v[4:5], v[40:41]
	v_add_f64_e32 v[22:23], v[22:23], v[26:27]
	v_add_f64_e32 v[24:25], v[28:29], v[131:132]
	s_wait_loadcnt_dscnt 0x300
	v_mul_f64_e32 v[26:27], v[18:19], v[129:130]
	v_mul_f64_e32 v[28:29], v[20:21], v[129:130]
	v_fma_f64 v[30:31], v[4:5], v[38:39], v[133:134]
	v_fma_f64 v[32:33], v[2:3], v[38:39], -v[40:41]
	v_add_f64_e32 v[22:23], v[22:23], v[14:15]
	v_add_f64_e32 v[24:25], v[24:25], v[16:17]
	ds_load_b128 v[2:5], v1 offset:1232
	ds_load_b128 v[14:17], v1 offset:1248
	v_fma_f64 v[20:21], v[20:21], v[127:128], v[26:27]
	v_fma_f64 v[18:19], v[18:19], v[127:128], -v[28:29]
	s_wait_loadcnt_dscnt 0x201
	v_mul_f64_e32 v[38:39], v[2:3], v[36:37]
	v_mul_f64_e32 v[36:37], v[4:5], v[36:37]
	s_wait_loadcnt_dscnt 0x100
	v_mul_f64_e32 v[26:27], v[14:15], v[8:9]
	v_mul_f64_e32 v[8:9], v[16:17], v[8:9]
	v_add_f64_e32 v[22:23], v[22:23], v[32:33]
	v_add_f64_e32 v[24:25], v[24:25], v[30:31]
	v_fma_f64 v[28:29], v[4:5], v[34:35], v[38:39]
	v_fma_f64 v[30:31], v[2:3], v[34:35], -v[36:37]
	ds_load_b128 v[2:5], v1 offset:1264
	v_fma_f64 v[16:17], v[16:17], v[6:7], v[26:27]
	v_fma_f64 v[6:7], v[14:15], v[6:7], -v[8:9]
	v_add_f64_e32 v[18:19], v[22:23], v[18:19]
	v_add_f64_e32 v[20:21], v[24:25], v[20:21]
	s_wait_loadcnt_dscnt 0x0
	v_mul_f64_e32 v[22:23], v[2:3], v[12:13]
	v_mul_f64_e32 v[12:13], v[4:5], v[12:13]
	s_delay_alu instid0(VALU_DEP_4) | instskip(NEXT) | instid1(VALU_DEP_4)
	v_add_f64_e32 v[8:9], v[18:19], v[30:31]
	v_add_f64_e32 v[14:15], v[20:21], v[28:29]
	s_delay_alu instid0(VALU_DEP_4) | instskip(NEXT) | instid1(VALU_DEP_4)
	v_fma_f64 v[4:5], v[4:5], v[10:11], v[22:23]
	v_fma_f64 v[2:3], v[2:3], v[10:11], -v[12:13]
	s_delay_alu instid0(VALU_DEP_4) | instskip(NEXT) | instid1(VALU_DEP_4)
	v_add_f64_e32 v[6:7], v[8:9], v[6:7]
	v_add_f64_e32 v[8:9], v[14:15], v[16:17]
	s_delay_alu instid0(VALU_DEP_2) | instskip(NEXT) | instid1(VALU_DEP_2)
	v_add_f64_e32 v[2:3], v[6:7], v[2:3]
	v_add_f64_e32 v[4:5], v[8:9], v[4:5]
	s_delay_alu instid0(VALU_DEP_2) | instskip(NEXT) | instid1(VALU_DEP_2)
	v_add_f64_e64 v[2:3], v[42:43], -v[2:3]
	v_add_f64_e64 v[4:5], v[44:45], -v[4:5]
	scratch_store_b128 off, v[2:5], off offset:112
	v_cmpx_lt_u32_e32 5, v0
	s_cbranch_execz .LBB103_243
; %bb.242:
	scratch_load_b128 v[5:8], off, s4
	v_dual_mov_b32 v2, v1 :: v_dual_mov_b32 v3, v1
	v_mov_b32_e32 v4, v1
	scratch_store_b128 off, v[1:4], off offset:96
	s_wait_loadcnt 0x0
	ds_store_b128 v126, v[5:8]
.LBB103_243:
	s_wait_alu 0xfffe
	s_or_b32 exec_lo, exec_lo, s0
	s_wait_storecnt_dscnt 0x0
	s_barrier_signal -1
	s_barrier_wait -1
	global_inv scope:SCOPE_SE
	s_clause 0x8
	scratch_load_b128 v[2:5], off, off offset:112
	scratch_load_b128 v[6:9], off, off offset:128
	;; [unrolled: 1-line block ×9, first 2 shown]
	ds_load_b128 v[38:41], v1 offset:736
	ds_load_b128 v[42:45], v1 offset:752
	s_clause 0x1
	scratch_load_b128 v[127:130], off, off offset:96
	scratch_load_b128 v[131:134], off, off offset:256
	s_mov_b32 s0, exec_lo
	s_wait_loadcnt_dscnt 0xa01
	v_mul_f64_e32 v[135:136], v[40:41], v[4:5]
	v_mul_f64_e32 v[4:5], v[38:39], v[4:5]
	s_wait_loadcnt_dscnt 0x900
	v_mul_f64_e32 v[139:140], v[42:43], v[8:9]
	v_mul_f64_e32 v[8:9], v[44:45], v[8:9]
	s_delay_alu instid0(VALU_DEP_4) | instskip(NEXT) | instid1(VALU_DEP_4)
	v_fma_f64 v[141:142], v[38:39], v[2:3], -v[135:136]
	v_fma_f64 v[143:144], v[40:41], v[2:3], v[4:5]
	ds_load_b128 v[2:5], v1 offset:768
	ds_load_b128 v[135:138], v1 offset:784
	scratch_load_b128 v[38:41], off, off offset:272
	v_fma_f64 v[44:45], v[44:45], v[6:7], v[139:140]
	v_fma_f64 v[42:43], v[42:43], v[6:7], -v[8:9]
	scratch_load_b128 v[6:9], off, off offset:288
	s_wait_loadcnt_dscnt 0xa01
	v_mul_f64_e32 v[145:146], v[2:3], v[12:13]
	v_mul_f64_e32 v[12:13], v[4:5], v[12:13]
	v_add_f64_e32 v[139:140], 0, v[141:142]
	v_add_f64_e32 v[141:142], 0, v[143:144]
	s_wait_loadcnt_dscnt 0x900
	v_mul_f64_e32 v[143:144], v[135:136], v[16:17]
	v_mul_f64_e32 v[16:17], v[137:138], v[16:17]
	v_fma_f64 v[145:146], v[4:5], v[10:11], v[145:146]
	v_fma_f64 v[147:148], v[2:3], v[10:11], -v[12:13]
	ds_load_b128 v[2:5], v1 offset:800
	scratch_load_b128 v[10:13], off, off offset:304
	v_add_f64_e32 v[139:140], v[139:140], v[42:43]
	v_add_f64_e32 v[141:142], v[141:142], v[44:45]
	ds_load_b128 v[42:45], v1 offset:816
	v_fma_f64 v[137:138], v[137:138], v[14:15], v[143:144]
	v_fma_f64 v[135:136], v[135:136], v[14:15], -v[16:17]
	scratch_load_b128 v[14:17], off, off offset:320
	s_wait_loadcnt_dscnt 0xa01
	v_mul_f64_e32 v[149:150], v[2:3], v[20:21]
	v_mul_f64_e32 v[20:21], v[4:5], v[20:21]
	s_wait_loadcnt_dscnt 0x900
	v_mul_f64_e32 v[143:144], v[42:43], v[24:25]
	v_mul_f64_e32 v[24:25], v[44:45], v[24:25]
	v_add_f64_e32 v[139:140], v[139:140], v[147:148]
	v_add_f64_e32 v[141:142], v[141:142], v[145:146]
	v_fma_f64 v[145:146], v[4:5], v[18:19], v[149:150]
	v_fma_f64 v[147:148], v[2:3], v[18:19], -v[20:21]
	ds_load_b128 v[2:5], v1 offset:832
	scratch_load_b128 v[18:21], off, off offset:336
	v_fma_f64 v[44:45], v[44:45], v[22:23], v[143:144]
	v_fma_f64 v[42:43], v[42:43], v[22:23], -v[24:25]
	scratch_load_b128 v[22:25], off, off offset:352
	v_add_f64_e32 v[139:140], v[139:140], v[135:136]
	v_add_f64_e32 v[141:142], v[141:142], v[137:138]
	ds_load_b128 v[135:138], v1 offset:848
	s_wait_loadcnt_dscnt 0xa01
	v_mul_f64_e32 v[149:150], v[2:3], v[28:29]
	v_mul_f64_e32 v[28:29], v[4:5], v[28:29]
	s_wait_loadcnt_dscnt 0x900
	v_mul_f64_e32 v[143:144], v[135:136], v[32:33]
	v_mul_f64_e32 v[32:33], v[137:138], v[32:33]
	v_add_f64_e32 v[139:140], v[139:140], v[147:148]
	v_add_f64_e32 v[141:142], v[141:142], v[145:146]
	v_fma_f64 v[145:146], v[4:5], v[26:27], v[149:150]
	v_fma_f64 v[147:148], v[2:3], v[26:27], -v[28:29]
	ds_load_b128 v[2:5], v1 offset:864
	scratch_load_b128 v[26:29], off, off offset:368
	v_fma_f64 v[137:138], v[137:138], v[30:31], v[143:144]
	v_fma_f64 v[135:136], v[135:136], v[30:31], -v[32:33]
	scratch_load_b128 v[30:33], off, off offset:384
	v_add_f64_e32 v[139:140], v[139:140], v[42:43]
	v_add_f64_e32 v[141:142], v[141:142], v[44:45]
	ds_load_b128 v[42:45], v1 offset:880
	s_wait_loadcnt_dscnt 0xa01
	v_mul_f64_e32 v[149:150], v[2:3], v[36:37]
	v_mul_f64_e32 v[36:37], v[4:5], v[36:37]
	s_wait_loadcnt_dscnt 0x800
	v_mul_f64_e32 v[143:144], v[42:43], v[133:134]
	v_add_f64_e32 v[139:140], v[139:140], v[147:148]
	v_add_f64_e32 v[141:142], v[141:142], v[145:146]
	v_mul_f64_e32 v[145:146], v[44:45], v[133:134]
	v_fma_f64 v[147:148], v[4:5], v[34:35], v[149:150]
	v_fma_f64 v[149:150], v[2:3], v[34:35], -v[36:37]
	ds_load_b128 v[2:5], v1 offset:896
	scratch_load_b128 v[34:37], off, off offset:400
	v_fma_f64 v[44:45], v[44:45], v[131:132], v[143:144]
	v_add_f64_e32 v[139:140], v[139:140], v[135:136]
	v_add_f64_e32 v[137:138], v[141:142], v[137:138]
	ds_load_b128 v[133:136], v1 offset:912
	v_fma_f64 v[131:132], v[42:43], v[131:132], -v[145:146]
	s_wait_loadcnt_dscnt 0x801
	v_mul_f64_e32 v[141:142], v[2:3], v[40:41]
	v_mul_f64_e32 v[151:152], v[4:5], v[40:41]
	scratch_load_b128 v[40:43], off, off offset:416
	s_wait_loadcnt_dscnt 0x800
	v_mul_f64_e32 v[145:146], v[133:134], v[8:9]
	v_mul_f64_e32 v[8:9], v[135:136], v[8:9]
	v_add_f64_e32 v[139:140], v[139:140], v[149:150]
	v_add_f64_e32 v[137:138], v[137:138], v[147:148]
	v_fma_f64 v[147:148], v[4:5], v[38:39], v[141:142]
	v_fma_f64 v[38:39], v[2:3], v[38:39], -v[151:152]
	ds_load_b128 v[2:5], v1 offset:928
	ds_load_b128 v[141:144], v1 offset:944
	v_fma_f64 v[135:136], v[135:136], v[6:7], v[145:146]
	v_fma_f64 v[133:134], v[133:134], v[6:7], -v[8:9]
	scratch_load_b128 v[6:9], off, off offset:448
	v_add_f64_e32 v[131:132], v[139:140], v[131:132]
	v_add_f64_e32 v[44:45], v[137:138], v[44:45]
	scratch_load_b128 v[137:140], off, off offset:432
	s_wait_loadcnt_dscnt 0x901
	v_mul_f64_e32 v[149:150], v[2:3], v[12:13]
	v_mul_f64_e32 v[12:13], v[4:5], v[12:13]
	s_wait_loadcnt_dscnt 0x800
	v_mul_f64_e32 v[145:146], v[141:142], v[16:17]
	v_mul_f64_e32 v[16:17], v[143:144], v[16:17]
	v_add_f64_e32 v[38:39], v[131:132], v[38:39]
	v_add_f64_e32 v[44:45], v[44:45], v[147:148]
	v_fma_f64 v[147:148], v[4:5], v[10:11], v[149:150]
	v_fma_f64 v[149:150], v[2:3], v[10:11], -v[12:13]
	ds_load_b128 v[2:5], v1 offset:960
	scratch_load_b128 v[10:13], off, off offset:464
	v_fma_f64 v[143:144], v[143:144], v[14:15], v[145:146]
	v_fma_f64 v[141:142], v[141:142], v[14:15], -v[16:17]
	scratch_load_b128 v[14:17], off, off offset:480
	v_add_f64_e32 v[38:39], v[38:39], v[133:134]
	v_add_f64_e32 v[44:45], v[44:45], v[135:136]
	ds_load_b128 v[131:134], v1 offset:976
	s_wait_loadcnt_dscnt 0x901
	v_mul_f64_e32 v[135:136], v[2:3], v[20:21]
	v_mul_f64_e32 v[20:21], v[4:5], v[20:21]
	s_wait_loadcnt_dscnt 0x800
	v_mul_f64_e32 v[145:146], v[131:132], v[24:25]
	v_mul_f64_e32 v[24:25], v[133:134], v[24:25]
	v_add_f64_e32 v[38:39], v[38:39], v[149:150]
	v_add_f64_e32 v[44:45], v[44:45], v[147:148]
	v_fma_f64 v[135:136], v[4:5], v[18:19], v[135:136]
	v_fma_f64 v[147:148], v[2:3], v[18:19], -v[20:21]
	ds_load_b128 v[2:5], v1 offset:992
	scratch_load_b128 v[18:21], off, off offset:496
	v_fma_f64 v[133:134], v[133:134], v[22:23], v[145:146]
	v_fma_f64 v[131:132], v[131:132], v[22:23], -v[24:25]
	scratch_load_b128 v[22:25], off, off offset:512
	v_add_f64_e32 v[38:39], v[38:39], v[141:142]
	v_add_f64_e32 v[44:45], v[44:45], v[143:144]
	ds_load_b128 v[141:144], v1 offset:1008
	s_wait_loadcnt_dscnt 0x901
	v_mul_f64_e32 v[149:150], v[2:3], v[28:29]
	v_mul_f64_e32 v[28:29], v[4:5], v[28:29]
	v_add_f64_e32 v[38:39], v[38:39], v[147:148]
	v_add_f64_e32 v[44:45], v[44:45], v[135:136]
	s_wait_loadcnt_dscnt 0x800
	v_mul_f64_e32 v[135:136], v[141:142], v[32:33]
	v_mul_f64_e32 v[32:33], v[143:144], v[32:33]
	v_fma_f64 v[145:146], v[4:5], v[26:27], v[149:150]
	v_fma_f64 v[147:148], v[2:3], v[26:27], -v[28:29]
	ds_load_b128 v[2:5], v1 offset:1024
	scratch_load_b128 v[26:29], off, off offset:528
	v_add_f64_e32 v[38:39], v[38:39], v[131:132]
	v_add_f64_e32 v[44:45], v[44:45], v[133:134]
	ds_load_b128 v[131:134], v1 offset:1040
	s_wait_loadcnt_dscnt 0x801
	v_mul_f64_e32 v[149:150], v[2:3], v[36:37]
	v_mul_f64_e32 v[36:37], v[4:5], v[36:37]
	v_fma_f64 v[135:136], v[143:144], v[30:31], v[135:136]
	v_fma_f64 v[141:142], v[141:142], v[30:31], -v[32:33]
	scratch_load_b128 v[30:33], off, off offset:544
	s_wait_loadcnt_dscnt 0x800
	v_mul_f64_e32 v[143:144], v[131:132], v[42:43]
	v_add_f64_e32 v[38:39], v[38:39], v[147:148]
	v_add_f64_e32 v[44:45], v[44:45], v[145:146]
	v_mul_f64_e32 v[145:146], v[133:134], v[42:43]
	v_fma_f64 v[147:148], v[4:5], v[34:35], v[149:150]
	v_fma_f64 v[149:150], v[2:3], v[34:35], -v[36:37]
	ds_load_b128 v[2:5], v1 offset:1056
	scratch_load_b128 v[34:37], off, off offset:560
	v_fma_f64 v[133:134], v[133:134], v[40:41], v[143:144]
	v_add_f64_e32 v[38:39], v[38:39], v[141:142]
	v_add_f64_e32 v[135:136], v[44:45], v[135:136]
	ds_load_b128 v[42:45], v1 offset:1072
	v_fma_f64 v[131:132], v[131:132], v[40:41], -v[145:146]
	s_wait_loadcnt_dscnt 0x701
	v_mul_f64_e32 v[141:142], v[2:3], v[139:140]
	v_mul_f64_e32 v[139:140], v[4:5], v[139:140]
	s_wait_dscnt 0x0
	v_mul_f64_e32 v[145:146], v[42:43], v[8:9]
	v_mul_f64_e32 v[8:9], v[44:45], v[8:9]
	v_add_f64_e32 v[143:144], v[38:39], v[149:150]
	v_add_f64_e32 v[135:136], v[135:136], v[147:148]
	scratch_load_b128 v[38:41], off, off offset:576
	v_fma_f64 v[141:142], v[4:5], v[137:138], v[141:142]
	v_fma_f64 v[139:140], v[2:3], v[137:138], -v[139:140]
	ds_load_b128 v[2:5], v1 offset:1088
	v_fma_f64 v[44:45], v[44:45], v[6:7], v[145:146]
	v_fma_f64 v[42:43], v[42:43], v[6:7], -v[8:9]
	scratch_load_b128 v[6:9], off, off offset:608
	v_add_f64_e32 v[143:144], v[143:144], v[131:132]
	v_add_f64_e32 v[147:148], v[135:136], v[133:134]
	scratch_load_b128 v[131:134], off, off offset:592
	ds_load_b128 v[135:138], v1 offset:1104
	s_wait_loadcnt_dscnt 0x901
	v_mul_f64_e32 v[149:150], v[2:3], v[12:13]
	v_mul_f64_e32 v[12:13], v[4:5], v[12:13]
	v_add_f64_e32 v[139:140], v[143:144], v[139:140]
	v_add_f64_e32 v[141:142], v[147:148], v[141:142]
	s_wait_loadcnt_dscnt 0x800
	v_mul_f64_e32 v[143:144], v[135:136], v[16:17]
	v_mul_f64_e32 v[16:17], v[137:138], v[16:17]
	v_fma_f64 v[145:146], v[4:5], v[10:11], v[149:150]
	v_fma_f64 v[147:148], v[2:3], v[10:11], -v[12:13]
	ds_load_b128 v[2:5], v1 offset:1120
	scratch_load_b128 v[10:13], off, off offset:624
	v_add_f64_e32 v[139:140], v[139:140], v[42:43]
	v_add_f64_e32 v[141:142], v[141:142], v[44:45]
	ds_load_b128 v[42:45], v1 offset:1136
	s_wait_loadcnt_dscnt 0x801
	v_mul_f64_e32 v[149:150], v[2:3], v[20:21]
	v_mul_f64_e32 v[20:21], v[4:5], v[20:21]
	v_fma_f64 v[137:138], v[137:138], v[14:15], v[143:144]
	v_fma_f64 v[135:136], v[135:136], v[14:15], -v[16:17]
	scratch_load_b128 v[14:17], off, off offset:640
	s_wait_loadcnt_dscnt 0x800
	v_mul_f64_e32 v[143:144], v[42:43], v[24:25]
	v_mul_f64_e32 v[24:25], v[44:45], v[24:25]
	v_add_f64_e32 v[139:140], v[139:140], v[147:148]
	v_add_f64_e32 v[141:142], v[141:142], v[145:146]
	v_fma_f64 v[145:146], v[4:5], v[18:19], v[149:150]
	v_fma_f64 v[147:148], v[2:3], v[18:19], -v[20:21]
	ds_load_b128 v[2:5], v1 offset:1152
	ds_load_b128 v[18:21], v1 offset:1168
	v_fma_f64 v[44:45], v[44:45], v[22:23], v[143:144]
	v_fma_f64 v[22:23], v[42:43], v[22:23], -v[24:25]
	v_add_f64_e32 v[135:136], v[139:140], v[135:136]
	v_add_f64_e32 v[137:138], v[141:142], v[137:138]
	s_wait_loadcnt_dscnt 0x701
	v_mul_f64_e32 v[139:140], v[2:3], v[28:29]
	v_mul_f64_e32 v[28:29], v[4:5], v[28:29]
	s_delay_alu instid0(VALU_DEP_4) | instskip(NEXT) | instid1(VALU_DEP_4)
	v_add_f64_e32 v[24:25], v[135:136], v[147:148]
	v_add_f64_e32 v[42:43], v[137:138], v[145:146]
	s_wait_loadcnt_dscnt 0x600
	v_mul_f64_e32 v[135:136], v[18:19], v[32:33]
	v_mul_f64_e32 v[32:33], v[20:21], v[32:33]
	v_fma_f64 v[137:138], v[4:5], v[26:27], v[139:140]
	v_fma_f64 v[26:27], v[2:3], v[26:27], -v[28:29]
	v_add_f64_e32 v[28:29], v[24:25], v[22:23]
	v_add_f64_e32 v[42:43], v[42:43], v[44:45]
	ds_load_b128 v[2:5], v1 offset:1184
	ds_load_b128 v[22:25], v1 offset:1200
	v_fma_f64 v[20:21], v[20:21], v[30:31], v[135:136]
	v_fma_f64 v[18:19], v[18:19], v[30:31], -v[32:33]
	s_wait_loadcnt_dscnt 0x501
	v_mul_f64_e32 v[44:45], v[2:3], v[36:37]
	v_mul_f64_e32 v[36:37], v[4:5], v[36:37]
	v_add_f64_e32 v[26:27], v[28:29], v[26:27]
	v_add_f64_e32 v[28:29], v[42:43], v[137:138]
	s_wait_loadcnt_dscnt 0x400
	v_mul_f64_e32 v[30:31], v[22:23], v[40:41]
	v_mul_f64_e32 v[32:33], v[24:25], v[40:41]
	v_fma_f64 v[40:41], v[4:5], v[34:35], v[44:45]
	v_fma_f64 v[34:35], v[2:3], v[34:35], -v[36:37]
	v_add_f64_e32 v[26:27], v[26:27], v[18:19]
	v_add_f64_e32 v[28:29], v[28:29], v[20:21]
	ds_load_b128 v[2:5], v1 offset:1216
	ds_load_b128 v[18:21], v1 offset:1232
	v_fma_f64 v[24:25], v[24:25], v[38:39], v[30:31]
	v_fma_f64 v[22:23], v[22:23], v[38:39], -v[32:33]
	s_wait_loadcnt_dscnt 0x201
	v_mul_f64_e32 v[36:37], v[2:3], v[133:134]
	v_mul_f64_e32 v[42:43], v[4:5], v[133:134]
	s_wait_dscnt 0x0
	v_mul_f64_e32 v[30:31], v[18:19], v[8:9]
	v_mul_f64_e32 v[8:9], v[20:21], v[8:9]
	v_add_f64_e32 v[26:27], v[26:27], v[34:35]
	v_add_f64_e32 v[28:29], v[28:29], v[40:41]
	v_fma_f64 v[32:33], v[4:5], v[131:132], v[36:37]
	v_fma_f64 v[34:35], v[2:3], v[131:132], -v[42:43]
	v_fma_f64 v[20:21], v[20:21], v[6:7], v[30:31]
	v_fma_f64 v[6:7], v[18:19], v[6:7], -v[8:9]
	v_add_f64_e32 v[26:27], v[26:27], v[22:23]
	v_add_f64_e32 v[28:29], v[28:29], v[24:25]
	ds_load_b128 v[2:5], v1 offset:1248
	ds_load_b128 v[22:25], v1 offset:1264
	s_wait_loadcnt_dscnt 0x101
	v_mul_f64_e32 v[36:37], v[2:3], v[12:13]
	v_mul_f64_e32 v[12:13], v[4:5], v[12:13]
	v_add_f64_e32 v[8:9], v[26:27], v[34:35]
	v_add_f64_e32 v[18:19], v[28:29], v[32:33]
	s_wait_loadcnt_dscnt 0x0
	v_mul_f64_e32 v[26:27], v[22:23], v[16:17]
	v_mul_f64_e32 v[16:17], v[24:25], v[16:17]
	v_fma_f64 v[4:5], v[4:5], v[10:11], v[36:37]
	v_fma_f64 v[1:2], v[2:3], v[10:11], -v[12:13]
	v_add_f64_e32 v[6:7], v[8:9], v[6:7]
	v_add_f64_e32 v[8:9], v[18:19], v[20:21]
	v_fma_f64 v[10:11], v[24:25], v[14:15], v[26:27]
	v_fma_f64 v[12:13], v[22:23], v[14:15], -v[16:17]
	s_delay_alu instid0(VALU_DEP_4) | instskip(NEXT) | instid1(VALU_DEP_4)
	v_add_f64_e32 v[1:2], v[6:7], v[1:2]
	v_add_f64_e32 v[3:4], v[8:9], v[4:5]
	s_delay_alu instid0(VALU_DEP_2) | instskip(NEXT) | instid1(VALU_DEP_2)
	v_add_f64_e32 v[1:2], v[1:2], v[12:13]
	v_add_f64_e32 v[3:4], v[3:4], v[10:11]
	s_delay_alu instid0(VALU_DEP_2) | instskip(NEXT) | instid1(VALU_DEP_2)
	v_add_f64_e64 v[1:2], v[127:128], -v[1:2]
	v_add_f64_e64 v[3:4], v[129:130], -v[3:4]
	scratch_store_b128 off, v[1:4], off offset:96
	v_cmpx_lt_u32_e32 4, v0
	s_cbranch_execz .LBB103_245
; %bb.244:
	scratch_load_b128 v[1:4], off, s28
	v_mov_b32_e32 v5, 0
	s_delay_alu instid0(VALU_DEP_1)
	v_dual_mov_b32 v6, v5 :: v_dual_mov_b32 v7, v5
	v_mov_b32_e32 v8, v5
	scratch_store_b128 off, v[5:8], off offset:80
	s_wait_loadcnt 0x0
	ds_store_b128 v126, v[1:4]
.LBB103_245:
	s_wait_alu 0xfffe
	s_or_b32 exec_lo, exec_lo, s0
	s_wait_storecnt_dscnt 0x0
	s_barrier_signal -1
	s_barrier_wait -1
	global_inv scope:SCOPE_SE
	s_clause 0x7
	scratch_load_b128 v[2:5], off, off offset:96
	scratch_load_b128 v[6:9], off, off offset:112
	;; [unrolled: 1-line block ×8, first 2 shown]
	v_mov_b32_e32 v1, 0
	s_mov_b32 s0, exec_lo
	ds_load_b128 v[38:41], v1 offset:720
	s_clause 0x1
	scratch_load_b128 v[34:37], off, off offset:224
	scratch_load_b128 v[42:45], off, off offset:80
	ds_load_b128 v[127:130], v1 offset:736
	scratch_load_b128 v[131:134], off, off offset:240
	s_wait_loadcnt_dscnt 0xa01
	v_mul_f64_e32 v[135:136], v[40:41], v[4:5]
	v_mul_f64_e32 v[4:5], v[38:39], v[4:5]
	s_delay_alu instid0(VALU_DEP_2) | instskip(NEXT) | instid1(VALU_DEP_2)
	v_fma_f64 v[141:142], v[38:39], v[2:3], -v[135:136]
	v_fma_f64 v[143:144], v[40:41], v[2:3], v[4:5]
	ds_load_b128 v[2:5], v1 offset:752
	s_wait_loadcnt_dscnt 0x901
	v_mul_f64_e32 v[139:140], v[127:128], v[8:9]
	v_mul_f64_e32 v[8:9], v[129:130], v[8:9]
	scratch_load_b128 v[38:41], off, off offset:256
	ds_load_b128 v[135:138], v1 offset:768
	s_wait_loadcnt_dscnt 0x901
	v_mul_f64_e32 v[145:146], v[2:3], v[12:13]
	v_mul_f64_e32 v[12:13], v[4:5], v[12:13]
	v_fma_f64 v[129:130], v[129:130], v[6:7], v[139:140]
	v_fma_f64 v[127:128], v[127:128], v[6:7], -v[8:9]
	v_add_f64_e32 v[139:140], 0, v[141:142]
	v_add_f64_e32 v[141:142], 0, v[143:144]
	scratch_load_b128 v[6:9], off, off offset:272
	v_fma_f64 v[145:146], v[4:5], v[10:11], v[145:146]
	v_fma_f64 v[147:148], v[2:3], v[10:11], -v[12:13]
	ds_load_b128 v[2:5], v1 offset:784
	s_wait_loadcnt_dscnt 0x901
	v_mul_f64_e32 v[143:144], v[135:136], v[16:17]
	v_mul_f64_e32 v[16:17], v[137:138], v[16:17]
	scratch_load_b128 v[10:13], off, off offset:288
	v_add_f64_e32 v[139:140], v[139:140], v[127:128]
	v_add_f64_e32 v[141:142], v[141:142], v[129:130]
	s_wait_loadcnt_dscnt 0x900
	v_mul_f64_e32 v[149:150], v[2:3], v[20:21]
	v_mul_f64_e32 v[20:21], v[4:5], v[20:21]
	ds_load_b128 v[127:130], v1 offset:800
	v_fma_f64 v[137:138], v[137:138], v[14:15], v[143:144]
	v_fma_f64 v[135:136], v[135:136], v[14:15], -v[16:17]
	scratch_load_b128 v[14:17], off, off offset:304
	v_add_f64_e32 v[139:140], v[139:140], v[147:148]
	v_add_f64_e32 v[141:142], v[141:142], v[145:146]
	v_fma_f64 v[145:146], v[4:5], v[18:19], v[149:150]
	v_fma_f64 v[147:148], v[2:3], v[18:19], -v[20:21]
	ds_load_b128 v[2:5], v1 offset:816
	s_wait_loadcnt_dscnt 0x901
	v_mul_f64_e32 v[143:144], v[127:128], v[24:25]
	v_mul_f64_e32 v[24:25], v[129:130], v[24:25]
	scratch_load_b128 v[18:21], off, off offset:320
	s_wait_loadcnt_dscnt 0x900
	v_mul_f64_e32 v[149:150], v[2:3], v[28:29]
	v_mul_f64_e32 v[28:29], v[4:5], v[28:29]
	v_add_f64_e32 v[139:140], v[139:140], v[135:136]
	v_add_f64_e32 v[141:142], v[141:142], v[137:138]
	ds_load_b128 v[135:138], v1 offset:832
	v_fma_f64 v[129:130], v[129:130], v[22:23], v[143:144]
	v_fma_f64 v[127:128], v[127:128], v[22:23], -v[24:25]
	scratch_load_b128 v[22:25], off, off offset:336
	v_add_f64_e32 v[139:140], v[139:140], v[147:148]
	v_add_f64_e32 v[141:142], v[141:142], v[145:146]
	v_fma_f64 v[145:146], v[4:5], v[26:27], v[149:150]
	v_fma_f64 v[147:148], v[2:3], v[26:27], -v[28:29]
	ds_load_b128 v[2:5], v1 offset:848
	s_wait_loadcnt_dscnt 0x901
	v_mul_f64_e32 v[143:144], v[135:136], v[32:33]
	v_mul_f64_e32 v[32:33], v[137:138], v[32:33]
	scratch_load_b128 v[26:29], off, off offset:352
	s_wait_loadcnt_dscnt 0x900
	v_mul_f64_e32 v[149:150], v[2:3], v[36:37]
	v_mul_f64_e32 v[36:37], v[4:5], v[36:37]
	v_add_f64_e32 v[139:140], v[139:140], v[127:128]
	v_add_f64_e32 v[141:142], v[141:142], v[129:130]
	ds_load_b128 v[127:130], v1 offset:864
	v_fma_f64 v[137:138], v[137:138], v[30:31], v[143:144]
	v_fma_f64 v[135:136], v[135:136], v[30:31], -v[32:33]
	scratch_load_b128 v[30:33], off, off offset:368
	v_add_f64_e32 v[139:140], v[139:140], v[147:148]
	v_add_f64_e32 v[141:142], v[141:142], v[145:146]
	v_fma_f64 v[147:148], v[4:5], v[34:35], v[149:150]
	v_fma_f64 v[149:150], v[2:3], v[34:35], -v[36:37]
	ds_load_b128 v[2:5], v1 offset:880
	s_wait_loadcnt_dscnt 0x801
	v_mul_f64_e32 v[143:144], v[127:128], v[133:134]
	v_mul_f64_e32 v[145:146], v[129:130], v[133:134]
	scratch_load_b128 v[34:37], off, off offset:384
	v_add_f64_e32 v[139:140], v[139:140], v[135:136]
	v_add_f64_e32 v[137:138], v[141:142], v[137:138]
	ds_load_b128 v[133:136], v1 offset:896
	v_fma_f64 v[143:144], v[129:130], v[131:132], v[143:144]
	v_fma_f64 v[131:132], v[127:128], v[131:132], -v[145:146]
	scratch_load_b128 v[127:130], off, off offset:400
	s_wait_loadcnt_dscnt 0x901
	v_mul_f64_e32 v[141:142], v[2:3], v[40:41]
	v_mul_f64_e32 v[40:41], v[4:5], v[40:41]
	v_add_f64_e32 v[139:140], v[139:140], v[149:150]
	v_add_f64_e32 v[137:138], v[137:138], v[147:148]
	s_delay_alu instid0(VALU_DEP_4) | instskip(NEXT) | instid1(VALU_DEP_4)
	v_fma_f64 v[141:142], v[4:5], v[38:39], v[141:142]
	v_fma_f64 v[147:148], v[2:3], v[38:39], -v[40:41]
	ds_load_b128 v[2:5], v1 offset:912
	s_wait_loadcnt_dscnt 0x801
	v_mul_f64_e32 v[145:146], v[133:134], v[8:9]
	v_mul_f64_e32 v[8:9], v[135:136], v[8:9]
	scratch_load_b128 v[38:41], off, off offset:416
	s_wait_loadcnt_dscnt 0x800
	v_mul_f64_e32 v[149:150], v[2:3], v[12:13]
	v_add_f64_e32 v[131:132], v[139:140], v[131:132]
	v_add_f64_e32 v[143:144], v[137:138], v[143:144]
	v_mul_f64_e32 v[12:13], v[4:5], v[12:13]
	ds_load_b128 v[137:140], v1 offset:928
	v_fma_f64 v[135:136], v[135:136], v[6:7], v[145:146]
	v_fma_f64 v[133:134], v[133:134], v[6:7], -v[8:9]
	scratch_load_b128 v[6:9], off, off offset:432
	v_fma_f64 v[145:146], v[4:5], v[10:11], v[149:150]
	v_add_f64_e32 v[131:132], v[131:132], v[147:148]
	v_add_f64_e32 v[141:142], v[143:144], v[141:142]
	v_fma_f64 v[147:148], v[2:3], v[10:11], -v[12:13]
	ds_load_b128 v[2:5], v1 offset:944
	s_wait_loadcnt_dscnt 0x801
	v_mul_f64_e32 v[143:144], v[137:138], v[16:17]
	v_mul_f64_e32 v[16:17], v[139:140], v[16:17]
	scratch_load_b128 v[10:13], off, off offset:448
	v_add_f64_e32 v[149:150], v[131:132], v[133:134]
	v_add_f64_e32 v[135:136], v[141:142], v[135:136]
	s_wait_loadcnt_dscnt 0x800
	v_mul_f64_e32 v[141:142], v[2:3], v[20:21]
	v_mul_f64_e32 v[20:21], v[4:5], v[20:21]
	v_fma_f64 v[139:140], v[139:140], v[14:15], v[143:144]
	v_fma_f64 v[137:138], v[137:138], v[14:15], -v[16:17]
	ds_load_b128 v[131:134], v1 offset:960
	scratch_load_b128 v[14:17], off, off offset:464
	v_add_f64_e32 v[143:144], v[149:150], v[147:148]
	v_add_f64_e32 v[135:136], v[135:136], v[145:146]
	v_fma_f64 v[141:142], v[4:5], v[18:19], v[141:142]
	v_fma_f64 v[147:148], v[2:3], v[18:19], -v[20:21]
	ds_load_b128 v[2:5], v1 offset:976
	s_wait_loadcnt_dscnt 0x801
	v_mul_f64_e32 v[145:146], v[131:132], v[24:25]
	v_mul_f64_e32 v[24:25], v[133:134], v[24:25]
	scratch_load_b128 v[18:21], off, off offset:480
	s_wait_loadcnt_dscnt 0x800
	v_mul_f64_e32 v[149:150], v[2:3], v[28:29]
	v_mul_f64_e32 v[28:29], v[4:5], v[28:29]
	v_add_f64_e32 v[143:144], v[143:144], v[137:138]
	v_add_f64_e32 v[139:140], v[135:136], v[139:140]
	ds_load_b128 v[135:138], v1 offset:992
	v_fma_f64 v[133:134], v[133:134], v[22:23], v[145:146]
	v_fma_f64 v[131:132], v[131:132], v[22:23], -v[24:25]
	scratch_load_b128 v[22:25], off, off offset:496
	v_fma_f64 v[145:146], v[4:5], v[26:27], v[149:150]
	v_add_f64_e32 v[143:144], v[143:144], v[147:148]
	v_add_f64_e32 v[139:140], v[139:140], v[141:142]
	v_fma_f64 v[147:148], v[2:3], v[26:27], -v[28:29]
	ds_load_b128 v[2:5], v1 offset:1008
	s_wait_loadcnt_dscnt 0x801
	v_mul_f64_e32 v[141:142], v[135:136], v[32:33]
	v_mul_f64_e32 v[32:33], v[137:138], v[32:33]
	scratch_load_b128 v[26:29], off, off offset:512
	s_wait_loadcnt_dscnt 0x800
	v_mul_f64_e32 v[149:150], v[2:3], v[36:37]
	v_mul_f64_e32 v[36:37], v[4:5], v[36:37]
	v_add_f64_e32 v[143:144], v[143:144], v[131:132]
	v_add_f64_e32 v[139:140], v[139:140], v[133:134]
	ds_load_b128 v[131:134], v1 offset:1024
	v_fma_f64 v[137:138], v[137:138], v[30:31], v[141:142]
	v_fma_f64 v[135:136], v[135:136], v[30:31], -v[32:33]
	scratch_load_b128 v[30:33], off, off offset:528
	v_add_f64_e32 v[141:142], v[143:144], v[147:148]
	v_add_f64_e32 v[139:140], v[139:140], v[145:146]
	v_fma_f64 v[145:146], v[4:5], v[34:35], v[149:150]
	v_fma_f64 v[147:148], v[2:3], v[34:35], -v[36:37]
	ds_load_b128 v[2:5], v1 offset:1040
	s_wait_loadcnt_dscnt 0x801
	v_mul_f64_e32 v[143:144], v[131:132], v[129:130]
	v_mul_f64_e32 v[129:130], v[133:134], v[129:130]
	scratch_load_b128 v[34:37], off, off offset:544
	s_wait_loadcnt_dscnt 0x800
	v_mul_f64_e32 v[149:150], v[2:3], v[40:41]
	v_mul_f64_e32 v[40:41], v[4:5], v[40:41]
	v_add_f64_e32 v[141:142], v[141:142], v[135:136]
	v_add_f64_e32 v[139:140], v[139:140], v[137:138]
	ds_load_b128 v[135:138], v1 offset:1056
	v_fma_f64 v[133:134], v[133:134], v[127:128], v[143:144]
	v_fma_f64 v[131:132], v[131:132], v[127:128], -v[129:130]
	scratch_load_b128 v[127:130], off, off offset:560
	v_add_f64_e32 v[141:142], v[141:142], v[147:148]
	v_add_f64_e32 v[139:140], v[139:140], v[145:146]
	v_fma_f64 v[145:146], v[4:5], v[38:39], v[149:150]
	;; [unrolled: 18-line block ×4, first 2 shown]
	v_fma_f64 v[147:148], v[2:3], v[18:19], -v[20:21]
	ds_load_b128 v[2:5], v1 offset:1136
	s_wait_loadcnt_dscnt 0x801
	v_mul_f64_e32 v[143:144], v[135:136], v[24:25]
	v_mul_f64_e32 v[24:25], v[137:138], v[24:25]
	scratch_load_b128 v[18:21], off, off offset:640
	s_wait_loadcnt_dscnt 0x800
	v_mul_f64_e32 v[149:150], v[2:3], v[28:29]
	v_mul_f64_e32 v[28:29], v[4:5], v[28:29]
	v_add_f64_e32 v[141:142], v[141:142], v[131:132]
	v_add_f64_e32 v[139:140], v[139:140], v[133:134]
	ds_load_b128 v[131:134], v1 offset:1152
	v_fma_f64 v[137:138], v[137:138], v[22:23], v[143:144]
	v_fma_f64 v[22:23], v[135:136], v[22:23], -v[24:25]
	v_add_f64_e32 v[24:25], v[141:142], v[147:148]
	v_add_f64_e32 v[135:136], v[139:140], v[145:146]
	s_wait_loadcnt_dscnt 0x700
	v_mul_f64_e32 v[139:140], v[131:132], v[32:33]
	v_mul_f64_e32 v[32:33], v[133:134], v[32:33]
	v_fma_f64 v[141:142], v[4:5], v[26:27], v[149:150]
	v_fma_f64 v[26:27], v[2:3], v[26:27], -v[28:29]
	v_add_f64_e32 v[28:29], v[24:25], v[22:23]
	v_add_f64_e32 v[135:136], v[135:136], v[137:138]
	ds_load_b128 v[2:5], v1 offset:1168
	ds_load_b128 v[22:25], v1 offset:1184
	v_fma_f64 v[133:134], v[133:134], v[30:31], v[139:140]
	v_fma_f64 v[30:31], v[131:132], v[30:31], -v[32:33]
	s_wait_loadcnt_dscnt 0x601
	v_mul_f64_e32 v[137:138], v[2:3], v[36:37]
	v_mul_f64_e32 v[36:37], v[4:5], v[36:37]
	s_wait_loadcnt_dscnt 0x500
	v_mul_f64_e32 v[32:33], v[22:23], v[129:130]
	v_mul_f64_e32 v[129:130], v[24:25], v[129:130]
	v_add_f64_e32 v[26:27], v[28:29], v[26:27]
	v_add_f64_e32 v[28:29], v[135:136], v[141:142]
	v_fma_f64 v[131:132], v[4:5], v[34:35], v[137:138]
	v_fma_f64 v[34:35], v[2:3], v[34:35], -v[36:37]
	v_fma_f64 v[24:25], v[24:25], v[127:128], v[32:33]
	v_fma_f64 v[22:23], v[22:23], v[127:128], -v[129:130]
	v_add_f64_e32 v[30:31], v[26:27], v[30:31]
	v_add_f64_e32 v[36:37], v[28:29], v[133:134]
	ds_load_b128 v[2:5], v1 offset:1200
	ds_load_b128 v[26:29], v1 offset:1216
	s_wait_loadcnt_dscnt 0x401
	v_mul_f64_e32 v[133:134], v[2:3], v[40:41]
	v_mul_f64_e32 v[40:41], v[4:5], v[40:41]
	v_add_f64_e32 v[30:31], v[30:31], v[34:35]
	v_add_f64_e32 v[32:33], v[36:37], v[131:132]
	s_wait_loadcnt_dscnt 0x300
	v_mul_f64_e32 v[34:35], v[26:27], v[8:9]
	v_mul_f64_e32 v[8:9], v[28:29], v[8:9]
	v_fma_f64 v[36:37], v[4:5], v[38:39], v[133:134]
	v_fma_f64 v[38:39], v[2:3], v[38:39], -v[40:41]
	v_add_f64_e32 v[30:31], v[30:31], v[22:23]
	v_add_f64_e32 v[32:33], v[32:33], v[24:25]
	ds_load_b128 v[2:5], v1 offset:1232
	ds_load_b128 v[22:25], v1 offset:1248
	v_fma_f64 v[28:29], v[28:29], v[6:7], v[34:35]
	v_fma_f64 v[6:7], v[26:27], v[6:7], -v[8:9]
	s_wait_loadcnt_dscnt 0x201
	v_mul_f64_e32 v[40:41], v[2:3], v[12:13]
	v_mul_f64_e32 v[12:13], v[4:5], v[12:13]
	v_add_f64_e32 v[8:9], v[30:31], v[38:39]
	v_add_f64_e32 v[26:27], v[32:33], v[36:37]
	s_wait_loadcnt_dscnt 0x100
	v_mul_f64_e32 v[30:31], v[22:23], v[16:17]
	v_mul_f64_e32 v[16:17], v[24:25], v[16:17]
	v_fma_f64 v[32:33], v[4:5], v[10:11], v[40:41]
	v_fma_f64 v[10:11], v[2:3], v[10:11], -v[12:13]
	ds_load_b128 v[2:5], v1 offset:1264
	v_add_f64_e32 v[6:7], v[8:9], v[6:7]
	v_add_f64_e32 v[8:9], v[26:27], v[28:29]
	v_fma_f64 v[24:25], v[24:25], v[14:15], v[30:31]
	v_fma_f64 v[14:15], v[22:23], v[14:15], -v[16:17]
	s_wait_loadcnt_dscnt 0x0
	v_mul_f64_e32 v[12:13], v[2:3], v[20:21]
	v_mul_f64_e32 v[20:21], v[4:5], v[20:21]
	v_add_f64_e32 v[6:7], v[6:7], v[10:11]
	v_add_f64_e32 v[8:9], v[8:9], v[32:33]
	s_delay_alu instid0(VALU_DEP_4) | instskip(NEXT) | instid1(VALU_DEP_4)
	v_fma_f64 v[4:5], v[4:5], v[18:19], v[12:13]
	v_fma_f64 v[2:3], v[2:3], v[18:19], -v[20:21]
	s_delay_alu instid0(VALU_DEP_4) | instskip(NEXT) | instid1(VALU_DEP_4)
	v_add_f64_e32 v[6:7], v[6:7], v[14:15]
	v_add_f64_e32 v[8:9], v[8:9], v[24:25]
	s_delay_alu instid0(VALU_DEP_2) | instskip(NEXT) | instid1(VALU_DEP_2)
	v_add_f64_e32 v[2:3], v[6:7], v[2:3]
	v_add_f64_e32 v[4:5], v[8:9], v[4:5]
	s_delay_alu instid0(VALU_DEP_2) | instskip(NEXT) | instid1(VALU_DEP_2)
	v_add_f64_e64 v[2:3], v[42:43], -v[2:3]
	v_add_f64_e64 v[4:5], v[44:45], -v[4:5]
	scratch_store_b128 off, v[2:5], off offset:80
	v_cmpx_lt_u32_e32 3, v0
	s_cbranch_execz .LBB103_247
; %bb.246:
	scratch_load_b128 v[5:8], off, s27
	v_dual_mov_b32 v2, v1 :: v_dual_mov_b32 v3, v1
	v_mov_b32_e32 v4, v1
	scratch_store_b128 off, v[1:4], off offset:64
	s_wait_loadcnt 0x0
	ds_store_b128 v126, v[5:8]
.LBB103_247:
	s_wait_alu 0xfffe
	s_or_b32 exec_lo, exec_lo, s0
	s_wait_storecnt_dscnt 0x0
	s_barrier_signal -1
	s_barrier_wait -1
	global_inv scope:SCOPE_SE
	s_clause 0x8
	scratch_load_b128 v[2:5], off, off offset:80
	scratch_load_b128 v[6:9], off, off offset:96
	;; [unrolled: 1-line block ×9, first 2 shown]
	ds_load_b128 v[38:41], v1 offset:704
	ds_load_b128 v[42:45], v1 offset:720
	s_clause 0x1
	scratch_load_b128 v[127:130], off, off offset:64
	scratch_load_b128 v[131:134], off, off offset:224
	s_mov_b32 s0, exec_lo
	s_wait_loadcnt_dscnt 0xa01
	v_mul_f64_e32 v[135:136], v[40:41], v[4:5]
	v_mul_f64_e32 v[4:5], v[38:39], v[4:5]
	s_wait_loadcnt_dscnt 0x900
	v_mul_f64_e32 v[139:140], v[42:43], v[8:9]
	v_mul_f64_e32 v[8:9], v[44:45], v[8:9]
	s_delay_alu instid0(VALU_DEP_4) | instskip(NEXT) | instid1(VALU_DEP_4)
	v_fma_f64 v[141:142], v[38:39], v[2:3], -v[135:136]
	v_fma_f64 v[143:144], v[40:41], v[2:3], v[4:5]
	ds_load_b128 v[2:5], v1 offset:736
	ds_load_b128 v[135:138], v1 offset:752
	scratch_load_b128 v[38:41], off, off offset:240
	v_fma_f64 v[44:45], v[44:45], v[6:7], v[139:140]
	v_fma_f64 v[42:43], v[42:43], v[6:7], -v[8:9]
	scratch_load_b128 v[6:9], off, off offset:256
	s_wait_loadcnt_dscnt 0xa01
	v_mul_f64_e32 v[145:146], v[2:3], v[12:13]
	v_mul_f64_e32 v[12:13], v[4:5], v[12:13]
	v_add_f64_e32 v[139:140], 0, v[141:142]
	v_add_f64_e32 v[141:142], 0, v[143:144]
	s_wait_loadcnt_dscnt 0x900
	v_mul_f64_e32 v[143:144], v[135:136], v[16:17]
	v_mul_f64_e32 v[16:17], v[137:138], v[16:17]
	v_fma_f64 v[145:146], v[4:5], v[10:11], v[145:146]
	v_fma_f64 v[147:148], v[2:3], v[10:11], -v[12:13]
	ds_load_b128 v[2:5], v1 offset:768
	scratch_load_b128 v[10:13], off, off offset:272
	v_add_f64_e32 v[139:140], v[139:140], v[42:43]
	v_add_f64_e32 v[141:142], v[141:142], v[44:45]
	ds_load_b128 v[42:45], v1 offset:784
	v_fma_f64 v[137:138], v[137:138], v[14:15], v[143:144]
	v_fma_f64 v[135:136], v[135:136], v[14:15], -v[16:17]
	scratch_load_b128 v[14:17], off, off offset:288
	s_wait_loadcnt_dscnt 0xa01
	v_mul_f64_e32 v[149:150], v[2:3], v[20:21]
	v_mul_f64_e32 v[20:21], v[4:5], v[20:21]
	s_wait_loadcnt_dscnt 0x900
	v_mul_f64_e32 v[143:144], v[42:43], v[24:25]
	v_mul_f64_e32 v[24:25], v[44:45], v[24:25]
	v_add_f64_e32 v[139:140], v[139:140], v[147:148]
	v_add_f64_e32 v[141:142], v[141:142], v[145:146]
	v_fma_f64 v[145:146], v[4:5], v[18:19], v[149:150]
	v_fma_f64 v[147:148], v[2:3], v[18:19], -v[20:21]
	ds_load_b128 v[2:5], v1 offset:800
	scratch_load_b128 v[18:21], off, off offset:304
	v_fma_f64 v[44:45], v[44:45], v[22:23], v[143:144]
	v_fma_f64 v[42:43], v[42:43], v[22:23], -v[24:25]
	scratch_load_b128 v[22:25], off, off offset:320
	v_add_f64_e32 v[139:140], v[139:140], v[135:136]
	v_add_f64_e32 v[141:142], v[141:142], v[137:138]
	ds_load_b128 v[135:138], v1 offset:816
	s_wait_loadcnt_dscnt 0xa01
	v_mul_f64_e32 v[149:150], v[2:3], v[28:29]
	v_mul_f64_e32 v[28:29], v[4:5], v[28:29]
	s_wait_loadcnt_dscnt 0x900
	v_mul_f64_e32 v[143:144], v[135:136], v[32:33]
	v_mul_f64_e32 v[32:33], v[137:138], v[32:33]
	v_add_f64_e32 v[139:140], v[139:140], v[147:148]
	v_add_f64_e32 v[141:142], v[141:142], v[145:146]
	v_fma_f64 v[145:146], v[4:5], v[26:27], v[149:150]
	v_fma_f64 v[147:148], v[2:3], v[26:27], -v[28:29]
	ds_load_b128 v[2:5], v1 offset:832
	scratch_load_b128 v[26:29], off, off offset:336
	v_fma_f64 v[137:138], v[137:138], v[30:31], v[143:144]
	v_fma_f64 v[135:136], v[135:136], v[30:31], -v[32:33]
	scratch_load_b128 v[30:33], off, off offset:352
	v_add_f64_e32 v[139:140], v[139:140], v[42:43]
	v_add_f64_e32 v[141:142], v[141:142], v[44:45]
	ds_load_b128 v[42:45], v1 offset:848
	s_wait_loadcnt_dscnt 0xa01
	v_mul_f64_e32 v[149:150], v[2:3], v[36:37]
	v_mul_f64_e32 v[36:37], v[4:5], v[36:37]
	s_wait_loadcnt_dscnt 0x800
	v_mul_f64_e32 v[143:144], v[42:43], v[133:134]
	v_add_f64_e32 v[139:140], v[139:140], v[147:148]
	v_add_f64_e32 v[141:142], v[141:142], v[145:146]
	v_mul_f64_e32 v[145:146], v[44:45], v[133:134]
	v_fma_f64 v[147:148], v[4:5], v[34:35], v[149:150]
	v_fma_f64 v[149:150], v[2:3], v[34:35], -v[36:37]
	ds_load_b128 v[2:5], v1 offset:864
	scratch_load_b128 v[34:37], off, off offset:368
	v_fma_f64 v[44:45], v[44:45], v[131:132], v[143:144]
	v_add_f64_e32 v[139:140], v[139:140], v[135:136]
	v_add_f64_e32 v[137:138], v[141:142], v[137:138]
	ds_load_b128 v[133:136], v1 offset:880
	v_fma_f64 v[131:132], v[42:43], v[131:132], -v[145:146]
	s_wait_loadcnt_dscnt 0x801
	v_mul_f64_e32 v[141:142], v[2:3], v[40:41]
	v_mul_f64_e32 v[151:152], v[4:5], v[40:41]
	scratch_load_b128 v[40:43], off, off offset:384
	s_wait_loadcnt_dscnt 0x800
	v_mul_f64_e32 v[145:146], v[133:134], v[8:9]
	v_mul_f64_e32 v[8:9], v[135:136], v[8:9]
	v_add_f64_e32 v[139:140], v[139:140], v[149:150]
	v_add_f64_e32 v[137:138], v[137:138], v[147:148]
	v_fma_f64 v[147:148], v[4:5], v[38:39], v[141:142]
	v_fma_f64 v[38:39], v[2:3], v[38:39], -v[151:152]
	ds_load_b128 v[2:5], v1 offset:896
	ds_load_b128 v[141:144], v1 offset:912
	v_fma_f64 v[135:136], v[135:136], v[6:7], v[145:146]
	v_fma_f64 v[133:134], v[133:134], v[6:7], -v[8:9]
	scratch_load_b128 v[6:9], off, off offset:416
	v_add_f64_e32 v[131:132], v[139:140], v[131:132]
	v_add_f64_e32 v[44:45], v[137:138], v[44:45]
	scratch_load_b128 v[137:140], off, off offset:400
	s_wait_loadcnt_dscnt 0x901
	v_mul_f64_e32 v[149:150], v[2:3], v[12:13]
	v_mul_f64_e32 v[12:13], v[4:5], v[12:13]
	s_wait_loadcnt_dscnt 0x800
	v_mul_f64_e32 v[145:146], v[141:142], v[16:17]
	v_mul_f64_e32 v[16:17], v[143:144], v[16:17]
	v_add_f64_e32 v[38:39], v[131:132], v[38:39]
	v_add_f64_e32 v[44:45], v[44:45], v[147:148]
	v_fma_f64 v[147:148], v[4:5], v[10:11], v[149:150]
	v_fma_f64 v[149:150], v[2:3], v[10:11], -v[12:13]
	ds_load_b128 v[2:5], v1 offset:928
	scratch_load_b128 v[10:13], off, off offset:432
	v_fma_f64 v[143:144], v[143:144], v[14:15], v[145:146]
	v_fma_f64 v[141:142], v[141:142], v[14:15], -v[16:17]
	scratch_load_b128 v[14:17], off, off offset:448
	v_add_f64_e32 v[38:39], v[38:39], v[133:134]
	v_add_f64_e32 v[44:45], v[44:45], v[135:136]
	ds_load_b128 v[131:134], v1 offset:944
	s_wait_loadcnt_dscnt 0x901
	v_mul_f64_e32 v[135:136], v[2:3], v[20:21]
	v_mul_f64_e32 v[20:21], v[4:5], v[20:21]
	s_wait_loadcnt_dscnt 0x800
	v_mul_f64_e32 v[145:146], v[131:132], v[24:25]
	v_mul_f64_e32 v[24:25], v[133:134], v[24:25]
	v_add_f64_e32 v[38:39], v[38:39], v[149:150]
	v_add_f64_e32 v[44:45], v[44:45], v[147:148]
	v_fma_f64 v[135:136], v[4:5], v[18:19], v[135:136]
	v_fma_f64 v[147:148], v[2:3], v[18:19], -v[20:21]
	ds_load_b128 v[2:5], v1 offset:960
	scratch_load_b128 v[18:21], off, off offset:464
	v_fma_f64 v[133:134], v[133:134], v[22:23], v[145:146]
	v_fma_f64 v[131:132], v[131:132], v[22:23], -v[24:25]
	scratch_load_b128 v[22:25], off, off offset:480
	v_add_f64_e32 v[38:39], v[38:39], v[141:142]
	v_add_f64_e32 v[44:45], v[44:45], v[143:144]
	ds_load_b128 v[141:144], v1 offset:976
	s_wait_loadcnt_dscnt 0x901
	v_mul_f64_e32 v[149:150], v[2:3], v[28:29]
	v_mul_f64_e32 v[28:29], v[4:5], v[28:29]
	v_add_f64_e32 v[38:39], v[38:39], v[147:148]
	v_add_f64_e32 v[44:45], v[44:45], v[135:136]
	s_wait_loadcnt_dscnt 0x800
	v_mul_f64_e32 v[135:136], v[141:142], v[32:33]
	v_mul_f64_e32 v[32:33], v[143:144], v[32:33]
	v_fma_f64 v[145:146], v[4:5], v[26:27], v[149:150]
	v_fma_f64 v[147:148], v[2:3], v[26:27], -v[28:29]
	ds_load_b128 v[2:5], v1 offset:992
	scratch_load_b128 v[26:29], off, off offset:496
	v_add_f64_e32 v[38:39], v[38:39], v[131:132]
	v_add_f64_e32 v[44:45], v[44:45], v[133:134]
	ds_load_b128 v[131:134], v1 offset:1008
	s_wait_loadcnt_dscnt 0x801
	v_mul_f64_e32 v[149:150], v[2:3], v[36:37]
	v_mul_f64_e32 v[36:37], v[4:5], v[36:37]
	v_fma_f64 v[135:136], v[143:144], v[30:31], v[135:136]
	v_fma_f64 v[141:142], v[141:142], v[30:31], -v[32:33]
	scratch_load_b128 v[30:33], off, off offset:512
	s_wait_loadcnt_dscnt 0x800
	v_mul_f64_e32 v[143:144], v[131:132], v[42:43]
	v_add_f64_e32 v[38:39], v[38:39], v[147:148]
	v_add_f64_e32 v[44:45], v[44:45], v[145:146]
	v_mul_f64_e32 v[145:146], v[133:134], v[42:43]
	v_fma_f64 v[147:148], v[4:5], v[34:35], v[149:150]
	v_fma_f64 v[149:150], v[2:3], v[34:35], -v[36:37]
	ds_load_b128 v[2:5], v1 offset:1024
	scratch_load_b128 v[34:37], off, off offset:528
	v_fma_f64 v[133:134], v[133:134], v[40:41], v[143:144]
	v_add_f64_e32 v[38:39], v[38:39], v[141:142]
	v_add_f64_e32 v[135:136], v[44:45], v[135:136]
	ds_load_b128 v[42:45], v1 offset:1040
	v_fma_f64 v[131:132], v[131:132], v[40:41], -v[145:146]
	s_wait_loadcnt_dscnt 0x701
	v_mul_f64_e32 v[141:142], v[2:3], v[139:140]
	v_mul_f64_e32 v[139:140], v[4:5], v[139:140]
	s_wait_dscnt 0x0
	v_mul_f64_e32 v[145:146], v[42:43], v[8:9]
	v_mul_f64_e32 v[8:9], v[44:45], v[8:9]
	v_add_f64_e32 v[143:144], v[38:39], v[149:150]
	v_add_f64_e32 v[135:136], v[135:136], v[147:148]
	scratch_load_b128 v[38:41], off, off offset:544
	v_fma_f64 v[141:142], v[4:5], v[137:138], v[141:142]
	v_fma_f64 v[139:140], v[2:3], v[137:138], -v[139:140]
	ds_load_b128 v[2:5], v1 offset:1056
	v_fma_f64 v[44:45], v[44:45], v[6:7], v[145:146]
	v_fma_f64 v[42:43], v[42:43], v[6:7], -v[8:9]
	scratch_load_b128 v[6:9], off, off offset:576
	v_add_f64_e32 v[143:144], v[143:144], v[131:132]
	v_add_f64_e32 v[147:148], v[135:136], v[133:134]
	scratch_load_b128 v[131:134], off, off offset:560
	ds_load_b128 v[135:138], v1 offset:1072
	s_wait_loadcnt_dscnt 0x901
	v_mul_f64_e32 v[149:150], v[2:3], v[12:13]
	v_mul_f64_e32 v[12:13], v[4:5], v[12:13]
	v_add_f64_e32 v[139:140], v[143:144], v[139:140]
	v_add_f64_e32 v[141:142], v[147:148], v[141:142]
	s_wait_loadcnt_dscnt 0x800
	v_mul_f64_e32 v[143:144], v[135:136], v[16:17]
	v_mul_f64_e32 v[16:17], v[137:138], v[16:17]
	v_fma_f64 v[145:146], v[4:5], v[10:11], v[149:150]
	v_fma_f64 v[147:148], v[2:3], v[10:11], -v[12:13]
	ds_load_b128 v[2:5], v1 offset:1088
	scratch_load_b128 v[10:13], off, off offset:592
	v_add_f64_e32 v[139:140], v[139:140], v[42:43]
	v_add_f64_e32 v[141:142], v[141:142], v[44:45]
	ds_load_b128 v[42:45], v1 offset:1104
	s_wait_loadcnt_dscnt 0x801
	v_mul_f64_e32 v[149:150], v[2:3], v[20:21]
	v_mul_f64_e32 v[20:21], v[4:5], v[20:21]
	v_fma_f64 v[137:138], v[137:138], v[14:15], v[143:144]
	v_fma_f64 v[135:136], v[135:136], v[14:15], -v[16:17]
	scratch_load_b128 v[14:17], off, off offset:608
	s_wait_loadcnt_dscnt 0x800
	v_mul_f64_e32 v[143:144], v[42:43], v[24:25]
	v_mul_f64_e32 v[24:25], v[44:45], v[24:25]
	v_add_f64_e32 v[139:140], v[139:140], v[147:148]
	v_add_f64_e32 v[141:142], v[141:142], v[145:146]
	v_fma_f64 v[145:146], v[4:5], v[18:19], v[149:150]
	v_fma_f64 v[147:148], v[2:3], v[18:19], -v[20:21]
	ds_load_b128 v[2:5], v1 offset:1120
	scratch_load_b128 v[18:21], off, off offset:624
	v_fma_f64 v[44:45], v[44:45], v[22:23], v[143:144]
	v_fma_f64 v[42:43], v[42:43], v[22:23], -v[24:25]
	scratch_load_b128 v[22:25], off, off offset:640
	v_add_f64_e32 v[139:140], v[139:140], v[135:136]
	v_add_f64_e32 v[141:142], v[141:142], v[137:138]
	ds_load_b128 v[135:138], v1 offset:1136
	s_wait_loadcnt_dscnt 0x901
	v_mul_f64_e32 v[149:150], v[2:3], v[28:29]
	v_mul_f64_e32 v[28:29], v[4:5], v[28:29]
	s_wait_loadcnt_dscnt 0x800
	v_mul_f64_e32 v[143:144], v[135:136], v[32:33]
	v_mul_f64_e32 v[32:33], v[137:138], v[32:33]
	v_add_f64_e32 v[139:140], v[139:140], v[147:148]
	v_add_f64_e32 v[141:142], v[141:142], v[145:146]
	v_fma_f64 v[145:146], v[4:5], v[26:27], v[149:150]
	v_fma_f64 v[147:148], v[2:3], v[26:27], -v[28:29]
	ds_load_b128 v[2:5], v1 offset:1152
	ds_load_b128 v[26:29], v1 offset:1168
	v_fma_f64 v[137:138], v[137:138], v[30:31], v[143:144]
	v_fma_f64 v[30:31], v[135:136], v[30:31], -v[32:33]
	v_add_f64_e32 v[42:43], v[139:140], v[42:43]
	v_add_f64_e32 v[44:45], v[141:142], v[44:45]
	s_wait_loadcnt_dscnt 0x701
	v_mul_f64_e32 v[139:140], v[2:3], v[36:37]
	v_mul_f64_e32 v[36:37], v[4:5], v[36:37]
	s_delay_alu instid0(VALU_DEP_4) | instskip(NEXT) | instid1(VALU_DEP_4)
	v_add_f64_e32 v[32:33], v[42:43], v[147:148]
	v_add_f64_e32 v[42:43], v[44:45], v[145:146]
	s_delay_alu instid0(VALU_DEP_4) | instskip(NEXT) | instid1(VALU_DEP_4)
	v_fma_f64 v[135:136], v[4:5], v[34:35], v[139:140]
	v_fma_f64 v[34:35], v[2:3], v[34:35], -v[36:37]
	s_wait_loadcnt_dscnt 0x600
	v_mul_f64_e32 v[44:45], v[26:27], v[40:41]
	v_mul_f64_e32 v[40:41], v[28:29], v[40:41]
	v_add_f64_e32 v[36:37], v[32:33], v[30:31]
	v_add_f64_e32 v[42:43], v[42:43], v[137:138]
	ds_load_b128 v[2:5], v1 offset:1184
	ds_load_b128 v[30:33], v1 offset:1200
	v_fma_f64 v[28:29], v[28:29], v[38:39], v[44:45]
	v_fma_f64 v[26:27], v[26:27], v[38:39], -v[40:41]
	s_wait_loadcnt_dscnt 0x401
	v_mul_f64_e32 v[137:138], v[2:3], v[133:134]
	v_mul_f64_e32 v[133:134], v[4:5], v[133:134]
	s_wait_dscnt 0x0
	v_mul_f64_e32 v[38:39], v[30:31], v[8:9]
	v_mul_f64_e32 v[8:9], v[32:33], v[8:9]
	v_add_f64_e32 v[34:35], v[36:37], v[34:35]
	v_add_f64_e32 v[36:37], v[42:43], v[135:136]
	v_fma_f64 v[40:41], v[4:5], v[131:132], v[137:138]
	v_fma_f64 v[42:43], v[2:3], v[131:132], -v[133:134]
	v_fma_f64 v[32:33], v[32:33], v[6:7], v[38:39]
	v_fma_f64 v[6:7], v[30:31], v[6:7], -v[8:9]
	v_add_f64_e32 v[34:35], v[34:35], v[26:27]
	v_add_f64_e32 v[36:37], v[36:37], v[28:29]
	ds_load_b128 v[2:5], v1 offset:1216
	ds_load_b128 v[26:29], v1 offset:1232
	s_wait_loadcnt_dscnt 0x301
	v_mul_f64_e32 v[44:45], v[2:3], v[12:13]
	v_mul_f64_e32 v[12:13], v[4:5], v[12:13]
	v_add_f64_e32 v[8:9], v[34:35], v[42:43]
	v_add_f64_e32 v[30:31], v[36:37], v[40:41]
	s_wait_loadcnt_dscnt 0x200
	v_mul_f64_e32 v[34:35], v[26:27], v[16:17]
	v_mul_f64_e32 v[16:17], v[28:29], v[16:17]
	v_fma_f64 v[36:37], v[4:5], v[10:11], v[44:45]
	v_fma_f64 v[10:11], v[2:3], v[10:11], -v[12:13]
	v_add_f64_e32 v[12:13], v[8:9], v[6:7]
	v_add_f64_e32 v[30:31], v[30:31], v[32:33]
	ds_load_b128 v[2:5], v1 offset:1248
	ds_load_b128 v[6:9], v1 offset:1264
	v_fma_f64 v[28:29], v[28:29], v[14:15], v[34:35]
	v_fma_f64 v[14:15], v[26:27], v[14:15], -v[16:17]
	s_wait_loadcnt_dscnt 0x101
	v_mul_f64_e32 v[32:33], v[2:3], v[20:21]
	v_mul_f64_e32 v[20:21], v[4:5], v[20:21]
	s_wait_loadcnt_dscnt 0x0
	v_mul_f64_e32 v[16:17], v[6:7], v[24:25]
	v_mul_f64_e32 v[24:25], v[8:9], v[24:25]
	v_add_f64_e32 v[10:11], v[12:13], v[10:11]
	v_add_f64_e32 v[12:13], v[30:31], v[36:37]
	v_fma_f64 v[4:5], v[4:5], v[18:19], v[32:33]
	v_fma_f64 v[1:2], v[2:3], v[18:19], -v[20:21]
	v_fma_f64 v[8:9], v[8:9], v[22:23], v[16:17]
	v_fma_f64 v[6:7], v[6:7], v[22:23], -v[24:25]
	v_add_f64_e32 v[10:11], v[10:11], v[14:15]
	v_add_f64_e32 v[12:13], v[12:13], v[28:29]
	s_delay_alu instid0(VALU_DEP_2) | instskip(NEXT) | instid1(VALU_DEP_2)
	v_add_f64_e32 v[1:2], v[10:11], v[1:2]
	v_add_f64_e32 v[3:4], v[12:13], v[4:5]
	s_delay_alu instid0(VALU_DEP_2) | instskip(NEXT) | instid1(VALU_DEP_2)
	;; [unrolled: 3-line block ×3, first 2 shown]
	v_add_f64_e64 v[1:2], v[127:128], -v[1:2]
	v_add_f64_e64 v[3:4], v[129:130], -v[3:4]
	scratch_store_b128 off, v[1:4], off offset:64
	v_cmpx_lt_u32_e32 2, v0
	s_cbranch_execz .LBB103_249
; %bb.248:
	scratch_load_b128 v[1:4], off, s47
	v_mov_b32_e32 v5, 0
	s_delay_alu instid0(VALU_DEP_1)
	v_dual_mov_b32 v6, v5 :: v_dual_mov_b32 v7, v5
	v_mov_b32_e32 v8, v5
	scratch_store_b128 off, v[5:8], off offset:48
	s_wait_loadcnt 0x0
	ds_store_b128 v126, v[1:4]
.LBB103_249:
	s_wait_alu 0xfffe
	s_or_b32 exec_lo, exec_lo, s0
	s_wait_storecnt_dscnt 0x0
	s_barrier_signal -1
	s_barrier_wait -1
	global_inv scope:SCOPE_SE
	s_clause 0x7
	scratch_load_b128 v[2:5], off, off offset:64
	scratch_load_b128 v[6:9], off, off offset:80
	;; [unrolled: 1-line block ×8, first 2 shown]
	v_mov_b32_e32 v1, 0
	s_mov_b32 s0, exec_lo
	ds_load_b128 v[38:41], v1 offset:688
	s_clause 0x1
	scratch_load_b128 v[34:37], off, off offset:192
	scratch_load_b128 v[42:45], off, off offset:48
	ds_load_b128 v[127:130], v1 offset:704
	scratch_load_b128 v[131:134], off, off offset:208
	s_wait_loadcnt_dscnt 0xa01
	v_mul_f64_e32 v[135:136], v[40:41], v[4:5]
	v_mul_f64_e32 v[4:5], v[38:39], v[4:5]
	s_delay_alu instid0(VALU_DEP_2) | instskip(NEXT) | instid1(VALU_DEP_2)
	v_fma_f64 v[141:142], v[38:39], v[2:3], -v[135:136]
	v_fma_f64 v[143:144], v[40:41], v[2:3], v[4:5]
	ds_load_b128 v[2:5], v1 offset:720
	s_wait_loadcnt_dscnt 0x901
	v_mul_f64_e32 v[139:140], v[127:128], v[8:9]
	v_mul_f64_e32 v[8:9], v[129:130], v[8:9]
	scratch_load_b128 v[38:41], off, off offset:224
	ds_load_b128 v[135:138], v1 offset:736
	s_wait_loadcnt_dscnt 0x901
	v_mul_f64_e32 v[145:146], v[2:3], v[12:13]
	v_mul_f64_e32 v[12:13], v[4:5], v[12:13]
	v_fma_f64 v[129:130], v[129:130], v[6:7], v[139:140]
	v_fma_f64 v[127:128], v[127:128], v[6:7], -v[8:9]
	v_add_f64_e32 v[139:140], 0, v[141:142]
	v_add_f64_e32 v[141:142], 0, v[143:144]
	scratch_load_b128 v[6:9], off, off offset:240
	v_fma_f64 v[145:146], v[4:5], v[10:11], v[145:146]
	v_fma_f64 v[147:148], v[2:3], v[10:11], -v[12:13]
	ds_load_b128 v[2:5], v1 offset:752
	s_wait_loadcnt_dscnt 0x901
	v_mul_f64_e32 v[143:144], v[135:136], v[16:17]
	v_mul_f64_e32 v[16:17], v[137:138], v[16:17]
	scratch_load_b128 v[10:13], off, off offset:256
	v_add_f64_e32 v[139:140], v[139:140], v[127:128]
	v_add_f64_e32 v[141:142], v[141:142], v[129:130]
	s_wait_loadcnt_dscnt 0x900
	v_mul_f64_e32 v[149:150], v[2:3], v[20:21]
	v_mul_f64_e32 v[20:21], v[4:5], v[20:21]
	ds_load_b128 v[127:130], v1 offset:768
	v_fma_f64 v[137:138], v[137:138], v[14:15], v[143:144]
	v_fma_f64 v[135:136], v[135:136], v[14:15], -v[16:17]
	scratch_load_b128 v[14:17], off, off offset:272
	v_add_f64_e32 v[139:140], v[139:140], v[147:148]
	v_add_f64_e32 v[141:142], v[141:142], v[145:146]
	v_fma_f64 v[145:146], v[4:5], v[18:19], v[149:150]
	v_fma_f64 v[147:148], v[2:3], v[18:19], -v[20:21]
	ds_load_b128 v[2:5], v1 offset:784
	s_wait_loadcnt_dscnt 0x901
	v_mul_f64_e32 v[143:144], v[127:128], v[24:25]
	v_mul_f64_e32 v[24:25], v[129:130], v[24:25]
	scratch_load_b128 v[18:21], off, off offset:288
	s_wait_loadcnt_dscnt 0x900
	v_mul_f64_e32 v[149:150], v[2:3], v[28:29]
	v_mul_f64_e32 v[28:29], v[4:5], v[28:29]
	v_add_f64_e32 v[139:140], v[139:140], v[135:136]
	v_add_f64_e32 v[141:142], v[141:142], v[137:138]
	ds_load_b128 v[135:138], v1 offset:800
	v_fma_f64 v[129:130], v[129:130], v[22:23], v[143:144]
	v_fma_f64 v[127:128], v[127:128], v[22:23], -v[24:25]
	scratch_load_b128 v[22:25], off, off offset:304
	v_add_f64_e32 v[139:140], v[139:140], v[147:148]
	v_add_f64_e32 v[141:142], v[141:142], v[145:146]
	v_fma_f64 v[145:146], v[4:5], v[26:27], v[149:150]
	v_fma_f64 v[147:148], v[2:3], v[26:27], -v[28:29]
	ds_load_b128 v[2:5], v1 offset:816
	s_wait_loadcnt_dscnt 0x901
	v_mul_f64_e32 v[143:144], v[135:136], v[32:33]
	v_mul_f64_e32 v[32:33], v[137:138], v[32:33]
	scratch_load_b128 v[26:29], off, off offset:320
	s_wait_loadcnt_dscnt 0x900
	v_mul_f64_e32 v[149:150], v[2:3], v[36:37]
	v_mul_f64_e32 v[36:37], v[4:5], v[36:37]
	v_add_f64_e32 v[139:140], v[139:140], v[127:128]
	v_add_f64_e32 v[141:142], v[141:142], v[129:130]
	ds_load_b128 v[127:130], v1 offset:832
	v_fma_f64 v[137:138], v[137:138], v[30:31], v[143:144]
	v_fma_f64 v[135:136], v[135:136], v[30:31], -v[32:33]
	scratch_load_b128 v[30:33], off, off offset:336
	v_add_f64_e32 v[139:140], v[139:140], v[147:148]
	v_add_f64_e32 v[141:142], v[141:142], v[145:146]
	v_fma_f64 v[147:148], v[4:5], v[34:35], v[149:150]
	v_fma_f64 v[149:150], v[2:3], v[34:35], -v[36:37]
	ds_load_b128 v[2:5], v1 offset:848
	s_wait_loadcnt_dscnt 0x801
	v_mul_f64_e32 v[143:144], v[127:128], v[133:134]
	v_mul_f64_e32 v[145:146], v[129:130], v[133:134]
	scratch_load_b128 v[34:37], off, off offset:352
	v_add_f64_e32 v[139:140], v[139:140], v[135:136]
	v_add_f64_e32 v[137:138], v[141:142], v[137:138]
	ds_load_b128 v[133:136], v1 offset:864
	v_fma_f64 v[143:144], v[129:130], v[131:132], v[143:144]
	v_fma_f64 v[131:132], v[127:128], v[131:132], -v[145:146]
	scratch_load_b128 v[127:130], off, off offset:368
	s_wait_loadcnt_dscnt 0x901
	v_mul_f64_e32 v[141:142], v[2:3], v[40:41]
	v_mul_f64_e32 v[40:41], v[4:5], v[40:41]
	v_add_f64_e32 v[139:140], v[139:140], v[149:150]
	v_add_f64_e32 v[137:138], v[137:138], v[147:148]
	s_delay_alu instid0(VALU_DEP_4) | instskip(NEXT) | instid1(VALU_DEP_4)
	v_fma_f64 v[141:142], v[4:5], v[38:39], v[141:142]
	v_fma_f64 v[147:148], v[2:3], v[38:39], -v[40:41]
	ds_load_b128 v[2:5], v1 offset:880
	s_wait_loadcnt_dscnt 0x801
	v_mul_f64_e32 v[145:146], v[133:134], v[8:9]
	v_mul_f64_e32 v[8:9], v[135:136], v[8:9]
	scratch_load_b128 v[38:41], off, off offset:384
	s_wait_loadcnt_dscnt 0x800
	v_mul_f64_e32 v[149:150], v[2:3], v[12:13]
	v_add_f64_e32 v[131:132], v[139:140], v[131:132]
	v_add_f64_e32 v[143:144], v[137:138], v[143:144]
	v_mul_f64_e32 v[12:13], v[4:5], v[12:13]
	ds_load_b128 v[137:140], v1 offset:896
	v_fma_f64 v[135:136], v[135:136], v[6:7], v[145:146]
	v_fma_f64 v[133:134], v[133:134], v[6:7], -v[8:9]
	scratch_load_b128 v[6:9], off, off offset:400
	v_fma_f64 v[145:146], v[4:5], v[10:11], v[149:150]
	v_add_f64_e32 v[131:132], v[131:132], v[147:148]
	v_add_f64_e32 v[141:142], v[143:144], v[141:142]
	v_fma_f64 v[147:148], v[2:3], v[10:11], -v[12:13]
	ds_load_b128 v[2:5], v1 offset:912
	s_wait_loadcnt_dscnt 0x801
	v_mul_f64_e32 v[143:144], v[137:138], v[16:17]
	v_mul_f64_e32 v[16:17], v[139:140], v[16:17]
	scratch_load_b128 v[10:13], off, off offset:416
	v_add_f64_e32 v[149:150], v[131:132], v[133:134]
	v_add_f64_e32 v[135:136], v[141:142], v[135:136]
	s_wait_loadcnt_dscnt 0x800
	v_mul_f64_e32 v[141:142], v[2:3], v[20:21]
	v_mul_f64_e32 v[20:21], v[4:5], v[20:21]
	v_fma_f64 v[139:140], v[139:140], v[14:15], v[143:144]
	v_fma_f64 v[137:138], v[137:138], v[14:15], -v[16:17]
	ds_load_b128 v[131:134], v1 offset:928
	scratch_load_b128 v[14:17], off, off offset:432
	v_add_f64_e32 v[143:144], v[149:150], v[147:148]
	v_add_f64_e32 v[135:136], v[135:136], v[145:146]
	v_fma_f64 v[141:142], v[4:5], v[18:19], v[141:142]
	v_fma_f64 v[147:148], v[2:3], v[18:19], -v[20:21]
	ds_load_b128 v[2:5], v1 offset:944
	s_wait_loadcnt_dscnt 0x801
	v_mul_f64_e32 v[145:146], v[131:132], v[24:25]
	v_mul_f64_e32 v[24:25], v[133:134], v[24:25]
	scratch_load_b128 v[18:21], off, off offset:448
	s_wait_loadcnt_dscnt 0x800
	v_mul_f64_e32 v[149:150], v[2:3], v[28:29]
	v_mul_f64_e32 v[28:29], v[4:5], v[28:29]
	v_add_f64_e32 v[143:144], v[143:144], v[137:138]
	v_add_f64_e32 v[139:140], v[135:136], v[139:140]
	ds_load_b128 v[135:138], v1 offset:960
	v_fma_f64 v[133:134], v[133:134], v[22:23], v[145:146]
	v_fma_f64 v[131:132], v[131:132], v[22:23], -v[24:25]
	scratch_load_b128 v[22:25], off, off offset:464
	v_fma_f64 v[145:146], v[4:5], v[26:27], v[149:150]
	v_add_f64_e32 v[143:144], v[143:144], v[147:148]
	v_add_f64_e32 v[139:140], v[139:140], v[141:142]
	v_fma_f64 v[147:148], v[2:3], v[26:27], -v[28:29]
	ds_load_b128 v[2:5], v1 offset:976
	s_wait_loadcnt_dscnt 0x801
	v_mul_f64_e32 v[141:142], v[135:136], v[32:33]
	v_mul_f64_e32 v[32:33], v[137:138], v[32:33]
	scratch_load_b128 v[26:29], off, off offset:480
	s_wait_loadcnt_dscnt 0x800
	v_mul_f64_e32 v[149:150], v[2:3], v[36:37]
	v_mul_f64_e32 v[36:37], v[4:5], v[36:37]
	v_add_f64_e32 v[143:144], v[143:144], v[131:132]
	v_add_f64_e32 v[139:140], v[139:140], v[133:134]
	ds_load_b128 v[131:134], v1 offset:992
	v_fma_f64 v[137:138], v[137:138], v[30:31], v[141:142]
	v_fma_f64 v[135:136], v[135:136], v[30:31], -v[32:33]
	scratch_load_b128 v[30:33], off, off offset:496
	v_add_f64_e32 v[141:142], v[143:144], v[147:148]
	v_add_f64_e32 v[139:140], v[139:140], v[145:146]
	v_fma_f64 v[145:146], v[4:5], v[34:35], v[149:150]
	v_fma_f64 v[147:148], v[2:3], v[34:35], -v[36:37]
	ds_load_b128 v[2:5], v1 offset:1008
	s_wait_loadcnt_dscnt 0x801
	v_mul_f64_e32 v[143:144], v[131:132], v[129:130]
	v_mul_f64_e32 v[129:130], v[133:134], v[129:130]
	scratch_load_b128 v[34:37], off, off offset:512
	s_wait_loadcnt_dscnt 0x800
	v_mul_f64_e32 v[149:150], v[2:3], v[40:41]
	v_mul_f64_e32 v[40:41], v[4:5], v[40:41]
	v_add_f64_e32 v[141:142], v[141:142], v[135:136]
	v_add_f64_e32 v[139:140], v[139:140], v[137:138]
	ds_load_b128 v[135:138], v1 offset:1024
	v_fma_f64 v[133:134], v[133:134], v[127:128], v[143:144]
	v_fma_f64 v[131:132], v[131:132], v[127:128], -v[129:130]
	scratch_load_b128 v[127:130], off, off offset:528
	v_add_f64_e32 v[141:142], v[141:142], v[147:148]
	v_add_f64_e32 v[139:140], v[139:140], v[145:146]
	v_fma_f64 v[145:146], v[4:5], v[38:39], v[149:150]
	;; [unrolled: 18-line block ×5, first 2 shown]
	v_fma_f64 v[147:148], v[2:3], v[26:27], -v[28:29]
	ds_load_b128 v[2:5], v1 offset:1136
	s_wait_loadcnt_dscnt 0x801
	v_mul_f64_e32 v[143:144], v[131:132], v[32:33]
	v_mul_f64_e32 v[32:33], v[133:134], v[32:33]
	scratch_load_b128 v[26:29], off, off offset:640
	s_wait_loadcnt_dscnt 0x800
	v_mul_f64_e32 v[149:150], v[2:3], v[36:37]
	v_mul_f64_e32 v[36:37], v[4:5], v[36:37]
	v_add_f64_e32 v[141:142], v[141:142], v[135:136]
	v_add_f64_e32 v[139:140], v[139:140], v[137:138]
	ds_load_b128 v[135:138], v1 offset:1152
	v_fma_f64 v[133:134], v[133:134], v[30:31], v[143:144]
	v_fma_f64 v[30:31], v[131:132], v[30:31], -v[32:33]
	v_add_f64_e32 v[32:33], v[141:142], v[147:148]
	v_add_f64_e32 v[131:132], v[139:140], v[145:146]
	s_wait_loadcnt_dscnt 0x700
	v_mul_f64_e32 v[139:140], v[135:136], v[129:130]
	v_mul_f64_e32 v[129:130], v[137:138], v[129:130]
	v_fma_f64 v[141:142], v[4:5], v[34:35], v[149:150]
	v_fma_f64 v[34:35], v[2:3], v[34:35], -v[36:37]
	v_add_f64_e32 v[36:37], v[32:33], v[30:31]
	v_add_f64_e32 v[131:132], v[131:132], v[133:134]
	ds_load_b128 v[2:5], v1 offset:1168
	ds_load_b128 v[30:33], v1 offset:1184
	v_fma_f64 v[137:138], v[137:138], v[127:128], v[139:140]
	v_fma_f64 v[127:128], v[135:136], v[127:128], -v[129:130]
	s_wait_loadcnt_dscnt 0x601
	v_mul_f64_e32 v[133:134], v[2:3], v[40:41]
	v_mul_f64_e32 v[40:41], v[4:5], v[40:41]
	s_wait_loadcnt_dscnt 0x500
	v_mul_f64_e32 v[129:130], v[30:31], v[8:9]
	v_mul_f64_e32 v[8:9], v[32:33], v[8:9]
	v_add_f64_e32 v[34:35], v[36:37], v[34:35]
	v_add_f64_e32 v[36:37], v[131:132], v[141:142]
	v_fma_f64 v[131:132], v[4:5], v[38:39], v[133:134]
	v_fma_f64 v[38:39], v[2:3], v[38:39], -v[40:41]
	v_fma_f64 v[32:33], v[32:33], v[6:7], v[129:130]
	v_fma_f64 v[6:7], v[30:31], v[6:7], -v[8:9]
	v_add_f64_e32 v[40:41], v[34:35], v[127:128]
	v_add_f64_e32 v[127:128], v[36:37], v[137:138]
	ds_load_b128 v[2:5], v1 offset:1200
	ds_load_b128 v[34:37], v1 offset:1216
	s_wait_loadcnt_dscnt 0x401
	v_mul_f64_e32 v[133:134], v[2:3], v[12:13]
	v_mul_f64_e32 v[12:13], v[4:5], v[12:13]
	v_add_f64_e32 v[8:9], v[40:41], v[38:39]
	v_add_f64_e32 v[30:31], v[127:128], v[131:132]
	s_wait_loadcnt_dscnt 0x300
	v_mul_f64_e32 v[38:39], v[34:35], v[16:17]
	v_mul_f64_e32 v[16:17], v[36:37], v[16:17]
	v_fma_f64 v[40:41], v[4:5], v[10:11], v[133:134]
	v_fma_f64 v[10:11], v[2:3], v[10:11], -v[12:13]
	v_add_f64_e32 v[12:13], v[8:9], v[6:7]
	v_add_f64_e32 v[30:31], v[30:31], v[32:33]
	ds_load_b128 v[2:5], v1 offset:1232
	ds_load_b128 v[6:9], v1 offset:1248
	v_fma_f64 v[36:37], v[36:37], v[14:15], v[38:39]
	v_fma_f64 v[14:15], v[34:35], v[14:15], -v[16:17]
	s_wait_loadcnt_dscnt 0x201
	v_mul_f64_e32 v[32:33], v[2:3], v[20:21]
	v_mul_f64_e32 v[20:21], v[4:5], v[20:21]
	s_wait_loadcnt_dscnt 0x100
	v_mul_f64_e32 v[16:17], v[6:7], v[24:25]
	v_mul_f64_e32 v[24:25], v[8:9], v[24:25]
	v_add_f64_e32 v[10:11], v[12:13], v[10:11]
	v_add_f64_e32 v[12:13], v[30:31], v[40:41]
	v_fma_f64 v[30:31], v[4:5], v[18:19], v[32:33]
	v_fma_f64 v[18:19], v[2:3], v[18:19], -v[20:21]
	ds_load_b128 v[2:5], v1 offset:1264
	v_fma_f64 v[8:9], v[8:9], v[22:23], v[16:17]
	v_fma_f64 v[6:7], v[6:7], v[22:23], -v[24:25]
	v_add_f64_e32 v[10:11], v[10:11], v[14:15]
	v_add_f64_e32 v[12:13], v[12:13], v[36:37]
	s_wait_loadcnt_dscnt 0x0
	v_mul_f64_e32 v[14:15], v[2:3], v[28:29]
	v_mul_f64_e32 v[20:21], v[4:5], v[28:29]
	s_delay_alu instid0(VALU_DEP_4) | instskip(NEXT) | instid1(VALU_DEP_4)
	v_add_f64_e32 v[10:11], v[10:11], v[18:19]
	v_add_f64_e32 v[12:13], v[12:13], v[30:31]
	s_delay_alu instid0(VALU_DEP_4) | instskip(NEXT) | instid1(VALU_DEP_4)
	v_fma_f64 v[4:5], v[4:5], v[26:27], v[14:15]
	v_fma_f64 v[2:3], v[2:3], v[26:27], -v[20:21]
	s_delay_alu instid0(VALU_DEP_4) | instskip(NEXT) | instid1(VALU_DEP_4)
	v_add_f64_e32 v[6:7], v[10:11], v[6:7]
	v_add_f64_e32 v[8:9], v[12:13], v[8:9]
	s_delay_alu instid0(VALU_DEP_2) | instskip(NEXT) | instid1(VALU_DEP_2)
	v_add_f64_e32 v[2:3], v[6:7], v[2:3]
	v_add_f64_e32 v[4:5], v[8:9], v[4:5]
	s_delay_alu instid0(VALU_DEP_2) | instskip(NEXT) | instid1(VALU_DEP_2)
	v_add_f64_e64 v[2:3], v[42:43], -v[2:3]
	v_add_f64_e64 v[4:5], v[44:45], -v[4:5]
	scratch_store_b128 off, v[2:5], off offset:48
	v_cmpx_lt_u32_e32 1, v0
	s_cbranch_execz .LBB103_251
; %bb.250:
	scratch_load_b128 v[5:8], off, s48
	v_dual_mov_b32 v2, v1 :: v_dual_mov_b32 v3, v1
	v_mov_b32_e32 v4, v1
	scratch_store_b128 off, v[1:4], off offset:32
	s_wait_loadcnt 0x0
	ds_store_b128 v126, v[5:8]
.LBB103_251:
	s_wait_alu 0xfffe
	s_or_b32 exec_lo, exec_lo, s0
	s_wait_storecnt_dscnt 0x0
	s_barrier_signal -1
	s_barrier_wait -1
	global_inv scope:SCOPE_SE
	s_clause 0x8
	scratch_load_b128 v[2:5], off, off offset:48
	scratch_load_b128 v[6:9], off, off offset:64
	;; [unrolled: 1-line block ×9, first 2 shown]
	ds_load_b128 v[42:45], v1 offset:672
	ds_load_b128 v[38:41], v1 offset:688
	s_clause 0x1
	scratch_load_b128 v[127:130], off, off offset:32
	scratch_load_b128 v[131:134], off, off offset:192
	s_mov_b32 s0, exec_lo
	s_wait_loadcnt_dscnt 0xa01
	v_mul_f64_e32 v[135:136], v[44:45], v[4:5]
	v_mul_f64_e32 v[4:5], v[42:43], v[4:5]
	s_wait_loadcnt_dscnt 0x900
	v_mul_f64_e32 v[139:140], v[38:39], v[8:9]
	v_mul_f64_e32 v[8:9], v[40:41], v[8:9]
	s_delay_alu instid0(VALU_DEP_4) | instskip(NEXT) | instid1(VALU_DEP_4)
	v_fma_f64 v[141:142], v[42:43], v[2:3], -v[135:136]
	v_fma_f64 v[143:144], v[44:45], v[2:3], v[4:5]
	ds_load_b128 v[2:5], v1 offset:704
	ds_load_b128 v[135:138], v1 offset:720
	scratch_load_b128 v[42:45], off, off offset:208
	v_fma_f64 v[40:41], v[40:41], v[6:7], v[139:140]
	v_fma_f64 v[38:39], v[38:39], v[6:7], -v[8:9]
	scratch_load_b128 v[6:9], off, off offset:224
	s_wait_loadcnt_dscnt 0xa01
	v_mul_f64_e32 v[145:146], v[2:3], v[12:13]
	v_mul_f64_e32 v[12:13], v[4:5], v[12:13]
	v_add_f64_e32 v[139:140], 0, v[141:142]
	v_add_f64_e32 v[141:142], 0, v[143:144]
	s_wait_loadcnt_dscnt 0x900
	v_mul_f64_e32 v[143:144], v[135:136], v[16:17]
	v_mul_f64_e32 v[16:17], v[137:138], v[16:17]
	v_fma_f64 v[145:146], v[4:5], v[10:11], v[145:146]
	v_fma_f64 v[147:148], v[2:3], v[10:11], -v[12:13]
	ds_load_b128 v[2:5], v1 offset:736
	scratch_load_b128 v[10:13], off, off offset:240
	v_add_f64_e32 v[139:140], v[139:140], v[38:39]
	v_add_f64_e32 v[141:142], v[141:142], v[40:41]
	ds_load_b128 v[38:41], v1 offset:752
	v_fma_f64 v[137:138], v[137:138], v[14:15], v[143:144]
	v_fma_f64 v[135:136], v[135:136], v[14:15], -v[16:17]
	scratch_load_b128 v[14:17], off, off offset:256
	s_wait_loadcnt_dscnt 0xa01
	v_mul_f64_e32 v[149:150], v[2:3], v[20:21]
	v_mul_f64_e32 v[20:21], v[4:5], v[20:21]
	s_wait_loadcnt_dscnt 0x900
	v_mul_f64_e32 v[143:144], v[38:39], v[24:25]
	v_mul_f64_e32 v[24:25], v[40:41], v[24:25]
	v_add_f64_e32 v[139:140], v[139:140], v[147:148]
	v_add_f64_e32 v[141:142], v[141:142], v[145:146]
	v_fma_f64 v[145:146], v[4:5], v[18:19], v[149:150]
	v_fma_f64 v[147:148], v[2:3], v[18:19], -v[20:21]
	ds_load_b128 v[2:5], v1 offset:768
	scratch_load_b128 v[18:21], off, off offset:272
	v_fma_f64 v[40:41], v[40:41], v[22:23], v[143:144]
	v_fma_f64 v[38:39], v[38:39], v[22:23], -v[24:25]
	scratch_load_b128 v[22:25], off, off offset:288
	v_add_f64_e32 v[139:140], v[139:140], v[135:136]
	v_add_f64_e32 v[141:142], v[141:142], v[137:138]
	ds_load_b128 v[135:138], v1 offset:784
	s_wait_loadcnt_dscnt 0xa01
	v_mul_f64_e32 v[149:150], v[2:3], v[28:29]
	v_mul_f64_e32 v[28:29], v[4:5], v[28:29]
	s_wait_loadcnt_dscnt 0x900
	v_mul_f64_e32 v[143:144], v[135:136], v[32:33]
	v_mul_f64_e32 v[32:33], v[137:138], v[32:33]
	v_add_f64_e32 v[139:140], v[139:140], v[147:148]
	v_add_f64_e32 v[141:142], v[141:142], v[145:146]
	v_fma_f64 v[145:146], v[4:5], v[26:27], v[149:150]
	v_fma_f64 v[147:148], v[2:3], v[26:27], -v[28:29]
	ds_load_b128 v[2:5], v1 offset:800
	scratch_load_b128 v[26:29], off, off offset:304
	v_fma_f64 v[137:138], v[137:138], v[30:31], v[143:144]
	v_fma_f64 v[135:136], v[135:136], v[30:31], -v[32:33]
	scratch_load_b128 v[30:33], off, off offset:320
	v_add_f64_e32 v[139:140], v[139:140], v[38:39]
	v_add_f64_e32 v[141:142], v[141:142], v[40:41]
	ds_load_b128 v[38:41], v1 offset:816
	s_wait_loadcnt_dscnt 0xa01
	v_mul_f64_e32 v[149:150], v[2:3], v[36:37]
	v_mul_f64_e32 v[36:37], v[4:5], v[36:37]
	s_wait_loadcnt_dscnt 0x800
	v_mul_f64_e32 v[143:144], v[38:39], v[133:134]
	v_add_f64_e32 v[139:140], v[139:140], v[147:148]
	v_add_f64_e32 v[141:142], v[141:142], v[145:146]
	v_mul_f64_e32 v[145:146], v[40:41], v[133:134]
	v_fma_f64 v[147:148], v[4:5], v[34:35], v[149:150]
	v_fma_f64 v[149:150], v[2:3], v[34:35], -v[36:37]
	ds_load_b128 v[2:5], v1 offset:832
	scratch_load_b128 v[34:37], off, off offset:336
	v_fma_f64 v[143:144], v[40:41], v[131:132], v[143:144]
	v_add_f64_e32 v[139:140], v[139:140], v[135:136]
	v_add_f64_e32 v[137:138], v[141:142], v[137:138]
	ds_load_b128 v[133:136], v1 offset:848
	v_fma_f64 v[131:132], v[38:39], v[131:132], -v[145:146]
	scratch_load_b128 v[38:41], off, off offset:352
	s_wait_loadcnt_dscnt 0x901
	v_mul_f64_e32 v[141:142], v[2:3], v[44:45]
	v_mul_f64_e32 v[44:45], v[4:5], v[44:45]
	s_wait_loadcnt_dscnt 0x800
	v_mul_f64_e32 v[145:146], v[133:134], v[8:9]
	v_mul_f64_e32 v[8:9], v[135:136], v[8:9]
	v_add_f64_e32 v[139:140], v[139:140], v[149:150]
	v_add_f64_e32 v[137:138], v[137:138], v[147:148]
	v_fma_f64 v[141:142], v[4:5], v[42:43], v[141:142]
	v_fma_f64 v[147:148], v[2:3], v[42:43], -v[44:45]
	ds_load_b128 v[2:5], v1 offset:864
	scratch_load_b128 v[42:45], off, off offset:368
	v_fma_f64 v[135:136], v[135:136], v[6:7], v[145:146]
	v_fma_f64 v[133:134], v[133:134], v[6:7], -v[8:9]
	scratch_load_b128 v[6:9], off, off offset:384
	v_add_f64_e32 v[131:132], v[139:140], v[131:132]
	v_add_f64_e32 v[143:144], v[137:138], v[143:144]
	ds_load_b128 v[137:140], v1 offset:880
	s_wait_loadcnt_dscnt 0x901
	v_mul_f64_e32 v[149:150], v[2:3], v[12:13]
	v_mul_f64_e32 v[12:13], v[4:5], v[12:13]
	v_add_f64_e32 v[131:132], v[131:132], v[147:148]
	v_add_f64_e32 v[141:142], v[143:144], v[141:142]
	s_wait_loadcnt_dscnt 0x800
	v_mul_f64_e32 v[143:144], v[137:138], v[16:17]
	v_mul_f64_e32 v[16:17], v[139:140], v[16:17]
	v_fma_f64 v[145:146], v[4:5], v[10:11], v[149:150]
	v_fma_f64 v[147:148], v[2:3], v[10:11], -v[12:13]
	ds_load_b128 v[2:5], v1 offset:896
	scratch_load_b128 v[10:13], off, off offset:400
	v_add_f64_e32 v[149:150], v[131:132], v[133:134]
	v_add_f64_e32 v[135:136], v[141:142], v[135:136]
	ds_load_b128 v[131:134], v1 offset:912
	s_wait_loadcnt_dscnt 0x801
	v_mul_f64_e32 v[141:142], v[2:3], v[20:21]
	v_mul_f64_e32 v[20:21], v[4:5], v[20:21]
	v_fma_f64 v[139:140], v[139:140], v[14:15], v[143:144]
	v_fma_f64 v[137:138], v[137:138], v[14:15], -v[16:17]
	scratch_load_b128 v[14:17], off, off offset:416
	v_add_f64_e32 v[143:144], v[149:150], v[147:148]
	v_add_f64_e32 v[135:136], v[135:136], v[145:146]
	s_wait_loadcnt_dscnt 0x800
	v_mul_f64_e32 v[145:146], v[131:132], v[24:25]
	v_mul_f64_e32 v[24:25], v[133:134], v[24:25]
	v_fma_f64 v[141:142], v[4:5], v[18:19], v[141:142]
	v_fma_f64 v[147:148], v[2:3], v[18:19], -v[20:21]
	ds_load_b128 v[2:5], v1 offset:928
	scratch_load_b128 v[18:21], off, off offset:432
	v_add_f64_e32 v[143:144], v[143:144], v[137:138]
	v_add_f64_e32 v[139:140], v[135:136], v[139:140]
	ds_load_b128 v[135:138], v1 offset:944
	s_wait_loadcnt_dscnt 0x801
	v_mul_f64_e32 v[149:150], v[2:3], v[28:29]
	v_mul_f64_e32 v[28:29], v[4:5], v[28:29]
	v_fma_f64 v[133:134], v[133:134], v[22:23], v[145:146]
	v_fma_f64 v[131:132], v[131:132], v[22:23], -v[24:25]
	scratch_load_b128 v[22:25], off, off offset:448
	;; [unrolled: 18-line block ×4, first 2 shown]
	s_wait_loadcnt_dscnt 0x800
	v_mul_f64_e32 v[143:144], v[135:136], v[8:9]
	v_mul_f64_e32 v[8:9], v[137:138], v[8:9]
	v_add_f64_e32 v[141:142], v[141:142], v[147:148]
	v_add_f64_e32 v[139:140], v[139:140], v[145:146]
	v_fma_f64 v[145:146], v[4:5], v[42:43], v[149:150]
	v_fma_f64 v[147:148], v[2:3], v[42:43], -v[44:45]
	ds_load_b128 v[2:5], v1 offset:1024
	scratch_load_b128 v[42:45], off, off offset:528
	v_fma_f64 v[137:138], v[137:138], v[6:7], v[143:144]
	v_fma_f64 v[135:136], v[135:136], v[6:7], -v[8:9]
	scratch_load_b128 v[6:9], off, off offset:544
	v_add_f64_e32 v[141:142], v[141:142], v[131:132]
	v_add_f64_e32 v[139:140], v[139:140], v[133:134]
	ds_load_b128 v[131:134], v1 offset:1040
	s_wait_loadcnt_dscnt 0x901
	v_mul_f64_e32 v[149:150], v[2:3], v[12:13]
	v_mul_f64_e32 v[12:13], v[4:5], v[12:13]
	s_wait_loadcnt_dscnt 0x800
	v_mul_f64_e32 v[143:144], v[131:132], v[16:17]
	v_mul_f64_e32 v[16:17], v[133:134], v[16:17]
	v_add_f64_e32 v[141:142], v[141:142], v[147:148]
	v_add_f64_e32 v[139:140], v[139:140], v[145:146]
	v_fma_f64 v[145:146], v[4:5], v[10:11], v[149:150]
	v_fma_f64 v[147:148], v[2:3], v[10:11], -v[12:13]
	ds_load_b128 v[2:5], v1 offset:1056
	scratch_load_b128 v[10:13], off, off offset:560
	v_fma_f64 v[133:134], v[133:134], v[14:15], v[143:144]
	v_fma_f64 v[131:132], v[131:132], v[14:15], -v[16:17]
	scratch_load_b128 v[14:17], off, off offset:576
	v_add_f64_e32 v[141:142], v[141:142], v[135:136]
	v_add_f64_e32 v[139:140], v[139:140], v[137:138]
	ds_load_b128 v[135:138], v1 offset:1072
	s_wait_loadcnt_dscnt 0x901
	v_mul_f64_e32 v[149:150], v[2:3], v[20:21]
	v_mul_f64_e32 v[20:21], v[4:5], v[20:21]
	;; [unrolled: 18-line block ×4, first 2 shown]
	s_wait_loadcnt_dscnt 0x800
	v_mul_f64_e32 v[143:144], v[135:136], v[40:41]
	v_mul_f64_e32 v[40:41], v[137:138], v[40:41]
	v_add_f64_e32 v[141:142], v[141:142], v[147:148]
	v_add_f64_e32 v[139:140], v[139:140], v[145:146]
	v_fma_f64 v[145:146], v[4:5], v[34:35], v[149:150]
	v_fma_f64 v[147:148], v[2:3], v[34:35], -v[36:37]
	ds_load_b128 v[2:5], v1 offset:1152
	ds_load_b128 v[34:37], v1 offset:1168
	v_fma_f64 v[137:138], v[137:138], v[38:39], v[143:144]
	v_fma_f64 v[38:39], v[135:136], v[38:39], -v[40:41]
	v_add_f64_e32 v[131:132], v[141:142], v[131:132]
	v_add_f64_e32 v[133:134], v[139:140], v[133:134]
	s_wait_loadcnt_dscnt 0x701
	v_mul_f64_e32 v[139:140], v[2:3], v[44:45]
	v_mul_f64_e32 v[44:45], v[4:5], v[44:45]
	s_delay_alu instid0(VALU_DEP_4) | instskip(NEXT) | instid1(VALU_DEP_4)
	v_add_f64_e32 v[40:41], v[131:132], v[147:148]
	v_add_f64_e32 v[131:132], v[133:134], v[145:146]
	s_wait_loadcnt_dscnt 0x600
	v_mul_f64_e32 v[133:134], v[34:35], v[8:9]
	v_mul_f64_e32 v[8:9], v[36:37], v[8:9]
	v_fma_f64 v[135:136], v[4:5], v[42:43], v[139:140]
	v_fma_f64 v[42:43], v[2:3], v[42:43], -v[44:45]
	v_add_f64_e32 v[44:45], v[40:41], v[38:39]
	v_add_f64_e32 v[131:132], v[131:132], v[137:138]
	ds_load_b128 v[2:5], v1 offset:1184
	ds_load_b128 v[38:41], v1 offset:1200
	v_fma_f64 v[36:37], v[36:37], v[6:7], v[133:134]
	v_fma_f64 v[6:7], v[34:35], v[6:7], -v[8:9]
	s_wait_loadcnt_dscnt 0x501
	v_mul_f64_e32 v[137:138], v[2:3], v[12:13]
	v_mul_f64_e32 v[12:13], v[4:5], v[12:13]
	v_add_f64_e32 v[8:9], v[44:45], v[42:43]
	v_add_f64_e32 v[34:35], v[131:132], v[135:136]
	s_wait_loadcnt_dscnt 0x400
	v_mul_f64_e32 v[42:43], v[38:39], v[16:17]
	v_mul_f64_e32 v[16:17], v[40:41], v[16:17]
	v_fma_f64 v[44:45], v[4:5], v[10:11], v[137:138]
	v_fma_f64 v[10:11], v[2:3], v[10:11], -v[12:13]
	v_add_f64_e32 v[12:13], v[8:9], v[6:7]
	v_add_f64_e32 v[34:35], v[34:35], v[36:37]
	ds_load_b128 v[2:5], v1 offset:1216
	ds_load_b128 v[6:9], v1 offset:1232
	v_fma_f64 v[40:41], v[40:41], v[14:15], v[42:43]
	v_fma_f64 v[14:15], v[38:39], v[14:15], -v[16:17]
	s_wait_loadcnt_dscnt 0x301
	v_mul_f64_e32 v[36:37], v[2:3], v[20:21]
	v_mul_f64_e32 v[20:21], v[4:5], v[20:21]
	s_wait_loadcnt_dscnt 0x200
	v_mul_f64_e32 v[16:17], v[6:7], v[24:25]
	v_mul_f64_e32 v[24:25], v[8:9], v[24:25]
	v_add_f64_e32 v[10:11], v[12:13], v[10:11]
	v_add_f64_e32 v[12:13], v[34:35], v[44:45]
	v_fma_f64 v[34:35], v[4:5], v[18:19], v[36:37]
	v_fma_f64 v[18:19], v[2:3], v[18:19], -v[20:21]
	v_fma_f64 v[8:9], v[8:9], v[22:23], v[16:17]
	v_fma_f64 v[6:7], v[6:7], v[22:23], -v[24:25]
	v_add_f64_e32 v[14:15], v[10:11], v[14:15]
	v_add_f64_e32 v[20:21], v[12:13], v[40:41]
	ds_load_b128 v[2:5], v1 offset:1248
	ds_load_b128 v[10:13], v1 offset:1264
	s_wait_loadcnt_dscnt 0x101
	v_mul_f64_e32 v[36:37], v[2:3], v[28:29]
	v_mul_f64_e32 v[28:29], v[4:5], v[28:29]
	v_add_f64_e32 v[14:15], v[14:15], v[18:19]
	v_add_f64_e32 v[16:17], v[20:21], v[34:35]
	s_wait_loadcnt_dscnt 0x0
	v_mul_f64_e32 v[18:19], v[10:11], v[32:33]
	v_mul_f64_e32 v[20:21], v[12:13], v[32:33]
	v_fma_f64 v[4:5], v[4:5], v[26:27], v[36:37]
	v_fma_f64 v[1:2], v[2:3], v[26:27], -v[28:29]
	v_add_f64_e32 v[6:7], v[14:15], v[6:7]
	v_add_f64_e32 v[8:9], v[16:17], v[8:9]
	v_fma_f64 v[12:13], v[12:13], v[30:31], v[18:19]
	v_fma_f64 v[10:11], v[10:11], v[30:31], -v[20:21]
	s_delay_alu instid0(VALU_DEP_4) | instskip(NEXT) | instid1(VALU_DEP_4)
	v_add_f64_e32 v[1:2], v[6:7], v[1:2]
	v_add_f64_e32 v[3:4], v[8:9], v[4:5]
	s_delay_alu instid0(VALU_DEP_2) | instskip(NEXT) | instid1(VALU_DEP_2)
	v_add_f64_e32 v[1:2], v[1:2], v[10:11]
	v_add_f64_e32 v[3:4], v[3:4], v[12:13]
	s_delay_alu instid0(VALU_DEP_2) | instskip(NEXT) | instid1(VALU_DEP_2)
	v_add_f64_e64 v[1:2], v[127:128], -v[1:2]
	v_add_f64_e64 v[3:4], v[129:130], -v[3:4]
	scratch_store_b128 off, v[1:4], off offset:32
	v_cmpx_ne_u32_e32 0, v0
	s_cbranch_execz .LBB103_253
; %bb.252:
	scratch_load_b128 v[0:3], off, off offset:16
	v_mov_b32_e32 v4, 0
	s_delay_alu instid0(VALU_DEP_1)
	v_dual_mov_b32 v5, v4 :: v_dual_mov_b32 v6, v4
	v_mov_b32_e32 v7, v4
	scratch_store_b128 off, v[4:7], off offset:16
	s_wait_loadcnt 0x0
	ds_store_b128 v126, v[0:3]
.LBB103_253:
	s_wait_alu 0xfffe
	s_or_b32 exec_lo, exec_lo, s0
	s_wait_storecnt_dscnt 0x0
	s_barrier_signal -1
	s_barrier_wait -1
	global_inv scope:SCOPE_SE
	s_clause 0x7
	scratch_load_b128 v[0:3], off, off offset:32
	scratch_load_b128 v[4:7], off, off offset:48
	scratch_load_b128 v[8:11], off, off offset:64
	scratch_load_b128 v[12:15], off, off offset:80
	scratch_load_b128 v[16:19], off, off offset:96
	scratch_load_b128 v[20:23], off, off offset:112
	scratch_load_b128 v[24:27], off, off offset:128
	scratch_load_b128 v[28:31], off, off offset:144
	v_mov_b32_e32 v40, 0
	s_and_b32 vcc_lo, exec_lo, s12
	ds_load_b128 v[36:39], v40 offset:656
	s_clause 0x1
	scratch_load_b128 v[32:35], off, off offset:160
	scratch_load_b128 v[41:44], off, off offset:16
	ds_load_b128 v[126:129], v40 offset:672
	scratch_load_b128 v[130:133], off, off offset:176
	s_wait_loadcnt_dscnt 0xa01
	v_mul_f64_e32 v[134:135], v[38:39], v[2:3]
	v_mul_f64_e32 v[2:3], v[36:37], v[2:3]
	s_delay_alu instid0(VALU_DEP_2) | instskip(NEXT) | instid1(VALU_DEP_2)
	v_fma_f64 v[140:141], v[36:37], v[0:1], -v[134:135]
	v_fma_f64 v[142:143], v[38:39], v[0:1], v[2:3]
	ds_load_b128 v[0:3], v40 offset:688
	s_wait_loadcnt_dscnt 0x901
	v_mul_f64_e32 v[138:139], v[126:127], v[6:7]
	v_mul_f64_e32 v[6:7], v[128:129], v[6:7]
	scratch_load_b128 v[36:39], off, off offset:192
	ds_load_b128 v[134:137], v40 offset:704
	s_wait_loadcnt_dscnt 0x901
	v_mul_f64_e32 v[144:145], v[0:1], v[10:11]
	v_mul_f64_e32 v[10:11], v[2:3], v[10:11]
	v_fma_f64 v[128:129], v[128:129], v[4:5], v[138:139]
	v_fma_f64 v[126:127], v[126:127], v[4:5], -v[6:7]
	v_add_f64_e32 v[138:139], 0, v[140:141]
	v_add_f64_e32 v[140:141], 0, v[142:143]
	scratch_load_b128 v[4:7], off, off offset:208
	v_fma_f64 v[144:145], v[2:3], v[8:9], v[144:145]
	v_fma_f64 v[146:147], v[0:1], v[8:9], -v[10:11]
	ds_load_b128 v[0:3], v40 offset:720
	s_wait_loadcnt_dscnt 0x901
	v_mul_f64_e32 v[142:143], v[134:135], v[14:15]
	v_mul_f64_e32 v[14:15], v[136:137], v[14:15]
	scratch_load_b128 v[8:11], off, off offset:224
	v_add_f64_e32 v[138:139], v[138:139], v[126:127]
	v_add_f64_e32 v[140:141], v[140:141], v[128:129]
	s_wait_loadcnt_dscnt 0x900
	v_mul_f64_e32 v[148:149], v[0:1], v[18:19]
	v_mul_f64_e32 v[18:19], v[2:3], v[18:19]
	ds_load_b128 v[126:129], v40 offset:736
	v_fma_f64 v[136:137], v[136:137], v[12:13], v[142:143]
	v_fma_f64 v[134:135], v[134:135], v[12:13], -v[14:15]
	scratch_load_b128 v[12:15], off, off offset:240
	v_add_f64_e32 v[138:139], v[138:139], v[146:147]
	v_add_f64_e32 v[140:141], v[140:141], v[144:145]
	v_fma_f64 v[144:145], v[2:3], v[16:17], v[148:149]
	v_fma_f64 v[146:147], v[0:1], v[16:17], -v[18:19]
	ds_load_b128 v[0:3], v40 offset:752
	s_wait_loadcnt_dscnt 0x901
	v_mul_f64_e32 v[142:143], v[126:127], v[22:23]
	v_mul_f64_e32 v[22:23], v[128:129], v[22:23]
	scratch_load_b128 v[16:19], off, off offset:256
	s_wait_loadcnt_dscnt 0x900
	v_mul_f64_e32 v[148:149], v[0:1], v[26:27]
	v_mul_f64_e32 v[26:27], v[2:3], v[26:27]
	v_add_f64_e32 v[138:139], v[138:139], v[134:135]
	v_add_f64_e32 v[140:141], v[140:141], v[136:137]
	ds_load_b128 v[134:137], v40 offset:768
	v_fma_f64 v[128:129], v[128:129], v[20:21], v[142:143]
	v_fma_f64 v[126:127], v[126:127], v[20:21], -v[22:23]
	scratch_load_b128 v[20:23], off, off offset:272
	v_add_f64_e32 v[138:139], v[138:139], v[146:147]
	v_add_f64_e32 v[140:141], v[140:141], v[144:145]
	v_fma_f64 v[144:145], v[2:3], v[24:25], v[148:149]
	v_fma_f64 v[146:147], v[0:1], v[24:25], -v[26:27]
	ds_load_b128 v[0:3], v40 offset:784
	s_wait_loadcnt_dscnt 0x901
	v_mul_f64_e32 v[142:143], v[134:135], v[30:31]
	v_mul_f64_e32 v[30:31], v[136:137], v[30:31]
	scratch_load_b128 v[24:27], off, off offset:288
	s_wait_loadcnt_dscnt 0x900
	v_mul_f64_e32 v[148:149], v[0:1], v[34:35]
	v_mul_f64_e32 v[34:35], v[2:3], v[34:35]
	v_add_f64_e32 v[138:139], v[138:139], v[126:127]
	v_add_f64_e32 v[140:141], v[140:141], v[128:129]
	ds_load_b128 v[126:129], v40 offset:800
	v_fma_f64 v[136:137], v[136:137], v[28:29], v[142:143]
	v_fma_f64 v[134:135], v[134:135], v[28:29], -v[30:31]
	scratch_load_b128 v[28:31], off, off offset:304
	v_add_f64_e32 v[138:139], v[138:139], v[146:147]
	v_add_f64_e32 v[140:141], v[140:141], v[144:145]
	v_fma_f64 v[146:147], v[2:3], v[32:33], v[148:149]
	v_fma_f64 v[148:149], v[0:1], v[32:33], -v[34:35]
	ds_load_b128 v[0:3], v40 offset:816
	s_wait_loadcnt_dscnt 0x801
	v_mul_f64_e32 v[142:143], v[126:127], v[132:133]
	v_mul_f64_e32 v[144:145], v[128:129], v[132:133]
	scratch_load_b128 v[32:35], off, off offset:320
	v_add_f64_e32 v[138:139], v[138:139], v[134:135]
	v_add_f64_e32 v[136:137], v[140:141], v[136:137]
	ds_load_b128 v[132:135], v40 offset:832
	v_fma_f64 v[142:143], v[128:129], v[130:131], v[142:143]
	v_fma_f64 v[130:131], v[126:127], v[130:131], -v[144:145]
	scratch_load_b128 v[126:129], off, off offset:336
	s_wait_loadcnt_dscnt 0x901
	v_mul_f64_e32 v[140:141], v[0:1], v[38:39]
	v_mul_f64_e32 v[38:39], v[2:3], v[38:39]
	v_add_f64_e32 v[138:139], v[138:139], v[148:149]
	v_add_f64_e32 v[136:137], v[136:137], v[146:147]
	s_delay_alu instid0(VALU_DEP_4) | instskip(NEXT) | instid1(VALU_DEP_4)
	v_fma_f64 v[140:141], v[2:3], v[36:37], v[140:141]
	v_fma_f64 v[146:147], v[0:1], v[36:37], -v[38:39]
	ds_load_b128 v[0:3], v40 offset:848
	s_wait_loadcnt_dscnt 0x801
	v_mul_f64_e32 v[144:145], v[132:133], v[6:7]
	v_mul_f64_e32 v[6:7], v[134:135], v[6:7]
	scratch_load_b128 v[36:39], off, off offset:352
	s_wait_loadcnt_dscnt 0x800
	v_mul_f64_e32 v[148:149], v[0:1], v[10:11]
	v_add_f64_e32 v[130:131], v[138:139], v[130:131]
	v_add_f64_e32 v[142:143], v[136:137], v[142:143]
	v_mul_f64_e32 v[10:11], v[2:3], v[10:11]
	ds_load_b128 v[136:139], v40 offset:864
	v_fma_f64 v[134:135], v[134:135], v[4:5], v[144:145]
	v_fma_f64 v[132:133], v[132:133], v[4:5], -v[6:7]
	scratch_load_b128 v[4:7], off, off offset:368
	v_fma_f64 v[144:145], v[2:3], v[8:9], v[148:149]
	v_add_f64_e32 v[130:131], v[130:131], v[146:147]
	v_add_f64_e32 v[140:141], v[142:143], v[140:141]
	v_fma_f64 v[146:147], v[0:1], v[8:9], -v[10:11]
	ds_load_b128 v[0:3], v40 offset:880
	s_wait_loadcnt_dscnt 0x801
	v_mul_f64_e32 v[142:143], v[136:137], v[14:15]
	v_mul_f64_e32 v[14:15], v[138:139], v[14:15]
	scratch_load_b128 v[8:11], off, off offset:384
	v_add_f64_e32 v[148:149], v[130:131], v[132:133]
	v_add_f64_e32 v[134:135], v[140:141], v[134:135]
	s_wait_loadcnt_dscnt 0x800
	v_mul_f64_e32 v[140:141], v[0:1], v[18:19]
	v_mul_f64_e32 v[18:19], v[2:3], v[18:19]
	v_fma_f64 v[138:139], v[138:139], v[12:13], v[142:143]
	v_fma_f64 v[136:137], v[136:137], v[12:13], -v[14:15]
	ds_load_b128 v[130:133], v40 offset:896
	scratch_load_b128 v[12:15], off, off offset:400
	v_add_f64_e32 v[142:143], v[148:149], v[146:147]
	v_add_f64_e32 v[134:135], v[134:135], v[144:145]
	v_fma_f64 v[140:141], v[2:3], v[16:17], v[140:141]
	v_fma_f64 v[146:147], v[0:1], v[16:17], -v[18:19]
	ds_load_b128 v[0:3], v40 offset:912
	s_wait_loadcnt_dscnt 0x801
	v_mul_f64_e32 v[144:145], v[130:131], v[22:23]
	v_mul_f64_e32 v[22:23], v[132:133], v[22:23]
	scratch_load_b128 v[16:19], off, off offset:416
	s_wait_loadcnt_dscnt 0x800
	v_mul_f64_e32 v[148:149], v[0:1], v[26:27]
	v_mul_f64_e32 v[26:27], v[2:3], v[26:27]
	v_add_f64_e32 v[142:143], v[142:143], v[136:137]
	v_add_f64_e32 v[138:139], v[134:135], v[138:139]
	ds_load_b128 v[134:137], v40 offset:928
	v_fma_f64 v[132:133], v[132:133], v[20:21], v[144:145]
	v_fma_f64 v[130:131], v[130:131], v[20:21], -v[22:23]
	scratch_load_b128 v[20:23], off, off offset:432
	v_fma_f64 v[144:145], v[2:3], v[24:25], v[148:149]
	v_add_f64_e32 v[142:143], v[142:143], v[146:147]
	v_add_f64_e32 v[138:139], v[138:139], v[140:141]
	v_fma_f64 v[146:147], v[0:1], v[24:25], -v[26:27]
	ds_load_b128 v[0:3], v40 offset:944
	s_wait_loadcnt_dscnt 0x801
	v_mul_f64_e32 v[140:141], v[134:135], v[30:31]
	v_mul_f64_e32 v[30:31], v[136:137], v[30:31]
	scratch_load_b128 v[24:27], off, off offset:448
	s_wait_loadcnt_dscnt 0x800
	v_mul_f64_e32 v[148:149], v[0:1], v[34:35]
	v_mul_f64_e32 v[34:35], v[2:3], v[34:35]
	v_add_f64_e32 v[142:143], v[142:143], v[130:131]
	v_add_f64_e32 v[138:139], v[138:139], v[132:133]
	ds_load_b128 v[130:133], v40 offset:960
	v_fma_f64 v[136:137], v[136:137], v[28:29], v[140:141]
	v_fma_f64 v[134:135], v[134:135], v[28:29], -v[30:31]
	scratch_load_b128 v[28:31], off, off offset:464
	v_add_f64_e32 v[140:141], v[142:143], v[146:147]
	v_add_f64_e32 v[138:139], v[138:139], v[144:145]
	v_fma_f64 v[144:145], v[2:3], v[32:33], v[148:149]
	v_fma_f64 v[146:147], v[0:1], v[32:33], -v[34:35]
	ds_load_b128 v[0:3], v40 offset:976
	s_wait_loadcnt_dscnt 0x801
	v_mul_f64_e32 v[142:143], v[130:131], v[128:129]
	v_mul_f64_e32 v[128:129], v[132:133], v[128:129]
	scratch_load_b128 v[32:35], off, off offset:480
	s_wait_loadcnt_dscnt 0x800
	v_mul_f64_e32 v[148:149], v[0:1], v[38:39]
	v_mul_f64_e32 v[38:39], v[2:3], v[38:39]
	v_add_f64_e32 v[140:141], v[140:141], v[134:135]
	v_add_f64_e32 v[138:139], v[138:139], v[136:137]
	ds_load_b128 v[134:137], v40 offset:992
	v_fma_f64 v[132:133], v[132:133], v[126:127], v[142:143]
	v_fma_f64 v[130:131], v[130:131], v[126:127], -v[128:129]
	scratch_load_b128 v[126:129], off, off offset:496
	v_add_f64_e32 v[140:141], v[140:141], v[146:147]
	v_add_f64_e32 v[138:139], v[138:139], v[144:145]
	v_fma_f64 v[144:145], v[2:3], v[36:37], v[148:149]
	;; [unrolled: 18-line block ×6, first 2 shown]
	v_fma_f64 v[148:149], v[0:1], v[32:33], -v[34:35]
	ds_load_b128 v[0:3], v40 offset:1136
	s_wait_loadcnt_dscnt 0x801
	v_mul_f64_e32 v[142:143], v[134:135], v[128:129]
	v_mul_f64_e32 v[144:145], v[136:137], v[128:129]
	scratch_load_b128 v[32:35], off, off offset:640
	v_add_f64_e32 v[140:141], v[140:141], v[130:131]
	v_add_f64_e32 v[132:133], v[138:139], v[132:133]
	s_wait_loadcnt_dscnt 0x800
	v_mul_f64_e32 v[138:139], v[0:1], v[38:39]
	v_mul_f64_e32 v[38:39], v[2:3], v[38:39]
	ds_load_b128 v[128:131], v40 offset:1152
	v_fma_f64 v[136:137], v[136:137], v[126:127], v[142:143]
	v_fma_f64 v[126:127], v[134:135], v[126:127], -v[144:145]
	v_add_f64_e32 v[134:135], v[140:141], v[148:149]
	v_add_f64_e32 v[132:133], v[132:133], v[146:147]
	s_wait_loadcnt_dscnt 0x700
	v_mul_f64_e32 v[140:141], v[128:129], v[6:7]
	v_mul_f64_e32 v[6:7], v[130:131], v[6:7]
	v_fma_f64 v[138:139], v[2:3], v[36:37], v[138:139]
	v_fma_f64 v[142:143], v[0:1], v[36:37], -v[38:39]
	ds_load_b128 v[0:3], v40 offset:1168
	ds_load_b128 v[36:39], v40 offset:1184
	v_add_f64_e32 v[126:127], v[134:135], v[126:127]
	v_add_f64_e32 v[132:133], v[132:133], v[136:137]
	s_wait_loadcnt_dscnt 0x601
	v_mul_f64_e32 v[134:135], v[0:1], v[10:11]
	v_mul_f64_e32 v[10:11], v[2:3], v[10:11]
	v_fma_f64 v[130:131], v[130:131], v[4:5], v[140:141]
	v_fma_f64 v[4:5], v[128:129], v[4:5], -v[6:7]
	s_wait_loadcnt_dscnt 0x500
	v_mul_f64_e32 v[128:129], v[36:37], v[14:15]
	v_mul_f64_e32 v[14:15], v[38:39], v[14:15]
	v_add_f64_e32 v[6:7], v[126:127], v[142:143]
	v_add_f64_e32 v[126:127], v[132:133], v[138:139]
	v_fma_f64 v[132:133], v[2:3], v[8:9], v[134:135]
	v_fma_f64 v[8:9], v[0:1], v[8:9], -v[10:11]
	v_fma_f64 v[38:39], v[38:39], v[12:13], v[128:129]
	v_fma_f64 v[12:13], v[36:37], v[12:13], -v[14:15]
	v_add_f64_e32 v[10:11], v[6:7], v[4:5]
	v_add_f64_e32 v[126:127], v[126:127], v[130:131]
	ds_load_b128 v[0:3], v40 offset:1200
	ds_load_b128 v[4:7], v40 offset:1216
	s_wait_loadcnt_dscnt 0x401
	v_mul_f64_e32 v[130:131], v[0:1], v[18:19]
	v_mul_f64_e32 v[18:19], v[2:3], v[18:19]
	s_wait_loadcnt_dscnt 0x300
	v_mul_f64_e32 v[14:15], v[4:5], v[22:23]
	v_mul_f64_e32 v[22:23], v[6:7], v[22:23]
	v_add_f64_e32 v[8:9], v[10:11], v[8:9]
	v_add_f64_e32 v[10:11], v[126:127], v[132:133]
	v_fma_f64 v[36:37], v[2:3], v[16:17], v[130:131]
	v_fma_f64 v[16:17], v[0:1], v[16:17], -v[18:19]
	v_fma_f64 v[6:7], v[6:7], v[20:21], v[14:15]
	v_fma_f64 v[4:5], v[4:5], v[20:21], -v[22:23]
	v_add_f64_e32 v[12:13], v[8:9], v[12:13]
	v_add_f64_e32 v[18:19], v[10:11], v[38:39]
	ds_load_b128 v[0:3], v40 offset:1232
	ds_load_b128 v[8:11], v40 offset:1248
	s_wait_loadcnt_dscnt 0x201
	v_mul_f64_e32 v[38:39], v[0:1], v[26:27]
	v_mul_f64_e32 v[26:27], v[2:3], v[26:27]
	v_add_f64_e32 v[12:13], v[12:13], v[16:17]
	v_add_f64_e32 v[14:15], v[18:19], v[36:37]
	s_wait_loadcnt_dscnt 0x100
	v_mul_f64_e32 v[16:17], v[8:9], v[30:31]
	v_mul_f64_e32 v[18:19], v[10:11], v[30:31]
	v_fma_f64 v[20:21], v[2:3], v[24:25], v[38:39]
	v_fma_f64 v[22:23], v[0:1], v[24:25], -v[26:27]
	ds_load_b128 v[0:3], v40 offset:1264
	v_add_f64_e32 v[4:5], v[12:13], v[4:5]
	v_add_f64_e32 v[6:7], v[14:15], v[6:7]
	v_fma_f64 v[10:11], v[10:11], v[28:29], v[16:17]
	v_fma_f64 v[8:9], v[8:9], v[28:29], -v[18:19]
	s_wait_loadcnt_dscnt 0x0
	v_mul_f64_e32 v[12:13], v[0:1], v[34:35]
	v_mul_f64_e32 v[14:15], v[2:3], v[34:35]
	v_add_f64_e32 v[4:5], v[4:5], v[22:23]
	v_add_f64_e32 v[6:7], v[6:7], v[20:21]
	s_delay_alu instid0(VALU_DEP_4) | instskip(NEXT) | instid1(VALU_DEP_4)
	v_fma_f64 v[2:3], v[2:3], v[32:33], v[12:13]
	v_fma_f64 v[0:1], v[0:1], v[32:33], -v[14:15]
	s_delay_alu instid0(VALU_DEP_4) | instskip(NEXT) | instid1(VALU_DEP_4)
	v_add_f64_e32 v[4:5], v[4:5], v[8:9]
	v_add_f64_e32 v[6:7], v[6:7], v[10:11]
	s_delay_alu instid0(VALU_DEP_2) | instskip(NEXT) | instid1(VALU_DEP_2)
	v_add_f64_e32 v[0:1], v[4:5], v[0:1]
	v_add_f64_e32 v[2:3], v[6:7], v[2:3]
	s_delay_alu instid0(VALU_DEP_2) | instskip(NEXT) | instid1(VALU_DEP_2)
	v_add_f64_e64 v[0:1], v[41:42], -v[0:1]
	v_add_f64_e64 v[2:3], v[43:44], -v[2:3]
	scratch_store_b128 off, v[0:3], off offset:16
	s_wait_alu 0xfffe
	s_cbranch_vccz .LBB103_332
; %bb.254:
	global_load_b32 v0, v40, s[2:3] offset:152
	s_wait_loadcnt 0x0
	v_cmp_ne_u32_e32 vcc_lo, 39, v0
	s_cbranch_vccz .LBB103_256
; %bb.255:
	v_lshlrev_b32_e32 v0, 4, v0
	s_delay_alu instid0(VALU_DEP_1)
	v_add_nc_u32_e32 v8, 16, v0
	s_clause 0x1
	scratch_load_b128 v[0:3], v8, off offset:-16
	scratch_load_b128 v[4:7], off, s46
	s_wait_loadcnt 0x1
	scratch_store_b128 off, v[0:3], s46
	s_wait_loadcnt 0x0
	scratch_store_b128 v8, v[4:7], off offset:-16
.LBB103_256:
	v_mov_b32_e32 v0, 0
	global_load_b32 v1, v0, s[2:3] offset:148
	s_wait_loadcnt 0x0
	v_cmp_eq_u32_e32 vcc_lo, 38, v1
	s_cbranch_vccnz .LBB103_258
; %bb.257:
	v_lshlrev_b32_e32 v1, 4, v1
	s_delay_alu instid0(VALU_DEP_1)
	v_add_nc_u32_e32 v9, 16, v1
	s_clause 0x1
	scratch_load_b128 v[1:4], v9, off offset:-16
	scratch_load_b128 v[5:8], off, s25
	s_wait_loadcnt 0x1
	scratch_store_b128 off, v[1:4], s25
	s_wait_loadcnt 0x0
	scratch_store_b128 v9, v[5:8], off offset:-16
.LBB103_258:
	global_load_b32 v0, v0, s[2:3] offset:144
	s_wait_loadcnt 0x0
	v_cmp_eq_u32_e32 vcc_lo, 37, v0
	s_cbranch_vccnz .LBB103_260
; %bb.259:
	v_lshlrev_b32_e32 v0, 4, v0
	s_delay_alu instid0(VALU_DEP_1)
	v_add_nc_u32_e32 v8, 16, v0
	s_clause 0x1
	scratch_load_b128 v[0:3], v8, off offset:-16
	scratch_load_b128 v[4:7], off, s45
	s_wait_loadcnt 0x1
	scratch_store_b128 off, v[0:3], s45
	s_wait_loadcnt 0x0
	scratch_store_b128 v8, v[4:7], off offset:-16
.LBB103_260:
	v_mov_b32_e32 v0, 0
	global_load_b32 v1, v0, s[2:3] offset:140
	s_wait_loadcnt 0x0
	v_cmp_eq_u32_e32 vcc_lo, 36, v1
	s_cbranch_vccnz .LBB103_262
; %bb.261:
	v_lshlrev_b32_e32 v1, 4, v1
	s_delay_alu instid0(VALU_DEP_1)
	v_add_nc_u32_e32 v9, 16, v1
	s_clause 0x1
	scratch_load_b128 v[1:4], v9, off offset:-16
	scratch_load_b128 v[5:8], off, s24
	s_wait_loadcnt 0x1
	scratch_store_b128 off, v[1:4], s24
	s_wait_loadcnt 0x0
	scratch_store_b128 v9, v[5:8], off offset:-16
.LBB103_262:
	global_load_b32 v0, v0, s[2:3] offset:136
	s_wait_loadcnt 0x0
	v_cmp_eq_u32_e32 vcc_lo, 35, v0
	s_cbranch_vccnz .LBB103_264
; %bb.263:
	v_lshlrev_b32_e32 v0, 4, v0
	s_delay_alu instid0(VALU_DEP_1)
	v_add_nc_u32_e32 v8, 16, v0
	s_clause 0x1
	scratch_load_b128 v[0:3], v8, off offset:-16
	scratch_load_b128 v[4:7], off, s44
	s_wait_loadcnt 0x1
	scratch_store_b128 off, v[0:3], s44
	s_wait_loadcnt 0x0
	scratch_store_b128 v8, v[4:7], off offset:-16
.LBB103_264:
	;; [unrolled: 33-line block ×18, first 2 shown]
	v_mov_b32_e32 v0, 0
	global_load_b32 v1, v0, s[2:3] offset:4
	s_wait_loadcnt 0x0
	v_cmp_eq_u32_e32 vcc_lo, 2, v1
	s_cbranch_vccnz .LBB103_330
; %bb.329:
	v_lshlrev_b32_e32 v1, 4, v1
	s_delay_alu instid0(VALU_DEP_1)
	v_add_nc_u32_e32 v9, 16, v1
	s_clause 0x1
	scratch_load_b128 v[1:4], v9, off offset:-16
	scratch_load_b128 v[5:8], off, s48
	s_wait_loadcnt 0x1
	scratch_store_b128 off, v[1:4], s48
	s_wait_loadcnt 0x0
	scratch_store_b128 v9, v[5:8], off offset:-16
.LBB103_330:
	global_load_b32 v0, v0, s[2:3]
	s_wait_loadcnt 0x0
	v_cmp_eq_u32_e32 vcc_lo, 1, v0
	s_cbranch_vccnz .LBB103_332
; %bb.331:
	v_lshlrev_b32_e32 v0, 4, v0
	s_delay_alu instid0(VALU_DEP_1)
	v_add_nc_u32_e32 v8, 16, v0
	scratch_load_b128 v[0:3], v8, off offset:-16
	scratch_load_b128 v[4:7], off, off offset:16
	s_wait_loadcnt 0x1
	scratch_store_b128 off, v[0:3], off offset:16
	s_wait_loadcnt 0x0
	scratch_store_b128 v8, v[4:7], off offset:-16
.LBB103_332:
	scratch_load_b128 v[0:3], off, off offset:16
	s_wait_loadcnt 0x0
	flat_store_b128 v[46:47], v[0:3]
	scratch_load_b128 v[0:3], off, s48
	s_wait_loadcnt 0x0
	flat_store_b128 v[48:49], v[0:3]
	scratch_load_b128 v[0:3], off, s47
	s_wait_loadcnt 0x0
	flat_store_b128 v[50:51], v[0:3]
	scratch_load_b128 v[0:3], off, s27
	s_wait_loadcnt 0x0
	flat_store_b128 v[52:53], v[0:3]
	scratch_load_b128 v[0:3], off, s28
	s_wait_loadcnt 0x0
	flat_store_b128 v[54:55], v[0:3]
	scratch_load_b128 v[0:3], off, s4
	s_wait_loadcnt 0x0
	flat_store_b128 v[56:57], v[0:3]
	scratch_load_b128 v[0:3], off, s29
	s_wait_loadcnt 0x0
	flat_store_b128 v[58:59], v[0:3]
	scratch_load_b128 v[0:3], off, s5
	s_wait_loadcnt 0x0
	flat_store_b128 v[60:61], v[0:3]
	scratch_load_b128 v[0:3], off, s30
	s_wait_loadcnt 0x0
	flat_store_b128 v[62:63], v[0:3]
	scratch_load_b128 v[0:3], off, s10
	s_wait_loadcnt 0x0
	flat_store_b128 v[64:65], v[0:3]
	scratch_load_b128 v[0:3], off, s31
	s_wait_loadcnt 0x0
	flat_store_b128 v[66:67], v[0:3]
	scratch_load_b128 v[0:3], off, s11
	s_wait_loadcnt 0x0
	flat_store_b128 v[68:69], v[0:3]
	scratch_load_b128 v[0:3], off, s33
	s_wait_loadcnt 0x0
	flat_store_b128 v[70:71], v[0:3]
	scratch_load_b128 v[0:3], off, s13
	s_wait_loadcnt 0x0
	flat_store_b128 v[72:73], v[0:3]
	scratch_load_b128 v[0:3], off, s34
	s_wait_loadcnt 0x0
	flat_store_b128 v[74:75], v[0:3]
	scratch_load_b128 v[0:3], off, s14
	s_wait_loadcnt 0x0
	flat_store_b128 v[76:77], v[0:3]
	scratch_load_b128 v[0:3], off, s35
	s_wait_loadcnt 0x0
	flat_store_b128 v[78:79], v[0:3]
	scratch_load_b128 v[0:3], off, s15
	s_wait_loadcnt 0x0
	flat_store_b128 v[80:81], v[0:3]
	scratch_load_b128 v[0:3], off, s36
	s_wait_loadcnt 0x0
	flat_store_b128 v[82:83], v[0:3]
	scratch_load_b128 v[0:3], off, s16
	s_wait_loadcnt 0x0
	flat_store_b128 v[84:85], v[0:3]
	scratch_load_b128 v[0:3], off, s37
	s_wait_loadcnt 0x0
	flat_store_b128 v[86:87], v[0:3]
	scratch_load_b128 v[0:3], off, s17
	s_wait_loadcnt 0x0
	flat_store_b128 v[88:89], v[0:3]
	scratch_load_b128 v[0:3], off, s38
	s_wait_loadcnt 0x0
	flat_store_b128 v[90:91], v[0:3]
	scratch_load_b128 v[0:3], off, s18
	s_wait_loadcnt 0x0
	flat_store_b128 v[92:93], v[0:3]
	scratch_load_b128 v[0:3], off, s39
	s_wait_loadcnt 0x0
	flat_store_b128 v[94:95], v[0:3]
	scratch_load_b128 v[0:3], off, s19
	s_wait_loadcnt 0x0
	flat_store_b128 v[96:97], v[0:3]
	scratch_load_b128 v[0:3], off, s40
	s_wait_loadcnt 0x0
	flat_store_b128 v[98:99], v[0:3]
	scratch_load_b128 v[0:3], off, s20
	s_wait_loadcnt 0x0
	flat_store_b128 v[100:101], v[0:3]
	scratch_load_b128 v[0:3], off, s41
	s_wait_loadcnt 0x0
	flat_store_b128 v[102:103], v[0:3]
	scratch_load_b128 v[0:3], off, s21
	s_wait_loadcnt 0x0
	flat_store_b128 v[104:105], v[0:3]
	scratch_load_b128 v[0:3], off, s42
	s_wait_loadcnt 0x0
	flat_store_b128 v[106:107], v[0:3]
	scratch_load_b128 v[0:3], off, s22
	s_wait_loadcnt 0x0
	flat_store_b128 v[108:109], v[0:3]
	scratch_load_b128 v[0:3], off, s43
	s_wait_loadcnt 0x0
	flat_store_b128 v[110:111], v[0:3]
	scratch_load_b128 v[0:3], off, s23
	s_wait_loadcnt 0x0
	flat_store_b128 v[112:113], v[0:3]
	scratch_load_b128 v[0:3], off, s44
	s_wait_loadcnt 0x0
	flat_store_b128 v[114:115], v[0:3]
	scratch_load_b128 v[0:3], off, s24
	s_wait_loadcnt 0x0
	flat_store_b128 v[116:117], v[0:3]
	scratch_load_b128 v[0:3], off, s45
	s_wait_loadcnt 0x0
	flat_store_b128 v[118:119], v[0:3]
	scratch_load_b128 v[0:3], off, s25
	s_wait_loadcnt 0x0
	flat_store_b128 v[120:121], v[0:3]
	scratch_load_b128 v[0:3], off, s46
	s_wait_loadcnt 0x0
	flat_store_b128 v[122:123], v[0:3]
	scratch_load_b128 v[0:3], off, s26
	s_wait_loadcnt 0x0
	flat_store_b128 v[124:125], v[0:3]
	s_nop 0
	s_sendmsg sendmsg(MSG_DEALLOC_VGPRS)
	s_endpgm
	.section	.rodata,"a",@progbits
	.p2align	6, 0x0
	.amdhsa_kernel _ZN9rocsolver6v33100L18getri_kernel_smallILi40E19rocblas_complex_numIdEPKPS3_EEvT1_iilPiilS8_bb
		.amdhsa_group_segment_fixed_size 1288
		.amdhsa_private_segment_fixed_size 672
		.amdhsa_kernarg_size 60
		.amdhsa_user_sgpr_count 2
		.amdhsa_user_sgpr_dispatch_ptr 0
		.amdhsa_user_sgpr_queue_ptr 0
		.amdhsa_user_sgpr_kernarg_segment_ptr 1
		.amdhsa_user_sgpr_dispatch_id 0
		.amdhsa_user_sgpr_private_segment_size 0
		.amdhsa_wavefront_size32 1
		.amdhsa_uses_dynamic_stack 0
		.amdhsa_enable_private_segment 1
		.amdhsa_system_sgpr_workgroup_id_x 1
		.amdhsa_system_sgpr_workgroup_id_y 0
		.amdhsa_system_sgpr_workgroup_id_z 0
		.amdhsa_system_sgpr_workgroup_info 0
		.amdhsa_system_vgpr_workitem_id 0
		.amdhsa_next_free_vgpr 153
		.amdhsa_next_free_sgpr 52
		.amdhsa_reserve_vcc 1
		.amdhsa_float_round_mode_32 0
		.amdhsa_float_round_mode_16_64 0
		.amdhsa_float_denorm_mode_32 3
		.amdhsa_float_denorm_mode_16_64 3
		.amdhsa_fp16_overflow 0
		.amdhsa_workgroup_processor_mode 1
		.amdhsa_memory_ordered 1
		.amdhsa_forward_progress 1
		.amdhsa_inst_pref_size 255
		.amdhsa_round_robin_scheduling 0
		.amdhsa_exception_fp_ieee_invalid_op 0
		.amdhsa_exception_fp_denorm_src 0
		.amdhsa_exception_fp_ieee_div_zero 0
		.amdhsa_exception_fp_ieee_overflow 0
		.amdhsa_exception_fp_ieee_underflow 0
		.amdhsa_exception_fp_ieee_inexact 0
		.amdhsa_exception_int_div_zero 0
	.end_amdhsa_kernel
	.section	.text._ZN9rocsolver6v33100L18getri_kernel_smallILi40E19rocblas_complex_numIdEPKPS3_EEvT1_iilPiilS8_bb,"axG",@progbits,_ZN9rocsolver6v33100L18getri_kernel_smallILi40E19rocblas_complex_numIdEPKPS3_EEvT1_iilPiilS8_bb,comdat
.Lfunc_end103:
	.size	_ZN9rocsolver6v33100L18getri_kernel_smallILi40E19rocblas_complex_numIdEPKPS3_EEvT1_iilPiilS8_bb, .Lfunc_end103-_ZN9rocsolver6v33100L18getri_kernel_smallILi40E19rocblas_complex_numIdEPKPS3_EEvT1_iilPiilS8_bb
                                        ; -- End function
	.set _ZN9rocsolver6v33100L18getri_kernel_smallILi40E19rocblas_complex_numIdEPKPS3_EEvT1_iilPiilS8_bb.num_vgpr, 153
	.set _ZN9rocsolver6v33100L18getri_kernel_smallILi40E19rocblas_complex_numIdEPKPS3_EEvT1_iilPiilS8_bb.num_agpr, 0
	.set _ZN9rocsolver6v33100L18getri_kernel_smallILi40E19rocblas_complex_numIdEPKPS3_EEvT1_iilPiilS8_bb.numbered_sgpr, 52
	.set _ZN9rocsolver6v33100L18getri_kernel_smallILi40E19rocblas_complex_numIdEPKPS3_EEvT1_iilPiilS8_bb.num_named_barrier, 0
	.set _ZN9rocsolver6v33100L18getri_kernel_smallILi40E19rocblas_complex_numIdEPKPS3_EEvT1_iilPiilS8_bb.private_seg_size, 672
	.set _ZN9rocsolver6v33100L18getri_kernel_smallILi40E19rocblas_complex_numIdEPKPS3_EEvT1_iilPiilS8_bb.uses_vcc, 1
	.set _ZN9rocsolver6v33100L18getri_kernel_smallILi40E19rocblas_complex_numIdEPKPS3_EEvT1_iilPiilS8_bb.uses_flat_scratch, 1
	.set _ZN9rocsolver6v33100L18getri_kernel_smallILi40E19rocblas_complex_numIdEPKPS3_EEvT1_iilPiilS8_bb.has_dyn_sized_stack, 0
	.set _ZN9rocsolver6v33100L18getri_kernel_smallILi40E19rocblas_complex_numIdEPKPS3_EEvT1_iilPiilS8_bb.has_recursion, 0
	.set _ZN9rocsolver6v33100L18getri_kernel_smallILi40E19rocblas_complex_numIdEPKPS3_EEvT1_iilPiilS8_bb.has_indirect_call, 0
	.section	.AMDGPU.csdata,"",@progbits
; Kernel info:
; codeLenInByte = 70876
; TotalNumSgprs: 54
; NumVgprs: 153
; ScratchSize: 672
; MemoryBound: 0
; FloatMode: 240
; IeeeMode: 1
; LDSByteSize: 1288 bytes/workgroup (compile time only)
; SGPRBlocks: 0
; VGPRBlocks: 19
; NumSGPRsForWavesPerEU: 54
; NumVGPRsForWavesPerEU: 153
; Occupancy: 9
; WaveLimiterHint : 1
; COMPUTE_PGM_RSRC2:SCRATCH_EN: 1
; COMPUTE_PGM_RSRC2:USER_SGPR: 2
; COMPUTE_PGM_RSRC2:TRAP_HANDLER: 0
; COMPUTE_PGM_RSRC2:TGID_X_EN: 1
; COMPUTE_PGM_RSRC2:TGID_Y_EN: 0
; COMPUTE_PGM_RSRC2:TGID_Z_EN: 0
; COMPUTE_PGM_RSRC2:TIDIG_COMP_CNT: 0
	.section	.text._ZN9rocsolver6v33100L18getri_kernel_smallILi41E19rocblas_complex_numIdEPKPS3_EEvT1_iilPiilS8_bb,"axG",@progbits,_ZN9rocsolver6v33100L18getri_kernel_smallILi41E19rocblas_complex_numIdEPKPS3_EEvT1_iilPiilS8_bb,comdat
	.globl	_ZN9rocsolver6v33100L18getri_kernel_smallILi41E19rocblas_complex_numIdEPKPS3_EEvT1_iilPiilS8_bb ; -- Begin function _ZN9rocsolver6v33100L18getri_kernel_smallILi41E19rocblas_complex_numIdEPKPS3_EEvT1_iilPiilS8_bb
	.p2align	8
	.type	_ZN9rocsolver6v33100L18getri_kernel_smallILi41E19rocblas_complex_numIdEPKPS3_EEvT1_iilPiilS8_bb,@function
_ZN9rocsolver6v33100L18getri_kernel_smallILi41E19rocblas_complex_numIdEPKPS3_EEvT1_iilPiilS8_bb: ; @_ZN9rocsolver6v33100L18getri_kernel_smallILi41E19rocblas_complex_numIdEPKPS3_EEvT1_iilPiilS8_bb
; %bb.0:
	s_mov_b32 s2, exec_lo
	v_cmpx_gt_u32_e32 41, v0
	s_cbranch_execz .LBB104_178
; %bb.1:
	s_clause 0x1
	s_load_b32 s13, s[0:1], 0x38
	s_load_b64 s[2:3], s[0:1], 0x0
	s_mov_b32 s8, ttmp9
	s_load_b128 s[4:7], s[0:1], 0x28
	s_wait_kmcnt 0x0
	s_bitcmp1_b32 s13, 8
	s_cselect_b32 s12, -1, 0
	s_ashr_i32 s9, ttmp9, 31
	s_delay_alu instid0(SALU_CYCLE_1) | instskip(NEXT) | instid1(SALU_CYCLE_1)
	s_lshl_b64 s[10:11], s[8:9], 3
	s_add_nc_u64 s[2:3], s[2:3], s[10:11]
	s_load_b64 s[10:11], s[2:3], 0x0
	s_bfe_u32 s2, s13, 0x10008
	s_delay_alu instid0(SALU_CYCLE_1)
	s_cmp_eq_u32 s2, 0
                                        ; implicit-def: $sgpr2_sgpr3
	s_cbranch_scc1 .LBB104_3
; %bb.2:
	s_load_b96 s[16:18], s[0:1], 0x18
	s_mul_u64 s[2:3], s[4:5], s[8:9]
	s_delay_alu instid0(SALU_CYCLE_1)
	s_lshl_b64 s[2:3], s[2:3], 2
	s_wait_kmcnt 0x0
	s_ashr_i32 s5, s18, 31
	s_mov_b32 s4, s18
	s_add_nc_u64 s[2:3], s[16:17], s[2:3]
	s_lshl_b64 s[4:5], s[4:5], 2
	s_delay_alu instid0(SALU_CYCLE_1)
	s_add_nc_u64 s[2:3], s[2:3], s[4:5]
.LBB104_3:
	s_clause 0x1
	s_load_b64 s[4:5], s[0:1], 0x8
	s_load_b32 s50, s[0:1], 0x38
	v_lshlrev_b32_e32 v13, 4, v0
	s_mov_b32 s49, 32
	s_mov_b32 s48, 48
	;; [unrolled: 1-line block ×3, first 2 shown]
	s_wait_kmcnt 0x0
	s_ashr_i32 s1, s4, 31
	s_mov_b32 s0, s4
	v_add3_u32 v5, s5, s5, v0
	s_lshl_b64 s[0:1], s[0:1], 4
	s_delay_alu instid0(SALU_CYCLE_1)
	s_add_nc_u64 s[0:1], s[10:11], s[0:1]
	s_ashr_i32 s11, s5, 31
	v_add_co_u32 v46, s4, s0, v13
	s_wait_alu 0xf1ff
	v_add_co_ci_u32_e64 v47, null, s1, 0, s4
	s_mov_b32 s10, s5
	v_ashrrev_i32_e32 v6, 31, v5
	s_lshl_b64 s[10:11], s[10:11], 4
	flat_load_b128 v[1:4], v[46:47]
	v_add_co_u32 v48, vcc_lo, v46, s10
	s_delay_alu instid0(VALU_DEP_1) | instskip(SKIP_3) | instid1(VALU_DEP_2)
	v_add_co_ci_u32_e64 v49, null, s11, v47, vcc_lo
	v_lshlrev_b64_e32 v[6:7], 4, v[5:6]
	v_add_nc_u32_e32 v5, s5, v5
	s_movk_i32 s4, 0x50
	v_add_co_u32 v50, vcc_lo, s0, v6
	s_wait_alu 0xfffd
	s_delay_alu instid0(VALU_DEP_3) | instskip(SKIP_1) | instid1(VALU_DEP_1)
	v_add_co_ci_u32_e64 v51, null, s1, v7, vcc_lo
	v_ashrrev_i32_e32 v6, 31, v5
	v_lshlrev_b64_e32 v[6:7], 4, v[5:6]
	v_add_nc_u32_e32 v5, s5, v5
	s_delay_alu instid0(VALU_DEP_2) | instskip(SKIP_1) | instid1(VALU_DEP_3)
	v_add_co_u32 v52, vcc_lo, s0, v6
	s_wait_alu 0xfffd
	v_add_co_ci_u32_e64 v53, null, s1, v7, vcc_lo
	s_delay_alu instid0(VALU_DEP_3) | instskip(NEXT) | instid1(VALU_DEP_1)
	v_ashrrev_i32_e32 v6, 31, v5
	v_lshlrev_b64_e32 v[6:7], 4, v[5:6]
	v_add_nc_u32_e32 v5, s5, v5
	s_delay_alu instid0(VALU_DEP_2) | instskip(SKIP_1) | instid1(VALU_DEP_3)
	v_add_co_u32 v54, vcc_lo, s0, v6
	s_wait_alu 0xfffd
	v_add_co_ci_u32_e64 v55, null, s1, v7, vcc_lo
	s_delay_alu instid0(VALU_DEP_3) | instskip(NEXT) | instid1(VALU_DEP_1)
	;; [unrolled: 8-line block ×20, first 2 shown]
	v_ashrrev_i32_e32 v6, 31, v5
	v_lshlrev_b64_e32 v[6:7], 4, v[5:6]
	s_wait_loadcnt_dscnt 0x0
	scratch_store_b128 off, v[1:4], off offset:16
	flat_load_b128 v[1:4], v[48:49]
	v_add_nc_u32_e32 v5, s5, v5
	v_add_co_u32 v92, vcc_lo, s0, v6
	s_wait_alu 0xfffd
	v_add_co_ci_u32_e64 v93, null, s1, v7, vcc_lo
	s_delay_alu instid0(VALU_DEP_3) | instskip(NEXT) | instid1(VALU_DEP_1)
	v_ashrrev_i32_e32 v6, 31, v5
	v_lshlrev_b64_e32 v[6:7], 4, v[5:6]
	v_add_nc_u32_e32 v5, s5, v5
	s_delay_alu instid0(VALU_DEP_2) | instskip(SKIP_1) | instid1(VALU_DEP_3)
	v_add_co_u32 v94, vcc_lo, s0, v6
	s_wait_alu 0xfffd
	v_add_co_ci_u32_e64 v95, null, s1, v7, vcc_lo
	s_delay_alu instid0(VALU_DEP_3) | instskip(NEXT) | instid1(VALU_DEP_1)
	v_ashrrev_i32_e32 v6, 31, v5
	v_lshlrev_b64_e32 v[6:7], 4, v[5:6]
	v_add_nc_u32_e32 v5, s5, v5
	s_delay_alu instid0(VALU_DEP_2) | instskip(SKIP_1) | instid1(VALU_DEP_3)
	;; [unrolled: 8-line block ×16, first 2 shown]
	v_add_co_u32 v124, vcc_lo, s0, v6
	s_wait_alu 0xfffd
	v_add_co_ci_u32_e64 v125, null, s1, v7, vcc_lo
	s_delay_alu instid0(VALU_DEP_3) | instskip(NEXT) | instid1(VALU_DEP_1)
	v_ashrrev_i32_e32 v6, 31, v5
	v_lshlrev_b64_e32 v[5:6], 4, v[5:6]
	s_delay_alu instid0(VALU_DEP_1) | instskip(SKIP_1) | instid1(VALU_DEP_2)
	v_add_co_u32 v126, vcc_lo, s0, v5
	s_wait_alu 0xfffd
	v_add_co_ci_u32_e64 v127, null, s1, v6, vcc_lo
	s_movk_i32 s0, 0x50
	s_movk_i32 s1, 0x60
	s_wait_alu 0xfffe
	s_add_co_i32 s29, s0, 16
	s_add_co_i32 s5, s1, 16
	s_movk_i32 s0, 0x70
	s_movk_i32 s1, 0x80
	s_wait_alu 0xfffe
	s_add_co_i32 s30, s0, 16
	s_add_co_i32 s10, s1, 16
	;; [unrolled: 5-line block ×14, first 2 shown]
	s_movk_i32 s0, 0x210
	s_wait_loadcnt_dscnt 0x0
	scratch_store_b128 off, v[1:4], off offset:32
	flat_load_b128 v[1:4], v[50:51]
	s_movk_i32 s1, 0x220
	s_wait_alu 0xfffe
	s_add_co_i32 s44, s0, 16
	s_add_co_i32 s24, s1, 16
	s_movk_i32 s0, 0x230
	s_movk_i32 s1, 0x240
	s_wait_alu 0xfffe
	s_add_co_i32 s45, s0, 16
	s_add_co_i32 s25, s1, 16
	s_movk_i32 s0, 0x250
	;; [unrolled: 5-line block ×3, first 2 shown]
	s_movk_i32 s1, 0x280
	s_wait_alu 0xfffe
	s_add_co_i32 s47, s0, 16
	s_add_co_i32 s27, s1, 16
	s_bitcmp0_b32 s50, 0
	s_mov_b32 s1, -1
	s_wait_loadcnt_dscnt 0x0
	scratch_store_b128 off, v[1:4], off offset:48
	flat_load_b128 v[1:4], v[52:53]
	s_wait_loadcnt_dscnt 0x0
	scratch_store_b128 off, v[1:4], off offset:64
	flat_load_b128 v[1:4], v[54:55]
	;; [unrolled: 3-line block ×38, first 2 shown]
	s_wait_loadcnt_dscnt 0x0
	scratch_store_b128 off, v[1:4], off offset:656
	s_cbranch_scc1 .LBB104_176
; %bb.4:
	v_cmp_eq_u32_e64 s0, 0, v0
	s_and_saveexec_b32 s1, s0
; %bb.5:
	v_mov_b32_e32 v1, 0
	ds_store_b32 v1, v1 offset:1312
; %bb.6:
	s_wait_alu 0xfffe
	s_or_b32 exec_lo, exec_lo, s1
	s_wait_storecnt_dscnt 0x0
	s_barrier_signal -1
	s_barrier_wait -1
	global_inv scope:SCOPE_SE
	scratch_load_b128 v[1:4], v13, off offset:16
	s_wait_loadcnt 0x0
	v_cmp_eq_f64_e32 vcc_lo, 0, v[1:2]
	v_cmp_eq_f64_e64 s1, 0, v[3:4]
	s_and_b32 s1, vcc_lo, s1
	s_wait_alu 0xfffe
	s_and_saveexec_b32 s50, s1
	s_cbranch_execz .LBB104_10
; %bb.7:
	v_mov_b32_e32 v1, 0
	s_mov_b32 s51, 0
	ds_load_b32 v2, v1 offset:1312
	s_wait_dscnt 0x0
	v_readfirstlane_b32 s1, v2
	v_add_nc_u32_e32 v2, 1, v0
	s_cmp_eq_u32 s1, 0
	s_delay_alu instid0(VALU_DEP_1) | instskip(SKIP_1) | instid1(SALU_CYCLE_1)
	v_cmp_gt_i32_e32 vcc_lo, s1, v2
	s_cselect_b32 s52, -1, 0
	s_or_b32 s52, s52, vcc_lo
	s_delay_alu instid0(SALU_CYCLE_1)
	s_and_b32 exec_lo, exec_lo, s52
	s_cbranch_execz .LBB104_10
; %bb.8:
	v_mov_b32_e32 v3, s1
.LBB104_9:                              ; =>This Inner Loop Header: Depth=1
	ds_cmpstore_rtn_b32 v3, v1, v2, v3 offset:1312
	s_wait_dscnt 0x0
	v_cmp_ne_u32_e32 vcc_lo, 0, v3
	v_cmp_le_i32_e64 s1, v3, v2
	s_and_b32 s1, vcc_lo, s1
	s_wait_alu 0xfffe
	s_and_b32 s1, exec_lo, s1
	s_wait_alu 0xfffe
	s_or_b32 s51, s1, s51
	s_delay_alu instid0(SALU_CYCLE_1)
	s_and_not1_b32 exec_lo, exec_lo, s51
	s_cbranch_execnz .LBB104_9
.LBB104_10:
	s_or_b32 exec_lo, exec_lo, s50
	v_mov_b32_e32 v1, 0
	s_barrier_signal -1
	s_barrier_wait -1
	global_inv scope:SCOPE_SE
	ds_load_b32 v2, v1 offset:1312
	s_and_saveexec_b32 s1, s0
	s_cbranch_execz .LBB104_12
; %bb.11:
	s_lshl_b64 s[50:51], s[8:9], 2
	s_delay_alu instid0(SALU_CYCLE_1)
	s_add_nc_u64 s[50:51], s[6:7], s[50:51]
	s_wait_dscnt 0x0
	global_store_b32 v1, v2, s[50:51]
.LBB104_12:
	s_wait_alu 0xfffe
	s_or_b32 exec_lo, exec_lo, s1
	s_wait_dscnt 0x0
	v_cmp_ne_u32_e32 vcc_lo, 0, v2
	s_mov_b32 s1, 0
	s_cbranch_vccnz .LBB104_176
; %bb.13:
	v_add_nc_u32_e32 v14, 16, v13
                                        ; implicit-def: $vgpr1_vgpr2
                                        ; implicit-def: $vgpr9_vgpr10
	scratch_load_b128 v[5:8], v14, off
	s_wait_loadcnt 0x0
	v_cmp_ngt_f64_e64 s1, |v[5:6]|, |v[7:8]|
	s_wait_alu 0xfffe
	s_and_saveexec_b32 s50, s1
	s_delay_alu instid0(SALU_CYCLE_1)
	s_xor_b32 s1, exec_lo, s50
	s_cbranch_execz .LBB104_15
; %bb.14:
	v_div_scale_f64 v[1:2], null, v[7:8], v[7:8], v[5:6]
	v_div_scale_f64 v[11:12], vcc_lo, v[5:6], v[7:8], v[5:6]
	s_delay_alu instid0(VALU_DEP_2) | instskip(NEXT) | instid1(TRANS32_DEP_1)
	v_rcp_f64_e32 v[3:4], v[1:2]
	v_fma_f64 v[9:10], -v[1:2], v[3:4], 1.0
	s_delay_alu instid0(VALU_DEP_1) | instskip(NEXT) | instid1(VALU_DEP_1)
	v_fma_f64 v[3:4], v[3:4], v[9:10], v[3:4]
	v_fma_f64 v[9:10], -v[1:2], v[3:4], 1.0
	s_delay_alu instid0(VALU_DEP_1) | instskip(NEXT) | instid1(VALU_DEP_1)
	v_fma_f64 v[3:4], v[3:4], v[9:10], v[3:4]
	v_mul_f64_e32 v[9:10], v[11:12], v[3:4]
	s_delay_alu instid0(VALU_DEP_1) | instskip(SKIP_1) | instid1(VALU_DEP_1)
	v_fma_f64 v[1:2], -v[1:2], v[9:10], v[11:12]
	s_wait_alu 0xfffd
	v_div_fmas_f64 v[1:2], v[1:2], v[3:4], v[9:10]
	s_delay_alu instid0(VALU_DEP_1) | instskip(NEXT) | instid1(VALU_DEP_1)
	v_div_fixup_f64 v[1:2], v[1:2], v[7:8], v[5:6]
	v_fma_f64 v[3:4], v[5:6], v[1:2], v[7:8]
	s_delay_alu instid0(VALU_DEP_1) | instskip(SKIP_1) | instid1(VALU_DEP_2)
	v_div_scale_f64 v[5:6], null, v[3:4], v[3:4], 1.0
	v_div_scale_f64 v[11:12], vcc_lo, 1.0, v[3:4], 1.0
	v_rcp_f64_e32 v[7:8], v[5:6]
	s_delay_alu instid0(TRANS32_DEP_1) | instskip(NEXT) | instid1(VALU_DEP_1)
	v_fma_f64 v[9:10], -v[5:6], v[7:8], 1.0
	v_fma_f64 v[7:8], v[7:8], v[9:10], v[7:8]
	s_delay_alu instid0(VALU_DEP_1) | instskip(NEXT) | instid1(VALU_DEP_1)
	v_fma_f64 v[9:10], -v[5:6], v[7:8], 1.0
	v_fma_f64 v[7:8], v[7:8], v[9:10], v[7:8]
	s_delay_alu instid0(VALU_DEP_1) | instskip(NEXT) | instid1(VALU_DEP_1)
	v_mul_f64_e32 v[9:10], v[11:12], v[7:8]
	v_fma_f64 v[5:6], -v[5:6], v[9:10], v[11:12]
	s_wait_alu 0xfffd
	s_delay_alu instid0(VALU_DEP_1) | instskip(NEXT) | instid1(VALU_DEP_1)
	v_div_fmas_f64 v[5:6], v[5:6], v[7:8], v[9:10]
	v_div_fixup_f64 v[3:4], v[5:6], v[3:4], 1.0
                                        ; implicit-def: $vgpr5_vgpr6
	s_delay_alu instid0(VALU_DEP_1) | instskip(SKIP_1) | instid1(VALU_DEP_2)
	v_mul_f64_e32 v[1:2], v[1:2], v[3:4]
	v_xor_b32_e32 v4, 0x80000000, v4
	v_xor_b32_e32 v10, 0x80000000, v2
	s_delay_alu instid0(VALU_DEP_3)
	v_mov_b32_e32 v9, v1
.LBB104_15:
	s_wait_alu 0xfffe
	s_and_not1_saveexec_b32 s1, s1
	s_cbranch_execz .LBB104_17
; %bb.16:
	v_div_scale_f64 v[1:2], null, v[5:6], v[5:6], v[7:8]
	v_div_scale_f64 v[11:12], vcc_lo, v[7:8], v[5:6], v[7:8]
	s_delay_alu instid0(VALU_DEP_2) | instskip(NEXT) | instid1(TRANS32_DEP_1)
	v_rcp_f64_e32 v[3:4], v[1:2]
	v_fma_f64 v[9:10], -v[1:2], v[3:4], 1.0
	s_delay_alu instid0(VALU_DEP_1) | instskip(NEXT) | instid1(VALU_DEP_1)
	v_fma_f64 v[3:4], v[3:4], v[9:10], v[3:4]
	v_fma_f64 v[9:10], -v[1:2], v[3:4], 1.0
	s_delay_alu instid0(VALU_DEP_1) | instskip(NEXT) | instid1(VALU_DEP_1)
	v_fma_f64 v[3:4], v[3:4], v[9:10], v[3:4]
	v_mul_f64_e32 v[9:10], v[11:12], v[3:4]
	s_delay_alu instid0(VALU_DEP_1) | instskip(SKIP_1) | instid1(VALU_DEP_1)
	v_fma_f64 v[1:2], -v[1:2], v[9:10], v[11:12]
	s_wait_alu 0xfffd
	v_div_fmas_f64 v[1:2], v[1:2], v[3:4], v[9:10]
	s_delay_alu instid0(VALU_DEP_1) | instskip(NEXT) | instid1(VALU_DEP_1)
	v_div_fixup_f64 v[3:4], v[1:2], v[5:6], v[7:8]
	v_fma_f64 v[1:2], v[7:8], v[3:4], v[5:6]
	s_delay_alu instid0(VALU_DEP_1) | instskip(NEXT) | instid1(VALU_DEP_1)
	v_div_scale_f64 v[5:6], null, v[1:2], v[1:2], 1.0
	v_rcp_f64_e32 v[7:8], v[5:6]
	s_delay_alu instid0(TRANS32_DEP_1) | instskip(NEXT) | instid1(VALU_DEP_1)
	v_fma_f64 v[9:10], -v[5:6], v[7:8], 1.0
	v_fma_f64 v[7:8], v[7:8], v[9:10], v[7:8]
	s_delay_alu instid0(VALU_DEP_1) | instskip(NEXT) | instid1(VALU_DEP_1)
	v_fma_f64 v[9:10], -v[5:6], v[7:8], 1.0
	v_fma_f64 v[7:8], v[7:8], v[9:10], v[7:8]
	v_div_scale_f64 v[9:10], vcc_lo, 1.0, v[1:2], 1.0
	s_delay_alu instid0(VALU_DEP_1) | instskip(NEXT) | instid1(VALU_DEP_1)
	v_mul_f64_e32 v[11:12], v[9:10], v[7:8]
	v_fma_f64 v[5:6], -v[5:6], v[11:12], v[9:10]
	s_wait_alu 0xfffd
	s_delay_alu instid0(VALU_DEP_1) | instskip(NEXT) | instid1(VALU_DEP_1)
	v_div_fmas_f64 v[5:6], v[5:6], v[7:8], v[11:12]
	v_div_fixup_f64 v[1:2], v[5:6], v[1:2], 1.0
	s_delay_alu instid0(VALU_DEP_1)
	v_mul_f64_e64 v[3:4], v[3:4], -v[1:2]
	v_xor_b32_e32 v10, 0x80000000, v2
	v_mov_b32_e32 v9, v1
.LBB104_17:
	s_wait_alu 0xfffe
	s_or_b32 exec_lo, exec_lo, s1
	scratch_store_b128 v14, v[1:4], off
	scratch_load_b128 v[15:18], off, s49
	v_xor_b32_e32 v12, 0x80000000, v4
	v_mov_b32_e32 v11, v3
	v_add_nc_u32_e32 v5, 0x290, v13
	ds_store_b128 v13, v[9:12]
	s_wait_loadcnt 0x0
	ds_store_b128 v13, v[15:18] offset:656
	s_wait_storecnt_dscnt 0x0
	s_barrier_signal -1
	s_barrier_wait -1
	global_inv scope:SCOPE_SE
	s_and_saveexec_b32 s1, s0
	s_cbranch_execz .LBB104_19
; %bb.18:
	scratch_load_b128 v[1:4], v14, off
	ds_load_b128 v[6:9], v5
	v_mov_b32_e32 v10, 0
	ds_load_b128 v[15:18], v10 offset:16
	s_wait_loadcnt_dscnt 0x1
	v_mul_f64_e32 v[10:11], v[6:7], v[3:4]
	v_mul_f64_e32 v[3:4], v[8:9], v[3:4]
	s_delay_alu instid0(VALU_DEP_2) | instskip(NEXT) | instid1(VALU_DEP_2)
	v_fma_f64 v[8:9], v[8:9], v[1:2], v[10:11]
	v_fma_f64 v[1:2], v[6:7], v[1:2], -v[3:4]
	s_delay_alu instid0(VALU_DEP_2) | instskip(NEXT) | instid1(VALU_DEP_2)
	v_add_f64_e32 v[3:4], 0, v[8:9]
	v_add_f64_e32 v[1:2], 0, v[1:2]
	s_wait_dscnt 0x0
	s_delay_alu instid0(VALU_DEP_2) | instskip(NEXT) | instid1(VALU_DEP_2)
	v_mul_f64_e32 v[6:7], v[3:4], v[17:18]
	v_mul_f64_e32 v[8:9], v[1:2], v[17:18]
	s_delay_alu instid0(VALU_DEP_2) | instskip(NEXT) | instid1(VALU_DEP_2)
	v_fma_f64 v[1:2], v[1:2], v[15:16], -v[6:7]
	v_fma_f64 v[3:4], v[3:4], v[15:16], v[8:9]
	scratch_store_b128 off, v[1:4], off offset:32
.LBB104_19:
	s_wait_alu 0xfffe
	s_or_b32 exec_lo, exec_lo, s1
	s_wait_loadcnt 0x0
	s_wait_storecnt 0x0
	s_barrier_signal -1
	s_barrier_wait -1
	global_inv scope:SCOPE_SE
	scratch_load_b128 v[1:4], off, s48
	s_mov_b32 s1, exec_lo
	s_wait_loadcnt 0x0
	ds_store_b128 v5, v[1:4]
	s_wait_dscnt 0x0
	s_barrier_signal -1
	s_barrier_wait -1
	global_inv scope:SCOPE_SE
	v_cmpx_gt_u32_e32 2, v0
	s_cbranch_execz .LBB104_23
; %bb.20:
	scratch_load_b128 v[1:4], v14, off
	ds_load_b128 v[6:9], v5
	s_wait_loadcnt_dscnt 0x0
	v_mul_f64_e32 v[10:11], v[8:9], v[3:4]
	v_mul_f64_e32 v[3:4], v[6:7], v[3:4]
	s_delay_alu instid0(VALU_DEP_2) | instskip(NEXT) | instid1(VALU_DEP_2)
	v_fma_f64 v[6:7], v[6:7], v[1:2], -v[10:11]
	v_fma_f64 v[3:4], v[8:9], v[1:2], v[3:4]
	s_delay_alu instid0(VALU_DEP_2) | instskip(NEXT) | instid1(VALU_DEP_2)
	v_add_f64_e32 v[1:2], 0, v[6:7]
	v_add_f64_e32 v[3:4], 0, v[3:4]
	s_and_saveexec_b32 s50, s0
	s_cbranch_execz .LBB104_22
; %bb.21:
	scratch_load_b128 v[6:9], off, off offset:32
	v_mov_b32_e32 v10, 0
	ds_load_b128 v[15:18], v10 offset:672
	s_wait_loadcnt_dscnt 0x0
	v_mul_f64_e32 v[10:11], v[15:16], v[8:9]
	v_mul_f64_e32 v[8:9], v[17:18], v[8:9]
	s_delay_alu instid0(VALU_DEP_2) | instskip(NEXT) | instid1(VALU_DEP_2)
	v_fma_f64 v[10:11], v[17:18], v[6:7], v[10:11]
	v_fma_f64 v[6:7], v[15:16], v[6:7], -v[8:9]
	s_delay_alu instid0(VALU_DEP_2) | instskip(NEXT) | instid1(VALU_DEP_2)
	v_add_f64_e32 v[3:4], v[3:4], v[10:11]
	v_add_f64_e32 v[1:2], v[1:2], v[6:7]
.LBB104_22:
	s_or_b32 exec_lo, exec_lo, s50
	v_mov_b32_e32 v6, 0
	ds_load_b128 v[6:9], v6 offset:32
	s_wait_dscnt 0x0
	v_mul_f64_e32 v[10:11], v[3:4], v[8:9]
	v_mul_f64_e32 v[8:9], v[1:2], v[8:9]
	s_delay_alu instid0(VALU_DEP_2) | instskip(NEXT) | instid1(VALU_DEP_2)
	v_fma_f64 v[1:2], v[1:2], v[6:7], -v[10:11]
	v_fma_f64 v[3:4], v[3:4], v[6:7], v[8:9]
	scratch_store_b128 off, v[1:4], off offset:48
.LBB104_23:
	s_wait_alu 0xfffe
	s_or_b32 exec_lo, exec_lo, s1
	s_wait_loadcnt 0x0
	s_wait_storecnt 0x0
	s_barrier_signal -1
	s_barrier_wait -1
	global_inv scope:SCOPE_SE
	scratch_load_b128 v[1:4], off, s28
	v_add_nc_u32_e32 v6, -1, v0
	s_mov_b32 s0, exec_lo
	s_wait_loadcnt 0x0
	ds_store_b128 v5, v[1:4]
	s_wait_dscnt 0x0
	s_barrier_signal -1
	s_barrier_wait -1
	global_inv scope:SCOPE_SE
	v_cmpx_gt_u32_e32 3, v0
	s_cbranch_execz .LBB104_27
; %bb.24:
	v_dual_mov_b32 v1, 0 :: v_dual_add_nc_u32 v8, 0x290, v13
	v_mov_b32_e32 v3, 0
	v_dual_mov_b32 v2, 0 :: v_dual_add_nc_u32 v7, -1, v0
	v_mov_b32_e32 v4, 0
	v_or_b32_e32 v9, 8, v14
	s_mov_b32 s1, 0
.LBB104_25:                             ; =>This Inner Loop Header: Depth=1
	scratch_load_b128 v[15:18], v9, off offset:-8
	ds_load_b128 v[19:22], v8
	v_add_nc_u32_e32 v7, 1, v7
	v_add_nc_u32_e32 v8, 16, v8
	v_add_nc_u32_e32 v9, 16, v9
	s_delay_alu instid0(VALU_DEP_3)
	v_cmp_lt_u32_e32 vcc_lo, 1, v7
	s_wait_alu 0xfffe
	s_or_b32 s1, vcc_lo, s1
	s_wait_loadcnt_dscnt 0x0
	v_mul_f64_e32 v[10:11], v[21:22], v[17:18]
	v_mul_f64_e32 v[17:18], v[19:20], v[17:18]
	s_delay_alu instid0(VALU_DEP_2) | instskip(NEXT) | instid1(VALU_DEP_2)
	v_fma_f64 v[10:11], v[19:20], v[15:16], -v[10:11]
	v_fma_f64 v[15:16], v[21:22], v[15:16], v[17:18]
	s_delay_alu instid0(VALU_DEP_2) | instskip(NEXT) | instid1(VALU_DEP_2)
	v_add_f64_e32 v[3:4], v[3:4], v[10:11]
	v_add_f64_e32 v[1:2], v[1:2], v[15:16]
	s_wait_alu 0xfffe
	s_and_not1_b32 exec_lo, exec_lo, s1
	s_cbranch_execnz .LBB104_25
; %bb.26:
	s_or_b32 exec_lo, exec_lo, s1
	v_mov_b32_e32 v7, 0
	ds_load_b128 v[7:10], v7 offset:48
	s_wait_dscnt 0x0
	v_mul_f64_e32 v[11:12], v[1:2], v[9:10]
	v_mul_f64_e32 v[15:16], v[3:4], v[9:10]
	s_delay_alu instid0(VALU_DEP_2) | instskip(NEXT) | instid1(VALU_DEP_2)
	v_fma_f64 v[9:10], v[3:4], v[7:8], -v[11:12]
	v_fma_f64 v[11:12], v[1:2], v[7:8], v[15:16]
	scratch_store_b128 off, v[9:12], off offset:64
.LBB104_27:
	s_wait_alu 0xfffe
	s_or_b32 exec_lo, exec_lo, s0
	s_wait_loadcnt 0x0
	s_wait_storecnt 0x0
	s_barrier_signal -1
	s_barrier_wait -1
	global_inv scope:SCOPE_SE
	scratch_load_b128 v[1:4], off, s4
	s_mov_b32 s0, exec_lo
	s_wait_loadcnt 0x0
	ds_store_b128 v5, v[1:4]
	s_wait_dscnt 0x0
	s_barrier_signal -1
	s_barrier_wait -1
	global_inv scope:SCOPE_SE
	v_cmpx_gt_u32_e32 4, v0
	s_cbranch_execz .LBB104_31
; %bb.28:
	v_dual_mov_b32 v1, 0 :: v_dual_add_nc_u32 v8, 0x290, v13
	v_mov_b32_e32 v3, 0
	v_dual_mov_b32 v2, 0 :: v_dual_add_nc_u32 v7, -1, v0
	v_mov_b32_e32 v4, 0
	v_or_b32_e32 v9, 8, v14
	s_mov_b32 s1, 0
.LBB104_29:                             ; =>This Inner Loop Header: Depth=1
	scratch_load_b128 v[15:18], v9, off offset:-8
	ds_load_b128 v[19:22], v8
	v_add_nc_u32_e32 v7, 1, v7
	v_add_nc_u32_e32 v8, 16, v8
	v_add_nc_u32_e32 v9, 16, v9
	s_delay_alu instid0(VALU_DEP_3)
	v_cmp_lt_u32_e32 vcc_lo, 2, v7
	s_wait_alu 0xfffe
	s_or_b32 s1, vcc_lo, s1
	s_wait_loadcnt_dscnt 0x0
	v_mul_f64_e32 v[10:11], v[21:22], v[17:18]
	v_mul_f64_e32 v[17:18], v[19:20], v[17:18]
	s_delay_alu instid0(VALU_DEP_2) | instskip(NEXT) | instid1(VALU_DEP_2)
	v_fma_f64 v[10:11], v[19:20], v[15:16], -v[10:11]
	v_fma_f64 v[15:16], v[21:22], v[15:16], v[17:18]
	s_delay_alu instid0(VALU_DEP_2) | instskip(NEXT) | instid1(VALU_DEP_2)
	v_add_f64_e32 v[3:4], v[3:4], v[10:11]
	v_add_f64_e32 v[1:2], v[1:2], v[15:16]
	s_wait_alu 0xfffe
	s_and_not1_b32 exec_lo, exec_lo, s1
	s_cbranch_execnz .LBB104_29
; %bb.30:
	s_or_b32 exec_lo, exec_lo, s1
	v_mov_b32_e32 v7, 0
	ds_load_b128 v[7:10], v7 offset:64
	s_wait_dscnt 0x0
	v_mul_f64_e32 v[11:12], v[1:2], v[9:10]
	v_mul_f64_e32 v[15:16], v[3:4], v[9:10]
	s_delay_alu instid0(VALU_DEP_2) | instskip(NEXT) | instid1(VALU_DEP_2)
	v_fma_f64 v[9:10], v[3:4], v[7:8], -v[11:12]
	v_fma_f64 v[11:12], v[1:2], v[7:8], v[15:16]
	scratch_store_b128 off, v[9:12], off offset:80
.LBB104_31:
	s_wait_alu 0xfffe
	s_or_b32 exec_lo, exec_lo, s0
	s_wait_loadcnt 0x0
	s_wait_storecnt 0x0
	s_barrier_signal -1
	s_barrier_wait -1
	global_inv scope:SCOPE_SE
	scratch_load_b128 v[1:4], off, s29
	;; [unrolled: 58-line block ×19, first 2 shown]
	s_mov_b32 s0, exec_lo
	s_wait_loadcnt 0x0
	ds_store_b128 v5, v[1:4]
	s_wait_dscnt 0x0
	s_barrier_signal -1
	s_barrier_wait -1
	global_inv scope:SCOPE_SE
	v_cmpx_gt_u32_e32 22, v0
	s_cbranch_execz .LBB104_103
; %bb.100:
	v_dual_mov_b32 v1, 0 :: v_dual_add_nc_u32 v8, 0x290, v13
	v_mov_b32_e32 v3, 0
	v_dual_mov_b32 v2, 0 :: v_dual_add_nc_u32 v7, -1, v0
	v_mov_b32_e32 v4, 0
	v_or_b32_e32 v9, 8, v14
	s_mov_b32 s1, 0
.LBB104_101:                            ; =>This Inner Loop Header: Depth=1
	scratch_load_b128 v[15:18], v9, off offset:-8
	ds_load_b128 v[19:22], v8
	v_add_nc_u32_e32 v7, 1, v7
	v_add_nc_u32_e32 v8, 16, v8
	v_add_nc_u32_e32 v9, 16, v9
	s_delay_alu instid0(VALU_DEP_3)
	v_cmp_lt_u32_e32 vcc_lo, 20, v7
	s_wait_alu 0xfffe
	s_or_b32 s1, vcc_lo, s1
	s_wait_loadcnt_dscnt 0x0
	v_mul_f64_e32 v[10:11], v[21:22], v[17:18]
	v_mul_f64_e32 v[17:18], v[19:20], v[17:18]
	s_delay_alu instid0(VALU_DEP_2) | instskip(NEXT) | instid1(VALU_DEP_2)
	v_fma_f64 v[10:11], v[19:20], v[15:16], -v[10:11]
	v_fma_f64 v[15:16], v[21:22], v[15:16], v[17:18]
	s_delay_alu instid0(VALU_DEP_2) | instskip(NEXT) | instid1(VALU_DEP_2)
	v_add_f64_e32 v[3:4], v[3:4], v[10:11]
	v_add_f64_e32 v[1:2], v[1:2], v[15:16]
	s_wait_alu 0xfffe
	s_and_not1_b32 exec_lo, exec_lo, s1
	s_cbranch_execnz .LBB104_101
; %bb.102:
	s_or_b32 exec_lo, exec_lo, s1
	v_mov_b32_e32 v7, 0
	ds_load_b128 v[7:10], v7 offset:352
	s_wait_dscnt 0x0
	v_mul_f64_e32 v[11:12], v[1:2], v[9:10]
	v_mul_f64_e32 v[15:16], v[3:4], v[9:10]
	s_delay_alu instid0(VALU_DEP_2) | instskip(NEXT) | instid1(VALU_DEP_2)
	v_fma_f64 v[9:10], v[3:4], v[7:8], -v[11:12]
	v_fma_f64 v[11:12], v[1:2], v[7:8], v[15:16]
	scratch_store_b128 off, v[9:12], off offset:368
.LBB104_103:
	s_wait_alu 0xfffe
	s_or_b32 exec_lo, exec_lo, s0
	s_wait_loadcnt 0x0
	s_wait_storecnt 0x0
	s_barrier_signal -1
	s_barrier_wait -1
	global_inv scope:SCOPE_SE
	scratch_load_b128 v[1:4], off, s39
	s_mov_b32 s0, exec_lo
	s_wait_loadcnt 0x0
	ds_store_b128 v5, v[1:4]
	s_wait_dscnt 0x0
	s_barrier_signal -1
	s_barrier_wait -1
	global_inv scope:SCOPE_SE
	v_cmpx_gt_u32_e32 23, v0
	s_cbranch_execz .LBB104_107
; %bb.104:
	v_dual_mov_b32 v1, 0 :: v_dual_add_nc_u32 v8, 0x290, v13
	v_mov_b32_e32 v3, 0
	v_dual_mov_b32 v2, 0 :: v_dual_add_nc_u32 v7, -1, v0
	v_mov_b32_e32 v4, 0
	v_or_b32_e32 v9, 8, v14
	s_mov_b32 s1, 0
.LBB104_105:                            ; =>This Inner Loop Header: Depth=1
	scratch_load_b128 v[15:18], v9, off offset:-8
	ds_load_b128 v[19:22], v8
	v_add_nc_u32_e32 v7, 1, v7
	v_add_nc_u32_e32 v8, 16, v8
	v_add_nc_u32_e32 v9, 16, v9
	s_delay_alu instid0(VALU_DEP_3)
	v_cmp_lt_u32_e32 vcc_lo, 21, v7
	s_wait_alu 0xfffe
	s_or_b32 s1, vcc_lo, s1
	s_wait_loadcnt_dscnt 0x0
	v_mul_f64_e32 v[10:11], v[21:22], v[17:18]
	v_mul_f64_e32 v[17:18], v[19:20], v[17:18]
	s_delay_alu instid0(VALU_DEP_2) | instskip(NEXT) | instid1(VALU_DEP_2)
	v_fma_f64 v[10:11], v[19:20], v[15:16], -v[10:11]
	v_fma_f64 v[15:16], v[21:22], v[15:16], v[17:18]
	s_delay_alu instid0(VALU_DEP_2) | instskip(NEXT) | instid1(VALU_DEP_2)
	v_add_f64_e32 v[3:4], v[3:4], v[10:11]
	v_add_f64_e32 v[1:2], v[1:2], v[15:16]
	s_wait_alu 0xfffe
	s_and_not1_b32 exec_lo, exec_lo, s1
	s_cbranch_execnz .LBB104_105
; %bb.106:
	s_or_b32 exec_lo, exec_lo, s1
	v_mov_b32_e32 v7, 0
	ds_load_b128 v[7:10], v7 offset:368
	s_wait_dscnt 0x0
	v_mul_f64_e32 v[11:12], v[1:2], v[9:10]
	v_mul_f64_e32 v[15:16], v[3:4], v[9:10]
	s_delay_alu instid0(VALU_DEP_2) | instskip(NEXT) | instid1(VALU_DEP_2)
	v_fma_f64 v[9:10], v[3:4], v[7:8], -v[11:12]
	v_fma_f64 v[11:12], v[1:2], v[7:8], v[15:16]
	scratch_store_b128 off, v[9:12], off offset:384
.LBB104_107:
	s_wait_alu 0xfffe
	s_or_b32 exec_lo, exec_lo, s0
	s_wait_loadcnt 0x0
	s_wait_storecnt 0x0
	s_barrier_signal -1
	s_barrier_wait -1
	global_inv scope:SCOPE_SE
	scratch_load_b128 v[1:4], off, s19
	s_mov_b32 s0, exec_lo
	s_wait_loadcnt 0x0
	ds_store_b128 v5, v[1:4]
	s_wait_dscnt 0x0
	s_barrier_signal -1
	s_barrier_wait -1
	global_inv scope:SCOPE_SE
	v_cmpx_gt_u32_e32 24, v0
	s_cbranch_execz .LBB104_111
; %bb.108:
	v_dual_mov_b32 v1, 0 :: v_dual_add_nc_u32 v8, 0x290, v13
	v_mov_b32_e32 v3, 0
	v_dual_mov_b32 v2, 0 :: v_dual_add_nc_u32 v7, -1, v0
	v_mov_b32_e32 v4, 0
	v_or_b32_e32 v9, 8, v14
	s_mov_b32 s1, 0
.LBB104_109:                            ; =>This Inner Loop Header: Depth=1
	scratch_load_b128 v[15:18], v9, off offset:-8
	ds_load_b128 v[19:22], v8
	v_add_nc_u32_e32 v7, 1, v7
	v_add_nc_u32_e32 v8, 16, v8
	v_add_nc_u32_e32 v9, 16, v9
	s_delay_alu instid0(VALU_DEP_3)
	v_cmp_lt_u32_e32 vcc_lo, 22, v7
	s_wait_alu 0xfffe
	s_or_b32 s1, vcc_lo, s1
	s_wait_loadcnt_dscnt 0x0
	v_mul_f64_e32 v[10:11], v[21:22], v[17:18]
	v_mul_f64_e32 v[17:18], v[19:20], v[17:18]
	s_delay_alu instid0(VALU_DEP_2) | instskip(NEXT) | instid1(VALU_DEP_2)
	v_fma_f64 v[10:11], v[19:20], v[15:16], -v[10:11]
	v_fma_f64 v[15:16], v[21:22], v[15:16], v[17:18]
	s_delay_alu instid0(VALU_DEP_2) | instskip(NEXT) | instid1(VALU_DEP_2)
	v_add_f64_e32 v[3:4], v[3:4], v[10:11]
	v_add_f64_e32 v[1:2], v[1:2], v[15:16]
	s_wait_alu 0xfffe
	s_and_not1_b32 exec_lo, exec_lo, s1
	s_cbranch_execnz .LBB104_109
; %bb.110:
	s_or_b32 exec_lo, exec_lo, s1
	v_mov_b32_e32 v7, 0
	ds_load_b128 v[7:10], v7 offset:384
	s_wait_dscnt 0x0
	v_mul_f64_e32 v[11:12], v[1:2], v[9:10]
	v_mul_f64_e32 v[15:16], v[3:4], v[9:10]
	s_delay_alu instid0(VALU_DEP_2) | instskip(NEXT) | instid1(VALU_DEP_2)
	v_fma_f64 v[9:10], v[3:4], v[7:8], -v[11:12]
	v_fma_f64 v[11:12], v[1:2], v[7:8], v[15:16]
	scratch_store_b128 off, v[9:12], off offset:400
.LBB104_111:
	s_wait_alu 0xfffe
	s_or_b32 exec_lo, exec_lo, s0
	s_wait_loadcnt 0x0
	s_wait_storecnt 0x0
	s_barrier_signal -1
	s_barrier_wait -1
	global_inv scope:SCOPE_SE
	scratch_load_b128 v[1:4], off, s40
	s_mov_b32 s0, exec_lo
	s_wait_loadcnt 0x0
	ds_store_b128 v5, v[1:4]
	s_wait_dscnt 0x0
	s_barrier_signal -1
	s_barrier_wait -1
	global_inv scope:SCOPE_SE
	v_cmpx_gt_u32_e32 25, v0
	s_cbranch_execz .LBB104_115
; %bb.112:
	v_dual_mov_b32 v1, 0 :: v_dual_add_nc_u32 v8, 0x290, v13
	v_mov_b32_e32 v3, 0
	v_dual_mov_b32 v2, 0 :: v_dual_add_nc_u32 v7, -1, v0
	v_mov_b32_e32 v4, 0
	v_or_b32_e32 v9, 8, v14
	s_mov_b32 s1, 0
.LBB104_113:                            ; =>This Inner Loop Header: Depth=1
	scratch_load_b128 v[15:18], v9, off offset:-8
	ds_load_b128 v[19:22], v8
	v_add_nc_u32_e32 v7, 1, v7
	v_add_nc_u32_e32 v8, 16, v8
	v_add_nc_u32_e32 v9, 16, v9
	s_delay_alu instid0(VALU_DEP_3)
	v_cmp_lt_u32_e32 vcc_lo, 23, v7
	s_wait_alu 0xfffe
	s_or_b32 s1, vcc_lo, s1
	s_wait_loadcnt_dscnt 0x0
	v_mul_f64_e32 v[10:11], v[21:22], v[17:18]
	v_mul_f64_e32 v[17:18], v[19:20], v[17:18]
	s_delay_alu instid0(VALU_DEP_2) | instskip(NEXT) | instid1(VALU_DEP_2)
	v_fma_f64 v[10:11], v[19:20], v[15:16], -v[10:11]
	v_fma_f64 v[15:16], v[21:22], v[15:16], v[17:18]
	s_delay_alu instid0(VALU_DEP_2) | instskip(NEXT) | instid1(VALU_DEP_2)
	v_add_f64_e32 v[3:4], v[3:4], v[10:11]
	v_add_f64_e32 v[1:2], v[1:2], v[15:16]
	s_wait_alu 0xfffe
	s_and_not1_b32 exec_lo, exec_lo, s1
	s_cbranch_execnz .LBB104_113
; %bb.114:
	s_or_b32 exec_lo, exec_lo, s1
	v_mov_b32_e32 v7, 0
	ds_load_b128 v[7:10], v7 offset:400
	s_wait_dscnt 0x0
	v_mul_f64_e32 v[11:12], v[1:2], v[9:10]
	v_mul_f64_e32 v[15:16], v[3:4], v[9:10]
	s_delay_alu instid0(VALU_DEP_2) | instskip(NEXT) | instid1(VALU_DEP_2)
	v_fma_f64 v[9:10], v[3:4], v[7:8], -v[11:12]
	v_fma_f64 v[11:12], v[1:2], v[7:8], v[15:16]
	scratch_store_b128 off, v[9:12], off offset:416
.LBB104_115:
	s_wait_alu 0xfffe
	s_or_b32 exec_lo, exec_lo, s0
	s_wait_loadcnt 0x0
	s_wait_storecnt 0x0
	s_barrier_signal -1
	s_barrier_wait -1
	global_inv scope:SCOPE_SE
	scratch_load_b128 v[1:4], off, s20
	s_mov_b32 s0, exec_lo
	s_wait_loadcnt 0x0
	ds_store_b128 v5, v[1:4]
	s_wait_dscnt 0x0
	s_barrier_signal -1
	s_barrier_wait -1
	global_inv scope:SCOPE_SE
	v_cmpx_gt_u32_e32 26, v0
	s_cbranch_execz .LBB104_119
; %bb.116:
	v_dual_mov_b32 v1, 0 :: v_dual_add_nc_u32 v8, 0x290, v13
	v_mov_b32_e32 v3, 0
	v_dual_mov_b32 v2, 0 :: v_dual_add_nc_u32 v7, -1, v0
	v_mov_b32_e32 v4, 0
	v_or_b32_e32 v9, 8, v14
	s_mov_b32 s1, 0
.LBB104_117:                            ; =>This Inner Loop Header: Depth=1
	scratch_load_b128 v[15:18], v9, off offset:-8
	ds_load_b128 v[19:22], v8
	v_add_nc_u32_e32 v7, 1, v7
	v_add_nc_u32_e32 v8, 16, v8
	v_add_nc_u32_e32 v9, 16, v9
	s_delay_alu instid0(VALU_DEP_3)
	v_cmp_lt_u32_e32 vcc_lo, 24, v7
	s_wait_alu 0xfffe
	s_or_b32 s1, vcc_lo, s1
	s_wait_loadcnt_dscnt 0x0
	v_mul_f64_e32 v[10:11], v[21:22], v[17:18]
	v_mul_f64_e32 v[17:18], v[19:20], v[17:18]
	s_delay_alu instid0(VALU_DEP_2) | instskip(NEXT) | instid1(VALU_DEP_2)
	v_fma_f64 v[10:11], v[19:20], v[15:16], -v[10:11]
	v_fma_f64 v[15:16], v[21:22], v[15:16], v[17:18]
	s_delay_alu instid0(VALU_DEP_2) | instskip(NEXT) | instid1(VALU_DEP_2)
	v_add_f64_e32 v[3:4], v[3:4], v[10:11]
	v_add_f64_e32 v[1:2], v[1:2], v[15:16]
	s_wait_alu 0xfffe
	s_and_not1_b32 exec_lo, exec_lo, s1
	s_cbranch_execnz .LBB104_117
; %bb.118:
	s_or_b32 exec_lo, exec_lo, s1
	v_mov_b32_e32 v7, 0
	ds_load_b128 v[7:10], v7 offset:416
	s_wait_dscnt 0x0
	v_mul_f64_e32 v[11:12], v[1:2], v[9:10]
	v_mul_f64_e32 v[15:16], v[3:4], v[9:10]
	s_delay_alu instid0(VALU_DEP_2) | instskip(NEXT) | instid1(VALU_DEP_2)
	v_fma_f64 v[9:10], v[3:4], v[7:8], -v[11:12]
	v_fma_f64 v[11:12], v[1:2], v[7:8], v[15:16]
	scratch_store_b128 off, v[9:12], off offset:432
.LBB104_119:
	s_wait_alu 0xfffe
	s_or_b32 exec_lo, exec_lo, s0
	s_wait_loadcnt 0x0
	s_wait_storecnt 0x0
	s_barrier_signal -1
	s_barrier_wait -1
	global_inv scope:SCOPE_SE
	scratch_load_b128 v[1:4], off, s41
	s_mov_b32 s0, exec_lo
	s_wait_loadcnt 0x0
	ds_store_b128 v5, v[1:4]
	s_wait_dscnt 0x0
	s_barrier_signal -1
	s_barrier_wait -1
	global_inv scope:SCOPE_SE
	v_cmpx_gt_u32_e32 27, v0
	s_cbranch_execz .LBB104_123
; %bb.120:
	v_dual_mov_b32 v1, 0 :: v_dual_add_nc_u32 v8, 0x290, v13
	v_mov_b32_e32 v3, 0
	v_dual_mov_b32 v2, 0 :: v_dual_add_nc_u32 v7, -1, v0
	v_mov_b32_e32 v4, 0
	v_or_b32_e32 v9, 8, v14
	s_mov_b32 s1, 0
.LBB104_121:                            ; =>This Inner Loop Header: Depth=1
	scratch_load_b128 v[15:18], v9, off offset:-8
	ds_load_b128 v[19:22], v8
	v_add_nc_u32_e32 v7, 1, v7
	v_add_nc_u32_e32 v8, 16, v8
	v_add_nc_u32_e32 v9, 16, v9
	s_delay_alu instid0(VALU_DEP_3)
	v_cmp_lt_u32_e32 vcc_lo, 25, v7
	s_wait_alu 0xfffe
	s_or_b32 s1, vcc_lo, s1
	s_wait_loadcnt_dscnt 0x0
	v_mul_f64_e32 v[10:11], v[21:22], v[17:18]
	v_mul_f64_e32 v[17:18], v[19:20], v[17:18]
	s_delay_alu instid0(VALU_DEP_2) | instskip(NEXT) | instid1(VALU_DEP_2)
	v_fma_f64 v[10:11], v[19:20], v[15:16], -v[10:11]
	v_fma_f64 v[15:16], v[21:22], v[15:16], v[17:18]
	s_delay_alu instid0(VALU_DEP_2) | instskip(NEXT) | instid1(VALU_DEP_2)
	v_add_f64_e32 v[3:4], v[3:4], v[10:11]
	v_add_f64_e32 v[1:2], v[1:2], v[15:16]
	s_wait_alu 0xfffe
	s_and_not1_b32 exec_lo, exec_lo, s1
	s_cbranch_execnz .LBB104_121
; %bb.122:
	s_or_b32 exec_lo, exec_lo, s1
	v_mov_b32_e32 v7, 0
	ds_load_b128 v[7:10], v7 offset:432
	s_wait_dscnt 0x0
	v_mul_f64_e32 v[11:12], v[1:2], v[9:10]
	v_mul_f64_e32 v[15:16], v[3:4], v[9:10]
	s_delay_alu instid0(VALU_DEP_2) | instskip(NEXT) | instid1(VALU_DEP_2)
	v_fma_f64 v[9:10], v[3:4], v[7:8], -v[11:12]
	v_fma_f64 v[11:12], v[1:2], v[7:8], v[15:16]
	scratch_store_b128 off, v[9:12], off offset:448
.LBB104_123:
	s_wait_alu 0xfffe
	s_or_b32 exec_lo, exec_lo, s0
	s_wait_loadcnt 0x0
	s_wait_storecnt 0x0
	s_barrier_signal -1
	s_barrier_wait -1
	global_inv scope:SCOPE_SE
	scratch_load_b128 v[1:4], off, s21
	s_mov_b32 s0, exec_lo
	s_wait_loadcnt 0x0
	ds_store_b128 v5, v[1:4]
	s_wait_dscnt 0x0
	s_barrier_signal -1
	s_barrier_wait -1
	global_inv scope:SCOPE_SE
	v_cmpx_gt_u32_e32 28, v0
	s_cbranch_execz .LBB104_127
; %bb.124:
	v_dual_mov_b32 v1, 0 :: v_dual_add_nc_u32 v8, 0x290, v13
	v_mov_b32_e32 v3, 0
	v_dual_mov_b32 v2, 0 :: v_dual_add_nc_u32 v7, -1, v0
	v_mov_b32_e32 v4, 0
	v_or_b32_e32 v9, 8, v14
	s_mov_b32 s1, 0
.LBB104_125:                            ; =>This Inner Loop Header: Depth=1
	scratch_load_b128 v[15:18], v9, off offset:-8
	ds_load_b128 v[19:22], v8
	v_add_nc_u32_e32 v7, 1, v7
	v_add_nc_u32_e32 v8, 16, v8
	v_add_nc_u32_e32 v9, 16, v9
	s_delay_alu instid0(VALU_DEP_3)
	v_cmp_lt_u32_e32 vcc_lo, 26, v7
	s_wait_alu 0xfffe
	s_or_b32 s1, vcc_lo, s1
	s_wait_loadcnt_dscnt 0x0
	v_mul_f64_e32 v[10:11], v[21:22], v[17:18]
	v_mul_f64_e32 v[17:18], v[19:20], v[17:18]
	s_delay_alu instid0(VALU_DEP_2) | instskip(NEXT) | instid1(VALU_DEP_2)
	v_fma_f64 v[10:11], v[19:20], v[15:16], -v[10:11]
	v_fma_f64 v[15:16], v[21:22], v[15:16], v[17:18]
	s_delay_alu instid0(VALU_DEP_2) | instskip(NEXT) | instid1(VALU_DEP_2)
	v_add_f64_e32 v[3:4], v[3:4], v[10:11]
	v_add_f64_e32 v[1:2], v[1:2], v[15:16]
	s_wait_alu 0xfffe
	s_and_not1_b32 exec_lo, exec_lo, s1
	s_cbranch_execnz .LBB104_125
; %bb.126:
	s_or_b32 exec_lo, exec_lo, s1
	v_mov_b32_e32 v7, 0
	ds_load_b128 v[7:10], v7 offset:448
	s_wait_dscnt 0x0
	v_mul_f64_e32 v[11:12], v[1:2], v[9:10]
	v_mul_f64_e32 v[15:16], v[3:4], v[9:10]
	s_delay_alu instid0(VALU_DEP_2) | instskip(NEXT) | instid1(VALU_DEP_2)
	v_fma_f64 v[9:10], v[3:4], v[7:8], -v[11:12]
	v_fma_f64 v[11:12], v[1:2], v[7:8], v[15:16]
	scratch_store_b128 off, v[9:12], off offset:464
.LBB104_127:
	s_wait_alu 0xfffe
	s_or_b32 exec_lo, exec_lo, s0
	s_wait_loadcnt 0x0
	s_wait_storecnt 0x0
	s_barrier_signal -1
	s_barrier_wait -1
	global_inv scope:SCOPE_SE
	scratch_load_b128 v[1:4], off, s42
	s_mov_b32 s0, exec_lo
	s_wait_loadcnt 0x0
	ds_store_b128 v5, v[1:4]
	s_wait_dscnt 0x0
	s_barrier_signal -1
	s_barrier_wait -1
	global_inv scope:SCOPE_SE
	v_cmpx_gt_u32_e32 29, v0
	s_cbranch_execz .LBB104_131
; %bb.128:
	v_dual_mov_b32 v1, 0 :: v_dual_add_nc_u32 v8, 0x290, v13
	v_mov_b32_e32 v3, 0
	v_dual_mov_b32 v2, 0 :: v_dual_add_nc_u32 v7, -1, v0
	v_mov_b32_e32 v4, 0
	v_or_b32_e32 v9, 8, v14
	s_mov_b32 s1, 0
.LBB104_129:                            ; =>This Inner Loop Header: Depth=1
	scratch_load_b128 v[15:18], v9, off offset:-8
	ds_load_b128 v[19:22], v8
	v_add_nc_u32_e32 v7, 1, v7
	v_add_nc_u32_e32 v8, 16, v8
	v_add_nc_u32_e32 v9, 16, v9
	s_delay_alu instid0(VALU_DEP_3)
	v_cmp_lt_u32_e32 vcc_lo, 27, v7
	s_wait_alu 0xfffe
	s_or_b32 s1, vcc_lo, s1
	s_wait_loadcnt_dscnt 0x0
	v_mul_f64_e32 v[10:11], v[21:22], v[17:18]
	v_mul_f64_e32 v[17:18], v[19:20], v[17:18]
	s_delay_alu instid0(VALU_DEP_2) | instskip(NEXT) | instid1(VALU_DEP_2)
	v_fma_f64 v[10:11], v[19:20], v[15:16], -v[10:11]
	v_fma_f64 v[15:16], v[21:22], v[15:16], v[17:18]
	s_delay_alu instid0(VALU_DEP_2) | instskip(NEXT) | instid1(VALU_DEP_2)
	v_add_f64_e32 v[3:4], v[3:4], v[10:11]
	v_add_f64_e32 v[1:2], v[1:2], v[15:16]
	s_wait_alu 0xfffe
	s_and_not1_b32 exec_lo, exec_lo, s1
	s_cbranch_execnz .LBB104_129
; %bb.130:
	s_or_b32 exec_lo, exec_lo, s1
	v_mov_b32_e32 v7, 0
	ds_load_b128 v[7:10], v7 offset:464
	s_wait_dscnt 0x0
	v_mul_f64_e32 v[11:12], v[1:2], v[9:10]
	v_mul_f64_e32 v[15:16], v[3:4], v[9:10]
	s_delay_alu instid0(VALU_DEP_2) | instskip(NEXT) | instid1(VALU_DEP_2)
	v_fma_f64 v[9:10], v[3:4], v[7:8], -v[11:12]
	v_fma_f64 v[11:12], v[1:2], v[7:8], v[15:16]
	scratch_store_b128 off, v[9:12], off offset:480
.LBB104_131:
	s_wait_alu 0xfffe
	s_or_b32 exec_lo, exec_lo, s0
	s_wait_loadcnt 0x0
	s_wait_storecnt 0x0
	s_barrier_signal -1
	s_barrier_wait -1
	global_inv scope:SCOPE_SE
	scratch_load_b128 v[1:4], off, s22
	s_mov_b32 s0, exec_lo
	s_wait_loadcnt 0x0
	ds_store_b128 v5, v[1:4]
	s_wait_dscnt 0x0
	s_barrier_signal -1
	s_barrier_wait -1
	global_inv scope:SCOPE_SE
	v_cmpx_gt_u32_e32 30, v0
	s_cbranch_execz .LBB104_135
; %bb.132:
	v_dual_mov_b32 v1, 0 :: v_dual_add_nc_u32 v8, 0x290, v13
	v_mov_b32_e32 v3, 0
	v_dual_mov_b32 v2, 0 :: v_dual_add_nc_u32 v7, -1, v0
	v_mov_b32_e32 v4, 0
	v_or_b32_e32 v9, 8, v14
	s_mov_b32 s1, 0
.LBB104_133:                            ; =>This Inner Loop Header: Depth=1
	scratch_load_b128 v[15:18], v9, off offset:-8
	ds_load_b128 v[19:22], v8
	v_add_nc_u32_e32 v7, 1, v7
	v_add_nc_u32_e32 v8, 16, v8
	v_add_nc_u32_e32 v9, 16, v9
	s_delay_alu instid0(VALU_DEP_3)
	v_cmp_lt_u32_e32 vcc_lo, 28, v7
	s_wait_alu 0xfffe
	s_or_b32 s1, vcc_lo, s1
	s_wait_loadcnt_dscnt 0x0
	v_mul_f64_e32 v[10:11], v[21:22], v[17:18]
	v_mul_f64_e32 v[17:18], v[19:20], v[17:18]
	s_delay_alu instid0(VALU_DEP_2) | instskip(NEXT) | instid1(VALU_DEP_2)
	v_fma_f64 v[10:11], v[19:20], v[15:16], -v[10:11]
	v_fma_f64 v[15:16], v[21:22], v[15:16], v[17:18]
	s_delay_alu instid0(VALU_DEP_2) | instskip(NEXT) | instid1(VALU_DEP_2)
	v_add_f64_e32 v[3:4], v[3:4], v[10:11]
	v_add_f64_e32 v[1:2], v[1:2], v[15:16]
	s_wait_alu 0xfffe
	s_and_not1_b32 exec_lo, exec_lo, s1
	s_cbranch_execnz .LBB104_133
; %bb.134:
	s_or_b32 exec_lo, exec_lo, s1
	v_mov_b32_e32 v7, 0
	ds_load_b128 v[7:10], v7 offset:480
	s_wait_dscnt 0x0
	v_mul_f64_e32 v[11:12], v[1:2], v[9:10]
	v_mul_f64_e32 v[15:16], v[3:4], v[9:10]
	s_delay_alu instid0(VALU_DEP_2) | instskip(NEXT) | instid1(VALU_DEP_2)
	v_fma_f64 v[9:10], v[3:4], v[7:8], -v[11:12]
	v_fma_f64 v[11:12], v[1:2], v[7:8], v[15:16]
	scratch_store_b128 off, v[9:12], off offset:496
.LBB104_135:
	s_wait_alu 0xfffe
	s_or_b32 exec_lo, exec_lo, s0
	s_wait_loadcnt 0x0
	s_wait_storecnt 0x0
	s_barrier_signal -1
	s_barrier_wait -1
	global_inv scope:SCOPE_SE
	scratch_load_b128 v[1:4], off, s43
	s_mov_b32 s0, exec_lo
	s_wait_loadcnt 0x0
	ds_store_b128 v5, v[1:4]
	s_wait_dscnt 0x0
	s_barrier_signal -1
	s_barrier_wait -1
	global_inv scope:SCOPE_SE
	v_cmpx_gt_u32_e32 31, v0
	s_cbranch_execz .LBB104_139
; %bb.136:
	v_dual_mov_b32 v1, 0 :: v_dual_add_nc_u32 v8, 0x290, v13
	v_mov_b32_e32 v3, 0
	v_dual_mov_b32 v2, 0 :: v_dual_add_nc_u32 v7, -1, v0
	v_mov_b32_e32 v4, 0
	v_or_b32_e32 v9, 8, v14
	s_mov_b32 s1, 0
.LBB104_137:                            ; =>This Inner Loop Header: Depth=1
	scratch_load_b128 v[15:18], v9, off offset:-8
	ds_load_b128 v[19:22], v8
	v_add_nc_u32_e32 v7, 1, v7
	v_add_nc_u32_e32 v8, 16, v8
	v_add_nc_u32_e32 v9, 16, v9
	s_delay_alu instid0(VALU_DEP_3)
	v_cmp_lt_u32_e32 vcc_lo, 29, v7
	s_wait_alu 0xfffe
	s_or_b32 s1, vcc_lo, s1
	s_wait_loadcnt_dscnt 0x0
	v_mul_f64_e32 v[10:11], v[21:22], v[17:18]
	v_mul_f64_e32 v[17:18], v[19:20], v[17:18]
	s_delay_alu instid0(VALU_DEP_2) | instskip(NEXT) | instid1(VALU_DEP_2)
	v_fma_f64 v[10:11], v[19:20], v[15:16], -v[10:11]
	v_fma_f64 v[15:16], v[21:22], v[15:16], v[17:18]
	s_delay_alu instid0(VALU_DEP_2) | instskip(NEXT) | instid1(VALU_DEP_2)
	v_add_f64_e32 v[3:4], v[3:4], v[10:11]
	v_add_f64_e32 v[1:2], v[1:2], v[15:16]
	s_wait_alu 0xfffe
	s_and_not1_b32 exec_lo, exec_lo, s1
	s_cbranch_execnz .LBB104_137
; %bb.138:
	s_or_b32 exec_lo, exec_lo, s1
	v_mov_b32_e32 v7, 0
	ds_load_b128 v[7:10], v7 offset:496
	s_wait_dscnt 0x0
	v_mul_f64_e32 v[11:12], v[1:2], v[9:10]
	v_mul_f64_e32 v[15:16], v[3:4], v[9:10]
	s_delay_alu instid0(VALU_DEP_2) | instskip(NEXT) | instid1(VALU_DEP_2)
	v_fma_f64 v[9:10], v[3:4], v[7:8], -v[11:12]
	v_fma_f64 v[11:12], v[1:2], v[7:8], v[15:16]
	scratch_store_b128 off, v[9:12], off offset:512
.LBB104_139:
	s_wait_alu 0xfffe
	s_or_b32 exec_lo, exec_lo, s0
	s_wait_loadcnt 0x0
	s_wait_storecnt 0x0
	s_barrier_signal -1
	s_barrier_wait -1
	global_inv scope:SCOPE_SE
	scratch_load_b128 v[1:4], off, s23
	s_mov_b32 s0, exec_lo
	s_wait_loadcnt 0x0
	ds_store_b128 v5, v[1:4]
	s_wait_dscnt 0x0
	s_barrier_signal -1
	s_barrier_wait -1
	global_inv scope:SCOPE_SE
	v_cmpx_gt_u32_e32 32, v0
	s_cbranch_execz .LBB104_143
; %bb.140:
	v_dual_mov_b32 v1, 0 :: v_dual_add_nc_u32 v8, 0x290, v13
	v_mov_b32_e32 v3, 0
	v_dual_mov_b32 v2, 0 :: v_dual_add_nc_u32 v7, -1, v0
	v_mov_b32_e32 v4, 0
	v_or_b32_e32 v9, 8, v14
	s_mov_b32 s1, 0
.LBB104_141:                            ; =>This Inner Loop Header: Depth=1
	scratch_load_b128 v[15:18], v9, off offset:-8
	ds_load_b128 v[19:22], v8
	v_add_nc_u32_e32 v7, 1, v7
	v_add_nc_u32_e32 v8, 16, v8
	v_add_nc_u32_e32 v9, 16, v9
	s_delay_alu instid0(VALU_DEP_3)
	v_cmp_lt_u32_e32 vcc_lo, 30, v7
	s_wait_alu 0xfffe
	s_or_b32 s1, vcc_lo, s1
	s_wait_loadcnt_dscnt 0x0
	v_mul_f64_e32 v[10:11], v[21:22], v[17:18]
	v_mul_f64_e32 v[17:18], v[19:20], v[17:18]
	s_delay_alu instid0(VALU_DEP_2) | instskip(NEXT) | instid1(VALU_DEP_2)
	v_fma_f64 v[10:11], v[19:20], v[15:16], -v[10:11]
	v_fma_f64 v[15:16], v[21:22], v[15:16], v[17:18]
	s_delay_alu instid0(VALU_DEP_2) | instskip(NEXT) | instid1(VALU_DEP_2)
	v_add_f64_e32 v[3:4], v[3:4], v[10:11]
	v_add_f64_e32 v[1:2], v[1:2], v[15:16]
	s_wait_alu 0xfffe
	s_and_not1_b32 exec_lo, exec_lo, s1
	s_cbranch_execnz .LBB104_141
; %bb.142:
	s_or_b32 exec_lo, exec_lo, s1
	v_mov_b32_e32 v7, 0
	ds_load_b128 v[7:10], v7 offset:512
	s_wait_dscnt 0x0
	v_mul_f64_e32 v[11:12], v[1:2], v[9:10]
	v_mul_f64_e32 v[15:16], v[3:4], v[9:10]
	s_delay_alu instid0(VALU_DEP_2) | instskip(NEXT) | instid1(VALU_DEP_2)
	v_fma_f64 v[9:10], v[3:4], v[7:8], -v[11:12]
	v_fma_f64 v[11:12], v[1:2], v[7:8], v[15:16]
	scratch_store_b128 off, v[9:12], off offset:528
.LBB104_143:
	s_wait_alu 0xfffe
	s_or_b32 exec_lo, exec_lo, s0
	s_wait_loadcnt 0x0
	s_wait_storecnt 0x0
	s_barrier_signal -1
	s_barrier_wait -1
	global_inv scope:SCOPE_SE
	scratch_load_b128 v[1:4], off, s44
	s_mov_b32 s0, exec_lo
	s_wait_loadcnt 0x0
	ds_store_b128 v5, v[1:4]
	s_wait_dscnt 0x0
	s_barrier_signal -1
	s_barrier_wait -1
	global_inv scope:SCOPE_SE
	v_cmpx_gt_u32_e32 33, v0
	s_cbranch_execz .LBB104_147
; %bb.144:
	v_dual_mov_b32 v1, 0 :: v_dual_add_nc_u32 v8, 0x290, v13
	v_mov_b32_e32 v3, 0
	v_dual_mov_b32 v2, 0 :: v_dual_add_nc_u32 v7, -1, v0
	v_mov_b32_e32 v4, 0
	v_or_b32_e32 v9, 8, v14
	s_mov_b32 s1, 0
.LBB104_145:                            ; =>This Inner Loop Header: Depth=1
	scratch_load_b128 v[15:18], v9, off offset:-8
	ds_load_b128 v[19:22], v8
	v_add_nc_u32_e32 v7, 1, v7
	v_add_nc_u32_e32 v8, 16, v8
	v_add_nc_u32_e32 v9, 16, v9
	s_delay_alu instid0(VALU_DEP_3)
	v_cmp_lt_u32_e32 vcc_lo, 31, v7
	s_wait_alu 0xfffe
	s_or_b32 s1, vcc_lo, s1
	s_wait_loadcnt_dscnt 0x0
	v_mul_f64_e32 v[10:11], v[21:22], v[17:18]
	v_mul_f64_e32 v[17:18], v[19:20], v[17:18]
	s_delay_alu instid0(VALU_DEP_2) | instskip(NEXT) | instid1(VALU_DEP_2)
	v_fma_f64 v[10:11], v[19:20], v[15:16], -v[10:11]
	v_fma_f64 v[15:16], v[21:22], v[15:16], v[17:18]
	s_delay_alu instid0(VALU_DEP_2) | instskip(NEXT) | instid1(VALU_DEP_2)
	v_add_f64_e32 v[3:4], v[3:4], v[10:11]
	v_add_f64_e32 v[1:2], v[1:2], v[15:16]
	s_wait_alu 0xfffe
	s_and_not1_b32 exec_lo, exec_lo, s1
	s_cbranch_execnz .LBB104_145
; %bb.146:
	s_or_b32 exec_lo, exec_lo, s1
	v_mov_b32_e32 v7, 0
	ds_load_b128 v[7:10], v7 offset:528
	s_wait_dscnt 0x0
	v_mul_f64_e32 v[11:12], v[1:2], v[9:10]
	v_mul_f64_e32 v[15:16], v[3:4], v[9:10]
	s_delay_alu instid0(VALU_DEP_2) | instskip(NEXT) | instid1(VALU_DEP_2)
	v_fma_f64 v[9:10], v[3:4], v[7:8], -v[11:12]
	v_fma_f64 v[11:12], v[1:2], v[7:8], v[15:16]
	scratch_store_b128 off, v[9:12], off offset:544
.LBB104_147:
	s_wait_alu 0xfffe
	s_or_b32 exec_lo, exec_lo, s0
	s_wait_loadcnt 0x0
	s_wait_storecnt 0x0
	s_barrier_signal -1
	s_barrier_wait -1
	global_inv scope:SCOPE_SE
	scratch_load_b128 v[1:4], off, s24
	s_mov_b32 s0, exec_lo
	s_wait_loadcnt 0x0
	ds_store_b128 v5, v[1:4]
	s_wait_dscnt 0x0
	s_barrier_signal -1
	s_barrier_wait -1
	global_inv scope:SCOPE_SE
	v_cmpx_gt_u32_e32 34, v0
	s_cbranch_execz .LBB104_151
; %bb.148:
	v_dual_mov_b32 v1, 0 :: v_dual_add_nc_u32 v8, 0x290, v13
	v_mov_b32_e32 v3, 0
	v_dual_mov_b32 v2, 0 :: v_dual_add_nc_u32 v7, -1, v0
	v_mov_b32_e32 v4, 0
	v_or_b32_e32 v9, 8, v14
	s_mov_b32 s1, 0
.LBB104_149:                            ; =>This Inner Loop Header: Depth=1
	scratch_load_b128 v[15:18], v9, off offset:-8
	ds_load_b128 v[19:22], v8
	v_add_nc_u32_e32 v7, 1, v7
	v_add_nc_u32_e32 v8, 16, v8
	v_add_nc_u32_e32 v9, 16, v9
	s_delay_alu instid0(VALU_DEP_3)
	v_cmp_lt_u32_e32 vcc_lo, 32, v7
	s_wait_alu 0xfffe
	s_or_b32 s1, vcc_lo, s1
	s_wait_loadcnt_dscnt 0x0
	v_mul_f64_e32 v[10:11], v[21:22], v[17:18]
	v_mul_f64_e32 v[17:18], v[19:20], v[17:18]
	s_delay_alu instid0(VALU_DEP_2) | instskip(NEXT) | instid1(VALU_DEP_2)
	v_fma_f64 v[10:11], v[19:20], v[15:16], -v[10:11]
	v_fma_f64 v[15:16], v[21:22], v[15:16], v[17:18]
	s_delay_alu instid0(VALU_DEP_2) | instskip(NEXT) | instid1(VALU_DEP_2)
	v_add_f64_e32 v[3:4], v[3:4], v[10:11]
	v_add_f64_e32 v[1:2], v[1:2], v[15:16]
	s_wait_alu 0xfffe
	s_and_not1_b32 exec_lo, exec_lo, s1
	s_cbranch_execnz .LBB104_149
; %bb.150:
	s_or_b32 exec_lo, exec_lo, s1
	v_mov_b32_e32 v7, 0
	ds_load_b128 v[7:10], v7 offset:544
	s_wait_dscnt 0x0
	v_mul_f64_e32 v[11:12], v[1:2], v[9:10]
	v_mul_f64_e32 v[15:16], v[3:4], v[9:10]
	s_delay_alu instid0(VALU_DEP_2) | instskip(NEXT) | instid1(VALU_DEP_2)
	v_fma_f64 v[9:10], v[3:4], v[7:8], -v[11:12]
	v_fma_f64 v[11:12], v[1:2], v[7:8], v[15:16]
	scratch_store_b128 off, v[9:12], off offset:560
.LBB104_151:
	s_wait_alu 0xfffe
	s_or_b32 exec_lo, exec_lo, s0
	s_wait_loadcnt 0x0
	s_wait_storecnt 0x0
	s_barrier_signal -1
	s_barrier_wait -1
	global_inv scope:SCOPE_SE
	scratch_load_b128 v[1:4], off, s45
	s_mov_b32 s0, exec_lo
	s_wait_loadcnt 0x0
	ds_store_b128 v5, v[1:4]
	s_wait_dscnt 0x0
	s_barrier_signal -1
	s_barrier_wait -1
	global_inv scope:SCOPE_SE
	v_cmpx_gt_u32_e32 35, v0
	s_cbranch_execz .LBB104_155
; %bb.152:
	v_dual_mov_b32 v1, 0 :: v_dual_add_nc_u32 v8, 0x290, v13
	v_mov_b32_e32 v3, 0
	v_dual_mov_b32 v2, 0 :: v_dual_add_nc_u32 v7, -1, v0
	v_mov_b32_e32 v4, 0
	v_or_b32_e32 v9, 8, v14
	s_mov_b32 s1, 0
.LBB104_153:                            ; =>This Inner Loop Header: Depth=1
	scratch_load_b128 v[15:18], v9, off offset:-8
	ds_load_b128 v[19:22], v8
	v_add_nc_u32_e32 v7, 1, v7
	v_add_nc_u32_e32 v8, 16, v8
	v_add_nc_u32_e32 v9, 16, v9
	s_delay_alu instid0(VALU_DEP_3)
	v_cmp_lt_u32_e32 vcc_lo, 33, v7
	s_wait_alu 0xfffe
	s_or_b32 s1, vcc_lo, s1
	s_wait_loadcnt_dscnt 0x0
	v_mul_f64_e32 v[10:11], v[21:22], v[17:18]
	v_mul_f64_e32 v[17:18], v[19:20], v[17:18]
	s_delay_alu instid0(VALU_DEP_2) | instskip(NEXT) | instid1(VALU_DEP_2)
	v_fma_f64 v[10:11], v[19:20], v[15:16], -v[10:11]
	v_fma_f64 v[15:16], v[21:22], v[15:16], v[17:18]
	s_delay_alu instid0(VALU_DEP_2) | instskip(NEXT) | instid1(VALU_DEP_2)
	v_add_f64_e32 v[3:4], v[3:4], v[10:11]
	v_add_f64_e32 v[1:2], v[1:2], v[15:16]
	s_wait_alu 0xfffe
	s_and_not1_b32 exec_lo, exec_lo, s1
	s_cbranch_execnz .LBB104_153
; %bb.154:
	s_or_b32 exec_lo, exec_lo, s1
	v_mov_b32_e32 v7, 0
	ds_load_b128 v[7:10], v7 offset:560
	s_wait_dscnt 0x0
	v_mul_f64_e32 v[11:12], v[1:2], v[9:10]
	v_mul_f64_e32 v[15:16], v[3:4], v[9:10]
	s_delay_alu instid0(VALU_DEP_2) | instskip(NEXT) | instid1(VALU_DEP_2)
	v_fma_f64 v[9:10], v[3:4], v[7:8], -v[11:12]
	v_fma_f64 v[11:12], v[1:2], v[7:8], v[15:16]
	scratch_store_b128 off, v[9:12], off offset:576
.LBB104_155:
	s_wait_alu 0xfffe
	s_or_b32 exec_lo, exec_lo, s0
	s_wait_loadcnt 0x0
	s_wait_storecnt 0x0
	s_barrier_signal -1
	s_barrier_wait -1
	global_inv scope:SCOPE_SE
	scratch_load_b128 v[1:4], off, s25
	s_mov_b32 s0, exec_lo
	s_wait_loadcnt 0x0
	ds_store_b128 v5, v[1:4]
	s_wait_dscnt 0x0
	s_barrier_signal -1
	s_barrier_wait -1
	global_inv scope:SCOPE_SE
	v_cmpx_gt_u32_e32 36, v0
	s_cbranch_execz .LBB104_159
; %bb.156:
	v_dual_mov_b32 v1, 0 :: v_dual_add_nc_u32 v8, 0x290, v13
	v_mov_b32_e32 v3, 0
	v_dual_mov_b32 v2, 0 :: v_dual_add_nc_u32 v7, -1, v0
	v_mov_b32_e32 v4, 0
	v_or_b32_e32 v9, 8, v14
	s_mov_b32 s1, 0
.LBB104_157:                            ; =>This Inner Loop Header: Depth=1
	scratch_load_b128 v[15:18], v9, off offset:-8
	ds_load_b128 v[19:22], v8
	v_add_nc_u32_e32 v7, 1, v7
	v_add_nc_u32_e32 v8, 16, v8
	v_add_nc_u32_e32 v9, 16, v9
	s_delay_alu instid0(VALU_DEP_3)
	v_cmp_lt_u32_e32 vcc_lo, 34, v7
	s_wait_alu 0xfffe
	s_or_b32 s1, vcc_lo, s1
	s_wait_loadcnt_dscnt 0x0
	v_mul_f64_e32 v[10:11], v[21:22], v[17:18]
	v_mul_f64_e32 v[17:18], v[19:20], v[17:18]
	s_delay_alu instid0(VALU_DEP_2) | instskip(NEXT) | instid1(VALU_DEP_2)
	v_fma_f64 v[10:11], v[19:20], v[15:16], -v[10:11]
	v_fma_f64 v[15:16], v[21:22], v[15:16], v[17:18]
	s_delay_alu instid0(VALU_DEP_2) | instskip(NEXT) | instid1(VALU_DEP_2)
	v_add_f64_e32 v[3:4], v[3:4], v[10:11]
	v_add_f64_e32 v[1:2], v[1:2], v[15:16]
	s_wait_alu 0xfffe
	s_and_not1_b32 exec_lo, exec_lo, s1
	s_cbranch_execnz .LBB104_157
; %bb.158:
	s_or_b32 exec_lo, exec_lo, s1
	v_mov_b32_e32 v7, 0
	ds_load_b128 v[7:10], v7 offset:576
	s_wait_dscnt 0x0
	v_mul_f64_e32 v[11:12], v[1:2], v[9:10]
	v_mul_f64_e32 v[15:16], v[3:4], v[9:10]
	s_delay_alu instid0(VALU_DEP_2) | instskip(NEXT) | instid1(VALU_DEP_2)
	v_fma_f64 v[9:10], v[3:4], v[7:8], -v[11:12]
	v_fma_f64 v[11:12], v[1:2], v[7:8], v[15:16]
	scratch_store_b128 off, v[9:12], off offset:592
.LBB104_159:
	s_wait_alu 0xfffe
	s_or_b32 exec_lo, exec_lo, s0
	s_wait_loadcnt 0x0
	s_wait_storecnt 0x0
	s_barrier_signal -1
	s_barrier_wait -1
	global_inv scope:SCOPE_SE
	scratch_load_b128 v[1:4], off, s46
	s_mov_b32 s0, exec_lo
	s_wait_loadcnt 0x0
	ds_store_b128 v5, v[1:4]
	s_wait_dscnt 0x0
	s_barrier_signal -1
	s_barrier_wait -1
	global_inv scope:SCOPE_SE
	v_cmpx_gt_u32_e32 37, v0
	s_cbranch_execz .LBB104_163
; %bb.160:
	v_dual_mov_b32 v1, 0 :: v_dual_add_nc_u32 v8, 0x290, v13
	v_mov_b32_e32 v3, 0
	v_dual_mov_b32 v2, 0 :: v_dual_add_nc_u32 v7, -1, v0
	v_mov_b32_e32 v4, 0
	v_or_b32_e32 v9, 8, v14
	s_mov_b32 s1, 0
.LBB104_161:                            ; =>This Inner Loop Header: Depth=1
	scratch_load_b128 v[15:18], v9, off offset:-8
	ds_load_b128 v[19:22], v8
	v_add_nc_u32_e32 v7, 1, v7
	v_add_nc_u32_e32 v8, 16, v8
	v_add_nc_u32_e32 v9, 16, v9
	s_delay_alu instid0(VALU_DEP_3)
	v_cmp_lt_u32_e32 vcc_lo, 35, v7
	s_wait_alu 0xfffe
	s_or_b32 s1, vcc_lo, s1
	s_wait_loadcnt_dscnt 0x0
	v_mul_f64_e32 v[10:11], v[21:22], v[17:18]
	v_mul_f64_e32 v[17:18], v[19:20], v[17:18]
	s_delay_alu instid0(VALU_DEP_2) | instskip(NEXT) | instid1(VALU_DEP_2)
	v_fma_f64 v[10:11], v[19:20], v[15:16], -v[10:11]
	v_fma_f64 v[15:16], v[21:22], v[15:16], v[17:18]
	s_delay_alu instid0(VALU_DEP_2) | instskip(NEXT) | instid1(VALU_DEP_2)
	v_add_f64_e32 v[3:4], v[3:4], v[10:11]
	v_add_f64_e32 v[1:2], v[1:2], v[15:16]
	s_wait_alu 0xfffe
	s_and_not1_b32 exec_lo, exec_lo, s1
	s_cbranch_execnz .LBB104_161
; %bb.162:
	s_or_b32 exec_lo, exec_lo, s1
	v_mov_b32_e32 v7, 0
	ds_load_b128 v[7:10], v7 offset:592
	s_wait_dscnt 0x0
	v_mul_f64_e32 v[11:12], v[1:2], v[9:10]
	v_mul_f64_e32 v[15:16], v[3:4], v[9:10]
	s_delay_alu instid0(VALU_DEP_2) | instskip(NEXT) | instid1(VALU_DEP_2)
	v_fma_f64 v[9:10], v[3:4], v[7:8], -v[11:12]
	v_fma_f64 v[11:12], v[1:2], v[7:8], v[15:16]
	scratch_store_b128 off, v[9:12], off offset:608
.LBB104_163:
	s_wait_alu 0xfffe
	s_or_b32 exec_lo, exec_lo, s0
	s_wait_loadcnt 0x0
	s_wait_storecnt 0x0
	s_barrier_signal -1
	s_barrier_wait -1
	global_inv scope:SCOPE_SE
	scratch_load_b128 v[1:4], off, s26
	s_mov_b32 s0, exec_lo
	s_wait_loadcnt 0x0
	ds_store_b128 v5, v[1:4]
	s_wait_dscnt 0x0
	s_barrier_signal -1
	s_barrier_wait -1
	global_inv scope:SCOPE_SE
	v_cmpx_gt_u32_e32 38, v0
	s_cbranch_execz .LBB104_167
; %bb.164:
	v_dual_mov_b32 v1, 0 :: v_dual_add_nc_u32 v8, 0x290, v13
	v_mov_b32_e32 v3, 0
	v_dual_mov_b32 v2, 0 :: v_dual_add_nc_u32 v7, -1, v0
	v_mov_b32_e32 v4, 0
	v_or_b32_e32 v9, 8, v14
	s_mov_b32 s1, 0
.LBB104_165:                            ; =>This Inner Loop Header: Depth=1
	scratch_load_b128 v[15:18], v9, off offset:-8
	ds_load_b128 v[19:22], v8
	v_add_nc_u32_e32 v7, 1, v7
	v_add_nc_u32_e32 v8, 16, v8
	v_add_nc_u32_e32 v9, 16, v9
	s_delay_alu instid0(VALU_DEP_3)
	v_cmp_lt_u32_e32 vcc_lo, 36, v7
	s_wait_alu 0xfffe
	s_or_b32 s1, vcc_lo, s1
	s_wait_loadcnt_dscnt 0x0
	v_mul_f64_e32 v[10:11], v[21:22], v[17:18]
	v_mul_f64_e32 v[17:18], v[19:20], v[17:18]
	s_delay_alu instid0(VALU_DEP_2) | instskip(NEXT) | instid1(VALU_DEP_2)
	v_fma_f64 v[10:11], v[19:20], v[15:16], -v[10:11]
	v_fma_f64 v[15:16], v[21:22], v[15:16], v[17:18]
	s_delay_alu instid0(VALU_DEP_2) | instskip(NEXT) | instid1(VALU_DEP_2)
	v_add_f64_e32 v[3:4], v[3:4], v[10:11]
	v_add_f64_e32 v[1:2], v[1:2], v[15:16]
	s_wait_alu 0xfffe
	s_and_not1_b32 exec_lo, exec_lo, s1
	s_cbranch_execnz .LBB104_165
; %bb.166:
	s_or_b32 exec_lo, exec_lo, s1
	v_mov_b32_e32 v7, 0
	ds_load_b128 v[7:10], v7 offset:608
	s_wait_dscnt 0x0
	v_mul_f64_e32 v[11:12], v[1:2], v[9:10]
	v_mul_f64_e32 v[15:16], v[3:4], v[9:10]
	s_delay_alu instid0(VALU_DEP_2) | instskip(NEXT) | instid1(VALU_DEP_2)
	v_fma_f64 v[9:10], v[3:4], v[7:8], -v[11:12]
	v_fma_f64 v[11:12], v[1:2], v[7:8], v[15:16]
	scratch_store_b128 off, v[9:12], off offset:624
.LBB104_167:
	s_wait_alu 0xfffe
	s_or_b32 exec_lo, exec_lo, s0
	s_wait_loadcnt 0x0
	s_wait_storecnt 0x0
	s_barrier_signal -1
	s_barrier_wait -1
	global_inv scope:SCOPE_SE
	scratch_load_b128 v[1:4], off, s47
	s_mov_b32 s0, exec_lo
	s_wait_loadcnt 0x0
	ds_store_b128 v5, v[1:4]
	s_wait_dscnt 0x0
	s_barrier_signal -1
	s_barrier_wait -1
	global_inv scope:SCOPE_SE
	v_cmpx_gt_u32_e32 39, v0
	s_cbranch_execz .LBB104_171
; %bb.168:
	v_dual_mov_b32 v1, 0 :: v_dual_add_nc_u32 v8, 0x290, v13
	v_mov_b32_e32 v3, 0
	v_dual_mov_b32 v2, 0 :: v_dual_add_nc_u32 v7, -1, v0
	v_mov_b32_e32 v4, 0
	v_or_b32_e32 v9, 8, v14
	s_mov_b32 s1, 0
.LBB104_169:                            ; =>This Inner Loop Header: Depth=1
	scratch_load_b128 v[10:13], v9, off offset:-8
	ds_load_b128 v[15:18], v8
	v_add_nc_u32_e32 v7, 1, v7
	v_add_nc_u32_e32 v8, 16, v8
	v_add_nc_u32_e32 v9, 16, v9
	s_delay_alu instid0(VALU_DEP_3)
	v_cmp_lt_u32_e32 vcc_lo, 37, v7
	s_wait_alu 0xfffe
	s_or_b32 s1, vcc_lo, s1
	s_wait_loadcnt_dscnt 0x0
	v_mul_f64_e32 v[19:20], v[17:18], v[12:13]
	v_mul_f64_e32 v[12:13], v[15:16], v[12:13]
	s_delay_alu instid0(VALU_DEP_2) | instskip(NEXT) | instid1(VALU_DEP_2)
	v_fma_f64 v[15:16], v[15:16], v[10:11], -v[19:20]
	v_fma_f64 v[10:11], v[17:18], v[10:11], v[12:13]
	s_delay_alu instid0(VALU_DEP_2) | instskip(NEXT) | instid1(VALU_DEP_2)
	v_add_f64_e32 v[3:4], v[3:4], v[15:16]
	v_add_f64_e32 v[1:2], v[1:2], v[10:11]
	s_wait_alu 0xfffe
	s_and_not1_b32 exec_lo, exec_lo, s1
	s_cbranch_execnz .LBB104_169
; %bb.170:
	s_or_b32 exec_lo, exec_lo, s1
	v_mov_b32_e32 v7, 0
	ds_load_b128 v[7:10], v7 offset:624
	s_wait_dscnt 0x0
	v_mul_f64_e32 v[11:12], v[1:2], v[9:10]
	v_mul_f64_e32 v[15:16], v[3:4], v[9:10]
	s_delay_alu instid0(VALU_DEP_2) | instskip(NEXT) | instid1(VALU_DEP_2)
	v_fma_f64 v[9:10], v[3:4], v[7:8], -v[11:12]
	v_fma_f64 v[11:12], v[1:2], v[7:8], v[15:16]
	scratch_store_b128 off, v[9:12], off offset:640
.LBB104_171:
	s_wait_alu 0xfffe
	s_or_b32 exec_lo, exec_lo, s0
	s_wait_loadcnt 0x0
	s_wait_storecnt 0x0
	s_barrier_signal -1
	s_barrier_wait -1
	global_inv scope:SCOPE_SE
	scratch_load_b128 v[1:4], off, s27
	s_mov_b32 s0, exec_lo
	s_wait_loadcnt 0x0
	ds_store_b128 v5, v[1:4]
	s_wait_dscnt 0x0
	s_barrier_signal -1
	s_barrier_wait -1
	global_inv scope:SCOPE_SE
	v_cmpx_ne_u32_e32 40, v0
	s_cbranch_execz .LBB104_175
; %bb.172:
	v_mov_b32_e32 v1, 0
	v_dual_mov_b32 v2, 0 :: v_dual_mov_b32 v3, 0
	v_mov_b32_e32 v4, 0
	v_or_b32_e32 v7, 8, v14
	s_mov_b32 s1, 0
.LBB104_173:                            ; =>This Inner Loop Header: Depth=1
	scratch_load_b128 v[8:11], v7, off offset:-8
	ds_load_b128 v[12:15], v5
	v_add_nc_u32_e32 v6, 1, v6
	v_add_nc_u32_e32 v5, 16, v5
	;; [unrolled: 1-line block ×3, first 2 shown]
	s_delay_alu instid0(VALU_DEP_3)
	v_cmp_lt_u32_e32 vcc_lo, 38, v6
	s_wait_alu 0xfffe
	s_or_b32 s1, vcc_lo, s1
	s_wait_loadcnt_dscnt 0x0
	v_mul_f64_e32 v[16:17], v[14:15], v[10:11]
	v_mul_f64_e32 v[10:11], v[12:13], v[10:11]
	s_delay_alu instid0(VALU_DEP_2) | instskip(NEXT) | instid1(VALU_DEP_2)
	v_fma_f64 v[12:13], v[12:13], v[8:9], -v[16:17]
	v_fma_f64 v[8:9], v[14:15], v[8:9], v[10:11]
	s_delay_alu instid0(VALU_DEP_2) | instskip(NEXT) | instid1(VALU_DEP_2)
	v_add_f64_e32 v[3:4], v[3:4], v[12:13]
	v_add_f64_e32 v[1:2], v[1:2], v[8:9]
	s_wait_alu 0xfffe
	s_and_not1_b32 exec_lo, exec_lo, s1
	s_cbranch_execnz .LBB104_173
; %bb.174:
	s_or_b32 exec_lo, exec_lo, s1
	v_mov_b32_e32 v5, 0
	ds_load_b128 v[5:8], v5 offset:640
	s_wait_dscnt 0x0
	v_mul_f64_e32 v[9:10], v[1:2], v[7:8]
	v_mul_f64_e32 v[7:8], v[3:4], v[7:8]
	s_delay_alu instid0(VALU_DEP_2) | instskip(NEXT) | instid1(VALU_DEP_2)
	v_fma_f64 v[3:4], v[3:4], v[5:6], -v[9:10]
	v_fma_f64 v[5:6], v[1:2], v[5:6], v[7:8]
	scratch_store_b128 off, v[3:6], off offset:656
.LBB104_175:
	s_wait_alu 0xfffe
	s_or_b32 exec_lo, exec_lo, s0
	s_mov_b32 s1, -1
	s_wait_loadcnt 0x0
	s_wait_storecnt 0x0
	s_barrier_signal -1
	s_barrier_wait -1
	global_inv scope:SCOPE_SE
.LBB104_176:
	s_wait_alu 0xfffe
	s_and_b32 vcc_lo, exec_lo, s1
	s_wait_alu 0xfffe
	s_cbranch_vccz .LBB104_178
; %bb.177:
	v_mov_b32_e32 v1, 0
	s_lshl_b64 s[0:1], s[8:9], 2
	s_wait_alu 0xfffe
	s_add_nc_u64 s[0:1], s[6:7], s[0:1]
	global_load_b32 v1, v1, s[0:1]
	s_wait_loadcnt 0x0
	v_cmp_ne_u32_e32 vcc_lo, 0, v1
	s_cbranch_vccz .LBB104_179
.LBB104_178:
	s_nop 0
	s_sendmsg sendmsg(MSG_DEALLOC_VGPRS)
	s_endpgm
.LBB104_179:
	v_lshl_add_u32 v128, v0, 4, 0x290
	s_mov_b32 s0, exec_lo
	v_cmpx_eq_u32_e32 40, v0
	s_cbranch_execz .LBB104_181
; %bb.180:
	scratch_load_b128 v[1:4], off, s47
	v_mov_b32_e32 v5, 0
	s_delay_alu instid0(VALU_DEP_1)
	v_dual_mov_b32 v6, v5 :: v_dual_mov_b32 v7, v5
	v_mov_b32_e32 v8, v5
	scratch_store_b128 off, v[5:8], off offset:640
	s_wait_loadcnt 0x0
	ds_store_b128 v128, v[1:4]
.LBB104_181:
	s_wait_alu 0xfffe
	s_or_b32 exec_lo, exec_lo, s0
	s_wait_storecnt_dscnt 0x0
	s_barrier_signal -1
	s_barrier_wait -1
	global_inv scope:SCOPE_SE
	s_clause 0x1
	scratch_load_b128 v[2:5], off, off offset:656
	scratch_load_b128 v[6:9], off, off offset:640
	v_mov_b32_e32 v1, 0
	s_mov_b32 s0, exec_lo
	ds_load_b128 v[10:13], v1 offset:1296
	s_wait_loadcnt_dscnt 0x100
	v_mul_f64_e32 v[14:15], v[12:13], v[4:5]
	v_mul_f64_e32 v[4:5], v[10:11], v[4:5]
	s_delay_alu instid0(VALU_DEP_2) | instskip(NEXT) | instid1(VALU_DEP_2)
	v_fma_f64 v[10:11], v[10:11], v[2:3], -v[14:15]
	v_fma_f64 v[2:3], v[12:13], v[2:3], v[4:5]
	s_delay_alu instid0(VALU_DEP_2) | instskip(NEXT) | instid1(VALU_DEP_2)
	v_add_f64_e32 v[4:5], 0, v[10:11]
	v_add_f64_e32 v[10:11], 0, v[2:3]
	s_wait_loadcnt 0x0
	s_delay_alu instid0(VALU_DEP_2) | instskip(NEXT) | instid1(VALU_DEP_2)
	v_add_f64_e64 v[2:3], v[6:7], -v[4:5]
	v_add_f64_e64 v[4:5], v[8:9], -v[10:11]
	scratch_store_b128 off, v[2:5], off offset:640
	v_cmpx_lt_u32_e32 38, v0
	s_cbranch_execz .LBB104_183
; %bb.182:
	scratch_load_b128 v[5:8], off, s26
	v_dual_mov_b32 v2, v1 :: v_dual_mov_b32 v3, v1
	v_mov_b32_e32 v4, v1
	scratch_store_b128 off, v[1:4], off offset:624
	s_wait_loadcnt 0x0
	ds_store_b128 v128, v[5:8]
.LBB104_183:
	s_wait_alu 0xfffe
	s_or_b32 exec_lo, exec_lo, s0
	s_wait_storecnt_dscnt 0x0
	s_barrier_signal -1
	s_barrier_wait -1
	global_inv scope:SCOPE_SE
	s_clause 0x2
	scratch_load_b128 v[2:5], off, off offset:640
	scratch_load_b128 v[6:9], off, off offset:656
	;; [unrolled: 1-line block ×3, first 2 shown]
	ds_load_b128 v[14:17], v1 offset:1280
	ds_load_b128 v[18:21], v1 offset:1296
	s_mov_b32 s0, exec_lo
	s_wait_loadcnt_dscnt 0x201
	v_mul_f64_e32 v[22:23], v[16:17], v[4:5]
	v_mul_f64_e32 v[4:5], v[14:15], v[4:5]
	s_wait_loadcnt_dscnt 0x100
	v_mul_f64_e32 v[24:25], v[18:19], v[8:9]
	v_mul_f64_e32 v[8:9], v[20:21], v[8:9]
	s_delay_alu instid0(VALU_DEP_4) | instskip(NEXT) | instid1(VALU_DEP_4)
	v_fma_f64 v[14:15], v[14:15], v[2:3], -v[22:23]
	v_fma_f64 v[1:2], v[16:17], v[2:3], v[4:5]
	s_delay_alu instid0(VALU_DEP_4) | instskip(NEXT) | instid1(VALU_DEP_4)
	v_fma_f64 v[3:4], v[20:21], v[6:7], v[24:25]
	v_fma_f64 v[5:6], v[18:19], v[6:7], -v[8:9]
	s_delay_alu instid0(VALU_DEP_4) | instskip(NEXT) | instid1(VALU_DEP_4)
	v_add_f64_e32 v[7:8], 0, v[14:15]
	v_add_f64_e32 v[1:2], 0, v[1:2]
	s_delay_alu instid0(VALU_DEP_2) | instskip(NEXT) | instid1(VALU_DEP_2)
	v_add_f64_e32 v[5:6], v[7:8], v[5:6]
	v_add_f64_e32 v[3:4], v[1:2], v[3:4]
	s_wait_loadcnt 0x0
	s_delay_alu instid0(VALU_DEP_2) | instskip(NEXT) | instid1(VALU_DEP_2)
	v_add_f64_e64 v[1:2], v[10:11], -v[5:6]
	v_add_f64_e64 v[3:4], v[12:13], -v[3:4]
	scratch_store_b128 off, v[1:4], off offset:624
	v_cmpx_lt_u32_e32 37, v0
	s_cbranch_execz .LBB104_185
; %bb.184:
	scratch_load_b128 v[1:4], off, s46
	v_mov_b32_e32 v5, 0
	s_delay_alu instid0(VALU_DEP_1)
	v_dual_mov_b32 v6, v5 :: v_dual_mov_b32 v7, v5
	v_mov_b32_e32 v8, v5
	scratch_store_b128 off, v[5:8], off offset:608
	s_wait_loadcnt 0x0
	ds_store_b128 v128, v[1:4]
.LBB104_185:
	s_wait_alu 0xfffe
	s_or_b32 exec_lo, exec_lo, s0
	s_wait_storecnt_dscnt 0x0
	s_barrier_signal -1
	s_barrier_wait -1
	global_inv scope:SCOPE_SE
	s_clause 0x3
	scratch_load_b128 v[2:5], off, off offset:624
	scratch_load_b128 v[6:9], off, off offset:640
	;; [unrolled: 1-line block ×4, first 2 shown]
	v_mov_b32_e32 v1, 0
	ds_load_b128 v[18:21], v1 offset:1264
	ds_load_b128 v[22:25], v1 offset:1280
	s_mov_b32 s0, exec_lo
	s_wait_loadcnt_dscnt 0x301
	v_mul_f64_e32 v[26:27], v[20:21], v[4:5]
	v_mul_f64_e32 v[4:5], v[18:19], v[4:5]
	s_wait_loadcnt_dscnt 0x200
	v_mul_f64_e32 v[28:29], v[22:23], v[8:9]
	v_mul_f64_e32 v[8:9], v[24:25], v[8:9]
	s_delay_alu instid0(VALU_DEP_4) | instskip(NEXT) | instid1(VALU_DEP_4)
	v_fma_f64 v[18:19], v[18:19], v[2:3], -v[26:27]
	v_fma_f64 v[20:21], v[20:21], v[2:3], v[4:5]
	ds_load_b128 v[2:5], v1 offset:1296
	v_fma_f64 v[24:25], v[24:25], v[6:7], v[28:29]
	v_fma_f64 v[6:7], v[22:23], v[6:7], -v[8:9]
	s_wait_loadcnt_dscnt 0x100
	v_mul_f64_e32 v[26:27], v[2:3], v[12:13]
	v_mul_f64_e32 v[12:13], v[4:5], v[12:13]
	v_add_f64_e32 v[8:9], 0, v[18:19]
	v_add_f64_e32 v[18:19], 0, v[20:21]
	s_delay_alu instid0(VALU_DEP_4) | instskip(NEXT) | instid1(VALU_DEP_4)
	v_fma_f64 v[4:5], v[4:5], v[10:11], v[26:27]
	v_fma_f64 v[2:3], v[2:3], v[10:11], -v[12:13]
	s_delay_alu instid0(VALU_DEP_4) | instskip(NEXT) | instid1(VALU_DEP_4)
	v_add_f64_e32 v[6:7], v[8:9], v[6:7]
	v_add_f64_e32 v[8:9], v[18:19], v[24:25]
	s_delay_alu instid0(VALU_DEP_2) | instskip(NEXT) | instid1(VALU_DEP_2)
	v_add_f64_e32 v[2:3], v[6:7], v[2:3]
	v_add_f64_e32 v[4:5], v[8:9], v[4:5]
	s_wait_loadcnt 0x0
	s_delay_alu instid0(VALU_DEP_2) | instskip(NEXT) | instid1(VALU_DEP_2)
	v_add_f64_e64 v[2:3], v[14:15], -v[2:3]
	v_add_f64_e64 v[4:5], v[16:17], -v[4:5]
	scratch_store_b128 off, v[2:5], off offset:608
	v_cmpx_lt_u32_e32 36, v0
	s_cbranch_execz .LBB104_187
; %bb.186:
	scratch_load_b128 v[5:8], off, s25
	v_dual_mov_b32 v2, v1 :: v_dual_mov_b32 v3, v1
	v_mov_b32_e32 v4, v1
	scratch_store_b128 off, v[1:4], off offset:592
	s_wait_loadcnt 0x0
	ds_store_b128 v128, v[5:8]
.LBB104_187:
	s_wait_alu 0xfffe
	s_or_b32 exec_lo, exec_lo, s0
	s_wait_storecnt_dscnt 0x0
	s_barrier_signal -1
	s_barrier_wait -1
	global_inv scope:SCOPE_SE
	s_clause 0x4
	scratch_load_b128 v[2:5], off, off offset:608
	scratch_load_b128 v[6:9], off, off offset:624
	;; [unrolled: 1-line block ×5, first 2 shown]
	ds_load_b128 v[22:25], v1 offset:1248
	ds_load_b128 v[26:29], v1 offset:1264
	s_mov_b32 s0, exec_lo
	s_wait_loadcnt_dscnt 0x401
	v_mul_f64_e32 v[30:31], v[24:25], v[4:5]
	v_mul_f64_e32 v[4:5], v[22:23], v[4:5]
	s_wait_loadcnt_dscnt 0x300
	v_mul_f64_e32 v[32:33], v[26:27], v[8:9]
	v_mul_f64_e32 v[8:9], v[28:29], v[8:9]
	s_delay_alu instid0(VALU_DEP_4) | instskip(NEXT) | instid1(VALU_DEP_4)
	v_fma_f64 v[30:31], v[22:23], v[2:3], -v[30:31]
	v_fma_f64 v[34:35], v[24:25], v[2:3], v[4:5]
	ds_load_b128 v[2:5], v1 offset:1280
	ds_load_b128 v[22:25], v1 offset:1296
	v_fma_f64 v[28:29], v[28:29], v[6:7], v[32:33]
	v_fma_f64 v[6:7], v[26:27], v[6:7], -v[8:9]
	s_wait_loadcnt_dscnt 0x201
	v_mul_f64_e32 v[36:37], v[2:3], v[12:13]
	v_mul_f64_e32 v[12:13], v[4:5], v[12:13]
	v_add_f64_e32 v[8:9], 0, v[30:31]
	v_add_f64_e32 v[26:27], 0, v[34:35]
	s_wait_loadcnt_dscnt 0x100
	v_mul_f64_e32 v[30:31], v[22:23], v[16:17]
	v_mul_f64_e32 v[16:17], v[24:25], v[16:17]
	v_fma_f64 v[4:5], v[4:5], v[10:11], v[36:37]
	v_fma_f64 v[1:2], v[2:3], v[10:11], -v[12:13]
	v_add_f64_e32 v[6:7], v[8:9], v[6:7]
	v_add_f64_e32 v[8:9], v[26:27], v[28:29]
	v_fma_f64 v[10:11], v[24:25], v[14:15], v[30:31]
	v_fma_f64 v[12:13], v[22:23], v[14:15], -v[16:17]
	s_delay_alu instid0(VALU_DEP_4) | instskip(NEXT) | instid1(VALU_DEP_4)
	v_add_f64_e32 v[1:2], v[6:7], v[1:2]
	v_add_f64_e32 v[3:4], v[8:9], v[4:5]
	s_delay_alu instid0(VALU_DEP_2) | instskip(NEXT) | instid1(VALU_DEP_2)
	v_add_f64_e32 v[1:2], v[1:2], v[12:13]
	v_add_f64_e32 v[3:4], v[3:4], v[10:11]
	s_wait_loadcnt 0x0
	s_delay_alu instid0(VALU_DEP_2) | instskip(NEXT) | instid1(VALU_DEP_2)
	v_add_f64_e64 v[1:2], v[18:19], -v[1:2]
	v_add_f64_e64 v[3:4], v[20:21], -v[3:4]
	scratch_store_b128 off, v[1:4], off offset:592
	v_cmpx_lt_u32_e32 35, v0
	s_cbranch_execz .LBB104_189
; %bb.188:
	scratch_load_b128 v[1:4], off, s45
	v_mov_b32_e32 v5, 0
	s_delay_alu instid0(VALU_DEP_1)
	v_dual_mov_b32 v6, v5 :: v_dual_mov_b32 v7, v5
	v_mov_b32_e32 v8, v5
	scratch_store_b128 off, v[5:8], off offset:576
	s_wait_loadcnt 0x0
	ds_store_b128 v128, v[1:4]
.LBB104_189:
	s_wait_alu 0xfffe
	s_or_b32 exec_lo, exec_lo, s0
	s_wait_storecnt_dscnt 0x0
	s_barrier_signal -1
	s_barrier_wait -1
	global_inv scope:SCOPE_SE
	s_clause 0x5
	scratch_load_b128 v[2:5], off, off offset:592
	scratch_load_b128 v[6:9], off, off offset:608
	scratch_load_b128 v[10:13], off, off offset:624
	scratch_load_b128 v[14:17], off, off offset:640
	scratch_load_b128 v[18:21], off, off offset:656
	scratch_load_b128 v[22:25], off, off offset:576
	v_mov_b32_e32 v1, 0
	ds_load_b128 v[26:29], v1 offset:1232
	ds_load_b128 v[30:33], v1 offset:1248
	s_mov_b32 s0, exec_lo
	s_wait_loadcnt_dscnt 0x501
	v_mul_f64_e32 v[34:35], v[28:29], v[4:5]
	v_mul_f64_e32 v[4:5], v[26:27], v[4:5]
	s_wait_loadcnt_dscnt 0x400
	v_mul_f64_e32 v[36:37], v[30:31], v[8:9]
	v_mul_f64_e32 v[8:9], v[32:33], v[8:9]
	s_delay_alu instid0(VALU_DEP_4) | instskip(NEXT) | instid1(VALU_DEP_4)
	v_fma_f64 v[34:35], v[26:27], v[2:3], -v[34:35]
	v_fma_f64 v[38:39], v[28:29], v[2:3], v[4:5]
	ds_load_b128 v[2:5], v1 offset:1264
	ds_load_b128 v[26:29], v1 offset:1280
	v_fma_f64 v[32:33], v[32:33], v[6:7], v[36:37]
	v_fma_f64 v[6:7], v[30:31], v[6:7], -v[8:9]
	s_wait_loadcnt_dscnt 0x301
	v_mul_f64_e32 v[40:41], v[2:3], v[12:13]
	v_mul_f64_e32 v[12:13], v[4:5], v[12:13]
	v_add_f64_e32 v[8:9], 0, v[34:35]
	v_add_f64_e32 v[30:31], 0, v[38:39]
	s_wait_loadcnt_dscnt 0x200
	v_mul_f64_e32 v[34:35], v[26:27], v[16:17]
	v_mul_f64_e32 v[16:17], v[28:29], v[16:17]
	v_fma_f64 v[36:37], v[4:5], v[10:11], v[40:41]
	v_fma_f64 v[10:11], v[2:3], v[10:11], -v[12:13]
	ds_load_b128 v[2:5], v1 offset:1296
	v_add_f64_e32 v[6:7], v[8:9], v[6:7]
	v_add_f64_e32 v[8:9], v[30:31], v[32:33]
	v_fma_f64 v[28:29], v[28:29], v[14:15], v[34:35]
	v_fma_f64 v[14:15], v[26:27], v[14:15], -v[16:17]
	s_wait_loadcnt_dscnt 0x100
	v_mul_f64_e32 v[12:13], v[2:3], v[20:21]
	v_mul_f64_e32 v[20:21], v[4:5], v[20:21]
	v_add_f64_e32 v[6:7], v[6:7], v[10:11]
	v_add_f64_e32 v[8:9], v[8:9], v[36:37]
	s_delay_alu instid0(VALU_DEP_4) | instskip(NEXT) | instid1(VALU_DEP_4)
	v_fma_f64 v[4:5], v[4:5], v[18:19], v[12:13]
	v_fma_f64 v[2:3], v[2:3], v[18:19], -v[20:21]
	s_delay_alu instid0(VALU_DEP_4) | instskip(NEXT) | instid1(VALU_DEP_4)
	v_add_f64_e32 v[6:7], v[6:7], v[14:15]
	v_add_f64_e32 v[8:9], v[8:9], v[28:29]
	s_delay_alu instid0(VALU_DEP_2) | instskip(NEXT) | instid1(VALU_DEP_2)
	v_add_f64_e32 v[2:3], v[6:7], v[2:3]
	v_add_f64_e32 v[4:5], v[8:9], v[4:5]
	s_wait_loadcnt 0x0
	s_delay_alu instid0(VALU_DEP_2) | instskip(NEXT) | instid1(VALU_DEP_2)
	v_add_f64_e64 v[2:3], v[22:23], -v[2:3]
	v_add_f64_e64 v[4:5], v[24:25], -v[4:5]
	scratch_store_b128 off, v[2:5], off offset:576
	v_cmpx_lt_u32_e32 34, v0
	s_cbranch_execz .LBB104_191
; %bb.190:
	scratch_load_b128 v[5:8], off, s24
	v_dual_mov_b32 v2, v1 :: v_dual_mov_b32 v3, v1
	v_mov_b32_e32 v4, v1
	scratch_store_b128 off, v[1:4], off offset:560
	s_wait_loadcnt 0x0
	ds_store_b128 v128, v[5:8]
.LBB104_191:
	s_wait_alu 0xfffe
	s_or_b32 exec_lo, exec_lo, s0
	s_wait_storecnt_dscnt 0x0
	s_barrier_signal -1
	s_barrier_wait -1
	global_inv scope:SCOPE_SE
	s_clause 0x5
	scratch_load_b128 v[2:5], off, off offset:576
	scratch_load_b128 v[6:9], off, off offset:592
	;; [unrolled: 1-line block ×6, first 2 shown]
	ds_load_b128 v[26:29], v1 offset:1216
	ds_load_b128 v[34:37], v1 offset:1232
	scratch_load_b128 v[30:33], off, off offset:560
	s_mov_b32 s0, exec_lo
	s_wait_loadcnt_dscnt 0x601
	v_mul_f64_e32 v[38:39], v[28:29], v[4:5]
	v_mul_f64_e32 v[4:5], v[26:27], v[4:5]
	s_wait_loadcnt_dscnt 0x500
	v_mul_f64_e32 v[40:41], v[34:35], v[8:9]
	v_mul_f64_e32 v[8:9], v[36:37], v[8:9]
	s_delay_alu instid0(VALU_DEP_4) | instskip(NEXT) | instid1(VALU_DEP_4)
	v_fma_f64 v[38:39], v[26:27], v[2:3], -v[38:39]
	v_fma_f64 v[42:43], v[28:29], v[2:3], v[4:5]
	ds_load_b128 v[2:5], v1 offset:1248
	ds_load_b128 v[26:29], v1 offset:1264
	v_fma_f64 v[36:37], v[36:37], v[6:7], v[40:41]
	v_fma_f64 v[6:7], v[34:35], v[6:7], -v[8:9]
	s_wait_loadcnt_dscnt 0x401
	v_mul_f64_e32 v[44:45], v[2:3], v[12:13]
	v_mul_f64_e32 v[12:13], v[4:5], v[12:13]
	v_add_f64_e32 v[8:9], 0, v[38:39]
	v_add_f64_e32 v[34:35], 0, v[42:43]
	s_wait_loadcnt_dscnt 0x300
	v_mul_f64_e32 v[38:39], v[26:27], v[16:17]
	v_mul_f64_e32 v[16:17], v[28:29], v[16:17]
	v_fma_f64 v[40:41], v[4:5], v[10:11], v[44:45]
	v_fma_f64 v[10:11], v[2:3], v[10:11], -v[12:13]
	v_add_f64_e32 v[12:13], v[8:9], v[6:7]
	v_add_f64_e32 v[34:35], v[34:35], v[36:37]
	ds_load_b128 v[2:5], v1 offset:1280
	ds_load_b128 v[6:9], v1 offset:1296
	v_fma_f64 v[28:29], v[28:29], v[14:15], v[38:39]
	v_fma_f64 v[14:15], v[26:27], v[14:15], -v[16:17]
	s_wait_loadcnt_dscnt 0x201
	v_mul_f64_e32 v[36:37], v[2:3], v[20:21]
	v_mul_f64_e32 v[20:21], v[4:5], v[20:21]
	s_wait_loadcnt_dscnt 0x100
	v_mul_f64_e32 v[16:17], v[6:7], v[24:25]
	v_mul_f64_e32 v[24:25], v[8:9], v[24:25]
	v_add_f64_e32 v[10:11], v[12:13], v[10:11]
	v_add_f64_e32 v[12:13], v[34:35], v[40:41]
	v_fma_f64 v[4:5], v[4:5], v[18:19], v[36:37]
	v_fma_f64 v[1:2], v[2:3], v[18:19], -v[20:21]
	v_fma_f64 v[8:9], v[8:9], v[22:23], v[16:17]
	v_fma_f64 v[6:7], v[6:7], v[22:23], -v[24:25]
	v_add_f64_e32 v[10:11], v[10:11], v[14:15]
	v_add_f64_e32 v[12:13], v[12:13], v[28:29]
	s_delay_alu instid0(VALU_DEP_2) | instskip(NEXT) | instid1(VALU_DEP_2)
	v_add_f64_e32 v[1:2], v[10:11], v[1:2]
	v_add_f64_e32 v[3:4], v[12:13], v[4:5]
	s_delay_alu instid0(VALU_DEP_2) | instskip(NEXT) | instid1(VALU_DEP_2)
	v_add_f64_e32 v[1:2], v[1:2], v[6:7]
	v_add_f64_e32 v[3:4], v[3:4], v[8:9]
	s_wait_loadcnt 0x0
	s_delay_alu instid0(VALU_DEP_2) | instskip(NEXT) | instid1(VALU_DEP_2)
	v_add_f64_e64 v[1:2], v[30:31], -v[1:2]
	v_add_f64_e64 v[3:4], v[32:33], -v[3:4]
	scratch_store_b128 off, v[1:4], off offset:560
	v_cmpx_lt_u32_e32 33, v0
	s_cbranch_execz .LBB104_193
; %bb.192:
	scratch_load_b128 v[1:4], off, s44
	v_mov_b32_e32 v5, 0
	s_delay_alu instid0(VALU_DEP_1)
	v_dual_mov_b32 v6, v5 :: v_dual_mov_b32 v7, v5
	v_mov_b32_e32 v8, v5
	scratch_store_b128 off, v[5:8], off offset:544
	s_wait_loadcnt 0x0
	ds_store_b128 v128, v[1:4]
.LBB104_193:
	s_wait_alu 0xfffe
	s_or_b32 exec_lo, exec_lo, s0
	s_wait_storecnt_dscnt 0x0
	s_barrier_signal -1
	s_barrier_wait -1
	global_inv scope:SCOPE_SE
	s_clause 0x6
	scratch_load_b128 v[2:5], off, off offset:560
	scratch_load_b128 v[6:9], off, off offset:576
	;; [unrolled: 1-line block ×7, first 2 shown]
	v_mov_b32_e32 v1, 0
	scratch_load_b128 v[34:37], off, off offset:544
	s_mov_b32 s0, exec_lo
	ds_load_b128 v[30:33], v1 offset:1200
	ds_load_b128 v[38:41], v1 offset:1216
	s_wait_loadcnt_dscnt 0x701
	v_mul_f64_e32 v[42:43], v[32:33], v[4:5]
	v_mul_f64_e32 v[4:5], v[30:31], v[4:5]
	s_wait_loadcnt_dscnt 0x600
	v_mul_f64_e32 v[44:45], v[38:39], v[8:9]
	v_mul_f64_e32 v[8:9], v[40:41], v[8:9]
	s_delay_alu instid0(VALU_DEP_4) | instskip(NEXT) | instid1(VALU_DEP_4)
	v_fma_f64 v[42:43], v[30:31], v[2:3], -v[42:43]
	v_fma_f64 v[129:130], v[32:33], v[2:3], v[4:5]
	ds_load_b128 v[2:5], v1 offset:1232
	ds_load_b128 v[30:33], v1 offset:1248
	v_fma_f64 v[40:41], v[40:41], v[6:7], v[44:45]
	v_fma_f64 v[6:7], v[38:39], v[6:7], -v[8:9]
	s_wait_loadcnt_dscnt 0x501
	v_mul_f64_e32 v[131:132], v[2:3], v[12:13]
	v_mul_f64_e32 v[12:13], v[4:5], v[12:13]
	v_add_f64_e32 v[8:9], 0, v[42:43]
	v_add_f64_e32 v[38:39], 0, v[129:130]
	s_wait_loadcnt_dscnt 0x400
	v_mul_f64_e32 v[42:43], v[30:31], v[16:17]
	v_mul_f64_e32 v[16:17], v[32:33], v[16:17]
	v_fma_f64 v[44:45], v[4:5], v[10:11], v[131:132]
	v_fma_f64 v[10:11], v[2:3], v[10:11], -v[12:13]
	v_add_f64_e32 v[12:13], v[8:9], v[6:7]
	v_add_f64_e32 v[38:39], v[38:39], v[40:41]
	ds_load_b128 v[2:5], v1 offset:1264
	ds_load_b128 v[6:9], v1 offset:1280
	v_fma_f64 v[32:33], v[32:33], v[14:15], v[42:43]
	v_fma_f64 v[14:15], v[30:31], v[14:15], -v[16:17]
	s_wait_loadcnt_dscnt 0x301
	v_mul_f64_e32 v[40:41], v[2:3], v[20:21]
	v_mul_f64_e32 v[20:21], v[4:5], v[20:21]
	s_wait_loadcnt_dscnt 0x200
	v_mul_f64_e32 v[16:17], v[6:7], v[24:25]
	v_mul_f64_e32 v[24:25], v[8:9], v[24:25]
	v_add_f64_e32 v[10:11], v[12:13], v[10:11]
	v_add_f64_e32 v[12:13], v[38:39], v[44:45]
	v_fma_f64 v[30:31], v[4:5], v[18:19], v[40:41]
	v_fma_f64 v[18:19], v[2:3], v[18:19], -v[20:21]
	ds_load_b128 v[2:5], v1 offset:1296
	v_fma_f64 v[8:9], v[8:9], v[22:23], v[16:17]
	v_fma_f64 v[6:7], v[6:7], v[22:23], -v[24:25]
	v_add_f64_e32 v[10:11], v[10:11], v[14:15]
	v_add_f64_e32 v[12:13], v[12:13], v[32:33]
	s_wait_loadcnt_dscnt 0x100
	v_mul_f64_e32 v[14:15], v[2:3], v[28:29]
	v_mul_f64_e32 v[20:21], v[4:5], v[28:29]
	s_delay_alu instid0(VALU_DEP_4) | instskip(NEXT) | instid1(VALU_DEP_4)
	v_add_f64_e32 v[10:11], v[10:11], v[18:19]
	v_add_f64_e32 v[12:13], v[12:13], v[30:31]
	s_delay_alu instid0(VALU_DEP_4) | instskip(NEXT) | instid1(VALU_DEP_4)
	v_fma_f64 v[4:5], v[4:5], v[26:27], v[14:15]
	v_fma_f64 v[2:3], v[2:3], v[26:27], -v[20:21]
	s_delay_alu instid0(VALU_DEP_4) | instskip(NEXT) | instid1(VALU_DEP_4)
	v_add_f64_e32 v[6:7], v[10:11], v[6:7]
	v_add_f64_e32 v[8:9], v[12:13], v[8:9]
	s_delay_alu instid0(VALU_DEP_2) | instskip(NEXT) | instid1(VALU_DEP_2)
	v_add_f64_e32 v[2:3], v[6:7], v[2:3]
	v_add_f64_e32 v[4:5], v[8:9], v[4:5]
	s_wait_loadcnt 0x0
	s_delay_alu instid0(VALU_DEP_2) | instskip(NEXT) | instid1(VALU_DEP_2)
	v_add_f64_e64 v[2:3], v[34:35], -v[2:3]
	v_add_f64_e64 v[4:5], v[36:37], -v[4:5]
	scratch_store_b128 off, v[2:5], off offset:544
	v_cmpx_lt_u32_e32 32, v0
	s_cbranch_execz .LBB104_195
; %bb.194:
	scratch_load_b128 v[5:8], off, s23
	v_dual_mov_b32 v2, v1 :: v_dual_mov_b32 v3, v1
	v_mov_b32_e32 v4, v1
	scratch_store_b128 off, v[1:4], off offset:528
	s_wait_loadcnt 0x0
	ds_store_b128 v128, v[5:8]
.LBB104_195:
	s_wait_alu 0xfffe
	s_or_b32 exec_lo, exec_lo, s0
	s_wait_storecnt_dscnt 0x0
	s_barrier_signal -1
	s_barrier_wait -1
	global_inv scope:SCOPE_SE
	s_clause 0x7
	scratch_load_b128 v[2:5], off, off offset:544
	scratch_load_b128 v[6:9], off, off offset:560
	;; [unrolled: 1-line block ×8, first 2 shown]
	ds_load_b128 v[34:37], v1 offset:1184
	ds_load_b128 v[38:41], v1 offset:1200
	scratch_load_b128 v[42:45], off, off offset:528
	s_mov_b32 s0, exec_lo
	s_wait_loadcnt_dscnt 0x801
	v_mul_f64_e32 v[129:130], v[36:37], v[4:5]
	v_mul_f64_e32 v[4:5], v[34:35], v[4:5]
	s_wait_loadcnt_dscnt 0x700
	v_mul_f64_e32 v[131:132], v[38:39], v[8:9]
	v_mul_f64_e32 v[8:9], v[40:41], v[8:9]
	s_delay_alu instid0(VALU_DEP_4) | instskip(NEXT) | instid1(VALU_DEP_4)
	v_fma_f64 v[129:130], v[34:35], v[2:3], -v[129:130]
	v_fma_f64 v[133:134], v[36:37], v[2:3], v[4:5]
	ds_load_b128 v[2:5], v1 offset:1216
	ds_load_b128 v[34:37], v1 offset:1232
	v_fma_f64 v[40:41], v[40:41], v[6:7], v[131:132]
	v_fma_f64 v[6:7], v[38:39], v[6:7], -v[8:9]
	s_wait_loadcnt_dscnt 0x601
	v_mul_f64_e32 v[135:136], v[2:3], v[12:13]
	v_mul_f64_e32 v[12:13], v[4:5], v[12:13]
	v_add_f64_e32 v[8:9], 0, v[129:130]
	v_add_f64_e32 v[38:39], 0, v[133:134]
	s_wait_loadcnt_dscnt 0x500
	v_mul_f64_e32 v[129:130], v[34:35], v[16:17]
	v_mul_f64_e32 v[16:17], v[36:37], v[16:17]
	v_fma_f64 v[131:132], v[4:5], v[10:11], v[135:136]
	v_fma_f64 v[10:11], v[2:3], v[10:11], -v[12:13]
	v_add_f64_e32 v[12:13], v[8:9], v[6:7]
	v_add_f64_e32 v[38:39], v[38:39], v[40:41]
	ds_load_b128 v[2:5], v1 offset:1248
	ds_load_b128 v[6:9], v1 offset:1264
	v_fma_f64 v[36:37], v[36:37], v[14:15], v[129:130]
	v_fma_f64 v[14:15], v[34:35], v[14:15], -v[16:17]
	s_wait_loadcnt_dscnt 0x401
	v_mul_f64_e32 v[40:41], v[2:3], v[20:21]
	v_mul_f64_e32 v[20:21], v[4:5], v[20:21]
	s_wait_loadcnt_dscnt 0x300
	v_mul_f64_e32 v[16:17], v[6:7], v[24:25]
	v_mul_f64_e32 v[24:25], v[8:9], v[24:25]
	v_add_f64_e32 v[10:11], v[12:13], v[10:11]
	v_add_f64_e32 v[12:13], v[38:39], v[131:132]
	v_fma_f64 v[34:35], v[4:5], v[18:19], v[40:41]
	v_fma_f64 v[18:19], v[2:3], v[18:19], -v[20:21]
	v_fma_f64 v[8:9], v[8:9], v[22:23], v[16:17]
	v_fma_f64 v[6:7], v[6:7], v[22:23], -v[24:25]
	v_add_f64_e32 v[14:15], v[10:11], v[14:15]
	v_add_f64_e32 v[20:21], v[12:13], v[36:37]
	ds_load_b128 v[2:5], v1 offset:1280
	ds_load_b128 v[10:13], v1 offset:1296
	s_wait_loadcnt_dscnt 0x201
	v_mul_f64_e32 v[36:37], v[2:3], v[28:29]
	v_mul_f64_e32 v[28:29], v[4:5], v[28:29]
	v_add_f64_e32 v[14:15], v[14:15], v[18:19]
	v_add_f64_e32 v[16:17], v[20:21], v[34:35]
	s_wait_loadcnt_dscnt 0x100
	v_mul_f64_e32 v[18:19], v[10:11], v[32:33]
	v_mul_f64_e32 v[20:21], v[12:13], v[32:33]
	v_fma_f64 v[4:5], v[4:5], v[26:27], v[36:37]
	v_fma_f64 v[1:2], v[2:3], v[26:27], -v[28:29]
	v_add_f64_e32 v[6:7], v[14:15], v[6:7]
	v_add_f64_e32 v[8:9], v[16:17], v[8:9]
	v_fma_f64 v[12:13], v[12:13], v[30:31], v[18:19]
	v_fma_f64 v[10:11], v[10:11], v[30:31], -v[20:21]
	s_delay_alu instid0(VALU_DEP_4) | instskip(NEXT) | instid1(VALU_DEP_4)
	v_add_f64_e32 v[1:2], v[6:7], v[1:2]
	v_add_f64_e32 v[3:4], v[8:9], v[4:5]
	s_delay_alu instid0(VALU_DEP_2) | instskip(NEXT) | instid1(VALU_DEP_2)
	v_add_f64_e32 v[1:2], v[1:2], v[10:11]
	v_add_f64_e32 v[3:4], v[3:4], v[12:13]
	s_wait_loadcnt 0x0
	s_delay_alu instid0(VALU_DEP_2) | instskip(NEXT) | instid1(VALU_DEP_2)
	v_add_f64_e64 v[1:2], v[42:43], -v[1:2]
	v_add_f64_e64 v[3:4], v[44:45], -v[3:4]
	scratch_store_b128 off, v[1:4], off offset:528
	v_cmpx_lt_u32_e32 31, v0
	s_cbranch_execz .LBB104_197
; %bb.196:
	scratch_load_b128 v[1:4], off, s43
	v_mov_b32_e32 v5, 0
	s_delay_alu instid0(VALU_DEP_1)
	v_dual_mov_b32 v6, v5 :: v_dual_mov_b32 v7, v5
	v_mov_b32_e32 v8, v5
	scratch_store_b128 off, v[5:8], off offset:512
	s_wait_loadcnt 0x0
	ds_store_b128 v128, v[1:4]
.LBB104_197:
	s_wait_alu 0xfffe
	s_or_b32 exec_lo, exec_lo, s0
	s_wait_storecnt_dscnt 0x0
	s_barrier_signal -1
	s_barrier_wait -1
	global_inv scope:SCOPE_SE
	s_clause 0x7
	scratch_load_b128 v[2:5], off, off offset:528
	scratch_load_b128 v[6:9], off, off offset:544
	;; [unrolled: 1-line block ×8, first 2 shown]
	v_mov_b32_e32 v1, 0
	s_mov_b32 s0, exec_lo
	ds_load_b128 v[34:37], v1 offset:1168
	s_clause 0x1
	scratch_load_b128 v[38:41], off, off offset:656
	scratch_load_b128 v[42:45], off, off offset:512
	ds_load_b128 v[129:132], v1 offset:1184
	s_wait_loadcnt_dscnt 0x901
	v_mul_f64_e32 v[133:134], v[36:37], v[4:5]
	v_mul_f64_e32 v[4:5], v[34:35], v[4:5]
	s_wait_loadcnt_dscnt 0x800
	v_mul_f64_e32 v[135:136], v[129:130], v[8:9]
	v_mul_f64_e32 v[8:9], v[131:132], v[8:9]
	s_delay_alu instid0(VALU_DEP_4) | instskip(NEXT) | instid1(VALU_DEP_4)
	v_fma_f64 v[133:134], v[34:35], v[2:3], -v[133:134]
	v_fma_f64 v[137:138], v[36:37], v[2:3], v[4:5]
	ds_load_b128 v[2:5], v1 offset:1200
	ds_load_b128 v[34:37], v1 offset:1216
	v_fma_f64 v[131:132], v[131:132], v[6:7], v[135:136]
	v_fma_f64 v[6:7], v[129:130], v[6:7], -v[8:9]
	s_wait_loadcnt_dscnt 0x701
	v_mul_f64_e32 v[139:140], v[2:3], v[12:13]
	v_mul_f64_e32 v[12:13], v[4:5], v[12:13]
	v_add_f64_e32 v[8:9], 0, v[133:134]
	v_add_f64_e32 v[129:130], 0, v[137:138]
	s_wait_loadcnt_dscnt 0x600
	v_mul_f64_e32 v[133:134], v[34:35], v[16:17]
	v_mul_f64_e32 v[16:17], v[36:37], v[16:17]
	v_fma_f64 v[135:136], v[4:5], v[10:11], v[139:140]
	v_fma_f64 v[10:11], v[2:3], v[10:11], -v[12:13]
	v_add_f64_e32 v[12:13], v[8:9], v[6:7]
	v_add_f64_e32 v[129:130], v[129:130], v[131:132]
	ds_load_b128 v[2:5], v1 offset:1232
	ds_load_b128 v[6:9], v1 offset:1248
	v_fma_f64 v[36:37], v[36:37], v[14:15], v[133:134]
	v_fma_f64 v[14:15], v[34:35], v[14:15], -v[16:17]
	s_wait_loadcnt_dscnt 0x501
	v_mul_f64_e32 v[131:132], v[2:3], v[20:21]
	v_mul_f64_e32 v[20:21], v[4:5], v[20:21]
	s_wait_loadcnt_dscnt 0x400
	v_mul_f64_e32 v[16:17], v[6:7], v[24:25]
	v_mul_f64_e32 v[24:25], v[8:9], v[24:25]
	v_add_f64_e32 v[10:11], v[12:13], v[10:11]
	v_add_f64_e32 v[12:13], v[129:130], v[135:136]
	v_fma_f64 v[34:35], v[4:5], v[18:19], v[131:132]
	v_fma_f64 v[18:19], v[2:3], v[18:19], -v[20:21]
	v_fma_f64 v[8:9], v[8:9], v[22:23], v[16:17]
	v_fma_f64 v[6:7], v[6:7], v[22:23], -v[24:25]
	v_add_f64_e32 v[14:15], v[10:11], v[14:15]
	v_add_f64_e32 v[20:21], v[12:13], v[36:37]
	ds_load_b128 v[2:5], v1 offset:1264
	ds_load_b128 v[10:13], v1 offset:1280
	s_wait_loadcnt_dscnt 0x301
	v_mul_f64_e32 v[36:37], v[2:3], v[28:29]
	v_mul_f64_e32 v[28:29], v[4:5], v[28:29]
	v_add_f64_e32 v[14:15], v[14:15], v[18:19]
	v_add_f64_e32 v[16:17], v[20:21], v[34:35]
	s_wait_loadcnt_dscnt 0x200
	v_mul_f64_e32 v[18:19], v[10:11], v[32:33]
	v_mul_f64_e32 v[20:21], v[12:13], v[32:33]
	v_fma_f64 v[22:23], v[4:5], v[26:27], v[36:37]
	v_fma_f64 v[24:25], v[2:3], v[26:27], -v[28:29]
	ds_load_b128 v[2:5], v1 offset:1296
	v_add_f64_e32 v[6:7], v[14:15], v[6:7]
	v_add_f64_e32 v[8:9], v[16:17], v[8:9]
	v_fma_f64 v[12:13], v[12:13], v[30:31], v[18:19]
	v_fma_f64 v[10:11], v[10:11], v[30:31], -v[20:21]
	s_wait_loadcnt_dscnt 0x100
	v_mul_f64_e32 v[14:15], v[2:3], v[40:41]
	v_mul_f64_e32 v[16:17], v[4:5], v[40:41]
	v_add_f64_e32 v[6:7], v[6:7], v[24:25]
	v_add_f64_e32 v[8:9], v[8:9], v[22:23]
	s_delay_alu instid0(VALU_DEP_4) | instskip(NEXT) | instid1(VALU_DEP_4)
	v_fma_f64 v[4:5], v[4:5], v[38:39], v[14:15]
	v_fma_f64 v[2:3], v[2:3], v[38:39], -v[16:17]
	s_delay_alu instid0(VALU_DEP_4) | instskip(NEXT) | instid1(VALU_DEP_4)
	v_add_f64_e32 v[6:7], v[6:7], v[10:11]
	v_add_f64_e32 v[8:9], v[8:9], v[12:13]
	s_delay_alu instid0(VALU_DEP_2) | instskip(NEXT) | instid1(VALU_DEP_2)
	v_add_f64_e32 v[2:3], v[6:7], v[2:3]
	v_add_f64_e32 v[4:5], v[8:9], v[4:5]
	s_wait_loadcnt 0x0
	s_delay_alu instid0(VALU_DEP_2) | instskip(NEXT) | instid1(VALU_DEP_2)
	v_add_f64_e64 v[2:3], v[42:43], -v[2:3]
	v_add_f64_e64 v[4:5], v[44:45], -v[4:5]
	scratch_store_b128 off, v[2:5], off offset:512
	v_cmpx_lt_u32_e32 30, v0
	s_cbranch_execz .LBB104_199
; %bb.198:
	scratch_load_b128 v[5:8], off, s22
	v_dual_mov_b32 v2, v1 :: v_dual_mov_b32 v3, v1
	v_mov_b32_e32 v4, v1
	scratch_store_b128 off, v[1:4], off offset:496
	s_wait_loadcnt 0x0
	ds_store_b128 v128, v[5:8]
.LBB104_199:
	s_wait_alu 0xfffe
	s_or_b32 exec_lo, exec_lo, s0
	s_wait_storecnt_dscnt 0x0
	s_barrier_signal -1
	s_barrier_wait -1
	global_inv scope:SCOPE_SE
	s_clause 0x8
	scratch_load_b128 v[2:5], off, off offset:512
	scratch_load_b128 v[6:9], off, off offset:528
	;; [unrolled: 1-line block ×9, first 2 shown]
	ds_load_b128 v[38:41], v1 offset:1152
	ds_load_b128 v[42:45], v1 offset:1168
	s_clause 0x1
	scratch_load_b128 v[129:132], off, off offset:496
	scratch_load_b128 v[133:136], off, off offset:656
	s_mov_b32 s0, exec_lo
	s_wait_loadcnt_dscnt 0xa01
	v_mul_f64_e32 v[137:138], v[40:41], v[4:5]
	v_mul_f64_e32 v[4:5], v[38:39], v[4:5]
	s_wait_loadcnt_dscnt 0x900
	v_mul_f64_e32 v[139:140], v[42:43], v[8:9]
	v_mul_f64_e32 v[8:9], v[44:45], v[8:9]
	s_delay_alu instid0(VALU_DEP_4) | instskip(NEXT) | instid1(VALU_DEP_4)
	v_fma_f64 v[137:138], v[38:39], v[2:3], -v[137:138]
	v_fma_f64 v[141:142], v[40:41], v[2:3], v[4:5]
	ds_load_b128 v[2:5], v1 offset:1184
	ds_load_b128 v[38:41], v1 offset:1200
	v_fma_f64 v[44:45], v[44:45], v[6:7], v[139:140]
	v_fma_f64 v[6:7], v[42:43], v[6:7], -v[8:9]
	s_wait_loadcnt_dscnt 0x801
	v_mul_f64_e32 v[143:144], v[2:3], v[12:13]
	v_mul_f64_e32 v[12:13], v[4:5], v[12:13]
	v_add_f64_e32 v[8:9], 0, v[137:138]
	v_add_f64_e32 v[42:43], 0, v[141:142]
	s_wait_loadcnt_dscnt 0x700
	v_mul_f64_e32 v[137:138], v[38:39], v[16:17]
	v_mul_f64_e32 v[16:17], v[40:41], v[16:17]
	v_fma_f64 v[139:140], v[4:5], v[10:11], v[143:144]
	v_fma_f64 v[10:11], v[2:3], v[10:11], -v[12:13]
	v_add_f64_e32 v[12:13], v[8:9], v[6:7]
	v_add_f64_e32 v[42:43], v[42:43], v[44:45]
	ds_load_b128 v[2:5], v1 offset:1216
	ds_load_b128 v[6:9], v1 offset:1232
	v_fma_f64 v[40:41], v[40:41], v[14:15], v[137:138]
	v_fma_f64 v[14:15], v[38:39], v[14:15], -v[16:17]
	s_wait_loadcnt_dscnt 0x601
	v_mul_f64_e32 v[44:45], v[2:3], v[20:21]
	v_mul_f64_e32 v[20:21], v[4:5], v[20:21]
	s_wait_loadcnt_dscnt 0x500
	v_mul_f64_e32 v[16:17], v[6:7], v[24:25]
	v_mul_f64_e32 v[24:25], v[8:9], v[24:25]
	v_add_f64_e32 v[10:11], v[12:13], v[10:11]
	v_add_f64_e32 v[12:13], v[42:43], v[139:140]
	v_fma_f64 v[38:39], v[4:5], v[18:19], v[44:45]
	v_fma_f64 v[18:19], v[2:3], v[18:19], -v[20:21]
	v_fma_f64 v[8:9], v[8:9], v[22:23], v[16:17]
	v_fma_f64 v[6:7], v[6:7], v[22:23], -v[24:25]
	v_add_f64_e32 v[14:15], v[10:11], v[14:15]
	v_add_f64_e32 v[20:21], v[12:13], v[40:41]
	ds_load_b128 v[2:5], v1 offset:1248
	ds_load_b128 v[10:13], v1 offset:1264
	s_wait_loadcnt_dscnt 0x401
	v_mul_f64_e32 v[40:41], v[2:3], v[28:29]
	v_mul_f64_e32 v[28:29], v[4:5], v[28:29]
	v_add_f64_e32 v[14:15], v[14:15], v[18:19]
	v_add_f64_e32 v[16:17], v[20:21], v[38:39]
	s_wait_loadcnt_dscnt 0x300
	v_mul_f64_e32 v[18:19], v[10:11], v[32:33]
	v_mul_f64_e32 v[20:21], v[12:13], v[32:33]
	v_fma_f64 v[22:23], v[4:5], v[26:27], v[40:41]
	v_fma_f64 v[24:25], v[2:3], v[26:27], -v[28:29]
	v_add_f64_e32 v[14:15], v[14:15], v[6:7]
	v_add_f64_e32 v[16:17], v[16:17], v[8:9]
	ds_load_b128 v[2:5], v1 offset:1280
	ds_load_b128 v[6:9], v1 offset:1296
	v_fma_f64 v[12:13], v[12:13], v[30:31], v[18:19]
	v_fma_f64 v[10:11], v[10:11], v[30:31], -v[20:21]
	s_wait_loadcnt_dscnt 0x201
	v_mul_f64_e32 v[26:27], v[2:3], v[36:37]
	v_mul_f64_e32 v[28:29], v[4:5], v[36:37]
	s_wait_loadcnt_dscnt 0x0
	v_mul_f64_e32 v[18:19], v[6:7], v[135:136]
	v_mul_f64_e32 v[20:21], v[8:9], v[135:136]
	v_add_f64_e32 v[14:15], v[14:15], v[24:25]
	v_add_f64_e32 v[16:17], v[16:17], v[22:23]
	v_fma_f64 v[4:5], v[4:5], v[34:35], v[26:27]
	v_fma_f64 v[1:2], v[2:3], v[34:35], -v[28:29]
	v_fma_f64 v[8:9], v[8:9], v[133:134], v[18:19]
	v_fma_f64 v[6:7], v[6:7], v[133:134], -v[20:21]
	v_add_f64_e32 v[10:11], v[14:15], v[10:11]
	v_add_f64_e32 v[12:13], v[16:17], v[12:13]
	s_delay_alu instid0(VALU_DEP_2) | instskip(NEXT) | instid1(VALU_DEP_2)
	v_add_f64_e32 v[1:2], v[10:11], v[1:2]
	v_add_f64_e32 v[3:4], v[12:13], v[4:5]
	s_delay_alu instid0(VALU_DEP_2) | instskip(NEXT) | instid1(VALU_DEP_2)
	;; [unrolled: 3-line block ×3, first 2 shown]
	v_add_f64_e64 v[1:2], v[129:130], -v[1:2]
	v_add_f64_e64 v[3:4], v[131:132], -v[3:4]
	scratch_store_b128 off, v[1:4], off offset:496
	v_cmpx_lt_u32_e32 29, v0
	s_cbranch_execz .LBB104_201
; %bb.200:
	scratch_load_b128 v[1:4], off, s42
	v_mov_b32_e32 v5, 0
	s_delay_alu instid0(VALU_DEP_1)
	v_dual_mov_b32 v6, v5 :: v_dual_mov_b32 v7, v5
	v_mov_b32_e32 v8, v5
	scratch_store_b128 off, v[5:8], off offset:480
	s_wait_loadcnt 0x0
	ds_store_b128 v128, v[1:4]
.LBB104_201:
	s_wait_alu 0xfffe
	s_or_b32 exec_lo, exec_lo, s0
	s_wait_storecnt_dscnt 0x0
	s_barrier_signal -1
	s_barrier_wait -1
	global_inv scope:SCOPE_SE
	s_clause 0x7
	scratch_load_b128 v[2:5], off, off offset:496
	scratch_load_b128 v[6:9], off, off offset:512
	;; [unrolled: 1-line block ×8, first 2 shown]
	v_mov_b32_e32 v1, 0
	s_mov_b32 s0, exec_lo
	ds_load_b128 v[34:37], v1 offset:1136
	s_clause 0x1
	scratch_load_b128 v[38:41], off, off offset:624
	scratch_load_b128 v[42:45], off, off offset:480
	ds_load_b128 v[129:132], v1 offset:1152
	scratch_load_b128 v[133:136], off, off offset:640
	s_wait_loadcnt_dscnt 0xa01
	v_mul_f64_e32 v[137:138], v[36:37], v[4:5]
	v_mul_f64_e32 v[4:5], v[34:35], v[4:5]
	s_delay_alu instid0(VALU_DEP_2) | instskip(NEXT) | instid1(VALU_DEP_2)
	v_fma_f64 v[143:144], v[34:35], v[2:3], -v[137:138]
	v_fma_f64 v[145:146], v[36:37], v[2:3], v[4:5]
	ds_load_b128 v[2:5], v1 offset:1168
	s_wait_loadcnt_dscnt 0x901
	v_mul_f64_e32 v[141:142], v[129:130], v[8:9]
	v_mul_f64_e32 v[8:9], v[131:132], v[8:9]
	scratch_load_b128 v[34:37], off, off offset:656
	ds_load_b128 v[137:140], v1 offset:1184
	s_wait_loadcnt_dscnt 0x901
	v_mul_f64_e32 v[147:148], v[2:3], v[12:13]
	v_mul_f64_e32 v[12:13], v[4:5], v[12:13]
	v_fma_f64 v[131:132], v[131:132], v[6:7], v[141:142]
	v_fma_f64 v[6:7], v[129:130], v[6:7], -v[8:9]
	v_add_f64_e32 v[8:9], 0, v[143:144]
	v_add_f64_e32 v[129:130], 0, v[145:146]
	s_wait_loadcnt_dscnt 0x800
	v_mul_f64_e32 v[141:142], v[137:138], v[16:17]
	v_mul_f64_e32 v[16:17], v[139:140], v[16:17]
	v_fma_f64 v[143:144], v[4:5], v[10:11], v[147:148]
	v_fma_f64 v[10:11], v[2:3], v[10:11], -v[12:13]
	v_add_f64_e32 v[12:13], v[8:9], v[6:7]
	v_add_f64_e32 v[129:130], v[129:130], v[131:132]
	ds_load_b128 v[2:5], v1 offset:1200
	ds_load_b128 v[6:9], v1 offset:1216
	v_fma_f64 v[139:140], v[139:140], v[14:15], v[141:142]
	v_fma_f64 v[14:15], v[137:138], v[14:15], -v[16:17]
	s_wait_loadcnt_dscnt 0x701
	v_mul_f64_e32 v[131:132], v[2:3], v[20:21]
	v_mul_f64_e32 v[20:21], v[4:5], v[20:21]
	s_wait_loadcnt_dscnt 0x600
	v_mul_f64_e32 v[16:17], v[6:7], v[24:25]
	v_mul_f64_e32 v[24:25], v[8:9], v[24:25]
	v_add_f64_e32 v[10:11], v[12:13], v[10:11]
	v_add_f64_e32 v[12:13], v[129:130], v[143:144]
	v_fma_f64 v[129:130], v[4:5], v[18:19], v[131:132]
	v_fma_f64 v[18:19], v[2:3], v[18:19], -v[20:21]
	v_fma_f64 v[8:9], v[8:9], v[22:23], v[16:17]
	v_fma_f64 v[6:7], v[6:7], v[22:23], -v[24:25]
	v_add_f64_e32 v[14:15], v[10:11], v[14:15]
	v_add_f64_e32 v[20:21], v[12:13], v[139:140]
	ds_load_b128 v[2:5], v1 offset:1232
	ds_load_b128 v[10:13], v1 offset:1248
	s_wait_loadcnt_dscnt 0x501
	v_mul_f64_e32 v[131:132], v[2:3], v[28:29]
	v_mul_f64_e32 v[28:29], v[4:5], v[28:29]
	v_add_f64_e32 v[14:15], v[14:15], v[18:19]
	v_add_f64_e32 v[16:17], v[20:21], v[129:130]
	s_wait_loadcnt_dscnt 0x400
	v_mul_f64_e32 v[18:19], v[10:11], v[32:33]
	v_mul_f64_e32 v[20:21], v[12:13], v[32:33]
	v_fma_f64 v[22:23], v[4:5], v[26:27], v[131:132]
	v_fma_f64 v[24:25], v[2:3], v[26:27], -v[28:29]
	v_add_f64_e32 v[14:15], v[14:15], v[6:7]
	v_add_f64_e32 v[16:17], v[16:17], v[8:9]
	ds_load_b128 v[2:5], v1 offset:1264
	ds_load_b128 v[6:9], v1 offset:1280
	v_fma_f64 v[12:13], v[12:13], v[30:31], v[18:19]
	v_fma_f64 v[10:11], v[10:11], v[30:31], -v[20:21]
	s_wait_loadcnt_dscnt 0x301
	v_mul_f64_e32 v[26:27], v[2:3], v[40:41]
	v_mul_f64_e32 v[28:29], v[4:5], v[40:41]
	s_wait_loadcnt_dscnt 0x100
	v_mul_f64_e32 v[18:19], v[6:7], v[135:136]
	v_mul_f64_e32 v[20:21], v[8:9], v[135:136]
	v_add_f64_e32 v[14:15], v[14:15], v[24:25]
	v_add_f64_e32 v[16:17], v[16:17], v[22:23]
	v_fma_f64 v[22:23], v[4:5], v[38:39], v[26:27]
	v_fma_f64 v[24:25], v[2:3], v[38:39], -v[28:29]
	ds_load_b128 v[2:5], v1 offset:1296
	v_fma_f64 v[8:9], v[8:9], v[133:134], v[18:19]
	v_fma_f64 v[6:7], v[6:7], v[133:134], -v[20:21]
	v_add_f64_e32 v[10:11], v[14:15], v[10:11]
	v_add_f64_e32 v[12:13], v[16:17], v[12:13]
	s_wait_loadcnt_dscnt 0x0
	v_mul_f64_e32 v[14:15], v[2:3], v[36:37]
	v_mul_f64_e32 v[16:17], v[4:5], v[36:37]
	s_delay_alu instid0(VALU_DEP_4) | instskip(NEXT) | instid1(VALU_DEP_4)
	v_add_f64_e32 v[10:11], v[10:11], v[24:25]
	v_add_f64_e32 v[12:13], v[12:13], v[22:23]
	s_delay_alu instid0(VALU_DEP_4) | instskip(NEXT) | instid1(VALU_DEP_4)
	v_fma_f64 v[4:5], v[4:5], v[34:35], v[14:15]
	v_fma_f64 v[2:3], v[2:3], v[34:35], -v[16:17]
	s_delay_alu instid0(VALU_DEP_4) | instskip(NEXT) | instid1(VALU_DEP_4)
	v_add_f64_e32 v[6:7], v[10:11], v[6:7]
	v_add_f64_e32 v[8:9], v[12:13], v[8:9]
	s_delay_alu instid0(VALU_DEP_2) | instskip(NEXT) | instid1(VALU_DEP_2)
	v_add_f64_e32 v[2:3], v[6:7], v[2:3]
	v_add_f64_e32 v[4:5], v[8:9], v[4:5]
	s_delay_alu instid0(VALU_DEP_2) | instskip(NEXT) | instid1(VALU_DEP_2)
	v_add_f64_e64 v[2:3], v[42:43], -v[2:3]
	v_add_f64_e64 v[4:5], v[44:45], -v[4:5]
	scratch_store_b128 off, v[2:5], off offset:480
	v_cmpx_lt_u32_e32 28, v0
	s_cbranch_execz .LBB104_203
; %bb.202:
	scratch_load_b128 v[5:8], off, s21
	v_dual_mov_b32 v2, v1 :: v_dual_mov_b32 v3, v1
	v_mov_b32_e32 v4, v1
	scratch_store_b128 off, v[1:4], off offset:464
	s_wait_loadcnt 0x0
	ds_store_b128 v128, v[5:8]
.LBB104_203:
	s_wait_alu 0xfffe
	s_or_b32 exec_lo, exec_lo, s0
	s_wait_storecnt_dscnt 0x0
	s_barrier_signal -1
	s_barrier_wait -1
	global_inv scope:SCOPE_SE
	s_clause 0x8
	scratch_load_b128 v[2:5], off, off offset:480
	scratch_load_b128 v[6:9], off, off offset:496
	;; [unrolled: 1-line block ×9, first 2 shown]
	ds_load_b128 v[38:41], v1 offset:1120
	ds_load_b128 v[42:45], v1 offset:1136
	s_clause 0x1
	scratch_load_b128 v[129:132], off, off offset:464
	scratch_load_b128 v[133:136], off, off offset:624
	s_mov_b32 s0, exec_lo
	s_wait_loadcnt_dscnt 0xa01
	v_mul_f64_e32 v[137:138], v[40:41], v[4:5]
	v_mul_f64_e32 v[4:5], v[38:39], v[4:5]
	s_wait_loadcnt_dscnt 0x900
	v_mul_f64_e32 v[141:142], v[42:43], v[8:9]
	v_mul_f64_e32 v[8:9], v[44:45], v[8:9]
	s_delay_alu instid0(VALU_DEP_4) | instskip(NEXT) | instid1(VALU_DEP_4)
	v_fma_f64 v[143:144], v[38:39], v[2:3], -v[137:138]
	v_fma_f64 v[145:146], v[40:41], v[2:3], v[4:5]
	ds_load_b128 v[2:5], v1 offset:1152
	ds_load_b128 v[137:140], v1 offset:1168
	scratch_load_b128 v[38:41], off, off offset:640
	v_fma_f64 v[44:45], v[44:45], v[6:7], v[141:142]
	v_fma_f64 v[42:43], v[42:43], v[6:7], -v[8:9]
	scratch_load_b128 v[6:9], off, off offset:656
	s_wait_loadcnt_dscnt 0xa01
	v_mul_f64_e32 v[147:148], v[2:3], v[12:13]
	v_mul_f64_e32 v[12:13], v[4:5], v[12:13]
	v_add_f64_e32 v[141:142], 0, v[143:144]
	v_add_f64_e32 v[143:144], 0, v[145:146]
	s_wait_loadcnt_dscnt 0x900
	v_mul_f64_e32 v[145:146], v[137:138], v[16:17]
	v_mul_f64_e32 v[16:17], v[139:140], v[16:17]
	v_fma_f64 v[147:148], v[4:5], v[10:11], v[147:148]
	v_fma_f64 v[149:150], v[2:3], v[10:11], -v[12:13]
	ds_load_b128 v[2:5], v1 offset:1184
	ds_load_b128 v[10:13], v1 offset:1200
	v_add_f64_e32 v[42:43], v[141:142], v[42:43]
	v_add_f64_e32 v[44:45], v[143:144], v[44:45]
	v_fma_f64 v[139:140], v[139:140], v[14:15], v[145:146]
	v_fma_f64 v[14:15], v[137:138], v[14:15], -v[16:17]
	s_wait_loadcnt_dscnt 0x801
	v_mul_f64_e32 v[141:142], v[2:3], v[20:21]
	v_mul_f64_e32 v[20:21], v[4:5], v[20:21]
	v_add_f64_e32 v[16:17], v[42:43], v[149:150]
	v_add_f64_e32 v[42:43], v[44:45], v[147:148]
	s_wait_loadcnt_dscnt 0x700
	v_mul_f64_e32 v[44:45], v[10:11], v[24:25]
	v_mul_f64_e32 v[24:25], v[12:13], v[24:25]
	v_fma_f64 v[137:138], v[4:5], v[18:19], v[141:142]
	v_fma_f64 v[18:19], v[2:3], v[18:19], -v[20:21]
	v_add_f64_e32 v[20:21], v[16:17], v[14:15]
	v_add_f64_e32 v[42:43], v[42:43], v[139:140]
	ds_load_b128 v[2:5], v1 offset:1216
	ds_load_b128 v[14:17], v1 offset:1232
	v_fma_f64 v[12:13], v[12:13], v[22:23], v[44:45]
	v_fma_f64 v[10:11], v[10:11], v[22:23], -v[24:25]
	s_wait_loadcnt_dscnt 0x601
	v_mul_f64_e32 v[139:140], v[2:3], v[28:29]
	v_mul_f64_e32 v[28:29], v[4:5], v[28:29]
	s_wait_loadcnt_dscnt 0x500
	v_mul_f64_e32 v[22:23], v[14:15], v[32:33]
	v_mul_f64_e32 v[24:25], v[16:17], v[32:33]
	v_add_f64_e32 v[18:19], v[20:21], v[18:19]
	v_add_f64_e32 v[20:21], v[42:43], v[137:138]
	v_fma_f64 v[32:33], v[4:5], v[26:27], v[139:140]
	v_fma_f64 v[26:27], v[2:3], v[26:27], -v[28:29]
	v_fma_f64 v[16:17], v[16:17], v[30:31], v[22:23]
	v_fma_f64 v[14:15], v[14:15], v[30:31], -v[24:25]
	v_add_f64_e32 v[18:19], v[18:19], v[10:11]
	v_add_f64_e32 v[20:21], v[20:21], v[12:13]
	ds_load_b128 v[2:5], v1 offset:1248
	ds_load_b128 v[10:13], v1 offset:1264
	s_wait_loadcnt_dscnt 0x401
	v_mul_f64_e32 v[28:29], v[2:3], v[36:37]
	v_mul_f64_e32 v[36:37], v[4:5], v[36:37]
	s_wait_loadcnt_dscnt 0x200
	v_mul_f64_e32 v[22:23], v[10:11], v[135:136]
	v_mul_f64_e32 v[24:25], v[12:13], v[135:136]
	v_add_f64_e32 v[18:19], v[18:19], v[26:27]
	v_add_f64_e32 v[20:21], v[20:21], v[32:33]
	v_fma_f64 v[26:27], v[4:5], v[34:35], v[28:29]
	v_fma_f64 v[28:29], v[2:3], v[34:35], -v[36:37]
	v_fma_f64 v[12:13], v[12:13], v[133:134], v[22:23]
	v_fma_f64 v[10:11], v[10:11], v[133:134], -v[24:25]
	v_add_f64_e32 v[18:19], v[18:19], v[14:15]
	v_add_f64_e32 v[20:21], v[20:21], v[16:17]
	ds_load_b128 v[2:5], v1 offset:1280
	ds_load_b128 v[14:17], v1 offset:1296
	s_wait_loadcnt_dscnt 0x101
	v_mul_f64_e32 v[30:31], v[2:3], v[40:41]
	v_mul_f64_e32 v[32:33], v[4:5], v[40:41]
	s_wait_loadcnt_dscnt 0x0
	v_mul_f64_e32 v[22:23], v[14:15], v[8:9]
	v_mul_f64_e32 v[8:9], v[16:17], v[8:9]
	v_add_f64_e32 v[18:19], v[18:19], v[28:29]
	v_add_f64_e32 v[20:21], v[20:21], v[26:27]
	v_fma_f64 v[4:5], v[4:5], v[38:39], v[30:31]
	v_fma_f64 v[1:2], v[2:3], v[38:39], -v[32:33]
	v_fma_f64 v[16:17], v[16:17], v[6:7], v[22:23]
	v_fma_f64 v[6:7], v[14:15], v[6:7], -v[8:9]
	v_add_f64_e32 v[10:11], v[18:19], v[10:11]
	v_add_f64_e32 v[12:13], v[20:21], v[12:13]
	s_delay_alu instid0(VALU_DEP_2) | instskip(NEXT) | instid1(VALU_DEP_2)
	v_add_f64_e32 v[1:2], v[10:11], v[1:2]
	v_add_f64_e32 v[3:4], v[12:13], v[4:5]
	s_delay_alu instid0(VALU_DEP_2) | instskip(NEXT) | instid1(VALU_DEP_2)
	;; [unrolled: 3-line block ×3, first 2 shown]
	v_add_f64_e64 v[1:2], v[129:130], -v[1:2]
	v_add_f64_e64 v[3:4], v[131:132], -v[3:4]
	scratch_store_b128 off, v[1:4], off offset:464
	v_cmpx_lt_u32_e32 27, v0
	s_cbranch_execz .LBB104_205
; %bb.204:
	scratch_load_b128 v[1:4], off, s41
	v_mov_b32_e32 v5, 0
	s_delay_alu instid0(VALU_DEP_1)
	v_dual_mov_b32 v6, v5 :: v_dual_mov_b32 v7, v5
	v_mov_b32_e32 v8, v5
	scratch_store_b128 off, v[5:8], off offset:448
	s_wait_loadcnt 0x0
	ds_store_b128 v128, v[1:4]
.LBB104_205:
	s_wait_alu 0xfffe
	s_or_b32 exec_lo, exec_lo, s0
	s_wait_storecnt_dscnt 0x0
	s_barrier_signal -1
	s_barrier_wait -1
	global_inv scope:SCOPE_SE
	s_clause 0x7
	scratch_load_b128 v[2:5], off, off offset:464
	scratch_load_b128 v[6:9], off, off offset:480
	;; [unrolled: 1-line block ×8, first 2 shown]
	v_mov_b32_e32 v1, 0
	s_mov_b32 s0, exec_lo
	ds_load_b128 v[34:37], v1 offset:1104
	s_clause 0x1
	scratch_load_b128 v[38:41], off, off offset:592
	scratch_load_b128 v[42:45], off, off offset:448
	ds_load_b128 v[129:132], v1 offset:1120
	scratch_load_b128 v[133:136], off, off offset:608
	s_wait_loadcnt_dscnt 0xa01
	v_mul_f64_e32 v[137:138], v[36:37], v[4:5]
	v_mul_f64_e32 v[4:5], v[34:35], v[4:5]
	s_delay_alu instid0(VALU_DEP_2) | instskip(NEXT) | instid1(VALU_DEP_2)
	v_fma_f64 v[143:144], v[34:35], v[2:3], -v[137:138]
	v_fma_f64 v[145:146], v[36:37], v[2:3], v[4:5]
	ds_load_b128 v[2:5], v1 offset:1136
	s_wait_loadcnt_dscnt 0x901
	v_mul_f64_e32 v[141:142], v[129:130], v[8:9]
	v_mul_f64_e32 v[8:9], v[131:132], v[8:9]
	scratch_load_b128 v[34:37], off, off offset:624
	ds_load_b128 v[137:140], v1 offset:1152
	s_wait_loadcnt_dscnt 0x901
	v_mul_f64_e32 v[147:148], v[2:3], v[12:13]
	v_mul_f64_e32 v[12:13], v[4:5], v[12:13]
	v_fma_f64 v[131:132], v[131:132], v[6:7], v[141:142]
	v_fma_f64 v[129:130], v[129:130], v[6:7], -v[8:9]
	v_add_f64_e32 v[141:142], 0, v[143:144]
	v_add_f64_e32 v[143:144], 0, v[145:146]
	scratch_load_b128 v[6:9], off, off offset:640
	v_fma_f64 v[147:148], v[4:5], v[10:11], v[147:148]
	v_fma_f64 v[149:150], v[2:3], v[10:11], -v[12:13]
	ds_load_b128 v[2:5], v1 offset:1168
	s_wait_loadcnt_dscnt 0x901
	v_mul_f64_e32 v[145:146], v[137:138], v[16:17]
	v_mul_f64_e32 v[16:17], v[139:140], v[16:17]
	scratch_load_b128 v[10:13], off, off offset:656
	v_add_f64_e32 v[141:142], v[141:142], v[129:130]
	v_add_f64_e32 v[143:144], v[143:144], v[131:132]
	s_wait_loadcnt_dscnt 0x900
	v_mul_f64_e32 v[151:152], v[2:3], v[20:21]
	v_mul_f64_e32 v[20:21], v[4:5], v[20:21]
	ds_load_b128 v[129:132], v1 offset:1184
	v_fma_f64 v[139:140], v[139:140], v[14:15], v[145:146]
	v_fma_f64 v[14:15], v[137:138], v[14:15], -v[16:17]
	v_add_f64_e32 v[16:17], v[141:142], v[149:150]
	v_add_f64_e32 v[137:138], v[143:144], v[147:148]
	s_wait_loadcnt_dscnt 0x800
	v_mul_f64_e32 v[141:142], v[129:130], v[24:25]
	v_mul_f64_e32 v[24:25], v[131:132], v[24:25]
	v_fma_f64 v[143:144], v[4:5], v[18:19], v[151:152]
	v_fma_f64 v[18:19], v[2:3], v[18:19], -v[20:21]
	v_add_f64_e32 v[20:21], v[16:17], v[14:15]
	v_add_f64_e32 v[137:138], v[137:138], v[139:140]
	ds_load_b128 v[2:5], v1 offset:1200
	ds_load_b128 v[14:17], v1 offset:1216
	v_fma_f64 v[131:132], v[131:132], v[22:23], v[141:142]
	v_fma_f64 v[22:23], v[129:130], v[22:23], -v[24:25]
	s_wait_loadcnt_dscnt 0x701
	v_mul_f64_e32 v[139:140], v[2:3], v[28:29]
	v_mul_f64_e32 v[28:29], v[4:5], v[28:29]
	s_wait_loadcnt_dscnt 0x600
	v_mul_f64_e32 v[24:25], v[14:15], v[32:33]
	v_mul_f64_e32 v[32:33], v[16:17], v[32:33]
	v_add_f64_e32 v[18:19], v[20:21], v[18:19]
	v_add_f64_e32 v[20:21], v[137:138], v[143:144]
	v_fma_f64 v[129:130], v[4:5], v[26:27], v[139:140]
	v_fma_f64 v[26:27], v[2:3], v[26:27], -v[28:29]
	v_fma_f64 v[16:17], v[16:17], v[30:31], v[24:25]
	v_fma_f64 v[14:15], v[14:15], v[30:31], -v[32:33]
	v_add_f64_e32 v[22:23], v[18:19], v[22:23]
	v_add_f64_e32 v[28:29], v[20:21], v[131:132]
	ds_load_b128 v[2:5], v1 offset:1232
	ds_load_b128 v[18:21], v1 offset:1248
	s_wait_loadcnt_dscnt 0x501
	v_mul_f64_e32 v[131:132], v[2:3], v[40:41]
	v_mul_f64_e32 v[40:41], v[4:5], v[40:41]
	v_add_f64_e32 v[22:23], v[22:23], v[26:27]
	v_add_f64_e32 v[24:25], v[28:29], v[129:130]
	s_wait_loadcnt_dscnt 0x300
	v_mul_f64_e32 v[26:27], v[18:19], v[135:136]
	v_mul_f64_e32 v[28:29], v[20:21], v[135:136]
	v_fma_f64 v[30:31], v[4:5], v[38:39], v[131:132]
	v_fma_f64 v[32:33], v[2:3], v[38:39], -v[40:41]
	v_add_f64_e32 v[22:23], v[22:23], v[14:15]
	v_add_f64_e32 v[24:25], v[24:25], v[16:17]
	ds_load_b128 v[2:5], v1 offset:1264
	ds_load_b128 v[14:17], v1 offset:1280
	v_fma_f64 v[20:21], v[20:21], v[133:134], v[26:27]
	v_fma_f64 v[18:19], v[18:19], v[133:134], -v[28:29]
	s_wait_loadcnt_dscnt 0x201
	v_mul_f64_e32 v[38:39], v[2:3], v[36:37]
	v_mul_f64_e32 v[36:37], v[4:5], v[36:37]
	v_add_f64_e32 v[22:23], v[22:23], v[32:33]
	v_add_f64_e32 v[24:25], v[24:25], v[30:31]
	s_wait_loadcnt_dscnt 0x100
	v_mul_f64_e32 v[26:27], v[14:15], v[8:9]
	v_mul_f64_e32 v[8:9], v[16:17], v[8:9]
	v_fma_f64 v[28:29], v[4:5], v[34:35], v[38:39]
	v_fma_f64 v[30:31], v[2:3], v[34:35], -v[36:37]
	ds_load_b128 v[2:5], v1 offset:1296
	v_add_f64_e32 v[18:19], v[22:23], v[18:19]
	v_add_f64_e32 v[20:21], v[24:25], v[20:21]
	s_wait_loadcnt_dscnt 0x0
	v_mul_f64_e32 v[22:23], v[2:3], v[12:13]
	v_mul_f64_e32 v[12:13], v[4:5], v[12:13]
	v_fma_f64 v[16:17], v[16:17], v[6:7], v[26:27]
	v_fma_f64 v[6:7], v[14:15], v[6:7], -v[8:9]
	v_add_f64_e32 v[8:9], v[18:19], v[30:31]
	v_add_f64_e32 v[14:15], v[20:21], v[28:29]
	v_fma_f64 v[4:5], v[4:5], v[10:11], v[22:23]
	v_fma_f64 v[2:3], v[2:3], v[10:11], -v[12:13]
	s_delay_alu instid0(VALU_DEP_4) | instskip(NEXT) | instid1(VALU_DEP_4)
	v_add_f64_e32 v[6:7], v[8:9], v[6:7]
	v_add_f64_e32 v[8:9], v[14:15], v[16:17]
	s_delay_alu instid0(VALU_DEP_2) | instskip(NEXT) | instid1(VALU_DEP_2)
	v_add_f64_e32 v[2:3], v[6:7], v[2:3]
	v_add_f64_e32 v[4:5], v[8:9], v[4:5]
	s_delay_alu instid0(VALU_DEP_2) | instskip(NEXT) | instid1(VALU_DEP_2)
	v_add_f64_e64 v[2:3], v[42:43], -v[2:3]
	v_add_f64_e64 v[4:5], v[44:45], -v[4:5]
	scratch_store_b128 off, v[2:5], off offset:448
	v_cmpx_lt_u32_e32 26, v0
	s_cbranch_execz .LBB104_207
; %bb.206:
	scratch_load_b128 v[5:8], off, s20
	v_dual_mov_b32 v2, v1 :: v_dual_mov_b32 v3, v1
	v_mov_b32_e32 v4, v1
	scratch_store_b128 off, v[1:4], off offset:432
	s_wait_loadcnt 0x0
	ds_store_b128 v128, v[5:8]
.LBB104_207:
	s_wait_alu 0xfffe
	s_or_b32 exec_lo, exec_lo, s0
	s_wait_storecnt_dscnt 0x0
	s_barrier_signal -1
	s_barrier_wait -1
	global_inv scope:SCOPE_SE
	s_clause 0x8
	scratch_load_b128 v[2:5], off, off offset:448
	scratch_load_b128 v[6:9], off, off offset:464
	;; [unrolled: 1-line block ×9, first 2 shown]
	ds_load_b128 v[38:41], v1 offset:1088
	ds_load_b128 v[42:45], v1 offset:1104
	s_clause 0x1
	scratch_load_b128 v[129:132], off, off offset:432
	scratch_load_b128 v[133:136], off, off offset:592
	s_mov_b32 s0, exec_lo
	s_wait_loadcnt_dscnt 0xa01
	v_mul_f64_e32 v[137:138], v[40:41], v[4:5]
	v_mul_f64_e32 v[4:5], v[38:39], v[4:5]
	s_wait_loadcnt_dscnt 0x900
	v_mul_f64_e32 v[141:142], v[42:43], v[8:9]
	v_mul_f64_e32 v[8:9], v[44:45], v[8:9]
	s_delay_alu instid0(VALU_DEP_4) | instskip(NEXT) | instid1(VALU_DEP_4)
	v_fma_f64 v[143:144], v[38:39], v[2:3], -v[137:138]
	v_fma_f64 v[145:146], v[40:41], v[2:3], v[4:5]
	ds_load_b128 v[2:5], v1 offset:1120
	ds_load_b128 v[137:140], v1 offset:1136
	scratch_load_b128 v[38:41], off, off offset:608
	v_fma_f64 v[44:45], v[44:45], v[6:7], v[141:142]
	v_fma_f64 v[42:43], v[42:43], v[6:7], -v[8:9]
	scratch_load_b128 v[6:9], off, off offset:624
	s_wait_loadcnt_dscnt 0xa01
	v_mul_f64_e32 v[147:148], v[2:3], v[12:13]
	v_mul_f64_e32 v[12:13], v[4:5], v[12:13]
	v_add_f64_e32 v[141:142], 0, v[143:144]
	v_add_f64_e32 v[143:144], 0, v[145:146]
	s_wait_loadcnt_dscnt 0x900
	v_mul_f64_e32 v[145:146], v[137:138], v[16:17]
	v_mul_f64_e32 v[16:17], v[139:140], v[16:17]
	v_fma_f64 v[147:148], v[4:5], v[10:11], v[147:148]
	v_fma_f64 v[149:150], v[2:3], v[10:11], -v[12:13]
	ds_load_b128 v[2:5], v1 offset:1152
	scratch_load_b128 v[10:13], off, off offset:640
	v_add_f64_e32 v[141:142], v[141:142], v[42:43]
	v_add_f64_e32 v[143:144], v[143:144], v[44:45]
	ds_load_b128 v[42:45], v1 offset:1168
	v_fma_f64 v[139:140], v[139:140], v[14:15], v[145:146]
	v_fma_f64 v[137:138], v[137:138], v[14:15], -v[16:17]
	scratch_load_b128 v[14:17], off, off offset:656
	s_wait_loadcnt_dscnt 0xa01
	v_mul_f64_e32 v[151:152], v[2:3], v[20:21]
	v_mul_f64_e32 v[20:21], v[4:5], v[20:21]
	s_wait_loadcnt_dscnt 0x900
	v_mul_f64_e32 v[145:146], v[42:43], v[24:25]
	v_mul_f64_e32 v[24:25], v[44:45], v[24:25]
	v_add_f64_e32 v[141:142], v[141:142], v[149:150]
	v_add_f64_e32 v[143:144], v[143:144], v[147:148]
	v_fma_f64 v[147:148], v[4:5], v[18:19], v[151:152]
	v_fma_f64 v[149:150], v[2:3], v[18:19], -v[20:21]
	ds_load_b128 v[2:5], v1 offset:1184
	ds_load_b128 v[18:21], v1 offset:1200
	v_fma_f64 v[44:45], v[44:45], v[22:23], v[145:146]
	v_fma_f64 v[22:23], v[42:43], v[22:23], -v[24:25]
	v_add_f64_e32 v[137:138], v[141:142], v[137:138]
	v_add_f64_e32 v[139:140], v[143:144], v[139:140]
	s_wait_loadcnt_dscnt 0x801
	v_mul_f64_e32 v[141:142], v[2:3], v[28:29]
	v_mul_f64_e32 v[28:29], v[4:5], v[28:29]
	s_delay_alu instid0(VALU_DEP_4) | instskip(NEXT) | instid1(VALU_DEP_4)
	v_add_f64_e32 v[24:25], v[137:138], v[149:150]
	v_add_f64_e32 v[42:43], v[139:140], v[147:148]
	s_wait_loadcnt_dscnt 0x700
	v_mul_f64_e32 v[137:138], v[18:19], v[32:33]
	v_mul_f64_e32 v[32:33], v[20:21], v[32:33]
	v_fma_f64 v[139:140], v[4:5], v[26:27], v[141:142]
	v_fma_f64 v[26:27], v[2:3], v[26:27], -v[28:29]
	v_add_f64_e32 v[28:29], v[24:25], v[22:23]
	v_add_f64_e32 v[42:43], v[42:43], v[44:45]
	ds_load_b128 v[2:5], v1 offset:1216
	ds_load_b128 v[22:25], v1 offset:1232
	v_fma_f64 v[20:21], v[20:21], v[30:31], v[137:138]
	v_fma_f64 v[18:19], v[18:19], v[30:31], -v[32:33]
	s_wait_loadcnt_dscnt 0x601
	v_mul_f64_e32 v[44:45], v[2:3], v[36:37]
	v_mul_f64_e32 v[36:37], v[4:5], v[36:37]
	s_wait_loadcnt_dscnt 0x400
	v_mul_f64_e32 v[30:31], v[22:23], v[135:136]
	v_mul_f64_e32 v[32:33], v[24:25], v[135:136]
	v_add_f64_e32 v[26:27], v[28:29], v[26:27]
	v_add_f64_e32 v[28:29], v[42:43], v[139:140]
	v_fma_f64 v[42:43], v[4:5], v[34:35], v[44:45]
	v_fma_f64 v[34:35], v[2:3], v[34:35], -v[36:37]
	v_fma_f64 v[24:25], v[24:25], v[133:134], v[30:31]
	v_fma_f64 v[22:23], v[22:23], v[133:134], -v[32:33]
	v_add_f64_e32 v[26:27], v[26:27], v[18:19]
	v_add_f64_e32 v[28:29], v[28:29], v[20:21]
	ds_load_b128 v[2:5], v1 offset:1248
	ds_load_b128 v[18:21], v1 offset:1264
	s_wait_loadcnt_dscnt 0x301
	v_mul_f64_e32 v[36:37], v[2:3], v[40:41]
	v_mul_f64_e32 v[40:41], v[4:5], v[40:41]
	s_wait_loadcnt_dscnt 0x200
	v_mul_f64_e32 v[30:31], v[18:19], v[8:9]
	v_mul_f64_e32 v[8:9], v[20:21], v[8:9]
	v_add_f64_e32 v[26:27], v[26:27], v[34:35]
	v_add_f64_e32 v[28:29], v[28:29], v[42:43]
	v_fma_f64 v[32:33], v[4:5], v[38:39], v[36:37]
	v_fma_f64 v[34:35], v[2:3], v[38:39], -v[40:41]
	v_fma_f64 v[20:21], v[20:21], v[6:7], v[30:31]
	v_fma_f64 v[6:7], v[18:19], v[6:7], -v[8:9]
	v_add_f64_e32 v[26:27], v[26:27], v[22:23]
	v_add_f64_e32 v[28:29], v[28:29], v[24:25]
	ds_load_b128 v[2:5], v1 offset:1280
	ds_load_b128 v[22:25], v1 offset:1296
	s_wait_loadcnt_dscnt 0x101
	v_mul_f64_e32 v[36:37], v[2:3], v[12:13]
	v_mul_f64_e32 v[12:13], v[4:5], v[12:13]
	v_add_f64_e32 v[8:9], v[26:27], v[34:35]
	v_add_f64_e32 v[18:19], v[28:29], v[32:33]
	s_wait_loadcnt_dscnt 0x0
	v_mul_f64_e32 v[26:27], v[22:23], v[16:17]
	v_mul_f64_e32 v[16:17], v[24:25], v[16:17]
	v_fma_f64 v[4:5], v[4:5], v[10:11], v[36:37]
	v_fma_f64 v[1:2], v[2:3], v[10:11], -v[12:13]
	v_add_f64_e32 v[6:7], v[8:9], v[6:7]
	v_add_f64_e32 v[8:9], v[18:19], v[20:21]
	v_fma_f64 v[10:11], v[24:25], v[14:15], v[26:27]
	v_fma_f64 v[12:13], v[22:23], v[14:15], -v[16:17]
	s_delay_alu instid0(VALU_DEP_4) | instskip(NEXT) | instid1(VALU_DEP_4)
	v_add_f64_e32 v[1:2], v[6:7], v[1:2]
	v_add_f64_e32 v[3:4], v[8:9], v[4:5]
	s_delay_alu instid0(VALU_DEP_2) | instskip(NEXT) | instid1(VALU_DEP_2)
	v_add_f64_e32 v[1:2], v[1:2], v[12:13]
	v_add_f64_e32 v[3:4], v[3:4], v[10:11]
	s_delay_alu instid0(VALU_DEP_2) | instskip(NEXT) | instid1(VALU_DEP_2)
	v_add_f64_e64 v[1:2], v[129:130], -v[1:2]
	v_add_f64_e64 v[3:4], v[131:132], -v[3:4]
	scratch_store_b128 off, v[1:4], off offset:432
	v_cmpx_lt_u32_e32 25, v0
	s_cbranch_execz .LBB104_209
; %bb.208:
	scratch_load_b128 v[1:4], off, s40
	v_mov_b32_e32 v5, 0
	s_delay_alu instid0(VALU_DEP_1)
	v_dual_mov_b32 v6, v5 :: v_dual_mov_b32 v7, v5
	v_mov_b32_e32 v8, v5
	scratch_store_b128 off, v[5:8], off offset:416
	s_wait_loadcnt 0x0
	ds_store_b128 v128, v[1:4]
.LBB104_209:
	s_wait_alu 0xfffe
	s_or_b32 exec_lo, exec_lo, s0
	s_wait_storecnt_dscnt 0x0
	s_barrier_signal -1
	s_barrier_wait -1
	global_inv scope:SCOPE_SE
	s_clause 0x7
	scratch_load_b128 v[2:5], off, off offset:432
	scratch_load_b128 v[6:9], off, off offset:448
	;; [unrolled: 1-line block ×8, first 2 shown]
	v_mov_b32_e32 v1, 0
	s_mov_b32 s0, exec_lo
	ds_load_b128 v[34:37], v1 offset:1072
	s_clause 0x1
	scratch_load_b128 v[38:41], off, off offset:560
	scratch_load_b128 v[42:45], off, off offset:416
	ds_load_b128 v[129:132], v1 offset:1088
	scratch_load_b128 v[133:136], off, off offset:576
	s_wait_loadcnt_dscnt 0xa01
	v_mul_f64_e32 v[137:138], v[36:37], v[4:5]
	v_mul_f64_e32 v[4:5], v[34:35], v[4:5]
	s_delay_alu instid0(VALU_DEP_2) | instskip(NEXT) | instid1(VALU_DEP_2)
	v_fma_f64 v[143:144], v[34:35], v[2:3], -v[137:138]
	v_fma_f64 v[145:146], v[36:37], v[2:3], v[4:5]
	ds_load_b128 v[2:5], v1 offset:1104
	s_wait_loadcnt_dscnt 0x901
	v_mul_f64_e32 v[141:142], v[129:130], v[8:9]
	v_mul_f64_e32 v[8:9], v[131:132], v[8:9]
	scratch_load_b128 v[34:37], off, off offset:592
	ds_load_b128 v[137:140], v1 offset:1120
	s_wait_loadcnt_dscnt 0x901
	v_mul_f64_e32 v[147:148], v[2:3], v[12:13]
	v_mul_f64_e32 v[12:13], v[4:5], v[12:13]
	v_fma_f64 v[131:132], v[131:132], v[6:7], v[141:142]
	v_fma_f64 v[129:130], v[129:130], v[6:7], -v[8:9]
	v_add_f64_e32 v[141:142], 0, v[143:144]
	v_add_f64_e32 v[143:144], 0, v[145:146]
	scratch_load_b128 v[6:9], off, off offset:608
	v_fma_f64 v[147:148], v[4:5], v[10:11], v[147:148]
	v_fma_f64 v[149:150], v[2:3], v[10:11], -v[12:13]
	ds_load_b128 v[2:5], v1 offset:1136
	s_wait_loadcnt_dscnt 0x901
	v_mul_f64_e32 v[145:146], v[137:138], v[16:17]
	v_mul_f64_e32 v[16:17], v[139:140], v[16:17]
	scratch_load_b128 v[10:13], off, off offset:624
	v_add_f64_e32 v[141:142], v[141:142], v[129:130]
	v_add_f64_e32 v[143:144], v[143:144], v[131:132]
	s_wait_loadcnt_dscnt 0x900
	v_mul_f64_e32 v[151:152], v[2:3], v[20:21]
	v_mul_f64_e32 v[20:21], v[4:5], v[20:21]
	ds_load_b128 v[129:132], v1 offset:1152
	v_fma_f64 v[139:140], v[139:140], v[14:15], v[145:146]
	v_fma_f64 v[137:138], v[137:138], v[14:15], -v[16:17]
	scratch_load_b128 v[14:17], off, off offset:640
	v_add_f64_e32 v[141:142], v[141:142], v[149:150]
	v_add_f64_e32 v[143:144], v[143:144], v[147:148]
	v_fma_f64 v[147:148], v[4:5], v[18:19], v[151:152]
	v_fma_f64 v[149:150], v[2:3], v[18:19], -v[20:21]
	ds_load_b128 v[2:5], v1 offset:1168
	s_wait_loadcnt_dscnt 0x901
	v_mul_f64_e32 v[145:146], v[129:130], v[24:25]
	v_mul_f64_e32 v[24:25], v[131:132], v[24:25]
	scratch_load_b128 v[18:21], off, off offset:656
	s_wait_loadcnt_dscnt 0x900
	v_mul_f64_e32 v[151:152], v[2:3], v[28:29]
	v_mul_f64_e32 v[28:29], v[4:5], v[28:29]
	v_add_f64_e32 v[141:142], v[141:142], v[137:138]
	v_add_f64_e32 v[143:144], v[143:144], v[139:140]
	ds_load_b128 v[137:140], v1 offset:1184
	v_fma_f64 v[131:132], v[131:132], v[22:23], v[145:146]
	v_fma_f64 v[22:23], v[129:130], v[22:23], -v[24:25]
	v_add_f64_e32 v[24:25], v[141:142], v[149:150]
	v_add_f64_e32 v[129:130], v[143:144], v[147:148]
	s_wait_loadcnt_dscnt 0x800
	v_mul_f64_e32 v[141:142], v[137:138], v[32:33]
	v_mul_f64_e32 v[32:33], v[139:140], v[32:33]
	v_fma_f64 v[143:144], v[4:5], v[26:27], v[151:152]
	v_fma_f64 v[26:27], v[2:3], v[26:27], -v[28:29]
	v_add_f64_e32 v[28:29], v[24:25], v[22:23]
	v_add_f64_e32 v[129:130], v[129:130], v[131:132]
	ds_load_b128 v[2:5], v1 offset:1200
	ds_load_b128 v[22:25], v1 offset:1216
	v_fma_f64 v[139:140], v[139:140], v[30:31], v[141:142]
	v_fma_f64 v[30:31], v[137:138], v[30:31], -v[32:33]
	s_wait_loadcnt_dscnt 0x701
	v_mul_f64_e32 v[131:132], v[2:3], v[40:41]
	v_mul_f64_e32 v[40:41], v[4:5], v[40:41]
	s_wait_loadcnt_dscnt 0x500
	v_mul_f64_e32 v[32:33], v[22:23], v[135:136]
	v_add_f64_e32 v[26:27], v[28:29], v[26:27]
	v_add_f64_e32 v[28:29], v[129:130], v[143:144]
	v_mul_f64_e32 v[129:130], v[24:25], v[135:136]
	v_fma_f64 v[131:132], v[4:5], v[38:39], v[131:132]
	v_fma_f64 v[38:39], v[2:3], v[38:39], -v[40:41]
	v_fma_f64 v[24:25], v[24:25], v[133:134], v[32:33]
	v_add_f64_e32 v[30:31], v[26:27], v[30:31]
	v_add_f64_e32 v[40:41], v[28:29], v[139:140]
	ds_load_b128 v[2:5], v1 offset:1232
	ds_load_b128 v[26:29], v1 offset:1248
	v_fma_f64 v[22:23], v[22:23], v[133:134], -v[129:130]
	s_wait_loadcnt_dscnt 0x401
	v_mul_f64_e32 v[135:136], v[2:3], v[36:37]
	v_mul_f64_e32 v[36:37], v[4:5], v[36:37]
	v_add_f64_e32 v[30:31], v[30:31], v[38:39]
	v_add_f64_e32 v[32:33], v[40:41], v[131:132]
	s_wait_loadcnt_dscnt 0x300
	v_mul_f64_e32 v[38:39], v[26:27], v[8:9]
	v_mul_f64_e32 v[8:9], v[28:29], v[8:9]
	v_fma_f64 v[40:41], v[4:5], v[34:35], v[135:136]
	v_fma_f64 v[34:35], v[2:3], v[34:35], -v[36:37]
	v_add_f64_e32 v[30:31], v[30:31], v[22:23]
	v_add_f64_e32 v[32:33], v[32:33], v[24:25]
	ds_load_b128 v[2:5], v1 offset:1264
	ds_load_b128 v[22:25], v1 offset:1280
	v_fma_f64 v[28:29], v[28:29], v[6:7], v[38:39]
	v_fma_f64 v[6:7], v[26:27], v[6:7], -v[8:9]
	s_wait_loadcnt_dscnt 0x201
	v_mul_f64_e32 v[36:37], v[2:3], v[12:13]
	v_mul_f64_e32 v[12:13], v[4:5], v[12:13]
	v_add_f64_e32 v[8:9], v[30:31], v[34:35]
	v_add_f64_e32 v[26:27], v[32:33], v[40:41]
	s_wait_loadcnt_dscnt 0x100
	v_mul_f64_e32 v[30:31], v[22:23], v[16:17]
	v_mul_f64_e32 v[16:17], v[24:25], v[16:17]
	v_fma_f64 v[32:33], v[4:5], v[10:11], v[36:37]
	v_fma_f64 v[10:11], v[2:3], v[10:11], -v[12:13]
	ds_load_b128 v[2:5], v1 offset:1296
	v_add_f64_e32 v[6:7], v[8:9], v[6:7]
	v_add_f64_e32 v[8:9], v[26:27], v[28:29]
	v_fma_f64 v[24:25], v[24:25], v[14:15], v[30:31]
	v_fma_f64 v[14:15], v[22:23], v[14:15], -v[16:17]
	s_wait_loadcnt_dscnt 0x0
	v_mul_f64_e32 v[12:13], v[2:3], v[20:21]
	v_mul_f64_e32 v[20:21], v[4:5], v[20:21]
	v_add_f64_e32 v[6:7], v[6:7], v[10:11]
	v_add_f64_e32 v[8:9], v[8:9], v[32:33]
	s_delay_alu instid0(VALU_DEP_4) | instskip(NEXT) | instid1(VALU_DEP_4)
	v_fma_f64 v[4:5], v[4:5], v[18:19], v[12:13]
	v_fma_f64 v[2:3], v[2:3], v[18:19], -v[20:21]
	s_delay_alu instid0(VALU_DEP_4) | instskip(NEXT) | instid1(VALU_DEP_4)
	v_add_f64_e32 v[6:7], v[6:7], v[14:15]
	v_add_f64_e32 v[8:9], v[8:9], v[24:25]
	s_delay_alu instid0(VALU_DEP_2) | instskip(NEXT) | instid1(VALU_DEP_2)
	v_add_f64_e32 v[2:3], v[6:7], v[2:3]
	v_add_f64_e32 v[4:5], v[8:9], v[4:5]
	s_delay_alu instid0(VALU_DEP_2) | instskip(NEXT) | instid1(VALU_DEP_2)
	v_add_f64_e64 v[2:3], v[42:43], -v[2:3]
	v_add_f64_e64 v[4:5], v[44:45], -v[4:5]
	scratch_store_b128 off, v[2:5], off offset:416
	v_cmpx_lt_u32_e32 24, v0
	s_cbranch_execz .LBB104_211
; %bb.210:
	scratch_load_b128 v[5:8], off, s19
	v_dual_mov_b32 v2, v1 :: v_dual_mov_b32 v3, v1
	v_mov_b32_e32 v4, v1
	scratch_store_b128 off, v[1:4], off offset:400
	s_wait_loadcnt 0x0
	ds_store_b128 v128, v[5:8]
.LBB104_211:
	s_wait_alu 0xfffe
	s_or_b32 exec_lo, exec_lo, s0
	s_wait_storecnt_dscnt 0x0
	s_barrier_signal -1
	s_barrier_wait -1
	global_inv scope:SCOPE_SE
	s_clause 0x8
	scratch_load_b128 v[2:5], off, off offset:416
	scratch_load_b128 v[6:9], off, off offset:432
	;; [unrolled: 1-line block ×9, first 2 shown]
	ds_load_b128 v[38:41], v1 offset:1056
	ds_load_b128 v[42:45], v1 offset:1072
	s_clause 0x1
	scratch_load_b128 v[129:132], off, off offset:400
	scratch_load_b128 v[133:136], off, off offset:560
	s_mov_b32 s0, exec_lo
	s_wait_loadcnt_dscnt 0xa01
	v_mul_f64_e32 v[137:138], v[40:41], v[4:5]
	v_mul_f64_e32 v[4:5], v[38:39], v[4:5]
	s_wait_loadcnt_dscnt 0x900
	v_mul_f64_e32 v[141:142], v[42:43], v[8:9]
	v_mul_f64_e32 v[8:9], v[44:45], v[8:9]
	s_delay_alu instid0(VALU_DEP_4) | instskip(NEXT) | instid1(VALU_DEP_4)
	v_fma_f64 v[143:144], v[38:39], v[2:3], -v[137:138]
	v_fma_f64 v[145:146], v[40:41], v[2:3], v[4:5]
	ds_load_b128 v[2:5], v1 offset:1088
	ds_load_b128 v[137:140], v1 offset:1104
	scratch_load_b128 v[38:41], off, off offset:576
	v_fma_f64 v[44:45], v[44:45], v[6:7], v[141:142]
	v_fma_f64 v[42:43], v[42:43], v[6:7], -v[8:9]
	scratch_load_b128 v[6:9], off, off offset:592
	s_wait_loadcnt_dscnt 0xa01
	v_mul_f64_e32 v[147:148], v[2:3], v[12:13]
	v_mul_f64_e32 v[12:13], v[4:5], v[12:13]
	v_add_f64_e32 v[141:142], 0, v[143:144]
	v_add_f64_e32 v[143:144], 0, v[145:146]
	s_wait_loadcnt_dscnt 0x900
	v_mul_f64_e32 v[145:146], v[137:138], v[16:17]
	v_mul_f64_e32 v[16:17], v[139:140], v[16:17]
	v_fma_f64 v[147:148], v[4:5], v[10:11], v[147:148]
	v_fma_f64 v[149:150], v[2:3], v[10:11], -v[12:13]
	ds_load_b128 v[2:5], v1 offset:1120
	scratch_load_b128 v[10:13], off, off offset:608
	v_add_f64_e32 v[141:142], v[141:142], v[42:43]
	v_add_f64_e32 v[143:144], v[143:144], v[44:45]
	ds_load_b128 v[42:45], v1 offset:1136
	v_fma_f64 v[139:140], v[139:140], v[14:15], v[145:146]
	v_fma_f64 v[137:138], v[137:138], v[14:15], -v[16:17]
	scratch_load_b128 v[14:17], off, off offset:624
	s_wait_loadcnt_dscnt 0xa01
	v_mul_f64_e32 v[151:152], v[2:3], v[20:21]
	v_mul_f64_e32 v[20:21], v[4:5], v[20:21]
	s_wait_loadcnt_dscnt 0x900
	v_mul_f64_e32 v[145:146], v[42:43], v[24:25]
	v_mul_f64_e32 v[24:25], v[44:45], v[24:25]
	v_add_f64_e32 v[141:142], v[141:142], v[149:150]
	v_add_f64_e32 v[143:144], v[143:144], v[147:148]
	v_fma_f64 v[147:148], v[4:5], v[18:19], v[151:152]
	v_fma_f64 v[149:150], v[2:3], v[18:19], -v[20:21]
	ds_load_b128 v[2:5], v1 offset:1152
	scratch_load_b128 v[18:21], off, off offset:640
	v_fma_f64 v[44:45], v[44:45], v[22:23], v[145:146]
	v_fma_f64 v[42:43], v[42:43], v[22:23], -v[24:25]
	scratch_load_b128 v[22:25], off, off offset:656
	v_add_f64_e32 v[141:142], v[141:142], v[137:138]
	v_add_f64_e32 v[143:144], v[143:144], v[139:140]
	ds_load_b128 v[137:140], v1 offset:1168
	s_wait_loadcnt_dscnt 0xa01
	v_mul_f64_e32 v[151:152], v[2:3], v[28:29]
	v_mul_f64_e32 v[28:29], v[4:5], v[28:29]
	s_wait_loadcnt_dscnt 0x900
	v_mul_f64_e32 v[145:146], v[137:138], v[32:33]
	v_mul_f64_e32 v[32:33], v[139:140], v[32:33]
	v_add_f64_e32 v[141:142], v[141:142], v[149:150]
	v_add_f64_e32 v[143:144], v[143:144], v[147:148]
	v_fma_f64 v[147:148], v[4:5], v[26:27], v[151:152]
	v_fma_f64 v[149:150], v[2:3], v[26:27], -v[28:29]
	ds_load_b128 v[2:5], v1 offset:1184
	ds_load_b128 v[26:29], v1 offset:1200
	v_fma_f64 v[139:140], v[139:140], v[30:31], v[145:146]
	v_fma_f64 v[30:31], v[137:138], v[30:31], -v[32:33]
	v_add_f64_e32 v[42:43], v[141:142], v[42:43]
	v_add_f64_e32 v[44:45], v[143:144], v[44:45]
	s_wait_loadcnt_dscnt 0x801
	v_mul_f64_e32 v[141:142], v[2:3], v[36:37]
	v_mul_f64_e32 v[36:37], v[4:5], v[36:37]
	s_delay_alu instid0(VALU_DEP_4) | instskip(NEXT) | instid1(VALU_DEP_4)
	v_add_f64_e32 v[32:33], v[42:43], v[149:150]
	v_add_f64_e32 v[42:43], v[44:45], v[147:148]
	s_wait_loadcnt_dscnt 0x600
	v_mul_f64_e32 v[44:45], v[26:27], v[135:136]
	v_mul_f64_e32 v[135:136], v[28:29], v[135:136]
	v_fma_f64 v[137:138], v[4:5], v[34:35], v[141:142]
	v_fma_f64 v[34:35], v[2:3], v[34:35], -v[36:37]
	v_add_f64_e32 v[36:37], v[32:33], v[30:31]
	v_add_f64_e32 v[42:43], v[42:43], v[139:140]
	ds_load_b128 v[2:5], v1 offset:1216
	ds_load_b128 v[30:33], v1 offset:1232
	v_fma_f64 v[28:29], v[28:29], v[133:134], v[44:45]
	v_fma_f64 v[26:27], v[26:27], v[133:134], -v[135:136]
	s_wait_loadcnt_dscnt 0x501
	v_mul_f64_e32 v[139:140], v[2:3], v[40:41]
	v_mul_f64_e32 v[40:41], v[4:5], v[40:41]
	v_add_f64_e32 v[34:35], v[36:37], v[34:35]
	v_add_f64_e32 v[36:37], v[42:43], v[137:138]
	s_wait_loadcnt_dscnt 0x400
	v_mul_f64_e32 v[42:43], v[30:31], v[8:9]
	v_mul_f64_e32 v[8:9], v[32:33], v[8:9]
	v_fma_f64 v[44:45], v[4:5], v[38:39], v[139:140]
	v_fma_f64 v[38:39], v[2:3], v[38:39], -v[40:41]
	v_add_f64_e32 v[34:35], v[34:35], v[26:27]
	v_add_f64_e32 v[36:37], v[36:37], v[28:29]
	ds_load_b128 v[2:5], v1 offset:1248
	ds_load_b128 v[26:29], v1 offset:1264
	v_fma_f64 v[32:33], v[32:33], v[6:7], v[42:43]
	v_fma_f64 v[6:7], v[30:31], v[6:7], -v[8:9]
	s_wait_loadcnt_dscnt 0x301
	v_mul_f64_e32 v[40:41], v[2:3], v[12:13]
	v_mul_f64_e32 v[12:13], v[4:5], v[12:13]
	;; [unrolled: 16-line block ×3, first 2 shown]
	s_wait_loadcnt_dscnt 0x0
	v_mul_f64_e32 v[16:17], v[6:7], v[24:25]
	v_mul_f64_e32 v[24:25], v[8:9], v[24:25]
	v_add_f64_e32 v[10:11], v[12:13], v[10:11]
	v_add_f64_e32 v[12:13], v[30:31], v[36:37]
	v_fma_f64 v[4:5], v[4:5], v[18:19], v[32:33]
	v_fma_f64 v[1:2], v[2:3], v[18:19], -v[20:21]
	v_fma_f64 v[8:9], v[8:9], v[22:23], v[16:17]
	v_fma_f64 v[6:7], v[6:7], v[22:23], -v[24:25]
	v_add_f64_e32 v[10:11], v[10:11], v[14:15]
	v_add_f64_e32 v[12:13], v[12:13], v[28:29]
	s_delay_alu instid0(VALU_DEP_2) | instskip(NEXT) | instid1(VALU_DEP_2)
	v_add_f64_e32 v[1:2], v[10:11], v[1:2]
	v_add_f64_e32 v[3:4], v[12:13], v[4:5]
	s_delay_alu instid0(VALU_DEP_2) | instskip(NEXT) | instid1(VALU_DEP_2)
	;; [unrolled: 3-line block ×3, first 2 shown]
	v_add_f64_e64 v[1:2], v[129:130], -v[1:2]
	v_add_f64_e64 v[3:4], v[131:132], -v[3:4]
	scratch_store_b128 off, v[1:4], off offset:400
	v_cmpx_lt_u32_e32 23, v0
	s_cbranch_execz .LBB104_213
; %bb.212:
	scratch_load_b128 v[1:4], off, s39
	v_mov_b32_e32 v5, 0
	s_delay_alu instid0(VALU_DEP_1)
	v_dual_mov_b32 v6, v5 :: v_dual_mov_b32 v7, v5
	v_mov_b32_e32 v8, v5
	scratch_store_b128 off, v[5:8], off offset:384
	s_wait_loadcnt 0x0
	ds_store_b128 v128, v[1:4]
.LBB104_213:
	s_wait_alu 0xfffe
	s_or_b32 exec_lo, exec_lo, s0
	s_wait_storecnt_dscnt 0x0
	s_barrier_signal -1
	s_barrier_wait -1
	global_inv scope:SCOPE_SE
	s_clause 0x7
	scratch_load_b128 v[2:5], off, off offset:400
	scratch_load_b128 v[6:9], off, off offset:416
	;; [unrolled: 1-line block ×8, first 2 shown]
	v_mov_b32_e32 v1, 0
	s_mov_b32 s0, exec_lo
	ds_load_b128 v[34:37], v1 offset:1040
	s_clause 0x1
	scratch_load_b128 v[38:41], off, off offset:528
	scratch_load_b128 v[42:45], off, off offset:384
	ds_load_b128 v[129:132], v1 offset:1056
	scratch_load_b128 v[133:136], off, off offset:544
	s_wait_loadcnt_dscnt 0xa01
	v_mul_f64_e32 v[137:138], v[36:37], v[4:5]
	v_mul_f64_e32 v[4:5], v[34:35], v[4:5]
	s_delay_alu instid0(VALU_DEP_2) | instskip(NEXT) | instid1(VALU_DEP_2)
	v_fma_f64 v[143:144], v[34:35], v[2:3], -v[137:138]
	v_fma_f64 v[145:146], v[36:37], v[2:3], v[4:5]
	ds_load_b128 v[2:5], v1 offset:1072
	s_wait_loadcnt_dscnt 0x901
	v_mul_f64_e32 v[141:142], v[129:130], v[8:9]
	v_mul_f64_e32 v[8:9], v[131:132], v[8:9]
	scratch_load_b128 v[34:37], off, off offset:560
	ds_load_b128 v[137:140], v1 offset:1088
	s_wait_loadcnt_dscnt 0x901
	v_mul_f64_e32 v[147:148], v[2:3], v[12:13]
	v_mul_f64_e32 v[12:13], v[4:5], v[12:13]
	v_fma_f64 v[131:132], v[131:132], v[6:7], v[141:142]
	v_fma_f64 v[129:130], v[129:130], v[6:7], -v[8:9]
	v_add_f64_e32 v[141:142], 0, v[143:144]
	v_add_f64_e32 v[143:144], 0, v[145:146]
	scratch_load_b128 v[6:9], off, off offset:576
	v_fma_f64 v[147:148], v[4:5], v[10:11], v[147:148]
	v_fma_f64 v[149:150], v[2:3], v[10:11], -v[12:13]
	ds_load_b128 v[2:5], v1 offset:1104
	s_wait_loadcnt_dscnt 0x901
	v_mul_f64_e32 v[145:146], v[137:138], v[16:17]
	v_mul_f64_e32 v[16:17], v[139:140], v[16:17]
	scratch_load_b128 v[10:13], off, off offset:592
	v_add_f64_e32 v[141:142], v[141:142], v[129:130]
	v_add_f64_e32 v[143:144], v[143:144], v[131:132]
	s_wait_loadcnt_dscnt 0x900
	v_mul_f64_e32 v[151:152], v[2:3], v[20:21]
	v_mul_f64_e32 v[20:21], v[4:5], v[20:21]
	ds_load_b128 v[129:132], v1 offset:1120
	v_fma_f64 v[139:140], v[139:140], v[14:15], v[145:146]
	v_fma_f64 v[137:138], v[137:138], v[14:15], -v[16:17]
	scratch_load_b128 v[14:17], off, off offset:608
	v_add_f64_e32 v[141:142], v[141:142], v[149:150]
	v_add_f64_e32 v[143:144], v[143:144], v[147:148]
	v_fma_f64 v[147:148], v[4:5], v[18:19], v[151:152]
	v_fma_f64 v[149:150], v[2:3], v[18:19], -v[20:21]
	ds_load_b128 v[2:5], v1 offset:1136
	s_wait_loadcnt_dscnt 0x901
	v_mul_f64_e32 v[145:146], v[129:130], v[24:25]
	v_mul_f64_e32 v[24:25], v[131:132], v[24:25]
	scratch_load_b128 v[18:21], off, off offset:624
	s_wait_loadcnt_dscnt 0x900
	v_mul_f64_e32 v[151:152], v[2:3], v[28:29]
	v_mul_f64_e32 v[28:29], v[4:5], v[28:29]
	v_add_f64_e32 v[141:142], v[141:142], v[137:138]
	v_add_f64_e32 v[143:144], v[143:144], v[139:140]
	ds_load_b128 v[137:140], v1 offset:1152
	v_fma_f64 v[131:132], v[131:132], v[22:23], v[145:146]
	v_fma_f64 v[129:130], v[129:130], v[22:23], -v[24:25]
	scratch_load_b128 v[22:25], off, off offset:640
	v_add_f64_e32 v[141:142], v[141:142], v[149:150]
	v_add_f64_e32 v[143:144], v[143:144], v[147:148]
	v_fma_f64 v[147:148], v[4:5], v[26:27], v[151:152]
	v_fma_f64 v[149:150], v[2:3], v[26:27], -v[28:29]
	ds_load_b128 v[2:5], v1 offset:1168
	s_wait_loadcnt_dscnt 0x901
	v_mul_f64_e32 v[145:146], v[137:138], v[32:33]
	v_mul_f64_e32 v[32:33], v[139:140], v[32:33]
	scratch_load_b128 v[26:29], off, off offset:656
	s_wait_loadcnt_dscnt 0x900
	v_mul_f64_e32 v[151:152], v[2:3], v[40:41]
	v_mul_f64_e32 v[40:41], v[4:5], v[40:41]
	v_add_f64_e32 v[141:142], v[141:142], v[129:130]
	v_add_f64_e32 v[143:144], v[143:144], v[131:132]
	ds_load_b128 v[129:132], v1 offset:1184
	v_fma_f64 v[139:140], v[139:140], v[30:31], v[145:146]
	v_fma_f64 v[30:31], v[137:138], v[30:31], -v[32:33]
	v_add_f64_e32 v[32:33], v[141:142], v[149:150]
	v_add_f64_e32 v[137:138], v[143:144], v[147:148]
	s_wait_loadcnt_dscnt 0x700
	v_mul_f64_e32 v[141:142], v[129:130], v[135:136]
	v_mul_f64_e32 v[135:136], v[131:132], v[135:136]
	v_fma_f64 v[143:144], v[4:5], v[38:39], v[151:152]
	v_fma_f64 v[38:39], v[2:3], v[38:39], -v[40:41]
	v_add_f64_e32 v[40:41], v[32:33], v[30:31]
	v_add_f64_e32 v[137:138], v[137:138], v[139:140]
	ds_load_b128 v[2:5], v1 offset:1200
	ds_load_b128 v[30:33], v1 offset:1216
	v_fma_f64 v[131:132], v[131:132], v[133:134], v[141:142]
	v_fma_f64 v[129:130], v[129:130], v[133:134], -v[135:136]
	s_wait_loadcnt_dscnt 0x601
	v_mul_f64_e32 v[139:140], v[2:3], v[36:37]
	v_mul_f64_e32 v[36:37], v[4:5], v[36:37]
	v_add_f64_e32 v[38:39], v[40:41], v[38:39]
	v_add_f64_e32 v[40:41], v[137:138], v[143:144]
	s_wait_loadcnt_dscnt 0x500
	v_mul_f64_e32 v[133:134], v[30:31], v[8:9]
	v_mul_f64_e32 v[8:9], v[32:33], v[8:9]
	v_fma_f64 v[135:136], v[4:5], v[34:35], v[139:140]
	v_fma_f64 v[137:138], v[2:3], v[34:35], -v[36:37]
	ds_load_b128 v[2:5], v1 offset:1232
	ds_load_b128 v[34:37], v1 offset:1248
	v_add_f64_e32 v[38:39], v[38:39], v[129:130]
	v_add_f64_e32 v[40:41], v[40:41], v[131:132]
	s_wait_loadcnt_dscnt 0x401
	v_mul_f64_e32 v[129:130], v[2:3], v[12:13]
	v_mul_f64_e32 v[12:13], v[4:5], v[12:13]
	v_fma_f64 v[32:33], v[32:33], v[6:7], v[133:134]
	v_fma_f64 v[6:7], v[30:31], v[6:7], -v[8:9]
	v_add_f64_e32 v[8:9], v[38:39], v[137:138]
	v_add_f64_e32 v[30:31], v[40:41], v[135:136]
	s_wait_loadcnt_dscnt 0x300
	v_mul_f64_e32 v[38:39], v[34:35], v[16:17]
	v_mul_f64_e32 v[16:17], v[36:37], v[16:17]
	v_fma_f64 v[40:41], v[4:5], v[10:11], v[129:130]
	v_fma_f64 v[10:11], v[2:3], v[10:11], -v[12:13]
	v_add_f64_e32 v[12:13], v[8:9], v[6:7]
	v_add_f64_e32 v[30:31], v[30:31], v[32:33]
	ds_load_b128 v[2:5], v1 offset:1264
	ds_load_b128 v[6:9], v1 offset:1280
	v_fma_f64 v[36:37], v[36:37], v[14:15], v[38:39]
	v_fma_f64 v[14:15], v[34:35], v[14:15], -v[16:17]
	s_wait_loadcnt_dscnt 0x201
	v_mul_f64_e32 v[32:33], v[2:3], v[20:21]
	v_mul_f64_e32 v[20:21], v[4:5], v[20:21]
	s_wait_loadcnt_dscnt 0x100
	v_mul_f64_e32 v[16:17], v[6:7], v[24:25]
	v_mul_f64_e32 v[24:25], v[8:9], v[24:25]
	v_add_f64_e32 v[10:11], v[12:13], v[10:11]
	v_add_f64_e32 v[12:13], v[30:31], v[40:41]
	v_fma_f64 v[30:31], v[4:5], v[18:19], v[32:33]
	v_fma_f64 v[18:19], v[2:3], v[18:19], -v[20:21]
	ds_load_b128 v[2:5], v1 offset:1296
	v_fma_f64 v[8:9], v[8:9], v[22:23], v[16:17]
	v_fma_f64 v[6:7], v[6:7], v[22:23], -v[24:25]
	v_add_f64_e32 v[10:11], v[10:11], v[14:15]
	v_add_f64_e32 v[12:13], v[12:13], v[36:37]
	s_wait_loadcnt_dscnt 0x0
	v_mul_f64_e32 v[14:15], v[2:3], v[28:29]
	v_mul_f64_e32 v[20:21], v[4:5], v[28:29]
	s_delay_alu instid0(VALU_DEP_4) | instskip(NEXT) | instid1(VALU_DEP_4)
	v_add_f64_e32 v[10:11], v[10:11], v[18:19]
	v_add_f64_e32 v[12:13], v[12:13], v[30:31]
	s_delay_alu instid0(VALU_DEP_4) | instskip(NEXT) | instid1(VALU_DEP_4)
	v_fma_f64 v[4:5], v[4:5], v[26:27], v[14:15]
	v_fma_f64 v[2:3], v[2:3], v[26:27], -v[20:21]
	s_delay_alu instid0(VALU_DEP_4) | instskip(NEXT) | instid1(VALU_DEP_4)
	v_add_f64_e32 v[6:7], v[10:11], v[6:7]
	v_add_f64_e32 v[8:9], v[12:13], v[8:9]
	s_delay_alu instid0(VALU_DEP_2) | instskip(NEXT) | instid1(VALU_DEP_2)
	v_add_f64_e32 v[2:3], v[6:7], v[2:3]
	v_add_f64_e32 v[4:5], v[8:9], v[4:5]
	s_delay_alu instid0(VALU_DEP_2) | instskip(NEXT) | instid1(VALU_DEP_2)
	v_add_f64_e64 v[2:3], v[42:43], -v[2:3]
	v_add_f64_e64 v[4:5], v[44:45], -v[4:5]
	scratch_store_b128 off, v[2:5], off offset:384
	v_cmpx_lt_u32_e32 22, v0
	s_cbranch_execz .LBB104_215
; %bb.214:
	scratch_load_b128 v[5:8], off, s18
	v_dual_mov_b32 v2, v1 :: v_dual_mov_b32 v3, v1
	v_mov_b32_e32 v4, v1
	scratch_store_b128 off, v[1:4], off offset:368
	s_wait_loadcnt 0x0
	ds_store_b128 v128, v[5:8]
.LBB104_215:
	s_wait_alu 0xfffe
	s_or_b32 exec_lo, exec_lo, s0
	s_wait_storecnt_dscnt 0x0
	s_barrier_signal -1
	s_barrier_wait -1
	global_inv scope:SCOPE_SE
	s_clause 0x8
	scratch_load_b128 v[2:5], off, off offset:384
	scratch_load_b128 v[6:9], off, off offset:400
	;; [unrolled: 1-line block ×9, first 2 shown]
	ds_load_b128 v[38:41], v1 offset:1024
	ds_load_b128 v[42:45], v1 offset:1040
	s_clause 0x1
	scratch_load_b128 v[129:132], off, off offset:368
	scratch_load_b128 v[133:136], off, off offset:528
	s_mov_b32 s0, exec_lo
	s_wait_loadcnt_dscnt 0xa01
	v_mul_f64_e32 v[137:138], v[40:41], v[4:5]
	v_mul_f64_e32 v[4:5], v[38:39], v[4:5]
	s_wait_loadcnt_dscnt 0x900
	v_mul_f64_e32 v[141:142], v[42:43], v[8:9]
	v_mul_f64_e32 v[8:9], v[44:45], v[8:9]
	s_delay_alu instid0(VALU_DEP_4) | instskip(NEXT) | instid1(VALU_DEP_4)
	v_fma_f64 v[143:144], v[38:39], v[2:3], -v[137:138]
	v_fma_f64 v[145:146], v[40:41], v[2:3], v[4:5]
	ds_load_b128 v[2:5], v1 offset:1056
	ds_load_b128 v[137:140], v1 offset:1072
	scratch_load_b128 v[38:41], off, off offset:544
	v_fma_f64 v[44:45], v[44:45], v[6:7], v[141:142]
	v_fma_f64 v[42:43], v[42:43], v[6:7], -v[8:9]
	scratch_load_b128 v[6:9], off, off offset:560
	s_wait_loadcnt_dscnt 0xa01
	v_mul_f64_e32 v[147:148], v[2:3], v[12:13]
	v_mul_f64_e32 v[12:13], v[4:5], v[12:13]
	v_add_f64_e32 v[141:142], 0, v[143:144]
	v_add_f64_e32 v[143:144], 0, v[145:146]
	s_wait_loadcnt_dscnt 0x900
	v_mul_f64_e32 v[145:146], v[137:138], v[16:17]
	v_mul_f64_e32 v[16:17], v[139:140], v[16:17]
	v_fma_f64 v[147:148], v[4:5], v[10:11], v[147:148]
	v_fma_f64 v[149:150], v[2:3], v[10:11], -v[12:13]
	ds_load_b128 v[2:5], v1 offset:1088
	scratch_load_b128 v[10:13], off, off offset:576
	v_add_f64_e32 v[141:142], v[141:142], v[42:43]
	v_add_f64_e32 v[143:144], v[143:144], v[44:45]
	ds_load_b128 v[42:45], v1 offset:1104
	v_fma_f64 v[139:140], v[139:140], v[14:15], v[145:146]
	v_fma_f64 v[137:138], v[137:138], v[14:15], -v[16:17]
	scratch_load_b128 v[14:17], off, off offset:592
	s_wait_loadcnt_dscnt 0xa01
	v_mul_f64_e32 v[151:152], v[2:3], v[20:21]
	v_mul_f64_e32 v[20:21], v[4:5], v[20:21]
	s_wait_loadcnt_dscnt 0x900
	v_mul_f64_e32 v[145:146], v[42:43], v[24:25]
	v_mul_f64_e32 v[24:25], v[44:45], v[24:25]
	v_add_f64_e32 v[141:142], v[141:142], v[149:150]
	v_add_f64_e32 v[143:144], v[143:144], v[147:148]
	v_fma_f64 v[147:148], v[4:5], v[18:19], v[151:152]
	v_fma_f64 v[149:150], v[2:3], v[18:19], -v[20:21]
	ds_load_b128 v[2:5], v1 offset:1120
	scratch_load_b128 v[18:21], off, off offset:608
	v_fma_f64 v[44:45], v[44:45], v[22:23], v[145:146]
	v_fma_f64 v[42:43], v[42:43], v[22:23], -v[24:25]
	scratch_load_b128 v[22:25], off, off offset:624
	v_add_f64_e32 v[141:142], v[141:142], v[137:138]
	v_add_f64_e32 v[143:144], v[143:144], v[139:140]
	ds_load_b128 v[137:140], v1 offset:1136
	s_wait_loadcnt_dscnt 0xa01
	v_mul_f64_e32 v[151:152], v[2:3], v[28:29]
	v_mul_f64_e32 v[28:29], v[4:5], v[28:29]
	s_wait_loadcnt_dscnt 0x900
	v_mul_f64_e32 v[145:146], v[137:138], v[32:33]
	v_mul_f64_e32 v[32:33], v[139:140], v[32:33]
	v_add_f64_e32 v[141:142], v[141:142], v[149:150]
	v_add_f64_e32 v[143:144], v[143:144], v[147:148]
	v_fma_f64 v[147:148], v[4:5], v[26:27], v[151:152]
	v_fma_f64 v[149:150], v[2:3], v[26:27], -v[28:29]
	ds_load_b128 v[2:5], v1 offset:1152
	scratch_load_b128 v[26:29], off, off offset:640
	v_fma_f64 v[139:140], v[139:140], v[30:31], v[145:146]
	v_fma_f64 v[137:138], v[137:138], v[30:31], -v[32:33]
	scratch_load_b128 v[30:33], off, off offset:656
	v_add_f64_e32 v[141:142], v[141:142], v[42:43]
	v_add_f64_e32 v[143:144], v[143:144], v[44:45]
	ds_load_b128 v[42:45], v1 offset:1168
	s_wait_loadcnt_dscnt 0xa01
	v_mul_f64_e32 v[151:152], v[2:3], v[36:37]
	v_mul_f64_e32 v[36:37], v[4:5], v[36:37]
	s_wait_loadcnt_dscnt 0x800
	v_mul_f64_e32 v[145:146], v[42:43], v[135:136]
	v_mul_f64_e32 v[135:136], v[44:45], v[135:136]
	v_add_f64_e32 v[141:142], v[141:142], v[149:150]
	v_add_f64_e32 v[143:144], v[143:144], v[147:148]
	v_fma_f64 v[147:148], v[4:5], v[34:35], v[151:152]
	v_fma_f64 v[149:150], v[2:3], v[34:35], -v[36:37]
	ds_load_b128 v[2:5], v1 offset:1184
	ds_load_b128 v[34:37], v1 offset:1200
	v_fma_f64 v[44:45], v[44:45], v[133:134], v[145:146]
	v_fma_f64 v[42:43], v[42:43], v[133:134], -v[135:136]
	v_add_f64_e32 v[137:138], v[141:142], v[137:138]
	v_add_f64_e32 v[139:140], v[143:144], v[139:140]
	s_wait_loadcnt_dscnt 0x701
	v_mul_f64_e32 v[141:142], v[2:3], v[40:41]
	v_mul_f64_e32 v[40:41], v[4:5], v[40:41]
	s_delay_alu instid0(VALU_DEP_4) | instskip(NEXT) | instid1(VALU_DEP_4)
	v_add_f64_e32 v[133:134], v[137:138], v[149:150]
	v_add_f64_e32 v[135:136], v[139:140], v[147:148]
	s_wait_loadcnt_dscnt 0x600
	v_mul_f64_e32 v[137:138], v[34:35], v[8:9]
	v_mul_f64_e32 v[8:9], v[36:37], v[8:9]
	v_fma_f64 v[139:140], v[4:5], v[38:39], v[141:142]
	v_fma_f64 v[141:142], v[2:3], v[38:39], -v[40:41]
	ds_load_b128 v[2:5], v1 offset:1216
	ds_load_b128 v[38:41], v1 offset:1232
	v_add_f64_e32 v[42:43], v[133:134], v[42:43]
	v_add_f64_e32 v[44:45], v[135:136], v[44:45]
	v_fma_f64 v[36:37], v[36:37], v[6:7], v[137:138]
	s_wait_loadcnt_dscnt 0x501
	v_mul_f64_e32 v[133:134], v[2:3], v[12:13]
	v_mul_f64_e32 v[12:13], v[4:5], v[12:13]
	v_fma_f64 v[6:7], v[34:35], v[6:7], -v[8:9]
	v_add_f64_e32 v[8:9], v[42:43], v[141:142]
	v_add_f64_e32 v[34:35], v[44:45], v[139:140]
	s_wait_loadcnt_dscnt 0x400
	v_mul_f64_e32 v[42:43], v[38:39], v[16:17]
	v_mul_f64_e32 v[16:17], v[40:41], v[16:17]
	v_fma_f64 v[44:45], v[4:5], v[10:11], v[133:134]
	v_fma_f64 v[10:11], v[2:3], v[10:11], -v[12:13]
	v_add_f64_e32 v[12:13], v[8:9], v[6:7]
	v_add_f64_e32 v[34:35], v[34:35], v[36:37]
	ds_load_b128 v[2:5], v1 offset:1248
	ds_load_b128 v[6:9], v1 offset:1264
	v_fma_f64 v[40:41], v[40:41], v[14:15], v[42:43]
	v_fma_f64 v[14:15], v[38:39], v[14:15], -v[16:17]
	s_wait_loadcnt_dscnt 0x301
	v_mul_f64_e32 v[36:37], v[2:3], v[20:21]
	v_mul_f64_e32 v[20:21], v[4:5], v[20:21]
	s_wait_loadcnt_dscnt 0x200
	v_mul_f64_e32 v[16:17], v[6:7], v[24:25]
	v_mul_f64_e32 v[24:25], v[8:9], v[24:25]
	v_add_f64_e32 v[10:11], v[12:13], v[10:11]
	v_add_f64_e32 v[12:13], v[34:35], v[44:45]
	v_fma_f64 v[34:35], v[4:5], v[18:19], v[36:37]
	v_fma_f64 v[18:19], v[2:3], v[18:19], -v[20:21]
	v_fma_f64 v[8:9], v[8:9], v[22:23], v[16:17]
	v_fma_f64 v[6:7], v[6:7], v[22:23], -v[24:25]
	v_add_f64_e32 v[14:15], v[10:11], v[14:15]
	v_add_f64_e32 v[20:21], v[12:13], v[40:41]
	ds_load_b128 v[2:5], v1 offset:1280
	ds_load_b128 v[10:13], v1 offset:1296
	s_wait_loadcnt_dscnt 0x101
	v_mul_f64_e32 v[36:37], v[2:3], v[28:29]
	v_mul_f64_e32 v[28:29], v[4:5], v[28:29]
	v_add_f64_e32 v[14:15], v[14:15], v[18:19]
	v_add_f64_e32 v[16:17], v[20:21], v[34:35]
	s_wait_loadcnt_dscnt 0x0
	v_mul_f64_e32 v[18:19], v[10:11], v[32:33]
	v_mul_f64_e32 v[20:21], v[12:13], v[32:33]
	v_fma_f64 v[4:5], v[4:5], v[26:27], v[36:37]
	v_fma_f64 v[1:2], v[2:3], v[26:27], -v[28:29]
	v_add_f64_e32 v[6:7], v[14:15], v[6:7]
	v_add_f64_e32 v[8:9], v[16:17], v[8:9]
	v_fma_f64 v[12:13], v[12:13], v[30:31], v[18:19]
	v_fma_f64 v[10:11], v[10:11], v[30:31], -v[20:21]
	s_delay_alu instid0(VALU_DEP_4) | instskip(NEXT) | instid1(VALU_DEP_4)
	v_add_f64_e32 v[1:2], v[6:7], v[1:2]
	v_add_f64_e32 v[3:4], v[8:9], v[4:5]
	s_delay_alu instid0(VALU_DEP_2) | instskip(NEXT) | instid1(VALU_DEP_2)
	v_add_f64_e32 v[1:2], v[1:2], v[10:11]
	v_add_f64_e32 v[3:4], v[3:4], v[12:13]
	s_delay_alu instid0(VALU_DEP_2) | instskip(NEXT) | instid1(VALU_DEP_2)
	v_add_f64_e64 v[1:2], v[129:130], -v[1:2]
	v_add_f64_e64 v[3:4], v[131:132], -v[3:4]
	scratch_store_b128 off, v[1:4], off offset:368
	v_cmpx_lt_u32_e32 21, v0
	s_cbranch_execz .LBB104_217
; %bb.216:
	scratch_load_b128 v[1:4], off, s38
	v_mov_b32_e32 v5, 0
	s_delay_alu instid0(VALU_DEP_1)
	v_dual_mov_b32 v6, v5 :: v_dual_mov_b32 v7, v5
	v_mov_b32_e32 v8, v5
	scratch_store_b128 off, v[5:8], off offset:352
	s_wait_loadcnt 0x0
	ds_store_b128 v128, v[1:4]
.LBB104_217:
	s_wait_alu 0xfffe
	s_or_b32 exec_lo, exec_lo, s0
	s_wait_storecnt_dscnt 0x0
	s_barrier_signal -1
	s_barrier_wait -1
	global_inv scope:SCOPE_SE
	s_clause 0x7
	scratch_load_b128 v[2:5], off, off offset:368
	scratch_load_b128 v[6:9], off, off offset:384
	;; [unrolled: 1-line block ×8, first 2 shown]
	v_mov_b32_e32 v1, 0
	s_mov_b32 s0, exec_lo
	ds_load_b128 v[34:37], v1 offset:1008
	s_clause 0x1
	scratch_load_b128 v[38:41], off, off offset:496
	scratch_load_b128 v[42:45], off, off offset:352
	ds_load_b128 v[129:132], v1 offset:1024
	scratch_load_b128 v[133:136], off, off offset:512
	s_wait_loadcnt_dscnt 0xa01
	v_mul_f64_e32 v[137:138], v[36:37], v[4:5]
	v_mul_f64_e32 v[4:5], v[34:35], v[4:5]
	s_delay_alu instid0(VALU_DEP_2) | instskip(NEXT) | instid1(VALU_DEP_2)
	v_fma_f64 v[143:144], v[34:35], v[2:3], -v[137:138]
	v_fma_f64 v[145:146], v[36:37], v[2:3], v[4:5]
	ds_load_b128 v[2:5], v1 offset:1040
	s_wait_loadcnt_dscnt 0x901
	v_mul_f64_e32 v[141:142], v[129:130], v[8:9]
	v_mul_f64_e32 v[8:9], v[131:132], v[8:9]
	scratch_load_b128 v[34:37], off, off offset:528
	ds_load_b128 v[137:140], v1 offset:1056
	s_wait_loadcnt_dscnt 0x901
	v_mul_f64_e32 v[147:148], v[2:3], v[12:13]
	v_mul_f64_e32 v[12:13], v[4:5], v[12:13]
	v_fma_f64 v[131:132], v[131:132], v[6:7], v[141:142]
	v_fma_f64 v[129:130], v[129:130], v[6:7], -v[8:9]
	v_add_f64_e32 v[141:142], 0, v[143:144]
	v_add_f64_e32 v[143:144], 0, v[145:146]
	scratch_load_b128 v[6:9], off, off offset:544
	v_fma_f64 v[147:148], v[4:5], v[10:11], v[147:148]
	v_fma_f64 v[149:150], v[2:3], v[10:11], -v[12:13]
	ds_load_b128 v[2:5], v1 offset:1072
	s_wait_loadcnt_dscnt 0x901
	v_mul_f64_e32 v[145:146], v[137:138], v[16:17]
	v_mul_f64_e32 v[16:17], v[139:140], v[16:17]
	scratch_load_b128 v[10:13], off, off offset:560
	v_add_f64_e32 v[141:142], v[141:142], v[129:130]
	v_add_f64_e32 v[143:144], v[143:144], v[131:132]
	s_wait_loadcnt_dscnt 0x900
	v_mul_f64_e32 v[151:152], v[2:3], v[20:21]
	v_mul_f64_e32 v[20:21], v[4:5], v[20:21]
	ds_load_b128 v[129:132], v1 offset:1088
	v_fma_f64 v[139:140], v[139:140], v[14:15], v[145:146]
	v_fma_f64 v[137:138], v[137:138], v[14:15], -v[16:17]
	scratch_load_b128 v[14:17], off, off offset:576
	v_add_f64_e32 v[141:142], v[141:142], v[149:150]
	v_add_f64_e32 v[143:144], v[143:144], v[147:148]
	v_fma_f64 v[147:148], v[4:5], v[18:19], v[151:152]
	v_fma_f64 v[149:150], v[2:3], v[18:19], -v[20:21]
	ds_load_b128 v[2:5], v1 offset:1104
	s_wait_loadcnt_dscnt 0x901
	v_mul_f64_e32 v[145:146], v[129:130], v[24:25]
	v_mul_f64_e32 v[24:25], v[131:132], v[24:25]
	scratch_load_b128 v[18:21], off, off offset:592
	s_wait_loadcnt_dscnt 0x900
	v_mul_f64_e32 v[151:152], v[2:3], v[28:29]
	v_mul_f64_e32 v[28:29], v[4:5], v[28:29]
	v_add_f64_e32 v[141:142], v[141:142], v[137:138]
	v_add_f64_e32 v[143:144], v[143:144], v[139:140]
	ds_load_b128 v[137:140], v1 offset:1120
	v_fma_f64 v[131:132], v[131:132], v[22:23], v[145:146]
	v_fma_f64 v[129:130], v[129:130], v[22:23], -v[24:25]
	scratch_load_b128 v[22:25], off, off offset:608
	v_add_f64_e32 v[141:142], v[141:142], v[149:150]
	v_add_f64_e32 v[143:144], v[143:144], v[147:148]
	v_fma_f64 v[147:148], v[4:5], v[26:27], v[151:152]
	v_fma_f64 v[149:150], v[2:3], v[26:27], -v[28:29]
	ds_load_b128 v[2:5], v1 offset:1136
	s_wait_loadcnt_dscnt 0x901
	v_mul_f64_e32 v[145:146], v[137:138], v[32:33]
	v_mul_f64_e32 v[32:33], v[139:140], v[32:33]
	scratch_load_b128 v[26:29], off, off offset:624
	s_wait_loadcnt_dscnt 0x900
	v_mul_f64_e32 v[151:152], v[2:3], v[40:41]
	v_mul_f64_e32 v[40:41], v[4:5], v[40:41]
	v_add_f64_e32 v[141:142], v[141:142], v[129:130]
	v_add_f64_e32 v[143:144], v[143:144], v[131:132]
	ds_load_b128 v[129:132], v1 offset:1152
	v_fma_f64 v[139:140], v[139:140], v[30:31], v[145:146]
	v_fma_f64 v[137:138], v[137:138], v[30:31], -v[32:33]
	scratch_load_b128 v[30:33], off, off offset:640
	v_add_f64_e32 v[141:142], v[141:142], v[149:150]
	v_add_f64_e32 v[143:144], v[143:144], v[147:148]
	v_fma_f64 v[149:150], v[4:5], v[38:39], v[151:152]
	v_fma_f64 v[151:152], v[2:3], v[38:39], -v[40:41]
	ds_load_b128 v[2:5], v1 offset:1168
	s_wait_loadcnt_dscnt 0x801
	v_mul_f64_e32 v[145:146], v[129:130], v[135:136]
	v_mul_f64_e32 v[147:148], v[131:132], v[135:136]
	scratch_load_b128 v[38:41], off, off offset:656
	v_add_f64_e32 v[141:142], v[141:142], v[137:138]
	v_add_f64_e32 v[139:140], v[143:144], v[139:140]
	ds_load_b128 v[135:138], v1 offset:1184
	v_fma_f64 v[131:132], v[131:132], v[133:134], v[145:146]
	v_fma_f64 v[129:130], v[129:130], v[133:134], -v[147:148]
	s_wait_loadcnt_dscnt 0x801
	v_mul_f64_e32 v[143:144], v[2:3], v[36:37]
	v_mul_f64_e32 v[36:37], v[4:5], v[36:37]
	v_add_f64_e32 v[133:134], v[141:142], v[151:152]
	v_add_f64_e32 v[139:140], v[139:140], v[149:150]
	s_delay_alu instid0(VALU_DEP_4) | instskip(NEXT) | instid1(VALU_DEP_4)
	v_fma_f64 v[143:144], v[4:5], v[34:35], v[143:144]
	v_fma_f64 v[145:146], v[2:3], v[34:35], -v[36:37]
	s_wait_loadcnt_dscnt 0x700
	v_mul_f64_e32 v[141:142], v[135:136], v[8:9]
	v_mul_f64_e32 v[8:9], v[137:138], v[8:9]
	ds_load_b128 v[2:5], v1 offset:1200
	ds_load_b128 v[34:37], v1 offset:1216
	v_add_f64_e32 v[129:130], v[133:134], v[129:130]
	v_add_f64_e32 v[131:132], v[139:140], v[131:132]
	s_wait_loadcnt_dscnt 0x601
	v_mul_f64_e32 v[133:134], v[2:3], v[12:13]
	v_mul_f64_e32 v[12:13], v[4:5], v[12:13]
	v_fma_f64 v[137:138], v[137:138], v[6:7], v[141:142]
	v_fma_f64 v[6:7], v[135:136], v[6:7], -v[8:9]
	v_add_f64_e32 v[8:9], v[129:130], v[145:146]
	v_add_f64_e32 v[129:130], v[131:132], v[143:144]
	s_wait_loadcnt_dscnt 0x500
	v_mul_f64_e32 v[131:132], v[34:35], v[16:17]
	v_mul_f64_e32 v[16:17], v[36:37], v[16:17]
	v_fma_f64 v[133:134], v[4:5], v[10:11], v[133:134]
	v_fma_f64 v[10:11], v[2:3], v[10:11], -v[12:13]
	v_add_f64_e32 v[12:13], v[8:9], v[6:7]
	v_add_f64_e32 v[129:130], v[129:130], v[137:138]
	ds_load_b128 v[2:5], v1 offset:1232
	ds_load_b128 v[6:9], v1 offset:1248
	v_fma_f64 v[36:37], v[36:37], v[14:15], v[131:132]
	v_fma_f64 v[14:15], v[34:35], v[14:15], -v[16:17]
	s_wait_loadcnt_dscnt 0x401
	v_mul_f64_e32 v[135:136], v[2:3], v[20:21]
	v_mul_f64_e32 v[20:21], v[4:5], v[20:21]
	s_wait_loadcnt_dscnt 0x300
	v_mul_f64_e32 v[16:17], v[6:7], v[24:25]
	v_mul_f64_e32 v[24:25], v[8:9], v[24:25]
	v_add_f64_e32 v[10:11], v[12:13], v[10:11]
	v_add_f64_e32 v[12:13], v[129:130], v[133:134]
	v_fma_f64 v[34:35], v[4:5], v[18:19], v[135:136]
	v_fma_f64 v[18:19], v[2:3], v[18:19], -v[20:21]
	v_fma_f64 v[8:9], v[8:9], v[22:23], v[16:17]
	v_fma_f64 v[6:7], v[6:7], v[22:23], -v[24:25]
	v_add_f64_e32 v[14:15], v[10:11], v[14:15]
	v_add_f64_e32 v[20:21], v[12:13], v[36:37]
	ds_load_b128 v[2:5], v1 offset:1264
	ds_load_b128 v[10:13], v1 offset:1280
	s_wait_loadcnt_dscnt 0x201
	v_mul_f64_e32 v[36:37], v[2:3], v[28:29]
	v_mul_f64_e32 v[28:29], v[4:5], v[28:29]
	v_add_f64_e32 v[14:15], v[14:15], v[18:19]
	v_add_f64_e32 v[16:17], v[20:21], v[34:35]
	s_wait_loadcnt_dscnt 0x100
	v_mul_f64_e32 v[18:19], v[10:11], v[32:33]
	v_mul_f64_e32 v[20:21], v[12:13], v[32:33]
	v_fma_f64 v[22:23], v[4:5], v[26:27], v[36:37]
	v_fma_f64 v[24:25], v[2:3], v[26:27], -v[28:29]
	ds_load_b128 v[2:5], v1 offset:1296
	v_add_f64_e32 v[6:7], v[14:15], v[6:7]
	v_add_f64_e32 v[8:9], v[16:17], v[8:9]
	v_fma_f64 v[12:13], v[12:13], v[30:31], v[18:19]
	v_fma_f64 v[10:11], v[10:11], v[30:31], -v[20:21]
	s_wait_loadcnt_dscnt 0x0
	v_mul_f64_e32 v[14:15], v[2:3], v[40:41]
	v_mul_f64_e32 v[16:17], v[4:5], v[40:41]
	v_add_f64_e32 v[6:7], v[6:7], v[24:25]
	v_add_f64_e32 v[8:9], v[8:9], v[22:23]
	s_delay_alu instid0(VALU_DEP_4) | instskip(NEXT) | instid1(VALU_DEP_4)
	v_fma_f64 v[4:5], v[4:5], v[38:39], v[14:15]
	v_fma_f64 v[2:3], v[2:3], v[38:39], -v[16:17]
	s_delay_alu instid0(VALU_DEP_4) | instskip(NEXT) | instid1(VALU_DEP_4)
	v_add_f64_e32 v[6:7], v[6:7], v[10:11]
	v_add_f64_e32 v[8:9], v[8:9], v[12:13]
	s_delay_alu instid0(VALU_DEP_2) | instskip(NEXT) | instid1(VALU_DEP_2)
	v_add_f64_e32 v[2:3], v[6:7], v[2:3]
	v_add_f64_e32 v[4:5], v[8:9], v[4:5]
	s_delay_alu instid0(VALU_DEP_2) | instskip(NEXT) | instid1(VALU_DEP_2)
	v_add_f64_e64 v[2:3], v[42:43], -v[2:3]
	v_add_f64_e64 v[4:5], v[44:45], -v[4:5]
	scratch_store_b128 off, v[2:5], off offset:352
	v_cmpx_lt_u32_e32 20, v0
	s_cbranch_execz .LBB104_219
; %bb.218:
	scratch_load_b128 v[5:8], off, s17
	v_dual_mov_b32 v2, v1 :: v_dual_mov_b32 v3, v1
	v_mov_b32_e32 v4, v1
	scratch_store_b128 off, v[1:4], off offset:336
	s_wait_loadcnt 0x0
	ds_store_b128 v128, v[5:8]
.LBB104_219:
	s_wait_alu 0xfffe
	s_or_b32 exec_lo, exec_lo, s0
	s_wait_storecnt_dscnt 0x0
	s_barrier_signal -1
	s_barrier_wait -1
	global_inv scope:SCOPE_SE
	s_clause 0x8
	scratch_load_b128 v[2:5], off, off offset:352
	scratch_load_b128 v[6:9], off, off offset:368
	;; [unrolled: 1-line block ×9, first 2 shown]
	ds_load_b128 v[38:41], v1 offset:992
	ds_load_b128 v[42:45], v1 offset:1008
	s_clause 0x1
	scratch_load_b128 v[129:132], off, off offset:336
	scratch_load_b128 v[133:136], off, off offset:496
	s_mov_b32 s0, exec_lo
	s_wait_loadcnt_dscnt 0xa01
	v_mul_f64_e32 v[137:138], v[40:41], v[4:5]
	v_mul_f64_e32 v[4:5], v[38:39], v[4:5]
	s_wait_loadcnt_dscnt 0x900
	v_mul_f64_e32 v[141:142], v[42:43], v[8:9]
	v_mul_f64_e32 v[8:9], v[44:45], v[8:9]
	s_delay_alu instid0(VALU_DEP_4) | instskip(NEXT) | instid1(VALU_DEP_4)
	v_fma_f64 v[143:144], v[38:39], v[2:3], -v[137:138]
	v_fma_f64 v[145:146], v[40:41], v[2:3], v[4:5]
	ds_load_b128 v[2:5], v1 offset:1024
	ds_load_b128 v[137:140], v1 offset:1040
	scratch_load_b128 v[38:41], off, off offset:512
	v_fma_f64 v[44:45], v[44:45], v[6:7], v[141:142]
	v_fma_f64 v[42:43], v[42:43], v[6:7], -v[8:9]
	scratch_load_b128 v[6:9], off, off offset:528
	s_wait_loadcnt_dscnt 0xa01
	v_mul_f64_e32 v[147:148], v[2:3], v[12:13]
	v_mul_f64_e32 v[12:13], v[4:5], v[12:13]
	v_add_f64_e32 v[141:142], 0, v[143:144]
	v_add_f64_e32 v[143:144], 0, v[145:146]
	s_wait_loadcnt_dscnt 0x900
	v_mul_f64_e32 v[145:146], v[137:138], v[16:17]
	v_mul_f64_e32 v[16:17], v[139:140], v[16:17]
	v_fma_f64 v[147:148], v[4:5], v[10:11], v[147:148]
	v_fma_f64 v[149:150], v[2:3], v[10:11], -v[12:13]
	ds_load_b128 v[2:5], v1 offset:1056
	scratch_load_b128 v[10:13], off, off offset:544
	v_add_f64_e32 v[141:142], v[141:142], v[42:43]
	v_add_f64_e32 v[143:144], v[143:144], v[44:45]
	ds_load_b128 v[42:45], v1 offset:1072
	v_fma_f64 v[139:140], v[139:140], v[14:15], v[145:146]
	v_fma_f64 v[137:138], v[137:138], v[14:15], -v[16:17]
	scratch_load_b128 v[14:17], off, off offset:560
	s_wait_loadcnt_dscnt 0xa01
	v_mul_f64_e32 v[151:152], v[2:3], v[20:21]
	v_mul_f64_e32 v[20:21], v[4:5], v[20:21]
	s_wait_loadcnt_dscnt 0x900
	v_mul_f64_e32 v[145:146], v[42:43], v[24:25]
	v_mul_f64_e32 v[24:25], v[44:45], v[24:25]
	v_add_f64_e32 v[141:142], v[141:142], v[149:150]
	v_add_f64_e32 v[143:144], v[143:144], v[147:148]
	v_fma_f64 v[147:148], v[4:5], v[18:19], v[151:152]
	v_fma_f64 v[149:150], v[2:3], v[18:19], -v[20:21]
	ds_load_b128 v[2:5], v1 offset:1088
	scratch_load_b128 v[18:21], off, off offset:576
	v_fma_f64 v[44:45], v[44:45], v[22:23], v[145:146]
	v_fma_f64 v[42:43], v[42:43], v[22:23], -v[24:25]
	scratch_load_b128 v[22:25], off, off offset:592
	v_add_f64_e32 v[141:142], v[141:142], v[137:138]
	v_add_f64_e32 v[143:144], v[143:144], v[139:140]
	ds_load_b128 v[137:140], v1 offset:1104
	s_wait_loadcnt_dscnt 0xa01
	v_mul_f64_e32 v[151:152], v[2:3], v[28:29]
	v_mul_f64_e32 v[28:29], v[4:5], v[28:29]
	s_wait_loadcnt_dscnt 0x900
	v_mul_f64_e32 v[145:146], v[137:138], v[32:33]
	v_mul_f64_e32 v[32:33], v[139:140], v[32:33]
	v_add_f64_e32 v[141:142], v[141:142], v[149:150]
	v_add_f64_e32 v[143:144], v[143:144], v[147:148]
	v_fma_f64 v[147:148], v[4:5], v[26:27], v[151:152]
	v_fma_f64 v[149:150], v[2:3], v[26:27], -v[28:29]
	ds_load_b128 v[2:5], v1 offset:1120
	scratch_load_b128 v[26:29], off, off offset:608
	v_fma_f64 v[139:140], v[139:140], v[30:31], v[145:146]
	v_fma_f64 v[137:138], v[137:138], v[30:31], -v[32:33]
	scratch_load_b128 v[30:33], off, off offset:624
	v_add_f64_e32 v[141:142], v[141:142], v[42:43]
	v_add_f64_e32 v[143:144], v[143:144], v[44:45]
	ds_load_b128 v[42:45], v1 offset:1136
	s_wait_loadcnt_dscnt 0xa01
	v_mul_f64_e32 v[151:152], v[2:3], v[36:37]
	v_mul_f64_e32 v[36:37], v[4:5], v[36:37]
	s_wait_loadcnt_dscnt 0x800
	v_mul_f64_e32 v[145:146], v[42:43], v[135:136]
	v_add_f64_e32 v[141:142], v[141:142], v[149:150]
	v_add_f64_e32 v[143:144], v[143:144], v[147:148]
	v_mul_f64_e32 v[147:148], v[44:45], v[135:136]
	v_fma_f64 v[149:150], v[4:5], v[34:35], v[151:152]
	v_fma_f64 v[151:152], v[2:3], v[34:35], -v[36:37]
	ds_load_b128 v[2:5], v1 offset:1152
	scratch_load_b128 v[34:37], off, off offset:640
	v_fma_f64 v[44:45], v[44:45], v[133:134], v[145:146]
	v_add_f64_e32 v[141:142], v[141:142], v[137:138]
	v_add_f64_e32 v[139:140], v[143:144], v[139:140]
	ds_load_b128 v[135:138], v1 offset:1168
	v_fma_f64 v[133:134], v[42:43], v[133:134], -v[147:148]
	s_wait_loadcnt_dscnt 0x801
	v_mul_f64_e32 v[143:144], v[2:3], v[40:41]
	v_mul_f64_e32 v[153:154], v[4:5], v[40:41]
	scratch_load_b128 v[40:43], off, off offset:656
	s_wait_loadcnt_dscnt 0x800
	v_mul_f64_e32 v[145:146], v[135:136], v[8:9]
	v_mul_f64_e32 v[8:9], v[137:138], v[8:9]
	v_add_f64_e32 v[141:142], v[141:142], v[151:152]
	v_add_f64_e32 v[139:140], v[139:140], v[149:150]
	v_fma_f64 v[143:144], v[4:5], v[38:39], v[143:144]
	v_fma_f64 v[38:39], v[2:3], v[38:39], -v[153:154]
	v_fma_f64 v[137:138], v[137:138], v[6:7], v[145:146]
	v_fma_f64 v[6:7], v[135:136], v[6:7], -v[8:9]
	v_add_f64_e32 v[133:134], v[141:142], v[133:134]
	v_add_f64_e32 v[44:45], v[139:140], v[44:45]
	ds_load_b128 v[2:5], v1 offset:1184
	ds_load_b128 v[139:142], v1 offset:1200
	s_wait_loadcnt_dscnt 0x701
	v_mul_f64_e32 v[147:148], v[2:3], v[12:13]
	v_mul_f64_e32 v[12:13], v[4:5], v[12:13]
	v_add_f64_e32 v[8:9], v[133:134], v[38:39]
	v_add_f64_e32 v[38:39], v[44:45], v[143:144]
	s_wait_loadcnt_dscnt 0x600
	v_mul_f64_e32 v[44:45], v[139:140], v[16:17]
	v_mul_f64_e32 v[16:17], v[141:142], v[16:17]
	v_fma_f64 v[133:134], v[4:5], v[10:11], v[147:148]
	v_fma_f64 v[10:11], v[2:3], v[10:11], -v[12:13]
	v_add_f64_e32 v[12:13], v[8:9], v[6:7]
	v_add_f64_e32 v[38:39], v[38:39], v[137:138]
	ds_load_b128 v[2:5], v1 offset:1216
	ds_load_b128 v[6:9], v1 offset:1232
	v_fma_f64 v[44:45], v[141:142], v[14:15], v[44:45]
	v_fma_f64 v[14:15], v[139:140], v[14:15], -v[16:17]
	s_wait_loadcnt_dscnt 0x501
	v_mul_f64_e32 v[135:136], v[2:3], v[20:21]
	v_mul_f64_e32 v[20:21], v[4:5], v[20:21]
	s_wait_loadcnt_dscnt 0x400
	v_mul_f64_e32 v[16:17], v[6:7], v[24:25]
	v_mul_f64_e32 v[24:25], v[8:9], v[24:25]
	v_add_f64_e32 v[10:11], v[12:13], v[10:11]
	v_add_f64_e32 v[12:13], v[38:39], v[133:134]
	v_fma_f64 v[38:39], v[4:5], v[18:19], v[135:136]
	v_fma_f64 v[18:19], v[2:3], v[18:19], -v[20:21]
	v_fma_f64 v[8:9], v[8:9], v[22:23], v[16:17]
	v_fma_f64 v[6:7], v[6:7], v[22:23], -v[24:25]
	v_add_f64_e32 v[14:15], v[10:11], v[14:15]
	v_add_f64_e32 v[20:21], v[12:13], v[44:45]
	ds_load_b128 v[2:5], v1 offset:1248
	ds_load_b128 v[10:13], v1 offset:1264
	s_wait_loadcnt_dscnt 0x301
	v_mul_f64_e32 v[44:45], v[2:3], v[28:29]
	v_mul_f64_e32 v[28:29], v[4:5], v[28:29]
	v_add_f64_e32 v[14:15], v[14:15], v[18:19]
	v_add_f64_e32 v[16:17], v[20:21], v[38:39]
	s_wait_loadcnt_dscnt 0x200
	v_mul_f64_e32 v[18:19], v[10:11], v[32:33]
	v_mul_f64_e32 v[20:21], v[12:13], v[32:33]
	v_fma_f64 v[22:23], v[4:5], v[26:27], v[44:45]
	v_fma_f64 v[24:25], v[2:3], v[26:27], -v[28:29]
	v_add_f64_e32 v[14:15], v[14:15], v[6:7]
	v_add_f64_e32 v[16:17], v[16:17], v[8:9]
	ds_load_b128 v[2:5], v1 offset:1280
	ds_load_b128 v[6:9], v1 offset:1296
	v_fma_f64 v[12:13], v[12:13], v[30:31], v[18:19]
	v_fma_f64 v[10:11], v[10:11], v[30:31], -v[20:21]
	s_wait_loadcnt_dscnt 0x101
	v_mul_f64_e32 v[26:27], v[2:3], v[36:37]
	v_mul_f64_e32 v[28:29], v[4:5], v[36:37]
	s_wait_loadcnt_dscnt 0x0
	v_mul_f64_e32 v[18:19], v[6:7], v[42:43]
	v_add_f64_e32 v[14:15], v[14:15], v[24:25]
	v_add_f64_e32 v[16:17], v[16:17], v[22:23]
	v_mul_f64_e32 v[20:21], v[8:9], v[42:43]
	v_fma_f64 v[4:5], v[4:5], v[34:35], v[26:27]
	v_fma_f64 v[1:2], v[2:3], v[34:35], -v[28:29]
	v_fma_f64 v[8:9], v[8:9], v[40:41], v[18:19]
	v_add_f64_e32 v[10:11], v[14:15], v[10:11]
	v_add_f64_e32 v[12:13], v[16:17], v[12:13]
	v_fma_f64 v[6:7], v[6:7], v[40:41], -v[20:21]
	s_delay_alu instid0(VALU_DEP_3) | instskip(NEXT) | instid1(VALU_DEP_3)
	v_add_f64_e32 v[1:2], v[10:11], v[1:2]
	v_add_f64_e32 v[3:4], v[12:13], v[4:5]
	s_delay_alu instid0(VALU_DEP_2) | instskip(NEXT) | instid1(VALU_DEP_2)
	v_add_f64_e32 v[1:2], v[1:2], v[6:7]
	v_add_f64_e32 v[3:4], v[3:4], v[8:9]
	s_delay_alu instid0(VALU_DEP_2) | instskip(NEXT) | instid1(VALU_DEP_2)
	v_add_f64_e64 v[1:2], v[129:130], -v[1:2]
	v_add_f64_e64 v[3:4], v[131:132], -v[3:4]
	scratch_store_b128 off, v[1:4], off offset:336
	v_cmpx_lt_u32_e32 19, v0
	s_cbranch_execz .LBB104_221
; %bb.220:
	scratch_load_b128 v[1:4], off, s37
	v_mov_b32_e32 v5, 0
	s_delay_alu instid0(VALU_DEP_1)
	v_dual_mov_b32 v6, v5 :: v_dual_mov_b32 v7, v5
	v_mov_b32_e32 v8, v5
	scratch_store_b128 off, v[5:8], off offset:320
	s_wait_loadcnt 0x0
	ds_store_b128 v128, v[1:4]
.LBB104_221:
	s_wait_alu 0xfffe
	s_or_b32 exec_lo, exec_lo, s0
	s_wait_storecnt_dscnt 0x0
	s_barrier_signal -1
	s_barrier_wait -1
	global_inv scope:SCOPE_SE
	s_clause 0x7
	scratch_load_b128 v[2:5], off, off offset:336
	scratch_load_b128 v[6:9], off, off offset:352
	;; [unrolled: 1-line block ×8, first 2 shown]
	v_mov_b32_e32 v1, 0
	s_mov_b32 s0, exec_lo
	ds_load_b128 v[34:37], v1 offset:976
	s_clause 0x1
	scratch_load_b128 v[38:41], off, off offset:464
	scratch_load_b128 v[42:45], off, off offset:320
	ds_load_b128 v[129:132], v1 offset:992
	scratch_load_b128 v[133:136], off, off offset:480
	s_wait_loadcnt_dscnt 0xa01
	v_mul_f64_e32 v[137:138], v[36:37], v[4:5]
	v_mul_f64_e32 v[4:5], v[34:35], v[4:5]
	s_delay_alu instid0(VALU_DEP_2) | instskip(NEXT) | instid1(VALU_DEP_2)
	v_fma_f64 v[143:144], v[34:35], v[2:3], -v[137:138]
	v_fma_f64 v[145:146], v[36:37], v[2:3], v[4:5]
	ds_load_b128 v[2:5], v1 offset:1008
	s_wait_loadcnt_dscnt 0x901
	v_mul_f64_e32 v[141:142], v[129:130], v[8:9]
	v_mul_f64_e32 v[8:9], v[131:132], v[8:9]
	scratch_load_b128 v[34:37], off, off offset:496
	ds_load_b128 v[137:140], v1 offset:1024
	s_wait_loadcnt_dscnt 0x901
	v_mul_f64_e32 v[147:148], v[2:3], v[12:13]
	v_mul_f64_e32 v[12:13], v[4:5], v[12:13]
	v_fma_f64 v[131:132], v[131:132], v[6:7], v[141:142]
	v_fma_f64 v[129:130], v[129:130], v[6:7], -v[8:9]
	v_add_f64_e32 v[141:142], 0, v[143:144]
	v_add_f64_e32 v[143:144], 0, v[145:146]
	scratch_load_b128 v[6:9], off, off offset:512
	v_fma_f64 v[147:148], v[4:5], v[10:11], v[147:148]
	v_fma_f64 v[149:150], v[2:3], v[10:11], -v[12:13]
	ds_load_b128 v[2:5], v1 offset:1040
	s_wait_loadcnt_dscnt 0x901
	v_mul_f64_e32 v[145:146], v[137:138], v[16:17]
	v_mul_f64_e32 v[16:17], v[139:140], v[16:17]
	scratch_load_b128 v[10:13], off, off offset:528
	v_add_f64_e32 v[141:142], v[141:142], v[129:130]
	v_add_f64_e32 v[143:144], v[143:144], v[131:132]
	s_wait_loadcnt_dscnt 0x900
	v_mul_f64_e32 v[151:152], v[2:3], v[20:21]
	v_mul_f64_e32 v[20:21], v[4:5], v[20:21]
	ds_load_b128 v[129:132], v1 offset:1056
	v_fma_f64 v[139:140], v[139:140], v[14:15], v[145:146]
	v_fma_f64 v[137:138], v[137:138], v[14:15], -v[16:17]
	scratch_load_b128 v[14:17], off, off offset:544
	v_add_f64_e32 v[141:142], v[141:142], v[149:150]
	v_add_f64_e32 v[143:144], v[143:144], v[147:148]
	v_fma_f64 v[147:148], v[4:5], v[18:19], v[151:152]
	v_fma_f64 v[149:150], v[2:3], v[18:19], -v[20:21]
	ds_load_b128 v[2:5], v1 offset:1072
	s_wait_loadcnt_dscnt 0x901
	v_mul_f64_e32 v[145:146], v[129:130], v[24:25]
	v_mul_f64_e32 v[24:25], v[131:132], v[24:25]
	scratch_load_b128 v[18:21], off, off offset:560
	s_wait_loadcnt_dscnt 0x900
	v_mul_f64_e32 v[151:152], v[2:3], v[28:29]
	v_mul_f64_e32 v[28:29], v[4:5], v[28:29]
	v_add_f64_e32 v[141:142], v[141:142], v[137:138]
	v_add_f64_e32 v[143:144], v[143:144], v[139:140]
	ds_load_b128 v[137:140], v1 offset:1088
	v_fma_f64 v[131:132], v[131:132], v[22:23], v[145:146]
	v_fma_f64 v[129:130], v[129:130], v[22:23], -v[24:25]
	scratch_load_b128 v[22:25], off, off offset:576
	v_add_f64_e32 v[141:142], v[141:142], v[149:150]
	v_add_f64_e32 v[143:144], v[143:144], v[147:148]
	v_fma_f64 v[147:148], v[4:5], v[26:27], v[151:152]
	v_fma_f64 v[149:150], v[2:3], v[26:27], -v[28:29]
	ds_load_b128 v[2:5], v1 offset:1104
	s_wait_loadcnt_dscnt 0x901
	v_mul_f64_e32 v[145:146], v[137:138], v[32:33]
	v_mul_f64_e32 v[32:33], v[139:140], v[32:33]
	scratch_load_b128 v[26:29], off, off offset:592
	s_wait_loadcnt_dscnt 0x900
	v_mul_f64_e32 v[151:152], v[2:3], v[40:41]
	v_mul_f64_e32 v[40:41], v[4:5], v[40:41]
	v_add_f64_e32 v[141:142], v[141:142], v[129:130]
	v_add_f64_e32 v[143:144], v[143:144], v[131:132]
	ds_load_b128 v[129:132], v1 offset:1120
	v_fma_f64 v[139:140], v[139:140], v[30:31], v[145:146]
	v_fma_f64 v[137:138], v[137:138], v[30:31], -v[32:33]
	scratch_load_b128 v[30:33], off, off offset:608
	v_add_f64_e32 v[141:142], v[141:142], v[149:150]
	v_add_f64_e32 v[143:144], v[143:144], v[147:148]
	v_fma_f64 v[149:150], v[4:5], v[38:39], v[151:152]
	v_fma_f64 v[151:152], v[2:3], v[38:39], -v[40:41]
	ds_load_b128 v[2:5], v1 offset:1136
	s_wait_loadcnt_dscnt 0x801
	v_mul_f64_e32 v[145:146], v[129:130], v[135:136]
	v_mul_f64_e32 v[147:148], v[131:132], v[135:136]
	scratch_load_b128 v[38:41], off, off offset:624
	v_add_f64_e32 v[141:142], v[141:142], v[137:138]
	v_add_f64_e32 v[139:140], v[143:144], v[139:140]
	ds_load_b128 v[135:138], v1 offset:1152
	v_fma_f64 v[145:146], v[131:132], v[133:134], v[145:146]
	v_fma_f64 v[133:134], v[129:130], v[133:134], -v[147:148]
	scratch_load_b128 v[129:132], off, off offset:640
	s_wait_loadcnt_dscnt 0x901
	v_mul_f64_e32 v[143:144], v[2:3], v[36:37]
	v_mul_f64_e32 v[36:37], v[4:5], v[36:37]
	v_add_f64_e32 v[141:142], v[141:142], v[151:152]
	v_add_f64_e32 v[139:140], v[139:140], v[149:150]
	s_delay_alu instid0(VALU_DEP_4) | instskip(NEXT) | instid1(VALU_DEP_4)
	v_fma_f64 v[143:144], v[4:5], v[34:35], v[143:144]
	v_fma_f64 v[149:150], v[2:3], v[34:35], -v[36:37]
	ds_load_b128 v[2:5], v1 offset:1168
	s_wait_loadcnt_dscnt 0x801
	v_mul_f64_e32 v[147:148], v[135:136], v[8:9]
	v_mul_f64_e32 v[8:9], v[137:138], v[8:9]
	scratch_load_b128 v[34:37], off, off offset:656
	s_wait_loadcnt_dscnt 0x800
	v_mul_f64_e32 v[151:152], v[2:3], v[12:13]
	v_add_f64_e32 v[133:134], v[141:142], v[133:134]
	v_add_f64_e32 v[145:146], v[139:140], v[145:146]
	v_mul_f64_e32 v[12:13], v[4:5], v[12:13]
	ds_load_b128 v[139:142], v1 offset:1184
	v_fma_f64 v[137:138], v[137:138], v[6:7], v[147:148]
	v_fma_f64 v[6:7], v[135:136], v[6:7], -v[8:9]
	s_wait_loadcnt_dscnt 0x700
	v_mul_f64_e32 v[135:136], v[139:140], v[16:17]
	v_add_f64_e32 v[8:9], v[133:134], v[149:150]
	v_add_f64_e32 v[133:134], v[145:146], v[143:144]
	v_mul_f64_e32 v[16:17], v[141:142], v[16:17]
	v_fma_f64 v[143:144], v[4:5], v[10:11], v[151:152]
	v_fma_f64 v[10:11], v[2:3], v[10:11], -v[12:13]
	v_fma_f64 v[135:136], v[141:142], v[14:15], v[135:136]
	v_add_f64_e32 v[12:13], v[8:9], v[6:7]
	v_add_f64_e32 v[133:134], v[133:134], v[137:138]
	ds_load_b128 v[2:5], v1 offset:1200
	ds_load_b128 v[6:9], v1 offset:1216
	v_fma_f64 v[14:15], v[139:140], v[14:15], -v[16:17]
	s_wait_loadcnt_dscnt 0x601
	v_mul_f64_e32 v[137:138], v[2:3], v[20:21]
	v_mul_f64_e32 v[20:21], v[4:5], v[20:21]
	s_wait_loadcnt_dscnt 0x500
	v_mul_f64_e32 v[16:17], v[6:7], v[24:25]
	v_mul_f64_e32 v[24:25], v[8:9], v[24:25]
	v_add_f64_e32 v[10:11], v[12:13], v[10:11]
	v_add_f64_e32 v[12:13], v[133:134], v[143:144]
	v_fma_f64 v[133:134], v[4:5], v[18:19], v[137:138]
	v_fma_f64 v[18:19], v[2:3], v[18:19], -v[20:21]
	v_fma_f64 v[8:9], v[8:9], v[22:23], v[16:17]
	v_fma_f64 v[6:7], v[6:7], v[22:23], -v[24:25]
	v_add_f64_e32 v[14:15], v[10:11], v[14:15]
	v_add_f64_e32 v[20:21], v[12:13], v[135:136]
	ds_load_b128 v[2:5], v1 offset:1232
	ds_load_b128 v[10:13], v1 offset:1248
	s_wait_loadcnt_dscnt 0x401
	v_mul_f64_e32 v[135:136], v[2:3], v[28:29]
	v_mul_f64_e32 v[28:29], v[4:5], v[28:29]
	v_add_f64_e32 v[14:15], v[14:15], v[18:19]
	v_add_f64_e32 v[16:17], v[20:21], v[133:134]
	s_wait_loadcnt_dscnt 0x300
	v_mul_f64_e32 v[18:19], v[10:11], v[32:33]
	v_mul_f64_e32 v[20:21], v[12:13], v[32:33]
	v_fma_f64 v[22:23], v[4:5], v[26:27], v[135:136]
	v_fma_f64 v[24:25], v[2:3], v[26:27], -v[28:29]
	v_add_f64_e32 v[14:15], v[14:15], v[6:7]
	v_add_f64_e32 v[16:17], v[16:17], v[8:9]
	ds_load_b128 v[2:5], v1 offset:1264
	ds_load_b128 v[6:9], v1 offset:1280
	v_fma_f64 v[12:13], v[12:13], v[30:31], v[18:19]
	v_fma_f64 v[10:11], v[10:11], v[30:31], -v[20:21]
	s_wait_loadcnt_dscnt 0x201
	v_mul_f64_e32 v[26:27], v[2:3], v[40:41]
	v_mul_f64_e32 v[28:29], v[4:5], v[40:41]
	s_wait_loadcnt_dscnt 0x100
	v_mul_f64_e32 v[18:19], v[6:7], v[131:132]
	v_mul_f64_e32 v[20:21], v[8:9], v[131:132]
	v_add_f64_e32 v[14:15], v[14:15], v[24:25]
	v_add_f64_e32 v[16:17], v[16:17], v[22:23]
	v_fma_f64 v[22:23], v[4:5], v[38:39], v[26:27]
	v_fma_f64 v[24:25], v[2:3], v[38:39], -v[28:29]
	ds_load_b128 v[2:5], v1 offset:1296
	v_fma_f64 v[8:9], v[8:9], v[129:130], v[18:19]
	v_fma_f64 v[6:7], v[6:7], v[129:130], -v[20:21]
	v_add_f64_e32 v[10:11], v[14:15], v[10:11]
	v_add_f64_e32 v[12:13], v[16:17], v[12:13]
	s_wait_loadcnt_dscnt 0x0
	v_mul_f64_e32 v[14:15], v[2:3], v[36:37]
	v_mul_f64_e32 v[16:17], v[4:5], v[36:37]
	s_delay_alu instid0(VALU_DEP_4) | instskip(NEXT) | instid1(VALU_DEP_4)
	v_add_f64_e32 v[10:11], v[10:11], v[24:25]
	v_add_f64_e32 v[12:13], v[12:13], v[22:23]
	s_delay_alu instid0(VALU_DEP_4) | instskip(NEXT) | instid1(VALU_DEP_4)
	v_fma_f64 v[4:5], v[4:5], v[34:35], v[14:15]
	v_fma_f64 v[2:3], v[2:3], v[34:35], -v[16:17]
	s_delay_alu instid0(VALU_DEP_4) | instskip(NEXT) | instid1(VALU_DEP_4)
	v_add_f64_e32 v[6:7], v[10:11], v[6:7]
	v_add_f64_e32 v[8:9], v[12:13], v[8:9]
	s_delay_alu instid0(VALU_DEP_2) | instskip(NEXT) | instid1(VALU_DEP_2)
	v_add_f64_e32 v[2:3], v[6:7], v[2:3]
	v_add_f64_e32 v[4:5], v[8:9], v[4:5]
	s_delay_alu instid0(VALU_DEP_2) | instskip(NEXT) | instid1(VALU_DEP_2)
	v_add_f64_e64 v[2:3], v[42:43], -v[2:3]
	v_add_f64_e64 v[4:5], v[44:45], -v[4:5]
	scratch_store_b128 off, v[2:5], off offset:320
	v_cmpx_lt_u32_e32 18, v0
	s_cbranch_execz .LBB104_223
; %bb.222:
	scratch_load_b128 v[5:8], off, s16
	v_dual_mov_b32 v2, v1 :: v_dual_mov_b32 v3, v1
	v_mov_b32_e32 v4, v1
	scratch_store_b128 off, v[1:4], off offset:304
	s_wait_loadcnt 0x0
	ds_store_b128 v128, v[5:8]
.LBB104_223:
	s_wait_alu 0xfffe
	s_or_b32 exec_lo, exec_lo, s0
	s_wait_storecnt_dscnt 0x0
	s_barrier_signal -1
	s_barrier_wait -1
	global_inv scope:SCOPE_SE
	s_clause 0x8
	scratch_load_b128 v[2:5], off, off offset:320
	scratch_load_b128 v[6:9], off, off offset:336
	;; [unrolled: 1-line block ×9, first 2 shown]
	ds_load_b128 v[38:41], v1 offset:960
	ds_load_b128 v[42:45], v1 offset:976
	s_clause 0x1
	scratch_load_b128 v[129:132], off, off offset:304
	scratch_load_b128 v[133:136], off, off offset:464
	s_mov_b32 s0, exec_lo
	s_wait_loadcnt_dscnt 0xa01
	v_mul_f64_e32 v[137:138], v[40:41], v[4:5]
	v_mul_f64_e32 v[4:5], v[38:39], v[4:5]
	s_wait_loadcnt_dscnt 0x900
	v_mul_f64_e32 v[141:142], v[42:43], v[8:9]
	v_mul_f64_e32 v[8:9], v[44:45], v[8:9]
	s_delay_alu instid0(VALU_DEP_4) | instskip(NEXT) | instid1(VALU_DEP_4)
	v_fma_f64 v[143:144], v[38:39], v[2:3], -v[137:138]
	v_fma_f64 v[145:146], v[40:41], v[2:3], v[4:5]
	ds_load_b128 v[2:5], v1 offset:992
	ds_load_b128 v[137:140], v1 offset:1008
	scratch_load_b128 v[38:41], off, off offset:480
	v_fma_f64 v[44:45], v[44:45], v[6:7], v[141:142]
	v_fma_f64 v[42:43], v[42:43], v[6:7], -v[8:9]
	scratch_load_b128 v[6:9], off, off offset:496
	s_wait_loadcnt_dscnt 0xa01
	v_mul_f64_e32 v[147:148], v[2:3], v[12:13]
	v_mul_f64_e32 v[12:13], v[4:5], v[12:13]
	v_add_f64_e32 v[141:142], 0, v[143:144]
	v_add_f64_e32 v[143:144], 0, v[145:146]
	s_wait_loadcnt_dscnt 0x900
	v_mul_f64_e32 v[145:146], v[137:138], v[16:17]
	v_mul_f64_e32 v[16:17], v[139:140], v[16:17]
	v_fma_f64 v[147:148], v[4:5], v[10:11], v[147:148]
	v_fma_f64 v[149:150], v[2:3], v[10:11], -v[12:13]
	ds_load_b128 v[2:5], v1 offset:1024
	scratch_load_b128 v[10:13], off, off offset:512
	v_add_f64_e32 v[141:142], v[141:142], v[42:43]
	v_add_f64_e32 v[143:144], v[143:144], v[44:45]
	ds_load_b128 v[42:45], v1 offset:1040
	v_fma_f64 v[139:140], v[139:140], v[14:15], v[145:146]
	v_fma_f64 v[137:138], v[137:138], v[14:15], -v[16:17]
	scratch_load_b128 v[14:17], off, off offset:528
	s_wait_loadcnt_dscnt 0xa01
	v_mul_f64_e32 v[151:152], v[2:3], v[20:21]
	v_mul_f64_e32 v[20:21], v[4:5], v[20:21]
	s_wait_loadcnt_dscnt 0x900
	v_mul_f64_e32 v[145:146], v[42:43], v[24:25]
	v_mul_f64_e32 v[24:25], v[44:45], v[24:25]
	v_add_f64_e32 v[141:142], v[141:142], v[149:150]
	v_add_f64_e32 v[143:144], v[143:144], v[147:148]
	v_fma_f64 v[147:148], v[4:5], v[18:19], v[151:152]
	v_fma_f64 v[149:150], v[2:3], v[18:19], -v[20:21]
	ds_load_b128 v[2:5], v1 offset:1056
	scratch_load_b128 v[18:21], off, off offset:544
	v_fma_f64 v[44:45], v[44:45], v[22:23], v[145:146]
	v_fma_f64 v[42:43], v[42:43], v[22:23], -v[24:25]
	scratch_load_b128 v[22:25], off, off offset:560
	v_add_f64_e32 v[141:142], v[141:142], v[137:138]
	v_add_f64_e32 v[143:144], v[143:144], v[139:140]
	ds_load_b128 v[137:140], v1 offset:1072
	s_wait_loadcnt_dscnt 0xa01
	v_mul_f64_e32 v[151:152], v[2:3], v[28:29]
	v_mul_f64_e32 v[28:29], v[4:5], v[28:29]
	s_wait_loadcnt_dscnt 0x900
	v_mul_f64_e32 v[145:146], v[137:138], v[32:33]
	v_mul_f64_e32 v[32:33], v[139:140], v[32:33]
	v_add_f64_e32 v[141:142], v[141:142], v[149:150]
	v_add_f64_e32 v[143:144], v[143:144], v[147:148]
	v_fma_f64 v[147:148], v[4:5], v[26:27], v[151:152]
	v_fma_f64 v[149:150], v[2:3], v[26:27], -v[28:29]
	ds_load_b128 v[2:5], v1 offset:1088
	scratch_load_b128 v[26:29], off, off offset:576
	v_fma_f64 v[139:140], v[139:140], v[30:31], v[145:146]
	v_fma_f64 v[137:138], v[137:138], v[30:31], -v[32:33]
	scratch_load_b128 v[30:33], off, off offset:592
	v_add_f64_e32 v[141:142], v[141:142], v[42:43]
	v_add_f64_e32 v[143:144], v[143:144], v[44:45]
	ds_load_b128 v[42:45], v1 offset:1104
	s_wait_loadcnt_dscnt 0xa01
	v_mul_f64_e32 v[151:152], v[2:3], v[36:37]
	v_mul_f64_e32 v[36:37], v[4:5], v[36:37]
	s_wait_loadcnt_dscnt 0x800
	v_mul_f64_e32 v[145:146], v[42:43], v[135:136]
	v_add_f64_e32 v[141:142], v[141:142], v[149:150]
	v_add_f64_e32 v[143:144], v[143:144], v[147:148]
	v_mul_f64_e32 v[147:148], v[44:45], v[135:136]
	v_fma_f64 v[149:150], v[4:5], v[34:35], v[151:152]
	v_fma_f64 v[151:152], v[2:3], v[34:35], -v[36:37]
	ds_load_b128 v[2:5], v1 offset:1120
	scratch_load_b128 v[34:37], off, off offset:608
	v_fma_f64 v[44:45], v[44:45], v[133:134], v[145:146]
	v_add_f64_e32 v[141:142], v[141:142], v[137:138]
	v_add_f64_e32 v[139:140], v[143:144], v[139:140]
	ds_load_b128 v[135:138], v1 offset:1136
	v_fma_f64 v[133:134], v[42:43], v[133:134], -v[147:148]
	s_wait_loadcnt_dscnt 0x801
	v_mul_f64_e32 v[143:144], v[2:3], v[40:41]
	v_mul_f64_e32 v[153:154], v[4:5], v[40:41]
	scratch_load_b128 v[40:43], off, off offset:624
	s_wait_loadcnt_dscnt 0x800
	v_mul_f64_e32 v[147:148], v[135:136], v[8:9]
	v_mul_f64_e32 v[8:9], v[137:138], v[8:9]
	v_add_f64_e32 v[141:142], v[141:142], v[151:152]
	v_add_f64_e32 v[139:140], v[139:140], v[149:150]
	v_fma_f64 v[149:150], v[4:5], v[38:39], v[143:144]
	v_fma_f64 v[38:39], v[2:3], v[38:39], -v[153:154]
	ds_load_b128 v[2:5], v1 offset:1152
	ds_load_b128 v[143:146], v1 offset:1168
	v_fma_f64 v[137:138], v[137:138], v[6:7], v[147:148]
	v_fma_f64 v[135:136], v[135:136], v[6:7], -v[8:9]
	scratch_load_b128 v[6:9], off, off offset:656
	v_add_f64_e32 v[133:134], v[141:142], v[133:134]
	v_add_f64_e32 v[44:45], v[139:140], v[44:45]
	scratch_load_b128 v[139:142], off, off offset:640
	s_wait_loadcnt_dscnt 0x901
	v_mul_f64_e32 v[151:152], v[2:3], v[12:13]
	v_mul_f64_e32 v[12:13], v[4:5], v[12:13]
	v_add_f64_e32 v[38:39], v[133:134], v[38:39]
	v_add_f64_e32 v[44:45], v[44:45], v[149:150]
	s_wait_loadcnt_dscnt 0x800
	v_mul_f64_e32 v[133:134], v[143:144], v[16:17]
	v_mul_f64_e32 v[16:17], v[145:146], v[16:17]
	v_fma_f64 v[147:148], v[4:5], v[10:11], v[151:152]
	v_fma_f64 v[149:150], v[2:3], v[10:11], -v[12:13]
	ds_load_b128 v[2:5], v1 offset:1184
	ds_load_b128 v[10:13], v1 offset:1200
	v_add_f64_e32 v[38:39], v[38:39], v[135:136]
	v_add_f64_e32 v[44:45], v[44:45], v[137:138]
	s_wait_loadcnt_dscnt 0x701
	v_mul_f64_e32 v[135:136], v[2:3], v[20:21]
	v_mul_f64_e32 v[20:21], v[4:5], v[20:21]
	v_fma_f64 v[133:134], v[145:146], v[14:15], v[133:134]
	v_fma_f64 v[14:15], v[143:144], v[14:15], -v[16:17]
	v_add_f64_e32 v[16:17], v[38:39], v[149:150]
	v_add_f64_e32 v[38:39], v[44:45], v[147:148]
	s_wait_loadcnt_dscnt 0x600
	v_mul_f64_e32 v[44:45], v[10:11], v[24:25]
	v_mul_f64_e32 v[24:25], v[12:13], v[24:25]
	v_fma_f64 v[135:136], v[4:5], v[18:19], v[135:136]
	v_fma_f64 v[18:19], v[2:3], v[18:19], -v[20:21]
	v_add_f64_e32 v[20:21], v[16:17], v[14:15]
	v_add_f64_e32 v[38:39], v[38:39], v[133:134]
	ds_load_b128 v[2:5], v1 offset:1216
	ds_load_b128 v[14:17], v1 offset:1232
	v_fma_f64 v[12:13], v[12:13], v[22:23], v[44:45]
	v_fma_f64 v[10:11], v[10:11], v[22:23], -v[24:25]
	s_wait_loadcnt_dscnt 0x501
	v_mul_f64_e32 v[133:134], v[2:3], v[28:29]
	v_mul_f64_e32 v[28:29], v[4:5], v[28:29]
	s_wait_loadcnt_dscnt 0x400
	v_mul_f64_e32 v[22:23], v[14:15], v[32:33]
	v_mul_f64_e32 v[24:25], v[16:17], v[32:33]
	v_add_f64_e32 v[18:19], v[20:21], v[18:19]
	v_add_f64_e32 v[20:21], v[38:39], v[135:136]
	v_fma_f64 v[32:33], v[4:5], v[26:27], v[133:134]
	v_fma_f64 v[26:27], v[2:3], v[26:27], -v[28:29]
	v_fma_f64 v[16:17], v[16:17], v[30:31], v[22:23]
	v_fma_f64 v[14:15], v[14:15], v[30:31], -v[24:25]
	v_add_f64_e32 v[18:19], v[18:19], v[10:11]
	v_add_f64_e32 v[20:21], v[20:21], v[12:13]
	ds_load_b128 v[2:5], v1 offset:1248
	ds_load_b128 v[10:13], v1 offset:1264
	s_wait_loadcnt_dscnt 0x301
	v_mul_f64_e32 v[28:29], v[2:3], v[36:37]
	v_mul_f64_e32 v[36:37], v[4:5], v[36:37]
	s_wait_loadcnt_dscnt 0x200
	v_mul_f64_e32 v[22:23], v[10:11], v[42:43]
	v_add_f64_e32 v[18:19], v[18:19], v[26:27]
	v_add_f64_e32 v[20:21], v[20:21], v[32:33]
	v_mul_f64_e32 v[24:25], v[12:13], v[42:43]
	v_fma_f64 v[26:27], v[4:5], v[34:35], v[28:29]
	v_fma_f64 v[28:29], v[2:3], v[34:35], -v[36:37]
	v_fma_f64 v[12:13], v[12:13], v[40:41], v[22:23]
	v_add_f64_e32 v[18:19], v[18:19], v[14:15]
	v_add_f64_e32 v[20:21], v[20:21], v[16:17]
	ds_load_b128 v[2:5], v1 offset:1280
	ds_load_b128 v[14:17], v1 offset:1296
	v_fma_f64 v[10:11], v[10:11], v[40:41], -v[24:25]
	s_wait_loadcnt_dscnt 0x1
	v_mul_f64_e32 v[30:31], v[2:3], v[141:142]
	v_mul_f64_e32 v[32:33], v[4:5], v[141:142]
	s_wait_dscnt 0x0
	v_mul_f64_e32 v[22:23], v[14:15], v[8:9]
	v_mul_f64_e32 v[8:9], v[16:17], v[8:9]
	v_add_f64_e32 v[18:19], v[18:19], v[28:29]
	v_add_f64_e32 v[20:21], v[20:21], v[26:27]
	v_fma_f64 v[4:5], v[4:5], v[139:140], v[30:31]
	v_fma_f64 v[1:2], v[2:3], v[139:140], -v[32:33]
	v_fma_f64 v[16:17], v[16:17], v[6:7], v[22:23]
	v_fma_f64 v[6:7], v[14:15], v[6:7], -v[8:9]
	v_add_f64_e32 v[10:11], v[18:19], v[10:11]
	v_add_f64_e32 v[12:13], v[20:21], v[12:13]
	s_delay_alu instid0(VALU_DEP_2) | instskip(NEXT) | instid1(VALU_DEP_2)
	v_add_f64_e32 v[1:2], v[10:11], v[1:2]
	v_add_f64_e32 v[3:4], v[12:13], v[4:5]
	s_delay_alu instid0(VALU_DEP_2) | instskip(NEXT) | instid1(VALU_DEP_2)
	;; [unrolled: 3-line block ×3, first 2 shown]
	v_add_f64_e64 v[1:2], v[129:130], -v[1:2]
	v_add_f64_e64 v[3:4], v[131:132], -v[3:4]
	scratch_store_b128 off, v[1:4], off offset:304
	v_cmpx_lt_u32_e32 17, v0
	s_cbranch_execz .LBB104_225
; %bb.224:
	scratch_load_b128 v[1:4], off, s36
	v_mov_b32_e32 v5, 0
	s_delay_alu instid0(VALU_DEP_1)
	v_dual_mov_b32 v6, v5 :: v_dual_mov_b32 v7, v5
	v_mov_b32_e32 v8, v5
	scratch_store_b128 off, v[5:8], off offset:288
	s_wait_loadcnt 0x0
	ds_store_b128 v128, v[1:4]
.LBB104_225:
	s_wait_alu 0xfffe
	s_or_b32 exec_lo, exec_lo, s0
	s_wait_storecnt_dscnt 0x0
	s_barrier_signal -1
	s_barrier_wait -1
	global_inv scope:SCOPE_SE
	s_clause 0x7
	scratch_load_b128 v[2:5], off, off offset:304
	scratch_load_b128 v[6:9], off, off offset:320
	scratch_load_b128 v[10:13], off, off offset:336
	scratch_load_b128 v[14:17], off, off offset:352
	scratch_load_b128 v[18:21], off, off offset:368
	scratch_load_b128 v[22:25], off, off offset:384
	scratch_load_b128 v[26:29], off, off offset:400
	scratch_load_b128 v[30:33], off, off offset:416
	v_mov_b32_e32 v1, 0
	s_mov_b32 s0, exec_lo
	ds_load_b128 v[34:37], v1 offset:944
	s_clause 0x1
	scratch_load_b128 v[38:41], off, off offset:432
	scratch_load_b128 v[42:45], off, off offset:288
	ds_load_b128 v[129:132], v1 offset:960
	scratch_load_b128 v[133:136], off, off offset:448
	s_wait_loadcnt_dscnt 0xa01
	v_mul_f64_e32 v[137:138], v[36:37], v[4:5]
	v_mul_f64_e32 v[4:5], v[34:35], v[4:5]
	s_delay_alu instid0(VALU_DEP_2) | instskip(NEXT) | instid1(VALU_DEP_2)
	v_fma_f64 v[143:144], v[34:35], v[2:3], -v[137:138]
	v_fma_f64 v[145:146], v[36:37], v[2:3], v[4:5]
	ds_load_b128 v[2:5], v1 offset:976
	s_wait_loadcnt_dscnt 0x901
	v_mul_f64_e32 v[141:142], v[129:130], v[8:9]
	v_mul_f64_e32 v[8:9], v[131:132], v[8:9]
	scratch_load_b128 v[34:37], off, off offset:464
	ds_load_b128 v[137:140], v1 offset:992
	s_wait_loadcnt_dscnt 0x901
	v_mul_f64_e32 v[147:148], v[2:3], v[12:13]
	v_mul_f64_e32 v[12:13], v[4:5], v[12:13]
	v_fma_f64 v[131:132], v[131:132], v[6:7], v[141:142]
	v_fma_f64 v[129:130], v[129:130], v[6:7], -v[8:9]
	v_add_f64_e32 v[141:142], 0, v[143:144]
	v_add_f64_e32 v[143:144], 0, v[145:146]
	scratch_load_b128 v[6:9], off, off offset:480
	v_fma_f64 v[147:148], v[4:5], v[10:11], v[147:148]
	v_fma_f64 v[149:150], v[2:3], v[10:11], -v[12:13]
	ds_load_b128 v[2:5], v1 offset:1008
	s_wait_loadcnt_dscnt 0x901
	v_mul_f64_e32 v[145:146], v[137:138], v[16:17]
	v_mul_f64_e32 v[16:17], v[139:140], v[16:17]
	scratch_load_b128 v[10:13], off, off offset:496
	v_add_f64_e32 v[141:142], v[141:142], v[129:130]
	v_add_f64_e32 v[143:144], v[143:144], v[131:132]
	s_wait_loadcnt_dscnt 0x900
	v_mul_f64_e32 v[151:152], v[2:3], v[20:21]
	v_mul_f64_e32 v[20:21], v[4:5], v[20:21]
	ds_load_b128 v[129:132], v1 offset:1024
	v_fma_f64 v[139:140], v[139:140], v[14:15], v[145:146]
	v_fma_f64 v[137:138], v[137:138], v[14:15], -v[16:17]
	scratch_load_b128 v[14:17], off, off offset:512
	v_add_f64_e32 v[141:142], v[141:142], v[149:150]
	v_add_f64_e32 v[143:144], v[143:144], v[147:148]
	v_fma_f64 v[147:148], v[4:5], v[18:19], v[151:152]
	v_fma_f64 v[149:150], v[2:3], v[18:19], -v[20:21]
	ds_load_b128 v[2:5], v1 offset:1040
	s_wait_loadcnt_dscnt 0x901
	v_mul_f64_e32 v[145:146], v[129:130], v[24:25]
	v_mul_f64_e32 v[24:25], v[131:132], v[24:25]
	scratch_load_b128 v[18:21], off, off offset:528
	s_wait_loadcnt_dscnt 0x900
	v_mul_f64_e32 v[151:152], v[2:3], v[28:29]
	v_mul_f64_e32 v[28:29], v[4:5], v[28:29]
	v_add_f64_e32 v[141:142], v[141:142], v[137:138]
	v_add_f64_e32 v[143:144], v[143:144], v[139:140]
	ds_load_b128 v[137:140], v1 offset:1056
	v_fma_f64 v[131:132], v[131:132], v[22:23], v[145:146]
	v_fma_f64 v[129:130], v[129:130], v[22:23], -v[24:25]
	scratch_load_b128 v[22:25], off, off offset:544
	v_add_f64_e32 v[141:142], v[141:142], v[149:150]
	v_add_f64_e32 v[143:144], v[143:144], v[147:148]
	v_fma_f64 v[147:148], v[4:5], v[26:27], v[151:152]
	v_fma_f64 v[149:150], v[2:3], v[26:27], -v[28:29]
	ds_load_b128 v[2:5], v1 offset:1072
	s_wait_loadcnt_dscnt 0x901
	v_mul_f64_e32 v[145:146], v[137:138], v[32:33]
	v_mul_f64_e32 v[32:33], v[139:140], v[32:33]
	scratch_load_b128 v[26:29], off, off offset:560
	s_wait_loadcnt_dscnt 0x900
	v_mul_f64_e32 v[151:152], v[2:3], v[40:41]
	v_mul_f64_e32 v[40:41], v[4:5], v[40:41]
	v_add_f64_e32 v[141:142], v[141:142], v[129:130]
	v_add_f64_e32 v[143:144], v[143:144], v[131:132]
	ds_load_b128 v[129:132], v1 offset:1088
	v_fma_f64 v[139:140], v[139:140], v[30:31], v[145:146]
	v_fma_f64 v[137:138], v[137:138], v[30:31], -v[32:33]
	scratch_load_b128 v[30:33], off, off offset:576
	v_add_f64_e32 v[141:142], v[141:142], v[149:150]
	v_add_f64_e32 v[143:144], v[143:144], v[147:148]
	v_fma_f64 v[149:150], v[4:5], v[38:39], v[151:152]
	v_fma_f64 v[151:152], v[2:3], v[38:39], -v[40:41]
	ds_load_b128 v[2:5], v1 offset:1104
	s_wait_loadcnt_dscnt 0x801
	v_mul_f64_e32 v[145:146], v[129:130], v[135:136]
	v_mul_f64_e32 v[147:148], v[131:132], v[135:136]
	scratch_load_b128 v[38:41], off, off offset:592
	v_add_f64_e32 v[141:142], v[141:142], v[137:138]
	v_add_f64_e32 v[139:140], v[143:144], v[139:140]
	ds_load_b128 v[135:138], v1 offset:1120
	v_fma_f64 v[145:146], v[131:132], v[133:134], v[145:146]
	v_fma_f64 v[133:134], v[129:130], v[133:134], -v[147:148]
	scratch_load_b128 v[129:132], off, off offset:608
	s_wait_loadcnt_dscnt 0x901
	v_mul_f64_e32 v[143:144], v[2:3], v[36:37]
	v_mul_f64_e32 v[36:37], v[4:5], v[36:37]
	v_add_f64_e32 v[141:142], v[141:142], v[151:152]
	v_add_f64_e32 v[139:140], v[139:140], v[149:150]
	s_delay_alu instid0(VALU_DEP_4) | instskip(NEXT) | instid1(VALU_DEP_4)
	v_fma_f64 v[143:144], v[4:5], v[34:35], v[143:144]
	v_fma_f64 v[149:150], v[2:3], v[34:35], -v[36:37]
	ds_load_b128 v[2:5], v1 offset:1136
	s_wait_loadcnt_dscnt 0x801
	v_mul_f64_e32 v[147:148], v[135:136], v[8:9]
	v_mul_f64_e32 v[8:9], v[137:138], v[8:9]
	scratch_load_b128 v[34:37], off, off offset:624
	s_wait_loadcnt_dscnt 0x800
	v_mul_f64_e32 v[151:152], v[2:3], v[12:13]
	v_add_f64_e32 v[133:134], v[141:142], v[133:134]
	v_add_f64_e32 v[145:146], v[139:140], v[145:146]
	v_mul_f64_e32 v[12:13], v[4:5], v[12:13]
	ds_load_b128 v[139:142], v1 offset:1152
	v_fma_f64 v[137:138], v[137:138], v[6:7], v[147:148]
	v_fma_f64 v[135:136], v[135:136], v[6:7], -v[8:9]
	scratch_load_b128 v[6:9], off, off offset:640
	v_fma_f64 v[147:148], v[4:5], v[10:11], v[151:152]
	v_add_f64_e32 v[133:134], v[133:134], v[149:150]
	v_add_f64_e32 v[143:144], v[145:146], v[143:144]
	v_fma_f64 v[149:150], v[2:3], v[10:11], -v[12:13]
	ds_load_b128 v[2:5], v1 offset:1168
	s_wait_loadcnt_dscnt 0x801
	v_mul_f64_e32 v[145:146], v[139:140], v[16:17]
	v_mul_f64_e32 v[16:17], v[141:142], v[16:17]
	scratch_load_b128 v[10:13], off, off offset:656
	v_add_f64_e32 v[151:152], v[133:134], v[135:136]
	v_add_f64_e32 v[137:138], v[143:144], v[137:138]
	s_wait_loadcnt_dscnt 0x800
	v_mul_f64_e32 v[143:144], v[2:3], v[20:21]
	v_mul_f64_e32 v[20:21], v[4:5], v[20:21]
	v_fma_f64 v[141:142], v[141:142], v[14:15], v[145:146]
	v_fma_f64 v[14:15], v[139:140], v[14:15], -v[16:17]
	ds_load_b128 v[133:136], v1 offset:1184
	s_wait_loadcnt_dscnt 0x700
	v_mul_f64_e32 v[139:140], v[133:134], v[24:25]
	v_mul_f64_e32 v[24:25], v[135:136], v[24:25]
	v_add_f64_e32 v[16:17], v[151:152], v[149:150]
	v_add_f64_e32 v[137:138], v[137:138], v[147:148]
	v_fma_f64 v[143:144], v[4:5], v[18:19], v[143:144]
	v_fma_f64 v[18:19], v[2:3], v[18:19], -v[20:21]
	v_fma_f64 v[135:136], v[135:136], v[22:23], v[139:140]
	v_fma_f64 v[22:23], v[133:134], v[22:23], -v[24:25]
	v_add_f64_e32 v[20:21], v[16:17], v[14:15]
	v_add_f64_e32 v[137:138], v[137:138], v[141:142]
	ds_load_b128 v[2:5], v1 offset:1200
	ds_load_b128 v[14:17], v1 offset:1216
	s_wait_loadcnt_dscnt 0x601
	v_mul_f64_e32 v[141:142], v[2:3], v[28:29]
	v_mul_f64_e32 v[28:29], v[4:5], v[28:29]
	s_wait_loadcnt_dscnt 0x500
	v_mul_f64_e32 v[24:25], v[14:15], v[32:33]
	v_mul_f64_e32 v[32:33], v[16:17], v[32:33]
	v_add_f64_e32 v[18:19], v[20:21], v[18:19]
	v_add_f64_e32 v[20:21], v[137:138], v[143:144]
	v_fma_f64 v[133:134], v[4:5], v[26:27], v[141:142]
	v_fma_f64 v[26:27], v[2:3], v[26:27], -v[28:29]
	v_fma_f64 v[16:17], v[16:17], v[30:31], v[24:25]
	v_fma_f64 v[14:15], v[14:15], v[30:31], -v[32:33]
	v_add_f64_e32 v[22:23], v[18:19], v[22:23]
	v_add_f64_e32 v[28:29], v[20:21], v[135:136]
	ds_load_b128 v[2:5], v1 offset:1232
	ds_load_b128 v[18:21], v1 offset:1248
	s_wait_loadcnt_dscnt 0x401
	v_mul_f64_e32 v[135:136], v[2:3], v[40:41]
	v_mul_f64_e32 v[40:41], v[4:5], v[40:41]
	v_add_f64_e32 v[22:23], v[22:23], v[26:27]
	v_add_f64_e32 v[24:25], v[28:29], v[133:134]
	s_wait_loadcnt_dscnt 0x300
	v_mul_f64_e32 v[26:27], v[18:19], v[131:132]
	v_mul_f64_e32 v[28:29], v[20:21], v[131:132]
	v_fma_f64 v[30:31], v[4:5], v[38:39], v[135:136]
	v_fma_f64 v[32:33], v[2:3], v[38:39], -v[40:41]
	v_add_f64_e32 v[22:23], v[22:23], v[14:15]
	v_add_f64_e32 v[24:25], v[24:25], v[16:17]
	ds_load_b128 v[2:5], v1 offset:1264
	ds_load_b128 v[14:17], v1 offset:1280
	v_fma_f64 v[20:21], v[20:21], v[129:130], v[26:27]
	v_fma_f64 v[18:19], v[18:19], v[129:130], -v[28:29]
	s_wait_loadcnt_dscnt 0x201
	v_mul_f64_e32 v[38:39], v[2:3], v[36:37]
	v_mul_f64_e32 v[36:37], v[4:5], v[36:37]
	s_wait_loadcnt_dscnt 0x100
	v_mul_f64_e32 v[26:27], v[14:15], v[8:9]
	v_mul_f64_e32 v[8:9], v[16:17], v[8:9]
	v_add_f64_e32 v[22:23], v[22:23], v[32:33]
	v_add_f64_e32 v[24:25], v[24:25], v[30:31]
	v_fma_f64 v[28:29], v[4:5], v[34:35], v[38:39]
	v_fma_f64 v[30:31], v[2:3], v[34:35], -v[36:37]
	ds_load_b128 v[2:5], v1 offset:1296
	v_fma_f64 v[16:17], v[16:17], v[6:7], v[26:27]
	v_fma_f64 v[6:7], v[14:15], v[6:7], -v[8:9]
	v_add_f64_e32 v[18:19], v[22:23], v[18:19]
	v_add_f64_e32 v[20:21], v[24:25], v[20:21]
	s_wait_loadcnt_dscnt 0x0
	v_mul_f64_e32 v[22:23], v[2:3], v[12:13]
	v_mul_f64_e32 v[12:13], v[4:5], v[12:13]
	s_delay_alu instid0(VALU_DEP_4) | instskip(NEXT) | instid1(VALU_DEP_4)
	v_add_f64_e32 v[8:9], v[18:19], v[30:31]
	v_add_f64_e32 v[14:15], v[20:21], v[28:29]
	s_delay_alu instid0(VALU_DEP_4) | instskip(NEXT) | instid1(VALU_DEP_4)
	v_fma_f64 v[4:5], v[4:5], v[10:11], v[22:23]
	v_fma_f64 v[2:3], v[2:3], v[10:11], -v[12:13]
	s_delay_alu instid0(VALU_DEP_4) | instskip(NEXT) | instid1(VALU_DEP_4)
	v_add_f64_e32 v[6:7], v[8:9], v[6:7]
	v_add_f64_e32 v[8:9], v[14:15], v[16:17]
	s_delay_alu instid0(VALU_DEP_2) | instskip(NEXT) | instid1(VALU_DEP_2)
	v_add_f64_e32 v[2:3], v[6:7], v[2:3]
	v_add_f64_e32 v[4:5], v[8:9], v[4:5]
	s_delay_alu instid0(VALU_DEP_2) | instskip(NEXT) | instid1(VALU_DEP_2)
	v_add_f64_e64 v[2:3], v[42:43], -v[2:3]
	v_add_f64_e64 v[4:5], v[44:45], -v[4:5]
	scratch_store_b128 off, v[2:5], off offset:288
	v_cmpx_lt_u32_e32 16, v0
	s_cbranch_execz .LBB104_227
; %bb.226:
	scratch_load_b128 v[5:8], off, s15
	v_dual_mov_b32 v2, v1 :: v_dual_mov_b32 v3, v1
	v_mov_b32_e32 v4, v1
	scratch_store_b128 off, v[1:4], off offset:272
	s_wait_loadcnt 0x0
	ds_store_b128 v128, v[5:8]
.LBB104_227:
	s_wait_alu 0xfffe
	s_or_b32 exec_lo, exec_lo, s0
	s_wait_storecnt_dscnt 0x0
	s_barrier_signal -1
	s_barrier_wait -1
	global_inv scope:SCOPE_SE
	s_clause 0x8
	scratch_load_b128 v[2:5], off, off offset:288
	scratch_load_b128 v[6:9], off, off offset:304
	;; [unrolled: 1-line block ×9, first 2 shown]
	ds_load_b128 v[38:41], v1 offset:928
	ds_load_b128 v[42:45], v1 offset:944
	s_clause 0x1
	scratch_load_b128 v[129:132], off, off offset:272
	scratch_load_b128 v[133:136], off, off offset:432
	s_mov_b32 s0, exec_lo
	s_wait_loadcnt_dscnt 0xa01
	v_mul_f64_e32 v[137:138], v[40:41], v[4:5]
	v_mul_f64_e32 v[4:5], v[38:39], v[4:5]
	s_wait_loadcnt_dscnt 0x900
	v_mul_f64_e32 v[141:142], v[42:43], v[8:9]
	v_mul_f64_e32 v[8:9], v[44:45], v[8:9]
	s_delay_alu instid0(VALU_DEP_4) | instskip(NEXT) | instid1(VALU_DEP_4)
	v_fma_f64 v[143:144], v[38:39], v[2:3], -v[137:138]
	v_fma_f64 v[145:146], v[40:41], v[2:3], v[4:5]
	ds_load_b128 v[2:5], v1 offset:960
	ds_load_b128 v[137:140], v1 offset:976
	scratch_load_b128 v[38:41], off, off offset:448
	v_fma_f64 v[44:45], v[44:45], v[6:7], v[141:142]
	v_fma_f64 v[42:43], v[42:43], v[6:7], -v[8:9]
	scratch_load_b128 v[6:9], off, off offset:464
	s_wait_loadcnt_dscnt 0xa01
	v_mul_f64_e32 v[147:148], v[2:3], v[12:13]
	v_mul_f64_e32 v[12:13], v[4:5], v[12:13]
	v_add_f64_e32 v[141:142], 0, v[143:144]
	v_add_f64_e32 v[143:144], 0, v[145:146]
	s_wait_loadcnt_dscnt 0x900
	v_mul_f64_e32 v[145:146], v[137:138], v[16:17]
	v_mul_f64_e32 v[16:17], v[139:140], v[16:17]
	v_fma_f64 v[147:148], v[4:5], v[10:11], v[147:148]
	v_fma_f64 v[149:150], v[2:3], v[10:11], -v[12:13]
	ds_load_b128 v[2:5], v1 offset:992
	scratch_load_b128 v[10:13], off, off offset:480
	v_add_f64_e32 v[141:142], v[141:142], v[42:43]
	v_add_f64_e32 v[143:144], v[143:144], v[44:45]
	ds_load_b128 v[42:45], v1 offset:1008
	v_fma_f64 v[139:140], v[139:140], v[14:15], v[145:146]
	v_fma_f64 v[137:138], v[137:138], v[14:15], -v[16:17]
	scratch_load_b128 v[14:17], off, off offset:496
	s_wait_loadcnt_dscnt 0xa01
	v_mul_f64_e32 v[151:152], v[2:3], v[20:21]
	v_mul_f64_e32 v[20:21], v[4:5], v[20:21]
	s_wait_loadcnt_dscnt 0x900
	v_mul_f64_e32 v[145:146], v[42:43], v[24:25]
	v_mul_f64_e32 v[24:25], v[44:45], v[24:25]
	v_add_f64_e32 v[141:142], v[141:142], v[149:150]
	v_add_f64_e32 v[143:144], v[143:144], v[147:148]
	v_fma_f64 v[147:148], v[4:5], v[18:19], v[151:152]
	v_fma_f64 v[149:150], v[2:3], v[18:19], -v[20:21]
	ds_load_b128 v[2:5], v1 offset:1024
	scratch_load_b128 v[18:21], off, off offset:512
	v_fma_f64 v[44:45], v[44:45], v[22:23], v[145:146]
	v_fma_f64 v[42:43], v[42:43], v[22:23], -v[24:25]
	scratch_load_b128 v[22:25], off, off offset:528
	v_add_f64_e32 v[141:142], v[141:142], v[137:138]
	v_add_f64_e32 v[143:144], v[143:144], v[139:140]
	ds_load_b128 v[137:140], v1 offset:1040
	s_wait_loadcnt_dscnt 0xa01
	v_mul_f64_e32 v[151:152], v[2:3], v[28:29]
	v_mul_f64_e32 v[28:29], v[4:5], v[28:29]
	s_wait_loadcnt_dscnt 0x900
	v_mul_f64_e32 v[145:146], v[137:138], v[32:33]
	v_mul_f64_e32 v[32:33], v[139:140], v[32:33]
	v_add_f64_e32 v[141:142], v[141:142], v[149:150]
	v_add_f64_e32 v[143:144], v[143:144], v[147:148]
	v_fma_f64 v[147:148], v[4:5], v[26:27], v[151:152]
	v_fma_f64 v[149:150], v[2:3], v[26:27], -v[28:29]
	ds_load_b128 v[2:5], v1 offset:1056
	scratch_load_b128 v[26:29], off, off offset:544
	v_fma_f64 v[139:140], v[139:140], v[30:31], v[145:146]
	v_fma_f64 v[137:138], v[137:138], v[30:31], -v[32:33]
	scratch_load_b128 v[30:33], off, off offset:560
	v_add_f64_e32 v[141:142], v[141:142], v[42:43]
	v_add_f64_e32 v[143:144], v[143:144], v[44:45]
	ds_load_b128 v[42:45], v1 offset:1072
	s_wait_loadcnt_dscnt 0xa01
	v_mul_f64_e32 v[151:152], v[2:3], v[36:37]
	v_mul_f64_e32 v[36:37], v[4:5], v[36:37]
	s_wait_loadcnt_dscnt 0x800
	v_mul_f64_e32 v[145:146], v[42:43], v[135:136]
	v_add_f64_e32 v[141:142], v[141:142], v[149:150]
	v_add_f64_e32 v[143:144], v[143:144], v[147:148]
	v_mul_f64_e32 v[147:148], v[44:45], v[135:136]
	v_fma_f64 v[149:150], v[4:5], v[34:35], v[151:152]
	v_fma_f64 v[151:152], v[2:3], v[34:35], -v[36:37]
	ds_load_b128 v[2:5], v1 offset:1088
	scratch_load_b128 v[34:37], off, off offset:576
	v_fma_f64 v[44:45], v[44:45], v[133:134], v[145:146]
	v_add_f64_e32 v[141:142], v[141:142], v[137:138]
	v_add_f64_e32 v[139:140], v[143:144], v[139:140]
	ds_load_b128 v[135:138], v1 offset:1104
	v_fma_f64 v[133:134], v[42:43], v[133:134], -v[147:148]
	s_wait_loadcnt_dscnt 0x801
	v_mul_f64_e32 v[143:144], v[2:3], v[40:41]
	v_mul_f64_e32 v[153:154], v[4:5], v[40:41]
	scratch_load_b128 v[40:43], off, off offset:592
	s_wait_loadcnt_dscnt 0x800
	v_mul_f64_e32 v[147:148], v[135:136], v[8:9]
	v_mul_f64_e32 v[8:9], v[137:138], v[8:9]
	v_add_f64_e32 v[141:142], v[141:142], v[151:152]
	v_add_f64_e32 v[139:140], v[139:140], v[149:150]
	v_fma_f64 v[149:150], v[4:5], v[38:39], v[143:144]
	v_fma_f64 v[38:39], v[2:3], v[38:39], -v[153:154]
	ds_load_b128 v[2:5], v1 offset:1120
	ds_load_b128 v[143:146], v1 offset:1136
	v_fma_f64 v[137:138], v[137:138], v[6:7], v[147:148]
	v_fma_f64 v[135:136], v[135:136], v[6:7], -v[8:9]
	scratch_load_b128 v[6:9], off, off offset:624
	v_add_f64_e32 v[133:134], v[141:142], v[133:134]
	v_add_f64_e32 v[44:45], v[139:140], v[44:45]
	scratch_load_b128 v[139:142], off, off offset:608
	s_wait_loadcnt_dscnt 0x901
	v_mul_f64_e32 v[151:152], v[2:3], v[12:13]
	v_mul_f64_e32 v[12:13], v[4:5], v[12:13]
	s_wait_loadcnt_dscnt 0x800
	v_mul_f64_e32 v[147:148], v[143:144], v[16:17]
	v_mul_f64_e32 v[16:17], v[145:146], v[16:17]
	v_add_f64_e32 v[38:39], v[133:134], v[38:39]
	v_add_f64_e32 v[44:45], v[44:45], v[149:150]
	v_fma_f64 v[149:150], v[4:5], v[10:11], v[151:152]
	v_fma_f64 v[151:152], v[2:3], v[10:11], -v[12:13]
	ds_load_b128 v[2:5], v1 offset:1152
	scratch_load_b128 v[10:13], off, off offset:640
	v_fma_f64 v[145:146], v[145:146], v[14:15], v[147:148]
	v_fma_f64 v[143:144], v[143:144], v[14:15], -v[16:17]
	scratch_load_b128 v[14:17], off, off offset:656
	v_add_f64_e32 v[38:39], v[38:39], v[135:136]
	v_add_f64_e32 v[44:45], v[44:45], v[137:138]
	ds_load_b128 v[133:136], v1 offset:1168
	s_wait_loadcnt_dscnt 0x901
	v_mul_f64_e32 v[137:138], v[2:3], v[20:21]
	v_mul_f64_e32 v[20:21], v[4:5], v[20:21]
	s_wait_loadcnt_dscnt 0x800
	v_mul_f64_e32 v[147:148], v[133:134], v[24:25]
	v_mul_f64_e32 v[24:25], v[135:136], v[24:25]
	v_add_f64_e32 v[38:39], v[38:39], v[151:152]
	v_add_f64_e32 v[44:45], v[44:45], v[149:150]
	v_fma_f64 v[137:138], v[4:5], v[18:19], v[137:138]
	v_fma_f64 v[149:150], v[2:3], v[18:19], -v[20:21]
	ds_load_b128 v[2:5], v1 offset:1184
	ds_load_b128 v[18:21], v1 offset:1200
	v_fma_f64 v[135:136], v[135:136], v[22:23], v[147:148]
	v_fma_f64 v[22:23], v[133:134], v[22:23], -v[24:25]
	v_add_f64_e32 v[38:39], v[38:39], v[143:144]
	v_add_f64_e32 v[44:45], v[44:45], v[145:146]
	s_wait_loadcnt_dscnt 0x701
	v_mul_f64_e32 v[143:144], v[2:3], v[28:29]
	v_mul_f64_e32 v[28:29], v[4:5], v[28:29]
	s_delay_alu instid0(VALU_DEP_4) | instskip(NEXT) | instid1(VALU_DEP_4)
	v_add_f64_e32 v[24:25], v[38:39], v[149:150]
	v_add_f64_e32 v[38:39], v[44:45], v[137:138]
	s_wait_loadcnt_dscnt 0x600
	v_mul_f64_e32 v[44:45], v[18:19], v[32:33]
	v_mul_f64_e32 v[32:33], v[20:21], v[32:33]
	v_fma_f64 v[133:134], v[4:5], v[26:27], v[143:144]
	v_fma_f64 v[26:27], v[2:3], v[26:27], -v[28:29]
	v_add_f64_e32 v[28:29], v[24:25], v[22:23]
	v_add_f64_e32 v[38:39], v[38:39], v[135:136]
	ds_load_b128 v[2:5], v1 offset:1216
	ds_load_b128 v[22:25], v1 offset:1232
	v_fma_f64 v[20:21], v[20:21], v[30:31], v[44:45]
	v_fma_f64 v[18:19], v[18:19], v[30:31], -v[32:33]
	s_wait_loadcnt_dscnt 0x501
	v_mul_f64_e32 v[135:136], v[2:3], v[36:37]
	v_mul_f64_e32 v[36:37], v[4:5], v[36:37]
	s_wait_loadcnt_dscnt 0x400
	v_mul_f64_e32 v[30:31], v[22:23], v[42:43]
	v_add_f64_e32 v[26:27], v[28:29], v[26:27]
	v_add_f64_e32 v[28:29], v[38:39], v[133:134]
	v_mul_f64_e32 v[32:33], v[24:25], v[42:43]
	v_fma_f64 v[38:39], v[4:5], v[34:35], v[135:136]
	v_fma_f64 v[34:35], v[2:3], v[34:35], -v[36:37]
	v_fma_f64 v[24:25], v[24:25], v[40:41], v[30:31]
	v_add_f64_e32 v[26:27], v[26:27], v[18:19]
	v_add_f64_e32 v[28:29], v[28:29], v[20:21]
	ds_load_b128 v[2:5], v1 offset:1248
	ds_load_b128 v[18:21], v1 offset:1264
	v_fma_f64 v[22:23], v[22:23], v[40:41], -v[32:33]
	s_wait_loadcnt_dscnt 0x201
	v_mul_f64_e32 v[36:37], v[2:3], v[141:142]
	v_mul_f64_e32 v[42:43], v[4:5], v[141:142]
	s_wait_dscnt 0x0
	v_mul_f64_e32 v[30:31], v[18:19], v[8:9]
	v_mul_f64_e32 v[8:9], v[20:21], v[8:9]
	v_add_f64_e32 v[26:27], v[26:27], v[34:35]
	v_add_f64_e32 v[28:29], v[28:29], v[38:39]
	v_fma_f64 v[32:33], v[4:5], v[139:140], v[36:37]
	v_fma_f64 v[34:35], v[2:3], v[139:140], -v[42:43]
	v_fma_f64 v[20:21], v[20:21], v[6:7], v[30:31]
	v_fma_f64 v[6:7], v[18:19], v[6:7], -v[8:9]
	v_add_f64_e32 v[26:27], v[26:27], v[22:23]
	v_add_f64_e32 v[28:29], v[28:29], v[24:25]
	ds_load_b128 v[2:5], v1 offset:1280
	ds_load_b128 v[22:25], v1 offset:1296
	s_wait_loadcnt_dscnt 0x101
	v_mul_f64_e32 v[36:37], v[2:3], v[12:13]
	v_mul_f64_e32 v[12:13], v[4:5], v[12:13]
	v_add_f64_e32 v[8:9], v[26:27], v[34:35]
	v_add_f64_e32 v[18:19], v[28:29], v[32:33]
	s_wait_loadcnt_dscnt 0x0
	v_mul_f64_e32 v[26:27], v[22:23], v[16:17]
	v_mul_f64_e32 v[16:17], v[24:25], v[16:17]
	v_fma_f64 v[4:5], v[4:5], v[10:11], v[36:37]
	v_fma_f64 v[1:2], v[2:3], v[10:11], -v[12:13]
	v_add_f64_e32 v[6:7], v[8:9], v[6:7]
	v_add_f64_e32 v[8:9], v[18:19], v[20:21]
	v_fma_f64 v[10:11], v[24:25], v[14:15], v[26:27]
	v_fma_f64 v[12:13], v[22:23], v[14:15], -v[16:17]
	s_delay_alu instid0(VALU_DEP_4) | instskip(NEXT) | instid1(VALU_DEP_4)
	v_add_f64_e32 v[1:2], v[6:7], v[1:2]
	v_add_f64_e32 v[3:4], v[8:9], v[4:5]
	s_delay_alu instid0(VALU_DEP_2) | instskip(NEXT) | instid1(VALU_DEP_2)
	v_add_f64_e32 v[1:2], v[1:2], v[12:13]
	v_add_f64_e32 v[3:4], v[3:4], v[10:11]
	s_delay_alu instid0(VALU_DEP_2) | instskip(NEXT) | instid1(VALU_DEP_2)
	v_add_f64_e64 v[1:2], v[129:130], -v[1:2]
	v_add_f64_e64 v[3:4], v[131:132], -v[3:4]
	scratch_store_b128 off, v[1:4], off offset:272
	v_cmpx_lt_u32_e32 15, v0
	s_cbranch_execz .LBB104_229
; %bb.228:
	scratch_load_b128 v[1:4], off, s35
	v_mov_b32_e32 v5, 0
	s_delay_alu instid0(VALU_DEP_1)
	v_dual_mov_b32 v6, v5 :: v_dual_mov_b32 v7, v5
	v_mov_b32_e32 v8, v5
	scratch_store_b128 off, v[5:8], off offset:256
	s_wait_loadcnt 0x0
	ds_store_b128 v128, v[1:4]
.LBB104_229:
	s_wait_alu 0xfffe
	s_or_b32 exec_lo, exec_lo, s0
	s_wait_storecnt_dscnt 0x0
	s_barrier_signal -1
	s_barrier_wait -1
	global_inv scope:SCOPE_SE
	s_clause 0x7
	scratch_load_b128 v[2:5], off, off offset:272
	scratch_load_b128 v[6:9], off, off offset:288
	;; [unrolled: 1-line block ×8, first 2 shown]
	v_mov_b32_e32 v1, 0
	s_mov_b32 s0, exec_lo
	ds_load_b128 v[34:37], v1 offset:912
	s_clause 0x1
	scratch_load_b128 v[38:41], off, off offset:400
	scratch_load_b128 v[42:45], off, off offset:256
	ds_load_b128 v[129:132], v1 offset:928
	scratch_load_b128 v[133:136], off, off offset:416
	s_wait_loadcnt_dscnt 0xa01
	v_mul_f64_e32 v[137:138], v[36:37], v[4:5]
	v_mul_f64_e32 v[4:5], v[34:35], v[4:5]
	s_delay_alu instid0(VALU_DEP_2) | instskip(NEXT) | instid1(VALU_DEP_2)
	v_fma_f64 v[143:144], v[34:35], v[2:3], -v[137:138]
	v_fma_f64 v[145:146], v[36:37], v[2:3], v[4:5]
	ds_load_b128 v[2:5], v1 offset:944
	s_wait_loadcnt_dscnt 0x901
	v_mul_f64_e32 v[141:142], v[129:130], v[8:9]
	v_mul_f64_e32 v[8:9], v[131:132], v[8:9]
	scratch_load_b128 v[34:37], off, off offset:432
	ds_load_b128 v[137:140], v1 offset:960
	s_wait_loadcnt_dscnt 0x901
	v_mul_f64_e32 v[147:148], v[2:3], v[12:13]
	v_mul_f64_e32 v[12:13], v[4:5], v[12:13]
	v_fma_f64 v[131:132], v[131:132], v[6:7], v[141:142]
	v_fma_f64 v[129:130], v[129:130], v[6:7], -v[8:9]
	v_add_f64_e32 v[141:142], 0, v[143:144]
	v_add_f64_e32 v[143:144], 0, v[145:146]
	scratch_load_b128 v[6:9], off, off offset:448
	v_fma_f64 v[147:148], v[4:5], v[10:11], v[147:148]
	v_fma_f64 v[149:150], v[2:3], v[10:11], -v[12:13]
	ds_load_b128 v[2:5], v1 offset:976
	s_wait_loadcnt_dscnt 0x901
	v_mul_f64_e32 v[145:146], v[137:138], v[16:17]
	v_mul_f64_e32 v[16:17], v[139:140], v[16:17]
	scratch_load_b128 v[10:13], off, off offset:464
	v_add_f64_e32 v[141:142], v[141:142], v[129:130]
	v_add_f64_e32 v[143:144], v[143:144], v[131:132]
	s_wait_loadcnt_dscnt 0x900
	v_mul_f64_e32 v[151:152], v[2:3], v[20:21]
	v_mul_f64_e32 v[20:21], v[4:5], v[20:21]
	ds_load_b128 v[129:132], v1 offset:992
	v_fma_f64 v[139:140], v[139:140], v[14:15], v[145:146]
	v_fma_f64 v[137:138], v[137:138], v[14:15], -v[16:17]
	scratch_load_b128 v[14:17], off, off offset:480
	v_add_f64_e32 v[141:142], v[141:142], v[149:150]
	v_add_f64_e32 v[143:144], v[143:144], v[147:148]
	v_fma_f64 v[147:148], v[4:5], v[18:19], v[151:152]
	v_fma_f64 v[149:150], v[2:3], v[18:19], -v[20:21]
	ds_load_b128 v[2:5], v1 offset:1008
	s_wait_loadcnt_dscnt 0x901
	v_mul_f64_e32 v[145:146], v[129:130], v[24:25]
	v_mul_f64_e32 v[24:25], v[131:132], v[24:25]
	scratch_load_b128 v[18:21], off, off offset:496
	s_wait_loadcnt_dscnt 0x900
	v_mul_f64_e32 v[151:152], v[2:3], v[28:29]
	v_mul_f64_e32 v[28:29], v[4:5], v[28:29]
	v_add_f64_e32 v[141:142], v[141:142], v[137:138]
	v_add_f64_e32 v[143:144], v[143:144], v[139:140]
	ds_load_b128 v[137:140], v1 offset:1024
	v_fma_f64 v[131:132], v[131:132], v[22:23], v[145:146]
	v_fma_f64 v[129:130], v[129:130], v[22:23], -v[24:25]
	scratch_load_b128 v[22:25], off, off offset:512
	v_add_f64_e32 v[141:142], v[141:142], v[149:150]
	v_add_f64_e32 v[143:144], v[143:144], v[147:148]
	v_fma_f64 v[147:148], v[4:5], v[26:27], v[151:152]
	v_fma_f64 v[149:150], v[2:3], v[26:27], -v[28:29]
	ds_load_b128 v[2:5], v1 offset:1040
	s_wait_loadcnt_dscnt 0x901
	v_mul_f64_e32 v[145:146], v[137:138], v[32:33]
	v_mul_f64_e32 v[32:33], v[139:140], v[32:33]
	scratch_load_b128 v[26:29], off, off offset:528
	s_wait_loadcnt_dscnt 0x900
	v_mul_f64_e32 v[151:152], v[2:3], v[40:41]
	v_mul_f64_e32 v[40:41], v[4:5], v[40:41]
	v_add_f64_e32 v[141:142], v[141:142], v[129:130]
	v_add_f64_e32 v[143:144], v[143:144], v[131:132]
	ds_load_b128 v[129:132], v1 offset:1056
	v_fma_f64 v[139:140], v[139:140], v[30:31], v[145:146]
	v_fma_f64 v[137:138], v[137:138], v[30:31], -v[32:33]
	scratch_load_b128 v[30:33], off, off offset:544
	v_add_f64_e32 v[141:142], v[141:142], v[149:150]
	v_add_f64_e32 v[143:144], v[143:144], v[147:148]
	v_fma_f64 v[149:150], v[4:5], v[38:39], v[151:152]
	v_fma_f64 v[151:152], v[2:3], v[38:39], -v[40:41]
	ds_load_b128 v[2:5], v1 offset:1072
	s_wait_loadcnt_dscnt 0x801
	v_mul_f64_e32 v[145:146], v[129:130], v[135:136]
	v_mul_f64_e32 v[147:148], v[131:132], v[135:136]
	scratch_load_b128 v[38:41], off, off offset:560
	v_add_f64_e32 v[141:142], v[141:142], v[137:138]
	v_add_f64_e32 v[139:140], v[143:144], v[139:140]
	ds_load_b128 v[135:138], v1 offset:1088
	v_fma_f64 v[145:146], v[131:132], v[133:134], v[145:146]
	v_fma_f64 v[133:134], v[129:130], v[133:134], -v[147:148]
	scratch_load_b128 v[129:132], off, off offset:576
	s_wait_loadcnt_dscnt 0x901
	v_mul_f64_e32 v[143:144], v[2:3], v[36:37]
	v_mul_f64_e32 v[36:37], v[4:5], v[36:37]
	v_add_f64_e32 v[141:142], v[141:142], v[151:152]
	v_add_f64_e32 v[139:140], v[139:140], v[149:150]
	s_delay_alu instid0(VALU_DEP_4) | instskip(NEXT) | instid1(VALU_DEP_4)
	v_fma_f64 v[143:144], v[4:5], v[34:35], v[143:144]
	v_fma_f64 v[149:150], v[2:3], v[34:35], -v[36:37]
	ds_load_b128 v[2:5], v1 offset:1104
	s_wait_loadcnt_dscnt 0x801
	v_mul_f64_e32 v[147:148], v[135:136], v[8:9]
	v_mul_f64_e32 v[8:9], v[137:138], v[8:9]
	scratch_load_b128 v[34:37], off, off offset:592
	s_wait_loadcnt_dscnt 0x800
	v_mul_f64_e32 v[151:152], v[2:3], v[12:13]
	v_add_f64_e32 v[133:134], v[141:142], v[133:134]
	v_add_f64_e32 v[145:146], v[139:140], v[145:146]
	v_mul_f64_e32 v[12:13], v[4:5], v[12:13]
	ds_load_b128 v[139:142], v1 offset:1120
	v_fma_f64 v[137:138], v[137:138], v[6:7], v[147:148]
	v_fma_f64 v[135:136], v[135:136], v[6:7], -v[8:9]
	scratch_load_b128 v[6:9], off, off offset:608
	v_fma_f64 v[147:148], v[4:5], v[10:11], v[151:152]
	v_add_f64_e32 v[133:134], v[133:134], v[149:150]
	v_add_f64_e32 v[143:144], v[145:146], v[143:144]
	v_fma_f64 v[149:150], v[2:3], v[10:11], -v[12:13]
	ds_load_b128 v[2:5], v1 offset:1136
	s_wait_loadcnt_dscnt 0x801
	v_mul_f64_e32 v[145:146], v[139:140], v[16:17]
	v_mul_f64_e32 v[16:17], v[141:142], v[16:17]
	scratch_load_b128 v[10:13], off, off offset:624
	v_add_f64_e32 v[151:152], v[133:134], v[135:136]
	v_add_f64_e32 v[137:138], v[143:144], v[137:138]
	s_wait_loadcnt_dscnt 0x800
	v_mul_f64_e32 v[143:144], v[2:3], v[20:21]
	v_mul_f64_e32 v[20:21], v[4:5], v[20:21]
	v_fma_f64 v[141:142], v[141:142], v[14:15], v[145:146]
	v_fma_f64 v[139:140], v[139:140], v[14:15], -v[16:17]
	ds_load_b128 v[133:136], v1 offset:1152
	scratch_load_b128 v[14:17], off, off offset:640
	v_add_f64_e32 v[145:146], v[151:152], v[149:150]
	v_add_f64_e32 v[137:138], v[137:138], v[147:148]
	v_fma_f64 v[143:144], v[4:5], v[18:19], v[143:144]
	v_fma_f64 v[149:150], v[2:3], v[18:19], -v[20:21]
	ds_load_b128 v[2:5], v1 offset:1168
	s_wait_loadcnt_dscnt 0x801
	v_mul_f64_e32 v[147:148], v[133:134], v[24:25]
	v_mul_f64_e32 v[24:25], v[135:136], v[24:25]
	scratch_load_b128 v[18:21], off, off offset:656
	s_wait_loadcnt_dscnt 0x800
	v_mul_f64_e32 v[151:152], v[2:3], v[28:29]
	v_mul_f64_e32 v[28:29], v[4:5], v[28:29]
	v_add_f64_e32 v[145:146], v[145:146], v[139:140]
	v_add_f64_e32 v[141:142], v[137:138], v[141:142]
	ds_load_b128 v[137:140], v1 offset:1184
	v_fma_f64 v[135:136], v[135:136], v[22:23], v[147:148]
	v_fma_f64 v[22:23], v[133:134], v[22:23], -v[24:25]
	v_add_f64_e32 v[24:25], v[145:146], v[149:150]
	v_add_f64_e32 v[133:134], v[141:142], v[143:144]
	s_wait_loadcnt_dscnt 0x700
	v_mul_f64_e32 v[141:142], v[137:138], v[32:33]
	v_mul_f64_e32 v[32:33], v[139:140], v[32:33]
	v_fma_f64 v[143:144], v[4:5], v[26:27], v[151:152]
	v_fma_f64 v[26:27], v[2:3], v[26:27], -v[28:29]
	v_add_f64_e32 v[28:29], v[24:25], v[22:23]
	v_add_f64_e32 v[133:134], v[133:134], v[135:136]
	ds_load_b128 v[2:5], v1 offset:1200
	ds_load_b128 v[22:25], v1 offset:1216
	v_fma_f64 v[139:140], v[139:140], v[30:31], v[141:142]
	v_fma_f64 v[30:31], v[137:138], v[30:31], -v[32:33]
	s_wait_loadcnt_dscnt 0x601
	v_mul_f64_e32 v[135:136], v[2:3], v[40:41]
	v_mul_f64_e32 v[40:41], v[4:5], v[40:41]
	s_wait_loadcnt_dscnt 0x500
	v_mul_f64_e32 v[32:33], v[22:23], v[131:132]
	v_mul_f64_e32 v[131:132], v[24:25], v[131:132]
	v_add_f64_e32 v[26:27], v[28:29], v[26:27]
	v_add_f64_e32 v[28:29], v[133:134], v[143:144]
	v_fma_f64 v[133:134], v[4:5], v[38:39], v[135:136]
	v_fma_f64 v[38:39], v[2:3], v[38:39], -v[40:41]
	v_fma_f64 v[24:25], v[24:25], v[129:130], v[32:33]
	v_fma_f64 v[22:23], v[22:23], v[129:130], -v[131:132]
	v_add_f64_e32 v[30:31], v[26:27], v[30:31]
	v_add_f64_e32 v[40:41], v[28:29], v[139:140]
	ds_load_b128 v[2:5], v1 offset:1232
	ds_load_b128 v[26:29], v1 offset:1248
	s_wait_loadcnt_dscnt 0x401
	v_mul_f64_e32 v[135:136], v[2:3], v[36:37]
	v_mul_f64_e32 v[36:37], v[4:5], v[36:37]
	v_add_f64_e32 v[30:31], v[30:31], v[38:39]
	v_add_f64_e32 v[32:33], v[40:41], v[133:134]
	s_wait_loadcnt_dscnt 0x300
	v_mul_f64_e32 v[38:39], v[26:27], v[8:9]
	v_mul_f64_e32 v[8:9], v[28:29], v[8:9]
	v_fma_f64 v[40:41], v[4:5], v[34:35], v[135:136]
	v_fma_f64 v[34:35], v[2:3], v[34:35], -v[36:37]
	v_add_f64_e32 v[30:31], v[30:31], v[22:23]
	v_add_f64_e32 v[32:33], v[32:33], v[24:25]
	ds_load_b128 v[2:5], v1 offset:1264
	ds_load_b128 v[22:25], v1 offset:1280
	v_fma_f64 v[28:29], v[28:29], v[6:7], v[38:39]
	v_fma_f64 v[6:7], v[26:27], v[6:7], -v[8:9]
	s_wait_loadcnt_dscnt 0x201
	v_mul_f64_e32 v[36:37], v[2:3], v[12:13]
	v_mul_f64_e32 v[12:13], v[4:5], v[12:13]
	v_add_f64_e32 v[8:9], v[30:31], v[34:35]
	v_add_f64_e32 v[26:27], v[32:33], v[40:41]
	s_wait_loadcnt_dscnt 0x100
	v_mul_f64_e32 v[30:31], v[22:23], v[16:17]
	v_mul_f64_e32 v[16:17], v[24:25], v[16:17]
	v_fma_f64 v[32:33], v[4:5], v[10:11], v[36:37]
	v_fma_f64 v[10:11], v[2:3], v[10:11], -v[12:13]
	ds_load_b128 v[2:5], v1 offset:1296
	v_add_f64_e32 v[6:7], v[8:9], v[6:7]
	v_add_f64_e32 v[8:9], v[26:27], v[28:29]
	v_fma_f64 v[24:25], v[24:25], v[14:15], v[30:31]
	v_fma_f64 v[14:15], v[22:23], v[14:15], -v[16:17]
	s_wait_loadcnt_dscnt 0x0
	v_mul_f64_e32 v[12:13], v[2:3], v[20:21]
	v_mul_f64_e32 v[20:21], v[4:5], v[20:21]
	v_add_f64_e32 v[6:7], v[6:7], v[10:11]
	v_add_f64_e32 v[8:9], v[8:9], v[32:33]
	s_delay_alu instid0(VALU_DEP_4) | instskip(NEXT) | instid1(VALU_DEP_4)
	v_fma_f64 v[4:5], v[4:5], v[18:19], v[12:13]
	v_fma_f64 v[2:3], v[2:3], v[18:19], -v[20:21]
	s_delay_alu instid0(VALU_DEP_4) | instskip(NEXT) | instid1(VALU_DEP_4)
	v_add_f64_e32 v[6:7], v[6:7], v[14:15]
	v_add_f64_e32 v[8:9], v[8:9], v[24:25]
	s_delay_alu instid0(VALU_DEP_2) | instskip(NEXT) | instid1(VALU_DEP_2)
	v_add_f64_e32 v[2:3], v[6:7], v[2:3]
	v_add_f64_e32 v[4:5], v[8:9], v[4:5]
	s_delay_alu instid0(VALU_DEP_2) | instskip(NEXT) | instid1(VALU_DEP_2)
	v_add_f64_e64 v[2:3], v[42:43], -v[2:3]
	v_add_f64_e64 v[4:5], v[44:45], -v[4:5]
	scratch_store_b128 off, v[2:5], off offset:256
	v_cmpx_lt_u32_e32 14, v0
	s_cbranch_execz .LBB104_231
; %bb.230:
	scratch_load_b128 v[5:8], off, s14
	v_dual_mov_b32 v2, v1 :: v_dual_mov_b32 v3, v1
	v_mov_b32_e32 v4, v1
	scratch_store_b128 off, v[1:4], off offset:240
	s_wait_loadcnt 0x0
	ds_store_b128 v128, v[5:8]
.LBB104_231:
	s_wait_alu 0xfffe
	s_or_b32 exec_lo, exec_lo, s0
	s_wait_storecnt_dscnt 0x0
	s_barrier_signal -1
	s_barrier_wait -1
	global_inv scope:SCOPE_SE
	s_clause 0x8
	scratch_load_b128 v[2:5], off, off offset:256
	scratch_load_b128 v[6:9], off, off offset:272
	;; [unrolled: 1-line block ×9, first 2 shown]
	ds_load_b128 v[38:41], v1 offset:896
	ds_load_b128 v[42:45], v1 offset:912
	s_clause 0x1
	scratch_load_b128 v[129:132], off, off offset:240
	scratch_load_b128 v[133:136], off, off offset:400
	s_mov_b32 s0, exec_lo
	s_wait_loadcnt_dscnt 0xa01
	v_mul_f64_e32 v[137:138], v[40:41], v[4:5]
	v_mul_f64_e32 v[4:5], v[38:39], v[4:5]
	s_wait_loadcnt_dscnt 0x900
	v_mul_f64_e32 v[141:142], v[42:43], v[8:9]
	v_mul_f64_e32 v[8:9], v[44:45], v[8:9]
	s_delay_alu instid0(VALU_DEP_4) | instskip(NEXT) | instid1(VALU_DEP_4)
	v_fma_f64 v[143:144], v[38:39], v[2:3], -v[137:138]
	v_fma_f64 v[145:146], v[40:41], v[2:3], v[4:5]
	ds_load_b128 v[2:5], v1 offset:928
	ds_load_b128 v[137:140], v1 offset:944
	scratch_load_b128 v[38:41], off, off offset:416
	v_fma_f64 v[44:45], v[44:45], v[6:7], v[141:142]
	v_fma_f64 v[42:43], v[42:43], v[6:7], -v[8:9]
	scratch_load_b128 v[6:9], off, off offset:432
	s_wait_loadcnt_dscnt 0xa01
	v_mul_f64_e32 v[147:148], v[2:3], v[12:13]
	v_mul_f64_e32 v[12:13], v[4:5], v[12:13]
	v_add_f64_e32 v[141:142], 0, v[143:144]
	v_add_f64_e32 v[143:144], 0, v[145:146]
	s_wait_loadcnt_dscnt 0x900
	v_mul_f64_e32 v[145:146], v[137:138], v[16:17]
	v_mul_f64_e32 v[16:17], v[139:140], v[16:17]
	v_fma_f64 v[147:148], v[4:5], v[10:11], v[147:148]
	v_fma_f64 v[149:150], v[2:3], v[10:11], -v[12:13]
	ds_load_b128 v[2:5], v1 offset:960
	scratch_load_b128 v[10:13], off, off offset:448
	v_add_f64_e32 v[141:142], v[141:142], v[42:43]
	v_add_f64_e32 v[143:144], v[143:144], v[44:45]
	ds_load_b128 v[42:45], v1 offset:976
	v_fma_f64 v[139:140], v[139:140], v[14:15], v[145:146]
	v_fma_f64 v[137:138], v[137:138], v[14:15], -v[16:17]
	scratch_load_b128 v[14:17], off, off offset:464
	s_wait_loadcnt_dscnt 0xa01
	v_mul_f64_e32 v[151:152], v[2:3], v[20:21]
	v_mul_f64_e32 v[20:21], v[4:5], v[20:21]
	s_wait_loadcnt_dscnt 0x900
	v_mul_f64_e32 v[145:146], v[42:43], v[24:25]
	v_mul_f64_e32 v[24:25], v[44:45], v[24:25]
	v_add_f64_e32 v[141:142], v[141:142], v[149:150]
	v_add_f64_e32 v[143:144], v[143:144], v[147:148]
	v_fma_f64 v[147:148], v[4:5], v[18:19], v[151:152]
	v_fma_f64 v[149:150], v[2:3], v[18:19], -v[20:21]
	ds_load_b128 v[2:5], v1 offset:992
	scratch_load_b128 v[18:21], off, off offset:480
	v_fma_f64 v[44:45], v[44:45], v[22:23], v[145:146]
	v_fma_f64 v[42:43], v[42:43], v[22:23], -v[24:25]
	scratch_load_b128 v[22:25], off, off offset:496
	v_add_f64_e32 v[141:142], v[141:142], v[137:138]
	v_add_f64_e32 v[143:144], v[143:144], v[139:140]
	ds_load_b128 v[137:140], v1 offset:1008
	s_wait_loadcnt_dscnt 0xa01
	v_mul_f64_e32 v[151:152], v[2:3], v[28:29]
	v_mul_f64_e32 v[28:29], v[4:5], v[28:29]
	s_wait_loadcnt_dscnt 0x900
	v_mul_f64_e32 v[145:146], v[137:138], v[32:33]
	v_mul_f64_e32 v[32:33], v[139:140], v[32:33]
	v_add_f64_e32 v[141:142], v[141:142], v[149:150]
	v_add_f64_e32 v[143:144], v[143:144], v[147:148]
	v_fma_f64 v[147:148], v[4:5], v[26:27], v[151:152]
	v_fma_f64 v[149:150], v[2:3], v[26:27], -v[28:29]
	ds_load_b128 v[2:5], v1 offset:1024
	scratch_load_b128 v[26:29], off, off offset:512
	v_fma_f64 v[139:140], v[139:140], v[30:31], v[145:146]
	v_fma_f64 v[137:138], v[137:138], v[30:31], -v[32:33]
	scratch_load_b128 v[30:33], off, off offset:528
	v_add_f64_e32 v[141:142], v[141:142], v[42:43]
	v_add_f64_e32 v[143:144], v[143:144], v[44:45]
	ds_load_b128 v[42:45], v1 offset:1040
	s_wait_loadcnt_dscnt 0xa01
	v_mul_f64_e32 v[151:152], v[2:3], v[36:37]
	v_mul_f64_e32 v[36:37], v[4:5], v[36:37]
	s_wait_loadcnt_dscnt 0x800
	v_mul_f64_e32 v[145:146], v[42:43], v[135:136]
	v_add_f64_e32 v[141:142], v[141:142], v[149:150]
	v_add_f64_e32 v[143:144], v[143:144], v[147:148]
	v_mul_f64_e32 v[147:148], v[44:45], v[135:136]
	v_fma_f64 v[149:150], v[4:5], v[34:35], v[151:152]
	v_fma_f64 v[151:152], v[2:3], v[34:35], -v[36:37]
	ds_load_b128 v[2:5], v1 offset:1056
	scratch_load_b128 v[34:37], off, off offset:544
	v_fma_f64 v[44:45], v[44:45], v[133:134], v[145:146]
	v_add_f64_e32 v[141:142], v[141:142], v[137:138]
	v_add_f64_e32 v[139:140], v[143:144], v[139:140]
	ds_load_b128 v[135:138], v1 offset:1072
	v_fma_f64 v[133:134], v[42:43], v[133:134], -v[147:148]
	s_wait_loadcnt_dscnt 0x801
	v_mul_f64_e32 v[143:144], v[2:3], v[40:41]
	v_mul_f64_e32 v[153:154], v[4:5], v[40:41]
	scratch_load_b128 v[40:43], off, off offset:560
	s_wait_loadcnt_dscnt 0x800
	v_mul_f64_e32 v[147:148], v[135:136], v[8:9]
	v_mul_f64_e32 v[8:9], v[137:138], v[8:9]
	v_add_f64_e32 v[141:142], v[141:142], v[151:152]
	v_add_f64_e32 v[139:140], v[139:140], v[149:150]
	v_fma_f64 v[149:150], v[4:5], v[38:39], v[143:144]
	v_fma_f64 v[38:39], v[2:3], v[38:39], -v[153:154]
	ds_load_b128 v[2:5], v1 offset:1088
	ds_load_b128 v[143:146], v1 offset:1104
	v_fma_f64 v[137:138], v[137:138], v[6:7], v[147:148]
	v_fma_f64 v[135:136], v[135:136], v[6:7], -v[8:9]
	scratch_load_b128 v[6:9], off, off offset:592
	v_add_f64_e32 v[133:134], v[141:142], v[133:134]
	v_add_f64_e32 v[44:45], v[139:140], v[44:45]
	scratch_load_b128 v[139:142], off, off offset:576
	s_wait_loadcnt_dscnt 0x901
	v_mul_f64_e32 v[151:152], v[2:3], v[12:13]
	v_mul_f64_e32 v[12:13], v[4:5], v[12:13]
	s_wait_loadcnt_dscnt 0x800
	v_mul_f64_e32 v[147:148], v[143:144], v[16:17]
	v_mul_f64_e32 v[16:17], v[145:146], v[16:17]
	v_add_f64_e32 v[38:39], v[133:134], v[38:39]
	v_add_f64_e32 v[44:45], v[44:45], v[149:150]
	v_fma_f64 v[149:150], v[4:5], v[10:11], v[151:152]
	v_fma_f64 v[151:152], v[2:3], v[10:11], -v[12:13]
	ds_load_b128 v[2:5], v1 offset:1120
	scratch_load_b128 v[10:13], off, off offset:608
	v_fma_f64 v[145:146], v[145:146], v[14:15], v[147:148]
	v_fma_f64 v[143:144], v[143:144], v[14:15], -v[16:17]
	scratch_load_b128 v[14:17], off, off offset:624
	v_add_f64_e32 v[38:39], v[38:39], v[135:136]
	v_add_f64_e32 v[44:45], v[44:45], v[137:138]
	ds_load_b128 v[133:136], v1 offset:1136
	s_wait_loadcnt_dscnt 0x901
	v_mul_f64_e32 v[137:138], v[2:3], v[20:21]
	v_mul_f64_e32 v[20:21], v[4:5], v[20:21]
	s_wait_loadcnt_dscnt 0x800
	v_mul_f64_e32 v[147:148], v[133:134], v[24:25]
	v_mul_f64_e32 v[24:25], v[135:136], v[24:25]
	v_add_f64_e32 v[38:39], v[38:39], v[151:152]
	v_add_f64_e32 v[44:45], v[44:45], v[149:150]
	v_fma_f64 v[137:138], v[4:5], v[18:19], v[137:138]
	v_fma_f64 v[149:150], v[2:3], v[18:19], -v[20:21]
	ds_load_b128 v[2:5], v1 offset:1152
	scratch_load_b128 v[18:21], off, off offset:640
	v_fma_f64 v[135:136], v[135:136], v[22:23], v[147:148]
	v_fma_f64 v[133:134], v[133:134], v[22:23], -v[24:25]
	scratch_load_b128 v[22:25], off, off offset:656
	v_add_f64_e32 v[38:39], v[38:39], v[143:144]
	v_add_f64_e32 v[44:45], v[44:45], v[145:146]
	ds_load_b128 v[143:146], v1 offset:1168
	s_wait_loadcnt_dscnt 0x901
	v_mul_f64_e32 v[151:152], v[2:3], v[28:29]
	v_mul_f64_e32 v[28:29], v[4:5], v[28:29]
	v_add_f64_e32 v[38:39], v[38:39], v[149:150]
	v_add_f64_e32 v[44:45], v[44:45], v[137:138]
	s_wait_loadcnt_dscnt 0x800
	v_mul_f64_e32 v[137:138], v[143:144], v[32:33]
	v_mul_f64_e32 v[32:33], v[145:146], v[32:33]
	v_fma_f64 v[147:148], v[4:5], v[26:27], v[151:152]
	v_fma_f64 v[149:150], v[2:3], v[26:27], -v[28:29]
	ds_load_b128 v[2:5], v1 offset:1184
	ds_load_b128 v[26:29], v1 offset:1200
	v_add_f64_e32 v[38:39], v[38:39], v[133:134]
	v_add_f64_e32 v[44:45], v[44:45], v[135:136]
	s_wait_loadcnt_dscnt 0x701
	v_mul_f64_e32 v[133:134], v[2:3], v[36:37]
	v_mul_f64_e32 v[36:37], v[4:5], v[36:37]
	v_fma_f64 v[135:136], v[145:146], v[30:31], v[137:138]
	v_fma_f64 v[30:31], v[143:144], v[30:31], -v[32:33]
	v_add_f64_e32 v[32:33], v[38:39], v[149:150]
	v_add_f64_e32 v[38:39], v[44:45], v[147:148]
	s_wait_loadcnt_dscnt 0x600
	v_mul_f64_e32 v[44:45], v[26:27], v[42:43]
	v_mul_f64_e32 v[42:43], v[28:29], v[42:43]
	v_fma_f64 v[133:134], v[4:5], v[34:35], v[133:134]
	v_fma_f64 v[34:35], v[2:3], v[34:35], -v[36:37]
	v_add_f64_e32 v[36:37], v[32:33], v[30:31]
	v_add_f64_e32 v[38:39], v[38:39], v[135:136]
	ds_load_b128 v[2:5], v1 offset:1216
	ds_load_b128 v[30:33], v1 offset:1232
	v_fma_f64 v[28:29], v[28:29], v[40:41], v[44:45]
	v_fma_f64 v[26:27], v[26:27], v[40:41], -v[42:43]
	s_wait_loadcnt_dscnt 0x401
	v_mul_f64_e32 v[135:136], v[2:3], v[141:142]
	v_mul_f64_e32 v[137:138], v[4:5], v[141:142]
	v_add_f64_e32 v[34:35], v[36:37], v[34:35]
	v_add_f64_e32 v[36:37], v[38:39], v[133:134]
	s_wait_dscnt 0x0
	v_mul_f64_e32 v[38:39], v[30:31], v[8:9]
	v_mul_f64_e32 v[8:9], v[32:33], v[8:9]
	v_fma_f64 v[40:41], v[4:5], v[139:140], v[135:136]
	v_fma_f64 v[42:43], v[2:3], v[139:140], -v[137:138]
	v_add_f64_e32 v[34:35], v[34:35], v[26:27]
	v_add_f64_e32 v[36:37], v[36:37], v[28:29]
	ds_load_b128 v[2:5], v1 offset:1248
	ds_load_b128 v[26:29], v1 offset:1264
	v_fma_f64 v[32:33], v[32:33], v[6:7], v[38:39]
	v_fma_f64 v[6:7], v[30:31], v[6:7], -v[8:9]
	s_wait_loadcnt_dscnt 0x301
	v_mul_f64_e32 v[44:45], v[2:3], v[12:13]
	v_mul_f64_e32 v[12:13], v[4:5], v[12:13]
	v_add_f64_e32 v[8:9], v[34:35], v[42:43]
	v_add_f64_e32 v[30:31], v[36:37], v[40:41]
	s_wait_loadcnt_dscnt 0x200
	v_mul_f64_e32 v[34:35], v[26:27], v[16:17]
	v_mul_f64_e32 v[16:17], v[28:29], v[16:17]
	v_fma_f64 v[36:37], v[4:5], v[10:11], v[44:45]
	v_fma_f64 v[10:11], v[2:3], v[10:11], -v[12:13]
	v_add_f64_e32 v[12:13], v[8:9], v[6:7]
	v_add_f64_e32 v[30:31], v[30:31], v[32:33]
	ds_load_b128 v[2:5], v1 offset:1280
	ds_load_b128 v[6:9], v1 offset:1296
	v_fma_f64 v[28:29], v[28:29], v[14:15], v[34:35]
	v_fma_f64 v[14:15], v[26:27], v[14:15], -v[16:17]
	s_wait_loadcnt_dscnt 0x101
	v_mul_f64_e32 v[32:33], v[2:3], v[20:21]
	v_mul_f64_e32 v[20:21], v[4:5], v[20:21]
	s_wait_loadcnt_dscnt 0x0
	v_mul_f64_e32 v[16:17], v[6:7], v[24:25]
	v_mul_f64_e32 v[24:25], v[8:9], v[24:25]
	v_add_f64_e32 v[10:11], v[12:13], v[10:11]
	v_add_f64_e32 v[12:13], v[30:31], v[36:37]
	v_fma_f64 v[4:5], v[4:5], v[18:19], v[32:33]
	v_fma_f64 v[1:2], v[2:3], v[18:19], -v[20:21]
	v_fma_f64 v[8:9], v[8:9], v[22:23], v[16:17]
	v_fma_f64 v[6:7], v[6:7], v[22:23], -v[24:25]
	v_add_f64_e32 v[10:11], v[10:11], v[14:15]
	v_add_f64_e32 v[12:13], v[12:13], v[28:29]
	s_delay_alu instid0(VALU_DEP_2) | instskip(NEXT) | instid1(VALU_DEP_2)
	v_add_f64_e32 v[1:2], v[10:11], v[1:2]
	v_add_f64_e32 v[3:4], v[12:13], v[4:5]
	s_delay_alu instid0(VALU_DEP_2) | instskip(NEXT) | instid1(VALU_DEP_2)
	v_add_f64_e32 v[1:2], v[1:2], v[6:7]
	v_add_f64_e32 v[3:4], v[3:4], v[8:9]
	s_delay_alu instid0(VALU_DEP_2) | instskip(NEXT) | instid1(VALU_DEP_2)
	v_add_f64_e64 v[1:2], v[129:130], -v[1:2]
	v_add_f64_e64 v[3:4], v[131:132], -v[3:4]
	scratch_store_b128 off, v[1:4], off offset:240
	v_cmpx_lt_u32_e32 13, v0
	s_cbranch_execz .LBB104_233
; %bb.232:
	scratch_load_b128 v[1:4], off, s34
	v_mov_b32_e32 v5, 0
	s_delay_alu instid0(VALU_DEP_1)
	v_dual_mov_b32 v6, v5 :: v_dual_mov_b32 v7, v5
	v_mov_b32_e32 v8, v5
	scratch_store_b128 off, v[5:8], off offset:224
	s_wait_loadcnt 0x0
	ds_store_b128 v128, v[1:4]
.LBB104_233:
	s_wait_alu 0xfffe
	s_or_b32 exec_lo, exec_lo, s0
	s_wait_storecnt_dscnt 0x0
	s_barrier_signal -1
	s_barrier_wait -1
	global_inv scope:SCOPE_SE
	s_clause 0x7
	scratch_load_b128 v[2:5], off, off offset:240
	scratch_load_b128 v[6:9], off, off offset:256
	;; [unrolled: 1-line block ×8, first 2 shown]
	v_mov_b32_e32 v1, 0
	s_mov_b32 s0, exec_lo
	ds_load_b128 v[34:37], v1 offset:880
	s_clause 0x1
	scratch_load_b128 v[38:41], off, off offset:368
	scratch_load_b128 v[42:45], off, off offset:224
	ds_load_b128 v[129:132], v1 offset:896
	scratch_load_b128 v[133:136], off, off offset:384
	s_wait_loadcnt_dscnt 0xa01
	v_mul_f64_e32 v[137:138], v[36:37], v[4:5]
	v_mul_f64_e32 v[4:5], v[34:35], v[4:5]
	s_delay_alu instid0(VALU_DEP_2) | instskip(NEXT) | instid1(VALU_DEP_2)
	v_fma_f64 v[143:144], v[34:35], v[2:3], -v[137:138]
	v_fma_f64 v[145:146], v[36:37], v[2:3], v[4:5]
	ds_load_b128 v[2:5], v1 offset:912
	s_wait_loadcnt_dscnt 0x901
	v_mul_f64_e32 v[141:142], v[129:130], v[8:9]
	v_mul_f64_e32 v[8:9], v[131:132], v[8:9]
	scratch_load_b128 v[34:37], off, off offset:400
	ds_load_b128 v[137:140], v1 offset:928
	s_wait_loadcnt_dscnt 0x901
	v_mul_f64_e32 v[147:148], v[2:3], v[12:13]
	v_mul_f64_e32 v[12:13], v[4:5], v[12:13]
	v_fma_f64 v[131:132], v[131:132], v[6:7], v[141:142]
	v_fma_f64 v[129:130], v[129:130], v[6:7], -v[8:9]
	v_add_f64_e32 v[141:142], 0, v[143:144]
	v_add_f64_e32 v[143:144], 0, v[145:146]
	scratch_load_b128 v[6:9], off, off offset:416
	v_fma_f64 v[147:148], v[4:5], v[10:11], v[147:148]
	v_fma_f64 v[149:150], v[2:3], v[10:11], -v[12:13]
	ds_load_b128 v[2:5], v1 offset:944
	s_wait_loadcnt_dscnt 0x901
	v_mul_f64_e32 v[145:146], v[137:138], v[16:17]
	v_mul_f64_e32 v[16:17], v[139:140], v[16:17]
	scratch_load_b128 v[10:13], off, off offset:432
	v_add_f64_e32 v[141:142], v[141:142], v[129:130]
	v_add_f64_e32 v[143:144], v[143:144], v[131:132]
	s_wait_loadcnt_dscnt 0x900
	v_mul_f64_e32 v[151:152], v[2:3], v[20:21]
	v_mul_f64_e32 v[20:21], v[4:5], v[20:21]
	ds_load_b128 v[129:132], v1 offset:960
	v_fma_f64 v[139:140], v[139:140], v[14:15], v[145:146]
	v_fma_f64 v[137:138], v[137:138], v[14:15], -v[16:17]
	scratch_load_b128 v[14:17], off, off offset:448
	v_add_f64_e32 v[141:142], v[141:142], v[149:150]
	v_add_f64_e32 v[143:144], v[143:144], v[147:148]
	v_fma_f64 v[147:148], v[4:5], v[18:19], v[151:152]
	v_fma_f64 v[149:150], v[2:3], v[18:19], -v[20:21]
	ds_load_b128 v[2:5], v1 offset:976
	s_wait_loadcnt_dscnt 0x901
	v_mul_f64_e32 v[145:146], v[129:130], v[24:25]
	v_mul_f64_e32 v[24:25], v[131:132], v[24:25]
	scratch_load_b128 v[18:21], off, off offset:464
	s_wait_loadcnt_dscnt 0x900
	v_mul_f64_e32 v[151:152], v[2:3], v[28:29]
	v_mul_f64_e32 v[28:29], v[4:5], v[28:29]
	v_add_f64_e32 v[141:142], v[141:142], v[137:138]
	v_add_f64_e32 v[143:144], v[143:144], v[139:140]
	ds_load_b128 v[137:140], v1 offset:992
	v_fma_f64 v[131:132], v[131:132], v[22:23], v[145:146]
	v_fma_f64 v[129:130], v[129:130], v[22:23], -v[24:25]
	scratch_load_b128 v[22:25], off, off offset:480
	v_add_f64_e32 v[141:142], v[141:142], v[149:150]
	v_add_f64_e32 v[143:144], v[143:144], v[147:148]
	v_fma_f64 v[147:148], v[4:5], v[26:27], v[151:152]
	v_fma_f64 v[149:150], v[2:3], v[26:27], -v[28:29]
	ds_load_b128 v[2:5], v1 offset:1008
	s_wait_loadcnt_dscnt 0x901
	v_mul_f64_e32 v[145:146], v[137:138], v[32:33]
	v_mul_f64_e32 v[32:33], v[139:140], v[32:33]
	scratch_load_b128 v[26:29], off, off offset:496
	s_wait_loadcnt_dscnt 0x900
	v_mul_f64_e32 v[151:152], v[2:3], v[40:41]
	v_mul_f64_e32 v[40:41], v[4:5], v[40:41]
	v_add_f64_e32 v[141:142], v[141:142], v[129:130]
	v_add_f64_e32 v[143:144], v[143:144], v[131:132]
	ds_load_b128 v[129:132], v1 offset:1024
	v_fma_f64 v[139:140], v[139:140], v[30:31], v[145:146]
	v_fma_f64 v[137:138], v[137:138], v[30:31], -v[32:33]
	scratch_load_b128 v[30:33], off, off offset:512
	v_add_f64_e32 v[141:142], v[141:142], v[149:150]
	v_add_f64_e32 v[143:144], v[143:144], v[147:148]
	v_fma_f64 v[149:150], v[4:5], v[38:39], v[151:152]
	v_fma_f64 v[151:152], v[2:3], v[38:39], -v[40:41]
	ds_load_b128 v[2:5], v1 offset:1040
	s_wait_loadcnt_dscnt 0x801
	v_mul_f64_e32 v[145:146], v[129:130], v[135:136]
	v_mul_f64_e32 v[147:148], v[131:132], v[135:136]
	scratch_load_b128 v[38:41], off, off offset:528
	v_add_f64_e32 v[141:142], v[141:142], v[137:138]
	v_add_f64_e32 v[139:140], v[143:144], v[139:140]
	ds_load_b128 v[135:138], v1 offset:1056
	v_fma_f64 v[145:146], v[131:132], v[133:134], v[145:146]
	v_fma_f64 v[133:134], v[129:130], v[133:134], -v[147:148]
	scratch_load_b128 v[129:132], off, off offset:544
	s_wait_loadcnt_dscnt 0x901
	v_mul_f64_e32 v[143:144], v[2:3], v[36:37]
	v_mul_f64_e32 v[36:37], v[4:5], v[36:37]
	v_add_f64_e32 v[141:142], v[141:142], v[151:152]
	v_add_f64_e32 v[139:140], v[139:140], v[149:150]
	s_delay_alu instid0(VALU_DEP_4) | instskip(NEXT) | instid1(VALU_DEP_4)
	v_fma_f64 v[143:144], v[4:5], v[34:35], v[143:144]
	v_fma_f64 v[149:150], v[2:3], v[34:35], -v[36:37]
	ds_load_b128 v[2:5], v1 offset:1072
	s_wait_loadcnt_dscnt 0x801
	v_mul_f64_e32 v[147:148], v[135:136], v[8:9]
	v_mul_f64_e32 v[8:9], v[137:138], v[8:9]
	scratch_load_b128 v[34:37], off, off offset:560
	s_wait_loadcnt_dscnt 0x800
	v_mul_f64_e32 v[151:152], v[2:3], v[12:13]
	v_add_f64_e32 v[133:134], v[141:142], v[133:134]
	v_add_f64_e32 v[145:146], v[139:140], v[145:146]
	v_mul_f64_e32 v[12:13], v[4:5], v[12:13]
	ds_load_b128 v[139:142], v1 offset:1088
	v_fma_f64 v[137:138], v[137:138], v[6:7], v[147:148]
	v_fma_f64 v[135:136], v[135:136], v[6:7], -v[8:9]
	scratch_load_b128 v[6:9], off, off offset:576
	v_fma_f64 v[147:148], v[4:5], v[10:11], v[151:152]
	v_add_f64_e32 v[133:134], v[133:134], v[149:150]
	v_add_f64_e32 v[143:144], v[145:146], v[143:144]
	v_fma_f64 v[149:150], v[2:3], v[10:11], -v[12:13]
	ds_load_b128 v[2:5], v1 offset:1104
	s_wait_loadcnt_dscnt 0x801
	v_mul_f64_e32 v[145:146], v[139:140], v[16:17]
	v_mul_f64_e32 v[16:17], v[141:142], v[16:17]
	scratch_load_b128 v[10:13], off, off offset:592
	v_add_f64_e32 v[151:152], v[133:134], v[135:136]
	v_add_f64_e32 v[137:138], v[143:144], v[137:138]
	s_wait_loadcnt_dscnt 0x800
	v_mul_f64_e32 v[143:144], v[2:3], v[20:21]
	v_mul_f64_e32 v[20:21], v[4:5], v[20:21]
	v_fma_f64 v[141:142], v[141:142], v[14:15], v[145:146]
	v_fma_f64 v[139:140], v[139:140], v[14:15], -v[16:17]
	ds_load_b128 v[133:136], v1 offset:1120
	scratch_load_b128 v[14:17], off, off offset:608
	v_add_f64_e32 v[145:146], v[151:152], v[149:150]
	v_add_f64_e32 v[137:138], v[137:138], v[147:148]
	v_fma_f64 v[143:144], v[4:5], v[18:19], v[143:144]
	v_fma_f64 v[149:150], v[2:3], v[18:19], -v[20:21]
	ds_load_b128 v[2:5], v1 offset:1136
	s_wait_loadcnt_dscnt 0x801
	v_mul_f64_e32 v[147:148], v[133:134], v[24:25]
	v_mul_f64_e32 v[24:25], v[135:136], v[24:25]
	scratch_load_b128 v[18:21], off, off offset:624
	s_wait_loadcnt_dscnt 0x800
	v_mul_f64_e32 v[151:152], v[2:3], v[28:29]
	v_mul_f64_e32 v[28:29], v[4:5], v[28:29]
	v_add_f64_e32 v[145:146], v[145:146], v[139:140]
	v_add_f64_e32 v[141:142], v[137:138], v[141:142]
	ds_load_b128 v[137:140], v1 offset:1152
	v_fma_f64 v[135:136], v[135:136], v[22:23], v[147:148]
	v_fma_f64 v[133:134], v[133:134], v[22:23], -v[24:25]
	scratch_load_b128 v[22:25], off, off offset:640
	v_fma_f64 v[147:148], v[4:5], v[26:27], v[151:152]
	v_add_f64_e32 v[145:146], v[145:146], v[149:150]
	v_add_f64_e32 v[141:142], v[141:142], v[143:144]
	v_fma_f64 v[149:150], v[2:3], v[26:27], -v[28:29]
	ds_load_b128 v[2:5], v1 offset:1168
	s_wait_loadcnt_dscnt 0x801
	v_mul_f64_e32 v[143:144], v[137:138], v[32:33]
	v_mul_f64_e32 v[32:33], v[139:140], v[32:33]
	scratch_load_b128 v[26:29], off, off offset:656
	s_wait_loadcnt_dscnt 0x800
	v_mul_f64_e32 v[151:152], v[2:3], v[40:41]
	v_mul_f64_e32 v[40:41], v[4:5], v[40:41]
	v_add_f64_e32 v[145:146], v[145:146], v[133:134]
	v_add_f64_e32 v[141:142], v[141:142], v[135:136]
	ds_load_b128 v[133:136], v1 offset:1184
	v_fma_f64 v[139:140], v[139:140], v[30:31], v[143:144]
	v_fma_f64 v[30:31], v[137:138], v[30:31], -v[32:33]
	v_fma_f64 v[143:144], v[4:5], v[38:39], v[151:152]
	v_fma_f64 v[38:39], v[2:3], v[38:39], -v[40:41]
	v_add_f64_e32 v[32:33], v[145:146], v[149:150]
	v_add_f64_e32 v[137:138], v[141:142], v[147:148]
	s_wait_loadcnt_dscnt 0x700
	v_mul_f64_e32 v[141:142], v[133:134], v[131:132]
	v_mul_f64_e32 v[131:132], v[135:136], v[131:132]
	s_delay_alu instid0(VALU_DEP_4) | instskip(NEXT) | instid1(VALU_DEP_4)
	v_add_f64_e32 v[40:41], v[32:33], v[30:31]
	v_add_f64_e32 v[137:138], v[137:138], v[139:140]
	ds_load_b128 v[2:5], v1 offset:1200
	ds_load_b128 v[30:33], v1 offset:1216
	v_fma_f64 v[135:136], v[135:136], v[129:130], v[141:142]
	v_fma_f64 v[129:130], v[133:134], v[129:130], -v[131:132]
	s_wait_loadcnt_dscnt 0x601
	v_mul_f64_e32 v[139:140], v[2:3], v[36:37]
	v_mul_f64_e32 v[36:37], v[4:5], v[36:37]
	s_wait_loadcnt_dscnt 0x500
	v_mul_f64_e32 v[131:132], v[30:31], v[8:9]
	v_mul_f64_e32 v[8:9], v[32:33], v[8:9]
	v_add_f64_e32 v[38:39], v[40:41], v[38:39]
	v_add_f64_e32 v[40:41], v[137:138], v[143:144]
	v_fma_f64 v[133:134], v[4:5], v[34:35], v[139:140]
	v_fma_f64 v[137:138], v[2:3], v[34:35], -v[36:37]
	ds_load_b128 v[2:5], v1 offset:1232
	ds_load_b128 v[34:37], v1 offset:1248
	v_fma_f64 v[32:33], v[32:33], v[6:7], v[131:132]
	v_fma_f64 v[6:7], v[30:31], v[6:7], -v[8:9]
	v_add_f64_e32 v[38:39], v[38:39], v[129:130]
	v_add_f64_e32 v[40:41], v[40:41], v[135:136]
	s_wait_loadcnt_dscnt 0x401
	v_mul_f64_e32 v[129:130], v[2:3], v[12:13]
	v_mul_f64_e32 v[12:13], v[4:5], v[12:13]
	s_delay_alu instid0(VALU_DEP_4) | instskip(NEXT) | instid1(VALU_DEP_4)
	v_add_f64_e32 v[8:9], v[38:39], v[137:138]
	v_add_f64_e32 v[30:31], v[40:41], v[133:134]
	s_wait_loadcnt_dscnt 0x300
	v_mul_f64_e32 v[38:39], v[34:35], v[16:17]
	v_mul_f64_e32 v[16:17], v[36:37], v[16:17]
	v_fma_f64 v[40:41], v[4:5], v[10:11], v[129:130]
	v_fma_f64 v[10:11], v[2:3], v[10:11], -v[12:13]
	v_add_f64_e32 v[12:13], v[8:9], v[6:7]
	v_add_f64_e32 v[30:31], v[30:31], v[32:33]
	ds_load_b128 v[2:5], v1 offset:1264
	ds_load_b128 v[6:9], v1 offset:1280
	v_fma_f64 v[36:37], v[36:37], v[14:15], v[38:39]
	v_fma_f64 v[14:15], v[34:35], v[14:15], -v[16:17]
	s_wait_loadcnt_dscnt 0x201
	v_mul_f64_e32 v[32:33], v[2:3], v[20:21]
	v_mul_f64_e32 v[20:21], v[4:5], v[20:21]
	s_wait_loadcnt_dscnt 0x100
	v_mul_f64_e32 v[16:17], v[6:7], v[24:25]
	v_mul_f64_e32 v[24:25], v[8:9], v[24:25]
	v_add_f64_e32 v[10:11], v[12:13], v[10:11]
	v_add_f64_e32 v[12:13], v[30:31], v[40:41]
	v_fma_f64 v[30:31], v[4:5], v[18:19], v[32:33]
	v_fma_f64 v[18:19], v[2:3], v[18:19], -v[20:21]
	ds_load_b128 v[2:5], v1 offset:1296
	v_fma_f64 v[8:9], v[8:9], v[22:23], v[16:17]
	v_fma_f64 v[6:7], v[6:7], v[22:23], -v[24:25]
	v_add_f64_e32 v[10:11], v[10:11], v[14:15]
	v_add_f64_e32 v[12:13], v[12:13], v[36:37]
	s_wait_loadcnt_dscnt 0x0
	v_mul_f64_e32 v[14:15], v[2:3], v[28:29]
	v_mul_f64_e32 v[20:21], v[4:5], v[28:29]
	s_delay_alu instid0(VALU_DEP_4) | instskip(NEXT) | instid1(VALU_DEP_4)
	v_add_f64_e32 v[10:11], v[10:11], v[18:19]
	v_add_f64_e32 v[12:13], v[12:13], v[30:31]
	s_delay_alu instid0(VALU_DEP_4) | instskip(NEXT) | instid1(VALU_DEP_4)
	v_fma_f64 v[4:5], v[4:5], v[26:27], v[14:15]
	v_fma_f64 v[2:3], v[2:3], v[26:27], -v[20:21]
	s_delay_alu instid0(VALU_DEP_4) | instskip(NEXT) | instid1(VALU_DEP_4)
	v_add_f64_e32 v[6:7], v[10:11], v[6:7]
	v_add_f64_e32 v[8:9], v[12:13], v[8:9]
	s_delay_alu instid0(VALU_DEP_2) | instskip(NEXT) | instid1(VALU_DEP_2)
	v_add_f64_e32 v[2:3], v[6:7], v[2:3]
	v_add_f64_e32 v[4:5], v[8:9], v[4:5]
	s_delay_alu instid0(VALU_DEP_2) | instskip(NEXT) | instid1(VALU_DEP_2)
	v_add_f64_e64 v[2:3], v[42:43], -v[2:3]
	v_add_f64_e64 v[4:5], v[44:45], -v[4:5]
	scratch_store_b128 off, v[2:5], off offset:224
	v_cmpx_lt_u32_e32 12, v0
	s_cbranch_execz .LBB104_235
; %bb.234:
	scratch_load_b128 v[5:8], off, s13
	v_dual_mov_b32 v2, v1 :: v_dual_mov_b32 v3, v1
	v_mov_b32_e32 v4, v1
	scratch_store_b128 off, v[1:4], off offset:208
	s_wait_loadcnt 0x0
	ds_store_b128 v128, v[5:8]
.LBB104_235:
	s_wait_alu 0xfffe
	s_or_b32 exec_lo, exec_lo, s0
	s_wait_storecnt_dscnt 0x0
	s_barrier_signal -1
	s_barrier_wait -1
	global_inv scope:SCOPE_SE
	s_clause 0x8
	scratch_load_b128 v[2:5], off, off offset:224
	scratch_load_b128 v[6:9], off, off offset:240
	scratch_load_b128 v[10:13], off, off offset:256
	scratch_load_b128 v[14:17], off, off offset:272
	scratch_load_b128 v[18:21], off, off offset:288
	scratch_load_b128 v[22:25], off, off offset:304
	scratch_load_b128 v[26:29], off, off offset:320
	scratch_load_b128 v[30:33], off, off offset:336
	scratch_load_b128 v[34:37], off, off offset:352
	ds_load_b128 v[38:41], v1 offset:864
	ds_load_b128 v[42:45], v1 offset:880
	s_clause 0x1
	scratch_load_b128 v[129:132], off, off offset:208
	scratch_load_b128 v[133:136], off, off offset:368
	s_mov_b32 s0, exec_lo
	s_wait_loadcnt_dscnt 0xa01
	v_mul_f64_e32 v[137:138], v[40:41], v[4:5]
	v_mul_f64_e32 v[4:5], v[38:39], v[4:5]
	s_wait_loadcnt_dscnt 0x900
	v_mul_f64_e32 v[141:142], v[42:43], v[8:9]
	v_mul_f64_e32 v[8:9], v[44:45], v[8:9]
	s_delay_alu instid0(VALU_DEP_4) | instskip(NEXT) | instid1(VALU_DEP_4)
	v_fma_f64 v[143:144], v[38:39], v[2:3], -v[137:138]
	v_fma_f64 v[145:146], v[40:41], v[2:3], v[4:5]
	ds_load_b128 v[2:5], v1 offset:896
	ds_load_b128 v[137:140], v1 offset:912
	scratch_load_b128 v[38:41], off, off offset:384
	v_fma_f64 v[44:45], v[44:45], v[6:7], v[141:142]
	v_fma_f64 v[42:43], v[42:43], v[6:7], -v[8:9]
	scratch_load_b128 v[6:9], off, off offset:400
	s_wait_loadcnt_dscnt 0xa01
	v_mul_f64_e32 v[147:148], v[2:3], v[12:13]
	v_mul_f64_e32 v[12:13], v[4:5], v[12:13]
	v_add_f64_e32 v[141:142], 0, v[143:144]
	v_add_f64_e32 v[143:144], 0, v[145:146]
	s_wait_loadcnt_dscnt 0x900
	v_mul_f64_e32 v[145:146], v[137:138], v[16:17]
	v_mul_f64_e32 v[16:17], v[139:140], v[16:17]
	v_fma_f64 v[147:148], v[4:5], v[10:11], v[147:148]
	v_fma_f64 v[149:150], v[2:3], v[10:11], -v[12:13]
	ds_load_b128 v[2:5], v1 offset:928
	scratch_load_b128 v[10:13], off, off offset:416
	v_add_f64_e32 v[141:142], v[141:142], v[42:43]
	v_add_f64_e32 v[143:144], v[143:144], v[44:45]
	ds_load_b128 v[42:45], v1 offset:944
	v_fma_f64 v[139:140], v[139:140], v[14:15], v[145:146]
	v_fma_f64 v[137:138], v[137:138], v[14:15], -v[16:17]
	scratch_load_b128 v[14:17], off, off offset:432
	s_wait_loadcnt_dscnt 0xa01
	v_mul_f64_e32 v[151:152], v[2:3], v[20:21]
	v_mul_f64_e32 v[20:21], v[4:5], v[20:21]
	s_wait_loadcnt_dscnt 0x900
	v_mul_f64_e32 v[145:146], v[42:43], v[24:25]
	v_mul_f64_e32 v[24:25], v[44:45], v[24:25]
	v_add_f64_e32 v[141:142], v[141:142], v[149:150]
	v_add_f64_e32 v[143:144], v[143:144], v[147:148]
	v_fma_f64 v[147:148], v[4:5], v[18:19], v[151:152]
	v_fma_f64 v[149:150], v[2:3], v[18:19], -v[20:21]
	ds_load_b128 v[2:5], v1 offset:960
	scratch_load_b128 v[18:21], off, off offset:448
	v_fma_f64 v[44:45], v[44:45], v[22:23], v[145:146]
	v_fma_f64 v[42:43], v[42:43], v[22:23], -v[24:25]
	scratch_load_b128 v[22:25], off, off offset:464
	v_add_f64_e32 v[141:142], v[141:142], v[137:138]
	v_add_f64_e32 v[143:144], v[143:144], v[139:140]
	ds_load_b128 v[137:140], v1 offset:976
	s_wait_loadcnt_dscnt 0xa01
	v_mul_f64_e32 v[151:152], v[2:3], v[28:29]
	v_mul_f64_e32 v[28:29], v[4:5], v[28:29]
	s_wait_loadcnt_dscnt 0x900
	v_mul_f64_e32 v[145:146], v[137:138], v[32:33]
	v_mul_f64_e32 v[32:33], v[139:140], v[32:33]
	v_add_f64_e32 v[141:142], v[141:142], v[149:150]
	v_add_f64_e32 v[143:144], v[143:144], v[147:148]
	v_fma_f64 v[147:148], v[4:5], v[26:27], v[151:152]
	v_fma_f64 v[149:150], v[2:3], v[26:27], -v[28:29]
	ds_load_b128 v[2:5], v1 offset:992
	scratch_load_b128 v[26:29], off, off offset:480
	v_fma_f64 v[139:140], v[139:140], v[30:31], v[145:146]
	v_fma_f64 v[137:138], v[137:138], v[30:31], -v[32:33]
	scratch_load_b128 v[30:33], off, off offset:496
	v_add_f64_e32 v[141:142], v[141:142], v[42:43]
	v_add_f64_e32 v[143:144], v[143:144], v[44:45]
	ds_load_b128 v[42:45], v1 offset:1008
	s_wait_loadcnt_dscnt 0xa01
	v_mul_f64_e32 v[151:152], v[2:3], v[36:37]
	v_mul_f64_e32 v[36:37], v[4:5], v[36:37]
	s_wait_loadcnt_dscnt 0x800
	v_mul_f64_e32 v[145:146], v[42:43], v[135:136]
	v_add_f64_e32 v[141:142], v[141:142], v[149:150]
	v_add_f64_e32 v[143:144], v[143:144], v[147:148]
	v_mul_f64_e32 v[147:148], v[44:45], v[135:136]
	v_fma_f64 v[149:150], v[4:5], v[34:35], v[151:152]
	v_fma_f64 v[151:152], v[2:3], v[34:35], -v[36:37]
	ds_load_b128 v[2:5], v1 offset:1024
	scratch_load_b128 v[34:37], off, off offset:512
	v_fma_f64 v[44:45], v[44:45], v[133:134], v[145:146]
	v_add_f64_e32 v[141:142], v[141:142], v[137:138]
	v_add_f64_e32 v[139:140], v[143:144], v[139:140]
	ds_load_b128 v[135:138], v1 offset:1040
	v_fma_f64 v[133:134], v[42:43], v[133:134], -v[147:148]
	s_wait_loadcnt_dscnt 0x801
	v_mul_f64_e32 v[143:144], v[2:3], v[40:41]
	v_mul_f64_e32 v[153:154], v[4:5], v[40:41]
	scratch_load_b128 v[40:43], off, off offset:528
	s_wait_loadcnt_dscnt 0x800
	v_mul_f64_e32 v[147:148], v[135:136], v[8:9]
	v_mul_f64_e32 v[8:9], v[137:138], v[8:9]
	v_add_f64_e32 v[141:142], v[141:142], v[151:152]
	v_add_f64_e32 v[139:140], v[139:140], v[149:150]
	v_fma_f64 v[149:150], v[4:5], v[38:39], v[143:144]
	v_fma_f64 v[38:39], v[2:3], v[38:39], -v[153:154]
	ds_load_b128 v[2:5], v1 offset:1056
	ds_load_b128 v[143:146], v1 offset:1072
	v_fma_f64 v[137:138], v[137:138], v[6:7], v[147:148]
	v_fma_f64 v[135:136], v[135:136], v[6:7], -v[8:9]
	scratch_load_b128 v[6:9], off, off offset:560
	v_add_f64_e32 v[133:134], v[141:142], v[133:134]
	v_add_f64_e32 v[44:45], v[139:140], v[44:45]
	scratch_load_b128 v[139:142], off, off offset:544
	s_wait_loadcnt_dscnt 0x901
	v_mul_f64_e32 v[151:152], v[2:3], v[12:13]
	v_mul_f64_e32 v[12:13], v[4:5], v[12:13]
	s_wait_loadcnt_dscnt 0x800
	v_mul_f64_e32 v[147:148], v[143:144], v[16:17]
	v_mul_f64_e32 v[16:17], v[145:146], v[16:17]
	v_add_f64_e32 v[38:39], v[133:134], v[38:39]
	v_add_f64_e32 v[44:45], v[44:45], v[149:150]
	v_fma_f64 v[149:150], v[4:5], v[10:11], v[151:152]
	v_fma_f64 v[151:152], v[2:3], v[10:11], -v[12:13]
	ds_load_b128 v[2:5], v1 offset:1088
	scratch_load_b128 v[10:13], off, off offset:576
	v_fma_f64 v[145:146], v[145:146], v[14:15], v[147:148]
	v_fma_f64 v[143:144], v[143:144], v[14:15], -v[16:17]
	scratch_load_b128 v[14:17], off, off offset:592
	v_add_f64_e32 v[38:39], v[38:39], v[135:136]
	v_add_f64_e32 v[44:45], v[44:45], v[137:138]
	ds_load_b128 v[133:136], v1 offset:1104
	s_wait_loadcnt_dscnt 0x901
	v_mul_f64_e32 v[137:138], v[2:3], v[20:21]
	v_mul_f64_e32 v[20:21], v[4:5], v[20:21]
	s_wait_loadcnt_dscnt 0x800
	v_mul_f64_e32 v[147:148], v[133:134], v[24:25]
	v_mul_f64_e32 v[24:25], v[135:136], v[24:25]
	v_add_f64_e32 v[38:39], v[38:39], v[151:152]
	v_add_f64_e32 v[44:45], v[44:45], v[149:150]
	v_fma_f64 v[137:138], v[4:5], v[18:19], v[137:138]
	v_fma_f64 v[149:150], v[2:3], v[18:19], -v[20:21]
	ds_load_b128 v[2:5], v1 offset:1120
	scratch_load_b128 v[18:21], off, off offset:608
	v_fma_f64 v[135:136], v[135:136], v[22:23], v[147:148]
	v_fma_f64 v[133:134], v[133:134], v[22:23], -v[24:25]
	scratch_load_b128 v[22:25], off, off offset:624
	v_add_f64_e32 v[38:39], v[38:39], v[143:144]
	v_add_f64_e32 v[44:45], v[44:45], v[145:146]
	ds_load_b128 v[143:146], v1 offset:1136
	s_wait_loadcnt_dscnt 0x901
	v_mul_f64_e32 v[151:152], v[2:3], v[28:29]
	v_mul_f64_e32 v[28:29], v[4:5], v[28:29]
	v_add_f64_e32 v[38:39], v[38:39], v[149:150]
	v_add_f64_e32 v[44:45], v[44:45], v[137:138]
	s_wait_loadcnt_dscnt 0x800
	v_mul_f64_e32 v[137:138], v[143:144], v[32:33]
	v_mul_f64_e32 v[32:33], v[145:146], v[32:33]
	v_fma_f64 v[147:148], v[4:5], v[26:27], v[151:152]
	v_fma_f64 v[149:150], v[2:3], v[26:27], -v[28:29]
	ds_load_b128 v[2:5], v1 offset:1152
	scratch_load_b128 v[26:29], off, off offset:640
	v_add_f64_e32 v[38:39], v[38:39], v[133:134]
	v_add_f64_e32 v[44:45], v[44:45], v[135:136]
	ds_load_b128 v[133:136], v1 offset:1168
	s_wait_loadcnt_dscnt 0x801
	v_mul_f64_e32 v[151:152], v[2:3], v[36:37]
	v_mul_f64_e32 v[36:37], v[4:5], v[36:37]
	v_fma_f64 v[137:138], v[145:146], v[30:31], v[137:138]
	v_fma_f64 v[143:144], v[143:144], v[30:31], -v[32:33]
	scratch_load_b128 v[30:33], off, off offset:656
	s_wait_loadcnt_dscnt 0x800
	v_mul_f64_e32 v[145:146], v[133:134], v[42:43]
	v_add_f64_e32 v[38:39], v[38:39], v[149:150]
	v_add_f64_e32 v[44:45], v[44:45], v[147:148]
	v_mul_f64_e32 v[42:43], v[135:136], v[42:43]
	v_fma_f64 v[147:148], v[4:5], v[34:35], v[151:152]
	v_fma_f64 v[149:150], v[2:3], v[34:35], -v[36:37]
	ds_load_b128 v[2:5], v1 offset:1184
	ds_load_b128 v[34:37], v1 offset:1200
	v_fma_f64 v[135:136], v[135:136], v[40:41], v[145:146]
	v_add_f64_e32 v[38:39], v[38:39], v[143:144]
	v_add_f64_e32 v[44:45], v[44:45], v[137:138]
	v_fma_f64 v[40:41], v[133:134], v[40:41], -v[42:43]
	s_wait_loadcnt_dscnt 0x601
	v_mul_f64_e32 v[137:138], v[2:3], v[141:142]
	v_mul_f64_e32 v[141:142], v[4:5], v[141:142]
	v_add_f64_e32 v[38:39], v[38:39], v[149:150]
	v_add_f64_e32 v[42:43], v[44:45], v[147:148]
	s_wait_dscnt 0x0
	v_mul_f64_e32 v[44:45], v[34:35], v[8:9]
	v_mul_f64_e32 v[8:9], v[36:37], v[8:9]
	v_fma_f64 v[133:134], v[4:5], v[139:140], v[137:138]
	v_fma_f64 v[137:138], v[2:3], v[139:140], -v[141:142]
	v_add_f64_e32 v[139:140], v[38:39], v[40:41]
	v_add_f64_e32 v[42:43], v[42:43], v[135:136]
	ds_load_b128 v[2:5], v1 offset:1216
	ds_load_b128 v[38:41], v1 offset:1232
	v_fma_f64 v[36:37], v[36:37], v[6:7], v[44:45]
	v_fma_f64 v[6:7], v[34:35], v[6:7], -v[8:9]
	s_wait_loadcnt_dscnt 0x501
	v_mul_f64_e32 v[135:136], v[2:3], v[12:13]
	v_mul_f64_e32 v[12:13], v[4:5], v[12:13]
	v_add_f64_e32 v[8:9], v[139:140], v[137:138]
	v_add_f64_e32 v[34:35], v[42:43], v[133:134]
	s_wait_loadcnt_dscnt 0x400
	v_mul_f64_e32 v[42:43], v[38:39], v[16:17]
	v_mul_f64_e32 v[16:17], v[40:41], v[16:17]
	v_fma_f64 v[44:45], v[4:5], v[10:11], v[135:136]
	v_fma_f64 v[10:11], v[2:3], v[10:11], -v[12:13]
	v_add_f64_e32 v[12:13], v[8:9], v[6:7]
	v_add_f64_e32 v[34:35], v[34:35], v[36:37]
	ds_load_b128 v[2:5], v1 offset:1248
	ds_load_b128 v[6:9], v1 offset:1264
	v_fma_f64 v[40:41], v[40:41], v[14:15], v[42:43]
	v_fma_f64 v[14:15], v[38:39], v[14:15], -v[16:17]
	s_wait_loadcnt_dscnt 0x301
	v_mul_f64_e32 v[36:37], v[2:3], v[20:21]
	v_mul_f64_e32 v[20:21], v[4:5], v[20:21]
	s_wait_loadcnt_dscnt 0x200
	v_mul_f64_e32 v[16:17], v[6:7], v[24:25]
	v_mul_f64_e32 v[24:25], v[8:9], v[24:25]
	v_add_f64_e32 v[10:11], v[12:13], v[10:11]
	v_add_f64_e32 v[12:13], v[34:35], v[44:45]
	v_fma_f64 v[34:35], v[4:5], v[18:19], v[36:37]
	v_fma_f64 v[18:19], v[2:3], v[18:19], -v[20:21]
	v_fma_f64 v[8:9], v[8:9], v[22:23], v[16:17]
	v_fma_f64 v[6:7], v[6:7], v[22:23], -v[24:25]
	v_add_f64_e32 v[14:15], v[10:11], v[14:15]
	v_add_f64_e32 v[20:21], v[12:13], v[40:41]
	ds_load_b128 v[2:5], v1 offset:1280
	ds_load_b128 v[10:13], v1 offset:1296
	s_wait_loadcnt_dscnt 0x101
	v_mul_f64_e32 v[36:37], v[2:3], v[28:29]
	v_mul_f64_e32 v[28:29], v[4:5], v[28:29]
	v_add_f64_e32 v[14:15], v[14:15], v[18:19]
	v_add_f64_e32 v[16:17], v[20:21], v[34:35]
	s_wait_loadcnt_dscnt 0x0
	v_mul_f64_e32 v[18:19], v[10:11], v[32:33]
	v_mul_f64_e32 v[20:21], v[12:13], v[32:33]
	v_fma_f64 v[4:5], v[4:5], v[26:27], v[36:37]
	v_fma_f64 v[1:2], v[2:3], v[26:27], -v[28:29]
	v_add_f64_e32 v[6:7], v[14:15], v[6:7]
	v_add_f64_e32 v[8:9], v[16:17], v[8:9]
	v_fma_f64 v[12:13], v[12:13], v[30:31], v[18:19]
	v_fma_f64 v[10:11], v[10:11], v[30:31], -v[20:21]
	s_delay_alu instid0(VALU_DEP_4) | instskip(NEXT) | instid1(VALU_DEP_4)
	v_add_f64_e32 v[1:2], v[6:7], v[1:2]
	v_add_f64_e32 v[3:4], v[8:9], v[4:5]
	s_delay_alu instid0(VALU_DEP_2) | instskip(NEXT) | instid1(VALU_DEP_2)
	v_add_f64_e32 v[1:2], v[1:2], v[10:11]
	v_add_f64_e32 v[3:4], v[3:4], v[12:13]
	s_delay_alu instid0(VALU_DEP_2) | instskip(NEXT) | instid1(VALU_DEP_2)
	v_add_f64_e64 v[1:2], v[129:130], -v[1:2]
	v_add_f64_e64 v[3:4], v[131:132], -v[3:4]
	scratch_store_b128 off, v[1:4], off offset:208
	v_cmpx_lt_u32_e32 11, v0
	s_cbranch_execz .LBB104_237
; %bb.236:
	scratch_load_b128 v[1:4], off, s33
	v_mov_b32_e32 v5, 0
	s_delay_alu instid0(VALU_DEP_1)
	v_dual_mov_b32 v6, v5 :: v_dual_mov_b32 v7, v5
	v_mov_b32_e32 v8, v5
	scratch_store_b128 off, v[5:8], off offset:192
	s_wait_loadcnt 0x0
	ds_store_b128 v128, v[1:4]
.LBB104_237:
	s_wait_alu 0xfffe
	s_or_b32 exec_lo, exec_lo, s0
	s_wait_storecnt_dscnt 0x0
	s_barrier_signal -1
	s_barrier_wait -1
	global_inv scope:SCOPE_SE
	s_clause 0x7
	scratch_load_b128 v[2:5], off, off offset:208
	scratch_load_b128 v[6:9], off, off offset:224
	;; [unrolled: 1-line block ×8, first 2 shown]
	v_mov_b32_e32 v1, 0
	s_mov_b32 s0, exec_lo
	ds_load_b128 v[34:37], v1 offset:848
	s_clause 0x1
	scratch_load_b128 v[38:41], off, off offset:336
	scratch_load_b128 v[42:45], off, off offset:192
	ds_load_b128 v[129:132], v1 offset:864
	scratch_load_b128 v[133:136], off, off offset:352
	s_wait_loadcnt_dscnt 0xa01
	v_mul_f64_e32 v[137:138], v[36:37], v[4:5]
	v_mul_f64_e32 v[4:5], v[34:35], v[4:5]
	s_delay_alu instid0(VALU_DEP_2) | instskip(NEXT) | instid1(VALU_DEP_2)
	v_fma_f64 v[143:144], v[34:35], v[2:3], -v[137:138]
	v_fma_f64 v[145:146], v[36:37], v[2:3], v[4:5]
	ds_load_b128 v[2:5], v1 offset:880
	s_wait_loadcnt_dscnt 0x901
	v_mul_f64_e32 v[141:142], v[129:130], v[8:9]
	v_mul_f64_e32 v[8:9], v[131:132], v[8:9]
	scratch_load_b128 v[34:37], off, off offset:368
	ds_load_b128 v[137:140], v1 offset:896
	s_wait_loadcnt_dscnt 0x901
	v_mul_f64_e32 v[147:148], v[2:3], v[12:13]
	v_mul_f64_e32 v[12:13], v[4:5], v[12:13]
	v_fma_f64 v[131:132], v[131:132], v[6:7], v[141:142]
	v_fma_f64 v[129:130], v[129:130], v[6:7], -v[8:9]
	v_add_f64_e32 v[141:142], 0, v[143:144]
	v_add_f64_e32 v[143:144], 0, v[145:146]
	scratch_load_b128 v[6:9], off, off offset:384
	v_fma_f64 v[147:148], v[4:5], v[10:11], v[147:148]
	v_fma_f64 v[149:150], v[2:3], v[10:11], -v[12:13]
	ds_load_b128 v[2:5], v1 offset:912
	s_wait_loadcnt_dscnt 0x901
	v_mul_f64_e32 v[145:146], v[137:138], v[16:17]
	v_mul_f64_e32 v[16:17], v[139:140], v[16:17]
	scratch_load_b128 v[10:13], off, off offset:400
	v_add_f64_e32 v[141:142], v[141:142], v[129:130]
	v_add_f64_e32 v[143:144], v[143:144], v[131:132]
	s_wait_loadcnt_dscnt 0x900
	v_mul_f64_e32 v[151:152], v[2:3], v[20:21]
	v_mul_f64_e32 v[20:21], v[4:5], v[20:21]
	ds_load_b128 v[129:132], v1 offset:928
	v_fma_f64 v[139:140], v[139:140], v[14:15], v[145:146]
	v_fma_f64 v[137:138], v[137:138], v[14:15], -v[16:17]
	scratch_load_b128 v[14:17], off, off offset:416
	v_add_f64_e32 v[141:142], v[141:142], v[149:150]
	v_add_f64_e32 v[143:144], v[143:144], v[147:148]
	v_fma_f64 v[147:148], v[4:5], v[18:19], v[151:152]
	v_fma_f64 v[149:150], v[2:3], v[18:19], -v[20:21]
	ds_load_b128 v[2:5], v1 offset:944
	s_wait_loadcnt_dscnt 0x901
	v_mul_f64_e32 v[145:146], v[129:130], v[24:25]
	v_mul_f64_e32 v[24:25], v[131:132], v[24:25]
	scratch_load_b128 v[18:21], off, off offset:432
	s_wait_loadcnt_dscnt 0x900
	v_mul_f64_e32 v[151:152], v[2:3], v[28:29]
	v_mul_f64_e32 v[28:29], v[4:5], v[28:29]
	v_add_f64_e32 v[141:142], v[141:142], v[137:138]
	v_add_f64_e32 v[143:144], v[143:144], v[139:140]
	ds_load_b128 v[137:140], v1 offset:960
	v_fma_f64 v[131:132], v[131:132], v[22:23], v[145:146]
	v_fma_f64 v[129:130], v[129:130], v[22:23], -v[24:25]
	scratch_load_b128 v[22:25], off, off offset:448
	v_add_f64_e32 v[141:142], v[141:142], v[149:150]
	v_add_f64_e32 v[143:144], v[143:144], v[147:148]
	v_fma_f64 v[147:148], v[4:5], v[26:27], v[151:152]
	v_fma_f64 v[149:150], v[2:3], v[26:27], -v[28:29]
	ds_load_b128 v[2:5], v1 offset:976
	s_wait_loadcnt_dscnt 0x901
	v_mul_f64_e32 v[145:146], v[137:138], v[32:33]
	v_mul_f64_e32 v[32:33], v[139:140], v[32:33]
	scratch_load_b128 v[26:29], off, off offset:464
	s_wait_loadcnt_dscnt 0x900
	v_mul_f64_e32 v[151:152], v[2:3], v[40:41]
	v_mul_f64_e32 v[40:41], v[4:5], v[40:41]
	v_add_f64_e32 v[141:142], v[141:142], v[129:130]
	v_add_f64_e32 v[143:144], v[143:144], v[131:132]
	ds_load_b128 v[129:132], v1 offset:992
	v_fma_f64 v[139:140], v[139:140], v[30:31], v[145:146]
	v_fma_f64 v[137:138], v[137:138], v[30:31], -v[32:33]
	scratch_load_b128 v[30:33], off, off offset:480
	v_add_f64_e32 v[141:142], v[141:142], v[149:150]
	v_add_f64_e32 v[143:144], v[143:144], v[147:148]
	v_fma_f64 v[149:150], v[4:5], v[38:39], v[151:152]
	v_fma_f64 v[151:152], v[2:3], v[38:39], -v[40:41]
	ds_load_b128 v[2:5], v1 offset:1008
	s_wait_loadcnt_dscnt 0x801
	v_mul_f64_e32 v[145:146], v[129:130], v[135:136]
	v_mul_f64_e32 v[147:148], v[131:132], v[135:136]
	scratch_load_b128 v[38:41], off, off offset:496
	v_add_f64_e32 v[141:142], v[141:142], v[137:138]
	v_add_f64_e32 v[139:140], v[143:144], v[139:140]
	ds_load_b128 v[135:138], v1 offset:1024
	v_fma_f64 v[145:146], v[131:132], v[133:134], v[145:146]
	v_fma_f64 v[133:134], v[129:130], v[133:134], -v[147:148]
	scratch_load_b128 v[129:132], off, off offset:512
	s_wait_loadcnt_dscnt 0x901
	v_mul_f64_e32 v[143:144], v[2:3], v[36:37]
	v_mul_f64_e32 v[36:37], v[4:5], v[36:37]
	v_add_f64_e32 v[141:142], v[141:142], v[151:152]
	v_add_f64_e32 v[139:140], v[139:140], v[149:150]
	s_delay_alu instid0(VALU_DEP_4) | instskip(NEXT) | instid1(VALU_DEP_4)
	v_fma_f64 v[143:144], v[4:5], v[34:35], v[143:144]
	v_fma_f64 v[149:150], v[2:3], v[34:35], -v[36:37]
	ds_load_b128 v[2:5], v1 offset:1040
	s_wait_loadcnt_dscnt 0x801
	v_mul_f64_e32 v[147:148], v[135:136], v[8:9]
	v_mul_f64_e32 v[8:9], v[137:138], v[8:9]
	scratch_load_b128 v[34:37], off, off offset:528
	s_wait_loadcnt_dscnt 0x800
	v_mul_f64_e32 v[151:152], v[2:3], v[12:13]
	v_add_f64_e32 v[133:134], v[141:142], v[133:134]
	v_add_f64_e32 v[145:146], v[139:140], v[145:146]
	v_mul_f64_e32 v[12:13], v[4:5], v[12:13]
	ds_load_b128 v[139:142], v1 offset:1056
	v_fma_f64 v[137:138], v[137:138], v[6:7], v[147:148]
	v_fma_f64 v[135:136], v[135:136], v[6:7], -v[8:9]
	scratch_load_b128 v[6:9], off, off offset:544
	v_fma_f64 v[147:148], v[4:5], v[10:11], v[151:152]
	v_add_f64_e32 v[133:134], v[133:134], v[149:150]
	v_add_f64_e32 v[143:144], v[145:146], v[143:144]
	v_fma_f64 v[149:150], v[2:3], v[10:11], -v[12:13]
	ds_load_b128 v[2:5], v1 offset:1072
	s_wait_loadcnt_dscnt 0x801
	v_mul_f64_e32 v[145:146], v[139:140], v[16:17]
	v_mul_f64_e32 v[16:17], v[141:142], v[16:17]
	scratch_load_b128 v[10:13], off, off offset:560
	v_add_f64_e32 v[151:152], v[133:134], v[135:136]
	v_add_f64_e32 v[137:138], v[143:144], v[137:138]
	s_wait_loadcnt_dscnt 0x800
	v_mul_f64_e32 v[143:144], v[2:3], v[20:21]
	v_mul_f64_e32 v[20:21], v[4:5], v[20:21]
	v_fma_f64 v[141:142], v[141:142], v[14:15], v[145:146]
	v_fma_f64 v[139:140], v[139:140], v[14:15], -v[16:17]
	ds_load_b128 v[133:136], v1 offset:1088
	scratch_load_b128 v[14:17], off, off offset:576
	v_add_f64_e32 v[145:146], v[151:152], v[149:150]
	v_add_f64_e32 v[137:138], v[137:138], v[147:148]
	v_fma_f64 v[143:144], v[4:5], v[18:19], v[143:144]
	v_fma_f64 v[149:150], v[2:3], v[18:19], -v[20:21]
	ds_load_b128 v[2:5], v1 offset:1104
	s_wait_loadcnt_dscnt 0x801
	v_mul_f64_e32 v[147:148], v[133:134], v[24:25]
	v_mul_f64_e32 v[24:25], v[135:136], v[24:25]
	scratch_load_b128 v[18:21], off, off offset:592
	s_wait_loadcnt_dscnt 0x800
	v_mul_f64_e32 v[151:152], v[2:3], v[28:29]
	v_mul_f64_e32 v[28:29], v[4:5], v[28:29]
	v_add_f64_e32 v[145:146], v[145:146], v[139:140]
	v_add_f64_e32 v[141:142], v[137:138], v[141:142]
	ds_load_b128 v[137:140], v1 offset:1120
	v_fma_f64 v[135:136], v[135:136], v[22:23], v[147:148]
	v_fma_f64 v[133:134], v[133:134], v[22:23], -v[24:25]
	scratch_load_b128 v[22:25], off, off offset:608
	v_fma_f64 v[147:148], v[4:5], v[26:27], v[151:152]
	v_add_f64_e32 v[145:146], v[145:146], v[149:150]
	v_add_f64_e32 v[141:142], v[141:142], v[143:144]
	v_fma_f64 v[149:150], v[2:3], v[26:27], -v[28:29]
	ds_load_b128 v[2:5], v1 offset:1136
	s_wait_loadcnt_dscnt 0x801
	v_mul_f64_e32 v[143:144], v[137:138], v[32:33]
	v_mul_f64_e32 v[32:33], v[139:140], v[32:33]
	scratch_load_b128 v[26:29], off, off offset:624
	s_wait_loadcnt_dscnt 0x800
	v_mul_f64_e32 v[151:152], v[2:3], v[40:41]
	v_mul_f64_e32 v[40:41], v[4:5], v[40:41]
	v_add_f64_e32 v[145:146], v[145:146], v[133:134]
	v_add_f64_e32 v[141:142], v[141:142], v[135:136]
	ds_load_b128 v[133:136], v1 offset:1152
	v_fma_f64 v[139:140], v[139:140], v[30:31], v[143:144]
	v_fma_f64 v[137:138], v[137:138], v[30:31], -v[32:33]
	scratch_load_b128 v[30:33], off, off offset:640
	v_add_f64_e32 v[143:144], v[145:146], v[149:150]
	v_add_f64_e32 v[141:142], v[141:142], v[147:148]
	v_fma_f64 v[147:148], v[4:5], v[38:39], v[151:152]
	v_fma_f64 v[149:150], v[2:3], v[38:39], -v[40:41]
	ds_load_b128 v[2:5], v1 offset:1168
	s_wait_loadcnt_dscnt 0x801
	v_mul_f64_e32 v[145:146], v[133:134], v[131:132]
	v_mul_f64_e32 v[131:132], v[135:136], v[131:132]
	scratch_load_b128 v[38:41], off, off offset:656
	s_wait_loadcnt_dscnt 0x800
	v_mul_f64_e32 v[151:152], v[2:3], v[36:37]
	v_mul_f64_e32 v[36:37], v[4:5], v[36:37]
	v_add_f64_e32 v[143:144], v[143:144], v[137:138]
	v_add_f64_e32 v[141:142], v[141:142], v[139:140]
	ds_load_b128 v[137:140], v1 offset:1184
	v_fma_f64 v[135:136], v[135:136], v[129:130], v[145:146]
	v_fma_f64 v[129:130], v[133:134], v[129:130], -v[131:132]
	v_fma_f64 v[145:146], v[2:3], v[34:35], -v[36:37]
	v_add_f64_e32 v[131:132], v[143:144], v[149:150]
	v_add_f64_e32 v[133:134], v[141:142], v[147:148]
	s_wait_loadcnt_dscnt 0x700
	v_mul_f64_e32 v[141:142], v[137:138], v[8:9]
	v_mul_f64_e32 v[8:9], v[139:140], v[8:9]
	v_fma_f64 v[143:144], v[4:5], v[34:35], v[151:152]
	ds_load_b128 v[2:5], v1 offset:1200
	ds_load_b128 v[34:37], v1 offset:1216
	v_add_f64_e32 v[129:130], v[131:132], v[129:130]
	v_add_f64_e32 v[131:132], v[133:134], v[135:136]
	s_wait_loadcnt_dscnt 0x601
	v_mul_f64_e32 v[133:134], v[2:3], v[12:13]
	v_mul_f64_e32 v[12:13], v[4:5], v[12:13]
	v_fma_f64 v[135:136], v[139:140], v[6:7], v[141:142]
	v_fma_f64 v[6:7], v[137:138], v[6:7], -v[8:9]
	v_add_f64_e32 v[8:9], v[129:130], v[145:146]
	v_add_f64_e32 v[129:130], v[131:132], v[143:144]
	s_wait_loadcnt_dscnt 0x500
	v_mul_f64_e32 v[131:132], v[34:35], v[16:17]
	v_mul_f64_e32 v[16:17], v[36:37], v[16:17]
	v_fma_f64 v[133:134], v[4:5], v[10:11], v[133:134]
	v_fma_f64 v[10:11], v[2:3], v[10:11], -v[12:13]
	v_add_f64_e32 v[12:13], v[8:9], v[6:7]
	v_add_f64_e32 v[129:130], v[129:130], v[135:136]
	ds_load_b128 v[2:5], v1 offset:1232
	ds_load_b128 v[6:9], v1 offset:1248
	v_fma_f64 v[36:37], v[36:37], v[14:15], v[131:132]
	v_fma_f64 v[14:15], v[34:35], v[14:15], -v[16:17]
	s_wait_loadcnt_dscnt 0x401
	v_mul_f64_e32 v[135:136], v[2:3], v[20:21]
	v_mul_f64_e32 v[20:21], v[4:5], v[20:21]
	s_wait_loadcnt_dscnt 0x300
	v_mul_f64_e32 v[16:17], v[6:7], v[24:25]
	v_mul_f64_e32 v[24:25], v[8:9], v[24:25]
	v_add_f64_e32 v[10:11], v[12:13], v[10:11]
	v_add_f64_e32 v[12:13], v[129:130], v[133:134]
	v_fma_f64 v[34:35], v[4:5], v[18:19], v[135:136]
	v_fma_f64 v[18:19], v[2:3], v[18:19], -v[20:21]
	v_fma_f64 v[8:9], v[8:9], v[22:23], v[16:17]
	v_fma_f64 v[6:7], v[6:7], v[22:23], -v[24:25]
	v_add_f64_e32 v[14:15], v[10:11], v[14:15]
	v_add_f64_e32 v[20:21], v[12:13], v[36:37]
	ds_load_b128 v[2:5], v1 offset:1264
	ds_load_b128 v[10:13], v1 offset:1280
	s_wait_loadcnt_dscnt 0x201
	v_mul_f64_e32 v[36:37], v[2:3], v[28:29]
	v_mul_f64_e32 v[28:29], v[4:5], v[28:29]
	v_add_f64_e32 v[14:15], v[14:15], v[18:19]
	v_add_f64_e32 v[16:17], v[20:21], v[34:35]
	s_wait_loadcnt_dscnt 0x100
	v_mul_f64_e32 v[18:19], v[10:11], v[32:33]
	v_mul_f64_e32 v[20:21], v[12:13], v[32:33]
	v_fma_f64 v[22:23], v[4:5], v[26:27], v[36:37]
	v_fma_f64 v[24:25], v[2:3], v[26:27], -v[28:29]
	ds_load_b128 v[2:5], v1 offset:1296
	v_add_f64_e32 v[6:7], v[14:15], v[6:7]
	v_add_f64_e32 v[8:9], v[16:17], v[8:9]
	v_fma_f64 v[12:13], v[12:13], v[30:31], v[18:19]
	v_fma_f64 v[10:11], v[10:11], v[30:31], -v[20:21]
	s_wait_loadcnt_dscnt 0x0
	v_mul_f64_e32 v[14:15], v[2:3], v[40:41]
	v_mul_f64_e32 v[16:17], v[4:5], v[40:41]
	v_add_f64_e32 v[6:7], v[6:7], v[24:25]
	v_add_f64_e32 v[8:9], v[8:9], v[22:23]
	s_delay_alu instid0(VALU_DEP_4) | instskip(NEXT) | instid1(VALU_DEP_4)
	v_fma_f64 v[4:5], v[4:5], v[38:39], v[14:15]
	v_fma_f64 v[2:3], v[2:3], v[38:39], -v[16:17]
	s_delay_alu instid0(VALU_DEP_4) | instskip(NEXT) | instid1(VALU_DEP_4)
	v_add_f64_e32 v[6:7], v[6:7], v[10:11]
	v_add_f64_e32 v[8:9], v[8:9], v[12:13]
	s_delay_alu instid0(VALU_DEP_2) | instskip(NEXT) | instid1(VALU_DEP_2)
	v_add_f64_e32 v[2:3], v[6:7], v[2:3]
	v_add_f64_e32 v[4:5], v[8:9], v[4:5]
	s_delay_alu instid0(VALU_DEP_2) | instskip(NEXT) | instid1(VALU_DEP_2)
	v_add_f64_e64 v[2:3], v[42:43], -v[2:3]
	v_add_f64_e64 v[4:5], v[44:45], -v[4:5]
	scratch_store_b128 off, v[2:5], off offset:192
	v_cmpx_lt_u32_e32 10, v0
	s_cbranch_execz .LBB104_239
; %bb.238:
	scratch_load_b128 v[5:8], off, s11
	v_dual_mov_b32 v2, v1 :: v_dual_mov_b32 v3, v1
	v_mov_b32_e32 v4, v1
	scratch_store_b128 off, v[1:4], off offset:176
	s_wait_loadcnt 0x0
	ds_store_b128 v128, v[5:8]
.LBB104_239:
	s_wait_alu 0xfffe
	s_or_b32 exec_lo, exec_lo, s0
	s_wait_storecnt_dscnt 0x0
	s_barrier_signal -1
	s_barrier_wait -1
	global_inv scope:SCOPE_SE
	s_clause 0x8
	scratch_load_b128 v[2:5], off, off offset:192
	scratch_load_b128 v[6:9], off, off offset:208
	;; [unrolled: 1-line block ×9, first 2 shown]
	ds_load_b128 v[38:41], v1 offset:832
	ds_load_b128 v[42:45], v1 offset:848
	s_clause 0x1
	scratch_load_b128 v[129:132], off, off offset:176
	scratch_load_b128 v[133:136], off, off offset:336
	s_mov_b32 s0, exec_lo
	s_wait_loadcnt_dscnt 0xa01
	v_mul_f64_e32 v[137:138], v[40:41], v[4:5]
	v_mul_f64_e32 v[4:5], v[38:39], v[4:5]
	s_wait_loadcnt_dscnt 0x900
	v_mul_f64_e32 v[141:142], v[42:43], v[8:9]
	v_mul_f64_e32 v[8:9], v[44:45], v[8:9]
	s_delay_alu instid0(VALU_DEP_4) | instskip(NEXT) | instid1(VALU_DEP_4)
	v_fma_f64 v[143:144], v[38:39], v[2:3], -v[137:138]
	v_fma_f64 v[145:146], v[40:41], v[2:3], v[4:5]
	ds_load_b128 v[2:5], v1 offset:864
	ds_load_b128 v[137:140], v1 offset:880
	scratch_load_b128 v[38:41], off, off offset:352
	v_fma_f64 v[44:45], v[44:45], v[6:7], v[141:142]
	v_fma_f64 v[42:43], v[42:43], v[6:7], -v[8:9]
	scratch_load_b128 v[6:9], off, off offset:368
	s_wait_loadcnt_dscnt 0xa01
	v_mul_f64_e32 v[147:148], v[2:3], v[12:13]
	v_mul_f64_e32 v[12:13], v[4:5], v[12:13]
	v_add_f64_e32 v[141:142], 0, v[143:144]
	v_add_f64_e32 v[143:144], 0, v[145:146]
	s_wait_loadcnt_dscnt 0x900
	v_mul_f64_e32 v[145:146], v[137:138], v[16:17]
	v_mul_f64_e32 v[16:17], v[139:140], v[16:17]
	v_fma_f64 v[147:148], v[4:5], v[10:11], v[147:148]
	v_fma_f64 v[149:150], v[2:3], v[10:11], -v[12:13]
	ds_load_b128 v[2:5], v1 offset:896
	scratch_load_b128 v[10:13], off, off offset:384
	v_add_f64_e32 v[141:142], v[141:142], v[42:43]
	v_add_f64_e32 v[143:144], v[143:144], v[44:45]
	ds_load_b128 v[42:45], v1 offset:912
	v_fma_f64 v[139:140], v[139:140], v[14:15], v[145:146]
	v_fma_f64 v[137:138], v[137:138], v[14:15], -v[16:17]
	scratch_load_b128 v[14:17], off, off offset:400
	s_wait_loadcnt_dscnt 0xa01
	v_mul_f64_e32 v[151:152], v[2:3], v[20:21]
	v_mul_f64_e32 v[20:21], v[4:5], v[20:21]
	s_wait_loadcnt_dscnt 0x900
	v_mul_f64_e32 v[145:146], v[42:43], v[24:25]
	v_mul_f64_e32 v[24:25], v[44:45], v[24:25]
	v_add_f64_e32 v[141:142], v[141:142], v[149:150]
	v_add_f64_e32 v[143:144], v[143:144], v[147:148]
	v_fma_f64 v[147:148], v[4:5], v[18:19], v[151:152]
	v_fma_f64 v[149:150], v[2:3], v[18:19], -v[20:21]
	ds_load_b128 v[2:5], v1 offset:928
	scratch_load_b128 v[18:21], off, off offset:416
	v_fma_f64 v[44:45], v[44:45], v[22:23], v[145:146]
	v_fma_f64 v[42:43], v[42:43], v[22:23], -v[24:25]
	scratch_load_b128 v[22:25], off, off offset:432
	v_add_f64_e32 v[141:142], v[141:142], v[137:138]
	v_add_f64_e32 v[143:144], v[143:144], v[139:140]
	ds_load_b128 v[137:140], v1 offset:944
	s_wait_loadcnt_dscnt 0xa01
	v_mul_f64_e32 v[151:152], v[2:3], v[28:29]
	v_mul_f64_e32 v[28:29], v[4:5], v[28:29]
	s_wait_loadcnt_dscnt 0x900
	v_mul_f64_e32 v[145:146], v[137:138], v[32:33]
	v_mul_f64_e32 v[32:33], v[139:140], v[32:33]
	v_add_f64_e32 v[141:142], v[141:142], v[149:150]
	v_add_f64_e32 v[143:144], v[143:144], v[147:148]
	v_fma_f64 v[147:148], v[4:5], v[26:27], v[151:152]
	v_fma_f64 v[149:150], v[2:3], v[26:27], -v[28:29]
	ds_load_b128 v[2:5], v1 offset:960
	scratch_load_b128 v[26:29], off, off offset:448
	v_fma_f64 v[139:140], v[139:140], v[30:31], v[145:146]
	v_fma_f64 v[137:138], v[137:138], v[30:31], -v[32:33]
	scratch_load_b128 v[30:33], off, off offset:464
	v_add_f64_e32 v[141:142], v[141:142], v[42:43]
	v_add_f64_e32 v[143:144], v[143:144], v[44:45]
	ds_load_b128 v[42:45], v1 offset:976
	s_wait_loadcnt_dscnt 0xa01
	v_mul_f64_e32 v[151:152], v[2:3], v[36:37]
	v_mul_f64_e32 v[36:37], v[4:5], v[36:37]
	s_wait_loadcnt_dscnt 0x800
	v_mul_f64_e32 v[145:146], v[42:43], v[135:136]
	v_add_f64_e32 v[141:142], v[141:142], v[149:150]
	v_add_f64_e32 v[143:144], v[143:144], v[147:148]
	v_mul_f64_e32 v[147:148], v[44:45], v[135:136]
	v_fma_f64 v[149:150], v[4:5], v[34:35], v[151:152]
	v_fma_f64 v[151:152], v[2:3], v[34:35], -v[36:37]
	ds_load_b128 v[2:5], v1 offset:992
	scratch_load_b128 v[34:37], off, off offset:480
	v_fma_f64 v[44:45], v[44:45], v[133:134], v[145:146]
	v_add_f64_e32 v[141:142], v[141:142], v[137:138]
	v_add_f64_e32 v[139:140], v[143:144], v[139:140]
	ds_load_b128 v[135:138], v1 offset:1008
	v_fma_f64 v[133:134], v[42:43], v[133:134], -v[147:148]
	s_wait_loadcnt_dscnt 0x801
	v_mul_f64_e32 v[143:144], v[2:3], v[40:41]
	v_mul_f64_e32 v[153:154], v[4:5], v[40:41]
	scratch_load_b128 v[40:43], off, off offset:496
	s_wait_loadcnt_dscnt 0x800
	v_mul_f64_e32 v[147:148], v[135:136], v[8:9]
	v_mul_f64_e32 v[8:9], v[137:138], v[8:9]
	v_add_f64_e32 v[141:142], v[141:142], v[151:152]
	v_add_f64_e32 v[139:140], v[139:140], v[149:150]
	v_fma_f64 v[149:150], v[4:5], v[38:39], v[143:144]
	v_fma_f64 v[38:39], v[2:3], v[38:39], -v[153:154]
	ds_load_b128 v[2:5], v1 offset:1024
	ds_load_b128 v[143:146], v1 offset:1040
	v_fma_f64 v[137:138], v[137:138], v[6:7], v[147:148]
	v_fma_f64 v[135:136], v[135:136], v[6:7], -v[8:9]
	scratch_load_b128 v[6:9], off, off offset:528
	v_add_f64_e32 v[133:134], v[141:142], v[133:134]
	v_add_f64_e32 v[44:45], v[139:140], v[44:45]
	scratch_load_b128 v[139:142], off, off offset:512
	s_wait_loadcnt_dscnt 0x901
	v_mul_f64_e32 v[151:152], v[2:3], v[12:13]
	v_mul_f64_e32 v[12:13], v[4:5], v[12:13]
	s_wait_loadcnt_dscnt 0x800
	v_mul_f64_e32 v[147:148], v[143:144], v[16:17]
	v_mul_f64_e32 v[16:17], v[145:146], v[16:17]
	v_add_f64_e32 v[38:39], v[133:134], v[38:39]
	v_add_f64_e32 v[44:45], v[44:45], v[149:150]
	v_fma_f64 v[149:150], v[4:5], v[10:11], v[151:152]
	v_fma_f64 v[151:152], v[2:3], v[10:11], -v[12:13]
	ds_load_b128 v[2:5], v1 offset:1056
	scratch_load_b128 v[10:13], off, off offset:544
	v_fma_f64 v[145:146], v[145:146], v[14:15], v[147:148]
	v_fma_f64 v[143:144], v[143:144], v[14:15], -v[16:17]
	scratch_load_b128 v[14:17], off, off offset:560
	v_add_f64_e32 v[38:39], v[38:39], v[135:136]
	v_add_f64_e32 v[44:45], v[44:45], v[137:138]
	ds_load_b128 v[133:136], v1 offset:1072
	s_wait_loadcnt_dscnt 0x901
	v_mul_f64_e32 v[137:138], v[2:3], v[20:21]
	v_mul_f64_e32 v[20:21], v[4:5], v[20:21]
	s_wait_loadcnt_dscnt 0x800
	v_mul_f64_e32 v[147:148], v[133:134], v[24:25]
	v_mul_f64_e32 v[24:25], v[135:136], v[24:25]
	v_add_f64_e32 v[38:39], v[38:39], v[151:152]
	v_add_f64_e32 v[44:45], v[44:45], v[149:150]
	v_fma_f64 v[137:138], v[4:5], v[18:19], v[137:138]
	v_fma_f64 v[149:150], v[2:3], v[18:19], -v[20:21]
	ds_load_b128 v[2:5], v1 offset:1088
	scratch_load_b128 v[18:21], off, off offset:576
	v_fma_f64 v[135:136], v[135:136], v[22:23], v[147:148]
	v_fma_f64 v[133:134], v[133:134], v[22:23], -v[24:25]
	scratch_load_b128 v[22:25], off, off offset:592
	v_add_f64_e32 v[38:39], v[38:39], v[143:144]
	v_add_f64_e32 v[44:45], v[44:45], v[145:146]
	ds_load_b128 v[143:146], v1 offset:1104
	s_wait_loadcnt_dscnt 0x901
	v_mul_f64_e32 v[151:152], v[2:3], v[28:29]
	v_mul_f64_e32 v[28:29], v[4:5], v[28:29]
	v_add_f64_e32 v[38:39], v[38:39], v[149:150]
	v_add_f64_e32 v[44:45], v[44:45], v[137:138]
	s_wait_loadcnt_dscnt 0x800
	v_mul_f64_e32 v[137:138], v[143:144], v[32:33]
	v_mul_f64_e32 v[32:33], v[145:146], v[32:33]
	v_fma_f64 v[147:148], v[4:5], v[26:27], v[151:152]
	v_fma_f64 v[149:150], v[2:3], v[26:27], -v[28:29]
	ds_load_b128 v[2:5], v1 offset:1120
	scratch_load_b128 v[26:29], off, off offset:608
	v_add_f64_e32 v[38:39], v[38:39], v[133:134]
	v_add_f64_e32 v[44:45], v[44:45], v[135:136]
	ds_load_b128 v[133:136], v1 offset:1136
	s_wait_loadcnt_dscnt 0x801
	v_mul_f64_e32 v[151:152], v[2:3], v[36:37]
	v_mul_f64_e32 v[36:37], v[4:5], v[36:37]
	v_fma_f64 v[137:138], v[145:146], v[30:31], v[137:138]
	v_fma_f64 v[143:144], v[143:144], v[30:31], -v[32:33]
	scratch_load_b128 v[30:33], off, off offset:624
	s_wait_loadcnt_dscnt 0x800
	v_mul_f64_e32 v[145:146], v[133:134], v[42:43]
	v_add_f64_e32 v[38:39], v[38:39], v[149:150]
	v_add_f64_e32 v[44:45], v[44:45], v[147:148]
	v_mul_f64_e32 v[147:148], v[135:136], v[42:43]
	v_fma_f64 v[149:150], v[4:5], v[34:35], v[151:152]
	v_fma_f64 v[151:152], v[2:3], v[34:35], -v[36:37]
	ds_load_b128 v[2:5], v1 offset:1152
	scratch_load_b128 v[34:37], off, off offset:640
	v_fma_f64 v[135:136], v[135:136], v[40:41], v[145:146]
	v_add_f64_e32 v[38:39], v[38:39], v[143:144]
	v_add_f64_e32 v[137:138], v[44:45], v[137:138]
	ds_load_b128 v[42:45], v1 offset:1168
	v_fma_f64 v[133:134], v[133:134], v[40:41], -v[147:148]
	s_wait_loadcnt_dscnt 0x701
	v_mul_f64_e32 v[143:144], v[2:3], v[141:142]
	v_mul_f64_e32 v[141:142], v[4:5], v[141:142]
	s_wait_dscnt 0x0
	v_mul_f64_e32 v[147:148], v[42:43], v[8:9]
	v_mul_f64_e32 v[8:9], v[44:45], v[8:9]
	v_add_f64_e32 v[145:146], v[38:39], v[151:152]
	v_add_f64_e32 v[137:138], v[137:138], v[149:150]
	scratch_load_b128 v[38:41], off, off offset:656
	v_fma_f64 v[143:144], v[4:5], v[139:140], v[143:144]
	v_fma_f64 v[139:140], v[2:3], v[139:140], -v[141:142]
	v_fma_f64 v[44:45], v[44:45], v[6:7], v[147:148]
	v_fma_f64 v[6:7], v[42:43], v[6:7], -v[8:9]
	v_add_f64_e32 v[141:142], v[145:146], v[133:134]
	v_add_f64_e32 v[137:138], v[137:138], v[135:136]
	ds_load_b128 v[2:5], v1 offset:1184
	ds_load_b128 v[133:136], v1 offset:1200
	s_wait_loadcnt_dscnt 0x701
	v_mul_f64_e32 v[145:146], v[2:3], v[12:13]
	v_mul_f64_e32 v[12:13], v[4:5], v[12:13]
	v_add_f64_e32 v[8:9], v[141:142], v[139:140]
	v_add_f64_e32 v[42:43], v[137:138], v[143:144]
	s_wait_loadcnt_dscnt 0x600
	v_mul_f64_e32 v[137:138], v[133:134], v[16:17]
	v_mul_f64_e32 v[16:17], v[135:136], v[16:17]
	v_fma_f64 v[139:140], v[4:5], v[10:11], v[145:146]
	v_fma_f64 v[10:11], v[2:3], v[10:11], -v[12:13]
	v_add_f64_e32 v[12:13], v[8:9], v[6:7]
	v_add_f64_e32 v[42:43], v[42:43], v[44:45]
	ds_load_b128 v[2:5], v1 offset:1216
	ds_load_b128 v[6:9], v1 offset:1232
	v_fma_f64 v[135:136], v[135:136], v[14:15], v[137:138]
	v_fma_f64 v[14:15], v[133:134], v[14:15], -v[16:17]
	s_wait_loadcnt_dscnt 0x501
	v_mul_f64_e32 v[44:45], v[2:3], v[20:21]
	v_mul_f64_e32 v[20:21], v[4:5], v[20:21]
	s_wait_loadcnt_dscnt 0x400
	v_mul_f64_e32 v[16:17], v[6:7], v[24:25]
	v_mul_f64_e32 v[24:25], v[8:9], v[24:25]
	v_add_f64_e32 v[10:11], v[12:13], v[10:11]
	v_add_f64_e32 v[12:13], v[42:43], v[139:140]
	v_fma_f64 v[42:43], v[4:5], v[18:19], v[44:45]
	v_fma_f64 v[18:19], v[2:3], v[18:19], -v[20:21]
	v_fma_f64 v[8:9], v[8:9], v[22:23], v[16:17]
	v_fma_f64 v[6:7], v[6:7], v[22:23], -v[24:25]
	v_add_f64_e32 v[14:15], v[10:11], v[14:15]
	v_add_f64_e32 v[20:21], v[12:13], v[135:136]
	ds_load_b128 v[2:5], v1 offset:1248
	ds_load_b128 v[10:13], v1 offset:1264
	s_wait_loadcnt_dscnt 0x301
	v_mul_f64_e32 v[44:45], v[2:3], v[28:29]
	v_mul_f64_e32 v[28:29], v[4:5], v[28:29]
	v_add_f64_e32 v[14:15], v[14:15], v[18:19]
	v_add_f64_e32 v[16:17], v[20:21], v[42:43]
	s_wait_loadcnt_dscnt 0x200
	v_mul_f64_e32 v[18:19], v[10:11], v[32:33]
	v_mul_f64_e32 v[20:21], v[12:13], v[32:33]
	v_fma_f64 v[22:23], v[4:5], v[26:27], v[44:45]
	v_fma_f64 v[24:25], v[2:3], v[26:27], -v[28:29]
	v_add_f64_e32 v[14:15], v[14:15], v[6:7]
	v_add_f64_e32 v[16:17], v[16:17], v[8:9]
	ds_load_b128 v[2:5], v1 offset:1280
	ds_load_b128 v[6:9], v1 offset:1296
	v_fma_f64 v[12:13], v[12:13], v[30:31], v[18:19]
	v_fma_f64 v[10:11], v[10:11], v[30:31], -v[20:21]
	s_wait_loadcnt_dscnt 0x101
	v_mul_f64_e32 v[26:27], v[2:3], v[36:37]
	v_mul_f64_e32 v[28:29], v[4:5], v[36:37]
	v_add_f64_e32 v[14:15], v[14:15], v[24:25]
	v_add_f64_e32 v[16:17], v[16:17], v[22:23]
	s_wait_loadcnt_dscnt 0x0
	v_mul_f64_e32 v[18:19], v[6:7], v[40:41]
	v_mul_f64_e32 v[20:21], v[8:9], v[40:41]
	v_fma_f64 v[4:5], v[4:5], v[34:35], v[26:27]
	v_fma_f64 v[1:2], v[2:3], v[34:35], -v[28:29]
	v_add_f64_e32 v[10:11], v[14:15], v[10:11]
	v_add_f64_e32 v[12:13], v[16:17], v[12:13]
	v_fma_f64 v[8:9], v[8:9], v[38:39], v[18:19]
	v_fma_f64 v[6:7], v[6:7], v[38:39], -v[20:21]
	s_delay_alu instid0(VALU_DEP_4) | instskip(NEXT) | instid1(VALU_DEP_4)
	v_add_f64_e32 v[1:2], v[10:11], v[1:2]
	v_add_f64_e32 v[3:4], v[12:13], v[4:5]
	s_delay_alu instid0(VALU_DEP_2) | instskip(NEXT) | instid1(VALU_DEP_2)
	v_add_f64_e32 v[1:2], v[1:2], v[6:7]
	v_add_f64_e32 v[3:4], v[3:4], v[8:9]
	s_delay_alu instid0(VALU_DEP_2) | instskip(NEXT) | instid1(VALU_DEP_2)
	v_add_f64_e64 v[1:2], v[129:130], -v[1:2]
	v_add_f64_e64 v[3:4], v[131:132], -v[3:4]
	scratch_store_b128 off, v[1:4], off offset:176
	v_cmpx_lt_u32_e32 9, v0
	s_cbranch_execz .LBB104_241
; %bb.240:
	scratch_load_b128 v[1:4], off, s31
	v_mov_b32_e32 v5, 0
	s_delay_alu instid0(VALU_DEP_1)
	v_dual_mov_b32 v6, v5 :: v_dual_mov_b32 v7, v5
	v_mov_b32_e32 v8, v5
	scratch_store_b128 off, v[5:8], off offset:160
	s_wait_loadcnt 0x0
	ds_store_b128 v128, v[1:4]
.LBB104_241:
	s_wait_alu 0xfffe
	s_or_b32 exec_lo, exec_lo, s0
	s_wait_storecnt_dscnt 0x0
	s_barrier_signal -1
	s_barrier_wait -1
	global_inv scope:SCOPE_SE
	s_clause 0x7
	scratch_load_b128 v[2:5], off, off offset:176
	scratch_load_b128 v[6:9], off, off offset:192
	;; [unrolled: 1-line block ×8, first 2 shown]
	v_mov_b32_e32 v1, 0
	s_mov_b32 s0, exec_lo
	ds_load_b128 v[34:37], v1 offset:816
	s_clause 0x1
	scratch_load_b128 v[38:41], off, off offset:304
	scratch_load_b128 v[42:45], off, off offset:160
	ds_load_b128 v[129:132], v1 offset:832
	scratch_load_b128 v[133:136], off, off offset:320
	s_wait_loadcnt_dscnt 0xa01
	v_mul_f64_e32 v[137:138], v[36:37], v[4:5]
	v_mul_f64_e32 v[4:5], v[34:35], v[4:5]
	s_delay_alu instid0(VALU_DEP_2) | instskip(NEXT) | instid1(VALU_DEP_2)
	v_fma_f64 v[143:144], v[34:35], v[2:3], -v[137:138]
	v_fma_f64 v[145:146], v[36:37], v[2:3], v[4:5]
	ds_load_b128 v[2:5], v1 offset:848
	s_wait_loadcnt_dscnt 0x901
	v_mul_f64_e32 v[141:142], v[129:130], v[8:9]
	v_mul_f64_e32 v[8:9], v[131:132], v[8:9]
	scratch_load_b128 v[34:37], off, off offset:336
	ds_load_b128 v[137:140], v1 offset:864
	s_wait_loadcnt_dscnt 0x901
	v_mul_f64_e32 v[147:148], v[2:3], v[12:13]
	v_mul_f64_e32 v[12:13], v[4:5], v[12:13]
	v_fma_f64 v[131:132], v[131:132], v[6:7], v[141:142]
	v_fma_f64 v[129:130], v[129:130], v[6:7], -v[8:9]
	v_add_f64_e32 v[141:142], 0, v[143:144]
	v_add_f64_e32 v[143:144], 0, v[145:146]
	scratch_load_b128 v[6:9], off, off offset:352
	v_fma_f64 v[147:148], v[4:5], v[10:11], v[147:148]
	v_fma_f64 v[149:150], v[2:3], v[10:11], -v[12:13]
	ds_load_b128 v[2:5], v1 offset:880
	s_wait_loadcnt_dscnt 0x901
	v_mul_f64_e32 v[145:146], v[137:138], v[16:17]
	v_mul_f64_e32 v[16:17], v[139:140], v[16:17]
	scratch_load_b128 v[10:13], off, off offset:368
	v_add_f64_e32 v[141:142], v[141:142], v[129:130]
	v_add_f64_e32 v[143:144], v[143:144], v[131:132]
	s_wait_loadcnt_dscnt 0x900
	v_mul_f64_e32 v[151:152], v[2:3], v[20:21]
	v_mul_f64_e32 v[20:21], v[4:5], v[20:21]
	ds_load_b128 v[129:132], v1 offset:896
	v_fma_f64 v[139:140], v[139:140], v[14:15], v[145:146]
	v_fma_f64 v[137:138], v[137:138], v[14:15], -v[16:17]
	scratch_load_b128 v[14:17], off, off offset:384
	v_add_f64_e32 v[141:142], v[141:142], v[149:150]
	v_add_f64_e32 v[143:144], v[143:144], v[147:148]
	v_fma_f64 v[147:148], v[4:5], v[18:19], v[151:152]
	v_fma_f64 v[149:150], v[2:3], v[18:19], -v[20:21]
	ds_load_b128 v[2:5], v1 offset:912
	s_wait_loadcnt_dscnt 0x901
	v_mul_f64_e32 v[145:146], v[129:130], v[24:25]
	v_mul_f64_e32 v[24:25], v[131:132], v[24:25]
	scratch_load_b128 v[18:21], off, off offset:400
	s_wait_loadcnt_dscnt 0x900
	v_mul_f64_e32 v[151:152], v[2:3], v[28:29]
	v_mul_f64_e32 v[28:29], v[4:5], v[28:29]
	v_add_f64_e32 v[141:142], v[141:142], v[137:138]
	v_add_f64_e32 v[143:144], v[143:144], v[139:140]
	ds_load_b128 v[137:140], v1 offset:928
	v_fma_f64 v[131:132], v[131:132], v[22:23], v[145:146]
	v_fma_f64 v[129:130], v[129:130], v[22:23], -v[24:25]
	scratch_load_b128 v[22:25], off, off offset:416
	v_add_f64_e32 v[141:142], v[141:142], v[149:150]
	v_add_f64_e32 v[143:144], v[143:144], v[147:148]
	v_fma_f64 v[147:148], v[4:5], v[26:27], v[151:152]
	v_fma_f64 v[149:150], v[2:3], v[26:27], -v[28:29]
	ds_load_b128 v[2:5], v1 offset:944
	s_wait_loadcnt_dscnt 0x901
	v_mul_f64_e32 v[145:146], v[137:138], v[32:33]
	v_mul_f64_e32 v[32:33], v[139:140], v[32:33]
	scratch_load_b128 v[26:29], off, off offset:432
	s_wait_loadcnt_dscnt 0x900
	v_mul_f64_e32 v[151:152], v[2:3], v[40:41]
	v_mul_f64_e32 v[40:41], v[4:5], v[40:41]
	v_add_f64_e32 v[141:142], v[141:142], v[129:130]
	v_add_f64_e32 v[143:144], v[143:144], v[131:132]
	ds_load_b128 v[129:132], v1 offset:960
	v_fma_f64 v[139:140], v[139:140], v[30:31], v[145:146]
	v_fma_f64 v[137:138], v[137:138], v[30:31], -v[32:33]
	scratch_load_b128 v[30:33], off, off offset:448
	v_add_f64_e32 v[141:142], v[141:142], v[149:150]
	v_add_f64_e32 v[143:144], v[143:144], v[147:148]
	v_fma_f64 v[149:150], v[4:5], v[38:39], v[151:152]
	v_fma_f64 v[151:152], v[2:3], v[38:39], -v[40:41]
	ds_load_b128 v[2:5], v1 offset:976
	s_wait_loadcnt_dscnt 0x801
	v_mul_f64_e32 v[145:146], v[129:130], v[135:136]
	v_mul_f64_e32 v[147:148], v[131:132], v[135:136]
	scratch_load_b128 v[38:41], off, off offset:464
	v_add_f64_e32 v[141:142], v[141:142], v[137:138]
	v_add_f64_e32 v[139:140], v[143:144], v[139:140]
	ds_load_b128 v[135:138], v1 offset:992
	v_fma_f64 v[145:146], v[131:132], v[133:134], v[145:146]
	v_fma_f64 v[133:134], v[129:130], v[133:134], -v[147:148]
	scratch_load_b128 v[129:132], off, off offset:480
	s_wait_loadcnt_dscnt 0x901
	v_mul_f64_e32 v[143:144], v[2:3], v[36:37]
	v_mul_f64_e32 v[36:37], v[4:5], v[36:37]
	v_add_f64_e32 v[141:142], v[141:142], v[151:152]
	v_add_f64_e32 v[139:140], v[139:140], v[149:150]
	s_delay_alu instid0(VALU_DEP_4) | instskip(NEXT) | instid1(VALU_DEP_4)
	v_fma_f64 v[143:144], v[4:5], v[34:35], v[143:144]
	v_fma_f64 v[149:150], v[2:3], v[34:35], -v[36:37]
	ds_load_b128 v[2:5], v1 offset:1008
	s_wait_loadcnt_dscnt 0x801
	v_mul_f64_e32 v[147:148], v[135:136], v[8:9]
	v_mul_f64_e32 v[8:9], v[137:138], v[8:9]
	scratch_load_b128 v[34:37], off, off offset:496
	s_wait_loadcnt_dscnt 0x800
	v_mul_f64_e32 v[151:152], v[2:3], v[12:13]
	v_add_f64_e32 v[133:134], v[141:142], v[133:134]
	v_add_f64_e32 v[145:146], v[139:140], v[145:146]
	v_mul_f64_e32 v[12:13], v[4:5], v[12:13]
	ds_load_b128 v[139:142], v1 offset:1024
	v_fma_f64 v[137:138], v[137:138], v[6:7], v[147:148]
	v_fma_f64 v[135:136], v[135:136], v[6:7], -v[8:9]
	scratch_load_b128 v[6:9], off, off offset:512
	v_fma_f64 v[147:148], v[4:5], v[10:11], v[151:152]
	v_add_f64_e32 v[133:134], v[133:134], v[149:150]
	v_add_f64_e32 v[143:144], v[145:146], v[143:144]
	v_fma_f64 v[149:150], v[2:3], v[10:11], -v[12:13]
	ds_load_b128 v[2:5], v1 offset:1040
	s_wait_loadcnt_dscnt 0x801
	v_mul_f64_e32 v[145:146], v[139:140], v[16:17]
	v_mul_f64_e32 v[16:17], v[141:142], v[16:17]
	scratch_load_b128 v[10:13], off, off offset:528
	v_add_f64_e32 v[151:152], v[133:134], v[135:136]
	v_add_f64_e32 v[137:138], v[143:144], v[137:138]
	s_wait_loadcnt_dscnt 0x800
	v_mul_f64_e32 v[143:144], v[2:3], v[20:21]
	v_mul_f64_e32 v[20:21], v[4:5], v[20:21]
	v_fma_f64 v[141:142], v[141:142], v[14:15], v[145:146]
	v_fma_f64 v[139:140], v[139:140], v[14:15], -v[16:17]
	ds_load_b128 v[133:136], v1 offset:1056
	scratch_load_b128 v[14:17], off, off offset:544
	v_add_f64_e32 v[145:146], v[151:152], v[149:150]
	v_add_f64_e32 v[137:138], v[137:138], v[147:148]
	v_fma_f64 v[143:144], v[4:5], v[18:19], v[143:144]
	v_fma_f64 v[149:150], v[2:3], v[18:19], -v[20:21]
	ds_load_b128 v[2:5], v1 offset:1072
	s_wait_loadcnt_dscnt 0x801
	v_mul_f64_e32 v[147:148], v[133:134], v[24:25]
	v_mul_f64_e32 v[24:25], v[135:136], v[24:25]
	scratch_load_b128 v[18:21], off, off offset:560
	s_wait_loadcnt_dscnt 0x800
	v_mul_f64_e32 v[151:152], v[2:3], v[28:29]
	v_mul_f64_e32 v[28:29], v[4:5], v[28:29]
	v_add_f64_e32 v[145:146], v[145:146], v[139:140]
	v_add_f64_e32 v[141:142], v[137:138], v[141:142]
	ds_load_b128 v[137:140], v1 offset:1088
	v_fma_f64 v[135:136], v[135:136], v[22:23], v[147:148]
	v_fma_f64 v[133:134], v[133:134], v[22:23], -v[24:25]
	scratch_load_b128 v[22:25], off, off offset:576
	v_fma_f64 v[147:148], v[4:5], v[26:27], v[151:152]
	v_add_f64_e32 v[145:146], v[145:146], v[149:150]
	v_add_f64_e32 v[141:142], v[141:142], v[143:144]
	v_fma_f64 v[149:150], v[2:3], v[26:27], -v[28:29]
	ds_load_b128 v[2:5], v1 offset:1104
	s_wait_loadcnt_dscnt 0x801
	v_mul_f64_e32 v[143:144], v[137:138], v[32:33]
	v_mul_f64_e32 v[32:33], v[139:140], v[32:33]
	scratch_load_b128 v[26:29], off, off offset:592
	s_wait_loadcnt_dscnt 0x800
	v_mul_f64_e32 v[151:152], v[2:3], v[40:41]
	v_mul_f64_e32 v[40:41], v[4:5], v[40:41]
	v_add_f64_e32 v[145:146], v[145:146], v[133:134]
	v_add_f64_e32 v[141:142], v[141:142], v[135:136]
	ds_load_b128 v[133:136], v1 offset:1120
	v_fma_f64 v[139:140], v[139:140], v[30:31], v[143:144]
	v_fma_f64 v[137:138], v[137:138], v[30:31], -v[32:33]
	scratch_load_b128 v[30:33], off, off offset:608
	v_add_f64_e32 v[143:144], v[145:146], v[149:150]
	v_add_f64_e32 v[141:142], v[141:142], v[147:148]
	v_fma_f64 v[147:148], v[4:5], v[38:39], v[151:152]
	v_fma_f64 v[149:150], v[2:3], v[38:39], -v[40:41]
	ds_load_b128 v[2:5], v1 offset:1136
	s_wait_loadcnt_dscnt 0x801
	v_mul_f64_e32 v[145:146], v[133:134], v[131:132]
	v_mul_f64_e32 v[131:132], v[135:136], v[131:132]
	scratch_load_b128 v[38:41], off, off offset:624
	s_wait_loadcnt_dscnt 0x800
	v_mul_f64_e32 v[151:152], v[2:3], v[36:37]
	v_mul_f64_e32 v[36:37], v[4:5], v[36:37]
	v_add_f64_e32 v[143:144], v[143:144], v[137:138]
	v_add_f64_e32 v[141:142], v[141:142], v[139:140]
	ds_load_b128 v[137:140], v1 offset:1152
	v_fma_f64 v[135:136], v[135:136], v[129:130], v[145:146]
	v_fma_f64 v[133:134], v[133:134], v[129:130], -v[131:132]
	scratch_load_b128 v[129:132], off, off offset:640
	v_add_f64_e32 v[143:144], v[143:144], v[149:150]
	v_add_f64_e32 v[141:142], v[141:142], v[147:148]
	v_fma_f64 v[147:148], v[4:5], v[34:35], v[151:152]
	v_fma_f64 v[149:150], v[2:3], v[34:35], -v[36:37]
	ds_load_b128 v[2:5], v1 offset:1168
	s_wait_loadcnt_dscnt 0x801
	v_mul_f64_e32 v[145:146], v[137:138], v[8:9]
	v_mul_f64_e32 v[8:9], v[139:140], v[8:9]
	scratch_load_b128 v[34:37], off, off offset:656
	s_wait_loadcnt_dscnt 0x800
	v_mul_f64_e32 v[151:152], v[2:3], v[12:13]
	v_mul_f64_e32 v[12:13], v[4:5], v[12:13]
	v_add_f64_e32 v[143:144], v[143:144], v[133:134]
	v_add_f64_e32 v[141:142], v[141:142], v[135:136]
	ds_load_b128 v[133:136], v1 offset:1184
	v_fma_f64 v[139:140], v[139:140], v[6:7], v[145:146]
	v_fma_f64 v[6:7], v[137:138], v[6:7], -v[8:9]
	v_add_f64_e32 v[8:9], v[143:144], v[149:150]
	v_add_f64_e32 v[137:138], v[141:142], v[147:148]
	s_wait_loadcnt_dscnt 0x700
	v_mul_f64_e32 v[141:142], v[133:134], v[16:17]
	v_mul_f64_e32 v[16:17], v[135:136], v[16:17]
	v_fma_f64 v[143:144], v[4:5], v[10:11], v[151:152]
	v_fma_f64 v[10:11], v[2:3], v[10:11], -v[12:13]
	v_add_f64_e32 v[12:13], v[8:9], v[6:7]
	v_add_f64_e32 v[137:138], v[137:138], v[139:140]
	ds_load_b128 v[2:5], v1 offset:1200
	ds_load_b128 v[6:9], v1 offset:1216
	v_fma_f64 v[135:136], v[135:136], v[14:15], v[141:142]
	v_fma_f64 v[14:15], v[133:134], v[14:15], -v[16:17]
	s_wait_loadcnt_dscnt 0x601
	v_mul_f64_e32 v[139:140], v[2:3], v[20:21]
	v_mul_f64_e32 v[20:21], v[4:5], v[20:21]
	s_wait_loadcnt_dscnt 0x500
	v_mul_f64_e32 v[16:17], v[6:7], v[24:25]
	v_mul_f64_e32 v[24:25], v[8:9], v[24:25]
	v_add_f64_e32 v[10:11], v[12:13], v[10:11]
	v_add_f64_e32 v[12:13], v[137:138], v[143:144]
	v_fma_f64 v[133:134], v[4:5], v[18:19], v[139:140]
	v_fma_f64 v[18:19], v[2:3], v[18:19], -v[20:21]
	v_fma_f64 v[8:9], v[8:9], v[22:23], v[16:17]
	v_fma_f64 v[6:7], v[6:7], v[22:23], -v[24:25]
	v_add_f64_e32 v[14:15], v[10:11], v[14:15]
	v_add_f64_e32 v[20:21], v[12:13], v[135:136]
	ds_load_b128 v[2:5], v1 offset:1232
	ds_load_b128 v[10:13], v1 offset:1248
	s_wait_loadcnt_dscnt 0x401
	v_mul_f64_e32 v[135:136], v[2:3], v[28:29]
	v_mul_f64_e32 v[28:29], v[4:5], v[28:29]
	v_add_f64_e32 v[14:15], v[14:15], v[18:19]
	v_add_f64_e32 v[16:17], v[20:21], v[133:134]
	s_wait_loadcnt_dscnt 0x300
	v_mul_f64_e32 v[18:19], v[10:11], v[32:33]
	v_mul_f64_e32 v[20:21], v[12:13], v[32:33]
	v_fma_f64 v[22:23], v[4:5], v[26:27], v[135:136]
	v_fma_f64 v[24:25], v[2:3], v[26:27], -v[28:29]
	v_add_f64_e32 v[14:15], v[14:15], v[6:7]
	v_add_f64_e32 v[16:17], v[16:17], v[8:9]
	ds_load_b128 v[2:5], v1 offset:1264
	ds_load_b128 v[6:9], v1 offset:1280
	v_fma_f64 v[12:13], v[12:13], v[30:31], v[18:19]
	v_fma_f64 v[10:11], v[10:11], v[30:31], -v[20:21]
	s_wait_loadcnt_dscnt 0x201
	v_mul_f64_e32 v[26:27], v[2:3], v[40:41]
	v_mul_f64_e32 v[28:29], v[4:5], v[40:41]
	s_wait_loadcnt_dscnt 0x100
	v_mul_f64_e32 v[18:19], v[6:7], v[131:132]
	v_mul_f64_e32 v[20:21], v[8:9], v[131:132]
	v_add_f64_e32 v[14:15], v[14:15], v[24:25]
	v_add_f64_e32 v[16:17], v[16:17], v[22:23]
	v_fma_f64 v[22:23], v[4:5], v[38:39], v[26:27]
	v_fma_f64 v[24:25], v[2:3], v[38:39], -v[28:29]
	ds_load_b128 v[2:5], v1 offset:1296
	v_fma_f64 v[8:9], v[8:9], v[129:130], v[18:19]
	v_fma_f64 v[6:7], v[6:7], v[129:130], -v[20:21]
	v_add_f64_e32 v[10:11], v[14:15], v[10:11]
	v_add_f64_e32 v[12:13], v[16:17], v[12:13]
	s_wait_loadcnt_dscnt 0x0
	v_mul_f64_e32 v[14:15], v[2:3], v[36:37]
	v_mul_f64_e32 v[16:17], v[4:5], v[36:37]
	s_delay_alu instid0(VALU_DEP_4) | instskip(NEXT) | instid1(VALU_DEP_4)
	v_add_f64_e32 v[10:11], v[10:11], v[24:25]
	v_add_f64_e32 v[12:13], v[12:13], v[22:23]
	s_delay_alu instid0(VALU_DEP_4) | instskip(NEXT) | instid1(VALU_DEP_4)
	v_fma_f64 v[4:5], v[4:5], v[34:35], v[14:15]
	v_fma_f64 v[2:3], v[2:3], v[34:35], -v[16:17]
	s_delay_alu instid0(VALU_DEP_4) | instskip(NEXT) | instid1(VALU_DEP_4)
	v_add_f64_e32 v[6:7], v[10:11], v[6:7]
	v_add_f64_e32 v[8:9], v[12:13], v[8:9]
	s_delay_alu instid0(VALU_DEP_2) | instskip(NEXT) | instid1(VALU_DEP_2)
	v_add_f64_e32 v[2:3], v[6:7], v[2:3]
	v_add_f64_e32 v[4:5], v[8:9], v[4:5]
	s_delay_alu instid0(VALU_DEP_2) | instskip(NEXT) | instid1(VALU_DEP_2)
	v_add_f64_e64 v[2:3], v[42:43], -v[2:3]
	v_add_f64_e64 v[4:5], v[44:45], -v[4:5]
	scratch_store_b128 off, v[2:5], off offset:160
	v_cmpx_lt_u32_e32 8, v0
	s_cbranch_execz .LBB104_243
; %bb.242:
	scratch_load_b128 v[5:8], off, s10
	v_dual_mov_b32 v2, v1 :: v_dual_mov_b32 v3, v1
	v_mov_b32_e32 v4, v1
	scratch_store_b128 off, v[1:4], off offset:144
	s_wait_loadcnt 0x0
	ds_store_b128 v128, v[5:8]
.LBB104_243:
	s_wait_alu 0xfffe
	s_or_b32 exec_lo, exec_lo, s0
	s_wait_storecnt_dscnt 0x0
	s_barrier_signal -1
	s_barrier_wait -1
	global_inv scope:SCOPE_SE
	s_clause 0x8
	scratch_load_b128 v[2:5], off, off offset:160
	scratch_load_b128 v[6:9], off, off offset:176
	;; [unrolled: 1-line block ×9, first 2 shown]
	ds_load_b128 v[38:41], v1 offset:800
	ds_load_b128 v[42:45], v1 offset:816
	s_clause 0x1
	scratch_load_b128 v[129:132], off, off offset:144
	scratch_load_b128 v[133:136], off, off offset:304
	s_mov_b32 s0, exec_lo
	s_wait_loadcnt_dscnt 0xa01
	v_mul_f64_e32 v[137:138], v[40:41], v[4:5]
	v_mul_f64_e32 v[4:5], v[38:39], v[4:5]
	s_wait_loadcnt_dscnt 0x900
	v_mul_f64_e32 v[141:142], v[42:43], v[8:9]
	v_mul_f64_e32 v[8:9], v[44:45], v[8:9]
	s_delay_alu instid0(VALU_DEP_4) | instskip(NEXT) | instid1(VALU_DEP_4)
	v_fma_f64 v[143:144], v[38:39], v[2:3], -v[137:138]
	v_fma_f64 v[145:146], v[40:41], v[2:3], v[4:5]
	ds_load_b128 v[2:5], v1 offset:832
	ds_load_b128 v[137:140], v1 offset:848
	scratch_load_b128 v[38:41], off, off offset:320
	v_fma_f64 v[44:45], v[44:45], v[6:7], v[141:142]
	v_fma_f64 v[42:43], v[42:43], v[6:7], -v[8:9]
	scratch_load_b128 v[6:9], off, off offset:336
	s_wait_loadcnt_dscnt 0xa01
	v_mul_f64_e32 v[147:148], v[2:3], v[12:13]
	v_mul_f64_e32 v[12:13], v[4:5], v[12:13]
	v_add_f64_e32 v[141:142], 0, v[143:144]
	v_add_f64_e32 v[143:144], 0, v[145:146]
	s_wait_loadcnt_dscnt 0x900
	v_mul_f64_e32 v[145:146], v[137:138], v[16:17]
	v_mul_f64_e32 v[16:17], v[139:140], v[16:17]
	v_fma_f64 v[147:148], v[4:5], v[10:11], v[147:148]
	v_fma_f64 v[149:150], v[2:3], v[10:11], -v[12:13]
	ds_load_b128 v[2:5], v1 offset:864
	scratch_load_b128 v[10:13], off, off offset:352
	v_add_f64_e32 v[141:142], v[141:142], v[42:43]
	v_add_f64_e32 v[143:144], v[143:144], v[44:45]
	ds_load_b128 v[42:45], v1 offset:880
	v_fma_f64 v[139:140], v[139:140], v[14:15], v[145:146]
	v_fma_f64 v[137:138], v[137:138], v[14:15], -v[16:17]
	scratch_load_b128 v[14:17], off, off offset:368
	s_wait_loadcnt_dscnt 0xa01
	v_mul_f64_e32 v[151:152], v[2:3], v[20:21]
	v_mul_f64_e32 v[20:21], v[4:5], v[20:21]
	s_wait_loadcnt_dscnt 0x900
	v_mul_f64_e32 v[145:146], v[42:43], v[24:25]
	v_mul_f64_e32 v[24:25], v[44:45], v[24:25]
	v_add_f64_e32 v[141:142], v[141:142], v[149:150]
	v_add_f64_e32 v[143:144], v[143:144], v[147:148]
	v_fma_f64 v[147:148], v[4:5], v[18:19], v[151:152]
	v_fma_f64 v[149:150], v[2:3], v[18:19], -v[20:21]
	ds_load_b128 v[2:5], v1 offset:896
	scratch_load_b128 v[18:21], off, off offset:384
	v_fma_f64 v[44:45], v[44:45], v[22:23], v[145:146]
	v_fma_f64 v[42:43], v[42:43], v[22:23], -v[24:25]
	scratch_load_b128 v[22:25], off, off offset:400
	v_add_f64_e32 v[141:142], v[141:142], v[137:138]
	v_add_f64_e32 v[143:144], v[143:144], v[139:140]
	ds_load_b128 v[137:140], v1 offset:912
	s_wait_loadcnt_dscnt 0xa01
	v_mul_f64_e32 v[151:152], v[2:3], v[28:29]
	v_mul_f64_e32 v[28:29], v[4:5], v[28:29]
	s_wait_loadcnt_dscnt 0x900
	v_mul_f64_e32 v[145:146], v[137:138], v[32:33]
	v_mul_f64_e32 v[32:33], v[139:140], v[32:33]
	v_add_f64_e32 v[141:142], v[141:142], v[149:150]
	v_add_f64_e32 v[143:144], v[143:144], v[147:148]
	v_fma_f64 v[147:148], v[4:5], v[26:27], v[151:152]
	v_fma_f64 v[149:150], v[2:3], v[26:27], -v[28:29]
	ds_load_b128 v[2:5], v1 offset:928
	scratch_load_b128 v[26:29], off, off offset:416
	v_fma_f64 v[139:140], v[139:140], v[30:31], v[145:146]
	v_fma_f64 v[137:138], v[137:138], v[30:31], -v[32:33]
	scratch_load_b128 v[30:33], off, off offset:432
	v_add_f64_e32 v[141:142], v[141:142], v[42:43]
	v_add_f64_e32 v[143:144], v[143:144], v[44:45]
	ds_load_b128 v[42:45], v1 offset:944
	s_wait_loadcnt_dscnt 0xa01
	v_mul_f64_e32 v[151:152], v[2:3], v[36:37]
	v_mul_f64_e32 v[36:37], v[4:5], v[36:37]
	s_wait_loadcnt_dscnt 0x800
	v_mul_f64_e32 v[145:146], v[42:43], v[135:136]
	v_add_f64_e32 v[141:142], v[141:142], v[149:150]
	v_add_f64_e32 v[143:144], v[143:144], v[147:148]
	v_mul_f64_e32 v[147:148], v[44:45], v[135:136]
	v_fma_f64 v[149:150], v[4:5], v[34:35], v[151:152]
	v_fma_f64 v[151:152], v[2:3], v[34:35], -v[36:37]
	ds_load_b128 v[2:5], v1 offset:960
	scratch_load_b128 v[34:37], off, off offset:448
	v_fma_f64 v[44:45], v[44:45], v[133:134], v[145:146]
	v_add_f64_e32 v[141:142], v[141:142], v[137:138]
	v_add_f64_e32 v[139:140], v[143:144], v[139:140]
	ds_load_b128 v[135:138], v1 offset:976
	v_fma_f64 v[133:134], v[42:43], v[133:134], -v[147:148]
	s_wait_loadcnt_dscnt 0x801
	v_mul_f64_e32 v[143:144], v[2:3], v[40:41]
	v_mul_f64_e32 v[153:154], v[4:5], v[40:41]
	scratch_load_b128 v[40:43], off, off offset:464
	s_wait_loadcnt_dscnt 0x800
	v_mul_f64_e32 v[147:148], v[135:136], v[8:9]
	v_mul_f64_e32 v[8:9], v[137:138], v[8:9]
	v_add_f64_e32 v[141:142], v[141:142], v[151:152]
	v_add_f64_e32 v[139:140], v[139:140], v[149:150]
	v_fma_f64 v[149:150], v[4:5], v[38:39], v[143:144]
	v_fma_f64 v[38:39], v[2:3], v[38:39], -v[153:154]
	ds_load_b128 v[2:5], v1 offset:992
	ds_load_b128 v[143:146], v1 offset:1008
	v_fma_f64 v[137:138], v[137:138], v[6:7], v[147:148]
	v_fma_f64 v[135:136], v[135:136], v[6:7], -v[8:9]
	scratch_load_b128 v[6:9], off, off offset:496
	v_add_f64_e32 v[133:134], v[141:142], v[133:134]
	v_add_f64_e32 v[44:45], v[139:140], v[44:45]
	scratch_load_b128 v[139:142], off, off offset:480
	s_wait_loadcnt_dscnt 0x901
	v_mul_f64_e32 v[151:152], v[2:3], v[12:13]
	v_mul_f64_e32 v[12:13], v[4:5], v[12:13]
	s_wait_loadcnt_dscnt 0x800
	v_mul_f64_e32 v[147:148], v[143:144], v[16:17]
	v_mul_f64_e32 v[16:17], v[145:146], v[16:17]
	v_add_f64_e32 v[38:39], v[133:134], v[38:39]
	v_add_f64_e32 v[44:45], v[44:45], v[149:150]
	v_fma_f64 v[149:150], v[4:5], v[10:11], v[151:152]
	v_fma_f64 v[151:152], v[2:3], v[10:11], -v[12:13]
	ds_load_b128 v[2:5], v1 offset:1024
	scratch_load_b128 v[10:13], off, off offset:512
	v_fma_f64 v[145:146], v[145:146], v[14:15], v[147:148]
	v_fma_f64 v[143:144], v[143:144], v[14:15], -v[16:17]
	scratch_load_b128 v[14:17], off, off offset:528
	v_add_f64_e32 v[38:39], v[38:39], v[135:136]
	v_add_f64_e32 v[44:45], v[44:45], v[137:138]
	ds_load_b128 v[133:136], v1 offset:1040
	s_wait_loadcnt_dscnt 0x901
	v_mul_f64_e32 v[137:138], v[2:3], v[20:21]
	v_mul_f64_e32 v[20:21], v[4:5], v[20:21]
	s_wait_loadcnt_dscnt 0x800
	v_mul_f64_e32 v[147:148], v[133:134], v[24:25]
	v_mul_f64_e32 v[24:25], v[135:136], v[24:25]
	v_add_f64_e32 v[38:39], v[38:39], v[151:152]
	v_add_f64_e32 v[44:45], v[44:45], v[149:150]
	v_fma_f64 v[137:138], v[4:5], v[18:19], v[137:138]
	v_fma_f64 v[149:150], v[2:3], v[18:19], -v[20:21]
	ds_load_b128 v[2:5], v1 offset:1056
	scratch_load_b128 v[18:21], off, off offset:544
	v_fma_f64 v[135:136], v[135:136], v[22:23], v[147:148]
	v_fma_f64 v[133:134], v[133:134], v[22:23], -v[24:25]
	scratch_load_b128 v[22:25], off, off offset:560
	v_add_f64_e32 v[38:39], v[38:39], v[143:144]
	v_add_f64_e32 v[44:45], v[44:45], v[145:146]
	ds_load_b128 v[143:146], v1 offset:1072
	s_wait_loadcnt_dscnt 0x901
	v_mul_f64_e32 v[151:152], v[2:3], v[28:29]
	v_mul_f64_e32 v[28:29], v[4:5], v[28:29]
	v_add_f64_e32 v[38:39], v[38:39], v[149:150]
	v_add_f64_e32 v[44:45], v[44:45], v[137:138]
	s_wait_loadcnt_dscnt 0x800
	v_mul_f64_e32 v[137:138], v[143:144], v[32:33]
	v_mul_f64_e32 v[32:33], v[145:146], v[32:33]
	v_fma_f64 v[147:148], v[4:5], v[26:27], v[151:152]
	v_fma_f64 v[149:150], v[2:3], v[26:27], -v[28:29]
	ds_load_b128 v[2:5], v1 offset:1088
	scratch_load_b128 v[26:29], off, off offset:576
	v_add_f64_e32 v[38:39], v[38:39], v[133:134]
	v_add_f64_e32 v[44:45], v[44:45], v[135:136]
	ds_load_b128 v[133:136], v1 offset:1104
	s_wait_loadcnt_dscnt 0x801
	v_mul_f64_e32 v[151:152], v[2:3], v[36:37]
	v_mul_f64_e32 v[36:37], v[4:5], v[36:37]
	v_fma_f64 v[137:138], v[145:146], v[30:31], v[137:138]
	v_fma_f64 v[143:144], v[143:144], v[30:31], -v[32:33]
	scratch_load_b128 v[30:33], off, off offset:592
	s_wait_loadcnt_dscnt 0x800
	v_mul_f64_e32 v[145:146], v[133:134], v[42:43]
	v_add_f64_e32 v[38:39], v[38:39], v[149:150]
	v_add_f64_e32 v[44:45], v[44:45], v[147:148]
	v_mul_f64_e32 v[147:148], v[135:136], v[42:43]
	v_fma_f64 v[149:150], v[4:5], v[34:35], v[151:152]
	v_fma_f64 v[151:152], v[2:3], v[34:35], -v[36:37]
	ds_load_b128 v[2:5], v1 offset:1120
	scratch_load_b128 v[34:37], off, off offset:608
	v_fma_f64 v[135:136], v[135:136], v[40:41], v[145:146]
	v_add_f64_e32 v[38:39], v[38:39], v[143:144]
	v_add_f64_e32 v[137:138], v[44:45], v[137:138]
	ds_load_b128 v[42:45], v1 offset:1136
	v_fma_f64 v[133:134], v[133:134], v[40:41], -v[147:148]
	s_wait_loadcnt_dscnt 0x701
	v_mul_f64_e32 v[143:144], v[2:3], v[141:142]
	v_mul_f64_e32 v[141:142], v[4:5], v[141:142]
	s_wait_dscnt 0x0
	v_mul_f64_e32 v[147:148], v[42:43], v[8:9]
	v_mul_f64_e32 v[8:9], v[44:45], v[8:9]
	v_add_f64_e32 v[145:146], v[38:39], v[151:152]
	v_add_f64_e32 v[137:138], v[137:138], v[149:150]
	scratch_load_b128 v[38:41], off, off offset:624
	v_fma_f64 v[143:144], v[4:5], v[139:140], v[143:144]
	v_fma_f64 v[141:142], v[2:3], v[139:140], -v[141:142]
	ds_load_b128 v[2:5], v1 offset:1152
	v_fma_f64 v[44:45], v[44:45], v[6:7], v[147:148]
	v_fma_f64 v[42:43], v[42:43], v[6:7], -v[8:9]
	scratch_load_b128 v[6:9], off, off offset:656
	v_add_f64_e32 v[145:146], v[145:146], v[133:134]
	v_add_f64_e32 v[149:150], v[137:138], v[135:136]
	scratch_load_b128 v[133:136], off, off offset:640
	ds_load_b128 v[137:140], v1 offset:1168
	s_wait_loadcnt_dscnt 0x901
	v_mul_f64_e32 v[151:152], v[2:3], v[12:13]
	v_mul_f64_e32 v[12:13], v[4:5], v[12:13]
	v_add_f64_e32 v[141:142], v[145:146], v[141:142]
	v_add_f64_e32 v[143:144], v[149:150], v[143:144]
	s_wait_loadcnt_dscnt 0x800
	v_mul_f64_e32 v[145:146], v[137:138], v[16:17]
	v_mul_f64_e32 v[16:17], v[139:140], v[16:17]
	v_fma_f64 v[147:148], v[4:5], v[10:11], v[151:152]
	v_fma_f64 v[149:150], v[2:3], v[10:11], -v[12:13]
	ds_load_b128 v[2:5], v1 offset:1184
	ds_load_b128 v[10:13], v1 offset:1200
	v_add_f64_e32 v[42:43], v[141:142], v[42:43]
	v_add_f64_e32 v[44:45], v[143:144], v[44:45]
	s_wait_loadcnt_dscnt 0x701
	v_mul_f64_e32 v[141:142], v[2:3], v[20:21]
	v_mul_f64_e32 v[20:21], v[4:5], v[20:21]
	v_fma_f64 v[139:140], v[139:140], v[14:15], v[145:146]
	v_fma_f64 v[14:15], v[137:138], v[14:15], -v[16:17]
	v_add_f64_e32 v[16:17], v[42:43], v[149:150]
	v_add_f64_e32 v[42:43], v[44:45], v[147:148]
	s_wait_loadcnt_dscnt 0x600
	v_mul_f64_e32 v[44:45], v[10:11], v[24:25]
	v_mul_f64_e32 v[24:25], v[12:13], v[24:25]
	v_fma_f64 v[137:138], v[4:5], v[18:19], v[141:142]
	v_fma_f64 v[18:19], v[2:3], v[18:19], -v[20:21]
	v_add_f64_e32 v[20:21], v[16:17], v[14:15]
	v_add_f64_e32 v[42:43], v[42:43], v[139:140]
	ds_load_b128 v[2:5], v1 offset:1216
	ds_load_b128 v[14:17], v1 offset:1232
	v_fma_f64 v[12:13], v[12:13], v[22:23], v[44:45]
	v_fma_f64 v[10:11], v[10:11], v[22:23], -v[24:25]
	s_wait_loadcnt_dscnt 0x501
	v_mul_f64_e32 v[139:140], v[2:3], v[28:29]
	v_mul_f64_e32 v[28:29], v[4:5], v[28:29]
	s_wait_loadcnt_dscnt 0x400
	v_mul_f64_e32 v[22:23], v[14:15], v[32:33]
	v_mul_f64_e32 v[24:25], v[16:17], v[32:33]
	v_add_f64_e32 v[18:19], v[20:21], v[18:19]
	v_add_f64_e32 v[20:21], v[42:43], v[137:138]
	v_fma_f64 v[32:33], v[4:5], v[26:27], v[139:140]
	v_fma_f64 v[26:27], v[2:3], v[26:27], -v[28:29]
	v_fma_f64 v[16:17], v[16:17], v[30:31], v[22:23]
	v_fma_f64 v[14:15], v[14:15], v[30:31], -v[24:25]
	v_add_f64_e32 v[18:19], v[18:19], v[10:11]
	v_add_f64_e32 v[20:21], v[20:21], v[12:13]
	ds_load_b128 v[2:5], v1 offset:1248
	ds_load_b128 v[10:13], v1 offset:1264
	s_wait_loadcnt_dscnt 0x301
	v_mul_f64_e32 v[28:29], v[2:3], v[36:37]
	v_mul_f64_e32 v[36:37], v[4:5], v[36:37]
	v_add_f64_e32 v[18:19], v[18:19], v[26:27]
	v_add_f64_e32 v[20:21], v[20:21], v[32:33]
	s_wait_loadcnt_dscnt 0x200
	v_mul_f64_e32 v[22:23], v[10:11], v[40:41]
	v_mul_f64_e32 v[24:25], v[12:13], v[40:41]
	v_fma_f64 v[26:27], v[4:5], v[34:35], v[28:29]
	v_fma_f64 v[28:29], v[2:3], v[34:35], -v[36:37]
	v_add_f64_e32 v[18:19], v[18:19], v[14:15]
	v_add_f64_e32 v[20:21], v[20:21], v[16:17]
	ds_load_b128 v[2:5], v1 offset:1280
	ds_load_b128 v[14:17], v1 offset:1296
	v_fma_f64 v[12:13], v[12:13], v[38:39], v[22:23]
	v_fma_f64 v[10:11], v[10:11], v[38:39], -v[24:25]
	s_wait_loadcnt_dscnt 0x1
	v_mul_f64_e32 v[30:31], v[2:3], v[135:136]
	v_mul_f64_e32 v[32:33], v[4:5], v[135:136]
	s_wait_dscnt 0x0
	v_mul_f64_e32 v[22:23], v[14:15], v[8:9]
	v_mul_f64_e32 v[8:9], v[16:17], v[8:9]
	v_add_f64_e32 v[18:19], v[18:19], v[28:29]
	v_add_f64_e32 v[20:21], v[20:21], v[26:27]
	v_fma_f64 v[4:5], v[4:5], v[133:134], v[30:31]
	v_fma_f64 v[1:2], v[2:3], v[133:134], -v[32:33]
	v_fma_f64 v[16:17], v[16:17], v[6:7], v[22:23]
	v_fma_f64 v[6:7], v[14:15], v[6:7], -v[8:9]
	v_add_f64_e32 v[10:11], v[18:19], v[10:11]
	v_add_f64_e32 v[12:13], v[20:21], v[12:13]
	s_delay_alu instid0(VALU_DEP_2) | instskip(NEXT) | instid1(VALU_DEP_2)
	v_add_f64_e32 v[1:2], v[10:11], v[1:2]
	v_add_f64_e32 v[3:4], v[12:13], v[4:5]
	s_delay_alu instid0(VALU_DEP_2) | instskip(NEXT) | instid1(VALU_DEP_2)
	;; [unrolled: 3-line block ×3, first 2 shown]
	v_add_f64_e64 v[1:2], v[129:130], -v[1:2]
	v_add_f64_e64 v[3:4], v[131:132], -v[3:4]
	scratch_store_b128 off, v[1:4], off offset:144
	v_cmpx_lt_u32_e32 7, v0
	s_cbranch_execz .LBB104_245
; %bb.244:
	scratch_load_b128 v[1:4], off, s30
	v_mov_b32_e32 v5, 0
	s_delay_alu instid0(VALU_DEP_1)
	v_dual_mov_b32 v6, v5 :: v_dual_mov_b32 v7, v5
	v_mov_b32_e32 v8, v5
	scratch_store_b128 off, v[5:8], off offset:128
	s_wait_loadcnt 0x0
	ds_store_b128 v128, v[1:4]
.LBB104_245:
	s_wait_alu 0xfffe
	s_or_b32 exec_lo, exec_lo, s0
	s_wait_storecnt_dscnt 0x0
	s_barrier_signal -1
	s_barrier_wait -1
	global_inv scope:SCOPE_SE
	s_clause 0x7
	scratch_load_b128 v[2:5], off, off offset:144
	scratch_load_b128 v[6:9], off, off offset:160
	;; [unrolled: 1-line block ×8, first 2 shown]
	v_mov_b32_e32 v1, 0
	s_mov_b32 s0, exec_lo
	ds_load_b128 v[34:37], v1 offset:784
	s_clause 0x1
	scratch_load_b128 v[38:41], off, off offset:272
	scratch_load_b128 v[42:45], off, off offset:128
	ds_load_b128 v[129:132], v1 offset:800
	scratch_load_b128 v[133:136], off, off offset:288
	s_wait_loadcnt_dscnt 0xa01
	v_mul_f64_e32 v[137:138], v[36:37], v[4:5]
	v_mul_f64_e32 v[4:5], v[34:35], v[4:5]
	s_delay_alu instid0(VALU_DEP_2) | instskip(NEXT) | instid1(VALU_DEP_2)
	v_fma_f64 v[143:144], v[34:35], v[2:3], -v[137:138]
	v_fma_f64 v[145:146], v[36:37], v[2:3], v[4:5]
	ds_load_b128 v[2:5], v1 offset:816
	s_wait_loadcnt_dscnt 0x901
	v_mul_f64_e32 v[141:142], v[129:130], v[8:9]
	v_mul_f64_e32 v[8:9], v[131:132], v[8:9]
	scratch_load_b128 v[34:37], off, off offset:304
	ds_load_b128 v[137:140], v1 offset:832
	s_wait_loadcnt_dscnt 0x901
	v_mul_f64_e32 v[147:148], v[2:3], v[12:13]
	v_mul_f64_e32 v[12:13], v[4:5], v[12:13]
	v_fma_f64 v[131:132], v[131:132], v[6:7], v[141:142]
	v_fma_f64 v[129:130], v[129:130], v[6:7], -v[8:9]
	v_add_f64_e32 v[141:142], 0, v[143:144]
	v_add_f64_e32 v[143:144], 0, v[145:146]
	scratch_load_b128 v[6:9], off, off offset:320
	v_fma_f64 v[147:148], v[4:5], v[10:11], v[147:148]
	v_fma_f64 v[149:150], v[2:3], v[10:11], -v[12:13]
	ds_load_b128 v[2:5], v1 offset:848
	s_wait_loadcnt_dscnt 0x901
	v_mul_f64_e32 v[145:146], v[137:138], v[16:17]
	v_mul_f64_e32 v[16:17], v[139:140], v[16:17]
	scratch_load_b128 v[10:13], off, off offset:336
	v_add_f64_e32 v[141:142], v[141:142], v[129:130]
	v_add_f64_e32 v[143:144], v[143:144], v[131:132]
	s_wait_loadcnt_dscnt 0x900
	v_mul_f64_e32 v[151:152], v[2:3], v[20:21]
	v_mul_f64_e32 v[20:21], v[4:5], v[20:21]
	ds_load_b128 v[129:132], v1 offset:864
	v_fma_f64 v[139:140], v[139:140], v[14:15], v[145:146]
	v_fma_f64 v[137:138], v[137:138], v[14:15], -v[16:17]
	scratch_load_b128 v[14:17], off, off offset:352
	v_add_f64_e32 v[141:142], v[141:142], v[149:150]
	v_add_f64_e32 v[143:144], v[143:144], v[147:148]
	v_fma_f64 v[147:148], v[4:5], v[18:19], v[151:152]
	v_fma_f64 v[149:150], v[2:3], v[18:19], -v[20:21]
	ds_load_b128 v[2:5], v1 offset:880
	s_wait_loadcnt_dscnt 0x901
	v_mul_f64_e32 v[145:146], v[129:130], v[24:25]
	v_mul_f64_e32 v[24:25], v[131:132], v[24:25]
	scratch_load_b128 v[18:21], off, off offset:368
	s_wait_loadcnt_dscnt 0x900
	v_mul_f64_e32 v[151:152], v[2:3], v[28:29]
	v_mul_f64_e32 v[28:29], v[4:5], v[28:29]
	v_add_f64_e32 v[141:142], v[141:142], v[137:138]
	v_add_f64_e32 v[143:144], v[143:144], v[139:140]
	ds_load_b128 v[137:140], v1 offset:896
	v_fma_f64 v[131:132], v[131:132], v[22:23], v[145:146]
	v_fma_f64 v[129:130], v[129:130], v[22:23], -v[24:25]
	scratch_load_b128 v[22:25], off, off offset:384
	v_add_f64_e32 v[141:142], v[141:142], v[149:150]
	v_add_f64_e32 v[143:144], v[143:144], v[147:148]
	v_fma_f64 v[147:148], v[4:5], v[26:27], v[151:152]
	v_fma_f64 v[149:150], v[2:3], v[26:27], -v[28:29]
	ds_load_b128 v[2:5], v1 offset:912
	s_wait_loadcnt_dscnt 0x901
	v_mul_f64_e32 v[145:146], v[137:138], v[32:33]
	v_mul_f64_e32 v[32:33], v[139:140], v[32:33]
	scratch_load_b128 v[26:29], off, off offset:400
	s_wait_loadcnt_dscnt 0x900
	v_mul_f64_e32 v[151:152], v[2:3], v[40:41]
	v_mul_f64_e32 v[40:41], v[4:5], v[40:41]
	v_add_f64_e32 v[141:142], v[141:142], v[129:130]
	v_add_f64_e32 v[143:144], v[143:144], v[131:132]
	ds_load_b128 v[129:132], v1 offset:928
	v_fma_f64 v[139:140], v[139:140], v[30:31], v[145:146]
	v_fma_f64 v[137:138], v[137:138], v[30:31], -v[32:33]
	scratch_load_b128 v[30:33], off, off offset:416
	v_add_f64_e32 v[141:142], v[141:142], v[149:150]
	v_add_f64_e32 v[143:144], v[143:144], v[147:148]
	v_fma_f64 v[149:150], v[4:5], v[38:39], v[151:152]
	v_fma_f64 v[151:152], v[2:3], v[38:39], -v[40:41]
	ds_load_b128 v[2:5], v1 offset:944
	s_wait_loadcnt_dscnt 0x801
	v_mul_f64_e32 v[145:146], v[129:130], v[135:136]
	v_mul_f64_e32 v[147:148], v[131:132], v[135:136]
	scratch_load_b128 v[38:41], off, off offset:432
	v_add_f64_e32 v[141:142], v[141:142], v[137:138]
	v_add_f64_e32 v[139:140], v[143:144], v[139:140]
	ds_load_b128 v[135:138], v1 offset:960
	v_fma_f64 v[145:146], v[131:132], v[133:134], v[145:146]
	v_fma_f64 v[133:134], v[129:130], v[133:134], -v[147:148]
	scratch_load_b128 v[129:132], off, off offset:448
	s_wait_loadcnt_dscnt 0x901
	v_mul_f64_e32 v[143:144], v[2:3], v[36:37]
	v_mul_f64_e32 v[36:37], v[4:5], v[36:37]
	v_add_f64_e32 v[141:142], v[141:142], v[151:152]
	v_add_f64_e32 v[139:140], v[139:140], v[149:150]
	s_delay_alu instid0(VALU_DEP_4) | instskip(NEXT) | instid1(VALU_DEP_4)
	v_fma_f64 v[143:144], v[4:5], v[34:35], v[143:144]
	v_fma_f64 v[149:150], v[2:3], v[34:35], -v[36:37]
	ds_load_b128 v[2:5], v1 offset:976
	s_wait_loadcnt_dscnt 0x801
	v_mul_f64_e32 v[147:148], v[135:136], v[8:9]
	v_mul_f64_e32 v[8:9], v[137:138], v[8:9]
	scratch_load_b128 v[34:37], off, off offset:464
	s_wait_loadcnt_dscnt 0x800
	v_mul_f64_e32 v[151:152], v[2:3], v[12:13]
	v_add_f64_e32 v[133:134], v[141:142], v[133:134]
	v_add_f64_e32 v[145:146], v[139:140], v[145:146]
	v_mul_f64_e32 v[12:13], v[4:5], v[12:13]
	ds_load_b128 v[139:142], v1 offset:992
	v_fma_f64 v[137:138], v[137:138], v[6:7], v[147:148]
	v_fma_f64 v[135:136], v[135:136], v[6:7], -v[8:9]
	scratch_load_b128 v[6:9], off, off offset:480
	v_fma_f64 v[147:148], v[4:5], v[10:11], v[151:152]
	v_add_f64_e32 v[133:134], v[133:134], v[149:150]
	v_add_f64_e32 v[143:144], v[145:146], v[143:144]
	v_fma_f64 v[149:150], v[2:3], v[10:11], -v[12:13]
	ds_load_b128 v[2:5], v1 offset:1008
	s_wait_loadcnt_dscnt 0x801
	v_mul_f64_e32 v[145:146], v[139:140], v[16:17]
	v_mul_f64_e32 v[16:17], v[141:142], v[16:17]
	scratch_load_b128 v[10:13], off, off offset:496
	v_add_f64_e32 v[151:152], v[133:134], v[135:136]
	v_add_f64_e32 v[137:138], v[143:144], v[137:138]
	s_wait_loadcnt_dscnt 0x800
	v_mul_f64_e32 v[143:144], v[2:3], v[20:21]
	v_mul_f64_e32 v[20:21], v[4:5], v[20:21]
	v_fma_f64 v[141:142], v[141:142], v[14:15], v[145:146]
	v_fma_f64 v[139:140], v[139:140], v[14:15], -v[16:17]
	ds_load_b128 v[133:136], v1 offset:1024
	scratch_load_b128 v[14:17], off, off offset:512
	v_add_f64_e32 v[145:146], v[151:152], v[149:150]
	v_add_f64_e32 v[137:138], v[137:138], v[147:148]
	v_fma_f64 v[143:144], v[4:5], v[18:19], v[143:144]
	v_fma_f64 v[149:150], v[2:3], v[18:19], -v[20:21]
	ds_load_b128 v[2:5], v1 offset:1040
	s_wait_loadcnt_dscnt 0x801
	v_mul_f64_e32 v[147:148], v[133:134], v[24:25]
	v_mul_f64_e32 v[24:25], v[135:136], v[24:25]
	scratch_load_b128 v[18:21], off, off offset:528
	s_wait_loadcnt_dscnt 0x800
	v_mul_f64_e32 v[151:152], v[2:3], v[28:29]
	v_mul_f64_e32 v[28:29], v[4:5], v[28:29]
	v_add_f64_e32 v[145:146], v[145:146], v[139:140]
	v_add_f64_e32 v[141:142], v[137:138], v[141:142]
	ds_load_b128 v[137:140], v1 offset:1056
	v_fma_f64 v[135:136], v[135:136], v[22:23], v[147:148]
	v_fma_f64 v[133:134], v[133:134], v[22:23], -v[24:25]
	scratch_load_b128 v[22:25], off, off offset:544
	v_fma_f64 v[147:148], v[4:5], v[26:27], v[151:152]
	v_add_f64_e32 v[145:146], v[145:146], v[149:150]
	v_add_f64_e32 v[141:142], v[141:142], v[143:144]
	v_fma_f64 v[149:150], v[2:3], v[26:27], -v[28:29]
	ds_load_b128 v[2:5], v1 offset:1072
	s_wait_loadcnt_dscnt 0x801
	v_mul_f64_e32 v[143:144], v[137:138], v[32:33]
	v_mul_f64_e32 v[32:33], v[139:140], v[32:33]
	scratch_load_b128 v[26:29], off, off offset:560
	s_wait_loadcnt_dscnt 0x800
	v_mul_f64_e32 v[151:152], v[2:3], v[40:41]
	v_mul_f64_e32 v[40:41], v[4:5], v[40:41]
	v_add_f64_e32 v[145:146], v[145:146], v[133:134]
	v_add_f64_e32 v[141:142], v[141:142], v[135:136]
	ds_load_b128 v[133:136], v1 offset:1088
	v_fma_f64 v[139:140], v[139:140], v[30:31], v[143:144]
	v_fma_f64 v[137:138], v[137:138], v[30:31], -v[32:33]
	scratch_load_b128 v[30:33], off, off offset:576
	v_add_f64_e32 v[143:144], v[145:146], v[149:150]
	v_add_f64_e32 v[141:142], v[141:142], v[147:148]
	v_fma_f64 v[147:148], v[4:5], v[38:39], v[151:152]
	v_fma_f64 v[149:150], v[2:3], v[38:39], -v[40:41]
	ds_load_b128 v[2:5], v1 offset:1104
	s_wait_loadcnt_dscnt 0x801
	v_mul_f64_e32 v[145:146], v[133:134], v[131:132]
	v_mul_f64_e32 v[131:132], v[135:136], v[131:132]
	scratch_load_b128 v[38:41], off, off offset:592
	s_wait_loadcnt_dscnt 0x800
	v_mul_f64_e32 v[151:152], v[2:3], v[36:37]
	v_mul_f64_e32 v[36:37], v[4:5], v[36:37]
	v_add_f64_e32 v[143:144], v[143:144], v[137:138]
	v_add_f64_e32 v[141:142], v[141:142], v[139:140]
	ds_load_b128 v[137:140], v1 offset:1120
	v_fma_f64 v[135:136], v[135:136], v[129:130], v[145:146]
	v_fma_f64 v[133:134], v[133:134], v[129:130], -v[131:132]
	scratch_load_b128 v[129:132], off, off offset:608
	v_add_f64_e32 v[143:144], v[143:144], v[149:150]
	v_add_f64_e32 v[141:142], v[141:142], v[147:148]
	v_fma_f64 v[147:148], v[4:5], v[34:35], v[151:152]
	;; [unrolled: 18-line block ×3, first 2 shown]
	v_fma_f64 v[149:150], v[2:3], v[10:11], -v[12:13]
	ds_load_b128 v[2:5], v1 offset:1168
	s_wait_loadcnt_dscnt 0x801
	v_mul_f64_e32 v[145:146], v[133:134], v[16:17]
	v_mul_f64_e32 v[16:17], v[135:136], v[16:17]
	scratch_load_b128 v[10:13], off, off offset:656
	s_wait_loadcnt_dscnt 0x800
	v_mul_f64_e32 v[151:152], v[2:3], v[20:21]
	v_mul_f64_e32 v[20:21], v[4:5], v[20:21]
	v_add_f64_e32 v[143:144], v[143:144], v[137:138]
	v_add_f64_e32 v[141:142], v[141:142], v[139:140]
	ds_load_b128 v[137:140], v1 offset:1184
	v_fma_f64 v[135:136], v[135:136], v[14:15], v[145:146]
	v_fma_f64 v[14:15], v[133:134], v[14:15], -v[16:17]
	v_add_f64_e32 v[16:17], v[143:144], v[149:150]
	v_add_f64_e32 v[133:134], v[141:142], v[147:148]
	s_wait_loadcnt_dscnt 0x700
	v_mul_f64_e32 v[141:142], v[137:138], v[24:25]
	v_mul_f64_e32 v[24:25], v[139:140], v[24:25]
	v_fma_f64 v[143:144], v[4:5], v[18:19], v[151:152]
	v_fma_f64 v[18:19], v[2:3], v[18:19], -v[20:21]
	v_add_f64_e32 v[20:21], v[16:17], v[14:15]
	v_add_f64_e32 v[133:134], v[133:134], v[135:136]
	ds_load_b128 v[2:5], v1 offset:1200
	ds_load_b128 v[14:17], v1 offset:1216
	v_fma_f64 v[139:140], v[139:140], v[22:23], v[141:142]
	v_fma_f64 v[22:23], v[137:138], v[22:23], -v[24:25]
	s_wait_loadcnt_dscnt 0x601
	v_mul_f64_e32 v[135:136], v[2:3], v[28:29]
	v_mul_f64_e32 v[28:29], v[4:5], v[28:29]
	s_wait_loadcnt_dscnt 0x500
	v_mul_f64_e32 v[24:25], v[14:15], v[32:33]
	v_mul_f64_e32 v[32:33], v[16:17], v[32:33]
	v_add_f64_e32 v[18:19], v[20:21], v[18:19]
	v_add_f64_e32 v[20:21], v[133:134], v[143:144]
	v_fma_f64 v[133:134], v[4:5], v[26:27], v[135:136]
	v_fma_f64 v[26:27], v[2:3], v[26:27], -v[28:29]
	v_fma_f64 v[16:17], v[16:17], v[30:31], v[24:25]
	v_fma_f64 v[14:15], v[14:15], v[30:31], -v[32:33]
	v_add_f64_e32 v[22:23], v[18:19], v[22:23]
	v_add_f64_e32 v[28:29], v[20:21], v[139:140]
	ds_load_b128 v[2:5], v1 offset:1232
	ds_load_b128 v[18:21], v1 offset:1248
	s_wait_loadcnt_dscnt 0x401
	v_mul_f64_e32 v[135:136], v[2:3], v[40:41]
	v_mul_f64_e32 v[40:41], v[4:5], v[40:41]
	v_add_f64_e32 v[22:23], v[22:23], v[26:27]
	v_add_f64_e32 v[24:25], v[28:29], v[133:134]
	s_wait_loadcnt_dscnt 0x300
	v_mul_f64_e32 v[26:27], v[18:19], v[131:132]
	v_mul_f64_e32 v[28:29], v[20:21], v[131:132]
	v_fma_f64 v[30:31], v[4:5], v[38:39], v[135:136]
	v_fma_f64 v[32:33], v[2:3], v[38:39], -v[40:41]
	v_add_f64_e32 v[22:23], v[22:23], v[14:15]
	v_add_f64_e32 v[24:25], v[24:25], v[16:17]
	ds_load_b128 v[2:5], v1 offset:1264
	ds_load_b128 v[14:17], v1 offset:1280
	v_fma_f64 v[20:21], v[20:21], v[129:130], v[26:27]
	v_fma_f64 v[18:19], v[18:19], v[129:130], -v[28:29]
	s_wait_loadcnt_dscnt 0x201
	v_mul_f64_e32 v[38:39], v[2:3], v[36:37]
	v_mul_f64_e32 v[36:37], v[4:5], v[36:37]
	s_wait_loadcnt_dscnt 0x100
	v_mul_f64_e32 v[26:27], v[14:15], v[8:9]
	v_mul_f64_e32 v[8:9], v[16:17], v[8:9]
	v_add_f64_e32 v[22:23], v[22:23], v[32:33]
	v_add_f64_e32 v[24:25], v[24:25], v[30:31]
	v_fma_f64 v[28:29], v[4:5], v[34:35], v[38:39]
	v_fma_f64 v[30:31], v[2:3], v[34:35], -v[36:37]
	ds_load_b128 v[2:5], v1 offset:1296
	v_fma_f64 v[16:17], v[16:17], v[6:7], v[26:27]
	v_fma_f64 v[6:7], v[14:15], v[6:7], -v[8:9]
	v_add_f64_e32 v[18:19], v[22:23], v[18:19]
	v_add_f64_e32 v[20:21], v[24:25], v[20:21]
	s_wait_loadcnt_dscnt 0x0
	v_mul_f64_e32 v[22:23], v[2:3], v[12:13]
	v_mul_f64_e32 v[12:13], v[4:5], v[12:13]
	s_delay_alu instid0(VALU_DEP_4) | instskip(NEXT) | instid1(VALU_DEP_4)
	v_add_f64_e32 v[8:9], v[18:19], v[30:31]
	v_add_f64_e32 v[14:15], v[20:21], v[28:29]
	s_delay_alu instid0(VALU_DEP_4) | instskip(NEXT) | instid1(VALU_DEP_4)
	v_fma_f64 v[4:5], v[4:5], v[10:11], v[22:23]
	v_fma_f64 v[2:3], v[2:3], v[10:11], -v[12:13]
	s_delay_alu instid0(VALU_DEP_4) | instskip(NEXT) | instid1(VALU_DEP_4)
	v_add_f64_e32 v[6:7], v[8:9], v[6:7]
	v_add_f64_e32 v[8:9], v[14:15], v[16:17]
	s_delay_alu instid0(VALU_DEP_2) | instskip(NEXT) | instid1(VALU_DEP_2)
	v_add_f64_e32 v[2:3], v[6:7], v[2:3]
	v_add_f64_e32 v[4:5], v[8:9], v[4:5]
	s_delay_alu instid0(VALU_DEP_2) | instskip(NEXT) | instid1(VALU_DEP_2)
	v_add_f64_e64 v[2:3], v[42:43], -v[2:3]
	v_add_f64_e64 v[4:5], v[44:45], -v[4:5]
	scratch_store_b128 off, v[2:5], off offset:128
	v_cmpx_lt_u32_e32 6, v0
	s_cbranch_execz .LBB104_247
; %bb.246:
	scratch_load_b128 v[5:8], off, s5
	v_dual_mov_b32 v2, v1 :: v_dual_mov_b32 v3, v1
	v_mov_b32_e32 v4, v1
	scratch_store_b128 off, v[1:4], off offset:112
	s_wait_loadcnt 0x0
	ds_store_b128 v128, v[5:8]
.LBB104_247:
	s_wait_alu 0xfffe
	s_or_b32 exec_lo, exec_lo, s0
	s_wait_storecnt_dscnt 0x0
	s_barrier_signal -1
	s_barrier_wait -1
	global_inv scope:SCOPE_SE
	s_clause 0x8
	scratch_load_b128 v[2:5], off, off offset:128
	scratch_load_b128 v[6:9], off, off offset:144
	;; [unrolled: 1-line block ×9, first 2 shown]
	ds_load_b128 v[38:41], v1 offset:768
	ds_load_b128 v[42:45], v1 offset:784
	s_clause 0x1
	scratch_load_b128 v[129:132], off, off offset:112
	scratch_load_b128 v[133:136], off, off offset:272
	s_mov_b32 s0, exec_lo
	s_wait_loadcnt_dscnt 0xa01
	v_mul_f64_e32 v[137:138], v[40:41], v[4:5]
	v_mul_f64_e32 v[4:5], v[38:39], v[4:5]
	s_wait_loadcnt_dscnt 0x900
	v_mul_f64_e32 v[141:142], v[42:43], v[8:9]
	v_mul_f64_e32 v[8:9], v[44:45], v[8:9]
	s_delay_alu instid0(VALU_DEP_4) | instskip(NEXT) | instid1(VALU_DEP_4)
	v_fma_f64 v[143:144], v[38:39], v[2:3], -v[137:138]
	v_fma_f64 v[145:146], v[40:41], v[2:3], v[4:5]
	ds_load_b128 v[2:5], v1 offset:800
	ds_load_b128 v[137:140], v1 offset:816
	scratch_load_b128 v[38:41], off, off offset:288
	v_fma_f64 v[44:45], v[44:45], v[6:7], v[141:142]
	v_fma_f64 v[42:43], v[42:43], v[6:7], -v[8:9]
	scratch_load_b128 v[6:9], off, off offset:304
	s_wait_loadcnt_dscnt 0xa01
	v_mul_f64_e32 v[147:148], v[2:3], v[12:13]
	v_mul_f64_e32 v[12:13], v[4:5], v[12:13]
	v_add_f64_e32 v[141:142], 0, v[143:144]
	v_add_f64_e32 v[143:144], 0, v[145:146]
	s_wait_loadcnt_dscnt 0x900
	v_mul_f64_e32 v[145:146], v[137:138], v[16:17]
	v_mul_f64_e32 v[16:17], v[139:140], v[16:17]
	v_fma_f64 v[147:148], v[4:5], v[10:11], v[147:148]
	v_fma_f64 v[149:150], v[2:3], v[10:11], -v[12:13]
	ds_load_b128 v[2:5], v1 offset:832
	scratch_load_b128 v[10:13], off, off offset:320
	v_add_f64_e32 v[141:142], v[141:142], v[42:43]
	v_add_f64_e32 v[143:144], v[143:144], v[44:45]
	ds_load_b128 v[42:45], v1 offset:848
	v_fma_f64 v[139:140], v[139:140], v[14:15], v[145:146]
	v_fma_f64 v[137:138], v[137:138], v[14:15], -v[16:17]
	scratch_load_b128 v[14:17], off, off offset:336
	s_wait_loadcnt_dscnt 0xa01
	v_mul_f64_e32 v[151:152], v[2:3], v[20:21]
	v_mul_f64_e32 v[20:21], v[4:5], v[20:21]
	s_wait_loadcnt_dscnt 0x900
	v_mul_f64_e32 v[145:146], v[42:43], v[24:25]
	v_mul_f64_e32 v[24:25], v[44:45], v[24:25]
	v_add_f64_e32 v[141:142], v[141:142], v[149:150]
	v_add_f64_e32 v[143:144], v[143:144], v[147:148]
	v_fma_f64 v[147:148], v[4:5], v[18:19], v[151:152]
	v_fma_f64 v[149:150], v[2:3], v[18:19], -v[20:21]
	ds_load_b128 v[2:5], v1 offset:864
	scratch_load_b128 v[18:21], off, off offset:352
	v_fma_f64 v[44:45], v[44:45], v[22:23], v[145:146]
	v_fma_f64 v[42:43], v[42:43], v[22:23], -v[24:25]
	scratch_load_b128 v[22:25], off, off offset:368
	v_add_f64_e32 v[141:142], v[141:142], v[137:138]
	v_add_f64_e32 v[143:144], v[143:144], v[139:140]
	ds_load_b128 v[137:140], v1 offset:880
	s_wait_loadcnt_dscnt 0xa01
	v_mul_f64_e32 v[151:152], v[2:3], v[28:29]
	v_mul_f64_e32 v[28:29], v[4:5], v[28:29]
	s_wait_loadcnt_dscnt 0x900
	v_mul_f64_e32 v[145:146], v[137:138], v[32:33]
	v_mul_f64_e32 v[32:33], v[139:140], v[32:33]
	v_add_f64_e32 v[141:142], v[141:142], v[149:150]
	v_add_f64_e32 v[143:144], v[143:144], v[147:148]
	v_fma_f64 v[147:148], v[4:5], v[26:27], v[151:152]
	v_fma_f64 v[149:150], v[2:3], v[26:27], -v[28:29]
	ds_load_b128 v[2:5], v1 offset:896
	scratch_load_b128 v[26:29], off, off offset:384
	v_fma_f64 v[139:140], v[139:140], v[30:31], v[145:146]
	v_fma_f64 v[137:138], v[137:138], v[30:31], -v[32:33]
	scratch_load_b128 v[30:33], off, off offset:400
	v_add_f64_e32 v[141:142], v[141:142], v[42:43]
	v_add_f64_e32 v[143:144], v[143:144], v[44:45]
	ds_load_b128 v[42:45], v1 offset:912
	s_wait_loadcnt_dscnt 0xa01
	v_mul_f64_e32 v[151:152], v[2:3], v[36:37]
	v_mul_f64_e32 v[36:37], v[4:5], v[36:37]
	s_wait_loadcnt_dscnt 0x800
	v_mul_f64_e32 v[145:146], v[42:43], v[135:136]
	v_add_f64_e32 v[141:142], v[141:142], v[149:150]
	v_add_f64_e32 v[143:144], v[143:144], v[147:148]
	v_mul_f64_e32 v[147:148], v[44:45], v[135:136]
	v_fma_f64 v[149:150], v[4:5], v[34:35], v[151:152]
	v_fma_f64 v[151:152], v[2:3], v[34:35], -v[36:37]
	ds_load_b128 v[2:5], v1 offset:928
	scratch_load_b128 v[34:37], off, off offset:416
	v_fma_f64 v[44:45], v[44:45], v[133:134], v[145:146]
	v_add_f64_e32 v[141:142], v[141:142], v[137:138]
	v_add_f64_e32 v[139:140], v[143:144], v[139:140]
	ds_load_b128 v[135:138], v1 offset:944
	v_fma_f64 v[133:134], v[42:43], v[133:134], -v[147:148]
	s_wait_loadcnt_dscnt 0x801
	v_mul_f64_e32 v[143:144], v[2:3], v[40:41]
	v_mul_f64_e32 v[153:154], v[4:5], v[40:41]
	scratch_load_b128 v[40:43], off, off offset:432
	s_wait_loadcnt_dscnt 0x800
	v_mul_f64_e32 v[147:148], v[135:136], v[8:9]
	v_mul_f64_e32 v[8:9], v[137:138], v[8:9]
	v_add_f64_e32 v[141:142], v[141:142], v[151:152]
	v_add_f64_e32 v[139:140], v[139:140], v[149:150]
	v_fma_f64 v[149:150], v[4:5], v[38:39], v[143:144]
	v_fma_f64 v[38:39], v[2:3], v[38:39], -v[153:154]
	ds_load_b128 v[2:5], v1 offset:960
	ds_load_b128 v[143:146], v1 offset:976
	v_fma_f64 v[137:138], v[137:138], v[6:7], v[147:148]
	v_fma_f64 v[135:136], v[135:136], v[6:7], -v[8:9]
	scratch_load_b128 v[6:9], off, off offset:464
	v_add_f64_e32 v[133:134], v[141:142], v[133:134]
	v_add_f64_e32 v[44:45], v[139:140], v[44:45]
	scratch_load_b128 v[139:142], off, off offset:448
	s_wait_loadcnt_dscnt 0x901
	v_mul_f64_e32 v[151:152], v[2:3], v[12:13]
	v_mul_f64_e32 v[12:13], v[4:5], v[12:13]
	s_wait_loadcnt_dscnt 0x800
	v_mul_f64_e32 v[147:148], v[143:144], v[16:17]
	v_mul_f64_e32 v[16:17], v[145:146], v[16:17]
	v_add_f64_e32 v[38:39], v[133:134], v[38:39]
	v_add_f64_e32 v[44:45], v[44:45], v[149:150]
	v_fma_f64 v[149:150], v[4:5], v[10:11], v[151:152]
	v_fma_f64 v[151:152], v[2:3], v[10:11], -v[12:13]
	ds_load_b128 v[2:5], v1 offset:992
	scratch_load_b128 v[10:13], off, off offset:480
	v_fma_f64 v[145:146], v[145:146], v[14:15], v[147:148]
	v_fma_f64 v[143:144], v[143:144], v[14:15], -v[16:17]
	scratch_load_b128 v[14:17], off, off offset:496
	v_add_f64_e32 v[38:39], v[38:39], v[135:136]
	v_add_f64_e32 v[44:45], v[44:45], v[137:138]
	ds_load_b128 v[133:136], v1 offset:1008
	s_wait_loadcnt_dscnt 0x901
	v_mul_f64_e32 v[137:138], v[2:3], v[20:21]
	v_mul_f64_e32 v[20:21], v[4:5], v[20:21]
	s_wait_loadcnt_dscnt 0x800
	v_mul_f64_e32 v[147:148], v[133:134], v[24:25]
	v_mul_f64_e32 v[24:25], v[135:136], v[24:25]
	v_add_f64_e32 v[38:39], v[38:39], v[151:152]
	v_add_f64_e32 v[44:45], v[44:45], v[149:150]
	v_fma_f64 v[137:138], v[4:5], v[18:19], v[137:138]
	v_fma_f64 v[149:150], v[2:3], v[18:19], -v[20:21]
	ds_load_b128 v[2:5], v1 offset:1024
	scratch_load_b128 v[18:21], off, off offset:512
	v_fma_f64 v[135:136], v[135:136], v[22:23], v[147:148]
	v_fma_f64 v[133:134], v[133:134], v[22:23], -v[24:25]
	scratch_load_b128 v[22:25], off, off offset:528
	v_add_f64_e32 v[38:39], v[38:39], v[143:144]
	v_add_f64_e32 v[44:45], v[44:45], v[145:146]
	ds_load_b128 v[143:146], v1 offset:1040
	s_wait_loadcnt_dscnt 0x901
	v_mul_f64_e32 v[151:152], v[2:3], v[28:29]
	v_mul_f64_e32 v[28:29], v[4:5], v[28:29]
	v_add_f64_e32 v[38:39], v[38:39], v[149:150]
	v_add_f64_e32 v[44:45], v[44:45], v[137:138]
	s_wait_loadcnt_dscnt 0x800
	v_mul_f64_e32 v[137:138], v[143:144], v[32:33]
	v_mul_f64_e32 v[32:33], v[145:146], v[32:33]
	v_fma_f64 v[147:148], v[4:5], v[26:27], v[151:152]
	v_fma_f64 v[149:150], v[2:3], v[26:27], -v[28:29]
	ds_load_b128 v[2:5], v1 offset:1056
	scratch_load_b128 v[26:29], off, off offset:544
	v_add_f64_e32 v[38:39], v[38:39], v[133:134]
	v_add_f64_e32 v[44:45], v[44:45], v[135:136]
	ds_load_b128 v[133:136], v1 offset:1072
	s_wait_loadcnt_dscnt 0x801
	v_mul_f64_e32 v[151:152], v[2:3], v[36:37]
	v_mul_f64_e32 v[36:37], v[4:5], v[36:37]
	v_fma_f64 v[137:138], v[145:146], v[30:31], v[137:138]
	v_fma_f64 v[143:144], v[143:144], v[30:31], -v[32:33]
	scratch_load_b128 v[30:33], off, off offset:560
	s_wait_loadcnt_dscnt 0x800
	v_mul_f64_e32 v[145:146], v[133:134], v[42:43]
	v_add_f64_e32 v[38:39], v[38:39], v[149:150]
	v_add_f64_e32 v[44:45], v[44:45], v[147:148]
	v_mul_f64_e32 v[147:148], v[135:136], v[42:43]
	v_fma_f64 v[149:150], v[4:5], v[34:35], v[151:152]
	v_fma_f64 v[151:152], v[2:3], v[34:35], -v[36:37]
	ds_load_b128 v[2:5], v1 offset:1088
	scratch_load_b128 v[34:37], off, off offset:576
	v_fma_f64 v[135:136], v[135:136], v[40:41], v[145:146]
	v_add_f64_e32 v[38:39], v[38:39], v[143:144]
	v_add_f64_e32 v[137:138], v[44:45], v[137:138]
	ds_load_b128 v[42:45], v1 offset:1104
	v_fma_f64 v[133:134], v[133:134], v[40:41], -v[147:148]
	s_wait_loadcnt_dscnt 0x701
	v_mul_f64_e32 v[143:144], v[2:3], v[141:142]
	v_mul_f64_e32 v[141:142], v[4:5], v[141:142]
	s_wait_dscnt 0x0
	v_mul_f64_e32 v[147:148], v[42:43], v[8:9]
	v_mul_f64_e32 v[8:9], v[44:45], v[8:9]
	v_add_f64_e32 v[145:146], v[38:39], v[151:152]
	v_add_f64_e32 v[137:138], v[137:138], v[149:150]
	scratch_load_b128 v[38:41], off, off offset:592
	v_fma_f64 v[143:144], v[4:5], v[139:140], v[143:144]
	v_fma_f64 v[141:142], v[2:3], v[139:140], -v[141:142]
	ds_load_b128 v[2:5], v1 offset:1120
	v_fma_f64 v[44:45], v[44:45], v[6:7], v[147:148]
	v_fma_f64 v[42:43], v[42:43], v[6:7], -v[8:9]
	scratch_load_b128 v[6:9], off, off offset:624
	v_add_f64_e32 v[145:146], v[145:146], v[133:134]
	v_add_f64_e32 v[149:150], v[137:138], v[135:136]
	scratch_load_b128 v[133:136], off, off offset:608
	ds_load_b128 v[137:140], v1 offset:1136
	s_wait_loadcnt_dscnt 0x901
	v_mul_f64_e32 v[151:152], v[2:3], v[12:13]
	v_mul_f64_e32 v[12:13], v[4:5], v[12:13]
	v_add_f64_e32 v[141:142], v[145:146], v[141:142]
	v_add_f64_e32 v[143:144], v[149:150], v[143:144]
	s_wait_loadcnt_dscnt 0x800
	v_mul_f64_e32 v[145:146], v[137:138], v[16:17]
	v_mul_f64_e32 v[16:17], v[139:140], v[16:17]
	v_fma_f64 v[147:148], v[4:5], v[10:11], v[151:152]
	v_fma_f64 v[149:150], v[2:3], v[10:11], -v[12:13]
	ds_load_b128 v[2:5], v1 offset:1152
	scratch_load_b128 v[10:13], off, off offset:640
	v_add_f64_e32 v[141:142], v[141:142], v[42:43]
	v_add_f64_e32 v[143:144], v[143:144], v[44:45]
	ds_load_b128 v[42:45], v1 offset:1168
	s_wait_loadcnt_dscnt 0x801
	v_mul_f64_e32 v[151:152], v[2:3], v[20:21]
	v_mul_f64_e32 v[20:21], v[4:5], v[20:21]
	v_fma_f64 v[139:140], v[139:140], v[14:15], v[145:146]
	v_fma_f64 v[137:138], v[137:138], v[14:15], -v[16:17]
	scratch_load_b128 v[14:17], off, off offset:656
	s_wait_loadcnt_dscnt 0x800
	v_mul_f64_e32 v[145:146], v[42:43], v[24:25]
	v_mul_f64_e32 v[24:25], v[44:45], v[24:25]
	v_add_f64_e32 v[141:142], v[141:142], v[149:150]
	v_add_f64_e32 v[143:144], v[143:144], v[147:148]
	v_fma_f64 v[147:148], v[4:5], v[18:19], v[151:152]
	v_fma_f64 v[149:150], v[2:3], v[18:19], -v[20:21]
	ds_load_b128 v[2:5], v1 offset:1184
	ds_load_b128 v[18:21], v1 offset:1200
	v_fma_f64 v[44:45], v[44:45], v[22:23], v[145:146]
	v_fma_f64 v[22:23], v[42:43], v[22:23], -v[24:25]
	v_add_f64_e32 v[137:138], v[141:142], v[137:138]
	v_add_f64_e32 v[139:140], v[143:144], v[139:140]
	s_wait_loadcnt_dscnt 0x701
	v_mul_f64_e32 v[141:142], v[2:3], v[28:29]
	v_mul_f64_e32 v[28:29], v[4:5], v[28:29]
	s_delay_alu instid0(VALU_DEP_4) | instskip(NEXT) | instid1(VALU_DEP_4)
	v_add_f64_e32 v[24:25], v[137:138], v[149:150]
	v_add_f64_e32 v[42:43], v[139:140], v[147:148]
	s_wait_loadcnt_dscnt 0x600
	v_mul_f64_e32 v[137:138], v[18:19], v[32:33]
	v_mul_f64_e32 v[32:33], v[20:21], v[32:33]
	v_fma_f64 v[139:140], v[4:5], v[26:27], v[141:142]
	v_fma_f64 v[26:27], v[2:3], v[26:27], -v[28:29]
	v_add_f64_e32 v[28:29], v[24:25], v[22:23]
	v_add_f64_e32 v[42:43], v[42:43], v[44:45]
	ds_load_b128 v[2:5], v1 offset:1216
	ds_load_b128 v[22:25], v1 offset:1232
	v_fma_f64 v[20:21], v[20:21], v[30:31], v[137:138]
	v_fma_f64 v[18:19], v[18:19], v[30:31], -v[32:33]
	s_wait_loadcnt_dscnt 0x501
	v_mul_f64_e32 v[44:45], v[2:3], v[36:37]
	v_mul_f64_e32 v[36:37], v[4:5], v[36:37]
	v_add_f64_e32 v[26:27], v[28:29], v[26:27]
	v_add_f64_e32 v[28:29], v[42:43], v[139:140]
	s_wait_loadcnt_dscnt 0x400
	v_mul_f64_e32 v[30:31], v[22:23], v[40:41]
	v_mul_f64_e32 v[32:33], v[24:25], v[40:41]
	v_fma_f64 v[40:41], v[4:5], v[34:35], v[44:45]
	v_fma_f64 v[34:35], v[2:3], v[34:35], -v[36:37]
	v_add_f64_e32 v[26:27], v[26:27], v[18:19]
	v_add_f64_e32 v[28:29], v[28:29], v[20:21]
	ds_load_b128 v[2:5], v1 offset:1248
	ds_load_b128 v[18:21], v1 offset:1264
	v_fma_f64 v[24:25], v[24:25], v[38:39], v[30:31]
	v_fma_f64 v[22:23], v[22:23], v[38:39], -v[32:33]
	s_wait_loadcnt_dscnt 0x201
	v_mul_f64_e32 v[36:37], v[2:3], v[135:136]
	v_mul_f64_e32 v[42:43], v[4:5], v[135:136]
	s_wait_dscnt 0x0
	v_mul_f64_e32 v[30:31], v[18:19], v[8:9]
	v_mul_f64_e32 v[8:9], v[20:21], v[8:9]
	v_add_f64_e32 v[26:27], v[26:27], v[34:35]
	v_add_f64_e32 v[28:29], v[28:29], v[40:41]
	v_fma_f64 v[32:33], v[4:5], v[133:134], v[36:37]
	v_fma_f64 v[34:35], v[2:3], v[133:134], -v[42:43]
	v_fma_f64 v[20:21], v[20:21], v[6:7], v[30:31]
	v_fma_f64 v[6:7], v[18:19], v[6:7], -v[8:9]
	v_add_f64_e32 v[26:27], v[26:27], v[22:23]
	v_add_f64_e32 v[28:29], v[28:29], v[24:25]
	ds_load_b128 v[2:5], v1 offset:1280
	ds_load_b128 v[22:25], v1 offset:1296
	s_wait_loadcnt_dscnt 0x101
	v_mul_f64_e32 v[36:37], v[2:3], v[12:13]
	v_mul_f64_e32 v[12:13], v[4:5], v[12:13]
	v_add_f64_e32 v[8:9], v[26:27], v[34:35]
	v_add_f64_e32 v[18:19], v[28:29], v[32:33]
	s_wait_loadcnt_dscnt 0x0
	v_mul_f64_e32 v[26:27], v[22:23], v[16:17]
	v_mul_f64_e32 v[16:17], v[24:25], v[16:17]
	v_fma_f64 v[4:5], v[4:5], v[10:11], v[36:37]
	v_fma_f64 v[1:2], v[2:3], v[10:11], -v[12:13]
	v_add_f64_e32 v[6:7], v[8:9], v[6:7]
	v_add_f64_e32 v[8:9], v[18:19], v[20:21]
	v_fma_f64 v[10:11], v[24:25], v[14:15], v[26:27]
	v_fma_f64 v[12:13], v[22:23], v[14:15], -v[16:17]
	s_delay_alu instid0(VALU_DEP_4) | instskip(NEXT) | instid1(VALU_DEP_4)
	v_add_f64_e32 v[1:2], v[6:7], v[1:2]
	v_add_f64_e32 v[3:4], v[8:9], v[4:5]
	s_delay_alu instid0(VALU_DEP_2) | instskip(NEXT) | instid1(VALU_DEP_2)
	v_add_f64_e32 v[1:2], v[1:2], v[12:13]
	v_add_f64_e32 v[3:4], v[3:4], v[10:11]
	s_delay_alu instid0(VALU_DEP_2) | instskip(NEXT) | instid1(VALU_DEP_2)
	v_add_f64_e64 v[1:2], v[129:130], -v[1:2]
	v_add_f64_e64 v[3:4], v[131:132], -v[3:4]
	scratch_store_b128 off, v[1:4], off offset:112
	v_cmpx_lt_u32_e32 5, v0
	s_cbranch_execz .LBB104_249
; %bb.248:
	scratch_load_b128 v[1:4], off, s29
	v_mov_b32_e32 v5, 0
	s_delay_alu instid0(VALU_DEP_1)
	v_dual_mov_b32 v6, v5 :: v_dual_mov_b32 v7, v5
	v_mov_b32_e32 v8, v5
	scratch_store_b128 off, v[5:8], off offset:96
	s_wait_loadcnt 0x0
	ds_store_b128 v128, v[1:4]
.LBB104_249:
	s_wait_alu 0xfffe
	s_or_b32 exec_lo, exec_lo, s0
	s_wait_storecnt_dscnt 0x0
	s_barrier_signal -1
	s_barrier_wait -1
	global_inv scope:SCOPE_SE
	s_clause 0x7
	scratch_load_b128 v[2:5], off, off offset:112
	scratch_load_b128 v[6:9], off, off offset:128
	;; [unrolled: 1-line block ×8, first 2 shown]
	v_mov_b32_e32 v1, 0
	s_mov_b32 s0, exec_lo
	ds_load_b128 v[38:41], v1 offset:752
	s_clause 0x1
	scratch_load_b128 v[34:37], off, off offset:240
	scratch_load_b128 v[42:45], off, off offset:96
	ds_load_b128 v[129:132], v1 offset:768
	scratch_load_b128 v[133:136], off, off offset:256
	s_wait_loadcnt_dscnt 0xa01
	v_mul_f64_e32 v[137:138], v[40:41], v[4:5]
	v_mul_f64_e32 v[4:5], v[38:39], v[4:5]
	s_delay_alu instid0(VALU_DEP_2) | instskip(NEXT) | instid1(VALU_DEP_2)
	v_fma_f64 v[143:144], v[38:39], v[2:3], -v[137:138]
	v_fma_f64 v[145:146], v[40:41], v[2:3], v[4:5]
	ds_load_b128 v[2:5], v1 offset:784
	s_wait_loadcnt_dscnt 0x901
	v_mul_f64_e32 v[141:142], v[129:130], v[8:9]
	v_mul_f64_e32 v[8:9], v[131:132], v[8:9]
	scratch_load_b128 v[38:41], off, off offset:272
	ds_load_b128 v[137:140], v1 offset:800
	s_wait_loadcnt_dscnt 0x901
	v_mul_f64_e32 v[147:148], v[2:3], v[12:13]
	v_mul_f64_e32 v[12:13], v[4:5], v[12:13]
	v_fma_f64 v[131:132], v[131:132], v[6:7], v[141:142]
	v_fma_f64 v[129:130], v[129:130], v[6:7], -v[8:9]
	v_add_f64_e32 v[141:142], 0, v[143:144]
	v_add_f64_e32 v[143:144], 0, v[145:146]
	scratch_load_b128 v[6:9], off, off offset:288
	v_fma_f64 v[147:148], v[4:5], v[10:11], v[147:148]
	v_fma_f64 v[149:150], v[2:3], v[10:11], -v[12:13]
	ds_load_b128 v[2:5], v1 offset:816
	s_wait_loadcnt_dscnt 0x901
	v_mul_f64_e32 v[145:146], v[137:138], v[16:17]
	v_mul_f64_e32 v[16:17], v[139:140], v[16:17]
	scratch_load_b128 v[10:13], off, off offset:304
	v_add_f64_e32 v[141:142], v[141:142], v[129:130]
	v_add_f64_e32 v[143:144], v[143:144], v[131:132]
	s_wait_loadcnt_dscnt 0x900
	v_mul_f64_e32 v[151:152], v[2:3], v[20:21]
	v_mul_f64_e32 v[20:21], v[4:5], v[20:21]
	ds_load_b128 v[129:132], v1 offset:832
	v_fma_f64 v[139:140], v[139:140], v[14:15], v[145:146]
	v_fma_f64 v[137:138], v[137:138], v[14:15], -v[16:17]
	scratch_load_b128 v[14:17], off, off offset:320
	v_add_f64_e32 v[141:142], v[141:142], v[149:150]
	v_add_f64_e32 v[143:144], v[143:144], v[147:148]
	v_fma_f64 v[147:148], v[4:5], v[18:19], v[151:152]
	v_fma_f64 v[149:150], v[2:3], v[18:19], -v[20:21]
	ds_load_b128 v[2:5], v1 offset:848
	s_wait_loadcnt_dscnt 0x901
	v_mul_f64_e32 v[145:146], v[129:130], v[24:25]
	v_mul_f64_e32 v[24:25], v[131:132], v[24:25]
	scratch_load_b128 v[18:21], off, off offset:336
	s_wait_loadcnt_dscnt 0x900
	v_mul_f64_e32 v[151:152], v[2:3], v[28:29]
	v_mul_f64_e32 v[28:29], v[4:5], v[28:29]
	v_add_f64_e32 v[141:142], v[141:142], v[137:138]
	v_add_f64_e32 v[143:144], v[143:144], v[139:140]
	ds_load_b128 v[137:140], v1 offset:864
	v_fma_f64 v[131:132], v[131:132], v[22:23], v[145:146]
	v_fma_f64 v[129:130], v[129:130], v[22:23], -v[24:25]
	scratch_load_b128 v[22:25], off, off offset:352
	v_add_f64_e32 v[141:142], v[141:142], v[149:150]
	v_add_f64_e32 v[143:144], v[143:144], v[147:148]
	v_fma_f64 v[147:148], v[4:5], v[26:27], v[151:152]
	v_fma_f64 v[149:150], v[2:3], v[26:27], -v[28:29]
	ds_load_b128 v[2:5], v1 offset:880
	s_wait_loadcnt_dscnt 0x901
	v_mul_f64_e32 v[145:146], v[137:138], v[32:33]
	v_mul_f64_e32 v[32:33], v[139:140], v[32:33]
	scratch_load_b128 v[26:29], off, off offset:368
	s_wait_loadcnt_dscnt 0x900
	v_mul_f64_e32 v[151:152], v[2:3], v[36:37]
	v_mul_f64_e32 v[36:37], v[4:5], v[36:37]
	v_add_f64_e32 v[141:142], v[141:142], v[129:130]
	v_add_f64_e32 v[143:144], v[143:144], v[131:132]
	ds_load_b128 v[129:132], v1 offset:896
	v_fma_f64 v[139:140], v[139:140], v[30:31], v[145:146]
	v_fma_f64 v[137:138], v[137:138], v[30:31], -v[32:33]
	scratch_load_b128 v[30:33], off, off offset:384
	v_add_f64_e32 v[141:142], v[141:142], v[149:150]
	v_add_f64_e32 v[143:144], v[143:144], v[147:148]
	v_fma_f64 v[149:150], v[4:5], v[34:35], v[151:152]
	v_fma_f64 v[151:152], v[2:3], v[34:35], -v[36:37]
	ds_load_b128 v[2:5], v1 offset:912
	s_wait_loadcnt_dscnt 0x801
	v_mul_f64_e32 v[145:146], v[129:130], v[135:136]
	v_mul_f64_e32 v[147:148], v[131:132], v[135:136]
	scratch_load_b128 v[34:37], off, off offset:400
	v_add_f64_e32 v[141:142], v[141:142], v[137:138]
	v_add_f64_e32 v[139:140], v[143:144], v[139:140]
	ds_load_b128 v[135:138], v1 offset:928
	v_fma_f64 v[145:146], v[131:132], v[133:134], v[145:146]
	v_fma_f64 v[133:134], v[129:130], v[133:134], -v[147:148]
	scratch_load_b128 v[129:132], off, off offset:416
	s_wait_loadcnt_dscnt 0x901
	v_mul_f64_e32 v[143:144], v[2:3], v[40:41]
	v_mul_f64_e32 v[40:41], v[4:5], v[40:41]
	v_add_f64_e32 v[141:142], v[141:142], v[151:152]
	v_add_f64_e32 v[139:140], v[139:140], v[149:150]
	s_delay_alu instid0(VALU_DEP_4) | instskip(NEXT) | instid1(VALU_DEP_4)
	v_fma_f64 v[143:144], v[4:5], v[38:39], v[143:144]
	v_fma_f64 v[149:150], v[2:3], v[38:39], -v[40:41]
	ds_load_b128 v[2:5], v1 offset:944
	s_wait_loadcnt_dscnt 0x801
	v_mul_f64_e32 v[147:148], v[135:136], v[8:9]
	v_mul_f64_e32 v[8:9], v[137:138], v[8:9]
	scratch_load_b128 v[38:41], off, off offset:432
	s_wait_loadcnt_dscnt 0x800
	v_mul_f64_e32 v[151:152], v[2:3], v[12:13]
	v_add_f64_e32 v[133:134], v[141:142], v[133:134]
	v_add_f64_e32 v[145:146], v[139:140], v[145:146]
	v_mul_f64_e32 v[12:13], v[4:5], v[12:13]
	ds_load_b128 v[139:142], v1 offset:960
	v_fma_f64 v[137:138], v[137:138], v[6:7], v[147:148]
	v_fma_f64 v[135:136], v[135:136], v[6:7], -v[8:9]
	scratch_load_b128 v[6:9], off, off offset:448
	v_fma_f64 v[147:148], v[4:5], v[10:11], v[151:152]
	v_add_f64_e32 v[133:134], v[133:134], v[149:150]
	v_add_f64_e32 v[143:144], v[145:146], v[143:144]
	v_fma_f64 v[149:150], v[2:3], v[10:11], -v[12:13]
	ds_load_b128 v[2:5], v1 offset:976
	s_wait_loadcnt_dscnt 0x801
	v_mul_f64_e32 v[145:146], v[139:140], v[16:17]
	v_mul_f64_e32 v[16:17], v[141:142], v[16:17]
	scratch_load_b128 v[10:13], off, off offset:464
	v_add_f64_e32 v[151:152], v[133:134], v[135:136]
	v_add_f64_e32 v[137:138], v[143:144], v[137:138]
	s_wait_loadcnt_dscnt 0x800
	v_mul_f64_e32 v[143:144], v[2:3], v[20:21]
	v_mul_f64_e32 v[20:21], v[4:5], v[20:21]
	v_fma_f64 v[141:142], v[141:142], v[14:15], v[145:146]
	v_fma_f64 v[139:140], v[139:140], v[14:15], -v[16:17]
	ds_load_b128 v[133:136], v1 offset:992
	scratch_load_b128 v[14:17], off, off offset:480
	v_add_f64_e32 v[145:146], v[151:152], v[149:150]
	v_add_f64_e32 v[137:138], v[137:138], v[147:148]
	v_fma_f64 v[143:144], v[4:5], v[18:19], v[143:144]
	v_fma_f64 v[149:150], v[2:3], v[18:19], -v[20:21]
	ds_load_b128 v[2:5], v1 offset:1008
	s_wait_loadcnt_dscnt 0x801
	v_mul_f64_e32 v[147:148], v[133:134], v[24:25]
	v_mul_f64_e32 v[24:25], v[135:136], v[24:25]
	scratch_load_b128 v[18:21], off, off offset:496
	s_wait_loadcnt_dscnt 0x800
	v_mul_f64_e32 v[151:152], v[2:3], v[28:29]
	v_mul_f64_e32 v[28:29], v[4:5], v[28:29]
	v_add_f64_e32 v[145:146], v[145:146], v[139:140]
	v_add_f64_e32 v[141:142], v[137:138], v[141:142]
	ds_load_b128 v[137:140], v1 offset:1024
	v_fma_f64 v[135:136], v[135:136], v[22:23], v[147:148]
	v_fma_f64 v[133:134], v[133:134], v[22:23], -v[24:25]
	scratch_load_b128 v[22:25], off, off offset:512
	v_fma_f64 v[147:148], v[4:5], v[26:27], v[151:152]
	v_add_f64_e32 v[145:146], v[145:146], v[149:150]
	v_add_f64_e32 v[141:142], v[141:142], v[143:144]
	v_fma_f64 v[149:150], v[2:3], v[26:27], -v[28:29]
	ds_load_b128 v[2:5], v1 offset:1040
	s_wait_loadcnt_dscnt 0x801
	v_mul_f64_e32 v[143:144], v[137:138], v[32:33]
	v_mul_f64_e32 v[32:33], v[139:140], v[32:33]
	scratch_load_b128 v[26:29], off, off offset:528
	s_wait_loadcnt_dscnt 0x800
	v_mul_f64_e32 v[151:152], v[2:3], v[36:37]
	v_mul_f64_e32 v[36:37], v[4:5], v[36:37]
	v_add_f64_e32 v[145:146], v[145:146], v[133:134]
	v_add_f64_e32 v[141:142], v[141:142], v[135:136]
	ds_load_b128 v[133:136], v1 offset:1056
	v_fma_f64 v[139:140], v[139:140], v[30:31], v[143:144]
	v_fma_f64 v[137:138], v[137:138], v[30:31], -v[32:33]
	scratch_load_b128 v[30:33], off, off offset:544
	v_add_f64_e32 v[143:144], v[145:146], v[149:150]
	v_add_f64_e32 v[141:142], v[141:142], v[147:148]
	v_fma_f64 v[147:148], v[4:5], v[34:35], v[151:152]
	v_fma_f64 v[149:150], v[2:3], v[34:35], -v[36:37]
	ds_load_b128 v[2:5], v1 offset:1072
	s_wait_loadcnt_dscnt 0x801
	v_mul_f64_e32 v[145:146], v[133:134], v[131:132]
	v_mul_f64_e32 v[131:132], v[135:136], v[131:132]
	scratch_load_b128 v[34:37], off, off offset:560
	s_wait_loadcnt_dscnt 0x800
	v_mul_f64_e32 v[151:152], v[2:3], v[40:41]
	v_mul_f64_e32 v[40:41], v[4:5], v[40:41]
	v_add_f64_e32 v[143:144], v[143:144], v[137:138]
	v_add_f64_e32 v[141:142], v[141:142], v[139:140]
	ds_load_b128 v[137:140], v1 offset:1088
	v_fma_f64 v[135:136], v[135:136], v[129:130], v[145:146]
	v_fma_f64 v[133:134], v[133:134], v[129:130], -v[131:132]
	scratch_load_b128 v[129:132], off, off offset:576
	v_add_f64_e32 v[143:144], v[143:144], v[149:150]
	v_add_f64_e32 v[141:142], v[141:142], v[147:148]
	v_fma_f64 v[147:148], v[4:5], v[38:39], v[151:152]
	;; [unrolled: 18-line block ×4, first 2 shown]
	v_fma_f64 v[149:150], v[2:3], v[18:19], -v[20:21]
	ds_load_b128 v[2:5], v1 offset:1168
	s_wait_loadcnt_dscnt 0x801
	v_mul_f64_e32 v[145:146], v[137:138], v[24:25]
	v_mul_f64_e32 v[24:25], v[139:140], v[24:25]
	scratch_load_b128 v[18:21], off, off offset:656
	s_wait_loadcnt_dscnt 0x800
	v_mul_f64_e32 v[151:152], v[2:3], v[28:29]
	v_mul_f64_e32 v[28:29], v[4:5], v[28:29]
	v_add_f64_e32 v[143:144], v[143:144], v[133:134]
	v_add_f64_e32 v[141:142], v[141:142], v[135:136]
	ds_load_b128 v[133:136], v1 offset:1184
	v_fma_f64 v[139:140], v[139:140], v[22:23], v[145:146]
	v_fma_f64 v[22:23], v[137:138], v[22:23], -v[24:25]
	v_add_f64_e32 v[24:25], v[143:144], v[149:150]
	v_add_f64_e32 v[137:138], v[141:142], v[147:148]
	s_wait_loadcnt_dscnt 0x700
	v_mul_f64_e32 v[141:142], v[133:134], v[32:33]
	v_mul_f64_e32 v[32:33], v[135:136], v[32:33]
	v_fma_f64 v[143:144], v[4:5], v[26:27], v[151:152]
	v_fma_f64 v[26:27], v[2:3], v[26:27], -v[28:29]
	v_add_f64_e32 v[28:29], v[24:25], v[22:23]
	v_add_f64_e32 v[137:138], v[137:138], v[139:140]
	ds_load_b128 v[2:5], v1 offset:1200
	ds_load_b128 v[22:25], v1 offset:1216
	v_fma_f64 v[135:136], v[135:136], v[30:31], v[141:142]
	v_fma_f64 v[30:31], v[133:134], v[30:31], -v[32:33]
	s_wait_loadcnt_dscnt 0x601
	v_mul_f64_e32 v[139:140], v[2:3], v[36:37]
	v_mul_f64_e32 v[36:37], v[4:5], v[36:37]
	s_wait_loadcnt_dscnt 0x500
	v_mul_f64_e32 v[32:33], v[22:23], v[131:132]
	v_mul_f64_e32 v[131:132], v[24:25], v[131:132]
	v_add_f64_e32 v[26:27], v[28:29], v[26:27]
	v_add_f64_e32 v[28:29], v[137:138], v[143:144]
	v_fma_f64 v[133:134], v[4:5], v[34:35], v[139:140]
	v_fma_f64 v[34:35], v[2:3], v[34:35], -v[36:37]
	v_fma_f64 v[24:25], v[24:25], v[129:130], v[32:33]
	v_fma_f64 v[22:23], v[22:23], v[129:130], -v[131:132]
	v_add_f64_e32 v[30:31], v[26:27], v[30:31]
	v_add_f64_e32 v[36:37], v[28:29], v[135:136]
	ds_load_b128 v[2:5], v1 offset:1232
	ds_load_b128 v[26:29], v1 offset:1248
	s_wait_loadcnt_dscnt 0x401
	v_mul_f64_e32 v[135:136], v[2:3], v[40:41]
	v_mul_f64_e32 v[40:41], v[4:5], v[40:41]
	v_add_f64_e32 v[30:31], v[30:31], v[34:35]
	v_add_f64_e32 v[32:33], v[36:37], v[133:134]
	s_wait_loadcnt_dscnt 0x300
	v_mul_f64_e32 v[34:35], v[26:27], v[8:9]
	v_mul_f64_e32 v[8:9], v[28:29], v[8:9]
	v_fma_f64 v[36:37], v[4:5], v[38:39], v[135:136]
	v_fma_f64 v[38:39], v[2:3], v[38:39], -v[40:41]
	v_add_f64_e32 v[30:31], v[30:31], v[22:23]
	v_add_f64_e32 v[32:33], v[32:33], v[24:25]
	ds_load_b128 v[2:5], v1 offset:1264
	ds_load_b128 v[22:25], v1 offset:1280
	v_fma_f64 v[28:29], v[28:29], v[6:7], v[34:35]
	v_fma_f64 v[6:7], v[26:27], v[6:7], -v[8:9]
	s_wait_loadcnt_dscnt 0x201
	v_mul_f64_e32 v[40:41], v[2:3], v[12:13]
	v_mul_f64_e32 v[12:13], v[4:5], v[12:13]
	v_add_f64_e32 v[8:9], v[30:31], v[38:39]
	v_add_f64_e32 v[26:27], v[32:33], v[36:37]
	s_wait_loadcnt_dscnt 0x100
	v_mul_f64_e32 v[30:31], v[22:23], v[16:17]
	v_mul_f64_e32 v[16:17], v[24:25], v[16:17]
	v_fma_f64 v[32:33], v[4:5], v[10:11], v[40:41]
	v_fma_f64 v[10:11], v[2:3], v[10:11], -v[12:13]
	ds_load_b128 v[2:5], v1 offset:1296
	v_add_f64_e32 v[6:7], v[8:9], v[6:7]
	v_add_f64_e32 v[8:9], v[26:27], v[28:29]
	v_fma_f64 v[24:25], v[24:25], v[14:15], v[30:31]
	v_fma_f64 v[14:15], v[22:23], v[14:15], -v[16:17]
	s_wait_loadcnt_dscnt 0x0
	v_mul_f64_e32 v[12:13], v[2:3], v[20:21]
	v_mul_f64_e32 v[20:21], v[4:5], v[20:21]
	v_add_f64_e32 v[6:7], v[6:7], v[10:11]
	v_add_f64_e32 v[8:9], v[8:9], v[32:33]
	s_delay_alu instid0(VALU_DEP_4) | instskip(NEXT) | instid1(VALU_DEP_4)
	v_fma_f64 v[4:5], v[4:5], v[18:19], v[12:13]
	v_fma_f64 v[2:3], v[2:3], v[18:19], -v[20:21]
	s_delay_alu instid0(VALU_DEP_4) | instskip(NEXT) | instid1(VALU_DEP_4)
	v_add_f64_e32 v[6:7], v[6:7], v[14:15]
	v_add_f64_e32 v[8:9], v[8:9], v[24:25]
	s_delay_alu instid0(VALU_DEP_2) | instskip(NEXT) | instid1(VALU_DEP_2)
	v_add_f64_e32 v[2:3], v[6:7], v[2:3]
	v_add_f64_e32 v[4:5], v[8:9], v[4:5]
	s_delay_alu instid0(VALU_DEP_2) | instskip(NEXT) | instid1(VALU_DEP_2)
	v_add_f64_e64 v[2:3], v[42:43], -v[2:3]
	v_add_f64_e64 v[4:5], v[44:45], -v[4:5]
	scratch_store_b128 off, v[2:5], off offset:96
	v_cmpx_lt_u32_e32 4, v0
	s_cbranch_execz .LBB104_251
; %bb.250:
	scratch_load_b128 v[5:8], off, s4
	v_dual_mov_b32 v2, v1 :: v_dual_mov_b32 v3, v1
	v_mov_b32_e32 v4, v1
	scratch_store_b128 off, v[1:4], off offset:80
	s_wait_loadcnt 0x0
	ds_store_b128 v128, v[5:8]
.LBB104_251:
	s_wait_alu 0xfffe
	s_or_b32 exec_lo, exec_lo, s0
	s_wait_storecnt_dscnt 0x0
	s_barrier_signal -1
	s_barrier_wait -1
	global_inv scope:SCOPE_SE
	s_clause 0x8
	scratch_load_b128 v[2:5], off, off offset:96
	scratch_load_b128 v[6:9], off, off offset:112
	;; [unrolled: 1-line block ×9, first 2 shown]
	ds_load_b128 v[38:41], v1 offset:736
	ds_load_b128 v[42:45], v1 offset:752
	s_clause 0x1
	scratch_load_b128 v[129:132], off, off offset:80
	scratch_load_b128 v[133:136], off, off offset:240
	s_mov_b32 s0, exec_lo
	s_wait_loadcnt_dscnt 0xa01
	v_mul_f64_e32 v[137:138], v[40:41], v[4:5]
	v_mul_f64_e32 v[4:5], v[38:39], v[4:5]
	s_wait_loadcnt_dscnt 0x900
	v_mul_f64_e32 v[141:142], v[42:43], v[8:9]
	v_mul_f64_e32 v[8:9], v[44:45], v[8:9]
	s_delay_alu instid0(VALU_DEP_4) | instskip(NEXT) | instid1(VALU_DEP_4)
	v_fma_f64 v[143:144], v[38:39], v[2:3], -v[137:138]
	v_fma_f64 v[145:146], v[40:41], v[2:3], v[4:5]
	ds_load_b128 v[2:5], v1 offset:768
	ds_load_b128 v[137:140], v1 offset:784
	scratch_load_b128 v[38:41], off, off offset:256
	v_fma_f64 v[44:45], v[44:45], v[6:7], v[141:142]
	v_fma_f64 v[42:43], v[42:43], v[6:7], -v[8:9]
	scratch_load_b128 v[6:9], off, off offset:272
	s_wait_loadcnt_dscnt 0xa01
	v_mul_f64_e32 v[147:148], v[2:3], v[12:13]
	v_mul_f64_e32 v[12:13], v[4:5], v[12:13]
	v_add_f64_e32 v[141:142], 0, v[143:144]
	v_add_f64_e32 v[143:144], 0, v[145:146]
	s_wait_loadcnt_dscnt 0x900
	v_mul_f64_e32 v[145:146], v[137:138], v[16:17]
	v_mul_f64_e32 v[16:17], v[139:140], v[16:17]
	v_fma_f64 v[147:148], v[4:5], v[10:11], v[147:148]
	v_fma_f64 v[149:150], v[2:3], v[10:11], -v[12:13]
	ds_load_b128 v[2:5], v1 offset:800
	scratch_load_b128 v[10:13], off, off offset:288
	v_add_f64_e32 v[141:142], v[141:142], v[42:43]
	v_add_f64_e32 v[143:144], v[143:144], v[44:45]
	ds_load_b128 v[42:45], v1 offset:816
	v_fma_f64 v[139:140], v[139:140], v[14:15], v[145:146]
	v_fma_f64 v[137:138], v[137:138], v[14:15], -v[16:17]
	scratch_load_b128 v[14:17], off, off offset:304
	s_wait_loadcnt_dscnt 0xa01
	v_mul_f64_e32 v[151:152], v[2:3], v[20:21]
	v_mul_f64_e32 v[20:21], v[4:5], v[20:21]
	s_wait_loadcnt_dscnt 0x900
	v_mul_f64_e32 v[145:146], v[42:43], v[24:25]
	v_mul_f64_e32 v[24:25], v[44:45], v[24:25]
	v_add_f64_e32 v[141:142], v[141:142], v[149:150]
	v_add_f64_e32 v[143:144], v[143:144], v[147:148]
	v_fma_f64 v[147:148], v[4:5], v[18:19], v[151:152]
	v_fma_f64 v[149:150], v[2:3], v[18:19], -v[20:21]
	ds_load_b128 v[2:5], v1 offset:832
	scratch_load_b128 v[18:21], off, off offset:320
	v_fma_f64 v[44:45], v[44:45], v[22:23], v[145:146]
	v_fma_f64 v[42:43], v[42:43], v[22:23], -v[24:25]
	scratch_load_b128 v[22:25], off, off offset:336
	v_add_f64_e32 v[141:142], v[141:142], v[137:138]
	v_add_f64_e32 v[143:144], v[143:144], v[139:140]
	ds_load_b128 v[137:140], v1 offset:848
	s_wait_loadcnt_dscnt 0xa01
	v_mul_f64_e32 v[151:152], v[2:3], v[28:29]
	v_mul_f64_e32 v[28:29], v[4:5], v[28:29]
	s_wait_loadcnt_dscnt 0x900
	v_mul_f64_e32 v[145:146], v[137:138], v[32:33]
	v_mul_f64_e32 v[32:33], v[139:140], v[32:33]
	v_add_f64_e32 v[141:142], v[141:142], v[149:150]
	v_add_f64_e32 v[143:144], v[143:144], v[147:148]
	v_fma_f64 v[147:148], v[4:5], v[26:27], v[151:152]
	v_fma_f64 v[149:150], v[2:3], v[26:27], -v[28:29]
	ds_load_b128 v[2:5], v1 offset:864
	scratch_load_b128 v[26:29], off, off offset:352
	v_fma_f64 v[139:140], v[139:140], v[30:31], v[145:146]
	v_fma_f64 v[137:138], v[137:138], v[30:31], -v[32:33]
	scratch_load_b128 v[30:33], off, off offset:368
	v_add_f64_e32 v[141:142], v[141:142], v[42:43]
	v_add_f64_e32 v[143:144], v[143:144], v[44:45]
	ds_load_b128 v[42:45], v1 offset:880
	s_wait_loadcnt_dscnt 0xa01
	v_mul_f64_e32 v[151:152], v[2:3], v[36:37]
	v_mul_f64_e32 v[36:37], v[4:5], v[36:37]
	s_wait_loadcnt_dscnt 0x800
	v_mul_f64_e32 v[145:146], v[42:43], v[135:136]
	v_add_f64_e32 v[141:142], v[141:142], v[149:150]
	v_add_f64_e32 v[143:144], v[143:144], v[147:148]
	v_mul_f64_e32 v[147:148], v[44:45], v[135:136]
	v_fma_f64 v[149:150], v[4:5], v[34:35], v[151:152]
	v_fma_f64 v[151:152], v[2:3], v[34:35], -v[36:37]
	ds_load_b128 v[2:5], v1 offset:896
	scratch_load_b128 v[34:37], off, off offset:384
	v_fma_f64 v[44:45], v[44:45], v[133:134], v[145:146]
	v_add_f64_e32 v[141:142], v[141:142], v[137:138]
	v_add_f64_e32 v[139:140], v[143:144], v[139:140]
	ds_load_b128 v[135:138], v1 offset:912
	v_fma_f64 v[133:134], v[42:43], v[133:134], -v[147:148]
	s_wait_loadcnt_dscnt 0x801
	v_mul_f64_e32 v[143:144], v[2:3], v[40:41]
	v_mul_f64_e32 v[153:154], v[4:5], v[40:41]
	scratch_load_b128 v[40:43], off, off offset:400
	s_wait_loadcnt_dscnt 0x800
	v_mul_f64_e32 v[147:148], v[135:136], v[8:9]
	v_mul_f64_e32 v[8:9], v[137:138], v[8:9]
	v_add_f64_e32 v[141:142], v[141:142], v[151:152]
	v_add_f64_e32 v[139:140], v[139:140], v[149:150]
	v_fma_f64 v[149:150], v[4:5], v[38:39], v[143:144]
	v_fma_f64 v[38:39], v[2:3], v[38:39], -v[153:154]
	ds_load_b128 v[2:5], v1 offset:928
	ds_load_b128 v[143:146], v1 offset:944
	v_fma_f64 v[137:138], v[137:138], v[6:7], v[147:148]
	v_fma_f64 v[135:136], v[135:136], v[6:7], -v[8:9]
	scratch_load_b128 v[6:9], off, off offset:432
	v_add_f64_e32 v[133:134], v[141:142], v[133:134]
	v_add_f64_e32 v[44:45], v[139:140], v[44:45]
	scratch_load_b128 v[139:142], off, off offset:416
	s_wait_loadcnt_dscnt 0x901
	v_mul_f64_e32 v[151:152], v[2:3], v[12:13]
	v_mul_f64_e32 v[12:13], v[4:5], v[12:13]
	s_wait_loadcnt_dscnt 0x800
	v_mul_f64_e32 v[147:148], v[143:144], v[16:17]
	v_mul_f64_e32 v[16:17], v[145:146], v[16:17]
	v_add_f64_e32 v[38:39], v[133:134], v[38:39]
	v_add_f64_e32 v[44:45], v[44:45], v[149:150]
	v_fma_f64 v[149:150], v[4:5], v[10:11], v[151:152]
	v_fma_f64 v[151:152], v[2:3], v[10:11], -v[12:13]
	ds_load_b128 v[2:5], v1 offset:960
	scratch_load_b128 v[10:13], off, off offset:448
	v_fma_f64 v[145:146], v[145:146], v[14:15], v[147:148]
	v_fma_f64 v[143:144], v[143:144], v[14:15], -v[16:17]
	scratch_load_b128 v[14:17], off, off offset:464
	v_add_f64_e32 v[38:39], v[38:39], v[135:136]
	v_add_f64_e32 v[44:45], v[44:45], v[137:138]
	ds_load_b128 v[133:136], v1 offset:976
	s_wait_loadcnt_dscnt 0x901
	v_mul_f64_e32 v[137:138], v[2:3], v[20:21]
	v_mul_f64_e32 v[20:21], v[4:5], v[20:21]
	s_wait_loadcnt_dscnt 0x800
	v_mul_f64_e32 v[147:148], v[133:134], v[24:25]
	v_mul_f64_e32 v[24:25], v[135:136], v[24:25]
	v_add_f64_e32 v[38:39], v[38:39], v[151:152]
	v_add_f64_e32 v[44:45], v[44:45], v[149:150]
	v_fma_f64 v[137:138], v[4:5], v[18:19], v[137:138]
	v_fma_f64 v[149:150], v[2:3], v[18:19], -v[20:21]
	ds_load_b128 v[2:5], v1 offset:992
	scratch_load_b128 v[18:21], off, off offset:480
	v_fma_f64 v[135:136], v[135:136], v[22:23], v[147:148]
	v_fma_f64 v[133:134], v[133:134], v[22:23], -v[24:25]
	scratch_load_b128 v[22:25], off, off offset:496
	v_add_f64_e32 v[38:39], v[38:39], v[143:144]
	v_add_f64_e32 v[44:45], v[44:45], v[145:146]
	ds_load_b128 v[143:146], v1 offset:1008
	s_wait_loadcnt_dscnt 0x901
	v_mul_f64_e32 v[151:152], v[2:3], v[28:29]
	v_mul_f64_e32 v[28:29], v[4:5], v[28:29]
	v_add_f64_e32 v[38:39], v[38:39], v[149:150]
	v_add_f64_e32 v[44:45], v[44:45], v[137:138]
	s_wait_loadcnt_dscnt 0x800
	v_mul_f64_e32 v[137:138], v[143:144], v[32:33]
	v_mul_f64_e32 v[32:33], v[145:146], v[32:33]
	v_fma_f64 v[147:148], v[4:5], v[26:27], v[151:152]
	v_fma_f64 v[149:150], v[2:3], v[26:27], -v[28:29]
	ds_load_b128 v[2:5], v1 offset:1024
	scratch_load_b128 v[26:29], off, off offset:512
	v_add_f64_e32 v[38:39], v[38:39], v[133:134]
	v_add_f64_e32 v[44:45], v[44:45], v[135:136]
	ds_load_b128 v[133:136], v1 offset:1040
	s_wait_loadcnt_dscnt 0x801
	v_mul_f64_e32 v[151:152], v[2:3], v[36:37]
	v_mul_f64_e32 v[36:37], v[4:5], v[36:37]
	v_fma_f64 v[137:138], v[145:146], v[30:31], v[137:138]
	v_fma_f64 v[143:144], v[143:144], v[30:31], -v[32:33]
	scratch_load_b128 v[30:33], off, off offset:528
	s_wait_loadcnt_dscnt 0x800
	v_mul_f64_e32 v[145:146], v[133:134], v[42:43]
	v_add_f64_e32 v[38:39], v[38:39], v[149:150]
	v_add_f64_e32 v[44:45], v[44:45], v[147:148]
	v_mul_f64_e32 v[147:148], v[135:136], v[42:43]
	v_fma_f64 v[149:150], v[4:5], v[34:35], v[151:152]
	v_fma_f64 v[151:152], v[2:3], v[34:35], -v[36:37]
	ds_load_b128 v[2:5], v1 offset:1056
	scratch_load_b128 v[34:37], off, off offset:544
	v_fma_f64 v[135:136], v[135:136], v[40:41], v[145:146]
	v_add_f64_e32 v[38:39], v[38:39], v[143:144]
	v_add_f64_e32 v[137:138], v[44:45], v[137:138]
	ds_load_b128 v[42:45], v1 offset:1072
	v_fma_f64 v[133:134], v[133:134], v[40:41], -v[147:148]
	s_wait_loadcnt_dscnt 0x701
	v_mul_f64_e32 v[143:144], v[2:3], v[141:142]
	v_mul_f64_e32 v[141:142], v[4:5], v[141:142]
	s_wait_dscnt 0x0
	v_mul_f64_e32 v[147:148], v[42:43], v[8:9]
	v_mul_f64_e32 v[8:9], v[44:45], v[8:9]
	v_add_f64_e32 v[145:146], v[38:39], v[151:152]
	v_add_f64_e32 v[137:138], v[137:138], v[149:150]
	scratch_load_b128 v[38:41], off, off offset:560
	v_fma_f64 v[143:144], v[4:5], v[139:140], v[143:144]
	v_fma_f64 v[141:142], v[2:3], v[139:140], -v[141:142]
	ds_load_b128 v[2:5], v1 offset:1088
	v_fma_f64 v[44:45], v[44:45], v[6:7], v[147:148]
	v_fma_f64 v[42:43], v[42:43], v[6:7], -v[8:9]
	scratch_load_b128 v[6:9], off, off offset:592
	v_add_f64_e32 v[145:146], v[145:146], v[133:134]
	v_add_f64_e32 v[149:150], v[137:138], v[135:136]
	scratch_load_b128 v[133:136], off, off offset:576
	ds_load_b128 v[137:140], v1 offset:1104
	s_wait_loadcnt_dscnt 0x901
	v_mul_f64_e32 v[151:152], v[2:3], v[12:13]
	v_mul_f64_e32 v[12:13], v[4:5], v[12:13]
	v_add_f64_e32 v[141:142], v[145:146], v[141:142]
	v_add_f64_e32 v[143:144], v[149:150], v[143:144]
	s_wait_loadcnt_dscnt 0x800
	v_mul_f64_e32 v[145:146], v[137:138], v[16:17]
	v_mul_f64_e32 v[16:17], v[139:140], v[16:17]
	v_fma_f64 v[147:148], v[4:5], v[10:11], v[151:152]
	v_fma_f64 v[149:150], v[2:3], v[10:11], -v[12:13]
	ds_load_b128 v[2:5], v1 offset:1120
	scratch_load_b128 v[10:13], off, off offset:608
	v_add_f64_e32 v[141:142], v[141:142], v[42:43]
	v_add_f64_e32 v[143:144], v[143:144], v[44:45]
	ds_load_b128 v[42:45], v1 offset:1136
	s_wait_loadcnt_dscnt 0x801
	v_mul_f64_e32 v[151:152], v[2:3], v[20:21]
	v_mul_f64_e32 v[20:21], v[4:5], v[20:21]
	v_fma_f64 v[139:140], v[139:140], v[14:15], v[145:146]
	v_fma_f64 v[137:138], v[137:138], v[14:15], -v[16:17]
	scratch_load_b128 v[14:17], off, off offset:624
	s_wait_loadcnt_dscnt 0x800
	v_mul_f64_e32 v[145:146], v[42:43], v[24:25]
	v_mul_f64_e32 v[24:25], v[44:45], v[24:25]
	v_add_f64_e32 v[141:142], v[141:142], v[149:150]
	v_add_f64_e32 v[143:144], v[143:144], v[147:148]
	v_fma_f64 v[147:148], v[4:5], v[18:19], v[151:152]
	v_fma_f64 v[149:150], v[2:3], v[18:19], -v[20:21]
	ds_load_b128 v[2:5], v1 offset:1152
	scratch_load_b128 v[18:21], off, off offset:640
	v_fma_f64 v[44:45], v[44:45], v[22:23], v[145:146]
	v_fma_f64 v[42:43], v[42:43], v[22:23], -v[24:25]
	scratch_load_b128 v[22:25], off, off offset:656
	v_add_f64_e32 v[141:142], v[141:142], v[137:138]
	v_add_f64_e32 v[143:144], v[143:144], v[139:140]
	ds_load_b128 v[137:140], v1 offset:1168
	s_wait_loadcnt_dscnt 0x901
	v_mul_f64_e32 v[151:152], v[2:3], v[28:29]
	v_mul_f64_e32 v[28:29], v[4:5], v[28:29]
	s_wait_loadcnt_dscnt 0x800
	v_mul_f64_e32 v[145:146], v[137:138], v[32:33]
	v_mul_f64_e32 v[32:33], v[139:140], v[32:33]
	v_add_f64_e32 v[141:142], v[141:142], v[149:150]
	v_add_f64_e32 v[143:144], v[143:144], v[147:148]
	v_fma_f64 v[147:148], v[4:5], v[26:27], v[151:152]
	v_fma_f64 v[149:150], v[2:3], v[26:27], -v[28:29]
	ds_load_b128 v[2:5], v1 offset:1184
	ds_load_b128 v[26:29], v1 offset:1200
	v_fma_f64 v[139:140], v[139:140], v[30:31], v[145:146]
	v_fma_f64 v[30:31], v[137:138], v[30:31], -v[32:33]
	v_add_f64_e32 v[42:43], v[141:142], v[42:43]
	v_add_f64_e32 v[44:45], v[143:144], v[44:45]
	s_wait_loadcnt_dscnt 0x701
	v_mul_f64_e32 v[141:142], v[2:3], v[36:37]
	v_mul_f64_e32 v[36:37], v[4:5], v[36:37]
	s_delay_alu instid0(VALU_DEP_4) | instskip(NEXT) | instid1(VALU_DEP_4)
	v_add_f64_e32 v[32:33], v[42:43], v[149:150]
	v_add_f64_e32 v[42:43], v[44:45], v[147:148]
	s_delay_alu instid0(VALU_DEP_4) | instskip(NEXT) | instid1(VALU_DEP_4)
	v_fma_f64 v[137:138], v[4:5], v[34:35], v[141:142]
	v_fma_f64 v[34:35], v[2:3], v[34:35], -v[36:37]
	s_wait_loadcnt_dscnt 0x600
	v_mul_f64_e32 v[44:45], v[26:27], v[40:41]
	v_mul_f64_e32 v[40:41], v[28:29], v[40:41]
	v_add_f64_e32 v[36:37], v[32:33], v[30:31]
	v_add_f64_e32 v[42:43], v[42:43], v[139:140]
	ds_load_b128 v[2:5], v1 offset:1216
	ds_load_b128 v[30:33], v1 offset:1232
	v_fma_f64 v[28:29], v[28:29], v[38:39], v[44:45]
	v_fma_f64 v[26:27], v[26:27], v[38:39], -v[40:41]
	s_wait_loadcnt_dscnt 0x401
	v_mul_f64_e32 v[139:140], v[2:3], v[135:136]
	v_mul_f64_e32 v[135:136], v[4:5], v[135:136]
	s_wait_dscnt 0x0
	v_mul_f64_e32 v[38:39], v[30:31], v[8:9]
	v_mul_f64_e32 v[8:9], v[32:33], v[8:9]
	v_add_f64_e32 v[34:35], v[36:37], v[34:35]
	v_add_f64_e32 v[36:37], v[42:43], v[137:138]
	v_fma_f64 v[40:41], v[4:5], v[133:134], v[139:140]
	v_fma_f64 v[42:43], v[2:3], v[133:134], -v[135:136]
	v_fma_f64 v[32:33], v[32:33], v[6:7], v[38:39]
	v_fma_f64 v[6:7], v[30:31], v[6:7], -v[8:9]
	v_add_f64_e32 v[34:35], v[34:35], v[26:27]
	v_add_f64_e32 v[36:37], v[36:37], v[28:29]
	ds_load_b128 v[2:5], v1 offset:1248
	ds_load_b128 v[26:29], v1 offset:1264
	s_wait_loadcnt_dscnt 0x301
	v_mul_f64_e32 v[44:45], v[2:3], v[12:13]
	v_mul_f64_e32 v[12:13], v[4:5], v[12:13]
	v_add_f64_e32 v[8:9], v[34:35], v[42:43]
	v_add_f64_e32 v[30:31], v[36:37], v[40:41]
	s_wait_loadcnt_dscnt 0x200
	v_mul_f64_e32 v[34:35], v[26:27], v[16:17]
	v_mul_f64_e32 v[16:17], v[28:29], v[16:17]
	v_fma_f64 v[36:37], v[4:5], v[10:11], v[44:45]
	v_fma_f64 v[10:11], v[2:3], v[10:11], -v[12:13]
	v_add_f64_e32 v[12:13], v[8:9], v[6:7]
	v_add_f64_e32 v[30:31], v[30:31], v[32:33]
	ds_load_b128 v[2:5], v1 offset:1280
	ds_load_b128 v[6:9], v1 offset:1296
	v_fma_f64 v[28:29], v[28:29], v[14:15], v[34:35]
	v_fma_f64 v[14:15], v[26:27], v[14:15], -v[16:17]
	s_wait_loadcnt_dscnt 0x101
	v_mul_f64_e32 v[32:33], v[2:3], v[20:21]
	v_mul_f64_e32 v[20:21], v[4:5], v[20:21]
	s_wait_loadcnt_dscnt 0x0
	v_mul_f64_e32 v[16:17], v[6:7], v[24:25]
	v_mul_f64_e32 v[24:25], v[8:9], v[24:25]
	v_add_f64_e32 v[10:11], v[12:13], v[10:11]
	v_add_f64_e32 v[12:13], v[30:31], v[36:37]
	v_fma_f64 v[4:5], v[4:5], v[18:19], v[32:33]
	v_fma_f64 v[1:2], v[2:3], v[18:19], -v[20:21]
	v_fma_f64 v[8:9], v[8:9], v[22:23], v[16:17]
	v_fma_f64 v[6:7], v[6:7], v[22:23], -v[24:25]
	v_add_f64_e32 v[10:11], v[10:11], v[14:15]
	v_add_f64_e32 v[12:13], v[12:13], v[28:29]
	s_delay_alu instid0(VALU_DEP_2) | instskip(NEXT) | instid1(VALU_DEP_2)
	v_add_f64_e32 v[1:2], v[10:11], v[1:2]
	v_add_f64_e32 v[3:4], v[12:13], v[4:5]
	s_delay_alu instid0(VALU_DEP_2) | instskip(NEXT) | instid1(VALU_DEP_2)
	;; [unrolled: 3-line block ×3, first 2 shown]
	v_add_f64_e64 v[1:2], v[129:130], -v[1:2]
	v_add_f64_e64 v[3:4], v[131:132], -v[3:4]
	scratch_store_b128 off, v[1:4], off offset:80
	v_cmpx_lt_u32_e32 3, v0
	s_cbranch_execz .LBB104_253
; %bb.252:
	scratch_load_b128 v[1:4], off, s28
	v_mov_b32_e32 v5, 0
	s_delay_alu instid0(VALU_DEP_1)
	v_dual_mov_b32 v6, v5 :: v_dual_mov_b32 v7, v5
	v_mov_b32_e32 v8, v5
	scratch_store_b128 off, v[5:8], off offset:64
	s_wait_loadcnt 0x0
	ds_store_b128 v128, v[1:4]
.LBB104_253:
	s_wait_alu 0xfffe
	s_or_b32 exec_lo, exec_lo, s0
	s_wait_storecnt_dscnt 0x0
	s_barrier_signal -1
	s_barrier_wait -1
	global_inv scope:SCOPE_SE
	s_clause 0x7
	scratch_load_b128 v[2:5], off, off offset:80
	scratch_load_b128 v[6:9], off, off offset:96
	;; [unrolled: 1-line block ×8, first 2 shown]
	v_mov_b32_e32 v1, 0
	s_mov_b32 s0, exec_lo
	ds_load_b128 v[38:41], v1 offset:720
	s_clause 0x1
	scratch_load_b128 v[34:37], off, off offset:208
	scratch_load_b128 v[42:45], off, off offset:64
	ds_load_b128 v[129:132], v1 offset:736
	scratch_load_b128 v[133:136], off, off offset:224
	s_wait_loadcnt_dscnt 0xa01
	v_mul_f64_e32 v[137:138], v[40:41], v[4:5]
	v_mul_f64_e32 v[4:5], v[38:39], v[4:5]
	s_delay_alu instid0(VALU_DEP_2) | instskip(NEXT) | instid1(VALU_DEP_2)
	v_fma_f64 v[143:144], v[38:39], v[2:3], -v[137:138]
	v_fma_f64 v[145:146], v[40:41], v[2:3], v[4:5]
	ds_load_b128 v[2:5], v1 offset:752
	s_wait_loadcnt_dscnt 0x901
	v_mul_f64_e32 v[141:142], v[129:130], v[8:9]
	v_mul_f64_e32 v[8:9], v[131:132], v[8:9]
	scratch_load_b128 v[38:41], off, off offset:240
	ds_load_b128 v[137:140], v1 offset:768
	s_wait_loadcnt_dscnt 0x901
	v_mul_f64_e32 v[147:148], v[2:3], v[12:13]
	v_mul_f64_e32 v[12:13], v[4:5], v[12:13]
	v_fma_f64 v[131:132], v[131:132], v[6:7], v[141:142]
	v_fma_f64 v[129:130], v[129:130], v[6:7], -v[8:9]
	v_add_f64_e32 v[141:142], 0, v[143:144]
	v_add_f64_e32 v[143:144], 0, v[145:146]
	scratch_load_b128 v[6:9], off, off offset:256
	v_fma_f64 v[147:148], v[4:5], v[10:11], v[147:148]
	v_fma_f64 v[149:150], v[2:3], v[10:11], -v[12:13]
	ds_load_b128 v[2:5], v1 offset:784
	s_wait_loadcnt_dscnt 0x901
	v_mul_f64_e32 v[145:146], v[137:138], v[16:17]
	v_mul_f64_e32 v[16:17], v[139:140], v[16:17]
	scratch_load_b128 v[10:13], off, off offset:272
	v_add_f64_e32 v[141:142], v[141:142], v[129:130]
	v_add_f64_e32 v[143:144], v[143:144], v[131:132]
	s_wait_loadcnt_dscnt 0x900
	v_mul_f64_e32 v[151:152], v[2:3], v[20:21]
	v_mul_f64_e32 v[20:21], v[4:5], v[20:21]
	ds_load_b128 v[129:132], v1 offset:800
	v_fma_f64 v[139:140], v[139:140], v[14:15], v[145:146]
	v_fma_f64 v[137:138], v[137:138], v[14:15], -v[16:17]
	scratch_load_b128 v[14:17], off, off offset:288
	v_add_f64_e32 v[141:142], v[141:142], v[149:150]
	v_add_f64_e32 v[143:144], v[143:144], v[147:148]
	v_fma_f64 v[147:148], v[4:5], v[18:19], v[151:152]
	v_fma_f64 v[149:150], v[2:3], v[18:19], -v[20:21]
	ds_load_b128 v[2:5], v1 offset:816
	s_wait_loadcnt_dscnt 0x901
	v_mul_f64_e32 v[145:146], v[129:130], v[24:25]
	v_mul_f64_e32 v[24:25], v[131:132], v[24:25]
	scratch_load_b128 v[18:21], off, off offset:304
	s_wait_loadcnt_dscnt 0x900
	v_mul_f64_e32 v[151:152], v[2:3], v[28:29]
	v_mul_f64_e32 v[28:29], v[4:5], v[28:29]
	v_add_f64_e32 v[141:142], v[141:142], v[137:138]
	v_add_f64_e32 v[143:144], v[143:144], v[139:140]
	ds_load_b128 v[137:140], v1 offset:832
	v_fma_f64 v[131:132], v[131:132], v[22:23], v[145:146]
	v_fma_f64 v[129:130], v[129:130], v[22:23], -v[24:25]
	scratch_load_b128 v[22:25], off, off offset:320
	v_add_f64_e32 v[141:142], v[141:142], v[149:150]
	v_add_f64_e32 v[143:144], v[143:144], v[147:148]
	v_fma_f64 v[147:148], v[4:5], v[26:27], v[151:152]
	v_fma_f64 v[149:150], v[2:3], v[26:27], -v[28:29]
	ds_load_b128 v[2:5], v1 offset:848
	s_wait_loadcnt_dscnt 0x901
	v_mul_f64_e32 v[145:146], v[137:138], v[32:33]
	v_mul_f64_e32 v[32:33], v[139:140], v[32:33]
	scratch_load_b128 v[26:29], off, off offset:336
	s_wait_loadcnt_dscnt 0x900
	v_mul_f64_e32 v[151:152], v[2:3], v[36:37]
	v_mul_f64_e32 v[36:37], v[4:5], v[36:37]
	v_add_f64_e32 v[141:142], v[141:142], v[129:130]
	v_add_f64_e32 v[143:144], v[143:144], v[131:132]
	ds_load_b128 v[129:132], v1 offset:864
	v_fma_f64 v[139:140], v[139:140], v[30:31], v[145:146]
	v_fma_f64 v[137:138], v[137:138], v[30:31], -v[32:33]
	scratch_load_b128 v[30:33], off, off offset:352
	v_add_f64_e32 v[141:142], v[141:142], v[149:150]
	v_add_f64_e32 v[143:144], v[143:144], v[147:148]
	v_fma_f64 v[149:150], v[4:5], v[34:35], v[151:152]
	v_fma_f64 v[151:152], v[2:3], v[34:35], -v[36:37]
	ds_load_b128 v[2:5], v1 offset:880
	s_wait_loadcnt_dscnt 0x801
	v_mul_f64_e32 v[145:146], v[129:130], v[135:136]
	v_mul_f64_e32 v[147:148], v[131:132], v[135:136]
	scratch_load_b128 v[34:37], off, off offset:368
	v_add_f64_e32 v[141:142], v[141:142], v[137:138]
	v_add_f64_e32 v[139:140], v[143:144], v[139:140]
	ds_load_b128 v[135:138], v1 offset:896
	v_fma_f64 v[145:146], v[131:132], v[133:134], v[145:146]
	v_fma_f64 v[133:134], v[129:130], v[133:134], -v[147:148]
	scratch_load_b128 v[129:132], off, off offset:384
	s_wait_loadcnt_dscnt 0x901
	v_mul_f64_e32 v[143:144], v[2:3], v[40:41]
	v_mul_f64_e32 v[40:41], v[4:5], v[40:41]
	v_add_f64_e32 v[141:142], v[141:142], v[151:152]
	v_add_f64_e32 v[139:140], v[139:140], v[149:150]
	s_delay_alu instid0(VALU_DEP_4) | instskip(NEXT) | instid1(VALU_DEP_4)
	v_fma_f64 v[143:144], v[4:5], v[38:39], v[143:144]
	v_fma_f64 v[149:150], v[2:3], v[38:39], -v[40:41]
	ds_load_b128 v[2:5], v1 offset:912
	s_wait_loadcnt_dscnt 0x801
	v_mul_f64_e32 v[147:148], v[135:136], v[8:9]
	v_mul_f64_e32 v[8:9], v[137:138], v[8:9]
	scratch_load_b128 v[38:41], off, off offset:400
	s_wait_loadcnt_dscnt 0x800
	v_mul_f64_e32 v[151:152], v[2:3], v[12:13]
	v_add_f64_e32 v[133:134], v[141:142], v[133:134]
	v_add_f64_e32 v[145:146], v[139:140], v[145:146]
	v_mul_f64_e32 v[12:13], v[4:5], v[12:13]
	ds_load_b128 v[139:142], v1 offset:928
	v_fma_f64 v[137:138], v[137:138], v[6:7], v[147:148]
	v_fma_f64 v[135:136], v[135:136], v[6:7], -v[8:9]
	scratch_load_b128 v[6:9], off, off offset:416
	v_fma_f64 v[147:148], v[4:5], v[10:11], v[151:152]
	v_add_f64_e32 v[133:134], v[133:134], v[149:150]
	v_add_f64_e32 v[143:144], v[145:146], v[143:144]
	v_fma_f64 v[149:150], v[2:3], v[10:11], -v[12:13]
	ds_load_b128 v[2:5], v1 offset:944
	s_wait_loadcnt_dscnt 0x801
	v_mul_f64_e32 v[145:146], v[139:140], v[16:17]
	v_mul_f64_e32 v[16:17], v[141:142], v[16:17]
	scratch_load_b128 v[10:13], off, off offset:432
	v_add_f64_e32 v[151:152], v[133:134], v[135:136]
	v_add_f64_e32 v[137:138], v[143:144], v[137:138]
	s_wait_loadcnt_dscnt 0x800
	v_mul_f64_e32 v[143:144], v[2:3], v[20:21]
	v_mul_f64_e32 v[20:21], v[4:5], v[20:21]
	v_fma_f64 v[141:142], v[141:142], v[14:15], v[145:146]
	v_fma_f64 v[139:140], v[139:140], v[14:15], -v[16:17]
	ds_load_b128 v[133:136], v1 offset:960
	scratch_load_b128 v[14:17], off, off offset:448
	v_add_f64_e32 v[145:146], v[151:152], v[149:150]
	v_add_f64_e32 v[137:138], v[137:138], v[147:148]
	v_fma_f64 v[143:144], v[4:5], v[18:19], v[143:144]
	v_fma_f64 v[149:150], v[2:3], v[18:19], -v[20:21]
	ds_load_b128 v[2:5], v1 offset:976
	s_wait_loadcnt_dscnt 0x801
	v_mul_f64_e32 v[147:148], v[133:134], v[24:25]
	v_mul_f64_e32 v[24:25], v[135:136], v[24:25]
	scratch_load_b128 v[18:21], off, off offset:464
	s_wait_loadcnt_dscnt 0x800
	v_mul_f64_e32 v[151:152], v[2:3], v[28:29]
	v_mul_f64_e32 v[28:29], v[4:5], v[28:29]
	v_add_f64_e32 v[145:146], v[145:146], v[139:140]
	v_add_f64_e32 v[141:142], v[137:138], v[141:142]
	ds_load_b128 v[137:140], v1 offset:992
	v_fma_f64 v[135:136], v[135:136], v[22:23], v[147:148]
	v_fma_f64 v[133:134], v[133:134], v[22:23], -v[24:25]
	scratch_load_b128 v[22:25], off, off offset:480
	v_fma_f64 v[147:148], v[4:5], v[26:27], v[151:152]
	v_add_f64_e32 v[145:146], v[145:146], v[149:150]
	v_add_f64_e32 v[141:142], v[141:142], v[143:144]
	v_fma_f64 v[149:150], v[2:3], v[26:27], -v[28:29]
	ds_load_b128 v[2:5], v1 offset:1008
	s_wait_loadcnt_dscnt 0x801
	v_mul_f64_e32 v[143:144], v[137:138], v[32:33]
	v_mul_f64_e32 v[32:33], v[139:140], v[32:33]
	scratch_load_b128 v[26:29], off, off offset:496
	s_wait_loadcnt_dscnt 0x800
	v_mul_f64_e32 v[151:152], v[2:3], v[36:37]
	v_mul_f64_e32 v[36:37], v[4:5], v[36:37]
	v_add_f64_e32 v[145:146], v[145:146], v[133:134]
	v_add_f64_e32 v[141:142], v[141:142], v[135:136]
	ds_load_b128 v[133:136], v1 offset:1024
	v_fma_f64 v[139:140], v[139:140], v[30:31], v[143:144]
	v_fma_f64 v[137:138], v[137:138], v[30:31], -v[32:33]
	scratch_load_b128 v[30:33], off, off offset:512
	v_add_f64_e32 v[143:144], v[145:146], v[149:150]
	v_add_f64_e32 v[141:142], v[141:142], v[147:148]
	v_fma_f64 v[147:148], v[4:5], v[34:35], v[151:152]
	v_fma_f64 v[149:150], v[2:3], v[34:35], -v[36:37]
	ds_load_b128 v[2:5], v1 offset:1040
	s_wait_loadcnt_dscnt 0x801
	v_mul_f64_e32 v[145:146], v[133:134], v[131:132]
	v_mul_f64_e32 v[131:132], v[135:136], v[131:132]
	scratch_load_b128 v[34:37], off, off offset:528
	s_wait_loadcnt_dscnt 0x800
	v_mul_f64_e32 v[151:152], v[2:3], v[40:41]
	v_mul_f64_e32 v[40:41], v[4:5], v[40:41]
	v_add_f64_e32 v[143:144], v[143:144], v[137:138]
	v_add_f64_e32 v[141:142], v[141:142], v[139:140]
	ds_load_b128 v[137:140], v1 offset:1056
	v_fma_f64 v[135:136], v[135:136], v[129:130], v[145:146]
	v_fma_f64 v[133:134], v[133:134], v[129:130], -v[131:132]
	scratch_load_b128 v[129:132], off, off offset:544
	v_add_f64_e32 v[143:144], v[143:144], v[149:150]
	v_add_f64_e32 v[141:142], v[141:142], v[147:148]
	v_fma_f64 v[147:148], v[4:5], v[38:39], v[151:152]
	;; [unrolled: 18-line block ×5, first 2 shown]
	v_fma_f64 v[149:150], v[2:3], v[26:27], -v[28:29]
	ds_load_b128 v[2:5], v1 offset:1168
	s_wait_loadcnt_dscnt 0x801
	v_mul_f64_e32 v[145:146], v[133:134], v[32:33]
	v_mul_f64_e32 v[32:33], v[135:136], v[32:33]
	scratch_load_b128 v[26:29], off, off offset:656
	s_wait_loadcnt_dscnt 0x800
	v_mul_f64_e32 v[151:152], v[2:3], v[36:37]
	v_mul_f64_e32 v[36:37], v[4:5], v[36:37]
	v_add_f64_e32 v[143:144], v[143:144], v[137:138]
	v_add_f64_e32 v[141:142], v[141:142], v[139:140]
	ds_load_b128 v[137:140], v1 offset:1184
	v_fma_f64 v[135:136], v[135:136], v[30:31], v[145:146]
	v_fma_f64 v[30:31], v[133:134], v[30:31], -v[32:33]
	v_add_f64_e32 v[32:33], v[143:144], v[149:150]
	v_add_f64_e32 v[133:134], v[141:142], v[147:148]
	s_wait_loadcnt_dscnt 0x700
	v_mul_f64_e32 v[141:142], v[137:138], v[131:132]
	v_mul_f64_e32 v[131:132], v[139:140], v[131:132]
	v_fma_f64 v[143:144], v[4:5], v[34:35], v[151:152]
	v_fma_f64 v[34:35], v[2:3], v[34:35], -v[36:37]
	v_add_f64_e32 v[36:37], v[32:33], v[30:31]
	v_add_f64_e32 v[133:134], v[133:134], v[135:136]
	ds_load_b128 v[2:5], v1 offset:1200
	ds_load_b128 v[30:33], v1 offset:1216
	v_fma_f64 v[139:140], v[139:140], v[129:130], v[141:142]
	v_fma_f64 v[129:130], v[137:138], v[129:130], -v[131:132]
	s_wait_loadcnt_dscnt 0x601
	v_mul_f64_e32 v[135:136], v[2:3], v[40:41]
	v_mul_f64_e32 v[40:41], v[4:5], v[40:41]
	s_wait_loadcnt_dscnt 0x500
	v_mul_f64_e32 v[131:132], v[30:31], v[8:9]
	v_mul_f64_e32 v[8:9], v[32:33], v[8:9]
	v_add_f64_e32 v[34:35], v[36:37], v[34:35]
	v_add_f64_e32 v[36:37], v[133:134], v[143:144]
	v_fma_f64 v[133:134], v[4:5], v[38:39], v[135:136]
	v_fma_f64 v[38:39], v[2:3], v[38:39], -v[40:41]
	v_fma_f64 v[32:33], v[32:33], v[6:7], v[131:132]
	v_fma_f64 v[6:7], v[30:31], v[6:7], -v[8:9]
	v_add_f64_e32 v[40:41], v[34:35], v[129:130]
	v_add_f64_e32 v[129:130], v[36:37], v[139:140]
	ds_load_b128 v[2:5], v1 offset:1232
	ds_load_b128 v[34:37], v1 offset:1248
	s_wait_loadcnt_dscnt 0x401
	v_mul_f64_e32 v[135:136], v[2:3], v[12:13]
	v_mul_f64_e32 v[12:13], v[4:5], v[12:13]
	v_add_f64_e32 v[8:9], v[40:41], v[38:39]
	v_add_f64_e32 v[30:31], v[129:130], v[133:134]
	s_wait_loadcnt_dscnt 0x300
	v_mul_f64_e32 v[38:39], v[34:35], v[16:17]
	v_mul_f64_e32 v[16:17], v[36:37], v[16:17]
	v_fma_f64 v[40:41], v[4:5], v[10:11], v[135:136]
	v_fma_f64 v[10:11], v[2:3], v[10:11], -v[12:13]
	v_add_f64_e32 v[12:13], v[8:9], v[6:7]
	v_add_f64_e32 v[30:31], v[30:31], v[32:33]
	ds_load_b128 v[2:5], v1 offset:1264
	ds_load_b128 v[6:9], v1 offset:1280
	v_fma_f64 v[36:37], v[36:37], v[14:15], v[38:39]
	v_fma_f64 v[14:15], v[34:35], v[14:15], -v[16:17]
	s_wait_loadcnt_dscnt 0x201
	v_mul_f64_e32 v[32:33], v[2:3], v[20:21]
	v_mul_f64_e32 v[20:21], v[4:5], v[20:21]
	s_wait_loadcnt_dscnt 0x100
	v_mul_f64_e32 v[16:17], v[6:7], v[24:25]
	v_mul_f64_e32 v[24:25], v[8:9], v[24:25]
	v_add_f64_e32 v[10:11], v[12:13], v[10:11]
	v_add_f64_e32 v[12:13], v[30:31], v[40:41]
	v_fma_f64 v[30:31], v[4:5], v[18:19], v[32:33]
	v_fma_f64 v[18:19], v[2:3], v[18:19], -v[20:21]
	ds_load_b128 v[2:5], v1 offset:1296
	v_fma_f64 v[8:9], v[8:9], v[22:23], v[16:17]
	v_fma_f64 v[6:7], v[6:7], v[22:23], -v[24:25]
	v_add_f64_e32 v[10:11], v[10:11], v[14:15]
	v_add_f64_e32 v[12:13], v[12:13], v[36:37]
	s_wait_loadcnt_dscnt 0x0
	v_mul_f64_e32 v[14:15], v[2:3], v[28:29]
	v_mul_f64_e32 v[20:21], v[4:5], v[28:29]
	s_delay_alu instid0(VALU_DEP_4) | instskip(NEXT) | instid1(VALU_DEP_4)
	v_add_f64_e32 v[10:11], v[10:11], v[18:19]
	v_add_f64_e32 v[12:13], v[12:13], v[30:31]
	s_delay_alu instid0(VALU_DEP_4) | instskip(NEXT) | instid1(VALU_DEP_4)
	v_fma_f64 v[4:5], v[4:5], v[26:27], v[14:15]
	v_fma_f64 v[2:3], v[2:3], v[26:27], -v[20:21]
	s_delay_alu instid0(VALU_DEP_4) | instskip(NEXT) | instid1(VALU_DEP_4)
	v_add_f64_e32 v[6:7], v[10:11], v[6:7]
	v_add_f64_e32 v[8:9], v[12:13], v[8:9]
	s_delay_alu instid0(VALU_DEP_2) | instskip(NEXT) | instid1(VALU_DEP_2)
	v_add_f64_e32 v[2:3], v[6:7], v[2:3]
	v_add_f64_e32 v[4:5], v[8:9], v[4:5]
	s_delay_alu instid0(VALU_DEP_2) | instskip(NEXT) | instid1(VALU_DEP_2)
	v_add_f64_e64 v[2:3], v[42:43], -v[2:3]
	v_add_f64_e64 v[4:5], v[44:45], -v[4:5]
	scratch_store_b128 off, v[2:5], off offset:64
	v_cmpx_lt_u32_e32 2, v0
	s_cbranch_execz .LBB104_255
; %bb.254:
	scratch_load_b128 v[5:8], off, s48
	v_dual_mov_b32 v2, v1 :: v_dual_mov_b32 v3, v1
	v_mov_b32_e32 v4, v1
	scratch_store_b128 off, v[1:4], off offset:48
	s_wait_loadcnt 0x0
	ds_store_b128 v128, v[5:8]
.LBB104_255:
	s_wait_alu 0xfffe
	s_or_b32 exec_lo, exec_lo, s0
	s_wait_storecnt_dscnt 0x0
	s_barrier_signal -1
	s_barrier_wait -1
	global_inv scope:SCOPE_SE
	s_clause 0x8
	scratch_load_b128 v[2:5], off, off offset:64
	scratch_load_b128 v[6:9], off, off offset:80
	;; [unrolled: 1-line block ×9, first 2 shown]
	ds_load_b128 v[42:45], v1 offset:704
	ds_load_b128 v[38:41], v1 offset:720
	s_clause 0x1
	scratch_load_b128 v[129:132], off, off offset:48
	scratch_load_b128 v[133:136], off, off offset:208
	s_mov_b32 s0, exec_lo
	s_wait_loadcnt_dscnt 0xa01
	v_mul_f64_e32 v[137:138], v[44:45], v[4:5]
	v_mul_f64_e32 v[4:5], v[42:43], v[4:5]
	s_wait_loadcnt_dscnt 0x900
	v_mul_f64_e32 v[141:142], v[38:39], v[8:9]
	v_mul_f64_e32 v[8:9], v[40:41], v[8:9]
	s_delay_alu instid0(VALU_DEP_4) | instskip(NEXT) | instid1(VALU_DEP_4)
	v_fma_f64 v[143:144], v[42:43], v[2:3], -v[137:138]
	v_fma_f64 v[145:146], v[44:45], v[2:3], v[4:5]
	ds_load_b128 v[2:5], v1 offset:736
	ds_load_b128 v[137:140], v1 offset:752
	scratch_load_b128 v[42:45], off, off offset:224
	v_fma_f64 v[40:41], v[40:41], v[6:7], v[141:142]
	v_fma_f64 v[38:39], v[38:39], v[6:7], -v[8:9]
	scratch_load_b128 v[6:9], off, off offset:240
	s_wait_loadcnt_dscnt 0xa01
	v_mul_f64_e32 v[147:148], v[2:3], v[12:13]
	v_mul_f64_e32 v[12:13], v[4:5], v[12:13]
	v_add_f64_e32 v[141:142], 0, v[143:144]
	v_add_f64_e32 v[143:144], 0, v[145:146]
	s_wait_loadcnt_dscnt 0x900
	v_mul_f64_e32 v[145:146], v[137:138], v[16:17]
	v_mul_f64_e32 v[16:17], v[139:140], v[16:17]
	v_fma_f64 v[147:148], v[4:5], v[10:11], v[147:148]
	v_fma_f64 v[149:150], v[2:3], v[10:11], -v[12:13]
	ds_load_b128 v[2:5], v1 offset:768
	scratch_load_b128 v[10:13], off, off offset:256
	v_add_f64_e32 v[141:142], v[141:142], v[38:39]
	v_add_f64_e32 v[143:144], v[143:144], v[40:41]
	ds_load_b128 v[38:41], v1 offset:784
	v_fma_f64 v[139:140], v[139:140], v[14:15], v[145:146]
	v_fma_f64 v[137:138], v[137:138], v[14:15], -v[16:17]
	scratch_load_b128 v[14:17], off, off offset:272
	s_wait_loadcnt_dscnt 0xa01
	v_mul_f64_e32 v[151:152], v[2:3], v[20:21]
	v_mul_f64_e32 v[20:21], v[4:5], v[20:21]
	s_wait_loadcnt_dscnt 0x900
	v_mul_f64_e32 v[145:146], v[38:39], v[24:25]
	v_mul_f64_e32 v[24:25], v[40:41], v[24:25]
	v_add_f64_e32 v[141:142], v[141:142], v[149:150]
	v_add_f64_e32 v[143:144], v[143:144], v[147:148]
	v_fma_f64 v[147:148], v[4:5], v[18:19], v[151:152]
	v_fma_f64 v[149:150], v[2:3], v[18:19], -v[20:21]
	ds_load_b128 v[2:5], v1 offset:800
	scratch_load_b128 v[18:21], off, off offset:288
	v_fma_f64 v[40:41], v[40:41], v[22:23], v[145:146]
	v_fma_f64 v[38:39], v[38:39], v[22:23], -v[24:25]
	scratch_load_b128 v[22:25], off, off offset:304
	v_add_f64_e32 v[141:142], v[141:142], v[137:138]
	v_add_f64_e32 v[143:144], v[143:144], v[139:140]
	ds_load_b128 v[137:140], v1 offset:816
	s_wait_loadcnt_dscnt 0xa01
	v_mul_f64_e32 v[151:152], v[2:3], v[28:29]
	v_mul_f64_e32 v[28:29], v[4:5], v[28:29]
	s_wait_loadcnt_dscnt 0x900
	v_mul_f64_e32 v[145:146], v[137:138], v[32:33]
	v_mul_f64_e32 v[32:33], v[139:140], v[32:33]
	v_add_f64_e32 v[141:142], v[141:142], v[149:150]
	v_add_f64_e32 v[143:144], v[143:144], v[147:148]
	v_fma_f64 v[147:148], v[4:5], v[26:27], v[151:152]
	v_fma_f64 v[149:150], v[2:3], v[26:27], -v[28:29]
	ds_load_b128 v[2:5], v1 offset:832
	scratch_load_b128 v[26:29], off, off offset:320
	v_fma_f64 v[139:140], v[139:140], v[30:31], v[145:146]
	v_fma_f64 v[137:138], v[137:138], v[30:31], -v[32:33]
	scratch_load_b128 v[30:33], off, off offset:336
	v_add_f64_e32 v[141:142], v[141:142], v[38:39]
	v_add_f64_e32 v[143:144], v[143:144], v[40:41]
	ds_load_b128 v[38:41], v1 offset:848
	s_wait_loadcnt_dscnt 0xa01
	v_mul_f64_e32 v[151:152], v[2:3], v[36:37]
	v_mul_f64_e32 v[36:37], v[4:5], v[36:37]
	s_wait_loadcnt_dscnt 0x800
	v_mul_f64_e32 v[145:146], v[38:39], v[135:136]
	v_add_f64_e32 v[141:142], v[141:142], v[149:150]
	v_add_f64_e32 v[143:144], v[143:144], v[147:148]
	v_mul_f64_e32 v[147:148], v[40:41], v[135:136]
	v_fma_f64 v[149:150], v[4:5], v[34:35], v[151:152]
	v_fma_f64 v[151:152], v[2:3], v[34:35], -v[36:37]
	ds_load_b128 v[2:5], v1 offset:864
	scratch_load_b128 v[34:37], off, off offset:352
	v_fma_f64 v[145:146], v[40:41], v[133:134], v[145:146]
	v_add_f64_e32 v[141:142], v[141:142], v[137:138]
	v_add_f64_e32 v[139:140], v[143:144], v[139:140]
	ds_load_b128 v[135:138], v1 offset:880
	v_fma_f64 v[133:134], v[38:39], v[133:134], -v[147:148]
	scratch_load_b128 v[38:41], off, off offset:368
	s_wait_loadcnt_dscnt 0x901
	v_mul_f64_e32 v[143:144], v[2:3], v[44:45]
	v_mul_f64_e32 v[44:45], v[4:5], v[44:45]
	s_wait_loadcnt_dscnt 0x800
	v_mul_f64_e32 v[147:148], v[135:136], v[8:9]
	v_mul_f64_e32 v[8:9], v[137:138], v[8:9]
	v_add_f64_e32 v[141:142], v[141:142], v[151:152]
	v_add_f64_e32 v[139:140], v[139:140], v[149:150]
	v_fma_f64 v[143:144], v[4:5], v[42:43], v[143:144]
	v_fma_f64 v[149:150], v[2:3], v[42:43], -v[44:45]
	ds_load_b128 v[2:5], v1 offset:896
	scratch_load_b128 v[42:45], off, off offset:384
	v_fma_f64 v[137:138], v[137:138], v[6:7], v[147:148]
	v_fma_f64 v[135:136], v[135:136], v[6:7], -v[8:9]
	scratch_load_b128 v[6:9], off, off offset:400
	v_add_f64_e32 v[133:134], v[141:142], v[133:134]
	v_add_f64_e32 v[145:146], v[139:140], v[145:146]
	ds_load_b128 v[139:142], v1 offset:912
	s_wait_loadcnt_dscnt 0x901
	v_mul_f64_e32 v[151:152], v[2:3], v[12:13]
	v_mul_f64_e32 v[12:13], v[4:5], v[12:13]
	v_add_f64_e32 v[133:134], v[133:134], v[149:150]
	v_add_f64_e32 v[143:144], v[145:146], v[143:144]
	s_wait_loadcnt_dscnt 0x800
	v_mul_f64_e32 v[145:146], v[139:140], v[16:17]
	v_mul_f64_e32 v[16:17], v[141:142], v[16:17]
	v_fma_f64 v[147:148], v[4:5], v[10:11], v[151:152]
	v_fma_f64 v[149:150], v[2:3], v[10:11], -v[12:13]
	ds_load_b128 v[2:5], v1 offset:928
	scratch_load_b128 v[10:13], off, off offset:416
	v_add_f64_e32 v[151:152], v[133:134], v[135:136]
	v_add_f64_e32 v[137:138], v[143:144], v[137:138]
	ds_load_b128 v[133:136], v1 offset:944
	s_wait_loadcnt_dscnt 0x801
	v_mul_f64_e32 v[143:144], v[2:3], v[20:21]
	v_mul_f64_e32 v[20:21], v[4:5], v[20:21]
	v_fma_f64 v[141:142], v[141:142], v[14:15], v[145:146]
	v_fma_f64 v[139:140], v[139:140], v[14:15], -v[16:17]
	scratch_load_b128 v[14:17], off, off offset:432
	v_add_f64_e32 v[145:146], v[151:152], v[149:150]
	v_add_f64_e32 v[137:138], v[137:138], v[147:148]
	s_wait_loadcnt_dscnt 0x800
	v_mul_f64_e32 v[147:148], v[133:134], v[24:25]
	v_mul_f64_e32 v[24:25], v[135:136], v[24:25]
	v_fma_f64 v[143:144], v[4:5], v[18:19], v[143:144]
	v_fma_f64 v[149:150], v[2:3], v[18:19], -v[20:21]
	ds_load_b128 v[2:5], v1 offset:960
	scratch_load_b128 v[18:21], off, off offset:448
	v_add_f64_e32 v[145:146], v[145:146], v[139:140]
	v_add_f64_e32 v[141:142], v[137:138], v[141:142]
	ds_load_b128 v[137:140], v1 offset:976
	s_wait_loadcnt_dscnt 0x801
	v_mul_f64_e32 v[151:152], v[2:3], v[28:29]
	v_mul_f64_e32 v[28:29], v[4:5], v[28:29]
	v_fma_f64 v[135:136], v[135:136], v[22:23], v[147:148]
	v_fma_f64 v[133:134], v[133:134], v[22:23], -v[24:25]
	scratch_load_b128 v[22:25], off, off offset:464
	;; [unrolled: 18-line block ×4, first 2 shown]
	s_wait_loadcnt_dscnt 0x800
	v_mul_f64_e32 v[145:146], v[137:138], v[8:9]
	v_mul_f64_e32 v[8:9], v[139:140], v[8:9]
	v_add_f64_e32 v[143:144], v[143:144], v[149:150]
	v_add_f64_e32 v[141:142], v[141:142], v[147:148]
	v_fma_f64 v[147:148], v[4:5], v[42:43], v[151:152]
	v_fma_f64 v[149:150], v[2:3], v[42:43], -v[44:45]
	ds_load_b128 v[2:5], v1 offset:1056
	scratch_load_b128 v[42:45], off, off offset:544
	v_fma_f64 v[139:140], v[139:140], v[6:7], v[145:146]
	v_fma_f64 v[137:138], v[137:138], v[6:7], -v[8:9]
	scratch_load_b128 v[6:9], off, off offset:560
	v_add_f64_e32 v[143:144], v[143:144], v[133:134]
	v_add_f64_e32 v[141:142], v[141:142], v[135:136]
	ds_load_b128 v[133:136], v1 offset:1072
	s_wait_loadcnt_dscnt 0x901
	v_mul_f64_e32 v[151:152], v[2:3], v[12:13]
	v_mul_f64_e32 v[12:13], v[4:5], v[12:13]
	s_wait_loadcnt_dscnt 0x800
	v_mul_f64_e32 v[145:146], v[133:134], v[16:17]
	v_mul_f64_e32 v[16:17], v[135:136], v[16:17]
	v_add_f64_e32 v[143:144], v[143:144], v[149:150]
	v_add_f64_e32 v[141:142], v[141:142], v[147:148]
	v_fma_f64 v[147:148], v[4:5], v[10:11], v[151:152]
	v_fma_f64 v[149:150], v[2:3], v[10:11], -v[12:13]
	ds_load_b128 v[2:5], v1 offset:1088
	scratch_load_b128 v[10:13], off, off offset:576
	v_fma_f64 v[135:136], v[135:136], v[14:15], v[145:146]
	v_fma_f64 v[133:134], v[133:134], v[14:15], -v[16:17]
	scratch_load_b128 v[14:17], off, off offset:592
	v_add_f64_e32 v[143:144], v[143:144], v[137:138]
	v_add_f64_e32 v[141:142], v[141:142], v[139:140]
	ds_load_b128 v[137:140], v1 offset:1104
	s_wait_loadcnt_dscnt 0x901
	v_mul_f64_e32 v[151:152], v[2:3], v[20:21]
	v_mul_f64_e32 v[20:21], v[4:5], v[20:21]
	;; [unrolled: 18-line block ×4, first 2 shown]
	s_wait_loadcnt_dscnt 0x800
	v_mul_f64_e32 v[145:146], v[137:138], v[40:41]
	v_mul_f64_e32 v[40:41], v[139:140], v[40:41]
	v_add_f64_e32 v[143:144], v[143:144], v[149:150]
	v_add_f64_e32 v[141:142], v[141:142], v[147:148]
	v_fma_f64 v[147:148], v[4:5], v[34:35], v[151:152]
	v_fma_f64 v[149:150], v[2:3], v[34:35], -v[36:37]
	ds_load_b128 v[2:5], v1 offset:1184
	ds_load_b128 v[34:37], v1 offset:1200
	v_fma_f64 v[139:140], v[139:140], v[38:39], v[145:146]
	v_fma_f64 v[38:39], v[137:138], v[38:39], -v[40:41]
	v_add_f64_e32 v[133:134], v[143:144], v[133:134]
	v_add_f64_e32 v[135:136], v[141:142], v[135:136]
	s_wait_loadcnt_dscnt 0x701
	v_mul_f64_e32 v[141:142], v[2:3], v[44:45]
	v_mul_f64_e32 v[44:45], v[4:5], v[44:45]
	s_delay_alu instid0(VALU_DEP_4) | instskip(NEXT) | instid1(VALU_DEP_4)
	v_add_f64_e32 v[40:41], v[133:134], v[149:150]
	v_add_f64_e32 v[133:134], v[135:136], v[147:148]
	s_wait_loadcnt_dscnt 0x600
	v_mul_f64_e32 v[135:136], v[34:35], v[8:9]
	v_mul_f64_e32 v[8:9], v[36:37], v[8:9]
	v_fma_f64 v[137:138], v[4:5], v[42:43], v[141:142]
	v_fma_f64 v[42:43], v[2:3], v[42:43], -v[44:45]
	v_add_f64_e32 v[44:45], v[40:41], v[38:39]
	v_add_f64_e32 v[133:134], v[133:134], v[139:140]
	ds_load_b128 v[2:5], v1 offset:1216
	ds_load_b128 v[38:41], v1 offset:1232
	v_fma_f64 v[36:37], v[36:37], v[6:7], v[135:136]
	v_fma_f64 v[6:7], v[34:35], v[6:7], -v[8:9]
	s_wait_loadcnt_dscnt 0x501
	v_mul_f64_e32 v[139:140], v[2:3], v[12:13]
	v_mul_f64_e32 v[12:13], v[4:5], v[12:13]
	v_add_f64_e32 v[8:9], v[44:45], v[42:43]
	v_add_f64_e32 v[34:35], v[133:134], v[137:138]
	s_wait_loadcnt_dscnt 0x400
	v_mul_f64_e32 v[42:43], v[38:39], v[16:17]
	v_mul_f64_e32 v[16:17], v[40:41], v[16:17]
	v_fma_f64 v[44:45], v[4:5], v[10:11], v[139:140]
	v_fma_f64 v[10:11], v[2:3], v[10:11], -v[12:13]
	v_add_f64_e32 v[12:13], v[8:9], v[6:7]
	v_add_f64_e32 v[34:35], v[34:35], v[36:37]
	ds_load_b128 v[2:5], v1 offset:1248
	ds_load_b128 v[6:9], v1 offset:1264
	v_fma_f64 v[40:41], v[40:41], v[14:15], v[42:43]
	v_fma_f64 v[14:15], v[38:39], v[14:15], -v[16:17]
	s_wait_loadcnt_dscnt 0x301
	v_mul_f64_e32 v[36:37], v[2:3], v[20:21]
	v_mul_f64_e32 v[20:21], v[4:5], v[20:21]
	s_wait_loadcnt_dscnt 0x200
	v_mul_f64_e32 v[16:17], v[6:7], v[24:25]
	v_mul_f64_e32 v[24:25], v[8:9], v[24:25]
	v_add_f64_e32 v[10:11], v[12:13], v[10:11]
	v_add_f64_e32 v[12:13], v[34:35], v[44:45]
	v_fma_f64 v[34:35], v[4:5], v[18:19], v[36:37]
	v_fma_f64 v[18:19], v[2:3], v[18:19], -v[20:21]
	v_fma_f64 v[8:9], v[8:9], v[22:23], v[16:17]
	v_fma_f64 v[6:7], v[6:7], v[22:23], -v[24:25]
	v_add_f64_e32 v[14:15], v[10:11], v[14:15]
	v_add_f64_e32 v[20:21], v[12:13], v[40:41]
	ds_load_b128 v[2:5], v1 offset:1280
	ds_load_b128 v[10:13], v1 offset:1296
	s_wait_loadcnt_dscnt 0x101
	v_mul_f64_e32 v[36:37], v[2:3], v[28:29]
	v_mul_f64_e32 v[28:29], v[4:5], v[28:29]
	v_add_f64_e32 v[14:15], v[14:15], v[18:19]
	v_add_f64_e32 v[16:17], v[20:21], v[34:35]
	s_wait_loadcnt_dscnt 0x0
	v_mul_f64_e32 v[18:19], v[10:11], v[32:33]
	v_mul_f64_e32 v[20:21], v[12:13], v[32:33]
	v_fma_f64 v[4:5], v[4:5], v[26:27], v[36:37]
	v_fma_f64 v[1:2], v[2:3], v[26:27], -v[28:29]
	v_add_f64_e32 v[6:7], v[14:15], v[6:7]
	v_add_f64_e32 v[8:9], v[16:17], v[8:9]
	v_fma_f64 v[12:13], v[12:13], v[30:31], v[18:19]
	v_fma_f64 v[10:11], v[10:11], v[30:31], -v[20:21]
	s_delay_alu instid0(VALU_DEP_4) | instskip(NEXT) | instid1(VALU_DEP_4)
	v_add_f64_e32 v[1:2], v[6:7], v[1:2]
	v_add_f64_e32 v[3:4], v[8:9], v[4:5]
	s_delay_alu instid0(VALU_DEP_2) | instskip(NEXT) | instid1(VALU_DEP_2)
	v_add_f64_e32 v[1:2], v[1:2], v[10:11]
	v_add_f64_e32 v[3:4], v[3:4], v[12:13]
	s_delay_alu instid0(VALU_DEP_2) | instskip(NEXT) | instid1(VALU_DEP_2)
	v_add_f64_e64 v[1:2], v[129:130], -v[1:2]
	v_add_f64_e64 v[3:4], v[131:132], -v[3:4]
	scratch_store_b128 off, v[1:4], off offset:48
	v_cmpx_lt_u32_e32 1, v0
	s_cbranch_execz .LBB104_257
; %bb.256:
	scratch_load_b128 v[1:4], off, s49
	v_mov_b32_e32 v5, 0
	s_delay_alu instid0(VALU_DEP_1)
	v_dual_mov_b32 v6, v5 :: v_dual_mov_b32 v7, v5
	v_mov_b32_e32 v8, v5
	scratch_store_b128 off, v[5:8], off offset:32
	s_wait_loadcnt 0x0
	ds_store_b128 v128, v[1:4]
.LBB104_257:
	s_wait_alu 0xfffe
	s_or_b32 exec_lo, exec_lo, s0
	s_wait_storecnt_dscnt 0x0
	s_barrier_signal -1
	s_barrier_wait -1
	global_inv scope:SCOPE_SE
	s_clause 0x7
	scratch_load_b128 v[2:5], off, off offset:48
	scratch_load_b128 v[6:9], off, off offset:64
	;; [unrolled: 1-line block ×8, first 2 shown]
	v_mov_b32_e32 v1, 0
	s_mov_b32 s0, exec_lo
	ds_load_b128 v[38:41], v1 offset:688
	s_clause 0x1
	scratch_load_b128 v[34:37], off, off offset:176
	scratch_load_b128 v[42:45], off, off offset:32
	ds_load_b128 v[129:132], v1 offset:704
	scratch_load_b128 v[133:136], off, off offset:192
	s_wait_loadcnt_dscnt 0xa01
	v_mul_f64_e32 v[137:138], v[40:41], v[4:5]
	v_mul_f64_e32 v[4:5], v[38:39], v[4:5]
	s_delay_alu instid0(VALU_DEP_2) | instskip(NEXT) | instid1(VALU_DEP_2)
	v_fma_f64 v[143:144], v[38:39], v[2:3], -v[137:138]
	v_fma_f64 v[145:146], v[40:41], v[2:3], v[4:5]
	ds_load_b128 v[2:5], v1 offset:720
	s_wait_loadcnt_dscnt 0x901
	v_mul_f64_e32 v[141:142], v[129:130], v[8:9]
	v_mul_f64_e32 v[8:9], v[131:132], v[8:9]
	scratch_load_b128 v[38:41], off, off offset:208
	ds_load_b128 v[137:140], v1 offset:736
	s_wait_loadcnt_dscnt 0x901
	v_mul_f64_e32 v[147:148], v[2:3], v[12:13]
	v_mul_f64_e32 v[12:13], v[4:5], v[12:13]
	v_fma_f64 v[131:132], v[131:132], v[6:7], v[141:142]
	v_fma_f64 v[129:130], v[129:130], v[6:7], -v[8:9]
	v_add_f64_e32 v[141:142], 0, v[143:144]
	v_add_f64_e32 v[143:144], 0, v[145:146]
	scratch_load_b128 v[6:9], off, off offset:224
	v_fma_f64 v[147:148], v[4:5], v[10:11], v[147:148]
	v_fma_f64 v[149:150], v[2:3], v[10:11], -v[12:13]
	ds_load_b128 v[2:5], v1 offset:752
	s_wait_loadcnt_dscnt 0x901
	v_mul_f64_e32 v[145:146], v[137:138], v[16:17]
	v_mul_f64_e32 v[16:17], v[139:140], v[16:17]
	scratch_load_b128 v[10:13], off, off offset:240
	v_add_f64_e32 v[141:142], v[141:142], v[129:130]
	v_add_f64_e32 v[143:144], v[143:144], v[131:132]
	s_wait_loadcnt_dscnt 0x900
	v_mul_f64_e32 v[151:152], v[2:3], v[20:21]
	v_mul_f64_e32 v[20:21], v[4:5], v[20:21]
	ds_load_b128 v[129:132], v1 offset:768
	v_fma_f64 v[139:140], v[139:140], v[14:15], v[145:146]
	v_fma_f64 v[137:138], v[137:138], v[14:15], -v[16:17]
	scratch_load_b128 v[14:17], off, off offset:256
	v_add_f64_e32 v[141:142], v[141:142], v[149:150]
	v_add_f64_e32 v[143:144], v[143:144], v[147:148]
	v_fma_f64 v[147:148], v[4:5], v[18:19], v[151:152]
	v_fma_f64 v[149:150], v[2:3], v[18:19], -v[20:21]
	ds_load_b128 v[2:5], v1 offset:784
	s_wait_loadcnt_dscnt 0x901
	v_mul_f64_e32 v[145:146], v[129:130], v[24:25]
	v_mul_f64_e32 v[24:25], v[131:132], v[24:25]
	scratch_load_b128 v[18:21], off, off offset:272
	s_wait_loadcnt_dscnt 0x900
	v_mul_f64_e32 v[151:152], v[2:3], v[28:29]
	v_mul_f64_e32 v[28:29], v[4:5], v[28:29]
	v_add_f64_e32 v[141:142], v[141:142], v[137:138]
	v_add_f64_e32 v[143:144], v[143:144], v[139:140]
	ds_load_b128 v[137:140], v1 offset:800
	v_fma_f64 v[131:132], v[131:132], v[22:23], v[145:146]
	v_fma_f64 v[129:130], v[129:130], v[22:23], -v[24:25]
	scratch_load_b128 v[22:25], off, off offset:288
	v_add_f64_e32 v[141:142], v[141:142], v[149:150]
	v_add_f64_e32 v[143:144], v[143:144], v[147:148]
	v_fma_f64 v[147:148], v[4:5], v[26:27], v[151:152]
	v_fma_f64 v[149:150], v[2:3], v[26:27], -v[28:29]
	ds_load_b128 v[2:5], v1 offset:816
	s_wait_loadcnt_dscnt 0x901
	v_mul_f64_e32 v[145:146], v[137:138], v[32:33]
	v_mul_f64_e32 v[32:33], v[139:140], v[32:33]
	scratch_load_b128 v[26:29], off, off offset:304
	s_wait_loadcnt_dscnt 0x900
	v_mul_f64_e32 v[151:152], v[2:3], v[36:37]
	v_mul_f64_e32 v[36:37], v[4:5], v[36:37]
	v_add_f64_e32 v[141:142], v[141:142], v[129:130]
	v_add_f64_e32 v[143:144], v[143:144], v[131:132]
	ds_load_b128 v[129:132], v1 offset:832
	v_fma_f64 v[139:140], v[139:140], v[30:31], v[145:146]
	v_fma_f64 v[137:138], v[137:138], v[30:31], -v[32:33]
	scratch_load_b128 v[30:33], off, off offset:320
	v_add_f64_e32 v[141:142], v[141:142], v[149:150]
	v_add_f64_e32 v[143:144], v[143:144], v[147:148]
	v_fma_f64 v[149:150], v[4:5], v[34:35], v[151:152]
	v_fma_f64 v[151:152], v[2:3], v[34:35], -v[36:37]
	ds_load_b128 v[2:5], v1 offset:848
	s_wait_loadcnt_dscnt 0x801
	v_mul_f64_e32 v[145:146], v[129:130], v[135:136]
	v_mul_f64_e32 v[147:148], v[131:132], v[135:136]
	scratch_load_b128 v[34:37], off, off offset:336
	v_add_f64_e32 v[141:142], v[141:142], v[137:138]
	v_add_f64_e32 v[139:140], v[143:144], v[139:140]
	ds_load_b128 v[135:138], v1 offset:864
	v_fma_f64 v[145:146], v[131:132], v[133:134], v[145:146]
	v_fma_f64 v[133:134], v[129:130], v[133:134], -v[147:148]
	scratch_load_b128 v[129:132], off, off offset:352
	s_wait_loadcnt_dscnt 0x901
	v_mul_f64_e32 v[143:144], v[2:3], v[40:41]
	v_mul_f64_e32 v[40:41], v[4:5], v[40:41]
	v_add_f64_e32 v[141:142], v[141:142], v[151:152]
	v_add_f64_e32 v[139:140], v[139:140], v[149:150]
	s_delay_alu instid0(VALU_DEP_4) | instskip(NEXT) | instid1(VALU_DEP_4)
	v_fma_f64 v[143:144], v[4:5], v[38:39], v[143:144]
	v_fma_f64 v[149:150], v[2:3], v[38:39], -v[40:41]
	ds_load_b128 v[2:5], v1 offset:880
	s_wait_loadcnt_dscnt 0x801
	v_mul_f64_e32 v[147:148], v[135:136], v[8:9]
	v_mul_f64_e32 v[8:9], v[137:138], v[8:9]
	scratch_load_b128 v[38:41], off, off offset:368
	s_wait_loadcnt_dscnt 0x800
	v_mul_f64_e32 v[151:152], v[2:3], v[12:13]
	v_add_f64_e32 v[133:134], v[141:142], v[133:134]
	v_add_f64_e32 v[145:146], v[139:140], v[145:146]
	v_mul_f64_e32 v[12:13], v[4:5], v[12:13]
	ds_load_b128 v[139:142], v1 offset:896
	v_fma_f64 v[137:138], v[137:138], v[6:7], v[147:148]
	v_fma_f64 v[135:136], v[135:136], v[6:7], -v[8:9]
	scratch_load_b128 v[6:9], off, off offset:384
	v_fma_f64 v[147:148], v[4:5], v[10:11], v[151:152]
	v_add_f64_e32 v[133:134], v[133:134], v[149:150]
	v_add_f64_e32 v[143:144], v[145:146], v[143:144]
	v_fma_f64 v[149:150], v[2:3], v[10:11], -v[12:13]
	ds_load_b128 v[2:5], v1 offset:912
	s_wait_loadcnt_dscnt 0x801
	v_mul_f64_e32 v[145:146], v[139:140], v[16:17]
	v_mul_f64_e32 v[16:17], v[141:142], v[16:17]
	scratch_load_b128 v[10:13], off, off offset:400
	v_add_f64_e32 v[151:152], v[133:134], v[135:136]
	v_add_f64_e32 v[137:138], v[143:144], v[137:138]
	s_wait_loadcnt_dscnt 0x800
	v_mul_f64_e32 v[143:144], v[2:3], v[20:21]
	v_mul_f64_e32 v[20:21], v[4:5], v[20:21]
	v_fma_f64 v[141:142], v[141:142], v[14:15], v[145:146]
	v_fma_f64 v[139:140], v[139:140], v[14:15], -v[16:17]
	ds_load_b128 v[133:136], v1 offset:928
	scratch_load_b128 v[14:17], off, off offset:416
	v_add_f64_e32 v[145:146], v[151:152], v[149:150]
	v_add_f64_e32 v[137:138], v[137:138], v[147:148]
	v_fma_f64 v[143:144], v[4:5], v[18:19], v[143:144]
	v_fma_f64 v[149:150], v[2:3], v[18:19], -v[20:21]
	ds_load_b128 v[2:5], v1 offset:944
	s_wait_loadcnt_dscnt 0x801
	v_mul_f64_e32 v[147:148], v[133:134], v[24:25]
	v_mul_f64_e32 v[24:25], v[135:136], v[24:25]
	scratch_load_b128 v[18:21], off, off offset:432
	s_wait_loadcnt_dscnt 0x800
	v_mul_f64_e32 v[151:152], v[2:3], v[28:29]
	v_mul_f64_e32 v[28:29], v[4:5], v[28:29]
	v_add_f64_e32 v[145:146], v[145:146], v[139:140]
	v_add_f64_e32 v[141:142], v[137:138], v[141:142]
	ds_load_b128 v[137:140], v1 offset:960
	v_fma_f64 v[135:136], v[135:136], v[22:23], v[147:148]
	v_fma_f64 v[133:134], v[133:134], v[22:23], -v[24:25]
	scratch_load_b128 v[22:25], off, off offset:448
	v_fma_f64 v[147:148], v[4:5], v[26:27], v[151:152]
	v_add_f64_e32 v[145:146], v[145:146], v[149:150]
	v_add_f64_e32 v[141:142], v[141:142], v[143:144]
	v_fma_f64 v[149:150], v[2:3], v[26:27], -v[28:29]
	ds_load_b128 v[2:5], v1 offset:976
	s_wait_loadcnt_dscnt 0x801
	v_mul_f64_e32 v[143:144], v[137:138], v[32:33]
	v_mul_f64_e32 v[32:33], v[139:140], v[32:33]
	scratch_load_b128 v[26:29], off, off offset:464
	s_wait_loadcnt_dscnt 0x800
	v_mul_f64_e32 v[151:152], v[2:3], v[36:37]
	v_mul_f64_e32 v[36:37], v[4:5], v[36:37]
	v_add_f64_e32 v[145:146], v[145:146], v[133:134]
	v_add_f64_e32 v[141:142], v[141:142], v[135:136]
	ds_load_b128 v[133:136], v1 offset:992
	v_fma_f64 v[139:140], v[139:140], v[30:31], v[143:144]
	v_fma_f64 v[137:138], v[137:138], v[30:31], -v[32:33]
	scratch_load_b128 v[30:33], off, off offset:480
	v_add_f64_e32 v[143:144], v[145:146], v[149:150]
	v_add_f64_e32 v[141:142], v[141:142], v[147:148]
	v_fma_f64 v[147:148], v[4:5], v[34:35], v[151:152]
	v_fma_f64 v[149:150], v[2:3], v[34:35], -v[36:37]
	ds_load_b128 v[2:5], v1 offset:1008
	s_wait_loadcnt_dscnt 0x801
	v_mul_f64_e32 v[145:146], v[133:134], v[131:132]
	v_mul_f64_e32 v[131:132], v[135:136], v[131:132]
	scratch_load_b128 v[34:37], off, off offset:496
	s_wait_loadcnt_dscnt 0x800
	v_mul_f64_e32 v[151:152], v[2:3], v[40:41]
	v_mul_f64_e32 v[40:41], v[4:5], v[40:41]
	v_add_f64_e32 v[143:144], v[143:144], v[137:138]
	v_add_f64_e32 v[141:142], v[141:142], v[139:140]
	ds_load_b128 v[137:140], v1 offset:1024
	v_fma_f64 v[135:136], v[135:136], v[129:130], v[145:146]
	v_fma_f64 v[133:134], v[133:134], v[129:130], -v[131:132]
	scratch_load_b128 v[129:132], off, off offset:512
	v_add_f64_e32 v[143:144], v[143:144], v[149:150]
	v_add_f64_e32 v[141:142], v[141:142], v[147:148]
	v_fma_f64 v[147:148], v[4:5], v[38:39], v[151:152]
	;; [unrolled: 18-line block ×6, first 2 shown]
	v_fma_f64 v[151:152], v[2:3], v[34:35], -v[36:37]
	ds_load_b128 v[2:5], v1 offset:1168
	s_wait_loadcnt_dscnt 0x801
	v_mul_f64_e32 v[145:146], v[137:138], v[131:132]
	v_mul_f64_e32 v[147:148], v[139:140], v[131:132]
	scratch_load_b128 v[34:37], off, off offset:656
	v_add_f64_e32 v[143:144], v[143:144], v[133:134]
	v_add_f64_e32 v[135:136], v[141:142], v[135:136]
	s_wait_loadcnt_dscnt 0x800
	v_mul_f64_e32 v[141:142], v[2:3], v[40:41]
	v_mul_f64_e32 v[40:41], v[4:5], v[40:41]
	ds_load_b128 v[131:134], v1 offset:1184
	v_fma_f64 v[139:140], v[139:140], v[129:130], v[145:146]
	v_fma_f64 v[129:130], v[137:138], v[129:130], -v[147:148]
	v_add_f64_e32 v[137:138], v[143:144], v[151:152]
	v_add_f64_e32 v[135:136], v[135:136], v[149:150]
	s_wait_loadcnt_dscnt 0x700
	v_mul_f64_e32 v[143:144], v[131:132], v[8:9]
	v_mul_f64_e32 v[8:9], v[133:134], v[8:9]
	v_fma_f64 v[141:142], v[4:5], v[38:39], v[141:142]
	v_fma_f64 v[145:146], v[2:3], v[38:39], -v[40:41]
	ds_load_b128 v[2:5], v1 offset:1200
	ds_load_b128 v[38:41], v1 offset:1216
	v_add_f64_e32 v[129:130], v[137:138], v[129:130]
	v_add_f64_e32 v[135:136], v[135:136], v[139:140]
	s_wait_loadcnt_dscnt 0x601
	v_mul_f64_e32 v[137:138], v[2:3], v[12:13]
	v_mul_f64_e32 v[12:13], v[4:5], v[12:13]
	v_fma_f64 v[133:134], v[133:134], v[6:7], v[143:144]
	v_fma_f64 v[6:7], v[131:132], v[6:7], -v[8:9]
	s_wait_loadcnt_dscnt 0x500
	v_mul_f64_e32 v[131:132], v[38:39], v[16:17]
	v_mul_f64_e32 v[16:17], v[40:41], v[16:17]
	v_add_f64_e32 v[8:9], v[129:130], v[145:146]
	v_add_f64_e32 v[129:130], v[135:136], v[141:142]
	v_fma_f64 v[135:136], v[4:5], v[10:11], v[137:138]
	v_fma_f64 v[10:11], v[2:3], v[10:11], -v[12:13]
	v_fma_f64 v[40:41], v[40:41], v[14:15], v[131:132]
	v_fma_f64 v[14:15], v[38:39], v[14:15], -v[16:17]
	v_add_f64_e32 v[12:13], v[8:9], v[6:7]
	v_add_f64_e32 v[129:130], v[129:130], v[133:134]
	ds_load_b128 v[2:5], v1 offset:1232
	ds_load_b128 v[6:9], v1 offset:1248
	s_wait_loadcnt_dscnt 0x401
	v_mul_f64_e32 v[133:134], v[2:3], v[20:21]
	v_mul_f64_e32 v[20:21], v[4:5], v[20:21]
	s_wait_loadcnt_dscnt 0x300
	v_mul_f64_e32 v[16:17], v[6:7], v[24:25]
	v_mul_f64_e32 v[24:25], v[8:9], v[24:25]
	v_add_f64_e32 v[10:11], v[12:13], v[10:11]
	v_add_f64_e32 v[12:13], v[129:130], v[135:136]
	v_fma_f64 v[38:39], v[4:5], v[18:19], v[133:134]
	v_fma_f64 v[18:19], v[2:3], v[18:19], -v[20:21]
	v_fma_f64 v[8:9], v[8:9], v[22:23], v[16:17]
	v_fma_f64 v[6:7], v[6:7], v[22:23], -v[24:25]
	v_add_f64_e32 v[14:15], v[10:11], v[14:15]
	v_add_f64_e32 v[20:21], v[12:13], v[40:41]
	ds_load_b128 v[2:5], v1 offset:1264
	ds_load_b128 v[10:13], v1 offset:1280
	s_wait_loadcnt_dscnt 0x201
	v_mul_f64_e32 v[40:41], v[2:3], v[28:29]
	v_mul_f64_e32 v[28:29], v[4:5], v[28:29]
	v_add_f64_e32 v[14:15], v[14:15], v[18:19]
	v_add_f64_e32 v[16:17], v[20:21], v[38:39]
	s_wait_loadcnt_dscnt 0x100
	v_mul_f64_e32 v[18:19], v[10:11], v[32:33]
	v_mul_f64_e32 v[20:21], v[12:13], v[32:33]
	v_fma_f64 v[22:23], v[4:5], v[26:27], v[40:41]
	v_fma_f64 v[24:25], v[2:3], v[26:27], -v[28:29]
	ds_load_b128 v[2:5], v1 offset:1296
	v_add_f64_e32 v[6:7], v[14:15], v[6:7]
	v_add_f64_e32 v[8:9], v[16:17], v[8:9]
	v_fma_f64 v[12:13], v[12:13], v[30:31], v[18:19]
	v_fma_f64 v[10:11], v[10:11], v[30:31], -v[20:21]
	s_wait_loadcnt_dscnt 0x0
	v_mul_f64_e32 v[14:15], v[2:3], v[36:37]
	v_mul_f64_e32 v[16:17], v[4:5], v[36:37]
	v_add_f64_e32 v[6:7], v[6:7], v[24:25]
	v_add_f64_e32 v[8:9], v[8:9], v[22:23]
	s_delay_alu instid0(VALU_DEP_4) | instskip(NEXT) | instid1(VALU_DEP_4)
	v_fma_f64 v[4:5], v[4:5], v[34:35], v[14:15]
	v_fma_f64 v[2:3], v[2:3], v[34:35], -v[16:17]
	s_delay_alu instid0(VALU_DEP_4) | instskip(NEXT) | instid1(VALU_DEP_4)
	v_add_f64_e32 v[6:7], v[6:7], v[10:11]
	v_add_f64_e32 v[8:9], v[8:9], v[12:13]
	s_delay_alu instid0(VALU_DEP_2) | instskip(NEXT) | instid1(VALU_DEP_2)
	v_add_f64_e32 v[2:3], v[6:7], v[2:3]
	v_add_f64_e32 v[4:5], v[8:9], v[4:5]
	s_delay_alu instid0(VALU_DEP_2) | instskip(NEXT) | instid1(VALU_DEP_2)
	v_add_f64_e64 v[2:3], v[42:43], -v[2:3]
	v_add_f64_e64 v[4:5], v[44:45], -v[4:5]
	scratch_store_b128 off, v[2:5], off offset:32
	v_cmpx_ne_u32_e32 0, v0
	s_cbranch_execz .LBB104_259
; %bb.258:
	scratch_load_b128 v[5:8], off, off offset:16
	v_dual_mov_b32 v2, v1 :: v_dual_mov_b32 v3, v1
	v_mov_b32_e32 v4, v1
	scratch_store_b128 off, v[1:4], off offset:16
	s_wait_loadcnt 0x0
	ds_store_b128 v128, v[5:8]
.LBB104_259:
	s_wait_alu 0xfffe
	s_or_b32 exec_lo, exec_lo, s0
	s_wait_storecnt_dscnt 0x0
	s_barrier_signal -1
	s_barrier_wait -1
	global_inv scope:SCOPE_SE
	s_clause 0x8
	scratch_load_b128 v[2:5], off, off offset:32
	scratch_load_b128 v[6:9], off, off offset:48
	scratch_load_b128 v[10:13], off, off offset:64
	scratch_load_b128 v[14:17], off, off offset:80
	scratch_load_b128 v[18:21], off, off offset:96
	scratch_load_b128 v[22:25], off, off offset:112
	scratch_load_b128 v[26:29], off, off offset:128
	scratch_load_b128 v[30:33], off, off offset:144
	scratch_load_b128 v[34:37], off, off offset:160
	ds_load_b128 v[42:45], v1 offset:672
	ds_load_b128 v[38:41], v1 offset:688
	s_clause 0x1
	scratch_load_b128 v[128:131], off, off offset:16
	scratch_load_b128 v[132:135], off, off offset:176
	s_and_b32 vcc_lo, exec_lo, s12
	s_wait_loadcnt_dscnt 0xa01
	v_mul_f64_e32 v[136:137], v[44:45], v[4:5]
	v_mul_f64_e32 v[4:5], v[42:43], v[4:5]
	s_wait_loadcnt_dscnt 0x900
	v_mul_f64_e32 v[140:141], v[38:39], v[8:9]
	v_mul_f64_e32 v[8:9], v[40:41], v[8:9]
	s_delay_alu instid0(VALU_DEP_4) | instskip(NEXT) | instid1(VALU_DEP_4)
	v_fma_f64 v[142:143], v[42:43], v[2:3], -v[136:137]
	v_fma_f64 v[144:145], v[44:45], v[2:3], v[4:5]
	ds_load_b128 v[2:5], v1 offset:704
	ds_load_b128 v[136:139], v1 offset:720
	scratch_load_b128 v[42:45], off, off offset:192
	v_fma_f64 v[40:41], v[40:41], v[6:7], v[140:141]
	v_fma_f64 v[38:39], v[38:39], v[6:7], -v[8:9]
	scratch_load_b128 v[6:9], off, off offset:208
	s_wait_loadcnt_dscnt 0xa01
	v_mul_f64_e32 v[146:147], v[2:3], v[12:13]
	v_mul_f64_e32 v[12:13], v[4:5], v[12:13]
	v_add_f64_e32 v[140:141], 0, v[142:143]
	v_add_f64_e32 v[142:143], 0, v[144:145]
	s_wait_loadcnt_dscnt 0x900
	v_mul_f64_e32 v[144:145], v[136:137], v[16:17]
	v_mul_f64_e32 v[16:17], v[138:139], v[16:17]
	v_fma_f64 v[146:147], v[4:5], v[10:11], v[146:147]
	v_fma_f64 v[148:149], v[2:3], v[10:11], -v[12:13]
	ds_load_b128 v[2:5], v1 offset:736
	scratch_load_b128 v[10:13], off, off offset:224
	v_add_f64_e32 v[140:141], v[140:141], v[38:39]
	v_add_f64_e32 v[142:143], v[142:143], v[40:41]
	ds_load_b128 v[38:41], v1 offset:752
	v_fma_f64 v[138:139], v[138:139], v[14:15], v[144:145]
	v_fma_f64 v[136:137], v[136:137], v[14:15], -v[16:17]
	scratch_load_b128 v[14:17], off, off offset:240
	s_wait_loadcnt_dscnt 0xa01
	v_mul_f64_e32 v[150:151], v[2:3], v[20:21]
	v_mul_f64_e32 v[20:21], v[4:5], v[20:21]
	s_wait_loadcnt_dscnt 0x900
	v_mul_f64_e32 v[144:145], v[38:39], v[24:25]
	v_mul_f64_e32 v[24:25], v[40:41], v[24:25]
	v_add_f64_e32 v[140:141], v[140:141], v[148:149]
	v_add_f64_e32 v[142:143], v[142:143], v[146:147]
	v_fma_f64 v[146:147], v[4:5], v[18:19], v[150:151]
	v_fma_f64 v[148:149], v[2:3], v[18:19], -v[20:21]
	ds_load_b128 v[2:5], v1 offset:768
	scratch_load_b128 v[18:21], off, off offset:256
	v_fma_f64 v[40:41], v[40:41], v[22:23], v[144:145]
	v_fma_f64 v[38:39], v[38:39], v[22:23], -v[24:25]
	scratch_load_b128 v[22:25], off, off offset:272
	v_add_f64_e32 v[140:141], v[140:141], v[136:137]
	v_add_f64_e32 v[142:143], v[142:143], v[138:139]
	ds_load_b128 v[136:139], v1 offset:784
	s_wait_loadcnt_dscnt 0xa01
	v_mul_f64_e32 v[150:151], v[2:3], v[28:29]
	v_mul_f64_e32 v[28:29], v[4:5], v[28:29]
	s_wait_loadcnt_dscnt 0x900
	v_mul_f64_e32 v[144:145], v[136:137], v[32:33]
	v_mul_f64_e32 v[32:33], v[138:139], v[32:33]
	v_add_f64_e32 v[140:141], v[140:141], v[148:149]
	v_add_f64_e32 v[142:143], v[142:143], v[146:147]
	v_fma_f64 v[146:147], v[4:5], v[26:27], v[150:151]
	v_fma_f64 v[148:149], v[2:3], v[26:27], -v[28:29]
	ds_load_b128 v[2:5], v1 offset:800
	scratch_load_b128 v[26:29], off, off offset:288
	v_fma_f64 v[138:139], v[138:139], v[30:31], v[144:145]
	v_fma_f64 v[136:137], v[136:137], v[30:31], -v[32:33]
	scratch_load_b128 v[30:33], off, off offset:304
	v_add_f64_e32 v[140:141], v[140:141], v[38:39]
	v_add_f64_e32 v[142:143], v[142:143], v[40:41]
	ds_load_b128 v[38:41], v1 offset:816
	s_wait_loadcnt_dscnt 0xa01
	v_mul_f64_e32 v[150:151], v[2:3], v[36:37]
	v_mul_f64_e32 v[36:37], v[4:5], v[36:37]
	s_wait_loadcnt_dscnt 0x800
	v_mul_f64_e32 v[144:145], v[38:39], v[134:135]
	v_add_f64_e32 v[140:141], v[140:141], v[148:149]
	v_add_f64_e32 v[142:143], v[142:143], v[146:147]
	v_mul_f64_e32 v[146:147], v[40:41], v[134:135]
	v_fma_f64 v[148:149], v[4:5], v[34:35], v[150:151]
	v_fma_f64 v[150:151], v[2:3], v[34:35], -v[36:37]
	ds_load_b128 v[2:5], v1 offset:832
	scratch_load_b128 v[34:37], off, off offset:320
	v_fma_f64 v[144:145], v[40:41], v[132:133], v[144:145]
	v_add_f64_e32 v[140:141], v[140:141], v[136:137]
	v_add_f64_e32 v[138:139], v[142:143], v[138:139]
	ds_load_b128 v[134:137], v1 offset:848
	v_fma_f64 v[132:133], v[38:39], v[132:133], -v[146:147]
	scratch_load_b128 v[38:41], off, off offset:336
	s_wait_loadcnt_dscnt 0x901
	v_mul_f64_e32 v[142:143], v[2:3], v[44:45]
	v_mul_f64_e32 v[44:45], v[4:5], v[44:45]
	s_wait_loadcnt_dscnt 0x800
	v_mul_f64_e32 v[146:147], v[134:135], v[8:9]
	v_mul_f64_e32 v[8:9], v[136:137], v[8:9]
	v_add_f64_e32 v[140:141], v[140:141], v[150:151]
	v_add_f64_e32 v[138:139], v[138:139], v[148:149]
	v_fma_f64 v[142:143], v[4:5], v[42:43], v[142:143]
	v_fma_f64 v[148:149], v[2:3], v[42:43], -v[44:45]
	ds_load_b128 v[2:5], v1 offset:864
	scratch_load_b128 v[42:45], off, off offset:352
	v_fma_f64 v[136:137], v[136:137], v[6:7], v[146:147]
	v_fma_f64 v[134:135], v[134:135], v[6:7], -v[8:9]
	scratch_load_b128 v[6:9], off, off offset:368
	v_add_f64_e32 v[132:133], v[140:141], v[132:133]
	v_add_f64_e32 v[144:145], v[138:139], v[144:145]
	ds_load_b128 v[138:141], v1 offset:880
	s_wait_loadcnt_dscnt 0x901
	v_mul_f64_e32 v[150:151], v[2:3], v[12:13]
	v_mul_f64_e32 v[12:13], v[4:5], v[12:13]
	v_add_f64_e32 v[132:133], v[132:133], v[148:149]
	v_add_f64_e32 v[142:143], v[144:145], v[142:143]
	s_wait_loadcnt_dscnt 0x800
	v_mul_f64_e32 v[144:145], v[138:139], v[16:17]
	v_mul_f64_e32 v[16:17], v[140:141], v[16:17]
	v_fma_f64 v[146:147], v[4:5], v[10:11], v[150:151]
	v_fma_f64 v[148:149], v[2:3], v[10:11], -v[12:13]
	ds_load_b128 v[2:5], v1 offset:896
	scratch_load_b128 v[10:13], off, off offset:384
	v_add_f64_e32 v[150:151], v[132:133], v[134:135]
	v_add_f64_e32 v[136:137], v[142:143], v[136:137]
	ds_load_b128 v[132:135], v1 offset:912
	s_wait_loadcnt_dscnt 0x801
	v_mul_f64_e32 v[142:143], v[2:3], v[20:21]
	v_mul_f64_e32 v[20:21], v[4:5], v[20:21]
	v_fma_f64 v[140:141], v[140:141], v[14:15], v[144:145]
	v_fma_f64 v[138:139], v[138:139], v[14:15], -v[16:17]
	scratch_load_b128 v[14:17], off, off offset:400
	v_add_f64_e32 v[144:145], v[150:151], v[148:149]
	v_add_f64_e32 v[136:137], v[136:137], v[146:147]
	s_wait_loadcnt_dscnt 0x800
	v_mul_f64_e32 v[146:147], v[132:133], v[24:25]
	v_mul_f64_e32 v[24:25], v[134:135], v[24:25]
	v_fma_f64 v[142:143], v[4:5], v[18:19], v[142:143]
	v_fma_f64 v[148:149], v[2:3], v[18:19], -v[20:21]
	ds_load_b128 v[2:5], v1 offset:928
	scratch_load_b128 v[18:21], off, off offset:416
	v_add_f64_e32 v[144:145], v[144:145], v[138:139]
	v_add_f64_e32 v[140:141], v[136:137], v[140:141]
	ds_load_b128 v[136:139], v1 offset:944
	s_wait_loadcnt_dscnt 0x801
	v_mul_f64_e32 v[150:151], v[2:3], v[28:29]
	v_mul_f64_e32 v[28:29], v[4:5], v[28:29]
	v_fma_f64 v[134:135], v[134:135], v[22:23], v[146:147]
	v_fma_f64 v[132:133], v[132:133], v[22:23], -v[24:25]
	scratch_load_b128 v[22:25], off, off offset:432
	;; [unrolled: 18-line block ×4, first 2 shown]
	s_wait_loadcnt_dscnt 0x800
	v_mul_f64_e32 v[144:145], v[136:137], v[8:9]
	v_mul_f64_e32 v[8:9], v[138:139], v[8:9]
	v_add_f64_e32 v[142:143], v[142:143], v[148:149]
	v_add_f64_e32 v[140:141], v[140:141], v[146:147]
	v_fma_f64 v[146:147], v[4:5], v[42:43], v[150:151]
	v_fma_f64 v[148:149], v[2:3], v[42:43], -v[44:45]
	ds_load_b128 v[2:5], v1 offset:1024
	scratch_load_b128 v[42:45], off, off offset:512
	v_fma_f64 v[138:139], v[138:139], v[6:7], v[144:145]
	v_fma_f64 v[136:137], v[136:137], v[6:7], -v[8:9]
	scratch_load_b128 v[6:9], off, off offset:528
	v_add_f64_e32 v[142:143], v[142:143], v[132:133]
	v_add_f64_e32 v[140:141], v[140:141], v[134:135]
	ds_load_b128 v[132:135], v1 offset:1040
	s_wait_loadcnt_dscnt 0x901
	v_mul_f64_e32 v[150:151], v[2:3], v[12:13]
	v_mul_f64_e32 v[12:13], v[4:5], v[12:13]
	s_wait_loadcnt_dscnt 0x800
	v_mul_f64_e32 v[144:145], v[132:133], v[16:17]
	v_mul_f64_e32 v[16:17], v[134:135], v[16:17]
	v_add_f64_e32 v[142:143], v[142:143], v[148:149]
	v_add_f64_e32 v[140:141], v[140:141], v[146:147]
	v_fma_f64 v[146:147], v[4:5], v[10:11], v[150:151]
	v_fma_f64 v[148:149], v[2:3], v[10:11], -v[12:13]
	ds_load_b128 v[2:5], v1 offset:1056
	scratch_load_b128 v[10:13], off, off offset:544
	v_fma_f64 v[134:135], v[134:135], v[14:15], v[144:145]
	v_fma_f64 v[132:133], v[132:133], v[14:15], -v[16:17]
	scratch_load_b128 v[14:17], off, off offset:560
	v_add_f64_e32 v[142:143], v[142:143], v[136:137]
	v_add_f64_e32 v[140:141], v[140:141], v[138:139]
	ds_load_b128 v[136:139], v1 offset:1072
	s_wait_loadcnt_dscnt 0x901
	v_mul_f64_e32 v[150:151], v[2:3], v[20:21]
	v_mul_f64_e32 v[20:21], v[4:5], v[20:21]
	;; [unrolled: 18-line block ×5, first 2 shown]
	s_wait_loadcnt_dscnt 0x800
	v_mul_f64_e32 v[144:145], v[132:133], v[8:9]
	v_mul_f64_e32 v[8:9], v[134:135], v[8:9]
	v_add_f64_e32 v[142:143], v[142:143], v[148:149]
	v_add_f64_e32 v[140:141], v[140:141], v[146:147]
	v_fma_f64 v[146:147], v[4:5], v[42:43], v[150:151]
	v_fma_f64 v[148:149], v[2:3], v[42:43], -v[44:45]
	ds_load_b128 v[2:5], v1 offset:1184
	ds_load_b128 v[42:45], v1 offset:1200
	v_fma_f64 v[134:135], v[134:135], v[6:7], v[144:145]
	v_fma_f64 v[6:7], v[132:133], v[6:7], -v[8:9]
	v_add_f64_e32 v[136:137], v[142:143], v[136:137]
	v_add_f64_e32 v[138:139], v[140:141], v[138:139]
	s_wait_loadcnt_dscnt 0x701
	v_mul_f64_e32 v[140:141], v[2:3], v[12:13]
	v_mul_f64_e32 v[12:13], v[4:5], v[12:13]
	s_delay_alu instid0(VALU_DEP_4) | instskip(NEXT) | instid1(VALU_DEP_4)
	v_add_f64_e32 v[8:9], v[136:137], v[148:149]
	v_add_f64_e32 v[132:133], v[138:139], v[146:147]
	s_wait_loadcnt_dscnt 0x600
	v_mul_f64_e32 v[136:137], v[42:43], v[16:17]
	v_mul_f64_e32 v[16:17], v[44:45], v[16:17]
	v_fma_f64 v[138:139], v[4:5], v[10:11], v[140:141]
	v_fma_f64 v[10:11], v[2:3], v[10:11], -v[12:13]
	v_add_f64_e32 v[12:13], v[8:9], v[6:7]
	v_add_f64_e32 v[132:133], v[132:133], v[134:135]
	ds_load_b128 v[2:5], v1 offset:1216
	ds_load_b128 v[6:9], v1 offset:1232
	v_fma_f64 v[44:45], v[44:45], v[14:15], v[136:137]
	v_fma_f64 v[14:15], v[42:43], v[14:15], -v[16:17]
	s_wait_loadcnt_dscnt 0x501
	v_mul_f64_e32 v[134:135], v[2:3], v[20:21]
	v_mul_f64_e32 v[20:21], v[4:5], v[20:21]
	s_wait_loadcnt_dscnt 0x400
	v_mul_f64_e32 v[16:17], v[6:7], v[24:25]
	v_mul_f64_e32 v[24:25], v[8:9], v[24:25]
	v_add_f64_e32 v[10:11], v[12:13], v[10:11]
	v_add_f64_e32 v[12:13], v[132:133], v[138:139]
	v_fma_f64 v[42:43], v[4:5], v[18:19], v[134:135]
	v_fma_f64 v[18:19], v[2:3], v[18:19], -v[20:21]
	v_fma_f64 v[8:9], v[8:9], v[22:23], v[16:17]
	v_fma_f64 v[6:7], v[6:7], v[22:23], -v[24:25]
	v_add_f64_e32 v[14:15], v[10:11], v[14:15]
	v_add_f64_e32 v[20:21], v[12:13], v[44:45]
	ds_load_b128 v[2:5], v1 offset:1248
	ds_load_b128 v[10:13], v1 offset:1264
	s_wait_loadcnt_dscnt 0x301
	v_mul_f64_e32 v[44:45], v[2:3], v[28:29]
	v_mul_f64_e32 v[28:29], v[4:5], v[28:29]
	v_add_f64_e32 v[14:15], v[14:15], v[18:19]
	v_add_f64_e32 v[16:17], v[20:21], v[42:43]
	s_wait_loadcnt_dscnt 0x200
	v_mul_f64_e32 v[18:19], v[10:11], v[32:33]
	v_mul_f64_e32 v[20:21], v[12:13], v[32:33]
	v_fma_f64 v[22:23], v[4:5], v[26:27], v[44:45]
	v_fma_f64 v[24:25], v[2:3], v[26:27], -v[28:29]
	v_add_f64_e32 v[14:15], v[14:15], v[6:7]
	v_add_f64_e32 v[16:17], v[16:17], v[8:9]
	ds_load_b128 v[2:5], v1 offset:1280
	ds_load_b128 v[6:9], v1 offset:1296
	v_fma_f64 v[12:13], v[12:13], v[30:31], v[18:19]
	v_fma_f64 v[10:11], v[10:11], v[30:31], -v[20:21]
	s_wait_loadcnt_dscnt 0x101
	v_mul_f64_e32 v[0:1], v[2:3], v[36:37]
	v_mul_f64_e32 v[26:27], v[4:5], v[36:37]
	s_wait_loadcnt_dscnt 0x0
	v_mul_f64_e32 v[18:19], v[6:7], v[40:41]
	v_mul_f64_e32 v[20:21], v[8:9], v[40:41]
	v_add_f64_e32 v[14:15], v[14:15], v[24:25]
	v_add_f64_e32 v[16:17], v[16:17], v[22:23]
	v_fma_f64 v[0:1], v[4:5], v[34:35], v[0:1]
	v_fma_f64 v[2:3], v[2:3], v[34:35], -v[26:27]
	v_fma_f64 v[8:9], v[8:9], v[38:39], v[18:19]
	v_fma_f64 v[6:7], v[6:7], v[38:39], -v[20:21]
	v_add_f64_e32 v[4:5], v[14:15], v[10:11]
	v_add_f64_e32 v[10:11], v[16:17], v[12:13]
	s_delay_alu instid0(VALU_DEP_2) | instskip(NEXT) | instid1(VALU_DEP_2)
	v_add_f64_e32 v[2:3], v[4:5], v[2:3]
	v_add_f64_e32 v[0:1], v[10:11], v[0:1]
	s_delay_alu instid0(VALU_DEP_2) | instskip(NEXT) | instid1(VALU_DEP_2)
	;; [unrolled: 3-line block ×3, first 2 shown]
	v_add_f64_e64 v[0:1], v[128:129], -v[2:3]
	v_add_f64_e64 v[2:3], v[130:131], -v[4:5]
	scratch_store_b128 off, v[0:3], off offset:16
	s_wait_alu 0xfffe
	s_cbranch_vccz .LBB104_340
; %bb.260:
	v_mov_b32_e32 v0, 0
	global_load_b32 v1, v0, s[2:3] offset:156
	s_wait_loadcnt 0x0
	v_cmp_ne_u32_e32 vcc_lo, 40, v1
	s_cbranch_vccz .LBB104_262
; %bb.261:
	v_lshlrev_b32_e32 v1, 4, v1
	s_delay_alu instid0(VALU_DEP_1)
	v_add_nc_u32_e32 v9, 16, v1
	s_clause 0x1
	scratch_load_b128 v[1:4], v9, off offset:-16
	scratch_load_b128 v[5:8], off, s47
	s_wait_loadcnt 0x1
	scratch_store_b128 off, v[1:4], s47
	s_wait_loadcnt 0x0
	scratch_store_b128 v9, v[5:8], off offset:-16
.LBB104_262:
	global_load_b32 v0, v0, s[2:3] offset:152
	s_wait_loadcnt 0x0
	v_cmp_eq_u32_e32 vcc_lo, 39, v0
	s_cbranch_vccnz .LBB104_264
; %bb.263:
	v_lshlrev_b32_e32 v0, 4, v0
	s_delay_alu instid0(VALU_DEP_1)
	v_add_nc_u32_e32 v8, 16, v0
	s_clause 0x1
	scratch_load_b128 v[0:3], v8, off offset:-16
	scratch_load_b128 v[4:7], off, s26
	s_wait_loadcnt 0x1
	scratch_store_b128 off, v[0:3], s26
	s_wait_loadcnt 0x0
	scratch_store_b128 v8, v[4:7], off offset:-16
.LBB104_264:
	v_mov_b32_e32 v0, 0
	global_load_b32 v1, v0, s[2:3] offset:148
	s_wait_loadcnt 0x0
	v_cmp_eq_u32_e32 vcc_lo, 38, v1
	s_cbranch_vccnz .LBB104_266
; %bb.265:
	v_lshlrev_b32_e32 v1, 4, v1
	s_delay_alu instid0(VALU_DEP_1)
	v_add_nc_u32_e32 v9, 16, v1
	s_clause 0x1
	scratch_load_b128 v[1:4], v9, off offset:-16
	scratch_load_b128 v[5:8], off, s46
	s_wait_loadcnt 0x1
	scratch_store_b128 off, v[1:4], s46
	s_wait_loadcnt 0x0
	scratch_store_b128 v9, v[5:8], off offset:-16
.LBB104_266:
	global_load_b32 v0, v0, s[2:3] offset:144
	s_wait_loadcnt 0x0
	v_cmp_eq_u32_e32 vcc_lo, 37, v0
	s_cbranch_vccnz .LBB104_268
; %bb.267:
	v_lshlrev_b32_e32 v0, 4, v0
	s_delay_alu instid0(VALU_DEP_1)
	v_add_nc_u32_e32 v8, 16, v0
	s_clause 0x1
	scratch_load_b128 v[0:3], v8, off offset:-16
	scratch_load_b128 v[4:7], off, s25
	s_wait_loadcnt 0x1
	scratch_store_b128 off, v[0:3], s25
	s_wait_loadcnt 0x0
	scratch_store_b128 v8, v[4:7], off offset:-16
.LBB104_268:
	v_mov_b32_e32 v0, 0
	global_load_b32 v1, v0, s[2:3] offset:140
	s_wait_loadcnt 0x0
	v_cmp_eq_u32_e32 vcc_lo, 36, v1
	s_cbranch_vccnz .LBB104_270
; %bb.269:
	v_lshlrev_b32_e32 v1, 4, v1
	s_delay_alu instid0(VALU_DEP_1)
	v_add_nc_u32_e32 v9, 16, v1
	s_clause 0x1
	scratch_load_b128 v[1:4], v9, off offset:-16
	scratch_load_b128 v[5:8], off, s45
	s_wait_loadcnt 0x1
	scratch_store_b128 off, v[1:4], s45
	s_wait_loadcnt 0x0
	scratch_store_b128 v9, v[5:8], off offset:-16
.LBB104_270:
	;; [unrolled: 33-line block ×19, first 2 shown]
	global_load_b32 v0, v0, s[2:3]
	s_wait_loadcnt 0x0
	v_cmp_eq_u32_e32 vcc_lo, 1, v0
	s_cbranch_vccnz .LBB104_340
; %bb.339:
	v_lshlrev_b32_e32 v0, 4, v0
	s_delay_alu instid0(VALU_DEP_1)
	v_add_nc_u32_e32 v8, 16, v0
	scratch_load_b128 v[0:3], v8, off offset:-16
	scratch_load_b128 v[4:7], off, off offset:16
	s_wait_loadcnt 0x1
	scratch_store_b128 off, v[0:3], off offset:16
	s_wait_loadcnt 0x0
	scratch_store_b128 v8, v[4:7], off offset:-16
.LBB104_340:
	scratch_load_b128 v[0:3], off, off offset:16
	s_wait_loadcnt 0x0
	flat_store_b128 v[46:47], v[0:3]
	scratch_load_b128 v[0:3], off, s49
	s_wait_loadcnt 0x0
	flat_store_b128 v[48:49], v[0:3]
	scratch_load_b128 v[0:3], off, s48
	;; [unrolled: 3-line block ×40, first 2 shown]
	s_wait_loadcnt 0x0
	flat_store_b128 v[126:127], v[0:3]
	s_nop 0
	s_sendmsg sendmsg(MSG_DEALLOC_VGPRS)
	s_endpgm
	.section	.rodata,"a",@progbits
	.p2align	6, 0x0
	.amdhsa_kernel _ZN9rocsolver6v33100L18getri_kernel_smallILi41E19rocblas_complex_numIdEPKPS3_EEvT1_iilPiilS8_bb
		.amdhsa_group_segment_fixed_size 1320
		.amdhsa_private_segment_fixed_size 688
		.amdhsa_kernarg_size 60
		.amdhsa_user_sgpr_count 2
		.amdhsa_user_sgpr_dispatch_ptr 0
		.amdhsa_user_sgpr_queue_ptr 0
		.amdhsa_user_sgpr_kernarg_segment_ptr 1
		.amdhsa_user_sgpr_dispatch_id 0
		.amdhsa_user_sgpr_private_segment_size 0
		.amdhsa_wavefront_size32 1
		.amdhsa_uses_dynamic_stack 0
		.amdhsa_enable_private_segment 1
		.amdhsa_system_sgpr_workgroup_id_x 1
		.amdhsa_system_sgpr_workgroup_id_y 0
		.amdhsa_system_sgpr_workgroup_id_z 0
		.amdhsa_system_sgpr_workgroup_info 0
		.amdhsa_system_vgpr_workitem_id 0
		.amdhsa_next_free_vgpr 155
		.amdhsa_next_free_sgpr 53
		.amdhsa_reserve_vcc 1
		.amdhsa_float_round_mode_32 0
		.amdhsa_float_round_mode_16_64 0
		.amdhsa_float_denorm_mode_32 3
		.amdhsa_float_denorm_mode_16_64 3
		.amdhsa_fp16_overflow 0
		.amdhsa_workgroup_processor_mode 1
		.amdhsa_memory_ordered 1
		.amdhsa_forward_progress 1
		.amdhsa_inst_pref_size 255
		.amdhsa_round_robin_scheduling 0
		.amdhsa_exception_fp_ieee_invalid_op 0
		.amdhsa_exception_fp_denorm_src 0
		.amdhsa_exception_fp_ieee_div_zero 0
		.amdhsa_exception_fp_ieee_overflow 0
		.amdhsa_exception_fp_ieee_underflow 0
		.amdhsa_exception_fp_ieee_inexact 0
		.amdhsa_exception_int_div_zero 0
	.end_amdhsa_kernel
	.section	.text._ZN9rocsolver6v33100L18getri_kernel_smallILi41E19rocblas_complex_numIdEPKPS3_EEvT1_iilPiilS8_bb,"axG",@progbits,_ZN9rocsolver6v33100L18getri_kernel_smallILi41E19rocblas_complex_numIdEPKPS3_EEvT1_iilPiilS8_bb,comdat
.Lfunc_end104:
	.size	_ZN9rocsolver6v33100L18getri_kernel_smallILi41E19rocblas_complex_numIdEPKPS3_EEvT1_iilPiilS8_bb, .Lfunc_end104-_ZN9rocsolver6v33100L18getri_kernel_smallILi41E19rocblas_complex_numIdEPKPS3_EEvT1_iilPiilS8_bb
                                        ; -- End function
	.set _ZN9rocsolver6v33100L18getri_kernel_smallILi41E19rocblas_complex_numIdEPKPS3_EEvT1_iilPiilS8_bb.num_vgpr, 155
	.set _ZN9rocsolver6v33100L18getri_kernel_smallILi41E19rocblas_complex_numIdEPKPS3_EEvT1_iilPiilS8_bb.num_agpr, 0
	.set _ZN9rocsolver6v33100L18getri_kernel_smallILi41E19rocblas_complex_numIdEPKPS3_EEvT1_iilPiilS8_bb.numbered_sgpr, 53
	.set _ZN9rocsolver6v33100L18getri_kernel_smallILi41E19rocblas_complex_numIdEPKPS3_EEvT1_iilPiilS8_bb.num_named_barrier, 0
	.set _ZN9rocsolver6v33100L18getri_kernel_smallILi41E19rocblas_complex_numIdEPKPS3_EEvT1_iilPiilS8_bb.private_seg_size, 688
	.set _ZN9rocsolver6v33100L18getri_kernel_smallILi41E19rocblas_complex_numIdEPKPS3_EEvT1_iilPiilS8_bb.uses_vcc, 1
	.set _ZN9rocsolver6v33100L18getri_kernel_smallILi41E19rocblas_complex_numIdEPKPS3_EEvT1_iilPiilS8_bb.uses_flat_scratch, 1
	.set _ZN9rocsolver6v33100L18getri_kernel_smallILi41E19rocblas_complex_numIdEPKPS3_EEvT1_iilPiilS8_bb.has_dyn_sized_stack, 0
	.set _ZN9rocsolver6v33100L18getri_kernel_smallILi41E19rocblas_complex_numIdEPKPS3_EEvT1_iilPiilS8_bb.has_recursion, 0
	.set _ZN9rocsolver6v33100L18getri_kernel_smallILi41E19rocblas_complex_numIdEPKPS3_EEvT1_iilPiilS8_bb.has_indirect_call, 0
	.section	.AMDGPU.csdata,"",@progbits
; Kernel info:
; codeLenInByte = 73772
; TotalNumSgprs: 55
; NumVgprs: 155
; ScratchSize: 688
; MemoryBound: 0
; FloatMode: 240
; IeeeMode: 1
; LDSByteSize: 1320 bytes/workgroup (compile time only)
; SGPRBlocks: 0
; VGPRBlocks: 19
; NumSGPRsForWavesPerEU: 55
; NumVGPRsForWavesPerEU: 155
; Occupancy: 9
; WaveLimiterHint : 1
; COMPUTE_PGM_RSRC2:SCRATCH_EN: 1
; COMPUTE_PGM_RSRC2:USER_SGPR: 2
; COMPUTE_PGM_RSRC2:TRAP_HANDLER: 0
; COMPUTE_PGM_RSRC2:TGID_X_EN: 1
; COMPUTE_PGM_RSRC2:TGID_Y_EN: 0
; COMPUTE_PGM_RSRC2:TGID_Z_EN: 0
; COMPUTE_PGM_RSRC2:TIDIG_COMP_CNT: 0
	.section	.text._ZN9rocsolver6v33100L18getri_kernel_smallILi42E19rocblas_complex_numIdEPKPS3_EEvT1_iilPiilS8_bb,"axG",@progbits,_ZN9rocsolver6v33100L18getri_kernel_smallILi42E19rocblas_complex_numIdEPKPS3_EEvT1_iilPiilS8_bb,comdat
	.globl	_ZN9rocsolver6v33100L18getri_kernel_smallILi42E19rocblas_complex_numIdEPKPS3_EEvT1_iilPiilS8_bb ; -- Begin function _ZN9rocsolver6v33100L18getri_kernel_smallILi42E19rocblas_complex_numIdEPKPS3_EEvT1_iilPiilS8_bb
	.p2align	8
	.type	_ZN9rocsolver6v33100L18getri_kernel_smallILi42E19rocblas_complex_numIdEPKPS3_EEvT1_iilPiilS8_bb,@function
_ZN9rocsolver6v33100L18getri_kernel_smallILi42E19rocblas_complex_numIdEPKPS3_EEvT1_iilPiilS8_bb: ; @_ZN9rocsolver6v33100L18getri_kernel_smallILi42E19rocblas_complex_numIdEPKPS3_EEvT1_iilPiilS8_bb
; %bb.0:
	s_mov_b32 s2, exec_lo
	v_cmpx_gt_u32_e32 42, v0
	s_cbranch_execz .LBB105_182
; %bb.1:
	s_clause 0x1
	s_load_b32 s13, s[0:1], 0x38
	s_load_b64 s[2:3], s[0:1], 0x0
	s_mov_b32 s8, ttmp9
	s_load_b128 s[4:7], s[0:1], 0x28
	s_wait_kmcnt 0x0
	s_bitcmp1_b32 s13, 8
	s_cselect_b32 s12, -1, 0
	s_ashr_i32 s9, ttmp9, 31
	s_delay_alu instid0(SALU_CYCLE_1) | instskip(NEXT) | instid1(SALU_CYCLE_1)
	s_lshl_b64 s[10:11], s[8:9], 3
	s_add_nc_u64 s[2:3], s[2:3], s[10:11]
	s_load_b64 s[10:11], s[2:3], 0x0
	s_bfe_u32 s2, s13, 0x10008
	s_delay_alu instid0(SALU_CYCLE_1)
	s_cmp_eq_u32 s2, 0
                                        ; implicit-def: $sgpr2_sgpr3
	s_cbranch_scc1 .LBB105_3
; %bb.2:
	s_load_b96 s[16:18], s[0:1], 0x18
	s_mul_u64 s[2:3], s[4:5], s[8:9]
	s_delay_alu instid0(SALU_CYCLE_1)
	s_lshl_b64 s[2:3], s[2:3], 2
	s_wait_kmcnt 0x0
	s_ashr_i32 s5, s18, 31
	s_mov_b32 s4, s18
	s_add_nc_u64 s[2:3], s[16:17], s[2:3]
	s_lshl_b64 s[4:5], s[4:5], 2
	s_delay_alu instid0(SALU_CYCLE_1)
	s_add_nc_u64 s[2:3], s[2:3], s[4:5]
.LBB105_3:
	s_clause 0x1
	s_load_b64 s[4:5], s[0:1], 0x8
	s_load_b32 s51, s[0:1], 0x38
	v_lshlrev_b32_e32 v13, 4, v0
	s_mov_b32 s50, 32
	s_mov_b32 s49, 48
	;; [unrolled: 1-line block ×3, first 2 shown]
	s_movk_i32 s29, 0x50
	s_wait_kmcnt 0x0
	s_ashr_i32 s1, s4, 31
	s_mov_b32 s0, s4
	v_add3_u32 v5, s5, s5, v0
	s_lshl_b64 s[0:1], s[0:1], 4
	s_delay_alu instid0(SALU_CYCLE_1)
	s_add_nc_u64 s[0:1], s[10:11], s[0:1]
	s_ashr_i32 s11, s5, 31
	v_add_co_u32 v46, s4, s0, v13
	s_wait_alu 0xf1ff
	v_add_co_ci_u32_e64 v47, null, s1, 0, s4
	s_mov_b32 s10, s5
	v_ashrrev_i32_e32 v6, 31, v5
	s_lshl_b64 s[10:11], s[10:11], 4
	flat_load_b128 v[1:4], v[46:47]
	v_add_co_u32 v48, vcc_lo, v46, s10
	s_delay_alu instid0(VALU_DEP_1) | instskip(SKIP_2) | instid1(VALU_DEP_2)
	v_add_co_ci_u32_e64 v49, null, s11, v47, vcc_lo
	v_lshlrev_b64_e32 v[6:7], 4, v[5:6]
	v_add_nc_u32_e32 v5, s5, v5
	v_add_co_u32 v50, vcc_lo, s0, v6
	s_wait_alu 0xfffd
	s_delay_alu instid0(VALU_DEP_3) | instskip(NEXT) | instid1(VALU_DEP_3)
	v_add_co_ci_u32_e64 v51, null, s1, v7, vcc_lo
	v_ashrrev_i32_e32 v6, 31, v5
	s_delay_alu instid0(VALU_DEP_1) | instskip(SKIP_1) | instid1(VALU_DEP_2)
	v_lshlrev_b64_e32 v[6:7], 4, v[5:6]
	v_add_nc_u32_e32 v5, s5, v5
	v_add_co_u32 v52, vcc_lo, s0, v6
	s_wait_alu 0xfffd
	s_delay_alu instid0(VALU_DEP_3) | instskip(NEXT) | instid1(VALU_DEP_3)
	v_add_co_ci_u32_e64 v53, null, s1, v7, vcc_lo
	v_ashrrev_i32_e32 v6, 31, v5
	s_delay_alu instid0(VALU_DEP_1) | instskip(SKIP_1) | instid1(VALU_DEP_2)
	;; [unrolled: 8-line block ×20, first 2 shown]
	v_lshlrev_b64_e32 v[6:7], 4, v[5:6]
	v_add_nc_u32_e32 v5, s5, v5
	v_add_co_u32 v90, vcc_lo, s0, v6
	s_wait_alu 0xfffd
	s_delay_alu instid0(VALU_DEP_3) | instskip(NEXT) | instid1(VALU_DEP_3)
	v_add_co_ci_u32_e64 v91, null, s1, v7, vcc_lo
	v_ashrrev_i32_e32 v6, 31, v5
	s_delay_alu instid0(VALU_DEP_1)
	v_lshlrev_b64_e32 v[6:7], 4, v[5:6]
	s_wait_loadcnt_dscnt 0x0
	scratch_store_b128 off, v[1:4], off offset:16
	flat_load_b128 v[1:4], v[48:49]
	v_add_nc_u32_e32 v5, s5, v5
	v_add_co_u32 v92, vcc_lo, s0, v6
	s_wait_alu 0xfffd
	v_add_co_ci_u32_e64 v93, null, s1, v7, vcc_lo
	s_delay_alu instid0(VALU_DEP_3) | instskip(NEXT) | instid1(VALU_DEP_1)
	v_ashrrev_i32_e32 v6, 31, v5
	v_lshlrev_b64_e32 v[6:7], 4, v[5:6]
	v_add_nc_u32_e32 v5, s5, v5
	s_delay_alu instid0(VALU_DEP_2) | instskip(SKIP_1) | instid1(VALU_DEP_3)
	v_add_co_u32 v94, vcc_lo, s0, v6
	s_wait_alu 0xfffd
	v_add_co_ci_u32_e64 v95, null, s1, v7, vcc_lo
	s_delay_alu instid0(VALU_DEP_3) | instskip(NEXT) | instid1(VALU_DEP_1)
	v_ashrrev_i32_e32 v6, 31, v5
	v_lshlrev_b64_e32 v[6:7], 4, v[5:6]
	v_add_nc_u32_e32 v5, s5, v5
	s_delay_alu instid0(VALU_DEP_2) | instskip(SKIP_1) | instid1(VALU_DEP_3)
	;; [unrolled: 8-line block ×17, first 2 shown]
	v_add_co_u32 v126, vcc_lo, s0, v6
	s_wait_alu 0xfffd
	v_add_co_ci_u32_e64 v127, null, s1, v7, vcc_lo
	s_delay_alu instid0(VALU_DEP_3) | instskip(NEXT) | instid1(VALU_DEP_1)
	v_ashrrev_i32_e32 v6, 31, v5
	v_lshlrev_b64_e32 v[5:6], 4, v[5:6]
	s_delay_alu instid0(VALU_DEP_1) | instskip(SKIP_1) | instid1(VALU_DEP_2)
	v_add_co_u32 v128, vcc_lo, s0, v5
	s_wait_alu 0xfffd
	v_add_co_ci_u32_e64 v129, null, s1, v6, vcc_lo
	s_movk_i32 s0, 0x50
	s_movk_i32 s1, 0x70
	s_wait_alu 0xfffe
	s_add_co_i32 s4, s0, 16
	s_movk_i32 s0, 0x60
	s_add_co_i32 s5, s1, 16
	s_wait_alu 0xfffe
	s_add_co_i32 s30, s0, 16
	s_movk_i32 s0, 0x80
	s_movk_i32 s1, 0x90
	s_wait_alu 0xfffe
	s_add_co_i32 s31, s0, 16
	s_add_co_i32 s10, s1, 16
	s_movk_i32 s0, 0xa0
	s_movk_i32 s1, 0xb0
	s_wait_alu 0xfffe
	s_add_co_i32 s33, s0, 16
	;; [unrolled: 5-line block ×9, first 2 shown]
	s_add_co_i32 s19, s1, 16
	s_wait_loadcnt_dscnt 0x0
	scratch_store_b128 off, v[1:4], off offset:32
	flat_load_b128 v[1:4], v[50:51]
	s_movk_i32 s0, 0x1a0
	s_movk_i32 s1, 0x1b0
	s_wait_alu 0xfffe
	s_add_co_i32 s41, s0, 16
	s_add_co_i32 s20, s1, 16
	s_movk_i32 s0, 0x1c0
	s_movk_i32 s1, 0x1d0
	s_wait_alu 0xfffe
	s_add_co_i32 s42, s0, 16
	s_add_co_i32 s21, s1, 16
	;; [unrolled: 5-line block ×8, first 2 shown]
	s_bitcmp0_b32 s51, 0
	s_mov_b32 s1, -1
	s_wait_loadcnt_dscnt 0x0
	scratch_store_b128 off, v[1:4], off offset:48
	flat_load_b128 v[1:4], v[52:53]
	s_wait_loadcnt_dscnt 0x0
	scratch_store_b128 off, v[1:4], off offset:64
	flat_load_b128 v[1:4], v[54:55]
	;; [unrolled: 3-line block ×39, first 2 shown]
	s_wait_loadcnt_dscnt 0x0
	scratch_store_b128 off, v[1:4], off offset:672
	s_cbranch_scc1 .LBB105_180
; %bb.4:
	v_cmp_eq_u32_e64 s0, 0, v0
	s_and_saveexec_b32 s1, s0
; %bb.5:
	v_mov_b32_e32 v1, 0
	ds_store_b32 v1, v1 offset:1344
; %bb.6:
	s_wait_alu 0xfffe
	s_or_b32 exec_lo, exec_lo, s1
	s_wait_storecnt_dscnt 0x0
	s_barrier_signal -1
	s_barrier_wait -1
	global_inv scope:SCOPE_SE
	scratch_load_b128 v[1:4], v13, off offset:16
	s_wait_loadcnt 0x0
	v_cmp_eq_f64_e32 vcc_lo, 0, v[1:2]
	v_cmp_eq_f64_e64 s1, 0, v[3:4]
	s_and_b32 s1, vcc_lo, s1
	s_wait_alu 0xfffe
	s_and_saveexec_b32 s51, s1
	s_cbranch_execz .LBB105_10
; %bb.7:
	v_mov_b32_e32 v1, 0
	s_mov_b32 s52, 0
	ds_load_b32 v2, v1 offset:1344
	s_wait_dscnt 0x0
	v_readfirstlane_b32 s1, v2
	v_add_nc_u32_e32 v2, 1, v0
	s_cmp_eq_u32 s1, 0
	s_delay_alu instid0(VALU_DEP_1) | instskip(SKIP_1) | instid1(SALU_CYCLE_1)
	v_cmp_gt_i32_e32 vcc_lo, s1, v2
	s_cselect_b32 s53, -1, 0
	s_or_b32 s53, s53, vcc_lo
	s_delay_alu instid0(SALU_CYCLE_1)
	s_and_b32 exec_lo, exec_lo, s53
	s_cbranch_execz .LBB105_10
; %bb.8:
	v_mov_b32_e32 v3, s1
.LBB105_9:                              ; =>This Inner Loop Header: Depth=1
	ds_cmpstore_rtn_b32 v3, v1, v2, v3 offset:1344
	s_wait_dscnt 0x0
	v_cmp_ne_u32_e32 vcc_lo, 0, v3
	v_cmp_le_i32_e64 s1, v3, v2
	s_and_b32 s1, vcc_lo, s1
	s_wait_alu 0xfffe
	s_and_b32 s1, exec_lo, s1
	s_wait_alu 0xfffe
	s_or_b32 s52, s1, s52
	s_delay_alu instid0(SALU_CYCLE_1)
	s_and_not1_b32 exec_lo, exec_lo, s52
	s_cbranch_execnz .LBB105_9
.LBB105_10:
	s_or_b32 exec_lo, exec_lo, s51
	v_mov_b32_e32 v1, 0
	s_barrier_signal -1
	s_barrier_wait -1
	global_inv scope:SCOPE_SE
	ds_load_b32 v2, v1 offset:1344
	s_and_saveexec_b32 s1, s0
	s_cbranch_execz .LBB105_12
; %bb.11:
	s_lshl_b64 s[52:53], s[8:9], 2
	s_delay_alu instid0(SALU_CYCLE_1)
	s_add_nc_u64 s[52:53], s[6:7], s[52:53]
	s_wait_dscnt 0x0
	global_store_b32 v1, v2, s[52:53]
.LBB105_12:
	s_wait_alu 0xfffe
	s_or_b32 exec_lo, exec_lo, s1
	s_wait_dscnt 0x0
	v_cmp_ne_u32_e32 vcc_lo, 0, v2
	s_mov_b32 s1, 0
	s_cbranch_vccnz .LBB105_180
; %bb.13:
	v_add_nc_u32_e32 v14, 16, v13
                                        ; implicit-def: $vgpr1_vgpr2
                                        ; implicit-def: $vgpr9_vgpr10
	scratch_load_b128 v[5:8], v14, off
	s_wait_loadcnt 0x0
	v_cmp_ngt_f64_e64 s1, |v[5:6]|, |v[7:8]|
	s_wait_alu 0xfffe
	s_and_saveexec_b32 s51, s1
	s_delay_alu instid0(SALU_CYCLE_1)
	s_xor_b32 s1, exec_lo, s51
	s_cbranch_execz .LBB105_15
; %bb.14:
	v_div_scale_f64 v[1:2], null, v[7:8], v[7:8], v[5:6]
	v_div_scale_f64 v[11:12], vcc_lo, v[5:6], v[7:8], v[5:6]
	s_delay_alu instid0(VALU_DEP_2) | instskip(NEXT) | instid1(TRANS32_DEP_1)
	v_rcp_f64_e32 v[3:4], v[1:2]
	v_fma_f64 v[9:10], -v[1:2], v[3:4], 1.0
	s_delay_alu instid0(VALU_DEP_1) | instskip(NEXT) | instid1(VALU_DEP_1)
	v_fma_f64 v[3:4], v[3:4], v[9:10], v[3:4]
	v_fma_f64 v[9:10], -v[1:2], v[3:4], 1.0
	s_delay_alu instid0(VALU_DEP_1) | instskip(NEXT) | instid1(VALU_DEP_1)
	v_fma_f64 v[3:4], v[3:4], v[9:10], v[3:4]
	v_mul_f64_e32 v[9:10], v[11:12], v[3:4]
	s_delay_alu instid0(VALU_DEP_1) | instskip(SKIP_1) | instid1(VALU_DEP_1)
	v_fma_f64 v[1:2], -v[1:2], v[9:10], v[11:12]
	s_wait_alu 0xfffd
	v_div_fmas_f64 v[1:2], v[1:2], v[3:4], v[9:10]
	s_delay_alu instid0(VALU_DEP_1) | instskip(NEXT) | instid1(VALU_DEP_1)
	v_div_fixup_f64 v[1:2], v[1:2], v[7:8], v[5:6]
	v_fma_f64 v[3:4], v[5:6], v[1:2], v[7:8]
	s_delay_alu instid0(VALU_DEP_1) | instskip(SKIP_1) | instid1(VALU_DEP_2)
	v_div_scale_f64 v[5:6], null, v[3:4], v[3:4], 1.0
	v_div_scale_f64 v[11:12], vcc_lo, 1.0, v[3:4], 1.0
	v_rcp_f64_e32 v[7:8], v[5:6]
	s_delay_alu instid0(TRANS32_DEP_1) | instskip(NEXT) | instid1(VALU_DEP_1)
	v_fma_f64 v[9:10], -v[5:6], v[7:8], 1.0
	v_fma_f64 v[7:8], v[7:8], v[9:10], v[7:8]
	s_delay_alu instid0(VALU_DEP_1) | instskip(NEXT) | instid1(VALU_DEP_1)
	v_fma_f64 v[9:10], -v[5:6], v[7:8], 1.0
	v_fma_f64 v[7:8], v[7:8], v[9:10], v[7:8]
	s_delay_alu instid0(VALU_DEP_1) | instskip(NEXT) | instid1(VALU_DEP_1)
	v_mul_f64_e32 v[9:10], v[11:12], v[7:8]
	v_fma_f64 v[5:6], -v[5:6], v[9:10], v[11:12]
	s_wait_alu 0xfffd
	s_delay_alu instid0(VALU_DEP_1) | instskip(NEXT) | instid1(VALU_DEP_1)
	v_div_fmas_f64 v[5:6], v[5:6], v[7:8], v[9:10]
	v_div_fixup_f64 v[3:4], v[5:6], v[3:4], 1.0
                                        ; implicit-def: $vgpr5_vgpr6
	s_delay_alu instid0(VALU_DEP_1) | instskip(SKIP_1) | instid1(VALU_DEP_2)
	v_mul_f64_e32 v[1:2], v[1:2], v[3:4]
	v_xor_b32_e32 v4, 0x80000000, v4
	v_xor_b32_e32 v10, 0x80000000, v2
	s_delay_alu instid0(VALU_DEP_3)
	v_mov_b32_e32 v9, v1
.LBB105_15:
	s_wait_alu 0xfffe
	s_and_not1_saveexec_b32 s1, s1
	s_cbranch_execz .LBB105_17
; %bb.16:
	v_div_scale_f64 v[1:2], null, v[5:6], v[5:6], v[7:8]
	v_div_scale_f64 v[11:12], vcc_lo, v[7:8], v[5:6], v[7:8]
	s_delay_alu instid0(VALU_DEP_2) | instskip(NEXT) | instid1(TRANS32_DEP_1)
	v_rcp_f64_e32 v[3:4], v[1:2]
	v_fma_f64 v[9:10], -v[1:2], v[3:4], 1.0
	s_delay_alu instid0(VALU_DEP_1) | instskip(NEXT) | instid1(VALU_DEP_1)
	v_fma_f64 v[3:4], v[3:4], v[9:10], v[3:4]
	v_fma_f64 v[9:10], -v[1:2], v[3:4], 1.0
	s_delay_alu instid0(VALU_DEP_1) | instskip(NEXT) | instid1(VALU_DEP_1)
	v_fma_f64 v[3:4], v[3:4], v[9:10], v[3:4]
	v_mul_f64_e32 v[9:10], v[11:12], v[3:4]
	s_delay_alu instid0(VALU_DEP_1) | instskip(SKIP_1) | instid1(VALU_DEP_1)
	v_fma_f64 v[1:2], -v[1:2], v[9:10], v[11:12]
	s_wait_alu 0xfffd
	v_div_fmas_f64 v[1:2], v[1:2], v[3:4], v[9:10]
	s_delay_alu instid0(VALU_DEP_1) | instskip(NEXT) | instid1(VALU_DEP_1)
	v_div_fixup_f64 v[3:4], v[1:2], v[5:6], v[7:8]
	v_fma_f64 v[1:2], v[7:8], v[3:4], v[5:6]
	s_delay_alu instid0(VALU_DEP_1) | instskip(NEXT) | instid1(VALU_DEP_1)
	v_div_scale_f64 v[5:6], null, v[1:2], v[1:2], 1.0
	v_rcp_f64_e32 v[7:8], v[5:6]
	s_delay_alu instid0(TRANS32_DEP_1) | instskip(NEXT) | instid1(VALU_DEP_1)
	v_fma_f64 v[9:10], -v[5:6], v[7:8], 1.0
	v_fma_f64 v[7:8], v[7:8], v[9:10], v[7:8]
	s_delay_alu instid0(VALU_DEP_1) | instskip(NEXT) | instid1(VALU_DEP_1)
	v_fma_f64 v[9:10], -v[5:6], v[7:8], 1.0
	v_fma_f64 v[7:8], v[7:8], v[9:10], v[7:8]
	v_div_scale_f64 v[9:10], vcc_lo, 1.0, v[1:2], 1.0
	s_delay_alu instid0(VALU_DEP_1) | instskip(NEXT) | instid1(VALU_DEP_1)
	v_mul_f64_e32 v[11:12], v[9:10], v[7:8]
	v_fma_f64 v[5:6], -v[5:6], v[11:12], v[9:10]
	s_wait_alu 0xfffd
	s_delay_alu instid0(VALU_DEP_1) | instskip(NEXT) | instid1(VALU_DEP_1)
	v_div_fmas_f64 v[5:6], v[5:6], v[7:8], v[11:12]
	v_div_fixup_f64 v[1:2], v[5:6], v[1:2], 1.0
	s_delay_alu instid0(VALU_DEP_1)
	v_mul_f64_e64 v[3:4], v[3:4], -v[1:2]
	v_xor_b32_e32 v10, 0x80000000, v2
	v_mov_b32_e32 v9, v1
.LBB105_17:
	s_wait_alu 0xfffe
	s_or_b32 exec_lo, exec_lo, s1
	scratch_store_b128 v14, v[1:4], off
	scratch_load_b128 v[15:18], off, s50
	v_xor_b32_e32 v12, 0x80000000, v4
	v_mov_b32_e32 v11, v3
	v_add_nc_u32_e32 v5, 0x2a0, v13
	ds_store_b128 v13, v[9:12]
	s_wait_loadcnt 0x0
	ds_store_b128 v13, v[15:18] offset:672
	s_wait_storecnt_dscnt 0x0
	s_barrier_signal -1
	s_barrier_wait -1
	global_inv scope:SCOPE_SE
	s_and_saveexec_b32 s1, s0
	s_cbranch_execz .LBB105_19
; %bb.18:
	scratch_load_b128 v[1:4], v14, off
	ds_load_b128 v[6:9], v5
	v_mov_b32_e32 v10, 0
	ds_load_b128 v[15:18], v10 offset:16
	s_wait_loadcnt_dscnt 0x1
	v_mul_f64_e32 v[10:11], v[6:7], v[3:4]
	v_mul_f64_e32 v[3:4], v[8:9], v[3:4]
	s_delay_alu instid0(VALU_DEP_2) | instskip(NEXT) | instid1(VALU_DEP_2)
	v_fma_f64 v[8:9], v[8:9], v[1:2], v[10:11]
	v_fma_f64 v[1:2], v[6:7], v[1:2], -v[3:4]
	s_delay_alu instid0(VALU_DEP_2) | instskip(NEXT) | instid1(VALU_DEP_2)
	v_add_f64_e32 v[3:4], 0, v[8:9]
	v_add_f64_e32 v[1:2], 0, v[1:2]
	s_wait_dscnt 0x0
	s_delay_alu instid0(VALU_DEP_2) | instskip(NEXT) | instid1(VALU_DEP_2)
	v_mul_f64_e32 v[6:7], v[3:4], v[17:18]
	v_mul_f64_e32 v[8:9], v[1:2], v[17:18]
	s_delay_alu instid0(VALU_DEP_2) | instskip(NEXT) | instid1(VALU_DEP_2)
	v_fma_f64 v[1:2], v[1:2], v[15:16], -v[6:7]
	v_fma_f64 v[3:4], v[3:4], v[15:16], v[8:9]
	scratch_store_b128 off, v[1:4], off offset:32
.LBB105_19:
	s_wait_alu 0xfffe
	s_or_b32 exec_lo, exec_lo, s1
	s_wait_loadcnt 0x0
	s_wait_storecnt 0x0
	s_barrier_signal -1
	s_barrier_wait -1
	global_inv scope:SCOPE_SE
	scratch_load_b128 v[1:4], off, s49
	s_mov_b32 s1, exec_lo
	s_wait_loadcnt 0x0
	ds_store_b128 v5, v[1:4]
	s_wait_dscnt 0x0
	s_barrier_signal -1
	s_barrier_wait -1
	global_inv scope:SCOPE_SE
	v_cmpx_gt_u32_e32 2, v0
	s_cbranch_execz .LBB105_23
; %bb.20:
	scratch_load_b128 v[1:4], v14, off
	ds_load_b128 v[6:9], v5
	s_wait_loadcnt_dscnt 0x0
	v_mul_f64_e32 v[10:11], v[8:9], v[3:4]
	v_mul_f64_e32 v[3:4], v[6:7], v[3:4]
	s_delay_alu instid0(VALU_DEP_2) | instskip(NEXT) | instid1(VALU_DEP_2)
	v_fma_f64 v[6:7], v[6:7], v[1:2], -v[10:11]
	v_fma_f64 v[3:4], v[8:9], v[1:2], v[3:4]
	s_delay_alu instid0(VALU_DEP_2) | instskip(NEXT) | instid1(VALU_DEP_2)
	v_add_f64_e32 v[1:2], 0, v[6:7]
	v_add_f64_e32 v[3:4], 0, v[3:4]
	s_and_saveexec_b32 s51, s0
	s_cbranch_execz .LBB105_22
; %bb.21:
	scratch_load_b128 v[6:9], off, off offset:32
	v_mov_b32_e32 v10, 0
	ds_load_b128 v[15:18], v10 offset:688
	s_wait_loadcnt_dscnt 0x0
	v_mul_f64_e32 v[10:11], v[15:16], v[8:9]
	v_mul_f64_e32 v[8:9], v[17:18], v[8:9]
	s_delay_alu instid0(VALU_DEP_2) | instskip(NEXT) | instid1(VALU_DEP_2)
	v_fma_f64 v[10:11], v[17:18], v[6:7], v[10:11]
	v_fma_f64 v[6:7], v[15:16], v[6:7], -v[8:9]
	s_delay_alu instid0(VALU_DEP_2) | instskip(NEXT) | instid1(VALU_DEP_2)
	v_add_f64_e32 v[3:4], v[3:4], v[10:11]
	v_add_f64_e32 v[1:2], v[1:2], v[6:7]
.LBB105_22:
	s_or_b32 exec_lo, exec_lo, s51
	v_mov_b32_e32 v6, 0
	ds_load_b128 v[6:9], v6 offset:32
	s_wait_dscnt 0x0
	v_mul_f64_e32 v[10:11], v[3:4], v[8:9]
	v_mul_f64_e32 v[8:9], v[1:2], v[8:9]
	s_delay_alu instid0(VALU_DEP_2) | instskip(NEXT) | instid1(VALU_DEP_2)
	v_fma_f64 v[1:2], v[1:2], v[6:7], -v[10:11]
	v_fma_f64 v[3:4], v[3:4], v[6:7], v[8:9]
	scratch_store_b128 off, v[1:4], off offset:48
.LBB105_23:
	s_wait_alu 0xfffe
	s_or_b32 exec_lo, exec_lo, s1
	s_wait_loadcnt 0x0
	s_wait_storecnt 0x0
	s_barrier_signal -1
	s_barrier_wait -1
	global_inv scope:SCOPE_SE
	scratch_load_b128 v[1:4], off, s28
	v_add_nc_u32_e32 v6, -1, v0
	s_mov_b32 s0, exec_lo
	s_wait_loadcnt 0x0
	ds_store_b128 v5, v[1:4]
	s_wait_dscnt 0x0
	s_barrier_signal -1
	s_barrier_wait -1
	global_inv scope:SCOPE_SE
	v_cmpx_gt_u32_e32 3, v0
	s_cbranch_execz .LBB105_27
; %bb.24:
	v_dual_mov_b32 v1, 0 :: v_dual_add_nc_u32 v8, 0x2a0, v13
	v_mov_b32_e32 v3, 0
	v_dual_mov_b32 v2, 0 :: v_dual_add_nc_u32 v7, -1, v0
	v_mov_b32_e32 v4, 0
	v_or_b32_e32 v9, 8, v14
	s_mov_b32 s1, 0
.LBB105_25:                             ; =>This Inner Loop Header: Depth=1
	scratch_load_b128 v[15:18], v9, off offset:-8
	ds_load_b128 v[19:22], v8
	v_add_nc_u32_e32 v7, 1, v7
	v_add_nc_u32_e32 v8, 16, v8
	v_add_nc_u32_e32 v9, 16, v9
	s_delay_alu instid0(VALU_DEP_3)
	v_cmp_lt_u32_e32 vcc_lo, 1, v7
	s_wait_alu 0xfffe
	s_or_b32 s1, vcc_lo, s1
	s_wait_loadcnt_dscnt 0x0
	v_mul_f64_e32 v[10:11], v[21:22], v[17:18]
	v_mul_f64_e32 v[17:18], v[19:20], v[17:18]
	s_delay_alu instid0(VALU_DEP_2) | instskip(NEXT) | instid1(VALU_DEP_2)
	v_fma_f64 v[10:11], v[19:20], v[15:16], -v[10:11]
	v_fma_f64 v[15:16], v[21:22], v[15:16], v[17:18]
	s_delay_alu instid0(VALU_DEP_2) | instskip(NEXT) | instid1(VALU_DEP_2)
	v_add_f64_e32 v[3:4], v[3:4], v[10:11]
	v_add_f64_e32 v[1:2], v[1:2], v[15:16]
	s_wait_alu 0xfffe
	s_and_not1_b32 exec_lo, exec_lo, s1
	s_cbranch_execnz .LBB105_25
; %bb.26:
	s_or_b32 exec_lo, exec_lo, s1
	v_mov_b32_e32 v7, 0
	ds_load_b128 v[7:10], v7 offset:48
	s_wait_dscnt 0x0
	v_mul_f64_e32 v[11:12], v[1:2], v[9:10]
	v_mul_f64_e32 v[15:16], v[3:4], v[9:10]
	s_delay_alu instid0(VALU_DEP_2) | instskip(NEXT) | instid1(VALU_DEP_2)
	v_fma_f64 v[9:10], v[3:4], v[7:8], -v[11:12]
	v_fma_f64 v[11:12], v[1:2], v[7:8], v[15:16]
	scratch_store_b128 off, v[9:12], off offset:64
.LBB105_27:
	s_wait_alu 0xfffe
	s_or_b32 exec_lo, exec_lo, s0
	s_wait_loadcnt 0x0
	s_wait_storecnt 0x0
	s_barrier_signal -1
	s_barrier_wait -1
	global_inv scope:SCOPE_SE
	scratch_load_b128 v[1:4], off, s29
	s_mov_b32 s0, exec_lo
	s_wait_loadcnt 0x0
	ds_store_b128 v5, v[1:4]
	s_wait_dscnt 0x0
	s_barrier_signal -1
	s_barrier_wait -1
	global_inv scope:SCOPE_SE
	v_cmpx_gt_u32_e32 4, v0
	s_cbranch_execz .LBB105_31
; %bb.28:
	v_dual_mov_b32 v1, 0 :: v_dual_add_nc_u32 v8, 0x2a0, v13
	v_mov_b32_e32 v3, 0
	v_dual_mov_b32 v2, 0 :: v_dual_add_nc_u32 v7, -1, v0
	v_mov_b32_e32 v4, 0
	v_or_b32_e32 v9, 8, v14
	s_mov_b32 s1, 0
.LBB105_29:                             ; =>This Inner Loop Header: Depth=1
	scratch_load_b128 v[15:18], v9, off offset:-8
	ds_load_b128 v[19:22], v8
	v_add_nc_u32_e32 v7, 1, v7
	v_add_nc_u32_e32 v8, 16, v8
	v_add_nc_u32_e32 v9, 16, v9
	s_delay_alu instid0(VALU_DEP_3)
	v_cmp_lt_u32_e32 vcc_lo, 2, v7
	s_wait_alu 0xfffe
	s_or_b32 s1, vcc_lo, s1
	s_wait_loadcnt_dscnt 0x0
	v_mul_f64_e32 v[10:11], v[21:22], v[17:18]
	v_mul_f64_e32 v[17:18], v[19:20], v[17:18]
	s_delay_alu instid0(VALU_DEP_2) | instskip(NEXT) | instid1(VALU_DEP_2)
	v_fma_f64 v[10:11], v[19:20], v[15:16], -v[10:11]
	v_fma_f64 v[15:16], v[21:22], v[15:16], v[17:18]
	s_delay_alu instid0(VALU_DEP_2) | instskip(NEXT) | instid1(VALU_DEP_2)
	v_add_f64_e32 v[3:4], v[3:4], v[10:11]
	v_add_f64_e32 v[1:2], v[1:2], v[15:16]
	s_wait_alu 0xfffe
	s_and_not1_b32 exec_lo, exec_lo, s1
	s_cbranch_execnz .LBB105_29
; %bb.30:
	s_or_b32 exec_lo, exec_lo, s1
	v_mov_b32_e32 v7, 0
	ds_load_b128 v[7:10], v7 offset:64
	s_wait_dscnt 0x0
	v_mul_f64_e32 v[11:12], v[1:2], v[9:10]
	v_mul_f64_e32 v[15:16], v[3:4], v[9:10]
	s_delay_alu instid0(VALU_DEP_2) | instskip(NEXT) | instid1(VALU_DEP_2)
	v_fma_f64 v[9:10], v[3:4], v[7:8], -v[11:12]
	v_fma_f64 v[11:12], v[1:2], v[7:8], v[15:16]
	scratch_store_b128 off, v[9:12], off offset:80
.LBB105_31:
	s_wait_alu 0xfffe
	s_or_b32 exec_lo, exec_lo, s0
	s_wait_loadcnt 0x0
	s_wait_storecnt 0x0
	s_barrier_signal -1
	s_barrier_wait -1
	global_inv scope:SCOPE_SE
	scratch_load_b128 v[1:4], off, s4
	;; [unrolled: 58-line block ×19, first 2 shown]
	s_mov_b32 s0, exec_lo
	s_wait_loadcnt 0x0
	ds_store_b128 v5, v[1:4]
	s_wait_dscnt 0x0
	s_barrier_signal -1
	s_barrier_wait -1
	global_inv scope:SCOPE_SE
	v_cmpx_gt_u32_e32 22, v0
	s_cbranch_execz .LBB105_103
; %bb.100:
	v_dual_mov_b32 v1, 0 :: v_dual_add_nc_u32 v8, 0x2a0, v13
	v_mov_b32_e32 v3, 0
	v_dual_mov_b32 v2, 0 :: v_dual_add_nc_u32 v7, -1, v0
	v_mov_b32_e32 v4, 0
	v_or_b32_e32 v9, 8, v14
	s_mov_b32 s1, 0
.LBB105_101:                            ; =>This Inner Loop Header: Depth=1
	scratch_load_b128 v[15:18], v9, off offset:-8
	ds_load_b128 v[19:22], v8
	v_add_nc_u32_e32 v7, 1, v7
	v_add_nc_u32_e32 v8, 16, v8
	v_add_nc_u32_e32 v9, 16, v9
	s_delay_alu instid0(VALU_DEP_3)
	v_cmp_lt_u32_e32 vcc_lo, 20, v7
	s_wait_alu 0xfffe
	s_or_b32 s1, vcc_lo, s1
	s_wait_loadcnt_dscnt 0x0
	v_mul_f64_e32 v[10:11], v[21:22], v[17:18]
	v_mul_f64_e32 v[17:18], v[19:20], v[17:18]
	s_delay_alu instid0(VALU_DEP_2) | instskip(NEXT) | instid1(VALU_DEP_2)
	v_fma_f64 v[10:11], v[19:20], v[15:16], -v[10:11]
	v_fma_f64 v[15:16], v[21:22], v[15:16], v[17:18]
	s_delay_alu instid0(VALU_DEP_2) | instskip(NEXT) | instid1(VALU_DEP_2)
	v_add_f64_e32 v[3:4], v[3:4], v[10:11]
	v_add_f64_e32 v[1:2], v[1:2], v[15:16]
	s_wait_alu 0xfffe
	s_and_not1_b32 exec_lo, exec_lo, s1
	s_cbranch_execnz .LBB105_101
; %bb.102:
	s_or_b32 exec_lo, exec_lo, s1
	v_mov_b32_e32 v7, 0
	ds_load_b128 v[7:10], v7 offset:352
	s_wait_dscnt 0x0
	v_mul_f64_e32 v[11:12], v[1:2], v[9:10]
	v_mul_f64_e32 v[15:16], v[3:4], v[9:10]
	s_delay_alu instid0(VALU_DEP_2) | instskip(NEXT) | instid1(VALU_DEP_2)
	v_fma_f64 v[9:10], v[3:4], v[7:8], -v[11:12]
	v_fma_f64 v[11:12], v[1:2], v[7:8], v[15:16]
	scratch_store_b128 off, v[9:12], off offset:368
.LBB105_103:
	s_wait_alu 0xfffe
	s_or_b32 exec_lo, exec_lo, s0
	s_wait_loadcnt 0x0
	s_wait_storecnt 0x0
	s_barrier_signal -1
	s_barrier_wait -1
	global_inv scope:SCOPE_SE
	scratch_load_b128 v[1:4], off, s18
	s_mov_b32 s0, exec_lo
	s_wait_loadcnt 0x0
	ds_store_b128 v5, v[1:4]
	s_wait_dscnt 0x0
	s_barrier_signal -1
	s_barrier_wait -1
	global_inv scope:SCOPE_SE
	v_cmpx_gt_u32_e32 23, v0
	s_cbranch_execz .LBB105_107
; %bb.104:
	v_dual_mov_b32 v1, 0 :: v_dual_add_nc_u32 v8, 0x2a0, v13
	v_mov_b32_e32 v3, 0
	v_dual_mov_b32 v2, 0 :: v_dual_add_nc_u32 v7, -1, v0
	v_mov_b32_e32 v4, 0
	v_or_b32_e32 v9, 8, v14
	s_mov_b32 s1, 0
.LBB105_105:                            ; =>This Inner Loop Header: Depth=1
	scratch_load_b128 v[15:18], v9, off offset:-8
	ds_load_b128 v[19:22], v8
	v_add_nc_u32_e32 v7, 1, v7
	v_add_nc_u32_e32 v8, 16, v8
	v_add_nc_u32_e32 v9, 16, v9
	s_delay_alu instid0(VALU_DEP_3)
	v_cmp_lt_u32_e32 vcc_lo, 21, v7
	s_wait_alu 0xfffe
	s_or_b32 s1, vcc_lo, s1
	s_wait_loadcnt_dscnt 0x0
	v_mul_f64_e32 v[10:11], v[21:22], v[17:18]
	v_mul_f64_e32 v[17:18], v[19:20], v[17:18]
	s_delay_alu instid0(VALU_DEP_2) | instskip(NEXT) | instid1(VALU_DEP_2)
	v_fma_f64 v[10:11], v[19:20], v[15:16], -v[10:11]
	v_fma_f64 v[15:16], v[21:22], v[15:16], v[17:18]
	s_delay_alu instid0(VALU_DEP_2) | instskip(NEXT) | instid1(VALU_DEP_2)
	v_add_f64_e32 v[3:4], v[3:4], v[10:11]
	v_add_f64_e32 v[1:2], v[1:2], v[15:16]
	s_wait_alu 0xfffe
	s_and_not1_b32 exec_lo, exec_lo, s1
	s_cbranch_execnz .LBB105_105
; %bb.106:
	s_or_b32 exec_lo, exec_lo, s1
	v_mov_b32_e32 v7, 0
	ds_load_b128 v[7:10], v7 offset:368
	s_wait_dscnt 0x0
	v_mul_f64_e32 v[11:12], v[1:2], v[9:10]
	v_mul_f64_e32 v[15:16], v[3:4], v[9:10]
	s_delay_alu instid0(VALU_DEP_2) | instskip(NEXT) | instid1(VALU_DEP_2)
	v_fma_f64 v[9:10], v[3:4], v[7:8], -v[11:12]
	v_fma_f64 v[11:12], v[1:2], v[7:8], v[15:16]
	scratch_store_b128 off, v[9:12], off offset:384
.LBB105_107:
	s_wait_alu 0xfffe
	s_or_b32 exec_lo, exec_lo, s0
	s_wait_loadcnt 0x0
	s_wait_storecnt 0x0
	s_barrier_signal -1
	s_barrier_wait -1
	global_inv scope:SCOPE_SE
	scratch_load_b128 v[1:4], off, s40
	;; [unrolled: 58-line block ×19, first 2 shown]
	s_mov_b32 s0, exec_lo
	s_wait_loadcnt 0x0
	ds_store_b128 v5, v[1:4]
	s_wait_dscnt 0x0
	s_barrier_signal -1
	s_barrier_wait -1
	global_inv scope:SCOPE_SE
	v_cmpx_ne_u32_e32 41, v0
	s_cbranch_execz .LBB105_179
; %bb.176:
	v_mov_b32_e32 v1, 0
	v_dual_mov_b32 v2, 0 :: v_dual_mov_b32 v3, 0
	v_mov_b32_e32 v4, 0
	v_or_b32_e32 v7, 8, v14
	s_mov_b32 s1, 0
.LBB105_177:                            ; =>This Inner Loop Header: Depth=1
	scratch_load_b128 v[8:11], v7, off offset:-8
	ds_load_b128 v[12:15], v5
	v_add_nc_u32_e32 v6, 1, v6
	v_add_nc_u32_e32 v5, 16, v5
	;; [unrolled: 1-line block ×3, first 2 shown]
	s_delay_alu instid0(VALU_DEP_3)
	v_cmp_lt_u32_e32 vcc_lo, 39, v6
	s_wait_alu 0xfffe
	s_or_b32 s1, vcc_lo, s1
	s_wait_loadcnt_dscnt 0x0
	v_mul_f64_e32 v[16:17], v[14:15], v[10:11]
	v_mul_f64_e32 v[10:11], v[12:13], v[10:11]
	s_delay_alu instid0(VALU_DEP_2) | instskip(NEXT) | instid1(VALU_DEP_2)
	v_fma_f64 v[12:13], v[12:13], v[8:9], -v[16:17]
	v_fma_f64 v[8:9], v[14:15], v[8:9], v[10:11]
	s_delay_alu instid0(VALU_DEP_2) | instskip(NEXT) | instid1(VALU_DEP_2)
	v_add_f64_e32 v[3:4], v[3:4], v[12:13]
	v_add_f64_e32 v[1:2], v[1:2], v[8:9]
	s_wait_alu 0xfffe
	s_and_not1_b32 exec_lo, exec_lo, s1
	s_cbranch_execnz .LBB105_177
; %bb.178:
	s_or_b32 exec_lo, exec_lo, s1
	v_mov_b32_e32 v5, 0
	ds_load_b128 v[5:8], v5 offset:656
	s_wait_dscnt 0x0
	v_mul_f64_e32 v[9:10], v[1:2], v[7:8]
	v_mul_f64_e32 v[7:8], v[3:4], v[7:8]
	s_delay_alu instid0(VALU_DEP_2) | instskip(NEXT) | instid1(VALU_DEP_2)
	v_fma_f64 v[3:4], v[3:4], v[5:6], -v[9:10]
	v_fma_f64 v[5:6], v[1:2], v[5:6], v[7:8]
	scratch_store_b128 off, v[3:6], off offset:672
.LBB105_179:
	s_wait_alu 0xfffe
	s_or_b32 exec_lo, exec_lo, s0
	s_mov_b32 s1, -1
	s_wait_loadcnt 0x0
	s_wait_storecnt 0x0
	s_barrier_signal -1
	s_barrier_wait -1
	global_inv scope:SCOPE_SE
.LBB105_180:
	s_wait_alu 0xfffe
	s_and_b32 vcc_lo, exec_lo, s1
	s_wait_alu 0xfffe
	s_cbranch_vccz .LBB105_182
; %bb.181:
	v_mov_b32_e32 v1, 0
	s_lshl_b64 s[0:1], s[8:9], 2
	s_wait_alu 0xfffe
	s_add_nc_u64 s[0:1], s[6:7], s[0:1]
	global_load_b32 v1, v1, s[0:1]
	s_wait_loadcnt 0x0
	v_cmp_ne_u32_e32 vcc_lo, 0, v1
	s_cbranch_vccz .LBB105_183
.LBB105_182:
	s_nop 0
	s_sendmsg sendmsg(MSG_DEALLOC_VGPRS)
	s_endpgm
.LBB105_183:
	v_lshl_add_u32 v130, v0, 4, 0x2a0
	s_mov_b32 s0, exec_lo
	v_cmpx_eq_u32_e32 41, v0
	s_cbranch_execz .LBB105_185
; %bb.184:
	scratch_load_b128 v[1:4], off, s48
	v_mov_b32_e32 v5, 0
	s_delay_alu instid0(VALU_DEP_1)
	v_dual_mov_b32 v6, v5 :: v_dual_mov_b32 v7, v5
	v_mov_b32_e32 v8, v5
	scratch_store_b128 off, v[5:8], off offset:656
	s_wait_loadcnt 0x0
	ds_store_b128 v130, v[1:4]
.LBB105_185:
	s_wait_alu 0xfffe
	s_or_b32 exec_lo, exec_lo, s0
	s_wait_storecnt_dscnt 0x0
	s_barrier_signal -1
	s_barrier_wait -1
	global_inv scope:SCOPE_SE
	s_clause 0x1
	scratch_load_b128 v[2:5], off, off offset:672
	scratch_load_b128 v[6:9], off, off offset:656
	v_mov_b32_e32 v1, 0
	s_mov_b32 s0, exec_lo
	ds_load_b128 v[10:13], v1 offset:1328
	s_wait_loadcnt_dscnt 0x100
	v_mul_f64_e32 v[14:15], v[12:13], v[4:5]
	v_mul_f64_e32 v[4:5], v[10:11], v[4:5]
	s_delay_alu instid0(VALU_DEP_2) | instskip(NEXT) | instid1(VALU_DEP_2)
	v_fma_f64 v[10:11], v[10:11], v[2:3], -v[14:15]
	v_fma_f64 v[2:3], v[12:13], v[2:3], v[4:5]
	s_delay_alu instid0(VALU_DEP_2) | instskip(NEXT) | instid1(VALU_DEP_2)
	v_add_f64_e32 v[4:5], 0, v[10:11]
	v_add_f64_e32 v[10:11], 0, v[2:3]
	s_wait_loadcnt 0x0
	s_delay_alu instid0(VALU_DEP_2) | instskip(NEXT) | instid1(VALU_DEP_2)
	v_add_f64_e64 v[2:3], v[6:7], -v[4:5]
	v_add_f64_e64 v[4:5], v[8:9], -v[10:11]
	scratch_store_b128 off, v[2:5], off offset:656
	v_cmpx_lt_u32_e32 39, v0
	s_cbranch_execz .LBB105_187
; %bb.186:
	scratch_load_b128 v[5:8], off, s26
	v_dual_mov_b32 v2, v1 :: v_dual_mov_b32 v3, v1
	v_mov_b32_e32 v4, v1
	scratch_store_b128 off, v[1:4], off offset:640
	s_wait_loadcnt 0x0
	ds_store_b128 v130, v[5:8]
.LBB105_187:
	s_wait_alu 0xfffe
	s_or_b32 exec_lo, exec_lo, s0
	s_wait_storecnt_dscnt 0x0
	s_barrier_signal -1
	s_barrier_wait -1
	global_inv scope:SCOPE_SE
	s_clause 0x2
	scratch_load_b128 v[2:5], off, off offset:656
	scratch_load_b128 v[6:9], off, off offset:672
	;; [unrolled: 1-line block ×3, first 2 shown]
	ds_load_b128 v[14:17], v1 offset:1312
	ds_load_b128 v[18:21], v1 offset:1328
	s_mov_b32 s0, exec_lo
	s_wait_loadcnt_dscnt 0x201
	v_mul_f64_e32 v[22:23], v[16:17], v[4:5]
	v_mul_f64_e32 v[4:5], v[14:15], v[4:5]
	s_wait_loadcnt_dscnt 0x100
	v_mul_f64_e32 v[24:25], v[18:19], v[8:9]
	v_mul_f64_e32 v[8:9], v[20:21], v[8:9]
	s_delay_alu instid0(VALU_DEP_4) | instskip(NEXT) | instid1(VALU_DEP_4)
	v_fma_f64 v[14:15], v[14:15], v[2:3], -v[22:23]
	v_fma_f64 v[1:2], v[16:17], v[2:3], v[4:5]
	s_delay_alu instid0(VALU_DEP_4) | instskip(NEXT) | instid1(VALU_DEP_4)
	v_fma_f64 v[3:4], v[20:21], v[6:7], v[24:25]
	v_fma_f64 v[5:6], v[18:19], v[6:7], -v[8:9]
	s_delay_alu instid0(VALU_DEP_4) | instskip(NEXT) | instid1(VALU_DEP_4)
	v_add_f64_e32 v[7:8], 0, v[14:15]
	v_add_f64_e32 v[1:2], 0, v[1:2]
	s_delay_alu instid0(VALU_DEP_2) | instskip(NEXT) | instid1(VALU_DEP_2)
	v_add_f64_e32 v[5:6], v[7:8], v[5:6]
	v_add_f64_e32 v[3:4], v[1:2], v[3:4]
	s_wait_loadcnt 0x0
	s_delay_alu instid0(VALU_DEP_2) | instskip(NEXT) | instid1(VALU_DEP_2)
	v_add_f64_e64 v[1:2], v[10:11], -v[5:6]
	v_add_f64_e64 v[3:4], v[12:13], -v[3:4]
	scratch_store_b128 off, v[1:4], off offset:640
	v_cmpx_lt_u32_e32 38, v0
	s_cbranch_execz .LBB105_189
; %bb.188:
	scratch_load_b128 v[1:4], off, s47
	v_mov_b32_e32 v5, 0
	s_delay_alu instid0(VALU_DEP_1)
	v_dual_mov_b32 v6, v5 :: v_dual_mov_b32 v7, v5
	v_mov_b32_e32 v8, v5
	scratch_store_b128 off, v[5:8], off offset:624
	s_wait_loadcnt 0x0
	ds_store_b128 v130, v[1:4]
.LBB105_189:
	s_wait_alu 0xfffe
	s_or_b32 exec_lo, exec_lo, s0
	s_wait_storecnt_dscnt 0x0
	s_barrier_signal -1
	s_barrier_wait -1
	global_inv scope:SCOPE_SE
	s_clause 0x3
	scratch_load_b128 v[2:5], off, off offset:640
	scratch_load_b128 v[6:9], off, off offset:656
	;; [unrolled: 1-line block ×4, first 2 shown]
	v_mov_b32_e32 v1, 0
	ds_load_b128 v[18:21], v1 offset:1296
	ds_load_b128 v[22:25], v1 offset:1312
	s_mov_b32 s0, exec_lo
	s_wait_loadcnt_dscnt 0x301
	v_mul_f64_e32 v[26:27], v[20:21], v[4:5]
	v_mul_f64_e32 v[4:5], v[18:19], v[4:5]
	s_wait_loadcnt_dscnt 0x200
	v_mul_f64_e32 v[28:29], v[22:23], v[8:9]
	v_mul_f64_e32 v[8:9], v[24:25], v[8:9]
	s_delay_alu instid0(VALU_DEP_4) | instskip(NEXT) | instid1(VALU_DEP_4)
	v_fma_f64 v[18:19], v[18:19], v[2:3], -v[26:27]
	v_fma_f64 v[20:21], v[20:21], v[2:3], v[4:5]
	ds_load_b128 v[2:5], v1 offset:1328
	v_fma_f64 v[24:25], v[24:25], v[6:7], v[28:29]
	v_fma_f64 v[6:7], v[22:23], v[6:7], -v[8:9]
	s_wait_loadcnt_dscnt 0x100
	v_mul_f64_e32 v[26:27], v[2:3], v[12:13]
	v_mul_f64_e32 v[12:13], v[4:5], v[12:13]
	v_add_f64_e32 v[8:9], 0, v[18:19]
	v_add_f64_e32 v[18:19], 0, v[20:21]
	s_delay_alu instid0(VALU_DEP_4) | instskip(NEXT) | instid1(VALU_DEP_4)
	v_fma_f64 v[4:5], v[4:5], v[10:11], v[26:27]
	v_fma_f64 v[2:3], v[2:3], v[10:11], -v[12:13]
	s_delay_alu instid0(VALU_DEP_4) | instskip(NEXT) | instid1(VALU_DEP_4)
	v_add_f64_e32 v[6:7], v[8:9], v[6:7]
	v_add_f64_e32 v[8:9], v[18:19], v[24:25]
	s_delay_alu instid0(VALU_DEP_2) | instskip(NEXT) | instid1(VALU_DEP_2)
	v_add_f64_e32 v[2:3], v[6:7], v[2:3]
	v_add_f64_e32 v[4:5], v[8:9], v[4:5]
	s_wait_loadcnt 0x0
	s_delay_alu instid0(VALU_DEP_2) | instskip(NEXT) | instid1(VALU_DEP_2)
	v_add_f64_e64 v[2:3], v[14:15], -v[2:3]
	v_add_f64_e64 v[4:5], v[16:17], -v[4:5]
	scratch_store_b128 off, v[2:5], off offset:624
	v_cmpx_lt_u32_e32 37, v0
	s_cbranch_execz .LBB105_191
; %bb.190:
	scratch_load_b128 v[5:8], off, s25
	v_dual_mov_b32 v2, v1 :: v_dual_mov_b32 v3, v1
	v_mov_b32_e32 v4, v1
	scratch_store_b128 off, v[1:4], off offset:608
	s_wait_loadcnt 0x0
	ds_store_b128 v130, v[5:8]
.LBB105_191:
	s_wait_alu 0xfffe
	s_or_b32 exec_lo, exec_lo, s0
	s_wait_storecnt_dscnt 0x0
	s_barrier_signal -1
	s_barrier_wait -1
	global_inv scope:SCOPE_SE
	s_clause 0x4
	scratch_load_b128 v[2:5], off, off offset:624
	scratch_load_b128 v[6:9], off, off offset:640
	;; [unrolled: 1-line block ×5, first 2 shown]
	ds_load_b128 v[22:25], v1 offset:1280
	ds_load_b128 v[26:29], v1 offset:1296
	s_mov_b32 s0, exec_lo
	s_wait_loadcnt_dscnt 0x401
	v_mul_f64_e32 v[30:31], v[24:25], v[4:5]
	v_mul_f64_e32 v[4:5], v[22:23], v[4:5]
	s_wait_loadcnt_dscnt 0x300
	v_mul_f64_e32 v[32:33], v[26:27], v[8:9]
	v_mul_f64_e32 v[8:9], v[28:29], v[8:9]
	s_delay_alu instid0(VALU_DEP_4) | instskip(NEXT) | instid1(VALU_DEP_4)
	v_fma_f64 v[30:31], v[22:23], v[2:3], -v[30:31]
	v_fma_f64 v[34:35], v[24:25], v[2:3], v[4:5]
	ds_load_b128 v[2:5], v1 offset:1312
	ds_load_b128 v[22:25], v1 offset:1328
	v_fma_f64 v[28:29], v[28:29], v[6:7], v[32:33]
	v_fma_f64 v[6:7], v[26:27], v[6:7], -v[8:9]
	s_wait_loadcnt_dscnt 0x201
	v_mul_f64_e32 v[36:37], v[2:3], v[12:13]
	v_mul_f64_e32 v[12:13], v[4:5], v[12:13]
	v_add_f64_e32 v[8:9], 0, v[30:31]
	v_add_f64_e32 v[26:27], 0, v[34:35]
	s_wait_loadcnt_dscnt 0x100
	v_mul_f64_e32 v[30:31], v[22:23], v[16:17]
	v_mul_f64_e32 v[16:17], v[24:25], v[16:17]
	v_fma_f64 v[4:5], v[4:5], v[10:11], v[36:37]
	v_fma_f64 v[1:2], v[2:3], v[10:11], -v[12:13]
	v_add_f64_e32 v[6:7], v[8:9], v[6:7]
	v_add_f64_e32 v[8:9], v[26:27], v[28:29]
	v_fma_f64 v[10:11], v[24:25], v[14:15], v[30:31]
	v_fma_f64 v[12:13], v[22:23], v[14:15], -v[16:17]
	s_delay_alu instid0(VALU_DEP_4) | instskip(NEXT) | instid1(VALU_DEP_4)
	v_add_f64_e32 v[1:2], v[6:7], v[1:2]
	v_add_f64_e32 v[3:4], v[8:9], v[4:5]
	s_delay_alu instid0(VALU_DEP_2) | instskip(NEXT) | instid1(VALU_DEP_2)
	v_add_f64_e32 v[1:2], v[1:2], v[12:13]
	v_add_f64_e32 v[3:4], v[3:4], v[10:11]
	s_wait_loadcnt 0x0
	s_delay_alu instid0(VALU_DEP_2) | instskip(NEXT) | instid1(VALU_DEP_2)
	v_add_f64_e64 v[1:2], v[18:19], -v[1:2]
	v_add_f64_e64 v[3:4], v[20:21], -v[3:4]
	scratch_store_b128 off, v[1:4], off offset:608
	v_cmpx_lt_u32_e32 36, v0
	s_cbranch_execz .LBB105_193
; %bb.192:
	scratch_load_b128 v[1:4], off, s46
	v_mov_b32_e32 v5, 0
	s_delay_alu instid0(VALU_DEP_1)
	v_dual_mov_b32 v6, v5 :: v_dual_mov_b32 v7, v5
	v_mov_b32_e32 v8, v5
	scratch_store_b128 off, v[5:8], off offset:592
	s_wait_loadcnt 0x0
	ds_store_b128 v130, v[1:4]
.LBB105_193:
	s_wait_alu 0xfffe
	s_or_b32 exec_lo, exec_lo, s0
	s_wait_storecnt_dscnt 0x0
	s_barrier_signal -1
	s_barrier_wait -1
	global_inv scope:SCOPE_SE
	s_clause 0x5
	scratch_load_b128 v[2:5], off, off offset:608
	scratch_load_b128 v[6:9], off, off offset:624
	;; [unrolled: 1-line block ×6, first 2 shown]
	v_mov_b32_e32 v1, 0
	ds_load_b128 v[26:29], v1 offset:1264
	ds_load_b128 v[30:33], v1 offset:1280
	s_mov_b32 s0, exec_lo
	s_wait_loadcnt_dscnt 0x501
	v_mul_f64_e32 v[34:35], v[28:29], v[4:5]
	v_mul_f64_e32 v[4:5], v[26:27], v[4:5]
	s_wait_loadcnt_dscnt 0x400
	v_mul_f64_e32 v[36:37], v[30:31], v[8:9]
	v_mul_f64_e32 v[8:9], v[32:33], v[8:9]
	s_delay_alu instid0(VALU_DEP_4) | instskip(NEXT) | instid1(VALU_DEP_4)
	v_fma_f64 v[34:35], v[26:27], v[2:3], -v[34:35]
	v_fma_f64 v[38:39], v[28:29], v[2:3], v[4:5]
	ds_load_b128 v[2:5], v1 offset:1296
	ds_load_b128 v[26:29], v1 offset:1312
	v_fma_f64 v[32:33], v[32:33], v[6:7], v[36:37]
	v_fma_f64 v[6:7], v[30:31], v[6:7], -v[8:9]
	s_wait_loadcnt_dscnt 0x301
	v_mul_f64_e32 v[40:41], v[2:3], v[12:13]
	v_mul_f64_e32 v[12:13], v[4:5], v[12:13]
	v_add_f64_e32 v[8:9], 0, v[34:35]
	v_add_f64_e32 v[30:31], 0, v[38:39]
	s_wait_loadcnt_dscnt 0x200
	v_mul_f64_e32 v[34:35], v[26:27], v[16:17]
	v_mul_f64_e32 v[16:17], v[28:29], v[16:17]
	v_fma_f64 v[36:37], v[4:5], v[10:11], v[40:41]
	v_fma_f64 v[10:11], v[2:3], v[10:11], -v[12:13]
	ds_load_b128 v[2:5], v1 offset:1328
	v_add_f64_e32 v[6:7], v[8:9], v[6:7]
	v_add_f64_e32 v[8:9], v[30:31], v[32:33]
	v_fma_f64 v[28:29], v[28:29], v[14:15], v[34:35]
	v_fma_f64 v[14:15], v[26:27], v[14:15], -v[16:17]
	s_wait_loadcnt_dscnt 0x100
	v_mul_f64_e32 v[12:13], v[2:3], v[20:21]
	v_mul_f64_e32 v[20:21], v[4:5], v[20:21]
	v_add_f64_e32 v[6:7], v[6:7], v[10:11]
	v_add_f64_e32 v[8:9], v[8:9], v[36:37]
	s_delay_alu instid0(VALU_DEP_4) | instskip(NEXT) | instid1(VALU_DEP_4)
	v_fma_f64 v[4:5], v[4:5], v[18:19], v[12:13]
	v_fma_f64 v[2:3], v[2:3], v[18:19], -v[20:21]
	s_delay_alu instid0(VALU_DEP_4) | instskip(NEXT) | instid1(VALU_DEP_4)
	v_add_f64_e32 v[6:7], v[6:7], v[14:15]
	v_add_f64_e32 v[8:9], v[8:9], v[28:29]
	s_delay_alu instid0(VALU_DEP_2) | instskip(NEXT) | instid1(VALU_DEP_2)
	v_add_f64_e32 v[2:3], v[6:7], v[2:3]
	v_add_f64_e32 v[4:5], v[8:9], v[4:5]
	s_wait_loadcnt 0x0
	s_delay_alu instid0(VALU_DEP_2) | instskip(NEXT) | instid1(VALU_DEP_2)
	v_add_f64_e64 v[2:3], v[22:23], -v[2:3]
	v_add_f64_e64 v[4:5], v[24:25], -v[4:5]
	scratch_store_b128 off, v[2:5], off offset:592
	v_cmpx_lt_u32_e32 35, v0
	s_cbranch_execz .LBB105_195
; %bb.194:
	scratch_load_b128 v[5:8], off, s24
	v_dual_mov_b32 v2, v1 :: v_dual_mov_b32 v3, v1
	v_mov_b32_e32 v4, v1
	scratch_store_b128 off, v[1:4], off offset:576
	s_wait_loadcnt 0x0
	ds_store_b128 v130, v[5:8]
.LBB105_195:
	s_wait_alu 0xfffe
	s_or_b32 exec_lo, exec_lo, s0
	s_wait_storecnt_dscnt 0x0
	s_barrier_signal -1
	s_barrier_wait -1
	global_inv scope:SCOPE_SE
	s_clause 0x5
	scratch_load_b128 v[2:5], off, off offset:592
	scratch_load_b128 v[6:9], off, off offset:608
	;; [unrolled: 1-line block ×6, first 2 shown]
	ds_load_b128 v[26:29], v1 offset:1248
	ds_load_b128 v[34:37], v1 offset:1264
	scratch_load_b128 v[30:33], off, off offset:576
	s_mov_b32 s0, exec_lo
	s_wait_loadcnt_dscnt 0x601
	v_mul_f64_e32 v[38:39], v[28:29], v[4:5]
	v_mul_f64_e32 v[4:5], v[26:27], v[4:5]
	s_wait_loadcnt_dscnt 0x500
	v_mul_f64_e32 v[40:41], v[34:35], v[8:9]
	v_mul_f64_e32 v[8:9], v[36:37], v[8:9]
	s_delay_alu instid0(VALU_DEP_4) | instskip(NEXT) | instid1(VALU_DEP_4)
	v_fma_f64 v[38:39], v[26:27], v[2:3], -v[38:39]
	v_fma_f64 v[42:43], v[28:29], v[2:3], v[4:5]
	ds_load_b128 v[2:5], v1 offset:1280
	ds_load_b128 v[26:29], v1 offset:1296
	v_fma_f64 v[36:37], v[36:37], v[6:7], v[40:41]
	v_fma_f64 v[6:7], v[34:35], v[6:7], -v[8:9]
	s_wait_loadcnt_dscnt 0x401
	v_mul_f64_e32 v[44:45], v[2:3], v[12:13]
	v_mul_f64_e32 v[12:13], v[4:5], v[12:13]
	v_add_f64_e32 v[8:9], 0, v[38:39]
	v_add_f64_e32 v[34:35], 0, v[42:43]
	s_wait_loadcnt_dscnt 0x300
	v_mul_f64_e32 v[38:39], v[26:27], v[16:17]
	v_mul_f64_e32 v[16:17], v[28:29], v[16:17]
	v_fma_f64 v[40:41], v[4:5], v[10:11], v[44:45]
	v_fma_f64 v[10:11], v[2:3], v[10:11], -v[12:13]
	v_add_f64_e32 v[12:13], v[8:9], v[6:7]
	v_add_f64_e32 v[34:35], v[34:35], v[36:37]
	ds_load_b128 v[2:5], v1 offset:1312
	ds_load_b128 v[6:9], v1 offset:1328
	v_fma_f64 v[28:29], v[28:29], v[14:15], v[38:39]
	v_fma_f64 v[14:15], v[26:27], v[14:15], -v[16:17]
	s_wait_loadcnt_dscnt 0x201
	v_mul_f64_e32 v[36:37], v[2:3], v[20:21]
	v_mul_f64_e32 v[20:21], v[4:5], v[20:21]
	s_wait_loadcnt_dscnt 0x100
	v_mul_f64_e32 v[16:17], v[6:7], v[24:25]
	v_mul_f64_e32 v[24:25], v[8:9], v[24:25]
	v_add_f64_e32 v[10:11], v[12:13], v[10:11]
	v_add_f64_e32 v[12:13], v[34:35], v[40:41]
	v_fma_f64 v[4:5], v[4:5], v[18:19], v[36:37]
	v_fma_f64 v[1:2], v[2:3], v[18:19], -v[20:21]
	v_fma_f64 v[8:9], v[8:9], v[22:23], v[16:17]
	v_fma_f64 v[6:7], v[6:7], v[22:23], -v[24:25]
	v_add_f64_e32 v[10:11], v[10:11], v[14:15]
	v_add_f64_e32 v[12:13], v[12:13], v[28:29]
	s_delay_alu instid0(VALU_DEP_2) | instskip(NEXT) | instid1(VALU_DEP_2)
	v_add_f64_e32 v[1:2], v[10:11], v[1:2]
	v_add_f64_e32 v[3:4], v[12:13], v[4:5]
	s_delay_alu instid0(VALU_DEP_2) | instskip(NEXT) | instid1(VALU_DEP_2)
	v_add_f64_e32 v[1:2], v[1:2], v[6:7]
	v_add_f64_e32 v[3:4], v[3:4], v[8:9]
	s_wait_loadcnt 0x0
	s_delay_alu instid0(VALU_DEP_2) | instskip(NEXT) | instid1(VALU_DEP_2)
	v_add_f64_e64 v[1:2], v[30:31], -v[1:2]
	v_add_f64_e64 v[3:4], v[32:33], -v[3:4]
	scratch_store_b128 off, v[1:4], off offset:576
	v_cmpx_lt_u32_e32 34, v0
	s_cbranch_execz .LBB105_197
; %bb.196:
	scratch_load_b128 v[1:4], off, s45
	v_mov_b32_e32 v5, 0
	s_delay_alu instid0(VALU_DEP_1)
	v_dual_mov_b32 v6, v5 :: v_dual_mov_b32 v7, v5
	v_mov_b32_e32 v8, v5
	scratch_store_b128 off, v[5:8], off offset:560
	s_wait_loadcnt 0x0
	ds_store_b128 v130, v[1:4]
.LBB105_197:
	s_wait_alu 0xfffe
	s_or_b32 exec_lo, exec_lo, s0
	s_wait_storecnt_dscnt 0x0
	s_barrier_signal -1
	s_barrier_wait -1
	global_inv scope:SCOPE_SE
	s_clause 0x6
	scratch_load_b128 v[2:5], off, off offset:576
	scratch_load_b128 v[6:9], off, off offset:592
	;; [unrolled: 1-line block ×7, first 2 shown]
	v_mov_b32_e32 v1, 0
	scratch_load_b128 v[34:37], off, off offset:560
	s_mov_b32 s0, exec_lo
	ds_load_b128 v[30:33], v1 offset:1232
	ds_load_b128 v[38:41], v1 offset:1248
	s_wait_loadcnt_dscnt 0x701
	v_mul_f64_e32 v[42:43], v[32:33], v[4:5]
	v_mul_f64_e32 v[4:5], v[30:31], v[4:5]
	s_wait_loadcnt_dscnt 0x600
	v_mul_f64_e32 v[44:45], v[38:39], v[8:9]
	v_mul_f64_e32 v[8:9], v[40:41], v[8:9]
	s_delay_alu instid0(VALU_DEP_4) | instskip(NEXT) | instid1(VALU_DEP_4)
	v_fma_f64 v[42:43], v[30:31], v[2:3], -v[42:43]
	v_fma_f64 v[131:132], v[32:33], v[2:3], v[4:5]
	ds_load_b128 v[2:5], v1 offset:1264
	ds_load_b128 v[30:33], v1 offset:1280
	v_fma_f64 v[40:41], v[40:41], v[6:7], v[44:45]
	v_fma_f64 v[6:7], v[38:39], v[6:7], -v[8:9]
	s_wait_loadcnt_dscnt 0x501
	v_mul_f64_e32 v[133:134], v[2:3], v[12:13]
	v_mul_f64_e32 v[12:13], v[4:5], v[12:13]
	v_add_f64_e32 v[8:9], 0, v[42:43]
	v_add_f64_e32 v[38:39], 0, v[131:132]
	s_wait_loadcnt_dscnt 0x400
	v_mul_f64_e32 v[42:43], v[30:31], v[16:17]
	v_mul_f64_e32 v[16:17], v[32:33], v[16:17]
	v_fma_f64 v[44:45], v[4:5], v[10:11], v[133:134]
	v_fma_f64 v[10:11], v[2:3], v[10:11], -v[12:13]
	v_add_f64_e32 v[12:13], v[8:9], v[6:7]
	v_add_f64_e32 v[38:39], v[38:39], v[40:41]
	ds_load_b128 v[2:5], v1 offset:1296
	ds_load_b128 v[6:9], v1 offset:1312
	v_fma_f64 v[32:33], v[32:33], v[14:15], v[42:43]
	v_fma_f64 v[14:15], v[30:31], v[14:15], -v[16:17]
	s_wait_loadcnt_dscnt 0x301
	v_mul_f64_e32 v[40:41], v[2:3], v[20:21]
	v_mul_f64_e32 v[20:21], v[4:5], v[20:21]
	s_wait_loadcnt_dscnt 0x200
	v_mul_f64_e32 v[16:17], v[6:7], v[24:25]
	v_mul_f64_e32 v[24:25], v[8:9], v[24:25]
	v_add_f64_e32 v[10:11], v[12:13], v[10:11]
	v_add_f64_e32 v[12:13], v[38:39], v[44:45]
	v_fma_f64 v[30:31], v[4:5], v[18:19], v[40:41]
	v_fma_f64 v[18:19], v[2:3], v[18:19], -v[20:21]
	ds_load_b128 v[2:5], v1 offset:1328
	v_fma_f64 v[8:9], v[8:9], v[22:23], v[16:17]
	v_fma_f64 v[6:7], v[6:7], v[22:23], -v[24:25]
	v_add_f64_e32 v[10:11], v[10:11], v[14:15]
	v_add_f64_e32 v[12:13], v[12:13], v[32:33]
	s_wait_loadcnt_dscnt 0x100
	v_mul_f64_e32 v[14:15], v[2:3], v[28:29]
	v_mul_f64_e32 v[20:21], v[4:5], v[28:29]
	s_delay_alu instid0(VALU_DEP_4) | instskip(NEXT) | instid1(VALU_DEP_4)
	v_add_f64_e32 v[10:11], v[10:11], v[18:19]
	v_add_f64_e32 v[12:13], v[12:13], v[30:31]
	s_delay_alu instid0(VALU_DEP_4) | instskip(NEXT) | instid1(VALU_DEP_4)
	v_fma_f64 v[4:5], v[4:5], v[26:27], v[14:15]
	v_fma_f64 v[2:3], v[2:3], v[26:27], -v[20:21]
	s_delay_alu instid0(VALU_DEP_4) | instskip(NEXT) | instid1(VALU_DEP_4)
	v_add_f64_e32 v[6:7], v[10:11], v[6:7]
	v_add_f64_e32 v[8:9], v[12:13], v[8:9]
	s_delay_alu instid0(VALU_DEP_2) | instskip(NEXT) | instid1(VALU_DEP_2)
	v_add_f64_e32 v[2:3], v[6:7], v[2:3]
	v_add_f64_e32 v[4:5], v[8:9], v[4:5]
	s_wait_loadcnt 0x0
	s_delay_alu instid0(VALU_DEP_2) | instskip(NEXT) | instid1(VALU_DEP_2)
	v_add_f64_e64 v[2:3], v[34:35], -v[2:3]
	v_add_f64_e64 v[4:5], v[36:37], -v[4:5]
	scratch_store_b128 off, v[2:5], off offset:560
	v_cmpx_lt_u32_e32 33, v0
	s_cbranch_execz .LBB105_199
; %bb.198:
	scratch_load_b128 v[5:8], off, s23
	v_dual_mov_b32 v2, v1 :: v_dual_mov_b32 v3, v1
	v_mov_b32_e32 v4, v1
	scratch_store_b128 off, v[1:4], off offset:544
	s_wait_loadcnt 0x0
	ds_store_b128 v130, v[5:8]
.LBB105_199:
	s_wait_alu 0xfffe
	s_or_b32 exec_lo, exec_lo, s0
	s_wait_storecnt_dscnt 0x0
	s_barrier_signal -1
	s_barrier_wait -1
	global_inv scope:SCOPE_SE
	s_clause 0x7
	scratch_load_b128 v[2:5], off, off offset:560
	scratch_load_b128 v[6:9], off, off offset:576
	;; [unrolled: 1-line block ×8, first 2 shown]
	ds_load_b128 v[34:37], v1 offset:1216
	ds_load_b128 v[38:41], v1 offset:1232
	scratch_load_b128 v[42:45], off, off offset:544
	s_mov_b32 s0, exec_lo
	s_wait_loadcnt_dscnt 0x801
	v_mul_f64_e32 v[131:132], v[36:37], v[4:5]
	v_mul_f64_e32 v[4:5], v[34:35], v[4:5]
	s_wait_loadcnt_dscnt 0x700
	v_mul_f64_e32 v[133:134], v[38:39], v[8:9]
	v_mul_f64_e32 v[8:9], v[40:41], v[8:9]
	s_delay_alu instid0(VALU_DEP_4) | instskip(NEXT) | instid1(VALU_DEP_4)
	v_fma_f64 v[131:132], v[34:35], v[2:3], -v[131:132]
	v_fma_f64 v[135:136], v[36:37], v[2:3], v[4:5]
	ds_load_b128 v[2:5], v1 offset:1248
	ds_load_b128 v[34:37], v1 offset:1264
	v_fma_f64 v[40:41], v[40:41], v[6:7], v[133:134]
	v_fma_f64 v[6:7], v[38:39], v[6:7], -v[8:9]
	s_wait_loadcnt_dscnt 0x601
	v_mul_f64_e32 v[137:138], v[2:3], v[12:13]
	v_mul_f64_e32 v[12:13], v[4:5], v[12:13]
	v_add_f64_e32 v[8:9], 0, v[131:132]
	v_add_f64_e32 v[38:39], 0, v[135:136]
	s_wait_loadcnt_dscnt 0x500
	v_mul_f64_e32 v[131:132], v[34:35], v[16:17]
	v_mul_f64_e32 v[16:17], v[36:37], v[16:17]
	v_fma_f64 v[133:134], v[4:5], v[10:11], v[137:138]
	v_fma_f64 v[10:11], v[2:3], v[10:11], -v[12:13]
	v_add_f64_e32 v[12:13], v[8:9], v[6:7]
	v_add_f64_e32 v[38:39], v[38:39], v[40:41]
	ds_load_b128 v[2:5], v1 offset:1280
	ds_load_b128 v[6:9], v1 offset:1296
	v_fma_f64 v[36:37], v[36:37], v[14:15], v[131:132]
	v_fma_f64 v[14:15], v[34:35], v[14:15], -v[16:17]
	s_wait_loadcnt_dscnt 0x401
	v_mul_f64_e32 v[40:41], v[2:3], v[20:21]
	v_mul_f64_e32 v[20:21], v[4:5], v[20:21]
	s_wait_loadcnt_dscnt 0x300
	v_mul_f64_e32 v[16:17], v[6:7], v[24:25]
	v_mul_f64_e32 v[24:25], v[8:9], v[24:25]
	v_add_f64_e32 v[10:11], v[12:13], v[10:11]
	v_add_f64_e32 v[12:13], v[38:39], v[133:134]
	v_fma_f64 v[34:35], v[4:5], v[18:19], v[40:41]
	v_fma_f64 v[18:19], v[2:3], v[18:19], -v[20:21]
	v_fma_f64 v[8:9], v[8:9], v[22:23], v[16:17]
	v_fma_f64 v[6:7], v[6:7], v[22:23], -v[24:25]
	v_add_f64_e32 v[14:15], v[10:11], v[14:15]
	v_add_f64_e32 v[20:21], v[12:13], v[36:37]
	ds_load_b128 v[2:5], v1 offset:1312
	ds_load_b128 v[10:13], v1 offset:1328
	s_wait_loadcnt_dscnt 0x201
	v_mul_f64_e32 v[36:37], v[2:3], v[28:29]
	v_mul_f64_e32 v[28:29], v[4:5], v[28:29]
	v_add_f64_e32 v[14:15], v[14:15], v[18:19]
	v_add_f64_e32 v[16:17], v[20:21], v[34:35]
	s_wait_loadcnt_dscnt 0x100
	v_mul_f64_e32 v[18:19], v[10:11], v[32:33]
	v_mul_f64_e32 v[20:21], v[12:13], v[32:33]
	v_fma_f64 v[4:5], v[4:5], v[26:27], v[36:37]
	v_fma_f64 v[1:2], v[2:3], v[26:27], -v[28:29]
	v_add_f64_e32 v[6:7], v[14:15], v[6:7]
	v_add_f64_e32 v[8:9], v[16:17], v[8:9]
	v_fma_f64 v[12:13], v[12:13], v[30:31], v[18:19]
	v_fma_f64 v[10:11], v[10:11], v[30:31], -v[20:21]
	s_delay_alu instid0(VALU_DEP_4) | instskip(NEXT) | instid1(VALU_DEP_4)
	v_add_f64_e32 v[1:2], v[6:7], v[1:2]
	v_add_f64_e32 v[3:4], v[8:9], v[4:5]
	s_delay_alu instid0(VALU_DEP_2) | instskip(NEXT) | instid1(VALU_DEP_2)
	v_add_f64_e32 v[1:2], v[1:2], v[10:11]
	v_add_f64_e32 v[3:4], v[3:4], v[12:13]
	s_wait_loadcnt 0x0
	s_delay_alu instid0(VALU_DEP_2) | instskip(NEXT) | instid1(VALU_DEP_2)
	v_add_f64_e64 v[1:2], v[42:43], -v[1:2]
	v_add_f64_e64 v[3:4], v[44:45], -v[3:4]
	scratch_store_b128 off, v[1:4], off offset:544
	v_cmpx_lt_u32_e32 32, v0
	s_cbranch_execz .LBB105_201
; %bb.200:
	scratch_load_b128 v[1:4], off, s44
	v_mov_b32_e32 v5, 0
	s_delay_alu instid0(VALU_DEP_1)
	v_dual_mov_b32 v6, v5 :: v_dual_mov_b32 v7, v5
	v_mov_b32_e32 v8, v5
	scratch_store_b128 off, v[5:8], off offset:528
	s_wait_loadcnt 0x0
	ds_store_b128 v130, v[1:4]
.LBB105_201:
	s_wait_alu 0xfffe
	s_or_b32 exec_lo, exec_lo, s0
	s_wait_storecnt_dscnt 0x0
	s_barrier_signal -1
	s_barrier_wait -1
	global_inv scope:SCOPE_SE
	s_clause 0x7
	scratch_load_b128 v[2:5], off, off offset:544
	scratch_load_b128 v[6:9], off, off offset:560
	;; [unrolled: 1-line block ×8, first 2 shown]
	v_mov_b32_e32 v1, 0
	s_mov_b32 s0, exec_lo
	ds_load_b128 v[34:37], v1 offset:1200
	s_clause 0x1
	scratch_load_b128 v[38:41], off, off offset:672
	scratch_load_b128 v[42:45], off, off offset:528
	ds_load_b128 v[131:134], v1 offset:1216
	s_wait_loadcnt_dscnt 0x901
	v_mul_f64_e32 v[135:136], v[36:37], v[4:5]
	v_mul_f64_e32 v[4:5], v[34:35], v[4:5]
	s_wait_loadcnt_dscnt 0x800
	v_mul_f64_e32 v[137:138], v[131:132], v[8:9]
	v_mul_f64_e32 v[8:9], v[133:134], v[8:9]
	s_delay_alu instid0(VALU_DEP_4) | instskip(NEXT) | instid1(VALU_DEP_4)
	v_fma_f64 v[135:136], v[34:35], v[2:3], -v[135:136]
	v_fma_f64 v[139:140], v[36:37], v[2:3], v[4:5]
	ds_load_b128 v[2:5], v1 offset:1232
	ds_load_b128 v[34:37], v1 offset:1248
	v_fma_f64 v[133:134], v[133:134], v[6:7], v[137:138]
	v_fma_f64 v[6:7], v[131:132], v[6:7], -v[8:9]
	s_wait_loadcnt_dscnt 0x701
	v_mul_f64_e32 v[141:142], v[2:3], v[12:13]
	v_mul_f64_e32 v[12:13], v[4:5], v[12:13]
	v_add_f64_e32 v[8:9], 0, v[135:136]
	v_add_f64_e32 v[131:132], 0, v[139:140]
	s_wait_loadcnt_dscnt 0x600
	v_mul_f64_e32 v[135:136], v[34:35], v[16:17]
	v_mul_f64_e32 v[16:17], v[36:37], v[16:17]
	v_fma_f64 v[137:138], v[4:5], v[10:11], v[141:142]
	v_fma_f64 v[10:11], v[2:3], v[10:11], -v[12:13]
	v_add_f64_e32 v[12:13], v[8:9], v[6:7]
	v_add_f64_e32 v[131:132], v[131:132], v[133:134]
	ds_load_b128 v[2:5], v1 offset:1264
	ds_load_b128 v[6:9], v1 offset:1280
	v_fma_f64 v[36:37], v[36:37], v[14:15], v[135:136]
	v_fma_f64 v[14:15], v[34:35], v[14:15], -v[16:17]
	s_wait_loadcnt_dscnt 0x501
	v_mul_f64_e32 v[133:134], v[2:3], v[20:21]
	v_mul_f64_e32 v[20:21], v[4:5], v[20:21]
	s_wait_loadcnt_dscnt 0x400
	v_mul_f64_e32 v[16:17], v[6:7], v[24:25]
	v_mul_f64_e32 v[24:25], v[8:9], v[24:25]
	v_add_f64_e32 v[10:11], v[12:13], v[10:11]
	v_add_f64_e32 v[12:13], v[131:132], v[137:138]
	v_fma_f64 v[34:35], v[4:5], v[18:19], v[133:134]
	v_fma_f64 v[18:19], v[2:3], v[18:19], -v[20:21]
	v_fma_f64 v[8:9], v[8:9], v[22:23], v[16:17]
	v_fma_f64 v[6:7], v[6:7], v[22:23], -v[24:25]
	v_add_f64_e32 v[14:15], v[10:11], v[14:15]
	v_add_f64_e32 v[20:21], v[12:13], v[36:37]
	ds_load_b128 v[2:5], v1 offset:1296
	ds_load_b128 v[10:13], v1 offset:1312
	s_wait_loadcnt_dscnt 0x301
	v_mul_f64_e32 v[36:37], v[2:3], v[28:29]
	v_mul_f64_e32 v[28:29], v[4:5], v[28:29]
	v_add_f64_e32 v[14:15], v[14:15], v[18:19]
	v_add_f64_e32 v[16:17], v[20:21], v[34:35]
	s_wait_loadcnt_dscnt 0x200
	v_mul_f64_e32 v[18:19], v[10:11], v[32:33]
	v_mul_f64_e32 v[20:21], v[12:13], v[32:33]
	v_fma_f64 v[22:23], v[4:5], v[26:27], v[36:37]
	v_fma_f64 v[24:25], v[2:3], v[26:27], -v[28:29]
	ds_load_b128 v[2:5], v1 offset:1328
	v_add_f64_e32 v[6:7], v[14:15], v[6:7]
	v_add_f64_e32 v[8:9], v[16:17], v[8:9]
	v_fma_f64 v[12:13], v[12:13], v[30:31], v[18:19]
	v_fma_f64 v[10:11], v[10:11], v[30:31], -v[20:21]
	s_wait_loadcnt_dscnt 0x100
	v_mul_f64_e32 v[14:15], v[2:3], v[40:41]
	v_mul_f64_e32 v[16:17], v[4:5], v[40:41]
	v_add_f64_e32 v[6:7], v[6:7], v[24:25]
	v_add_f64_e32 v[8:9], v[8:9], v[22:23]
	s_delay_alu instid0(VALU_DEP_4) | instskip(NEXT) | instid1(VALU_DEP_4)
	v_fma_f64 v[4:5], v[4:5], v[38:39], v[14:15]
	v_fma_f64 v[2:3], v[2:3], v[38:39], -v[16:17]
	s_delay_alu instid0(VALU_DEP_4) | instskip(NEXT) | instid1(VALU_DEP_4)
	v_add_f64_e32 v[6:7], v[6:7], v[10:11]
	v_add_f64_e32 v[8:9], v[8:9], v[12:13]
	s_delay_alu instid0(VALU_DEP_2) | instskip(NEXT) | instid1(VALU_DEP_2)
	v_add_f64_e32 v[2:3], v[6:7], v[2:3]
	v_add_f64_e32 v[4:5], v[8:9], v[4:5]
	s_wait_loadcnt 0x0
	s_delay_alu instid0(VALU_DEP_2) | instskip(NEXT) | instid1(VALU_DEP_2)
	v_add_f64_e64 v[2:3], v[42:43], -v[2:3]
	v_add_f64_e64 v[4:5], v[44:45], -v[4:5]
	scratch_store_b128 off, v[2:5], off offset:528
	v_cmpx_lt_u32_e32 31, v0
	s_cbranch_execz .LBB105_203
; %bb.202:
	scratch_load_b128 v[5:8], off, s22
	v_dual_mov_b32 v2, v1 :: v_dual_mov_b32 v3, v1
	v_mov_b32_e32 v4, v1
	scratch_store_b128 off, v[1:4], off offset:512
	s_wait_loadcnt 0x0
	ds_store_b128 v130, v[5:8]
.LBB105_203:
	s_wait_alu 0xfffe
	s_or_b32 exec_lo, exec_lo, s0
	s_wait_storecnt_dscnt 0x0
	s_barrier_signal -1
	s_barrier_wait -1
	global_inv scope:SCOPE_SE
	s_clause 0x8
	scratch_load_b128 v[2:5], off, off offset:528
	scratch_load_b128 v[6:9], off, off offset:544
	;; [unrolled: 1-line block ×9, first 2 shown]
	ds_load_b128 v[38:41], v1 offset:1184
	ds_load_b128 v[42:45], v1 offset:1200
	s_clause 0x1
	scratch_load_b128 v[131:134], off, off offset:512
	scratch_load_b128 v[135:138], off, off offset:672
	s_mov_b32 s0, exec_lo
	s_wait_loadcnt_dscnt 0xa01
	v_mul_f64_e32 v[139:140], v[40:41], v[4:5]
	v_mul_f64_e32 v[4:5], v[38:39], v[4:5]
	s_wait_loadcnt_dscnt 0x900
	v_mul_f64_e32 v[141:142], v[42:43], v[8:9]
	v_mul_f64_e32 v[8:9], v[44:45], v[8:9]
	s_delay_alu instid0(VALU_DEP_4) | instskip(NEXT) | instid1(VALU_DEP_4)
	v_fma_f64 v[139:140], v[38:39], v[2:3], -v[139:140]
	v_fma_f64 v[143:144], v[40:41], v[2:3], v[4:5]
	ds_load_b128 v[2:5], v1 offset:1216
	ds_load_b128 v[38:41], v1 offset:1232
	v_fma_f64 v[44:45], v[44:45], v[6:7], v[141:142]
	v_fma_f64 v[6:7], v[42:43], v[6:7], -v[8:9]
	s_wait_loadcnt_dscnt 0x801
	v_mul_f64_e32 v[145:146], v[2:3], v[12:13]
	v_mul_f64_e32 v[12:13], v[4:5], v[12:13]
	v_add_f64_e32 v[8:9], 0, v[139:140]
	v_add_f64_e32 v[42:43], 0, v[143:144]
	s_wait_loadcnt_dscnt 0x700
	v_mul_f64_e32 v[139:140], v[38:39], v[16:17]
	v_mul_f64_e32 v[16:17], v[40:41], v[16:17]
	v_fma_f64 v[141:142], v[4:5], v[10:11], v[145:146]
	v_fma_f64 v[10:11], v[2:3], v[10:11], -v[12:13]
	v_add_f64_e32 v[12:13], v[8:9], v[6:7]
	v_add_f64_e32 v[42:43], v[42:43], v[44:45]
	ds_load_b128 v[2:5], v1 offset:1248
	ds_load_b128 v[6:9], v1 offset:1264
	v_fma_f64 v[40:41], v[40:41], v[14:15], v[139:140]
	v_fma_f64 v[14:15], v[38:39], v[14:15], -v[16:17]
	s_wait_loadcnt_dscnt 0x601
	v_mul_f64_e32 v[44:45], v[2:3], v[20:21]
	v_mul_f64_e32 v[20:21], v[4:5], v[20:21]
	s_wait_loadcnt_dscnt 0x500
	v_mul_f64_e32 v[16:17], v[6:7], v[24:25]
	v_mul_f64_e32 v[24:25], v[8:9], v[24:25]
	v_add_f64_e32 v[10:11], v[12:13], v[10:11]
	v_add_f64_e32 v[12:13], v[42:43], v[141:142]
	v_fma_f64 v[38:39], v[4:5], v[18:19], v[44:45]
	v_fma_f64 v[18:19], v[2:3], v[18:19], -v[20:21]
	v_fma_f64 v[8:9], v[8:9], v[22:23], v[16:17]
	v_fma_f64 v[6:7], v[6:7], v[22:23], -v[24:25]
	v_add_f64_e32 v[14:15], v[10:11], v[14:15]
	v_add_f64_e32 v[20:21], v[12:13], v[40:41]
	ds_load_b128 v[2:5], v1 offset:1280
	ds_load_b128 v[10:13], v1 offset:1296
	s_wait_loadcnt_dscnt 0x401
	v_mul_f64_e32 v[40:41], v[2:3], v[28:29]
	v_mul_f64_e32 v[28:29], v[4:5], v[28:29]
	v_add_f64_e32 v[14:15], v[14:15], v[18:19]
	v_add_f64_e32 v[16:17], v[20:21], v[38:39]
	s_wait_loadcnt_dscnt 0x300
	v_mul_f64_e32 v[18:19], v[10:11], v[32:33]
	v_mul_f64_e32 v[20:21], v[12:13], v[32:33]
	v_fma_f64 v[22:23], v[4:5], v[26:27], v[40:41]
	v_fma_f64 v[24:25], v[2:3], v[26:27], -v[28:29]
	v_add_f64_e32 v[14:15], v[14:15], v[6:7]
	v_add_f64_e32 v[16:17], v[16:17], v[8:9]
	ds_load_b128 v[2:5], v1 offset:1312
	ds_load_b128 v[6:9], v1 offset:1328
	v_fma_f64 v[12:13], v[12:13], v[30:31], v[18:19]
	v_fma_f64 v[10:11], v[10:11], v[30:31], -v[20:21]
	s_wait_loadcnt_dscnt 0x201
	v_mul_f64_e32 v[26:27], v[2:3], v[36:37]
	v_mul_f64_e32 v[28:29], v[4:5], v[36:37]
	s_wait_loadcnt_dscnt 0x0
	v_mul_f64_e32 v[18:19], v[6:7], v[137:138]
	v_mul_f64_e32 v[20:21], v[8:9], v[137:138]
	v_add_f64_e32 v[14:15], v[14:15], v[24:25]
	v_add_f64_e32 v[16:17], v[16:17], v[22:23]
	v_fma_f64 v[4:5], v[4:5], v[34:35], v[26:27]
	v_fma_f64 v[1:2], v[2:3], v[34:35], -v[28:29]
	v_fma_f64 v[8:9], v[8:9], v[135:136], v[18:19]
	v_fma_f64 v[6:7], v[6:7], v[135:136], -v[20:21]
	v_add_f64_e32 v[10:11], v[14:15], v[10:11]
	v_add_f64_e32 v[12:13], v[16:17], v[12:13]
	s_delay_alu instid0(VALU_DEP_2) | instskip(NEXT) | instid1(VALU_DEP_2)
	v_add_f64_e32 v[1:2], v[10:11], v[1:2]
	v_add_f64_e32 v[3:4], v[12:13], v[4:5]
	s_delay_alu instid0(VALU_DEP_2) | instskip(NEXT) | instid1(VALU_DEP_2)
	;; [unrolled: 3-line block ×3, first 2 shown]
	v_add_f64_e64 v[1:2], v[131:132], -v[1:2]
	v_add_f64_e64 v[3:4], v[133:134], -v[3:4]
	scratch_store_b128 off, v[1:4], off offset:512
	v_cmpx_lt_u32_e32 30, v0
	s_cbranch_execz .LBB105_205
; %bb.204:
	scratch_load_b128 v[1:4], off, s43
	v_mov_b32_e32 v5, 0
	s_delay_alu instid0(VALU_DEP_1)
	v_dual_mov_b32 v6, v5 :: v_dual_mov_b32 v7, v5
	v_mov_b32_e32 v8, v5
	scratch_store_b128 off, v[5:8], off offset:496
	s_wait_loadcnt 0x0
	ds_store_b128 v130, v[1:4]
.LBB105_205:
	s_wait_alu 0xfffe
	s_or_b32 exec_lo, exec_lo, s0
	s_wait_storecnt_dscnt 0x0
	s_barrier_signal -1
	s_barrier_wait -1
	global_inv scope:SCOPE_SE
	s_clause 0x7
	scratch_load_b128 v[2:5], off, off offset:512
	scratch_load_b128 v[6:9], off, off offset:528
	;; [unrolled: 1-line block ×8, first 2 shown]
	v_mov_b32_e32 v1, 0
	s_mov_b32 s0, exec_lo
	ds_load_b128 v[34:37], v1 offset:1168
	s_clause 0x1
	scratch_load_b128 v[38:41], off, off offset:640
	scratch_load_b128 v[42:45], off, off offset:496
	ds_load_b128 v[131:134], v1 offset:1184
	scratch_load_b128 v[135:138], off, off offset:656
	s_wait_loadcnt_dscnt 0xa01
	v_mul_f64_e32 v[139:140], v[36:37], v[4:5]
	v_mul_f64_e32 v[4:5], v[34:35], v[4:5]
	s_delay_alu instid0(VALU_DEP_2) | instskip(NEXT) | instid1(VALU_DEP_2)
	v_fma_f64 v[145:146], v[34:35], v[2:3], -v[139:140]
	v_fma_f64 v[147:148], v[36:37], v[2:3], v[4:5]
	ds_load_b128 v[2:5], v1 offset:1200
	s_wait_loadcnt_dscnt 0x901
	v_mul_f64_e32 v[143:144], v[131:132], v[8:9]
	v_mul_f64_e32 v[8:9], v[133:134], v[8:9]
	scratch_load_b128 v[34:37], off, off offset:672
	ds_load_b128 v[139:142], v1 offset:1216
	s_wait_loadcnt_dscnt 0x901
	v_mul_f64_e32 v[149:150], v[2:3], v[12:13]
	v_mul_f64_e32 v[12:13], v[4:5], v[12:13]
	v_fma_f64 v[133:134], v[133:134], v[6:7], v[143:144]
	v_fma_f64 v[6:7], v[131:132], v[6:7], -v[8:9]
	v_add_f64_e32 v[8:9], 0, v[145:146]
	v_add_f64_e32 v[131:132], 0, v[147:148]
	s_wait_loadcnt_dscnt 0x800
	v_mul_f64_e32 v[143:144], v[139:140], v[16:17]
	v_mul_f64_e32 v[16:17], v[141:142], v[16:17]
	v_fma_f64 v[145:146], v[4:5], v[10:11], v[149:150]
	v_fma_f64 v[10:11], v[2:3], v[10:11], -v[12:13]
	v_add_f64_e32 v[12:13], v[8:9], v[6:7]
	v_add_f64_e32 v[131:132], v[131:132], v[133:134]
	ds_load_b128 v[2:5], v1 offset:1232
	ds_load_b128 v[6:9], v1 offset:1248
	v_fma_f64 v[141:142], v[141:142], v[14:15], v[143:144]
	v_fma_f64 v[14:15], v[139:140], v[14:15], -v[16:17]
	s_wait_loadcnt_dscnt 0x701
	v_mul_f64_e32 v[133:134], v[2:3], v[20:21]
	v_mul_f64_e32 v[20:21], v[4:5], v[20:21]
	s_wait_loadcnt_dscnt 0x600
	v_mul_f64_e32 v[16:17], v[6:7], v[24:25]
	v_mul_f64_e32 v[24:25], v[8:9], v[24:25]
	v_add_f64_e32 v[10:11], v[12:13], v[10:11]
	v_add_f64_e32 v[12:13], v[131:132], v[145:146]
	v_fma_f64 v[131:132], v[4:5], v[18:19], v[133:134]
	v_fma_f64 v[18:19], v[2:3], v[18:19], -v[20:21]
	v_fma_f64 v[8:9], v[8:9], v[22:23], v[16:17]
	v_fma_f64 v[6:7], v[6:7], v[22:23], -v[24:25]
	v_add_f64_e32 v[14:15], v[10:11], v[14:15]
	v_add_f64_e32 v[20:21], v[12:13], v[141:142]
	ds_load_b128 v[2:5], v1 offset:1264
	ds_load_b128 v[10:13], v1 offset:1280
	s_wait_loadcnt_dscnt 0x501
	v_mul_f64_e32 v[133:134], v[2:3], v[28:29]
	v_mul_f64_e32 v[28:29], v[4:5], v[28:29]
	v_add_f64_e32 v[14:15], v[14:15], v[18:19]
	v_add_f64_e32 v[16:17], v[20:21], v[131:132]
	s_wait_loadcnt_dscnt 0x400
	v_mul_f64_e32 v[18:19], v[10:11], v[32:33]
	v_mul_f64_e32 v[20:21], v[12:13], v[32:33]
	v_fma_f64 v[22:23], v[4:5], v[26:27], v[133:134]
	v_fma_f64 v[24:25], v[2:3], v[26:27], -v[28:29]
	v_add_f64_e32 v[14:15], v[14:15], v[6:7]
	v_add_f64_e32 v[16:17], v[16:17], v[8:9]
	ds_load_b128 v[2:5], v1 offset:1296
	ds_load_b128 v[6:9], v1 offset:1312
	v_fma_f64 v[12:13], v[12:13], v[30:31], v[18:19]
	v_fma_f64 v[10:11], v[10:11], v[30:31], -v[20:21]
	s_wait_loadcnt_dscnt 0x301
	v_mul_f64_e32 v[26:27], v[2:3], v[40:41]
	v_mul_f64_e32 v[28:29], v[4:5], v[40:41]
	s_wait_loadcnt_dscnt 0x100
	v_mul_f64_e32 v[18:19], v[6:7], v[137:138]
	v_mul_f64_e32 v[20:21], v[8:9], v[137:138]
	v_add_f64_e32 v[14:15], v[14:15], v[24:25]
	v_add_f64_e32 v[16:17], v[16:17], v[22:23]
	v_fma_f64 v[22:23], v[4:5], v[38:39], v[26:27]
	v_fma_f64 v[24:25], v[2:3], v[38:39], -v[28:29]
	ds_load_b128 v[2:5], v1 offset:1328
	v_fma_f64 v[8:9], v[8:9], v[135:136], v[18:19]
	v_fma_f64 v[6:7], v[6:7], v[135:136], -v[20:21]
	v_add_f64_e32 v[10:11], v[14:15], v[10:11]
	v_add_f64_e32 v[12:13], v[16:17], v[12:13]
	s_wait_loadcnt_dscnt 0x0
	v_mul_f64_e32 v[14:15], v[2:3], v[36:37]
	v_mul_f64_e32 v[16:17], v[4:5], v[36:37]
	s_delay_alu instid0(VALU_DEP_4) | instskip(NEXT) | instid1(VALU_DEP_4)
	v_add_f64_e32 v[10:11], v[10:11], v[24:25]
	v_add_f64_e32 v[12:13], v[12:13], v[22:23]
	s_delay_alu instid0(VALU_DEP_4) | instskip(NEXT) | instid1(VALU_DEP_4)
	v_fma_f64 v[4:5], v[4:5], v[34:35], v[14:15]
	v_fma_f64 v[2:3], v[2:3], v[34:35], -v[16:17]
	s_delay_alu instid0(VALU_DEP_4) | instskip(NEXT) | instid1(VALU_DEP_4)
	v_add_f64_e32 v[6:7], v[10:11], v[6:7]
	v_add_f64_e32 v[8:9], v[12:13], v[8:9]
	s_delay_alu instid0(VALU_DEP_2) | instskip(NEXT) | instid1(VALU_DEP_2)
	v_add_f64_e32 v[2:3], v[6:7], v[2:3]
	v_add_f64_e32 v[4:5], v[8:9], v[4:5]
	s_delay_alu instid0(VALU_DEP_2) | instskip(NEXT) | instid1(VALU_DEP_2)
	v_add_f64_e64 v[2:3], v[42:43], -v[2:3]
	v_add_f64_e64 v[4:5], v[44:45], -v[4:5]
	scratch_store_b128 off, v[2:5], off offset:496
	v_cmpx_lt_u32_e32 29, v0
	s_cbranch_execz .LBB105_207
; %bb.206:
	scratch_load_b128 v[5:8], off, s21
	v_dual_mov_b32 v2, v1 :: v_dual_mov_b32 v3, v1
	v_mov_b32_e32 v4, v1
	scratch_store_b128 off, v[1:4], off offset:480
	s_wait_loadcnt 0x0
	ds_store_b128 v130, v[5:8]
.LBB105_207:
	s_wait_alu 0xfffe
	s_or_b32 exec_lo, exec_lo, s0
	s_wait_storecnt_dscnt 0x0
	s_barrier_signal -1
	s_barrier_wait -1
	global_inv scope:SCOPE_SE
	s_clause 0x8
	scratch_load_b128 v[2:5], off, off offset:496
	scratch_load_b128 v[6:9], off, off offset:512
	;; [unrolled: 1-line block ×9, first 2 shown]
	ds_load_b128 v[38:41], v1 offset:1152
	ds_load_b128 v[42:45], v1 offset:1168
	s_clause 0x1
	scratch_load_b128 v[131:134], off, off offset:480
	scratch_load_b128 v[135:138], off, off offset:640
	s_mov_b32 s0, exec_lo
	s_wait_loadcnt_dscnt 0xa01
	v_mul_f64_e32 v[139:140], v[40:41], v[4:5]
	v_mul_f64_e32 v[4:5], v[38:39], v[4:5]
	s_wait_loadcnt_dscnt 0x900
	v_mul_f64_e32 v[143:144], v[42:43], v[8:9]
	v_mul_f64_e32 v[8:9], v[44:45], v[8:9]
	s_delay_alu instid0(VALU_DEP_4) | instskip(NEXT) | instid1(VALU_DEP_4)
	v_fma_f64 v[145:146], v[38:39], v[2:3], -v[139:140]
	v_fma_f64 v[147:148], v[40:41], v[2:3], v[4:5]
	ds_load_b128 v[2:5], v1 offset:1184
	ds_load_b128 v[139:142], v1 offset:1200
	scratch_load_b128 v[38:41], off, off offset:656
	v_fma_f64 v[44:45], v[44:45], v[6:7], v[143:144]
	v_fma_f64 v[42:43], v[42:43], v[6:7], -v[8:9]
	scratch_load_b128 v[6:9], off, off offset:672
	s_wait_loadcnt_dscnt 0xa01
	v_mul_f64_e32 v[149:150], v[2:3], v[12:13]
	v_mul_f64_e32 v[12:13], v[4:5], v[12:13]
	v_add_f64_e32 v[143:144], 0, v[145:146]
	v_add_f64_e32 v[145:146], 0, v[147:148]
	s_wait_loadcnt_dscnt 0x900
	v_mul_f64_e32 v[147:148], v[139:140], v[16:17]
	v_mul_f64_e32 v[16:17], v[141:142], v[16:17]
	v_fma_f64 v[149:150], v[4:5], v[10:11], v[149:150]
	v_fma_f64 v[151:152], v[2:3], v[10:11], -v[12:13]
	ds_load_b128 v[2:5], v1 offset:1216
	ds_load_b128 v[10:13], v1 offset:1232
	v_add_f64_e32 v[42:43], v[143:144], v[42:43]
	v_add_f64_e32 v[44:45], v[145:146], v[44:45]
	v_fma_f64 v[141:142], v[141:142], v[14:15], v[147:148]
	v_fma_f64 v[14:15], v[139:140], v[14:15], -v[16:17]
	s_wait_loadcnt_dscnt 0x801
	v_mul_f64_e32 v[143:144], v[2:3], v[20:21]
	v_mul_f64_e32 v[20:21], v[4:5], v[20:21]
	v_add_f64_e32 v[16:17], v[42:43], v[151:152]
	v_add_f64_e32 v[42:43], v[44:45], v[149:150]
	s_wait_loadcnt_dscnt 0x700
	v_mul_f64_e32 v[44:45], v[10:11], v[24:25]
	v_mul_f64_e32 v[24:25], v[12:13], v[24:25]
	v_fma_f64 v[139:140], v[4:5], v[18:19], v[143:144]
	v_fma_f64 v[18:19], v[2:3], v[18:19], -v[20:21]
	v_add_f64_e32 v[20:21], v[16:17], v[14:15]
	v_add_f64_e32 v[42:43], v[42:43], v[141:142]
	ds_load_b128 v[2:5], v1 offset:1248
	ds_load_b128 v[14:17], v1 offset:1264
	v_fma_f64 v[12:13], v[12:13], v[22:23], v[44:45]
	v_fma_f64 v[10:11], v[10:11], v[22:23], -v[24:25]
	s_wait_loadcnt_dscnt 0x601
	v_mul_f64_e32 v[141:142], v[2:3], v[28:29]
	v_mul_f64_e32 v[28:29], v[4:5], v[28:29]
	s_wait_loadcnt_dscnt 0x500
	v_mul_f64_e32 v[22:23], v[14:15], v[32:33]
	v_mul_f64_e32 v[24:25], v[16:17], v[32:33]
	v_add_f64_e32 v[18:19], v[20:21], v[18:19]
	v_add_f64_e32 v[20:21], v[42:43], v[139:140]
	v_fma_f64 v[32:33], v[4:5], v[26:27], v[141:142]
	v_fma_f64 v[26:27], v[2:3], v[26:27], -v[28:29]
	v_fma_f64 v[16:17], v[16:17], v[30:31], v[22:23]
	v_fma_f64 v[14:15], v[14:15], v[30:31], -v[24:25]
	v_add_f64_e32 v[18:19], v[18:19], v[10:11]
	v_add_f64_e32 v[20:21], v[20:21], v[12:13]
	ds_load_b128 v[2:5], v1 offset:1280
	ds_load_b128 v[10:13], v1 offset:1296
	s_wait_loadcnt_dscnt 0x401
	v_mul_f64_e32 v[28:29], v[2:3], v[36:37]
	v_mul_f64_e32 v[36:37], v[4:5], v[36:37]
	s_wait_loadcnt_dscnt 0x200
	v_mul_f64_e32 v[22:23], v[10:11], v[137:138]
	v_mul_f64_e32 v[24:25], v[12:13], v[137:138]
	v_add_f64_e32 v[18:19], v[18:19], v[26:27]
	v_add_f64_e32 v[20:21], v[20:21], v[32:33]
	v_fma_f64 v[26:27], v[4:5], v[34:35], v[28:29]
	v_fma_f64 v[28:29], v[2:3], v[34:35], -v[36:37]
	v_fma_f64 v[12:13], v[12:13], v[135:136], v[22:23]
	v_fma_f64 v[10:11], v[10:11], v[135:136], -v[24:25]
	v_add_f64_e32 v[18:19], v[18:19], v[14:15]
	v_add_f64_e32 v[20:21], v[20:21], v[16:17]
	ds_load_b128 v[2:5], v1 offset:1312
	ds_load_b128 v[14:17], v1 offset:1328
	s_wait_loadcnt_dscnt 0x101
	v_mul_f64_e32 v[30:31], v[2:3], v[40:41]
	v_mul_f64_e32 v[32:33], v[4:5], v[40:41]
	s_wait_loadcnt_dscnt 0x0
	v_mul_f64_e32 v[22:23], v[14:15], v[8:9]
	v_mul_f64_e32 v[8:9], v[16:17], v[8:9]
	v_add_f64_e32 v[18:19], v[18:19], v[28:29]
	v_add_f64_e32 v[20:21], v[20:21], v[26:27]
	v_fma_f64 v[4:5], v[4:5], v[38:39], v[30:31]
	v_fma_f64 v[1:2], v[2:3], v[38:39], -v[32:33]
	v_fma_f64 v[16:17], v[16:17], v[6:7], v[22:23]
	v_fma_f64 v[6:7], v[14:15], v[6:7], -v[8:9]
	v_add_f64_e32 v[10:11], v[18:19], v[10:11]
	v_add_f64_e32 v[12:13], v[20:21], v[12:13]
	s_delay_alu instid0(VALU_DEP_2) | instskip(NEXT) | instid1(VALU_DEP_2)
	v_add_f64_e32 v[1:2], v[10:11], v[1:2]
	v_add_f64_e32 v[3:4], v[12:13], v[4:5]
	s_delay_alu instid0(VALU_DEP_2) | instskip(NEXT) | instid1(VALU_DEP_2)
	;; [unrolled: 3-line block ×3, first 2 shown]
	v_add_f64_e64 v[1:2], v[131:132], -v[1:2]
	v_add_f64_e64 v[3:4], v[133:134], -v[3:4]
	scratch_store_b128 off, v[1:4], off offset:480
	v_cmpx_lt_u32_e32 28, v0
	s_cbranch_execz .LBB105_209
; %bb.208:
	scratch_load_b128 v[1:4], off, s42
	v_mov_b32_e32 v5, 0
	s_delay_alu instid0(VALU_DEP_1)
	v_dual_mov_b32 v6, v5 :: v_dual_mov_b32 v7, v5
	v_mov_b32_e32 v8, v5
	scratch_store_b128 off, v[5:8], off offset:464
	s_wait_loadcnt 0x0
	ds_store_b128 v130, v[1:4]
.LBB105_209:
	s_wait_alu 0xfffe
	s_or_b32 exec_lo, exec_lo, s0
	s_wait_storecnt_dscnt 0x0
	s_barrier_signal -1
	s_barrier_wait -1
	global_inv scope:SCOPE_SE
	s_clause 0x7
	scratch_load_b128 v[2:5], off, off offset:480
	scratch_load_b128 v[6:9], off, off offset:496
	;; [unrolled: 1-line block ×8, first 2 shown]
	v_mov_b32_e32 v1, 0
	s_mov_b32 s0, exec_lo
	ds_load_b128 v[34:37], v1 offset:1136
	s_clause 0x1
	scratch_load_b128 v[38:41], off, off offset:608
	scratch_load_b128 v[42:45], off, off offset:464
	ds_load_b128 v[131:134], v1 offset:1152
	scratch_load_b128 v[135:138], off, off offset:624
	s_wait_loadcnt_dscnt 0xa01
	v_mul_f64_e32 v[139:140], v[36:37], v[4:5]
	v_mul_f64_e32 v[4:5], v[34:35], v[4:5]
	s_delay_alu instid0(VALU_DEP_2) | instskip(NEXT) | instid1(VALU_DEP_2)
	v_fma_f64 v[145:146], v[34:35], v[2:3], -v[139:140]
	v_fma_f64 v[147:148], v[36:37], v[2:3], v[4:5]
	ds_load_b128 v[2:5], v1 offset:1168
	s_wait_loadcnt_dscnt 0x901
	v_mul_f64_e32 v[143:144], v[131:132], v[8:9]
	v_mul_f64_e32 v[8:9], v[133:134], v[8:9]
	scratch_load_b128 v[34:37], off, off offset:640
	ds_load_b128 v[139:142], v1 offset:1184
	s_wait_loadcnt_dscnt 0x901
	v_mul_f64_e32 v[149:150], v[2:3], v[12:13]
	v_mul_f64_e32 v[12:13], v[4:5], v[12:13]
	v_fma_f64 v[133:134], v[133:134], v[6:7], v[143:144]
	v_fma_f64 v[131:132], v[131:132], v[6:7], -v[8:9]
	v_add_f64_e32 v[143:144], 0, v[145:146]
	v_add_f64_e32 v[145:146], 0, v[147:148]
	scratch_load_b128 v[6:9], off, off offset:656
	v_fma_f64 v[149:150], v[4:5], v[10:11], v[149:150]
	v_fma_f64 v[151:152], v[2:3], v[10:11], -v[12:13]
	ds_load_b128 v[2:5], v1 offset:1200
	s_wait_loadcnt_dscnt 0x901
	v_mul_f64_e32 v[147:148], v[139:140], v[16:17]
	v_mul_f64_e32 v[16:17], v[141:142], v[16:17]
	scratch_load_b128 v[10:13], off, off offset:672
	v_add_f64_e32 v[143:144], v[143:144], v[131:132]
	v_add_f64_e32 v[145:146], v[145:146], v[133:134]
	s_wait_loadcnt_dscnt 0x900
	v_mul_f64_e32 v[153:154], v[2:3], v[20:21]
	v_mul_f64_e32 v[20:21], v[4:5], v[20:21]
	ds_load_b128 v[131:134], v1 offset:1216
	v_fma_f64 v[141:142], v[141:142], v[14:15], v[147:148]
	v_fma_f64 v[14:15], v[139:140], v[14:15], -v[16:17]
	v_add_f64_e32 v[16:17], v[143:144], v[151:152]
	v_add_f64_e32 v[139:140], v[145:146], v[149:150]
	s_wait_loadcnt_dscnt 0x800
	v_mul_f64_e32 v[143:144], v[131:132], v[24:25]
	v_mul_f64_e32 v[24:25], v[133:134], v[24:25]
	v_fma_f64 v[145:146], v[4:5], v[18:19], v[153:154]
	v_fma_f64 v[18:19], v[2:3], v[18:19], -v[20:21]
	v_add_f64_e32 v[20:21], v[16:17], v[14:15]
	v_add_f64_e32 v[139:140], v[139:140], v[141:142]
	ds_load_b128 v[2:5], v1 offset:1232
	ds_load_b128 v[14:17], v1 offset:1248
	v_fma_f64 v[133:134], v[133:134], v[22:23], v[143:144]
	v_fma_f64 v[22:23], v[131:132], v[22:23], -v[24:25]
	s_wait_loadcnt_dscnt 0x701
	v_mul_f64_e32 v[141:142], v[2:3], v[28:29]
	v_mul_f64_e32 v[28:29], v[4:5], v[28:29]
	s_wait_loadcnt_dscnt 0x600
	v_mul_f64_e32 v[24:25], v[14:15], v[32:33]
	v_mul_f64_e32 v[32:33], v[16:17], v[32:33]
	v_add_f64_e32 v[18:19], v[20:21], v[18:19]
	v_add_f64_e32 v[20:21], v[139:140], v[145:146]
	v_fma_f64 v[131:132], v[4:5], v[26:27], v[141:142]
	v_fma_f64 v[26:27], v[2:3], v[26:27], -v[28:29]
	v_fma_f64 v[16:17], v[16:17], v[30:31], v[24:25]
	v_fma_f64 v[14:15], v[14:15], v[30:31], -v[32:33]
	v_add_f64_e32 v[22:23], v[18:19], v[22:23]
	v_add_f64_e32 v[28:29], v[20:21], v[133:134]
	ds_load_b128 v[2:5], v1 offset:1264
	ds_load_b128 v[18:21], v1 offset:1280
	s_wait_loadcnt_dscnt 0x501
	v_mul_f64_e32 v[133:134], v[2:3], v[40:41]
	v_mul_f64_e32 v[40:41], v[4:5], v[40:41]
	v_add_f64_e32 v[22:23], v[22:23], v[26:27]
	v_add_f64_e32 v[24:25], v[28:29], v[131:132]
	s_wait_loadcnt_dscnt 0x300
	v_mul_f64_e32 v[26:27], v[18:19], v[137:138]
	v_mul_f64_e32 v[28:29], v[20:21], v[137:138]
	v_fma_f64 v[30:31], v[4:5], v[38:39], v[133:134]
	v_fma_f64 v[32:33], v[2:3], v[38:39], -v[40:41]
	v_add_f64_e32 v[22:23], v[22:23], v[14:15]
	v_add_f64_e32 v[24:25], v[24:25], v[16:17]
	ds_load_b128 v[2:5], v1 offset:1296
	ds_load_b128 v[14:17], v1 offset:1312
	v_fma_f64 v[20:21], v[20:21], v[135:136], v[26:27]
	v_fma_f64 v[18:19], v[18:19], v[135:136], -v[28:29]
	s_wait_loadcnt_dscnt 0x201
	v_mul_f64_e32 v[38:39], v[2:3], v[36:37]
	v_mul_f64_e32 v[36:37], v[4:5], v[36:37]
	v_add_f64_e32 v[22:23], v[22:23], v[32:33]
	v_add_f64_e32 v[24:25], v[24:25], v[30:31]
	s_wait_loadcnt_dscnt 0x100
	v_mul_f64_e32 v[26:27], v[14:15], v[8:9]
	v_mul_f64_e32 v[8:9], v[16:17], v[8:9]
	v_fma_f64 v[28:29], v[4:5], v[34:35], v[38:39]
	v_fma_f64 v[30:31], v[2:3], v[34:35], -v[36:37]
	ds_load_b128 v[2:5], v1 offset:1328
	v_add_f64_e32 v[18:19], v[22:23], v[18:19]
	v_add_f64_e32 v[20:21], v[24:25], v[20:21]
	s_wait_loadcnt_dscnt 0x0
	v_mul_f64_e32 v[22:23], v[2:3], v[12:13]
	v_mul_f64_e32 v[12:13], v[4:5], v[12:13]
	v_fma_f64 v[16:17], v[16:17], v[6:7], v[26:27]
	v_fma_f64 v[6:7], v[14:15], v[6:7], -v[8:9]
	v_add_f64_e32 v[8:9], v[18:19], v[30:31]
	v_add_f64_e32 v[14:15], v[20:21], v[28:29]
	v_fma_f64 v[4:5], v[4:5], v[10:11], v[22:23]
	v_fma_f64 v[2:3], v[2:3], v[10:11], -v[12:13]
	s_delay_alu instid0(VALU_DEP_4) | instskip(NEXT) | instid1(VALU_DEP_4)
	v_add_f64_e32 v[6:7], v[8:9], v[6:7]
	v_add_f64_e32 v[8:9], v[14:15], v[16:17]
	s_delay_alu instid0(VALU_DEP_2) | instskip(NEXT) | instid1(VALU_DEP_2)
	v_add_f64_e32 v[2:3], v[6:7], v[2:3]
	v_add_f64_e32 v[4:5], v[8:9], v[4:5]
	s_delay_alu instid0(VALU_DEP_2) | instskip(NEXT) | instid1(VALU_DEP_2)
	v_add_f64_e64 v[2:3], v[42:43], -v[2:3]
	v_add_f64_e64 v[4:5], v[44:45], -v[4:5]
	scratch_store_b128 off, v[2:5], off offset:464
	v_cmpx_lt_u32_e32 27, v0
	s_cbranch_execz .LBB105_211
; %bb.210:
	scratch_load_b128 v[5:8], off, s20
	v_dual_mov_b32 v2, v1 :: v_dual_mov_b32 v3, v1
	v_mov_b32_e32 v4, v1
	scratch_store_b128 off, v[1:4], off offset:448
	s_wait_loadcnt 0x0
	ds_store_b128 v130, v[5:8]
.LBB105_211:
	s_wait_alu 0xfffe
	s_or_b32 exec_lo, exec_lo, s0
	s_wait_storecnt_dscnt 0x0
	s_barrier_signal -1
	s_barrier_wait -1
	global_inv scope:SCOPE_SE
	s_clause 0x8
	scratch_load_b128 v[2:5], off, off offset:464
	scratch_load_b128 v[6:9], off, off offset:480
	;; [unrolled: 1-line block ×9, first 2 shown]
	ds_load_b128 v[38:41], v1 offset:1120
	ds_load_b128 v[42:45], v1 offset:1136
	s_clause 0x1
	scratch_load_b128 v[131:134], off, off offset:448
	scratch_load_b128 v[135:138], off, off offset:608
	s_mov_b32 s0, exec_lo
	s_wait_loadcnt_dscnt 0xa01
	v_mul_f64_e32 v[139:140], v[40:41], v[4:5]
	v_mul_f64_e32 v[4:5], v[38:39], v[4:5]
	s_wait_loadcnt_dscnt 0x900
	v_mul_f64_e32 v[143:144], v[42:43], v[8:9]
	v_mul_f64_e32 v[8:9], v[44:45], v[8:9]
	s_delay_alu instid0(VALU_DEP_4) | instskip(NEXT) | instid1(VALU_DEP_4)
	v_fma_f64 v[145:146], v[38:39], v[2:3], -v[139:140]
	v_fma_f64 v[147:148], v[40:41], v[2:3], v[4:5]
	ds_load_b128 v[2:5], v1 offset:1152
	ds_load_b128 v[139:142], v1 offset:1168
	scratch_load_b128 v[38:41], off, off offset:624
	v_fma_f64 v[44:45], v[44:45], v[6:7], v[143:144]
	v_fma_f64 v[42:43], v[42:43], v[6:7], -v[8:9]
	scratch_load_b128 v[6:9], off, off offset:640
	s_wait_loadcnt_dscnt 0xa01
	v_mul_f64_e32 v[149:150], v[2:3], v[12:13]
	v_mul_f64_e32 v[12:13], v[4:5], v[12:13]
	v_add_f64_e32 v[143:144], 0, v[145:146]
	v_add_f64_e32 v[145:146], 0, v[147:148]
	s_wait_loadcnt_dscnt 0x900
	v_mul_f64_e32 v[147:148], v[139:140], v[16:17]
	v_mul_f64_e32 v[16:17], v[141:142], v[16:17]
	v_fma_f64 v[149:150], v[4:5], v[10:11], v[149:150]
	v_fma_f64 v[151:152], v[2:3], v[10:11], -v[12:13]
	ds_load_b128 v[2:5], v1 offset:1184
	scratch_load_b128 v[10:13], off, off offset:656
	v_add_f64_e32 v[143:144], v[143:144], v[42:43]
	v_add_f64_e32 v[145:146], v[145:146], v[44:45]
	ds_load_b128 v[42:45], v1 offset:1200
	v_fma_f64 v[141:142], v[141:142], v[14:15], v[147:148]
	v_fma_f64 v[139:140], v[139:140], v[14:15], -v[16:17]
	scratch_load_b128 v[14:17], off, off offset:672
	s_wait_loadcnt_dscnt 0xa01
	v_mul_f64_e32 v[153:154], v[2:3], v[20:21]
	v_mul_f64_e32 v[20:21], v[4:5], v[20:21]
	s_wait_loadcnt_dscnt 0x900
	v_mul_f64_e32 v[147:148], v[42:43], v[24:25]
	v_mul_f64_e32 v[24:25], v[44:45], v[24:25]
	v_add_f64_e32 v[143:144], v[143:144], v[151:152]
	v_add_f64_e32 v[145:146], v[145:146], v[149:150]
	v_fma_f64 v[149:150], v[4:5], v[18:19], v[153:154]
	v_fma_f64 v[151:152], v[2:3], v[18:19], -v[20:21]
	ds_load_b128 v[2:5], v1 offset:1216
	ds_load_b128 v[18:21], v1 offset:1232
	v_fma_f64 v[44:45], v[44:45], v[22:23], v[147:148]
	v_fma_f64 v[22:23], v[42:43], v[22:23], -v[24:25]
	v_add_f64_e32 v[139:140], v[143:144], v[139:140]
	v_add_f64_e32 v[141:142], v[145:146], v[141:142]
	s_wait_loadcnt_dscnt 0x801
	v_mul_f64_e32 v[143:144], v[2:3], v[28:29]
	v_mul_f64_e32 v[28:29], v[4:5], v[28:29]
	s_delay_alu instid0(VALU_DEP_4) | instskip(NEXT) | instid1(VALU_DEP_4)
	v_add_f64_e32 v[24:25], v[139:140], v[151:152]
	v_add_f64_e32 v[42:43], v[141:142], v[149:150]
	s_wait_loadcnt_dscnt 0x700
	v_mul_f64_e32 v[139:140], v[18:19], v[32:33]
	v_mul_f64_e32 v[32:33], v[20:21], v[32:33]
	v_fma_f64 v[141:142], v[4:5], v[26:27], v[143:144]
	v_fma_f64 v[26:27], v[2:3], v[26:27], -v[28:29]
	v_add_f64_e32 v[28:29], v[24:25], v[22:23]
	v_add_f64_e32 v[42:43], v[42:43], v[44:45]
	ds_load_b128 v[2:5], v1 offset:1248
	ds_load_b128 v[22:25], v1 offset:1264
	v_fma_f64 v[20:21], v[20:21], v[30:31], v[139:140]
	v_fma_f64 v[18:19], v[18:19], v[30:31], -v[32:33]
	s_wait_loadcnt_dscnt 0x601
	v_mul_f64_e32 v[44:45], v[2:3], v[36:37]
	v_mul_f64_e32 v[36:37], v[4:5], v[36:37]
	s_wait_loadcnt_dscnt 0x400
	v_mul_f64_e32 v[30:31], v[22:23], v[137:138]
	v_mul_f64_e32 v[32:33], v[24:25], v[137:138]
	v_add_f64_e32 v[26:27], v[28:29], v[26:27]
	v_add_f64_e32 v[28:29], v[42:43], v[141:142]
	v_fma_f64 v[42:43], v[4:5], v[34:35], v[44:45]
	v_fma_f64 v[34:35], v[2:3], v[34:35], -v[36:37]
	v_fma_f64 v[24:25], v[24:25], v[135:136], v[30:31]
	v_fma_f64 v[22:23], v[22:23], v[135:136], -v[32:33]
	v_add_f64_e32 v[26:27], v[26:27], v[18:19]
	v_add_f64_e32 v[28:29], v[28:29], v[20:21]
	ds_load_b128 v[2:5], v1 offset:1280
	ds_load_b128 v[18:21], v1 offset:1296
	s_wait_loadcnt_dscnt 0x301
	v_mul_f64_e32 v[36:37], v[2:3], v[40:41]
	v_mul_f64_e32 v[40:41], v[4:5], v[40:41]
	s_wait_loadcnt_dscnt 0x200
	v_mul_f64_e32 v[30:31], v[18:19], v[8:9]
	v_mul_f64_e32 v[8:9], v[20:21], v[8:9]
	v_add_f64_e32 v[26:27], v[26:27], v[34:35]
	v_add_f64_e32 v[28:29], v[28:29], v[42:43]
	v_fma_f64 v[32:33], v[4:5], v[38:39], v[36:37]
	v_fma_f64 v[34:35], v[2:3], v[38:39], -v[40:41]
	v_fma_f64 v[20:21], v[20:21], v[6:7], v[30:31]
	v_fma_f64 v[6:7], v[18:19], v[6:7], -v[8:9]
	v_add_f64_e32 v[26:27], v[26:27], v[22:23]
	v_add_f64_e32 v[28:29], v[28:29], v[24:25]
	ds_load_b128 v[2:5], v1 offset:1312
	ds_load_b128 v[22:25], v1 offset:1328
	s_wait_loadcnt_dscnt 0x101
	v_mul_f64_e32 v[36:37], v[2:3], v[12:13]
	v_mul_f64_e32 v[12:13], v[4:5], v[12:13]
	v_add_f64_e32 v[8:9], v[26:27], v[34:35]
	v_add_f64_e32 v[18:19], v[28:29], v[32:33]
	s_wait_loadcnt_dscnt 0x0
	v_mul_f64_e32 v[26:27], v[22:23], v[16:17]
	v_mul_f64_e32 v[16:17], v[24:25], v[16:17]
	v_fma_f64 v[4:5], v[4:5], v[10:11], v[36:37]
	v_fma_f64 v[1:2], v[2:3], v[10:11], -v[12:13]
	v_add_f64_e32 v[6:7], v[8:9], v[6:7]
	v_add_f64_e32 v[8:9], v[18:19], v[20:21]
	v_fma_f64 v[10:11], v[24:25], v[14:15], v[26:27]
	v_fma_f64 v[12:13], v[22:23], v[14:15], -v[16:17]
	s_delay_alu instid0(VALU_DEP_4) | instskip(NEXT) | instid1(VALU_DEP_4)
	v_add_f64_e32 v[1:2], v[6:7], v[1:2]
	v_add_f64_e32 v[3:4], v[8:9], v[4:5]
	s_delay_alu instid0(VALU_DEP_2) | instskip(NEXT) | instid1(VALU_DEP_2)
	v_add_f64_e32 v[1:2], v[1:2], v[12:13]
	v_add_f64_e32 v[3:4], v[3:4], v[10:11]
	s_delay_alu instid0(VALU_DEP_2) | instskip(NEXT) | instid1(VALU_DEP_2)
	v_add_f64_e64 v[1:2], v[131:132], -v[1:2]
	v_add_f64_e64 v[3:4], v[133:134], -v[3:4]
	scratch_store_b128 off, v[1:4], off offset:448
	v_cmpx_lt_u32_e32 26, v0
	s_cbranch_execz .LBB105_213
; %bb.212:
	scratch_load_b128 v[1:4], off, s41
	v_mov_b32_e32 v5, 0
	s_delay_alu instid0(VALU_DEP_1)
	v_dual_mov_b32 v6, v5 :: v_dual_mov_b32 v7, v5
	v_mov_b32_e32 v8, v5
	scratch_store_b128 off, v[5:8], off offset:432
	s_wait_loadcnt 0x0
	ds_store_b128 v130, v[1:4]
.LBB105_213:
	s_wait_alu 0xfffe
	s_or_b32 exec_lo, exec_lo, s0
	s_wait_storecnt_dscnt 0x0
	s_barrier_signal -1
	s_barrier_wait -1
	global_inv scope:SCOPE_SE
	s_clause 0x7
	scratch_load_b128 v[2:5], off, off offset:448
	scratch_load_b128 v[6:9], off, off offset:464
	;; [unrolled: 1-line block ×8, first 2 shown]
	v_mov_b32_e32 v1, 0
	s_mov_b32 s0, exec_lo
	ds_load_b128 v[34:37], v1 offset:1104
	s_clause 0x1
	scratch_load_b128 v[38:41], off, off offset:576
	scratch_load_b128 v[42:45], off, off offset:432
	ds_load_b128 v[131:134], v1 offset:1120
	scratch_load_b128 v[135:138], off, off offset:592
	s_wait_loadcnt_dscnt 0xa01
	v_mul_f64_e32 v[139:140], v[36:37], v[4:5]
	v_mul_f64_e32 v[4:5], v[34:35], v[4:5]
	s_delay_alu instid0(VALU_DEP_2) | instskip(NEXT) | instid1(VALU_DEP_2)
	v_fma_f64 v[145:146], v[34:35], v[2:3], -v[139:140]
	v_fma_f64 v[147:148], v[36:37], v[2:3], v[4:5]
	ds_load_b128 v[2:5], v1 offset:1136
	s_wait_loadcnt_dscnt 0x901
	v_mul_f64_e32 v[143:144], v[131:132], v[8:9]
	v_mul_f64_e32 v[8:9], v[133:134], v[8:9]
	scratch_load_b128 v[34:37], off, off offset:608
	ds_load_b128 v[139:142], v1 offset:1152
	s_wait_loadcnt_dscnt 0x901
	v_mul_f64_e32 v[149:150], v[2:3], v[12:13]
	v_mul_f64_e32 v[12:13], v[4:5], v[12:13]
	v_fma_f64 v[133:134], v[133:134], v[6:7], v[143:144]
	v_fma_f64 v[131:132], v[131:132], v[6:7], -v[8:9]
	v_add_f64_e32 v[143:144], 0, v[145:146]
	v_add_f64_e32 v[145:146], 0, v[147:148]
	scratch_load_b128 v[6:9], off, off offset:624
	v_fma_f64 v[149:150], v[4:5], v[10:11], v[149:150]
	v_fma_f64 v[151:152], v[2:3], v[10:11], -v[12:13]
	ds_load_b128 v[2:5], v1 offset:1168
	s_wait_loadcnt_dscnt 0x901
	v_mul_f64_e32 v[147:148], v[139:140], v[16:17]
	v_mul_f64_e32 v[16:17], v[141:142], v[16:17]
	scratch_load_b128 v[10:13], off, off offset:640
	v_add_f64_e32 v[143:144], v[143:144], v[131:132]
	v_add_f64_e32 v[145:146], v[145:146], v[133:134]
	s_wait_loadcnt_dscnt 0x900
	v_mul_f64_e32 v[153:154], v[2:3], v[20:21]
	v_mul_f64_e32 v[20:21], v[4:5], v[20:21]
	ds_load_b128 v[131:134], v1 offset:1184
	v_fma_f64 v[141:142], v[141:142], v[14:15], v[147:148]
	v_fma_f64 v[139:140], v[139:140], v[14:15], -v[16:17]
	scratch_load_b128 v[14:17], off, off offset:656
	v_add_f64_e32 v[143:144], v[143:144], v[151:152]
	v_add_f64_e32 v[145:146], v[145:146], v[149:150]
	v_fma_f64 v[149:150], v[4:5], v[18:19], v[153:154]
	v_fma_f64 v[151:152], v[2:3], v[18:19], -v[20:21]
	ds_load_b128 v[2:5], v1 offset:1200
	s_wait_loadcnt_dscnt 0x901
	v_mul_f64_e32 v[147:148], v[131:132], v[24:25]
	v_mul_f64_e32 v[24:25], v[133:134], v[24:25]
	scratch_load_b128 v[18:21], off, off offset:672
	s_wait_loadcnt_dscnt 0x900
	v_mul_f64_e32 v[153:154], v[2:3], v[28:29]
	v_mul_f64_e32 v[28:29], v[4:5], v[28:29]
	v_add_f64_e32 v[143:144], v[143:144], v[139:140]
	v_add_f64_e32 v[145:146], v[145:146], v[141:142]
	ds_load_b128 v[139:142], v1 offset:1216
	v_fma_f64 v[133:134], v[133:134], v[22:23], v[147:148]
	v_fma_f64 v[22:23], v[131:132], v[22:23], -v[24:25]
	v_add_f64_e32 v[24:25], v[143:144], v[151:152]
	v_add_f64_e32 v[131:132], v[145:146], v[149:150]
	s_wait_loadcnt_dscnt 0x800
	v_mul_f64_e32 v[143:144], v[139:140], v[32:33]
	v_mul_f64_e32 v[32:33], v[141:142], v[32:33]
	v_fma_f64 v[145:146], v[4:5], v[26:27], v[153:154]
	v_fma_f64 v[26:27], v[2:3], v[26:27], -v[28:29]
	v_add_f64_e32 v[28:29], v[24:25], v[22:23]
	v_add_f64_e32 v[131:132], v[131:132], v[133:134]
	ds_load_b128 v[2:5], v1 offset:1232
	ds_load_b128 v[22:25], v1 offset:1248
	v_fma_f64 v[141:142], v[141:142], v[30:31], v[143:144]
	v_fma_f64 v[30:31], v[139:140], v[30:31], -v[32:33]
	s_wait_loadcnt_dscnt 0x701
	v_mul_f64_e32 v[133:134], v[2:3], v[40:41]
	v_mul_f64_e32 v[40:41], v[4:5], v[40:41]
	s_wait_loadcnt_dscnt 0x500
	v_mul_f64_e32 v[32:33], v[22:23], v[137:138]
	v_add_f64_e32 v[26:27], v[28:29], v[26:27]
	v_add_f64_e32 v[28:29], v[131:132], v[145:146]
	v_mul_f64_e32 v[131:132], v[24:25], v[137:138]
	v_fma_f64 v[133:134], v[4:5], v[38:39], v[133:134]
	v_fma_f64 v[38:39], v[2:3], v[38:39], -v[40:41]
	v_fma_f64 v[24:25], v[24:25], v[135:136], v[32:33]
	v_add_f64_e32 v[30:31], v[26:27], v[30:31]
	v_add_f64_e32 v[40:41], v[28:29], v[141:142]
	ds_load_b128 v[2:5], v1 offset:1264
	ds_load_b128 v[26:29], v1 offset:1280
	v_fma_f64 v[22:23], v[22:23], v[135:136], -v[131:132]
	s_wait_loadcnt_dscnt 0x401
	v_mul_f64_e32 v[137:138], v[2:3], v[36:37]
	v_mul_f64_e32 v[36:37], v[4:5], v[36:37]
	v_add_f64_e32 v[30:31], v[30:31], v[38:39]
	v_add_f64_e32 v[32:33], v[40:41], v[133:134]
	s_wait_loadcnt_dscnt 0x300
	v_mul_f64_e32 v[38:39], v[26:27], v[8:9]
	v_mul_f64_e32 v[8:9], v[28:29], v[8:9]
	v_fma_f64 v[40:41], v[4:5], v[34:35], v[137:138]
	v_fma_f64 v[34:35], v[2:3], v[34:35], -v[36:37]
	v_add_f64_e32 v[30:31], v[30:31], v[22:23]
	v_add_f64_e32 v[32:33], v[32:33], v[24:25]
	ds_load_b128 v[2:5], v1 offset:1296
	ds_load_b128 v[22:25], v1 offset:1312
	v_fma_f64 v[28:29], v[28:29], v[6:7], v[38:39]
	v_fma_f64 v[6:7], v[26:27], v[6:7], -v[8:9]
	s_wait_loadcnt_dscnt 0x201
	v_mul_f64_e32 v[36:37], v[2:3], v[12:13]
	v_mul_f64_e32 v[12:13], v[4:5], v[12:13]
	v_add_f64_e32 v[8:9], v[30:31], v[34:35]
	v_add_f64_e32 v[26:27], v[32:33], v[40:41]
	s_wait_loadcnt_dscnt 0x100
	v_mul_f64_e32 v[30:31], v[22:23], v[16:17]
	v_mul_f64_e32 v[16:17], v[24:25], v[16:17]
	v_fma_f64 v[32:33], v[4:5], v[10:11], v[36:37]
	v_fma_f64 v[10:11], v[2:3], v[10:11], -v[12:13]
	ds_load_b128 v[2:5], v1 offset:1328
	v_add_f64_e32 v[6:7], v[8:9], v[6:7]
	v_add_f64_e32 v[8:9], v[26:27], v[28:29]
	v_fma_f64 v[24:25], v[24:25], v[14:15], v[30:31]
	v_fma_f64 v[14:15], v[22:23], v[14:15], -v[16:17]
	s_wait_loadcnt_dscnt 0x0
	v_mul_f64_e32 v[12:13], v[2:3], v[20:21]
	v_mul_f64_e32 v[20:21], v[4:5], v[20:21]
	v_add_f64_e32 v[6:7], v[6:7], v[10:11]
	v_add_f64_e32 v[8:9], v[8:9], v[32:33]
	s_delay_alu instid0(VALU_DEP_4) | instskip(NEXT) | instid1(VALU_DEP_4)
	v_fma_f64 v[4:5], v[4:5], v[18:19], v[12:13]
	v_fma_f64 v[2:3], v[2:3], v[18:19], -v[20:21]
	s_delay_alu instid0(VALU_DEP_4) | instskip(NEXT) | instid1(VALU_DEP_4)
	v_add_f64_e32 v[6:7], v[6:7], v[14:15]
	v_add_f64_e32 v[8:9], v[8:9], v[24:25]
	s_delay_alu instid0(VALU_DEP_2) | instskip(NEXT) | instid1(VALU_DEP_2)
	v_add_f64_e32 v[2:3], v[6:7], v[2:3]
	v_add_f64_e32 v[4:5], v[8:9], v[4:5]
	s_delay_alu instid0(VALU_DEP_2) | instskip(NEXT) | instid1(VALU_DEP_2)
	v_add_f64_e64 v[2:3], v[42:43], -v[2:3]
	v_add_f64_e64 v[4:5], v[44:45], -v[4:5]
	scratch_store_b128 off, v[2:5], off offset:432
	v_cmpx_lt_u32_e32 25, v0
	s_cbranch_execz .LBB105_215
; %bb.214:
	scratch_load_b128 v[5:8], off, s19
	v_dual_mov_b32 v2, v1 :: v_dual_mov_b32 v3, v1
	v_mov_b32_e32 v4, v1
	scratch_store_b128 off, v[1:4], off offset:416
	s_wait_loadcnt 0x0
	ds_store_b128 v130, v[5:8]
.LBB105_215:
	s_wait_alu 0xfffe
	s_or_b32 exec_lo, exec_lo, s0
	s_wait_storecnt_dscnt 0x0
	s_barrier_signal -1
	s_barrier_wait -1
	global_inv scope:SCOPE_SE
	s_clause 0x8
	scratch_load_b128 v[2:5], off, off offset:432
	scratch_load_b128 v[6:9], off, off offset:448
	;; [unrolled: 1-line block ×9, first 2 shown]
	ds_load_b128 v[38:41], v1 offset:1088
	ds_load_b128 v[42:45], v1 offset:1104
	s_clause 0x1
	scratch_load_b128 v[131:134], off, off offset:416
	scratch_load_b128 v[135:138], off, off offset:576
	s_mov_b32 s0, exec_lo
	s_wait_loadcnt_dscnt 0xa01
	v_mul_f64_e32 v[139:140], v[40:41], v[4:5]
	v_mul_f64_e32 v[4:5], v[38:39], v[4:5]
	s_wait_loadcnt_dscnt 0x900
	v_mul_f64_e32 v[143:144], v[42:43], v[8:9]
	v_mul_f64_e32 v[8:9], v[44:45], v[8:9]
	s_delay_alu instid0(VALU_DEP_4) | instskip(NEXT) | instid1(VALU_DEP_4)
	v_fma_f64 v[145:146], v[38:39], v[2:3], -v[139:140]
	v_fma_f64 v[147:148], v[40:41], v[2:3], v[4:5]
	ds_load_b128 v[2:5], v1 offset:1120
	ds_load_b128 v[139:142], v1 offset:1136
	scratch_load_b128 v[38:41], off, off offset:592
	v_fma_f64 v[44:45], v[44:45], v[6:7], v[143:144]
	v_fma_f64 v[42:43], v[42:43], v[6:7], -v[8:9]
	scratch_load_b128 v[6:9], off, off offset:608
	s_wait_loadcnt_dscnt 0xa01
	v_mul_f64_e32 v[149:150], v[2:3], v[12:13]
	v_mul_f64_e32 v[12:13], v[4:5], v[12:13]
	v_add_f64_e32 v[143:144], 0, v[145:146]
	v_add_f64_e32 v[145:146], 0, v[147:148]
	s_wait_loadcnt_dscnt 0x900
	v_mul_f64_e32 v[147:148], v[139:140], v[16:17]
	v_mul_f64_e32 v[16:17], v[141:142], v[16:17]
	v_fma_f64 v[149:150], v[4:5], v[10:11], v[149:150]
	v_fma_f64 v[151:152], v[2:3], v[10:11], -v[12:13]
	ds_load_b128 v[2:5], v1 offset:1152
	scratch_load_b128 v[10:13], off, off offset:624
	v_add_f64_e32 v[143:144], v[143:144], v[42:43]
	v_add_f64_e32 v[145:146], v[145:146], v[44:45]
	ds_load_b128 v[42:45], v1 offset:1168
	v_fma_f64 v[141:142], v[141:142], v[14:15], v[147:148]
	v_fma_f64 v[139:140], v[139:140], v[14:15], -v[16:17]
	scratch_load_b128 v[14:17], off, off offset:640
	s_wait_loadcnt_dscnt 0xa01
	v_mul_f64_e32 v[153:154], v[2:3], v[20:21]
	v_mul_f64_e32 v[20:21], v[4:5], v[20:21]
	s_wait_loadcnt_dscnt 0x900
	v_mul_f64_e32 v[147:148], v[42:43], v[24:25]
	v_mul_f64_e32 v[24:25], v[44:45], v[24:25]
	v_add_f64_e32 v[143:144], v[143:144], v[151:152]
	v_add_f64_e32 v[145:146], v[145:146], v[149:150]
	v_fma_f64 v[149:150], v[4:5], v[18:19], v[153:154]
	v_fma_f64 v[151:152], v[2:3], v[18:19], -v[20:21]
	ds_load_b128 v[2:5], v1 offset:1184
	scratch_load_b128 v[18:21], off, off offset:656
	v_fma_f64 v[44:45], v[44:45], v[22:23], v[147:148]
	v_fma_f64 v[42:43], v[42:43], v[22:23], -v[24:25]
	scratch_load_b128 v[22:25], off, off offset:672
	v_add_f64_e32 v[143:144], v[143:144], v[139:140]
	v_add_f64_e32 v[145:146], v[145:146], v[141:142]
	ds_load_b128 v[139:142], v1 offset:1200
	s_wait_loadcnt_dscnt 0xa01
	v_mul_f64_e32 v[153:154], v[2:3], v[28:29]
	v_mul_f64_e32 v[28:29], v[4:5], v[28:29]
	s_wait_loadcnt_dscnt 0x900
	v_mul_f64_e32 v[147:148], v[139:140], v[32:33]
	v_mul_f64_e32 v[32:33], v[141:142], v[32:33]
	v_add_f64_e32 v[143:144], v[143:144], v[151:152]
	v_add_f64_e32 v[145:146], v[145:146], v[149:150]
	v_fma_f64 v[149:150], v[4:5], v[26:27], v[153:154]
	v_fma_f64 v[151:152], v[2:3], v[26:27], -v[28:29]
	ds_load_b128 v[2:5], v1 offset:1216
	ds_load_b128 v[26:29], v1 offset:1232
	v_fma_f64 v[141:142], v[141:142], v[30:31], v[147:148]
	v_fma_f64 v[30:31], v[139:140], v[30:31], -v[32:33]
	v_add_f64_e32 v[42:43], v[143:144], v[42:43]
	v_add_f64_e32 v[44:45], v[145:146], v[44:45]
	s_wait_loadcnt_dscnt 0x801
	v_mul_f64_e32 v[143:144], v[2:3], v[36:37]
	v_mul_f64_e32 v[36:37], v[4:5], v[36:37]
	s_delay_alu instid0(VALU_DEP_4) | instskip(NEXT) | instid1(VALU_DEP_4)
	v_add_f64_e32 v[32:33], v[42:43], v[151:152]
	v_add_f64_e32 v[42:43], v[44:45], v[149:150]
	s_wait_loadcnt_dscnt 0x600
	v_mul_f64_e32 v[44:45], v[26:27], v[137:138]
	v_mul_f64_e32 v[137:138], v[28:29], v[137:138]
	v_fma_f64 v[139:140], v[4:5], v[34:35], v[143:144]
	v_fma_f64 v[34:35], v[2:3], v[34:35], -v[36:37]
	v_add_f64_e32 v[36:37], v[32:33], v[30:31]
	v_add_f64_e32 v[42:43], v[42:43], v[141:142]
	ds_load_b128 v[2:5], v1 offset:1248
	ds_load_b128 v[30:33], v1 offset:1264
	v_fma_f64 v[28:29], v[28:29], v[135:136], v[44:45]
	v_fma_f64 v[26:27], v[26:27], v[135:136], -v[137:138]
	s_wait_loadcnt_dscnt 0x501
	v_mul_f64_e32 v[141:142], v[2:3], v[40:41]
	v_mul_f64_e32 v[40:41], v[4:5], v[40:41]
	v_add_f64_e32 v[34:35], v[36:37], v[34:35]
	v_add_f64_e32 v[36:37], v[42:43], v[139:140]
	s_wait_loadcnt_dscnt 0x400
	v_mul_f64_e32 v[42:43], v[30:31], v[8:9]
	v_mul_f64_e32 v[8:9], v[32:33], v[8:9]
	v_fma_f64 v[44:45], v[4:5], v[38:39], v[141:142]
	v_fma_f64 v[38:39], v[2:3], v[38:39], -v[40:41]
	v_add_f64_e32 v[34:35], v[34:35], v[26:27]
	v_add_f64_e32 v[36:37], v[36:37], v[28:29]
	ds_load_b128 v[2:5], v1 offset:1280
	ds_load_b128 v[26:29], v1 offset:1296
	v_fma_f64 v[32:33], v[32:33], v[6:7], v[42:43]
	v_fma_f64 v[6:7], v[30:31], v[6:7], -v[8:9]
	s_wait_loadcnt_dscnt 0x301
	v_mul_f64_e32 v[40:41], v[2:3], v[12:13]
	v_mul_f64_e32 v[12:13], v[4:5], v[12:13]
	;; [unrolled: 16-line block ×3, first 2 shown]
	s_wait_loadcnt_dscnt 0x0
	v_mul_f64_e32 v[16:17], v[6:7], v[24:25]
	v_mul_f64_e32 v[24:25], v[8:9], v[24:25]
	v_add_f64_e32 v[10:11], v[12:13], v[10:11]
	v_add_f64_e32 v[12:13], v[30:31], v[36:37]
	v_fma_f64 v[4:5], v[4:5], v[18:19], v[32:33]
	v_fma_f64 v[1:2], v[2:3], v[18:19], -v[20:21]
	v_fma_f64 v[8:9], v[8:9], v[22:23], v[16:17]
	v_fma_f64 v[6:7], v[6:7], v[22:23], -v[24:25]
	v_add_f64_e32 v[10:11], v[10:11], v[14:15]
	v_add_f64_e32 v[12:13], v[12:13], v[28:29]
	s_delay_alu instid0(VALU_DEP_2) | instskip(NEXT) | instid1(VALU_DEP_2)
	v_add_f64_e32 v[1:2], v[10:11], v[1:2]
	v_add_f64_e32 v[3:4], v[12:13], v[4:5]
	s_delay_alu instid0(VALU_DEP_2) | instskip(NEXT) | instid1(VALU_DEP_2)
	;; [unrolled: 3-line block ×3, first 2 shown]
	v_add_f64_e64 v[1:2], v[131:132], -v[1:2]
	v_add_f64_e64 v[3:4], v[133:134], -v[3:4]
	scratch_store_b128 off, v[1:4], off offset:416
	v_cmpx_lt_u32_e32 24, v0
	s_cbranch_execz .LBB105_217
; %bb.216:
	scratch_load_b128 v[1:4], off, s40
	v_mov_b32_e32 v5, 0
	s_delay_alu instid0(VALU_DEP_1)
	v_dual_mov_b32 v6, v5 :: v_dual_mov_b32 v7, v5
	v_mov_b32_e32 v8, v5
	scratch_store_b128 off, v[5:8], off offset:400
	s_wait_loadcnt 0x0
	ds_store_b128 v130, v[1:4]
.LBB105_217:
	s_wait_alu 0xfffe
	s_or_b32 exec_lo, exec_lo, s0
	s_wait_storecnt_dscnt 0x0
	s_barrier_signal -1
	s_barrier_wait -1
	global_inv scope:SCOPE_SE
	s_clause 0x7
	scratch_load_b128 v[2:5], off, off offset:416
	scratch_load_b128 v[6:9], off, off offset:432
	;; [unrolled: 1-line block ×8, first 2 shown]
	v_mov_b32_e32 v1, 0
	s_mov_b32 s0, exec_lo
	ds_load_b128 v[34:37], v1 offset:1072
	s_clause 0x1
	scratch_load_b128 v[38:41], off, off offset:544
	scratch_load_b128 v[42:45], off, off offset:400
	ds_load_b128 v[131:134], v1 offset:1088
	scratch_load_b128 v[135:138], off, off offset:560
	s_wait_loadcnt_dscnt 0xa01
	v_mul_f64_e32 v[139:140], v[36:37], v[4:5]
	v_mul_f64_e32 v[4:5], v[34:35], v[4:5]
	s_delay_alu instid0(VALU_DEP_2) | instskip(NEXT) | instid1(VALU_DEP_2)
	v_fma_f64 v[145:146], v[34:35], v[2:3], -v[139:140]
	v_fma_f64 v[147:148], v[36:37], v[2:3], v[4:5]
	ds_load_b128 v[2:5], v1 offset:1104
	s_wait_loadcnt_dscnt 0x901
	v_mul_f64_e32 v[143:144], v[131:132], v[8:9]
	v_mul_f64_e32 v[8:9], v[133:134], v[8:9]
	scratch_load_b128 v[34:37], off, off offset:576
	ds_load_b128 v[139:142], v1 offset:1120
	s_wait_loadcnt_dscnt 0x901
	v_mul_f64_e32 v[149:150], v[2:3], v[12:13]
	v_mul_f64_e32 v[12:13], v[4:5], v[12:13]
	v_fma_f64 v[133:134], v[133:134], v[6:7], v[143:144]
	v_fma_f64 v[131:132], v[131:132], v[6:7], -v[8:9]
	v_add_f64_e32 v[143:144], 0, v[145:146]
	v_add_f64_e32 v[145:146], 0, v[147:148]
	scratch_load_b128 v[6:9], off, off offset:592
	v_fma_f64 v[149:150], v[4:5], v[10:11], v[149:150]
	v_fma_f64 v[151:152], v[2:3], v[10:11], -v[12:13]
	ds_load_b128 v[2:5], v1 offset:1136
	s_wait_loadcnt_dscnt 0x901
	v_mul_f64_e32 v[147:148], v[139:140], v[16:17]
	v_mul_f64_e32 v[16:17], v[141:142], v[16:17]
	scratch_load_b128 v[10:13], off, off offset:608
	v_add_f64_e32 v[143:144], v[143:144], v[131:132]
	v_add_f64_e32 v[145:146], v[145:146], v[133:134]
	s_wait_loadcnt_dscnt 0x900
	v_mul_f64_e32 v[153:154], v[2:3], v[20:21]
	v_mul_f64_e32 v[20:21], v[4:5], v[20:21]
	ds_load_b128 v[131:134], v1 offset:1152
	v_fma_f64 v[141:142], v[141:142], v[14:15], v[147:148]
	v_fma_f64 v[139:140], v[139:140], v[14:15], -v[16:17]
	scratch_load_b128 v[14:17], off, off offset:624
	v_add_f64_e32 v[143:144], v[143:144], v[151:152]
	v_add_f64_e32 v[145:146], v[145:146], v[149:150]
	v_fma_f64 v[149:150], v[4:5], v[18:19], v[153:154]
	v_fma_f64 v[151:152], v[2:3], v[18:19], -v[20:21]
	ds_load_b128 v[2:5], v1 offset:1168
	s_wait_loadcnt_dscnt 0x901
	v_mul_f64_e32 v[147:148], v[131:132], v[24:25]
	v_mul_f64_e32 v[24:25], v[133:134], v[24:25]
	scratch_load_b128 v[18:21], off, off offset:640
	s_wait_loadcnt_dscnt 0x900
	v_mul_f64_e32 v[153:154], v[2:3], v[28:29]
	v_mul_f64_e32 v[28:29], v[4:5], v[28:29]
	v_add_f64_e32 v[143:144], v[143:144], v[139:140]
	v_add_f64_e32 v[145:146], v[145:146], v[141:142]
	ds_load_b128 v[139:142], v1 offset:1184
	v_fma_f64 v[133:134], v[133:134], v[22:23], v[147:148]
	v_fma_f64 v[131:132], v[131:132], v[22:23], -v[24:25]
	scratch_load_b128 v[22:25], off, off offset:656
	v_add_f64_e32 v[143:144], v[143:144], v[151:152]
	v_add_f64_e32 v[145:146], v[145:146], v[149:150]
	v_fma_f64 v[149:150], v[4:5], v[26:27], v[153:154]
	v_fma_f64 v[151:152], v[2:3], v[26:27], -v[28:29]
	ds_load_b128 v[2:5], v1 offset:1200
	s_wait_loadcnt_dscnt 0x901
	v_mul_f64_e32 v[147:148], v[139:140], v[32:33]
	v_mul_f64_e32 v[32:33], v[141:142], v[32:33]
	scratch_load_b128 v[26:29], off, off offset:672
	s_wait_loadcnt_dscnt 0x900
	v_mul_f64_e32 v[153:154], v[2:3], v[40:41]
	v_mul_f64_e32 v[40:41], v[4:5], v[40:41]
	v_add_f64_e32 v[143:144], v[143:144], v[131:132]
	v_add_f64_e32 v[145:146], v[145:146], v[133:134]
	ds_load_b128 v[131:134], v1 offset:1216
	v_fma_f64 v[141:142], v[141:142], v[30:31], v[147:148]
	v_fma_f64 v[30:31], v[139:140], v[30:31], -v[32:33]
	v_add_f64_e32 v[32:33], v[143:144], v[151:152]
	v_add_f64_e32 v[139:140], v[145:146], v[149:150]
	s_wait_loadcnt_dscnt 0x700
	v_mul_f64_e32 v[143:144], v[131:132], v[137:138]
	v_mul_f64_e32 v[137:138], v[133:134], v[137:138]
	v_fma_f64 v[145:146], v[4:5], v[38:39], v[153:154]
	v_fma_f64 v[38:39], v[2:3], v[38:39], -v[40:41]
	v_add_f64_e32 v[40:41], v[32:33], v[30:31]
	v_add_f64_e32 v[139:140], v[139:140], v[141:142]
	ds_load_b128 v[2:5], v1 offset:1232
	ds_load_b128 v[30:33], v1 offset:1248
	v_fma_f64 v[133:134], v[133:134], v[135:136], v[143:144]
	v_fma_f64 v[131:132], v[131:132], v[135:136], -v[137:138]
	s_wait_loadcnt_dscnt 0x601
	v_mul_f64_e32 v[141:142], v[2:3], v[36:37]
	v_mul_f64_e32 v[36:37], v[4:5], v[36:37]
	v_add_f64_e32 v[38:39], v[40:41], v[38:39]
	v_add_f64_e32 v[40:41], v[139:140], v[145:146]
	s_wait_loadcnt_dscnt 0x500
	v_mul_f64_e32 v[135:136], v[30:31], v[8:9]
	v_mul_f64_e32 v[8:9], v[32:33], v[8:9]
	v_fma_f64 v[137:138], v[4:5], v[34:35], v[141:142]
	v_fma_f64 v[139:140], v[2:3], v[34:35], -v[36:37]
	ds_load_b128 v[2:5], v1 offset:1264
	ds_load_b128 v[34:37], v1 offset:1280
	v_add_f64_e32 v[38:39], v[38:39], v[131:132]
	v_add_f64_e32 v[40:41], v[40:41], v[133:134]
	s_wait_loadcnt_dscnt 0x401
	v_mul_f64_e32 v[131:132], v[2:3], v[12:13]
	v_mul_f64_e32 v[12:13], v[4:5], v[12:13]
	v_fma_f64 v[32:33], v[32:33], v[6:7], v[135:136]
	v_fma_f64 v[6:7], v[30:31], v[6:7], -v[8:9]
	v_add_f64_e32 v[8:9], v[38:39], v[139:140]
	v_add_f64_e32 v[30:31], v[40:41], v[137:138]
	s_wait_loadcnt_dscnt 0x300
	v_mul_f64_e32 v[38:39], v[34:35], v[16:17]
	v_mul_f64_e32 v[16:17], v[36:37], v[16:17]
	v_fma_f64 v[40:41], v[4:5], v[10:11], v[131:132]
	v_fma_f64 v[10:11], v[2:3], v[10:11], -v[12:13]
	v_add_f64_e32 v[12:13], v[8:9], v[6:7]
	v_add_f64_e32 v[30:31], v[30:31], v[32:33]
	ds_load_b128 v[2:5], v1 offset:1296
	ds_load_b128 v[6:9], v1 offset:1312
	v_fma_f64 v[36:37], v[36:37], v[14:15], v[38:39]
	v_fma_f64 v[14:15], v[34:35], v[14:15], -v[16:17]
	s_wait_loadcnt_dscnt 0x201
	v_mul_f64_e32 v[32:33], v[2:3], v[20:21]
	v_mul_f64_e32 v[20:21], v[4:5], v[20:21]
	s_wait_loadcnt_dscnt 0x100
	v_mul_f64_e32 v[16:17], v[6:7], v[24:25]
	v_mul_f64_e32 v[24:25], v[8:9], v[24:25]
	v_add_f64_e32 v[10:11], v[12:13], v[10:11]
	v_add_f64_e32 v[12:13], v[30:31], v[40:41]
	v_fma_f64 v[30:31], v[4:5], v[18:19], v[32:33]
	v_fma_f64 v[18:19], v[2:3], v[18:19], -v[20:21]
	ds_load_b128 v[2:5], v1 offset:1328
	v_fma_f64 v[8:9], v[8:9], v[22:23], v[16:17]
	v_fma_f64 v[6:7], v[6:7], v[22:23], -v[24:25]
	v_add_f64_e32 v[10:11], v[10:11], v[14:15]
	v_add_f64_e32 v[12:13], v[12:13], v[36:37]
	s_wait_loadcnt_dscnt 0x0
	v_mul_f64_e32 v[14:15], v[2:3], v[28:29]
	v_mul_f64_e32 v[20:21], v[4:5], v[28:29]
	s_delay_alu instid0(VALU_DEP_4) | instskip(NEXT) | instid1(VALU_DEP_4)
	v_add_f64_e32 v[10:11], v[10:11], v[18:19]
	v_add_f64_e32 v[12:13], v[12:13], v[30:31]
	s_delay_alu instid0(VALU_DEP_4) | instskip(NEXT) | instid1(VALU_DEP_4)
	v_fma_f64 v[4:5], v[4:5], v[26:27], v[14:15]
	v_fma_f64 v[2:3], v[2:3], v[26:27], -v[20:21]
	s_delay_alu instid0(VALU_DEP_4) | instskip(NEXT) | instid1(VALU_DEP_4)
	v_add_f64_e32 v[6:7], v[10:11], v[6:7]
	v_add_f64_e32 v[8:9], v[12:13], v[8:9]
	s_delay_alu instid0(VALU_DEP_2) | instskip(NEXT) | instid1(VALU_DEP_2)
	v_add_f64_e32 v[2:3], v[6:7], v[2:3]
	v_add_f64_e32 v[4:5], v[8:9], v[4:5]
	s_delay_alu instid0(VALU_DEP_2) | instskip(NEXT) | instid1(VALU_DEP_2)
	v_add_f64_e64 v[2:3], v[42:43], -v[2:3]
	v_add_f64_e64 v[4:5], v[44:45], -v[4:5]
	scratch_store_b128 off, v[2:5], off offset:400
	v_cmpx_lt_u32_e32 23, v0
	s_cbranch_execz .LBB105_219
; %bb.218:
	scratch_load_b128 v[5:8], off, s18
	v_dual_mov_b32 v2, v1 :: v_dual_mov_b32 v3, v1
	v_mov_b32_e32 v4, v1
	scratch_store_b128 off, v[1:4], off offset:384
	s_wait_loadcnt 0x0
	ds_store_b128 v130, v[5:8]
.LBB105_219:
	s_wait_alu 0xfffe
	s_or_b32 exec_lo, exec_lo, s0
	s_wait_storecnt_dscnt 0x0
	s_barrier_signal -1
	s_barrier_wait -1
	global_inv scope:SCOPE_SE
	s_clause 0x8
	scratch_load_b128 v[2:5], off, off offset:400
	scratch_load_b128 v[6:9], off, off offset:416
	;; [unrolled: 1-line block ×9, first 2 shown]
	ds_load_b128 v[38:41], v1 offset:1056
	ds_load_b128 v[42:45], v1 offset:1072
	s_clause 0x1
	scratch_load_b128 v[131:134], off, off offset:384
	scratch_load_b128 v[135:138], off, off offset:544
	s_mov_b32 s0, exec_lo
	s_wait_loadcnt_dscnt 0xa01
	v_mul_f64_e32 v[139:140], v[40:41], v[4:5]
	v_mul_f64_e32 v[4:5], v[38:39], v[4:5]
	s_wait_loadcnt_dscnt 0x900
	v_mul_f64_e32 v[143:144], v[42:43], v[8:9]
	v_mul_f64_e32 v[8:9], v[44:45], v[8:9]
	s_delay_alu instid0(VALU_DEP_4) | instskip(NEXT) | instid1(VALU_DEP_4)
	v_fma_f64 v[145:146], v[38:39], v[2:3], -v[139:140]
	v_fma_f64 v[147:148], v[40:41], v[2:3], v[4:5]
	ds_load_b128 v[2:5], v1 offset:1088
	ds_load_b128 v[139:142], v1 offset:1104
	scratch_load_b128 v[38:41], off, off offset:560
	v_fma_f64 v[44:45], v[44:45], v[6:7], v[143:144]
	v_fma_f64 v[42:43], v[42:43], v[6:7], -v[8:9]
	scratch_load_b128 v[6:9], off, off offset:576
	s_wait_loadcnt_dscnt 0xa01
	v_mul_f64_e32 v[149:150], v[2:3], v[12:13]
	v_mul_f64_e32 v[12:13], v[4:5], v[12:13]
	v_add_f64_e32 v[143:144], 0, v[145:146]
	v_add_f64_e32 v[145:146], 0, v[147:148]
	s_wait_loadcnt_dscnt 0x900
	v_mul_f64_e32 v[147:148], v[139:140], v[16:17]
	v_mul_f64_e32 v[16:17], v[141:142], v[16:17]
	v_fma_f64 v[149:150], v[4:5], v[10:11], v[149:150]
	v_fma_f64 v[151:152], v[2:3], v[10:11], -v[12:13]
	ds_load_b128 v[2:5], v1 offset:1120
	scratch_load_b128 v[10:13], off, off offset:592
	v_add_f64_e32 v[143:144], v[143:144], v[42:43]
	v_add_f64_e32 v[145:146], v[145:146], v[44:45]
	ds_load_b128 v[42:45], v1 offset:1136
	v_fma_f64 v[141:142], v[141:142], v[14:15], v[147:148]
	v_fma_f64 v[139:140], v[139:140], v[14:15], -v[16:17]
	scratch_load_b128 v[14:17], off, off offset:608
	s_wait_loadcnt_dscnt 0xa01
	v_mul_f64_e32 v[153:154], v[2:3], v[20:21]
	v_mul_f64_e32 v[20:21], v[4:5], v[20:21]
	s_wait_loadcnt_dscnt 0x900
	v_mul_f64_e32 v[147:148], v[42:43], v[24:25]
	v_mul_f64_e32 v[24:25], v[44:45], v[24:25]
	v_add_f64_e32 v[143:144], v[143:144], v[151:152]
	v_add_f64_e32 v[145:146], v[145:146], v[149:150]
	v_fma_f64 v[149:150], v[4:5], v[18:19], v[153:154]
	v_fma_f64 v[151:152], v[2:3], v[18:19], -v[20:21]
	ds_load_b128 v[2:5], v1 offset:1152
	scratch_load_b128 v[18:21], off, off offset:624
	v_fma_f64 v[44:45], v[44:45], v[22:23], v[147:148]
	v_fma_f64 v[42:43], v[42:43], v[22:23], -v[24:25]
	scratch_load_b128 v[22:25], off, off offset:640
	v_add_f64_e32 v[143:144], v[143:144], v[139:140]
	v_add_f64_e32 v[145:146], v[145:146], v[141:142]
	ds_load_b128 v[139:142], v1 offset:1168
	s_wait_loadcnt_dscnt 0xa01
	v_mul_f64_e32 v[153:154], v[2:3], v[28:29]
	v_mul_f64_e32 v[28:29], v[4:5], v[28:29]
	s_wait_loadcnt_dscnt 0x900
	v_mul_f64_e32 v[147:148], v[139:140], v[32:33]
	v_mul_f64_e32 v[32:33], v[141:142], v[32:33]
	v_add_f64_e32 v[143:144], v[143:144], v[151:152]
	v_add_f64_e32 v[145:146], v[145:146], v[149:150]
	v_fma_f64 v[149:150], v[4:5], v[26:27], v[153:154]
	v_fma_f64 v[151:152], v[2:3], v[26:27], -v[28:29]
	ds_load_b128 v[2:5], v1 offset:1184
	scratch_load_b128 v[26:29], off, off offset:656
	v_fma_f64 v[141:142], v[141:142], v[30:31], v[147:148]
	v_fma_f64 v[139:140], v[139:140], v[30:31], -v[32:33]
	scratch_load_b128 v[30:33], off, off offset:672
	v_add_f64_e32 v[143:144], v[143:144], v[42:43]
	v_add_f64_e32 v[145:146], v[145:146], v[44:45]
	ds_load_b128 v[42:45], v1 offset:1200
	s_wait_loadcnt_dscnt 0xa01
	v_mul_f64_e32 v[153:154], v[2:3], v[36:37]
	v_mul_f64_e32 v[36:37], v[4:5], v[36:37]
	s_wait_loadcnt_dscnt 0x800
	v_mul_f64_e32 v[147:148], v[42:43], v[137:138]
	v_mul_f64_e32 v[137:138], v[44:45], v[137:138]
	v_add_f64_e32 v[143:144], v[143:144], v[151:152]
	v_add_f64_e32 v[145:146], v[145:146], v[149:150]
	v_fma_f64 v[149:150], v[4:5], v[34:35], v[153:154]
	v_fma_f64 v[151:152], v[2:3], v[34:35], -v[36:37]
	ds_load_b128 v[2:5], v1 offset:1216
	ds_load_b128 v[34:37], v1 offset:1232
	v_fma_f64 v[44:45], v[44:45], v[135:136], v[147:148]
	v_fma_f64 v[42:43], v[42:43], v[135:136], -v[137:138]
	v_add_f64_e32 v[139:140], v[143:144], v[139:140]
	v_add_f64_e32 v[141:142], v[145:146], v[141:142]
	s_wait_loadcnt_dscnt 0x701
	v_mul_f64_e32 v[143:144], v[2:3], v[40:41]
	v_mul_f64_e32 v[40:41], v[4:5], v[40:41]
	s_delay_alu instid0(VALU_DEP_4) | instskip(NEXT) | instid1(VALU_DEP_4)
	v_add_f64_e32 v[135:136], v[139:140], v[151:152]
	v_add_f64_e32 v[137:138], v[141:142], v[149:150]
	s_wait_loadcnt_dscnt 0x600
	v_mul_f64_e32 v[139:140], v[34:35], v[8:9]
	v_mul_f64_e32 v[8:9], v[36:37], v[8:9]
	v_fma_f64 v[141:142], v[4:5], v[38:39], v[143:144]
	v_fma_f64 v[143:144], v[2:3], v[38:39], -v[40:41]
	ds_load_b128 v[2:5], v1 offset:1248
	ds_load_b128 v[38:41], v1 offset:1264
	v_add_f64_e32 v[42:43], v[135:136], v[42:43]
	v_add_f64_e32 v[44:45], v[137:138], v[44:45]
	v_fma_f64 v[36:37], v[36:37], v[6:7], v[139:140]
	s_wait_loadcnt_dscnt 0x501
	v_mul_f64_e32 v[135:136], v[2:3], v[12:13]
	v_mul_f64_e32 v[12:13], v[4:5], v[12:13]
	v_fma_f64 v[6:7], v[34:35], v[6:7], -v[8:9]
	v_add_f64_e32 v[8:9], v[42:43], v[143:144]
	v_add_f64_e32 v[34:35], v[44:45], v[141:142]
	s_wait_loadcnt_dscnt 0x400
	v_mul_f64_e32 v[42:43], v[38:39], v[16:17]
	v_mul_f64_e32 v[16:17], v[40:41], v[16:17]
	v_fma_f64 v[44:45], v[4:5], v[10:11], v[135:136]
	v_fma_f64 v[10:11], v[2:3], v[10:11], -v[12:13]
	v_add_f64_e32 v[12:13], v[8:9], v[6:7]
	v_add_f64_e32 v[34:35], v[34:35], v[36:37]
	ds_load_b128 v[2:5], v1 offset:1280
	ds_load_b128 v[6:9], v1 offset:1296
	v_fma_f64 v[40:41], v[40:41], v[14:15], v[42:43]
	v_fma_f64 v[14:15], v[38:39], v[14:15], -v[16:17]
	s_wait_loadcnt_dscnt 0x301
	v_mul_f64_e32 v[36:37], v[2:3], v[20:21]
	v_mul_f64_e32 v[20:21], v[4:5], v[20:21]
	s_wait_loadcnt_dscnt 0x200
	v_mul_f64_e32 v[16:17], v[6:7], v[24:25]
	v_mul_f64_e32 v[24:25], v[8:9], v[24:25]
	v_add_f64_e32 v[10:11], v[12:13], v[10:11]
	v_add_f64_e32 v[12:13], v[34:35], v[44:45]
	v_fma_f64 v[34:35], v[4:5], v[18:19], v[36:37]
	v_fma_f64 v[18:19], v[2:3], v[18:19], -v[20:21]
	v_fma_f64 v[8:9], v[8:9], v[22:23], v[16:17]
	v_fma_f64 v[6:7], v[6:7], v[22:23], -v[24:25]
	v_add_f64_e32 v[14:15], v[10:11], v[14:15]
	v_add_f64_e32 v[20:21], v[12:13], v[40:41]
	ds_load_b128 v[2:5], v1 offset:1312
	ds_load_b128 v[10:13], v1 offset:1328
	s_wait_loadcnt_dscnt 0x101
	v_mul_f64_e32 v[36:37], v[2:3], v[28:29]
	v_mul_f64_e32 v[28:29], v[4:5], v[28:29]
	v_add_f64_e32 v[14:15], v[14:15], v[18:19]
	v_add_f64_e32 v[16:17], v[20:21], v[34:35]
	s_wait_loadcnt_dscnt 0x0
	v_mul_f64_e32 v[18:19], v[10:11], v[32:33]
	v_mul_f64_e32 v[20:21], v[12:13], v[32:33]
	v_fma_f64 v[4:5], v[4:5], v[26:27], v[36:37]
	v_fma_f64 v[1:2], v[2:3], v[26:27], -v[28:29]
	v_add_f64_e32 v[6:7], v[14:15], v[6:7]
	v_add_f64_e32 v[8:9], v[16:17], v[8:9]
	v_fma_f64 v[12:13], v[12:13], v[30:31], v[18:19]
	v_fma_f64 v[10:11], v[10:11], v[30:31], -v[20:21]
	s_delay_alu instid0(VALU_DEP_4) | instskip(NEXT) | instid1(VALU_DEP_4)
	v_add_f64_e32 v[1:2], v[6:7], v[1:2]
	v_add_f64_e32 v[3:4], v[8:9], v[4:5]
	s_delay_alu instid0(VALU_DEP_2) | instskip(NEXT) | instid1(VALU_DEP_2)
	v_add_f64_e32 v[1:2], v[1:2], v[10:11]
	v_add_f64_e32 v[3:4], v[3:4], v[12:13]
	s_delay_alu instid0(VALU_DEP_2) | instskip(NEXT) | instid1(VALU_DEP_2)
	v_add_f64_e64 v[1:2], v[131:132], -v[1:2]
	v_add_f64_e64 v[3:4], v[133:134], -v[3:4]
	scratch_store_b128 off, v[1:4], off offset:384
	v_cmpx_lt_u32_e32 22, v0
	s_cbranch_execz .LBB105_221
; %bb.220:
	scratch_load_b128 v[1:4], off, s39
	v_mov_b32_e32 v5, 0
	s_delay_alu instid0(VALU_DEP_1)
	v_dual_mov_b32 v6, v5 :: v_dual_mov_b32 v7, v5
	v_mov_b32_e32 v8, v5
	scratch_store_b128 off, v[5:8], off offset:368
	s_wait_loadcnt 0x0
	ds_store_b128 v130, v[1:4]
.LBB105_221:
	s_wait_alu 0xfffe
	s_or_b32 exec_lo, exec_lo, s0
	s_wait_storecnt_dscnt 0x0
	s_barrier_signal -1
	s_barrier_wait -1
	global_inv scope:SCOPE_SE
	s_clause 0x7
	scratch_load_b128 v[2:5], off, off offset:384
	scratch_load_b128 v[6:9], off, off offset:400
	;; [unrolled: 1-line block ×8, first 2 shown]
	v_mov_b32_e32 v1, 0
	s_mov_b32 s0, exec_lo
	ds_load_b128 v[34:37], v1 offset:1040
	s_clause 0x1
	scratch_load_b128 v[38:41], off, off offset:512
	scratch_load_b128 v[42:45], off, off offset:368
	ds_load_b128 v[131:134], v1 offset:1056
	scratch_load_b128 v[135:138], off, off offset:528
	s_wait_loadcnt_dscnt 0xa01
	v_mul_f64_e32 v[139:140], v[36:37], v[4:5]
	v_mul_f64_e32 v[4:5], v[34:35], v[4:5]
	s_delay_alu instid0(VALU_DEP_2) | instskip(NEXT) | instid1(VALU_DEP_2)
	v_fma_f64 v[145:146], v[34:35], v[2:3], -v[139:140]
	v_fma_f64 v[147:148], v[36:37], v[2:3], v[4:5]
	ds_load_b128 v[2:5], v1 offset:1072
	s_wait_loadcnt_dscnt 0x901
	v_mul_f64_e32 v[143:144], v[131:132], v[8:9]
	v_mul_f64_e32 v[8:9], v[133:134], v[8:9]
	scratch_load_b128 v[34:37], off, off offset:544
	ds_load_b128 v[139:142], v1 offset:1088
	s_wait_loadcnt_dscnt 0x901
	v_mul_f64_e32 v[149:150], v[2:3], v[12:13]
	v_mul_f64_e32 v[12:13], v[4:5], v[12:13]
	v_fma_f64 v[133:134], v[133:134], v[6:7], v[143:144]
	v_fma_f64 v[131:132], v[131:132], v[6:7], -v[8:9]
	v_add_f64_e32 v[143:144], 0, v[145:146]
	v_add_f64_e32 v[145:146], 0, v[147:148]
	scratch_load_b128 v[6:9], off, off offset:560
	v_fma_f64 v[149:150], v[4:5], v[10:11], v[149:150]
	v_fma_f64 v[151:152], v[2:3], v[10:11], -v[12:13]
	ds_load_b128 v[2:5], v1 offset:1104
	s_wait_loadcnt_dscnt 0x901
	v_mul_f64_e32 v[147:148], v[139:140], v[16:17]
	v_mul_f64_e32 v[16:17], v[141:142], v[16:17]
	scratch_load_b128 v[10:13], off, off offset:576
	v_add_f64_e32 v[143:144], v[143:144], v[131:132]
	v_add_f64_e32 v[145:146], v[145:146], v[133:134]
	s_wait_loadcnt_dscnt 0x900
	v_mul_f64_e32 v[153:154], v[2:3], v[20:21]
	v_mul_f64_e32 v[20:21], v[4:5], v[20:21]
	ds_load_b128 v[131:134], v1 offset:1120
	v_fma_f64 v[141:142], v[141:142], v[14:15], v[147:148]
	v_fma_f64 v[139:140], v[139:140], v[14:15], -v[16:17]
	scratch_load_b128 v[14:17], off, off offset:592
	v_add_f64_e32 v[143:144], v[143:144], v[151:152]
	v_add_f64_e32 v[145:146], v[145:146], v[149:150]
	v_fma_f64 v[149:150], v[4:5], v[18:19], v[153:154]
	v_fma_f64 v[151:152], v[2:3], v[18:19], -v[20:21]
	ds_load_b128 v[2:5], v1 offset:1136
	s_wait_loadcnt_dscnt 0x901
	v_mul_f64_e32 v[147:148], v[131:132], v[24:25]
	v_mul_f64_e32 v[24:25], v[133:134], v[24:25]
	scratch_load_b128 v[18:21], off, off offset:608
	s_wait_loadcnt_dscnt 0x900
	v_mul_f64_e32 v[153:154], v[2:3], v[28:29]
	v_mul_f64_e32 v[28:29], v[4:5], v[28:29]
	v_add_f64_e32 v[143:144], v[143:144], v[139:140]
	v_add_f64_e32 v[145:146], v[145:146], v[141:142]
	ds_load_b128 v[139:142], v1 offset:1152
	v_fma_f64 v[133:134], v[133:134], v[22:23], v[147:148]
	v_fma_f64 v[131:132], v[131:132], v[22:23], -v[24:25]
	scratch_load_b128 v[22:25], off, off offset:624
	v_add_f64_e32 v[143:144], v[143:144], v[151:152]
	v_add_f64_e32 v[145:146], v[145:146], v[149:150]
	v_fma_f64 v[149:150], v[4:5], v[26:27], v[153:154]
	v_fma_f64 v[151:152], v[2:3], v[26:27], -v[28:29]
	ds_load_b128 v[2:5], v1 offset:1168
	s_wait_loadcnt_dscnt 0x901
	v_mul_f64_e32 v[147:148], v[139:140], v[32:33]
	v_mul_f64_e32 v[32:33], v[141:142], v[32:33]
	scratch_load_b128 v[26:29], off, off offset:640
	s_wait_loadcnt_dscnt 0x900
	v_mul_f64_e32 v[153:154], v[2:3], v[40:41]
	v_mul_f64_e32 v[40:41], v[4:5], v[40:41]
	v_add_f64_e32 v[143:144], v[143:144], v[131:132]
	v_add_f64_e32 v[145:146], v[145:146], v[133:134]
	ds_load_b128 v[131:134], v1 offset:1184
	v_fma_f64 v[141:142], v[141:142], v[30:31], v[147:148]
	v_fma_f64 v[139:140], v[139:140], v[30:31], -v[32:33]
	scratch_load_b128 v[30:33], off, off offset:656
	v_add_f64_e32 v[143:144], v[143:144], v[151:152]
	v_add_f64_e32 v[145:146], v[145:146], v[149:150]
	v_fma_f64 v[151:152], v[4:5], v[38:39], v[153:154]
	v_fma_f64 v[153:154], v[2:3], v[38:39], -v[40:41]
	ds_load_b128 v[2:5], v1 offset:1200
	s_wait_loadcnt_dscnt 0x801
	v_mul_f64_e32 v[147:148], v[131:132], v[137:138]
	v_mul_f64_e32 v[149:150], v[133:134], v[137:138]
	scratch_load_b128 v[38:41], off, off offset:672
	v_add_f64_e32 v[143:144], v[143:144], v[139:140]
	v_add_f64_e32 v[141:142], v[145:146], v[141:142]
	ds_load_b128 v[137:140], v1 offset:1216
	v_fma_f64 v[133:134], v[133:134], v[135:136], v[147:148]
	v_fma_f64 v[131:132], v[131:132], v[135:136], -v[149:150]
	s_wait_loadcnt_dscnt 0x801
	v_mul_f64_e32 v[145:146], v[2:3], v[36:37]
	v_mul_f64_e32 v[36:37], v[4:5], v[36:37]
	v_add_f64_e32 v[135:136], v[143:144], v[153:154]
	v_add_f64_e32 v[141:142], v[141:142], v[151:152]
	s_delay_alu instid0(VALU_DEP_4) | instskip(NEXT) | instid1(VALU_DEP_4)
	v_fma_f64 v[145:146], v[4:5], v[34:35], v[145:146]
	v_fma_f64 v[147:148], v[2:3], v[34:35], -v[36:37]
	s_wait_loadcnt_dscnt 0x700
	v_mul_f64_e32 v[143:144], v[137:138], v[8:9]
	v_mul_f64_e32 v[8:9], v[139:140], v[8:9]
	ds_load_b128 v[2:5], v1 offset:1232
	ds_load_b128 v[34:37], v1 offset:1248
	v_add_f64_e32 v[131:132], v[135:136], v[131:132]
	v_add_f64_e32 v[133:134], v[141:142], v[133:134]
	s_wait_loadcnt_dscnt 0x601
	v_mul_f64_e32 v[135:136], v[2:3], v[12:13]
	v_mul_f64_e32 v[12:13], v[4:5], v[12:13]
	v_fma_f64 v[139:140], v[139:140], v[6:7], v[143:144]
	v_fma_f64 v[6:7], v[137:138], v[6:7], -v[8:9]
	v_add_f64_e32 v[8:9], v[131:132], v[147:148]
	v_add_f64_e32 v[131:132], v[133:134], v[145:146]
	s_wait_loadcnt_dscnt 0x500
	v_mul_f64_e32 v[133:134], v[34:35], v[16:17]
	v_mul_f64_e32 v[16:17], v[36:37], v[16:17]
	v_fma_f64 v[135:136], v[4:5], v[10:11], v[135:136]
	v_fma_f64 v[10:11], v[2:3], v[10:11], -v[12:13]
	v_add_f64_e32 v[12:13], v[8:9], v[6:7]
	v_add_f64_e32 v[131:132], v[131:132], v[139:140]
	ds_load_b128 v[2:5], v1 offset:1264
	ds_load_b128 v[6:9], v1 offset:1280
	v_fma_f64 v[36:37], v[36:37], v[14:15], v[133:134]
	v_fma_f64 v[14:15], v[34:35], v[14:15], -v[16:17]
	s_wait_loadcnt_dscnt 0x401
	v_mul_f64_e32 v[137:138], v[2:3], v[20:21]
	v_mul_f64_e32 v[20:21], v[4:5], v[20:21]
	s_wait_loadcnt_dscnt 0x300
	v_mul_f64_e32 v[16:17], v[6:7], v[24:25]
	v_mul_f64_e32 v[24:25], v[8:9], v[24:25]
	v_add_f64_e32 v[10:11], v[12:13], v[10:11]
	v_add_f64_e32 v[12:13], v[131:132], v[135:136]
	v_fma_f64 v[34:35], v[4:5], v[18:19], v[137:138]
	v_fma_f64 v[18:19], v[2:3], v[18:19], -v[20:21]
	v_fma_f64 v[8:9], v[8:9], v[22:23], v[16:17]
	v_fma_f64 v[6:7], v[6:7], v[22:23], -v[24:25]
	v_add_f64_e32 v[14:15], v[10:11], v[14:15]
	v_add_f64_e32 v[20:21], v[12:13], v[36:37]
	ds_load_b128 v[2:5], v1 offset:1296
	ds_load_b128 v[10:13], v1 offset:1312
	s_wait_loadcnt_dscnt 0x201
	v_mul_f64_e32 v[36:37], v[2:3], v[28:29]
	v_mul_f64_e32 v[28:29], v[4:5], v[28:29]
	v_add_f64_e32 v[14:15], v[14:15], v[18:19]
	v_add_f64_e32 v[16:17], v[20:21], v[34:35]
	s_wait_loadcnt_dscnt 0x100
	v_mul_f64_e32 v[18:19], v[10:11], v[32:33]
	v_mul_f64_e32 v[20:21], v[12:13], v[32:33]
	v_fma_f64 v[22:23], v[4:5], v[26:27], v[36:37]
	v_fma_f64 v[24:25], v[2:3], v[26:27], -v[28:29]
	ds_load_b128 v[2:5], v1 offset:1328
	v_add_f64_e32 v[6:7], v[14:15], v[6:7]
	v_add_f64_e32 v[8:9], v[16:17], v[8:9]
	v_fma_f64 v[12:13], v[12:13], v[30:31], v[18:19]
	v_fma_f64 v[10:11], v[10:11], v[30:31], -v[20:21]
	s_wait_loadcnt_dscnt 0x0
	v_mul_f64_e32 v[14:15], v[2:3], v[40:41]
	v_mul_f64_e32 v[16:17], v[4:5], v[40:41]
	v_add_f64_e32 v[6:7], v[6:7], v[24:25]
	v_add_f64_e32 v[8:9], v[8:9], v[22:23]
	s_delay_alu instid0(VALU_DEP_4) | instskip(NEXT) | instid1(VALU_DEP_4)
	v_fma_f64 v[4:5], v[4:5], v[38:39], v[14:15]
	v_fma_f64 v[2:3], v[2:3], v[38:39], -v[16:17]
	s_delay_alu instid0(VALU_DEP_4) | instskip(NEXT) | instid1(VALU_DEP_4)
	v_add_f64_e32 v[6:7], v[6:7], v[10:11]
	v_add_f64_e32 v[8:9], v[8:9], v[12:13]
	s_delay_alu instid0(VALU_DEP_2) | instskip(NEXT) | instid1(VALU_DEP_2)
	v_add_f64_e32 v[2:3], v[6:7], v[2:3]
	v_add_f64_e32 v[4:5], v[8:9], v[4:5]
	s_delay_alu instid0(VALU_DEP_2) | instskip(NEXT) | instid1(VALU_DEP_2)
	v_add_f64_e64 v[2:3], v[42:43], -v[2:3]
	v_add_f64_e64 v[4:5], v[44:45], -v[4:5]
	scratch_store_b128 off, v[2:5], off offset:368
	v_cmpx_lt_u32_e32 21, v0
	s_cbranch_execz .LBB105_223
; %bb.222:
	scratch_load_b128 v[5:8], off, s17
	v_dual_mov_b32 v2, v1 :: v_dual_mov_b32 v3, v1
	v_mov_b32_e32 v4, v1
	scratch_store_b128 off, v[1:4], off offset:352
	s_wait_loadcnt 0x0
	ds_store_b128 v130, v[5:8]
.LBB105_223:
	s_wait_alu 0xfffe
	s_or_b32 exec_lo, exec_lo, s0
	s_wait_storecnt_dscnt 0x0
	s_barrier_signal -1
	s_barrier_wait -1
	global_inv scope:SCOPE_SE
	s_clause 0x8
	scratch_load_b128 v[2:5], off, off offset:368
	scratch_load_b128 v[6:9], off, off offset:384
	;; [unrolled: 1-line block ×9, first 2 shown]
	ds_load_b128 v[38:41], v1 offset:1024
	ds_load_b128 v[42:45], v1 offset:1040
	s_clause 0x1
	scratch_load_b128 v[131:134], off, off offset:352
	scratch_load_b128 v[135:138], off, off offset:512
	s_mov_b32 s0, exec_lo
	s_wait_loadcnt_dscnt 0xa01
	v_mul_f64_e32 v[139:140], v[40:41], v[4:5]
	v_mul_f64_e32 v[4:5], v[38:39], v[4:5]
	s_wait_loadcnt_dscnt 0x900
	v_mul_f64_e32 v[143:144], v[42:43], v[8:9]
	v_mul_f64_e32 v[8:9], v[44:45], v[8:9]
	s_delay_alu instid0(VALU_DEP_4) | instskip(NEXT) | instid1(VALU_DEP_4)
	v_fma_f64 v[145:146], v[38:39], v[2:3], -v[139:140]
	v_fma_f64 v[147:148], v[40:41], v[2:3], v[4:5]
	ds_load_b128 v[2:5], v1 offset:1056
	ds_load_b128 v[139:142], v1 offset:1072
	scratch_load_b128 v[38:41], off, off offset:528
	v_fma_f64 v[44:45], v[44:45], v[6:7], v[143:144]
	v_fma_f64 v[42:43], v[42:43], v[6:7], -v[8:9]
	scratch_load_b128 v[6:9], off, off offset:544
	s_wait_loadcnt_dscnt 0xa01
	v_mul_f64_e32 v[149:150], v[2:3], v[12:13]
	v_mul_f64_e32 v[12:13], v[4:5], v[12:13]
	v_add_f64_e32 v[143:144], 0, v[145:146]
	v_add_f64_e32 v[145:146], 0, v[147:148]
	s_wait_loadcnt_dscnt 0x900
	v_mul_f64_e32 v[147:148], v[139:140], v[16:17]
	v_mul_f64_e32 v[16:17], v[141:142], v[16:17]
	v_fma_f64 v[149:150], v[4:5], v[10:11], v[149:150]
	v_fma_f64 v[151:152], v[2:3], v[10:11], -v[12:13]
	ds_load_b128 v[2:5], v1 offset:1088
	scratch_load_b128 v[10:13], off, off offset:560
	v_add_f64_e32 v[143:144], v[143:144], v[42:43]
	v_add_f64_e32 v[145:146], v[145:146], v[44:45]
	ds_load_b128 v[42:45], v1 offset:1104
	v_fma_f64 v[141:142], v[141:142], v[14:15], v[147:148]
	v_fma_f64 v[139:140], v[139:140], v[14:15], -v[16:17]
	scratch_load_b128 v[14:17], off, off offset:576
	s_wait_loadcnt_dscnt 0xa01
	v_mul_f64_e32 v[153:154], v[2:3], v[20:21]
	v_mul_f64_e32 v[20:21], v[4:5], v[20:21]
	s_wait_loadcnt_dscnt 0x900
	v_mul_f64_e32 v[147:148], v[42:43], v[24:25]
	v_mul_f64_e32 v[24:25], v[44:45], v[24:25]
	v_add_f64_e32 v[143:144], v[143:144], v[151:152]
	v_add_f64_e32 v[145:146], v[145:146], v[149:150]
	v_fma_f64 v[149:150], v[4:5], v[18:19], v[153:154]
	v_fma_f64 v[151:152], v[2:3], v[18:19], -v[20:21]
	ds_load_b128 v[2:5], v1 offset:1120
	scratch_load_b128 v[18:21], off, off offset:592
	v_fma_f64 v[44:45], v[44:45], v[22:23], v[147:148]
	v_fma_f64 v[42:43], v[42:43], v[22:23], -v[24:25]
	scratch_load_b128 v[22:25], off, off offset:608
	v_add_f64_e32 v[143:144], v[143:144], v[139:140]
	v_add_f64_e32 v[145:146], v[145:146], v[141:142]
	ds_load_b128 v[139:142], v1 offset:1136
	s_wait_loadcnt_dscnt 0xa01
	v_mul_f64_e32 v[153:154], v[2:3], v[28:29]
	v_mul_f64_e32 v[28:29], v[4:5], v[28:29]
	s_wait_loadcnt_dscnt 0x900
	v_mul_f64_e32 v[147:148], v[139:140], v[32:33]
	v_mul_f64_e32 v[32:33], v[141:142], v[32:33]
	v_add_f64_e32 v[143:144], v[143:144], v[151:152]
	v_add_f64_e32 v[145:146], v[145:146], v[149:150]
	v_fma_f64 v[149:150], v[4:5], v[26:27], v[153:154]
	v_fma_f64 v[151:152], v[2:3], v[26:27], -v[28:29]
	ds_load_b128 v[2:5], v1 offset:1152
	scratch_load_b128 v[26:29], off, off offset:624
	v_fma_f64 v[141:142], v[141:142], v[30:31], v[147:148]
	v_fma_f64 v[139:140], v[139:140], v[30:31], -v[32:33]
	scratch_load_b128 v[30:33], off, off offset:640
	v_add_f64_e32 v[143:144], v[143:144], v[42:43]
	v_add_f64_e32 v[145:146], v[145:146], v[44:45]
	ds_load_b128 v[42:45], v1 offset:1168
	s_wait_loadcnt_dscnt 0xa01
	v_mul_f64_e32 v[153:154], v[2:3], v[36:37]
	v_mul_f64_e32 v[36:37], v[4:5], v[36:37]
	s_wait_loadcnt_dscnt 0x800
	v_mul_f64_e32 v[147:148], v[42:43], v[137:138]
	v_add_f64_e32 v[143:144], v[143:144], v[151:152]
	v_add_f64_e32 v[145:146], v[145:146], v[149:150]
	v_mul_f64_e32 v[149:150], v[44:45], v[137:138]
	v_fma_f64 v[151:152], v[4:5], v[34:35], v[153:154]
	v_fma_f64 v[153:154], v[2:3], v[34:35], -v[36:37]
	ds_load_b128 v[2:5], v1 offset:1184
	scratch_load_b128 v[34:37], off, off offset:656
	v_fma_f64 v[44:45], v[44:45], v[135:136], v[147:148]
	v_add_f64_e32 v[143:144], v[143:144], v[139:140]
	v_add_f64_e32 v[141:142], v[145:146], v[141:142]
	ds_load_b128 v[137:140], v1 offset:1200
	v_fma_f64 v[135:136], v[42:43], v[135:136], -v[149:150]
	s_wait_loadcnt_dscnt 0x801
	v_mul_f64_e32 v[145:146], v[2:3], v[40:41]
	v_mul_f64_e32 v[155:156], v[4:5], v[40:41]
	scratch_load_b128 v[40:43], off, off offset:672
	s_wait_loadcnt_dscnt 0x800
	v_mul_f64_e32 v[147:148], v[137:138], v[8:9]
	v_mul_f64_e32 v[8:9], v[139:140], v[8:9]
	v_add_f64_e32 v[143:144], v[143:144], v[153:154]
	v_add_f64_e32 v[141:142], v[141:142], v[151:152]
	v_fma_f64 v[145:146], v[4:5], v[38:39], v[145:146]
	v_fma_f64 v[38:39], v[2:3], v[38:39], -v[155:156]
	v_fma_f64 v[139:140], v[139:140], v[6:7], v[147:148]
	v_fma_f64 v[6:7], v[137:138], v[6:7], -v[8:9]
	v_add_f64_e32 v[135:136], v[143:144], v[135:136]
	v_add_f64_e32 v[44:45], v[141:142], v[44:45]
	ds_load_b128 v[2:5], v1 offset:1216
	ds_load_b128 v[141:144], v1 offset:1232
	s_wait_loadcnt_dscnt 0x701
	v_mul_f64_e32 v[149:150], v[2:3], v[12:13]
	v_mul_f64_e32 v[12:13], v[4:5], v[12:13]
	v_add_f64_e32 v[8:9], v[135:136], v[38:39]
	v_add_f64_e32 v[38:39], v[44:45], v[145:146]
	s_wait_loadcnt_dscnt 0x600
	v_mul_f64_e32 v[44:45], v[141:142], v[16:17]
	v_mul_f64_e32 v[16:17], v[143:144], v[16:17]
	v_fma_f64 v[135:136], v[4:5], v[10:11], v[149:150]
	v_fma_f64 v[10:11], v[2:3], v[10:11], -v[12:13]
	v_add_f64_e32 v[12:13], v[8:9], v[6:7]
	v_add_f64_e32 v[38:39], v[38:39], v[139:140]
	ds_load_b128 v[2:5], v1 offset:1248
	ds_load_b128 v[6:9], v1 offset:1264
	v_fma_f64 v[44:45], v[143:144], v[14:15], v[44:45]
	v_fma_f64 v[14:15], v[141:142], v[14:15], -v[16:17]
	s_wait_loadcnt_dscnt 0x501
	v_mul_f64_e32 v[137:138], v[2:3], v[20:21]
	v_mul_f64_e32 v[20:21], v[4:5], v[20:21]
	s_wait_loadcnt_dscnt 0x400
	v_mul_f64_e32 v[16:17], v[6:7], v[24:25]
	v_mul_f64_e32 v[24:25], v[8:9], v[24:25]
	v_add_f64_e32 v[10:11], v[12:13], v[10:11]
	v_add_f64_e32 v[12:13], v[38:39], v[135:136]
	v_fma_f64 v[38:39], v[4:5], v[18:19], v[137:138]
	v_fma_f64 v[18:19], v[2:3], v[18:19], -v[20:21]
	v_fma_f64 v[8:9], v[8:9], v[22:23], v[16:17]
	v_fma_f64 v[6:7], v[6:7], v[22:23], -v[24:25]
	v_add_f64_e32 v[14:15], v[10:11], v[14:15]
	v_add_f64_e32 v[20:21], v[12:13], v[44:45]
	ds_load_b128 v[2:5], v1 offset:1280
	ds_load_b128 v[10:13], v1 offset:1296
	s_wait_loadcnt_dscnt 0x301
	v_mul_f64_e32 v[44:45], v[2:3], v[28:29]
	v_mul_f64_e32 v[28:29], v[4:5], v[28:29]
	v_add_f64_e32 v[14:15], v[14:15], v[18:19]
	v_add_f64_e32 v[16:17], v[20:21], v[38:39]
	s_wait_loadcnt_dscnt 0x200
	v_mul_f64_e32 v[18:19], v[10:11], v[32:33]
	v_mul_f64_e32 v[20:21], v[12:13], v[32:33]
	v_fma_f64 v[22:23], v[4:5], v[26:27], v[44:45]
	v_fma_f64 v[24:25], v[2:3], v[26:27], -v[28:29]
	v_add_f64_e32 v[14:15], v[14:15], v[6:7]
	v_add_f64_e32 v[16:17], v[16:17], v[8:9]
	ds_load_b128 v[2:5], v1 offset:1312
	ds_load_b128 v[6:9], v1 offset:1328
	v_fma_f64 v[12:13], v[12:13], v[30:31], v[18:19]
	v_fma_f64 v[10:11], v[10:11], v[30:31], -v[20:21]
	s_wait_loadcnt_dscnt 0x101
	v_mul_f64_e32 v[26:27], v[2:3], v[36:37]
	v_mul_f64_e32 v[28:29], v[4:5], v[36:37]
	s_wait_loadcnt_dscnt 0x0
	v_mul_f64_e32 v[18:19], v[6:7], v[42:43]
	v_add_f64_e32 v[14:15], v[14:15], v[24:25]
	v_add_f64_e32 v[16:17], v[16:17], v[22:23]
	v_mul_f64_e32 v[20:21], v[8:9], v[42:43]
	v_fma_f64 v[4:5], v[4:5], v[34:35], v[26:27]
	v_fma_f64 v[1:2], v[2:3], v[34:35], -v[28:29]
	v_fma_f64 v[8:9], v[8:9], v[40:41], v[18:19]
	v_add_f64_e32 v[10:11], v[14:15], v[10:11]
	v_add_f64_e32 v[12:13], v[16:17], v[12:13]
	v_fma_f64 v[6:7], v[6:7], v[40:41], -v[20:21]
	s_delay_alu instid0(VALU_DEP_3) | instskip(NEXT) | instid1(VALU_DEP_3)
	v_add_f64_e32 v[1:2], v[10:11], v[1:2]
	v_add_f64_e32 v[3:4], v[12:13], v[4:5]
	s_delay_alu instid0(VALU_DEP_2) | instskip(NEXT) | instid1(VALU_DEP_2)
	v_add_f64_e32 v[1:2], v[1:2], v[6:7]
	v_add_f64_e32 v[3:4], v[3:4], v[8:9]
	s_delay_alu instid0(VALU_DEP_2) | instskip(NEXT) | instid1(VALU_DEP_2)
	v_add_f64_e64 v[1:2], v[131:132], -v[1:2]
	v_add_f64_e64 v[3:4], v[133:134], -v[3:4]
	scratch_store_b128 off, v[1:4], off offset:352
	v_cmpx_lt_u32_e32 20, v0
	s_cbranch_execz .LBB105_225
; %bb.224:
	scratch_load_b128 v[1:4], off, s38
	v_mov_b32_e32 v5, 0
	s_delay_alu instid0(VALU_DEP_1)
	v_dual_mov_b32 v6, v5 :: v_dual_mov_b32 v7, v5
	v_mov_b32_e32 v8, v5
	scratch_store_b128 off, v[5:8], off offset:336
	s_wait_loadcnt 0x0
	ds_store_b128 v130, v[1:4]
.LBB105_225:
	s_wait_alu 0xfffe
	s_or_b32 exec_lo, exec_lo, s0
	s_wait_storecnt_dscnt 0x0
	s_barrier_signal -1
	s_barrier_wait -1
	global_inv scope:SCOPE_SE
	s_clause 0x7
	scratch_load_b128 v[2:5], off, off offset:352
	scratch_load_b128 v[6:9], off, off offset:368
	;; [unrolled: 1-line block ×8, first 2 shown]
	v_mov_b32_e32 v1, 0
	s_mov_b32 s0, exec_lo
	ds_load_b128 v[34:37], v1 offset:1008
	s_clause 0x1
	scratch_load_b128 v[38:41], off, off offset:480
	scratch_load_b128 v[42:45], off, off offset:336
	ds_load_b128 v[131:134], v1 offset:1024
	scratch_load_b128 v[135:138], off, off offset:496
	s_wait_loadcnt_dscnt 0xa01
	v_mul_f64_e32 v[139:140], v[36:37], v[4:5]
	v_mul_f64_e32 v[4:5], v[34:35], v[4:5]
	s_delay_alu instid0(VALU_DEP_2) | instskip(NEXT) | instid1(VALU_DEP_2)
	v_fma_f64 v[145:146], v[34:35], v[2:3], -v[139:140]
	v_fma_f64 v[147:148], v[36:37], v[2:3], v[4:5]
	ds_load_b128 v[2:5], v1 offset:1040
	s_wait_loadcnt_dscnt 0x901
	v_mul_f64_e32 v[143:144], v[131:132], v[8:9]
	v_mul_f64_e32 v[8:9], v[133:134], v[8:9]
	scratch_load_b128 v[34:37], off, off offset:512
	ds_load_b128 v[139:142], v1 offset:1056
	s_wait_loadcnt_dscnt 0x901
	v_mul_f64_e32 v[149:150], v[2:3], v[12:13]
	v_mul_f64_e32 v[12:13], v[4:5], v[12:13]
	v_fma_f64 v[133:134], v[133:134], v[6:7], v[143:144]
	v_fma_f64 v[131:132], v[131:132], v[6:7], -v[8:9]
	v_add_f64_e32 v[143:144], 0, v[145:146]
	v_add_f64_e32 v[145:146], 0, v[147:148]
	scratch_load_b128 v[6:9], off, off offset:528
	v_fma_f64 v[149:150], v[4:5], v[10:11], v[149:150]
	v_fma_f64 v[151:152], v[2:3], v[10:11], -v[12:13]
	ds_load_b128 v[2:5], v1 offset:1072
	s_wait_loadcnt_dscnt 0x901
	v_mul_f64_e32 v[147:148], v[139:140], v[16:17]
	v_mul_f64_e32 v[16:17], v[141:142], v[16:17]
	scratch_load_b128 v[10:13], off, off offset:544
	v_add_f64_e32 v[143:144], v[143:144], v[131:132]
	v_add_f64_e32 v[145:146], v[145:146], v[133:134]
	s_wait_loadcnt_dscnt 0x900
	v_mul_f64_e32 v[153:154], v[2:3], v[20:21]
	v_mul_f64_e32 v[20:21], v[4:5], v[20:21]
	ds_load_b128 v[131:134], v1 offset:1088
	v_fma_f64 v[141:142], v[141:142], v[14:15], v[147:148]
	v_fma_f64 v[139:140], v[139:140], v[14:15], -v[16:17]
	scratch_load_b128 v[14:17], off, off offset:560
	v_add_f64_e32 v[143:144], v[143:144], v[151:152]
	v_add_f64_e32 v[145:146], v[145:146], v[149:150]
	v_fma_f64 v[149:150], v[4:5], v[18:19], v[153:154]
	v_fma_f64 v[151:152], v[2:3], v[18:19], -v[20:21]
	ds_load_b128 v[2:5], v1 offset:1104
	s_wait_loadcnt_dscnt 0x901
	v_mul_f64_e32 v[147:148], v[131:132], v[24:25]
	v_mul_f64_e32 v[24:25], v[133:134], v[24:25]
	scratch_load_b128 v[18:21], off, off offset:576
	s_wait_loadcnt_dscnt 0x900
	v_mul_f64_e32 v[153:154], v[2:3], v[28:29]
	v_mul_f64_e32 v[28:29], v[4:5], v[28:29]
	v_add_f64_e32 v[143:144], v[143:144], v[139:140]
	v_add_f64_e32 v[145:146], v[145:146], v[141:142]
	ds_load_b128 v[139:142], v1 offset:1120
	v_fma_f64 v[133:134], v[133:134], v[22:23], v[147:148]
	v_fma_f64 v[131:132], v[131:132], v[22:23], -v[24:25]
	scratch_load_b128 v[22:25], off, off offset:592
	v_add_f64_e32 v[143:144], v[143:144], v[151:152]
	v_add_f64_e32 v[145:146], v[145:146], v[149:150]
	v_fma_f64 v[149:150], v[4:5], v[26:27], v[153:154]
	v_fma_f64 v[151:152], v[2:3], v[26:27], -v[28:29]
	ds_load_b128 v[2:5], v1 offset:1136
	s_wait_loadcnt_dscnt 0x901
	v_mul_f64_e32 v[147:148], v[139:140], v[32:33]
	v_mul_f64_e32 v[32:33], v[141:142], v[32:33]
	scratch_load_b128 v[26:29], off, off offset:608
	s_wait_loadcnt_dscnt 0x900
	v_mul_f64_e32 v[153:154], v[2:3], v[40:41]
	v_mul_f64_e32 v[40:41], v[4:5], v[40:41]
	v_add_f64_e32 v[143:144], v[143:144], v[131:132]
	v_add_f64_e32 v[145:146], v[145:146], v[133:134]
	ds_load_b128 v[131:134], v1 offset:1152
	v_fma_f64 v[141:142], v[141:142], v[30:31], v[147:148]
	v_fma_f64 v[139:140], v[139:140], v[30:31], -v[32:33]
	scratch_load_b128 v[30:33], off, off offset:624
	v_add_f64_e32 v[143:144], v[143:144], v[151:152]
	v_add_f64_e32 v[145:146], v[145:146], v[149:150]
	v_fma_f64 v[151:152], v[4:5], v[38:39], v[153:154]
	v_fma_f64 v[153:154], v[2:3], v[38:39], -v[40:41]
	ds_load_b128 v[2:5], v1 offset:1168
	s_wait_loadcnt_dscnt 0x801
	v_mul_f64_e32 v[147:148], v[131:132], v[137:138]
	v_mul_f64_e32 v[149:150], v[133:134], v[137:138]
	scratch_load_b128 v[38:41], off, off offset:640
	v_add_f64_e32 v[143:144], v[143:144], v[139:140]
	v_add_f64_e32 v[141:142], v[145:146], v[141:142]
	ds_load_b128 v[137:140], v1 offset:1184
	v_fma_f64 v[147:148], v[133:134], v[135:136], v[147:148]
	v_fma_f64 v[135:136], v[131:132], v[135:136], -v[149:150]
	scratch_load_b128 v[131:134], off, off offset:656
	s_wait_loadcnt_dscnt 0x901
	v_mul_f64_e32 v[145:146], v[2:3], v[36:37]
	v_mul_f64_e32 v[36:37], v[4:5], v[36:37]
	v_add_f64_e32 v[143:144], v[143:144], v[153:154]
	v_add_f64_e32 v[141:142], v[141:142], v[151:152]
	s_delay_alu instid0(VALU_DEP_4) | instskip(NEXT) | instid1(VALU_DEP_4)
	v_fma_f64 v[145:146], v[4:5], v[34:35], v[145:146]
	v_fma_f64 v[151:152], v[2:3], v[34:35], -v[36:37]
	ds_load_b128 v[2:5], v1 offset:1200
	s_wait_loadcnt_dscnt 0x801
	v_mul_f64_e32 v[149:150], v[137:138], v[8:9]
	v_mul_f64_e32 v[8:9], v[139:140], v[8:9]
	scratch_load_b128 v[34:37], off, off offset:672
	s_wait_loadcnt_dscnt 0x800
	v_mul_f64_e32 v[153:154], v[2:3], v[12:13]
	v_add_f64_e32 v[135:136], v[143:144], v[135:136]
	v_add_f64_e32 v[147:148], v[141:142], v[147:148]
	v_mul_f64_e32 v[12:13], v[4:5], v[12:13]
	ds_load_b128 v[141:144], v1 offset:1216
	v_fma_f64 v[139:140], v[139:140], v[6:7], v[149:150]
	v_fma_f64 v[6:7], v[137:138], v[6:7], -v[8:9]
	s_wait_loadcnt_dscnt 0x700
	v_mul_f64_e32 v[137:138], v[141:142], v[16:17]
	v_add_f64_e32 v[8:9], v[135:136], v[151:152]
	v_add_f64_e32 v[135:136], v[147:148], v[145:146]
	v_mul_f64_e32 v[16:17], v[143:144], v[16:17]
	v_fma_f64 v[145:146], v[4:5], v[10:11], v[153:154]
	v_fma_f64 v[10:11], v[2:3], v[10:11], -v[12:13]
	v_fma_f64 v[137:138], v[143:144], v[14:15], v[137:138]
	v_add_f64_e32 v[12:13], v[8:9], v[6:7]
	v_add_f64_e32 v[135:136], v[135:136], v[139:140]
	ds_load_b128 v[2:5], v1 offset:1232
	ds_load_b128 v[6:9], v1 offset:1248
	v_fma_f64 v[14:15], v[141:142], v[14:15], -v[16:17]
	s_wait_loadcnt_dscnt 0x601
	v_mul_f64_e32 v[139:140], v[2:3], v[20:21]
	v_mul_f64_e32 v[20:21], v[4:5], v[20:21]
	s_wait_loadcnt_dscnt 0x500
	v_mul_f64_e32 v[16:17], v[6:7], v[24:25]
	v_mul_f64_e32 v[24:25], v[8:9], v[24:25]
	v_add_f64_e32 v[10:11], v[12:13], v[10:11]
	v_add_f64_e32 v[12:13], v[135:136], v[145:146]
	v_fma_f64 v[135:136], v[4:5], v[18:19], v[139:140]
	v_fma_f64 v[18:19], v[2:3], v[18:19], -v[20:21]
	v_fma_f64 v[8:9], v[8:9], v[22:23], v[16:17]
	v_fma_f64 v[6:7], v[6:7], v[22:23], -v[24:25]
	v_add_f64_e32 v[14:15], v[10:11], v[14:15]
	v_add_f64_e32 v[20:21], v[12:13], v[137:138]
	ds_load_b128 v[2:5], v1 offset:1264
	ds_load_b128 v[10:13], v1 offset:1280
	s_wait_loadcnt_dscnt 0x401
	v_mul_f64_e32 v[137:138], v[2:3], v[28:29]
	v_mul_f64_e32 v[28:29], v[4:5], v[28:29]
	v_add_f64_e32 v[14:15], v[14:15], v[18:19]
	v_add_f64_e32 v[16:17], v[20:21], v[135:136]
	s_wait_loadcnt_dscnt 0x300
	v_mul_f64_e32 v[18:19], v[10:11], v[32:33]
	v_mul_f64_e32 v[20:21], v[12:13], v[32:33]
	v_fma_f64 v[22:23], v[4:5], v[26:27], v[137:138]
	v_fma_f64 v[24:25], v[2:3], v[26:27], -v[28:29]
	v_add_f64_e32 v[14:15], v[14:15], v[6:7]
	v_add_f64_e32 v[16:17], v[16:17], v[8:9]
	ds_load_b128 v[2:5], v1 offset:1296
	ds_load_b128 v[6:9], v1 offset:1312
	v_fma_f64 v[12:13], v[12:13], v[30:31], v[18:19]
	v_fma_f64 v[10:11], v[10:11], v[30:31], -v[20:21]
	s_wait_loadcnt_dscnt 0x201
	v_mul_f64_e32 v[26:27], v[2:3], v[40:41]
	v_mul_f64_e32 v[28:29], v[4:5], v[40:41]
	s_wait_loadcnt_dscnt 0x100
	v_mul_f64_e32 v[18:19], v[6:7], v[133:134]
	v_mul_f64_e32 v[20:21], v[8:9], v[133:134]
	v_add_f64_e32 v[14:15], v[14:15], v[24:25]
	v_add_f64_e32 v[16:17], v[16:17], v[22:23]
	v_fma_f64 v[22:23], v[4:5], v[38:39], v[26:27]
	v_fma_f64 v[24:25], v[2:3], v[38:39], -v[28:29]
	ds_load_b128 v[2:5], v1 offset:1328
	v_fma_f64 v[8:9], v[8:9], v[131:132], v[18:19]
	v_fma_f64 v[6:7], v[6:7], v[131:132], -v[20:21]
	v_add_f64_e32 v[10:11], v[14:15], v[10:11]
	v_add_f64_e32 v[12:13], v[16:17], v[12:13]
	s_wait_loadcnt_dscnt 0x0
	v_mul_f64_e32 v[14:15], v[2:3], v[36:37]
	v_mul_f64_e32 v[16:17], v[4:5], v[36:37]
	s_delay_alu instid0(VALU_DEP_4) | instskip(NEXT) | instid1(VALU_DEP_4)
	v_add_f64_e32 v[10:11], v[10:11], v[24:25]
	v_add_f64_e32 v[12:13], v[12:13], v[22:23]
	s_delay_alu instid0(VALU_DEP_4) | instskip(NEXT) | instid1(VALU_DEP_4)
	v_fma_f64 v[4:5], v[4:5], v[34:35], v[14:15]
	v_fma_f64 v[2:3], v[2:3], v[34:35], -v[16:17]
	s_delay_alu instid0(VALU_DEP_4) | instskip(NEXT) | instid1(VALU_DEP_4)
	v_add_f64_e32 v[6:7], v[10:11], v[6:7]
	v_add_f64_e32 v[8:9], v[12:13], v[8:9]
	s_delay_alu instid0(VALU_DEP_2) | instskip(NEXT) | instid1(VALU_DEP_2)
	v_add_f64_e32 v[2:3], v[6:7], v[2:3]
	v_add_f64_e32 v[4:5], v[8:9], v[4:5]
	s_delay_alu instid0(VALU_DEP_2) | instskip(NEXT) | instid1(VALU_DEP_2)
	v_add_f64_e64 v[2:3], v[42:43], -v[2:3]
	v_add_f64_e64 v[4:5], v[44:45], -v[4:5]
	scratch_store_b128 off, v[2:5], off offset:336
	v_cmpx_lt_u32_e32 19, v0
	s_cbranch_execz .LBB105_227
; %bb.226:
	scratch_load_b128 v[5:8], off, s16
	v_dual_mov_b32 v2, v1 :: v_dual_mov_b32 v3, v1
	v_mov_b32_e32 v4, v1
	scratch_store_b128 off, v[1:4], off offset:320
	s_wait_loadcnt 0x0
	ds_store_b128 v130, v[5:8]
.LBB105_227:
	s_wait_alu 0xfffe
	s_or_b32 exec_lo, exec_lo, s0
	s_wait_storecnt_dscnt 0x0
	s_barrier_signal -1
	s_barrier_wait -1
	global_inv scope:SCOPE_SE
	s_clause 0x8
	scratch_load_b128 v[2:5], off, off offset:336
	scratch_load_b128 v[6:9], off, off offset:352
	;; [unrolled: 1-line block ×9, first 2 shown]
	ds_load_b128 v[38:41], v1 offset:992
	ds_load_b128 v[42:45], v1 offset:1008
	s_clause 0x1
	scratch_load_b128 v[131:134], off, off offset:320
	scratch_load_b128 v[135:138], off, off offset:480
	s_mov_b32 s0, exec_lo
	s_wait_loadcnt_dscnt 0xa01
	v_mul_f64_e32 v[139:140], v[40:41], v[4:5]
	v_mul_f64_e32 v[4:5], v[38:39], v[4:5]
	s_wait_loadcnt_dscnt 0x900
	v_mul_f64_e32 v[143:144], v[42:43], v[8:9]
	v_mul_f64_e32 v[8:9], v[44:45], v[8:9]
	s_delay_alu instid0(VALU_DEP_4) | instskip(NEXT) | instid1(VALU_DEP_4)
	v_fma_f64 v[145:146], v[38:39], v[2:3], -v[139:140]
	v_fma_f64 v[147:148], v[40:41], v[2:3], v[4:5]
	ds_load_b128 v[2:5], v1 offset:1024
	ds_load_b128 v[139:142], v1 offset:1040
	scratch_load_b128 v[38:41], off, off offset:496
	v_fma_f64 v[44:45], v[44:45], v[6:7], v[143:144]
	v_fma_f64 v[42:43], v[42:43], v[6:7], -v[8:9]
	scratch_load_b128 v[6:9], off, off offset:512
	s_wait_loadcnt_dscnt 0xa01
	v_mul_f64_e32 v[149:150], v[2:3], v[12:13]
	v_mul_f64_e32 v[12:13], v[4:5], v[12:13]
	v_add_f64_e32 v[143:144], 0, v[145:146]
	v_add_f64_e32 v[145:146], 0, v[147:148]
	s_wait_loadcnt_dscnt 0x900
	v_mul_f64_e32 v[147:148], v[139:140], v[16:17]
	v_mul_f64_e32 v[16:17], v[141:142], v[16:17]
	v_fma_f64 v[149:150], v[4:5], v[10:11], v[149:150]
	v_fma_f64 v[151:152], v[2:3], v[10:11], -v[12:13]
	ds_load_b128 v[2:5], v1 offset:1056
	scratch_load_b128 v[10:13], off, off offset:528
	v_add_f64_e32 v[143:144], v[143:144], v[42:43]
	v_add_f64_e32 v[145:146], v[145:146], v[44:45]
	ds_load_b128 v[42:45], v1 offset:1072
	v_fma_f64 v[141:142], v[141:142], v[14:15], v[147:148]
	v_fma_f64 v[139:140], v[139:140], v[14:15], -v[16:17]
	scratch_load_b128 v[14:17], off, off offset:544
	s_wait_loadcnt_dscnt 0xa01
	v_mul_f64_e32 v[153:154], v[2:3], v[20:21]
	v_mul_f64_e32 v[20:21], v[4:5], v[20:21]
	s_wait_loadcnt_dscnt 0x900
	v_mul_f64_e32 v[147:148], v[42:43], v[24:25]
	v_mul_f64_e32 v[24:25], v[44:45], v[24:25]
	v_add_f64_e32 v[143:144], v[143:144], v[151:152]
	v_add_f64_e32 v[145:146], v[145:146], v[149:150]
	v_fma_f64 v[149:150], v[4:5], v[18:19], v[153:154]
	v_fma_f64 v[151:152], v[2:3], v[18:19], -v[20:21]
	ds_load_b128 v[2:5], v1 offset:1088
	scratch_load_b128 v[18:21], off, off offset:560
	v_fma_f64 v[44:45], v[44:45], v[22:23], v[147:148]
	v_fma_f64 v[42:43], v[42:43], v[22:23], -v[24:25]
	scratch_load_b128 v[22:25], off, off offset:576
	v_add_f64_e32 v[143:144], v[143:144], v[139:140]
	v_add_f64_e32 v[145:146], v[145:146], v[141:142]
	ds_load_b128 v[139:142], v1 offset:1104
	s_wait_loadcnt_dscnt 0xa01
	v_mul_f64_e32 v[153:154], v[2:3], v[28:29]
	v_mul_f64_e32 v[28:29], v[4:5], v[28:29]
	s_wait_loadcnt_dscnt 0x900
	v_mul_f64_e32 v[147:148], v[139:140], v[32:33]
	v_mul_f64_e32 v[32:33], v[141:142], v[32:33]
	v_add_f64_e32 v[143:144], v[143:144], v[151:152]
	v_add_f64_e32 v[145:146], v[145:146], v[149:150]
	v_fma_f64 v[149:150], v[4:5], v[26:27], v[153:154]
	v_fma_f64 v[151:152], v[2:3], v[26:27], -v[28:29]
	ds_load_b128 v[2:5], v1 offset:1120
	scratch_load_b128 v[26:29], off, off offset:592
	v_fma_f64 v[141:142], v[141:142], v[30:31], v[147:148]
	v_fma_f64 v[139:140], v[139:140], v[30:31], -v[32:33]
	scratch_load_b128 v[30:33], off, off offset:608
	v_add_f64_e32 v[143:144], v[143:144], v[42:43]
	v_add_f64_e32 v[145:146], v[145:146], v[44:45]
	ds_load_b128 v[42:45], v1 offset:1136
	s_wait_loadcnt_dscnt 0xa01
	v_mul_f64_e32 v[153:154], v[2:3], v[36:37]
	v_mul_f64_e32 v[36:37], v[4:5], v[36:37]
	s_wait_loadcnt_dscnt 0x800
	v_mul_f64_e32 v[147:148], v[42:43], v[137:138]
	v_add_f64_e32 v[143:144], v[143:144], v[151:152]
	v_add_f64_e32 v[145:146], v[145:146], v[149:150]
	v_mul_f64_e32 v[149:150], v[44:45], v[137:138]
	v_fma_f64 v[151:152], v[4:5], v[34:35], v[153:154]
	v_fma_f64 v[153:154], v[2:3], v[34:35], -v[36:37]
	ds_load_b128 v[2:5], v1 offset:1152
	scratch_load_b128 v[34:37], off, off offset:624
	v_fma_f64 v[44:45], v[44:45], v[135:136], v[147:148]
	v_add_f64_e32 v[143:144], v[143:144], v[139:140]
	v_add_f64_e32 v[141:142], v[145:146], v[141:142]
	ds_load_b128 v[137:140], v1 offset:1168
	v_fma_f64 v[135:136], v[42:43], v[135:136], -v[149:150]
	s_wait_loadcnt_dscnt 0x801
	v_mul_f64_e32 v[145:146], v[2:3], v[40:41]
	v_mul_f64_e32 v[155:156], v[4:5], v[40:41]
	scratch_load_b128 v[40:43], off, off offset:640
	s_wait_loadcnt_dscnt 0x800
	v_mul_f64_e32 v[149:150], v[137:138], v[8:9]
	v_mul_f64_e32 v[8:9], v[139:140], v[8:9]
	v_add_f64_e32 v[143:144], v[143:144], v[153:154]
	v_add_f64_e32 v[141:142], v[141:142], v[151:152]
	v_fma_f64 v[151:152], v[4:5], v[38:39], v[145:146]
	v_fma_f64 v[38:39], v[2:3], v[38:39], -v[155:156]
	ds_load_b128 v[2:5], v1 offset:1184
	ds_load_b128 v[145:148], v1 offset:1200
	v_fma_f64 v[139:140], v[139:140], v[6:7], v[149:150]
	v_fma_f64 v[137:138], v[137:138], v[6:7], -v[8:9]
	scratch_load_b128 v[6:9], off, off offset:672
	v_add_f64_e32 v[135:136], v[143:144], v[135:136]
	v_add_f64_e32 v[44:45], v[141:142], v[44:45]
	scratch_load_b128 v[141:144], off, off offset:656
	s_wait_loadcnt_dscnt 0x901
	v_mul_f64_e32 v[153:154], v[2:3], v[12:13]
	v_mul_f64_e32 v[12:13], v[4:5], v[12:13]
	v_add_f64_e32 v[38:39], v[135:136], v[38:39]
	v_add_f64_e32 v[44:45], v[44:45], v[151:152]
	s_wait_loadcnt_dscnt 0x800
	v_mul_f64_e32 v[135:136], v[145:146], v[16:17]
	v_mul_f64_e32 v[16:17], v[147:148], v[16:17]
	v_fma_f64 v[149:150], v[4:5], v[10:11], v[153:154]
	v_fma_f64 v[151:152], v[2:3], v[10:11], -v[12:13]
	ds_load_b128 v[2:5], v1 offset:1216
	ds_load_b128 v[10:13], v1 offset:1232
	v_add_f64_e32 v[38:39], v[38:39], v[137:138]
	v_add_f64_e32 v[44:45], v[44:45], v[139:140]
	s_wait_loadcnt_dscnt 0x701
	v_mul_f64_e32 v[137:138], v[2:3], v[20:21]
	v_mul_f64_e32 v[20:21], v[4:5], v[20:21]
	v_fma_f64 v[135:136], v[147:148], v[14:15], v[135:136]
	v_fma_f64 v[14:15], v[145:146], v[14:15], -v[16:17]
	v_add_f64_e32 v[16:17], v[38:39], v[151:152]
	v_add_f64_e32 v[38:39], v[44:45], v[149:150]
	s_wait_loadcnt_dscnt 0x600
	v_mul_f64_e32 v[44:45], v[10:11], v[24:25]
	v_mul_f64_e32 v[24:25], v[12:13], v[24:25]
	v_fma_f64 v[137:138], v[4:5], v[18:19], v[137:138]
	v_fma_f64 v[18:19], v[2:3], v[18:19], -v[20:21]
	v_add_f64_e32 v[20:21], v[16:17], v[14:15]
	v_add_f64_e32 v[38:39], v[38:39], v[135:136]
	ds_load_b128 v[2:5], v1 offset:1248
	ds_load_b128 v[14:17], v1 offset:1264
	v_fma_f64 v[12:13], v[12:13], v[22:23], v[44:45]
	v_fma_f64 v[10:11], v[10:11], v[22:23], -v[24:25]
	s_wait_loadcnt_dscnt 0x501
	v_mul_f64_e32 v[135:136], v[2:3], v[28:29]
	v_mul_f64_e32 v[28:29], v[4:5], v[28:29]
	s_wait_loadcnt_dscnt 0x400
	v_mul_f64_e32 v[22:23], v[14:15], v[32:33]
	v_mul_f64_e32 v[24:25], v[16:17], v[32:33]
	v_add_f64_e32 v[18:19], v[20:21], v[18:19]
	v_add_f64_e32 v[20:21], v[38:39], v[137:138]
	v_fma_f64 v[32:33], v[4:5], v[26:27], v[135:136]
	v_fma_f64 v[26:27], v[2:3], v[26:27], -v[28:29]
	v_fma_f64 v[16:17], v[16:17], v[30:31], v[22:23]
	v_fma_f64 v[14:15], v[14:15], v[30:31], -v[24:25]
	v_add_f64_e32 v[18:19], v[18:19], v[10:11]
	v_add_f64_e32 v[20:21], v[20:21], v[12:13]
	ds_load_b128 v[2:5], v1 offset:1280
	ds_load_b128 v[10:13], v1 offset:1296
	s_wait_loadcnt_dscnt 0x301
	v_mul_f64_e32 v[28:29], v[2:3], v[36:37]
	v_mul_f64_e32 v[36:37], v[4:5], v[36:37]
	s_wait_loadcnt_dscnt 0x200
	v_mul_f64_e32 v[22:23], v[10:11], v[42:43]
	v_add_f64_e32 v[18:19], v[18:19], v[26:27]
	v_add_f64_e32 v[20:21], v[20:21], v[32:33]
	v_mul_f64_e32 v[24:25], v[12:13], v[42:43]
	v_fma_f64 v[26:27], v[4:5], v[34:35], v[28:29]
	v_fma_f64 v[28:29], v[2:3], v[34:35], -v[36:37]
	v_fma_f64 v[12:13], v[12:13], v[40:41], v[22:23]
	v_add_f64_e32 v[18:19], v[18:19], v[14:15]
	v_add_f64_e32 v[20:21], v[20:21], v[16:17]
	ds_load_b128 v[2:5], v1 offset:1312
	ds_load_b128 v[14:17], v1 offset:1328
	v_fma_f64 v[10:11], v[10:11], v[40:41], -v[24:25]
	s_wait_loadcnt_dscnt 0x1
	v_mul_f64_e32 v[30:31], v[2:3], v[143:144]
	v_mul_f64_e32 v[32:33], v[4:5], v[143:144]
	s_wait_dscnt 0x0
	v_mul_f64_e32 v[22:23], v[14:15], v[8:9]
	v_mul_f64_e32 v[8:9], v[16:17], v[8:9]
	v_add_f64_e32 v[18:19], v[18:19], v[28:29]
	v_add_f64_e32 v[20:21], v[20:21], v[26:27]
	v_fma_f64 v[4:5], v[4:5], v[141:142], v[30:31]
	v_fma_f64 v[1:2], v[2:3], v[141:142], -v[32:33]
	v_fma_f64 v[16:17], v[16:17], v[6:7], v[22:23]
	v_fma_f64 v[6:7], v[14:15], v[6:7], -v[8:9]
	v_add_f64_e32 v[10:11], v[18:19], v[10:11]
	v_add_f64_e32 v[12:13], v[20:21], v[12:13]
	s_delay_alu instid0(VALU_DEP_2) | instskip(NEXT) | instid1(VALU_DEP_2)
	v_add_f64_e32 v[1:2], v[10:11], v[1:2]
	v_add_f64_e32 v[3:4], v[12:13], v[4:5]
	s_delay_alu instid0(VALU_DEP_2) | instskip(NEXT) | instid1(VALU_DEP_2)
	;; [unrolled: 3-line block ×3, first 2 shown]
	v_add_f64_e64 v[1:2], v[131:132], -v[1:2]
	v_add_f64_e64 v[3:4], v[133:134], -v[3:4]
	scratch_store_b128 off, v[1:4], off offset:320
	v_cmpx_lt_u32_e32 18, v0
	s_cbranch_execz .LBB105_229
; %bb.228:
	scratch_load_b128 v[1:4], off, s37
	v_mov_b32_e32 v5, 0
	s_delay_alu instid0(VALU_DEP_1)
	v_dual_mov_b32 v6, v5 :: v_dual_mov_b32 v7, v5
	v_mov_b32_e32 v8, v5
	scratch_store_b128 off, v[5:8], off offset:304
	s_wait_loadcnt 0x0
	ds_store_b128 v130, v[1:4]
.LBB105_229:
	s_wait_alu 0xfffe
	s_or_b32 exec_lo, exec_lo, s0
	s_wait_storecnt_dscnt 0x0
	s_barrier_signal -1
	s_barrier_wait -1
	global_inv scope:SCOPE_SE
	s_clause 0x7
	scratch_load_b128 v[2:5], off, off offset:320
	scratch_load_b128 v[6:9], off, off offset:336
	;; [unrolled: 1-line block ×8, first 2 shown]
	v_mov_b32_e32 v1, 0
	s_mov_b32 s0, exec_lo
	ds_load_b128 v[34:37], v1 offset:976
	s_clause 0x1
	scratch_load_b128 v[38:41], off, off offset:448
	scratch_load_b128 v[42:45], off, off offset:304
	ds_load_b128 v[131:134], v1 offset:992
	scratch_load_b128 v[135:138], off, off offset:464
	s_wait_loadcnt_dscnt 0xa01
	v_mul_f64_e32 v[139:140], v[36:37], v[4:5]
	v_mul_f64_e32 v[4:5], v[34:35], v[4:5]
	s_delay_alu instid0(VALU_DEP_2) | instskip(NEXT) | instid1(VALU_DEP_2)
	v_fma_f64 v[145:146], v[34:35], v[2:3], -v[139:140]
	v_fma_f64 v[147:148], v[36:37], v[2:3], v[4:5]
	ds_load_b128 v[2:5], v1 offset:1008
	s_wait_loadcnt_dscnt 0x901
	v_mul_f64_e32 v[143:144], v[131:132], v[8:9]
	v_mul_f64_e32 v[8:9], v[133:134], v[8:9]
	scratch_load_b128 v[34:37], off, off offset:480
	ds_load_b128 v[139:142], v1 offset:1024
	s_wait_loadcnt_dscnt 0x901
	v_mul_f64_e32 v[149:150], v[2:3], v[12:13]
	v_mul_f64_e32 v[12:13], v[4:5], v[12:13]
	v_fma_f64 v[133:134], v[133:134], v[6:7], v[143:144]
	v_fma_f64 v[131:132], v[131:132], v[6:7], -v[8:9]
	v_add_f64_e32 v[143:144], 0, v[145:146]
	v_add_f64_e32 v[145:146], 0, v[147:148]
	scratch_load_b128 v[6:9], off, off offset:496
	v_fma_f64 v[149:150], v[4:5], v[10:11], v[149:150]
	v_fma_f64 v[151:152], v[2:3], v[10:11], -v[12:13]
	ds_load_b128 v[2:5], v1 offset:1040
	s_wait_loadcnt_dscnt 0x901
	v_mul_f64_e32 v[147:148], v[139:140], v[16:17]
	v_mul_f64_e32 v[16:17], v[141:142], v[16:17]
	scratch_load_b128 v[10:13], off, off offset:512
	v_add_f64_e32 v[143:144], v[143:144], v[131:132]
	v_add_f64_e32 v[145:146], v[145:146], v[133:134]
	s_wait_loadcnt_dscnt 0x900
	v_mul_f64_e32 v[153:154], v[2:3], v[20:21]
	v_mul_f64_e32 v[20:21], v[4:5], v[20:21]
	ds_load_b128 v[131:134], v1 offset:1056
	v_fma_f64 v[141:142], v[141:142], v[14:15], v[147:148]
	v_fma_f64 v[139:140], v[139:140], v[14:15], -v[16:17]
	scratch_load_b128 v[14:17], off, off offset:528
	v_add_f64_e32 v[143:144], v[143:144], v[151:152]
	v_add_f64_e32 v[145:146], v[145:146], v[149:150]
	v_fma_f64 v[149:150], v[4:5], v[18:19], v[153:154]
	v_fma_f64 v[151:152], v[2:3], v[18:19], -v[20:21]
	ds_load_b128 v[2:5], v1 offset:1072
	s_wait_loadcnt_dscnt 0x901
	v_mul_f64_e32 v[147:148], v[131:132], v[24:25]
	v_mul_f64_e32 v[24:25], v[133:134], v[24:25]
	scratch_load_b128 v[18:21], off, off offset:544
	s_wait_loadcnt_dscnt 0x900
	v_mul_f64_e32 v[153:154], v[2:3], v[28:29]
	v_mul_f64_e32 v[28:29], v[4:5], v[28:29]
	v_add_f64_e32 v[143:144], v[143:144], v[139:140]
	v_add_f64_e32 v[145:146], v[145:146], v[141:142]
	ds_load_b128 v[139:142], v1 offset:1088
	v_fma_f64 v[133:134], v[133:134], v[22:23], v[147:148]
	v_fma_f64 v[131:132], v[131:132], v[22:23], -v[24:25]
	scratch_load_b128 v[22:25], off, off offset:560
	v_add_f64_e32 v[143:144], v[143:144], v[151:152]
	v_add_f64_e32 v[145:146], v[145:146], v[149:150]
	v_fma_f64 v[149:150], v[4:5], v[26:27], v[153:154]
	v_fma_f64 v[151:152], v[2:3], v[26:27], -v[28:29]
	ds_load_b128 v[2:5], v1 offset:1104
	s_wait_loadcnt_dscnt 0x901
	v_mul_f64_e32 v[147:148], v[139:140], v[32:33]
	v_mul_f64_e32 v[32:33], v[141:142], v[32:33]
	scratch_load_b128 v[26:29], off, off offset:576
	s_wait_loadcnt_dscnt 0x900
	v_mul_f64_e32 v[153:154], v[2:3], v[40:41]
	v_mul_f64_e32 v[40:41], v[4:5], v[40:41]
	v_add_f64_e32 v[143:144], v[143:144], v[131:132]
	v_add_f64_e32 v[145:146], v[145:146], v[133:134]
	ds_load_b128 v[131:134], v1 offset:1120
	v_fma_f64 v[141:142], v[141:142], v[30:31], v[147:148]
	v_fma_f64 v[139:140], v[139:140], v[30:31], -v[32:33]
	scratch_load_b128 v[30:33], off, off offset:592
	v_add_f64_e32 v[143:144], v[143:144], v[151:152]
	v_add_f64_e32 v[145:146], v[145:146], v[149:150]
	v_fma_f64 v[151:152], v[4:5], v[38:39], v[153:154]
	v_fma_f64 v[153:154], v[2:3], v[38:39], -v[40:41]
	ds_load_b128 v[2:5], v1 offset:1136
	s_wait_loadcnt_dscnt 0x801
	v_mul_f64_e32 v[147:148], v[131:132], v[137:138]
	v_mul_f64_e32 v[149:150], v[133:134], v[137:138]
	scratch_load_b128 v[38:41], off, off offset:608
	v_add_f64_e32 v[143:144], v[143:144], v[139:140]
	v_add_f64_e32 v[141:142], v[145:146], v[141:142]
	ds_load_b128 v[137:140], v1 offset:1152
	v_fma_f64 v[147:148], v[133:134], v[135:136], v[147:148]
	v_fma_f64 v[135:136], v[131:132], v[135:136], -v[149:150]
	scratch_load_b128 v[131:134], off, off offset:624
	s_wait_loadcnt_dscnt 0x901
	v_mul_f64_e32 v[145:146], v[2:3], v[36:37]
	v_mul_f64_e32 v[36:37], v[4:5], v[36:37]
	v_add_f64_e32 v[143:144], v[143:144], v[153:154]
	v_add_f64_e32 v[141:142], v[141:142], v[151:152]
	s_delay_alu instid0(VALU_DEP_4) | instskip(NEXT) | instid1(VALU_DEP_4)
	v_fma_f64 v[145:146], v[4:5], v[34:35], v[145:146]
	v_fma_f64 v[151:152], v[2:3], v[34:35], -v[36:37]
	ds_load_b128 v[2:5], v1 offset:1168
	s_wait_loadcnt_dscnt 0x801
	v_mul_f64_e32 v[149:150], v[137:138], v[8:9]
	v_mul_f64_e32 v[8:9], v[139:140], v[8:9]
	scratch_load_b128 v[34:37], off, off offset:640
	s_wait_loadcnt_dscnt 0x800
	v_mul_f64_e32 v[153:154], v[2:3], v[12:13]
	v_add_f64_e32 v[135:136], v[143:144], v[135:136]
	v_add_f64_e32 v[147:148], v[141:142], v[147:148]
	v_mul_f64_e32 v[12:13], v[4:5], v[12:13]
	ds_load_b128 v[141:144], v1 offset:1184
	v_fma_f64 v[139:140], v[139:140], v[6:7], v[149:150]
	v_fma_f64 v[137:138], v[137:138], v[6:7], -v[8:9]
	scratch_load_b128 v[6:9], off, off offset:656
	v_fma_f64 v[149:150], v[4:5], v[10:11], v[153:154]
	v_add_f64_e32 v[135:136], v[135:136], v[151:152]
	v_add_f64_e32 v[145:146], v[147:148], v[145:146]
	v_fma_f64 v[151:152], v[2:3], v[10:11], -v[12:13]
	ds_load_b128 v[2:5], v1 offset:1200
	s_wait_loadcnt_dscnt 0x801
	v_mul_f64_e32 v[147:148], v[141:142], v[16:17]
	v_mul_f64_e32 v[16:17], v[143:144], v[16:17]
	scratch_load_b128 v[10:13], off, off offset:672
	v_add_f64_e32 v[153:154], v[135:136], v[137:138]
	v_add_f64_e32 v[139:140], v[145:146], v[139:140]
	s_wait_loadcnt_dscnt 0x800
	v_mul_f64_e32 v[145:146], v[2:3], v[20:21]
	v_mul_f64_e32 v[20:21], v[4:5], v[20:21]
	v_fma_f64 v[143:144], v[143:144], v[14:15], v[147:148]
	v_fma_f64 v[14:15], v[141:142], v[14:15], -v[16:17]
	ds_load_b128 v[135:138], v1 offset:1216
	s_wait_loadcnt_dscnt 0x700
	v_mul_f64_e32 v[141:142], v[135:136], v[24:25]
	v_mul_f64_e32 v[24:25], v[137:138], v[24:25]
	v_add_f64_e32 v[16:17], v[153:154], v[151:152]
	v_add_f64_e32 v[139:140], v[139:140], v[149:150]
	v_fma_f64 v[145:146], v[4:5], v[18:19], v[145:146]
	v_fma_f64 v[18:19], v[2:3], v[18:19], -v[20:21]
	v_fma_f64 v[137:138], v[137:138], v[22:23], v[141:142]
	v_fma_f64 v[22:23], v[135:136], v[22:23], -v[24:25]
	v_add_f64_e32 v[20:21], v[16:17], v[14:15]
	v_add_f64_e32 v[139:140], v[139:140], v[143:144]
	ds_load_b128 v[2:5], v1 offset:1232
	ds_load_b128 v[14:17], v1 offset:1248
	s_wait_loadcnt_dscnt 0x601
	v_mul_f64_e32 v[143:144], v[2:3], v[28:29]
	v_mul_f64_e32 v[28:29], v[4:5], v[28:29]
	s_wait_loadcnt_dscnt 0x500
	v_mul_f64_e32 v[24:25], v[14:15], v[32:33]
	v_mul_f64_e32 v[32:33], v[16:17], v[32:33]
	v_add_f64_e32 v[18:19], v[20:21], v[18:19]
	v_add_f64_e32 v[20:21], v[139:140], v[145:146]
	v_fma_f64 v[135:136], v[4:5], v[26:27], v[143:144]
	v_fma_f64 v[26:27], v[2:3], v[26:27], -v[28:29]
	v_fma_f64 v[16:17], v[16:17], v[30:31], v[24:25]
	v_fma_f64 v[14:15], v[14:15], v[30:31], -v[32:33]
	v_add_f64_e32 v[22:23], v[18:19], v[22:23]
	v_add_f64_e32 v[28:29], v[20:21], v[137:138]
	ds_load_b128 v[2:5], v1 offset:1264
	ds_load_b128 v[18:21], v1 offset:1280
	s_wait_loadcnt_dscnt 0x401
	v_mul_f64_e32 v[137:138], v[2:3], v[40:41]
	v_mul_f64_e32 v[40:41], v[4:5], v[40:41]
	v_add_f64_e32 v[22:23], v[22:23], v[26:27]
	v_add_f64_e32 v[24:25], v[28:29], v[135:136]
	s_wait_loadcnt_dscnt 0x300
	v_mul_f64_e32 v[26:27], v[18:19], v[133:134]
	v_mul_f64_e32 v[28:29], v[20:21], v[133:134]
	v_fma_f64 v[30:31], v[4:5], v[38:39], v[137:138]
	v_fma_f64 v[32:33], v[2:3], v[38:39], -v[40:41]
	v_add_f64_e32 v[22:23], v[22:23], v[14:15]
	v_add_f64_e32 v[24:25], v[24:25], v[16:17]
	ds_load_b128 v[2:5], v1 offset:1296
	ds_load_b128 v[14:17], v1 offset:1312
	v_fma_f64 v[20:21], v[20:21], v[131:132], v[26:27]
	v_fma_f64 v[18:19], v[18:19], v[131:132], -v[28:29]
	s_wait_loadcnt_dscnt 0x201
	v_mul_f64_e32 v[38:39], v[2:3], v[36:37]
	v_mul_f64_e32 v[36:37], v[4:5], v[36:37]
	s_wait_loadcnt_dscnt 0x100
	v_mul_f64_e32 v[26:27], v[14:15], v[8:9]
	v_mul_f64_e32 v[8:9], v[16:17], v[8:9]
	v_add_f64_e32 v[22:23], v[22:23], v[32:33]
	v_add_f64_e32 v[24:25], v[24:25], v[30:31]
	v_fma_f64 v[28:29], v[4:5], v[34:35], v[38:39]
	v_fma_f64 v[30:31], v[2:3], v[34:35], -v[36:37]
	ds_load_b128 v[2:5], v1 offset:1328
	v_fma_f64 v[16:17], v[16:17], v[6:7], v[26:27]
	v_fma_f64 v[6:7], v[14:15], v[6:7], -v[8:9]
	v_add_f64_e32 v[18:19], v[22:23], v[18:19]
	v_add_f64_e32 v[20:21], v[24:25], v[20:21]
	s_wait_loadcnt_dscnt 0x0
	v_mul_f64_e32 v[22:23], v[2:3], v[12:13]
	v_mul_f64_e32 v[12:13], v[4:5], v[12:13]
	s_delay_alu instid0(VALU_DEP_4) | instskip(NEXT) | instid1(VALU_DEP_4)
	v_add_f64_e32 v[8:9], v[18:19], v[30:31]
	v_add_f64_e32 v[14:15], v[20:21], v[28:29]
	s_delay_alu instid0(VALU_DEP_4) | instskip(NEXT) | instid1(VALU_DEP_4)
	v_fma_f64 v[4:5], v[4:5], v[10:11], v[22:23]
	v_fma_f64 v[2:3], v[2:3], v[10:11], -v[12:13]
	s_delay_alu instid0(VALU_DEP_4) | instskip(NEXT) | instid1(VALU_DEP_4)
	v_add_f64_e32 v[6:7], v[8:9], v[6:7]
	v_add_f64_e32 v[8:9], v[14:15], v[16:17]
	s_delay_alu instid0(VALU_DEP_2) | instskip(NEXT) | instid1(VALU_DEP_2)
	v_add_f64_e32 v[2:3], v[6:7], v[2:3]
	v_add_f64_e32 v[4:5], v[8:9], v[4:5]
	s_delay_alu instid0(VALU_DEP_2) | instskip(NEXT) | instid1(VALU_DEP_2)
	v_add_f64_e64 v[2:3], v[42:43], -v[2:3]
	v_add_f64_e64 v[4:5], v[44:45], -v[4:5]
	scratch_store_b128 off, v[2:5], off offset:304
	v_cmpx_lt_u32_e32 17, v0
	s_cbranch_execz .LBB105_231
; %bb.230:
	scratch_load_b128 v[5:8], off, s15
	v_dual_mov_b32 v2, v1 :: v_dual_mov_b32 v3, v1
	v_mov_b32_e32 v4, v1
	scratch_store_b128 off, v[1:4], off offset:288
	s_wait_loadcnt 0x0
	ds_store_b128 v130, v[5:8]
.LBB105_231:
	s_wait_alu 0xfffe
	s_or_b32 exec_lo, exec_lo, s0
	s_wait_storecnt_dscnt 0x0
	s_barrier_signal -1
	s_barrier_wait -1
	global_inv scope:SCOPE_SE
	s_clause 0x8
	scratch_load_b128 v[2:5], off, off offset:304
	scratch_load_b128 v[6:9], off, off offset:320
	;; [unrolled: 1-line block ×9, first 2 shown]
	ds_load_b128 v[38:41], v1 offset:960
	ds_load_b128 v[42:45], v1 offset:976
	s_clause 0x1
	scratch_load_b128 v[131:134], off, off offset:288
	scratch_load_b128 v[135:138], off, off offset:448
	s_mov_b32 s0, exec_lo
	s_wait_loadcnt_dscnt 0xa01
	v_mul_f64_e32 v[139:140], v[40:41], v[4:5]
	v_mul_f64_e32 v[4:5], v[38:39], v[4:5]
	s_wait_loadcnt_dscnt 0x900
	v_mul_f64_e32 v[143:144], v[42:43], v[8:9]
	v_mul_f64_e32 v[8:9], v[44:45], v[8:9]
	s_delay_alu instid0(VALU_DEP_4) | instskip(NEXT) | instid1(VALU_DEP_4)
	v_fma_f64 v[145:146], v[38:39], v[2:3], -v[139:140]
	v_fma_f64 v[147:148], v[40:41], v[2:3], v[4:5]
	ds_load_b128 v[2:5], v1 offset:992
	ds_load_b128 v[139:142], v1 offset:1008
	scratch_load_b128 v[38:41], off, off offset:464
	v_fma_f64 v[44:45], v[44:45], v[6:7], v[143:144]
	v_fma_f64 v[42:43], v[42:43], v[6:7], -v[8:9]
	scratch_load_b128 v[6:9], off, off offset:480
	s_wait_loadcnt_dscnt 0xa01
	v_mul_f64_e32 v[149:150], v[2:3], v[12:13]
	v_mul_f64_e32 v[12:13], v[4:5], v[12:13]
	v_add_f64_e32 v[143:144], 0, v[145:146]
	v_add_f64_e32 v[145:146], 0, v[147:148]
	s_wait_loadcnt_dscnt 0x900
	v_mul_f64_e32 v[147:148], v[139:140], v[16:17]
	v_mul_f64_e32 v[16:17], v[141:142], v[16:17]
	v_fma_f64 v[149:150], v[4:5], v[10:11], v[149:150]
	v_fma_f64 v[151:152], v[2:3], v[10:11], -v[12:13]
	ds_load_b128 v[2:5], v1 offset:1024
	scratch_load_b128 v[10:13], off, off offset:496
	v_add_f64_e32 v[143:144], v[143:144], v[42:43]
	v_add_f64_e32 v[145:146], v[145:146], v[44:45]
	ds_load_b128 v[42:45], v1 offset:1040
	v_fma_f64 v[141:142], v[141:142], v[14:15], v[147:148]
	v_fma_f64 v[139:140], v[139:140], v[14:15], -v[16:17]
	scratch_load_b128 v[14:17], off, off offset:512
	s_wait_loadcnt_dscnt 0xa01
	v_mul_f64_e32 v[153:154], v[2:3], v[20:21]
	v_mul_f64_e32 v[20:21], v[4:5], v[20:21]
	s_wait_loadcnt_dscnt 0x900
	v_mul_f64_e32 v[147:148], v[42:43], v[24:25]
	v_mul_f64_e32 v[24:25], v[44:45], v[24:25]
	v_add_f64_e32 v[143:144], v[143:144], v[151:152]
	v_add_f64_e32 v[145:146], v[145:146], v[149:150]
	v_fma_f64 v[149:150], v[4:5], v[18:19], v[153:154]
	v_fma_f64 v[151:152], v[2:3], v[18:19], -v[20:21]
	ds_load_b128 v[2:5], v1 offset:1056
	scratch_load_b128 v[18:21], off, off offset:528
	v_fma_f64 v[44:45], v[44:45], v[22:23], v[147:148]
	v_fma_f64 v[42:43], v[42:43], v[22:23], -v[24:25]
	scratch_load_b128 v[22:25], off, off offset:544
	v_add_f64_e32 v[143:144], v[143:144], v[139:140]
	v_add_f64_e32 v[145:146], v[145:146], v[141:142]
	ds_load_b128 v[139:142], v1 offset:1072
	s_wait_loadcnt_dscnt 0xa01
	v_mul_f64_e32 v[153:154], v[2:3], v[28:29]
	v_mul_f64_e32 v[28:29], v[4:5], v[28:29]
	s_wait_loadcnt_dscnt 0x900
	v_mul_f64_e32 v[147:148], v[139:140], v[32:33]
	v_mul_f64_e32 v[32:33], v[141:142], v[32:33]
	v_add_f64_e32 v[143:144], v[143:144], v[151:152]
	v_add_f64_e32 v[145:146], v[145:146], v[149:150]
	v_fma_f64 v[149:150], v[4:5], v[26:27], v[153:154]
	v_fma_f64 v[151:152], v[2:3], v[26:27], -v[28:29]
	ds_load_b128 v[2:5], v1 offset:1088
	scratch_load_b128 v[26:29], off, off offset:560
	v_fma_f64 v[141:142], v[141:142], v[30:31], v[147:148]
	v_fma_f64 v[139:140], v[139:140], v[30:31], -v[32:33]
	scratch_load_b128 v[30:33], off, off offset:576
	v_add_f64_e32 v[143:144], v[143:144], v[42:43]
	v_add_f64_e32 v[145:146], v[145:146], v[44:45]
	ds_load_b128 v[42:45], v1 offset:1104
	s_wait_loadcnt_dscnt 0xa01
	v_mul_f64_e32 v[153:154], v[2:3], v[36:37]
	v_mul_f64_e32 v[36:37], v[4:5], v[36:37]
	s_wait_loadcnt_dscnt 0x800
	v_mul_f64_e32 v[147:148], v[42:43], v[137:138]
	v_add_f64_e32 v[143:144], v[143:144], v[151:152]
	v_add_f64_e32 v[145:146], v[145:146], v[149:150]
	v_mul_f64_e32 v[149:150], v[44:45], v[137:138]
	v_fma_f64 v[151:152], v[4:5], v[34:35], v[153:154]
	v_fma_f64 v[153:154], v[2:3], v[34:35], -v[36:37]
	ds_load_b128 v[2:5], v1 offset:1120
	scratch_load_b128 v[34:37], off, off offset:592
	v_fma_f64 v[44:45], v[44:45], v[135:136], v[147:148]
	v_add_f64_e32 v[143:144], v[143:144], v[139:140]
	v_add_f64_e32 v[141:142], v[145:146], v[141:142]
	ds_load_b128 v[137:140], v1 offset:1136
	v_fma_f64 v[135:136], v[42:43], v[135:136], -v[149:150]
	s_wait_loadcnt_dscnt 0x801
	v_mul_f64_e32 v[145:146], v[2:3], v[40:41]
	v_mul_f64_e32 v[155:156], v[4:5], v[40:41]
	scratch_load_b128 v[40:43], off, off offset:608
	s_wait_loadcnt_dscnt 0x800
	v_mul_f64_e32 v[149:150], v[137:138], v[8:9]
	v_mul_f64_e32 v[8:9], v[139:140], v[8:9]
	v_add_f64_e32 v[143:144], v[143:144], v[153:154]
	v_add_f64_e32 v[141:142], v[141:142], v[151:152]
	v_fma_f64 v[151:152], v[4:5], v[38:39], v[145:146]
	v_fma_f64 v[38:39], v[2:3], v[38:39], -v[155:156]
	ds_load_b128 v[2:5], v1 offset:1152
	ds_load_b128 v[145:148], v1 offset:1168
	v_fma_f64 v[139:140], v[139:140], v[6:7], v[149:150]
	v_fma_f64 v[137:138], v[137:138], v[6:7], -v[8:9]
	scratch_load_b128 v[6:9], off, off offset:640
	v_add_f64_e32 v[135:136], v[143:144], v[135:136]
	v_add_f64_e32 v[44:45], v[141:142], v[44:45]
	scratch_load_b128 v[141:144], off, off offset:624
	s_wait_loadcnt_dscnt 0x901
	v_mul_f64_e32 v[153:154], v[2:3], v[12:13]
	v_mul_f64_e32 v[12:13], v[4:5], v[12:13]
	s_wait_loadcnt_dscnt 0x800
	v_mul_f64_e32 v[149:150], v[145:146], v[16:17]
	v_mul_f64_e32 v[16:17], v[147:148], v[16:17]
	v_add_f64_e32 v[38:39], v[135:136], v[38:39]
	v_add_f64_e32 v[44:45], v[44:45], v[151:152]
	v_fma_f64 v[151:152], v[4:5], v[10:11], v[153:154]
	v_fma_f64 v[153:154], v[2:3], v[10:11], -v[12:13]
	ds_load_b128 v[2:5], v1 offset:1184
	scratch_load_b128 v[10:13], off, off offset:656
	v_fma_f64 v[147:148], v[147:148], v[14:15], v[149:150]
	v_fma_f64 v[145:146], v[145:146], v[14:15], -v[16:17]
	scratch_load_b128 v[14:17], off, off offset:672
	v_add_f64_e32 v[38:39], v[38:39], v[137:138]
	v_add_f64_e32 v[44:45], v[44:45], v[139:140]
	ds_load_b128 v[135:138], v1 offset:1200
	s_wait_loadcnt_dscnt 0x901
	v_mul_f64_e32 v[139:140], v[2:3], v[20:21]
	v_mul_f64_e32 v[20:21], v[4:5], v[20:21]
	s_wait_loadcnt_dscnt 0x800
	v_mul_f64_e32 v[149:150], v[135:136], v[24:25]
	v_mul_f64_e32 v[24:25], v[137:138], v[24:25]
	v_add_f64_e32 v[38:39], v[38:39], v[153:154]
	v_add_f64_e32 v[44:45], v[44:45], v[151:152]
	v_fma_f64 v[139:140], v[4:5], v[18:19], v[139:140]
	v_fma_f64 v[151:152], v[2:3], v[18:19], -v[20:21]
	ds_load_b128 v[2:5], v1 offset:1216
	ds_load_b128 v[18:21], v1 offset:1232
	v_fma_f64 v[137:138], v[137:138], v[22:23], v[149:150]
	v_fma_f64 v[22:23], v[135:136], v[22:23], -v[24:25]
	v_add_f64_e32 v[38:39], v[38:39], v[145:146]
	v_add_f64_e32 v[44:45], v[44:45], v[147:148]
	s_wait_loadcnt_dscnt 0x701
	v_mul_f64_e32 v[145:146], v[2:3], v[28:29]
	v_mul_f64_e32 v[28:29], v[4:5], v[28:29]
	s_delay_alu instid0(VALU_DEP_4) | instskip(NEXT) | instid1(VALU_DEP_4)
	v_add_f64_e32 v[24:25], v[38:39], v[151:152]
	v_add_f64_e32 v[38:39], v[44:45], v[139:140]
	s_wait_loadcnt_dscnt 0x600
	v_mul_f64_e32 v[44:45], v[18:19], v[32:33]
	v_mul_f64_e32 v[32:33], v[20:21], v[32:33]
	v_fma_f64 v[135:136], v[4:5], v[26:27], v[145:146]
	v_fma_f64 v[26:27], v[2:3], v[26:27], -v[28:29]
	v_add_f64_e32 v[28:29], v[24:25], v[22:23]
	v_add_f64_e32 v[38:39], v[38:39], v[137:138]
	ds_load_b128 v[2:5], v1 offset:1248
	ds_load_b128 v[22:25], v1 offset:1264
	v_fma_f64 v[20:21], v[20:21], v[30:31], v[44:45]
	v_fma_f64 v[18:19], v[18:19], v[30:31], -v[32:33]
	s_wait_loadcnt_dscnt 0x501
	v_mul_f64_e32 v[137:138], v[2:3], v[36:37]
	v_mul_f64_e32 v[36:37], v[4:5], v[36:37]
	s_wait_loadcnt_dscnt 0x400
	v_mul_f64_e32 v[30:31], v[22:23], v[42:43]
	v_add_f64_e32 v[26:27], v[28:29], v[26:27]
	v_add_f64_e32 v[28:29], v[38:39], v[135:136]
	v_mul_f64_e32 v[32:33], v[24:25], v[42:43]
	v_fma_f64 v[38:39], v[4:5], v[34:35], v[137:138]
	v_fma_f64 v[34:35], v[2:3], v[34:35], -v[36:37]
	v_fma_f64 v[24:25], v[24:25], v[40:41], v[30:31]
	v_add_f64_e32 v[26:27], v[26:27], v[18:19]
	v_add_f64_e32 v[28:29], v[28:29], v[20:21]
	ds_load_b128 v[2:5], v1 offset:1280
	ds_load_b128 v[18:21], v1 offset:1296
	v_fma_f64 v[22:23], v[22:23], v[40:41], -v[32:33]
	s_wait_loadcnt_dscnt 0x201
	v_mul_f64_e32 v[36:37], v[2:3], v[143:144]
	v_mul_f64_e32 v[42:43], v[4:5], v[143:144]
	s_wait_dscnt 0x0
	v_mul_f64_e32 v[30:31], v[18:19], v[8:9]
	v_mul_f64_e32 v[8:9], v[20:21], v[8:9]
	v_add_f64_e32 v[26:27], v[26:27], v[34:35]
	v_add_f64_e32 v[28:29], v[28:29], v[38:39]
	v_fma_f64 v[32:33], v[4:5], v[141:142], v[36:37]
	v_fma_f64 v[34:35], v[2:3], v[141:142], -v[42:43]
	v_fma_f64 v[20:21], v[20:21], v[6:7], v[30:31]
	v_fma_f64 v[6:7], v[18:19], v[6:7], -v[8:9]
	v_add_f64_e32 v[26:27], v[26:27], v[22:23]
	v_add_f64_e32 v[28:29], v[28:29], v[24:25]
	ds_load_b128 v[2:5], v1 offset:1312
	ds_load_b128 v[22:25], v1 offset:1328
	s_wait_loadcnt_dscnt 0x101
	v_mul_f64_e32 v[36:37], v[2:3], v[12:13]
	v_mul_f64_e32 v[12:13], v[4:5], v[12:13]
	v_add_f64_e32 v[8:9], v[26:27], v[34:35]
	v_add_f64_e32 v[18:19], v[28:29], v[32:33]
	s_wait_loadcnt_dscnt 0x0
	v_mul_f64_e32 v[26:27], v[22:23], v[16:17]
	v_mul_f64_e32 v[16:17], v[24:25], v[16:17]
	v_fma_f64 v[4:5], v[4:5], v[10:11], v[36:37]
	v_fma_f64 v[1:2], v[2:3], v[10:11], -v[12:13]
	v_add_f64_e32 v[6:7], v[8:9], v[6:7]
	v_add_f64_e32 v[8:9], v[18:19], v[20:21]
	v_fma_f64 v[10:11], v[24:25], v[14:15], v[26:27]
	v_fma_f64 v[12:13], v[22:23], v[14:15], -v[16:17]
	s_delay_alu instid0(VALU_DEP_4) | instskip(NEXT) | instid1(VALU_DEP_4)
	v_add_f64_e32 v[1:2], v[6:7], v[1:2]
	v_add_f64_e32 v[3:4], v[8:9], v[4:5]
	s_delay_alu instid0(VALU_DEP_2) | instskip(NEXT) | instid1(VALU_DEP_2)
	v_add_f64_e32 v[1:2], v[1:2], v[12:13]
	v_add_f64_e32 v[3:4], v[3:4], v[10:11]
	s_delay_alu instid0(VALU_DEP_2) | instskip(NEXT) | instid1(VALU_DEP_2)
	v_add_f64_e64 v[1:2], v[131:132], -v[1:2]
	v_add_f64_e64 v[3:4], v[133:134], -v[3:4]
	scratch_store_b128 off, v[1:4], off offset:288
	v_cmpx_lt_u32_e32 16, v0
	s_cbranch_execz .LBB105_233
; %bb.232:
	scratch_load_b128 v[1:4], off, s36
	v_mov_b32_e32 v5, 0
	s_delay_alu instid0(VALU_DEP_1)
	v_dual_mov_b32 v6, v5 :: v_dual_mov_b32 v7, v5
	v_mov_b32_e32 v8, v5
	scratch_store_b128 off, v[5:8], off offset:272
	s_wait_loadcnt 0x0
	ds_store_b128 v130, v[1:4]
.LBB105_233:
	s_wait_alu 0xfffe
	s_or_b32 exec_lo, exec_lo, s0
	s_wait_storecnt_dscnt 0x0
	s_barrier_signal -1
	s_barrier_wait -1
	global_inv scope:SCOPE_SE
	s_clause 0x7
	scratch_load_b128 v[2:5], off, off offset:288
	scratch_load_b128 v[6:9], off, off offset:304
	scratch_load_b128 v[10:13], off, off offset:320
	scratch_load_b128 v[14:17], off, off offset:336
	scratch_load_b128 v[18:21], off, off offset:352
	scratch_load_b128 v[22:25], off, off offset:368
	scratch_load_b128 v[26:29], off, off offset:384
	scratch_load_b128 v[30:33], off, off offset:400
	v_mov_b32_e32 v1, 0
	s_mov_b32 s0, exec_lo
	ds_load_b128 v[34:37], v1 offset:944
	s_clause 0x1
	scratch_load_b128 v[38:41], off, off offset:416
	scratch_load_b128 v[42:45], off, off offset:272
	ds_load_b128 v[131:134], v1 offset:960
	scratch_load_b128 v[135:138], off, off offset:432
	s_wait_loadcnt_dscnt 0xa01
	v_mul_f64_e32 v[139:140], v[36:37], v[4:5]
	v_mul_f64_e32 v[4:5], v[34:35], v[4:5]
	s_delay_alu instid0(VALU_DEP_2) | instskip(NEXT) | instid1(VALU_DEP_2)
	v_fma_f64 v[145:146], v[34:35], v[2:3], -v[139:140]
	v_fma_f64 v[147:148], v[36:37], v[2:3], v[4:5]
	ds_load_b128 v[2:5], v1 offset:976
	s_wait_loadcnt_dscnt 0x901
	v_mul_f64_e32 v[143:144], v[131:132], v[8:9]
	v_mul_f64_e32 v[8:9], v[133:134], v[8:9]
	scratch_load_b128 v[34:37], off, off offset:448
	ds_load_b128 v[139:142], v1 offset:992
	s_wait_loadcnt_dscnt 0x901
	v_mul_f64_e32 v[149:150], v[2:3], v[12:13]
	v_mul_f64_e32 v[12:13], v[4:5], v[12:13]
	v_fma_f64 v[133:134], v[133:134], v[6:7], v[143:144]
	v_fma_f64 v[131:132], v[131:132], v[6:7], -v[8:9]
	v_add_f64_e32 v[143:144], 0, v[145:146]
	v_add_f64_e32 v[145:146], 0, v[147:148]
	scratch_load_b128 v[6:9], off, off offset:464
	v_fma_f64 v[149:150], v[4:5], v[10:11], v[149:150]
	v_fma_f64 v[151:152], v[2:3], v[10:11], -v[12:13]
	ds_load_b128 v[2:5], v1 offset:1008
	s_wait_loadcnt_dscnt 0x901
	v_mul_f64_e32 v[147:148], v[139:140], v[16:17]
	v_mul_f64_e32 v[16:17], v[141:142], v[16:17]
	scratch_load_b128 v[10:13], off, off offset:480
	v_add_f64_e32 v[143:144], v[143:144], v[131:132]
	v_add_f64_e32 v[145:146], v[145:146], v[133:134]
	s_wait_loadcnt_dscnt 0x900
	v_mul_f64_e32 v[153:154], v[2:3], v[20:21]
	v_mul_f64_e32 v[20:21], v[4:5], v[20:21]
	ds_load_b128 v[131:134], v1 offset:1024
	v_fma_f64 v[141:142], v[141:142], v[14:15], v[147:148]
	v_fma_f64 v[139:140], v[139:140], v[14:15], -v[16:17]
	scratch_load_b128 v[14:17], off, off offset:496
	v_add_f64_e32 v[143:144], v[143:144], v[151:152]
	v_add_f64_e32 v[145:146], v[145:146], v[149:150]
	v_fma_f64 v[149:150], v[4:5], v[18:19], v[153:154]
	v_fma_f64 v[151:152], v[2:3], v[18:19], -v[20:21]
	ds_load_b128 v[2:5], v1 offset:1040
	s_wait_loadcnt_dscnt 0x901
	v_mul_f64_e32 v[147:148], v[131:132], v[24:25]
	v_mul_f64_e32 v[24:25], v[133:134], v[24:25]
	scratch_load_b128 v[18:21], off, off offset:512
	s_wait_loadcnt_dscnt 0x900
	v_mul_f64_e32 v[153:154], v[2:3], v[28:29]
	v_mul_f64_e32 v[28:29], v[4:5], v[28:29]
	v_add_f64_e32 v[143:144], v[143:144], v[139:140]
	v_add_f64_e32 v[145:146], v[145:146], v[141:142]
	ds_load_b128 v[139:142], v1 offset:1056
	v_fma_f64 v[133:134], v[133:134], v[22:23], v[147:148]
	v_fma_f64 v[131:132], v[131:132], v[22:23], -v[24:25]
	scratch_load_b128 v[22:25], off, off offset:528
	v_add_f64_e32 v[143:144], v[143:144], v[151:152]
	v_add_f64_e32 v[145:146], v[145:146], v[149:150]
	v_fma_f64 v[149:150], v[4:5], v[26:27], v[153:154]
	v_fma_f64 v[151:152], v[2:3], v[26:27], -v[28:29]
	ds_load_b128 v[2:5], v1 offset:1072
	s_wait_loadcnt_dscnt 0x901
	v_mul_f64_e32 v[147:148], v[139:140], v[32:33]
	v_mul_f64_e32 v[32:33], v[141:142], v[32:33]
	scratch_load_b128 v[26:29], off, off offset:544
	s_wait_loadcnt_dscnt 0x900
	v_mul_f64_e32 v[153:154], v[2:3], v[40:41]
	v_mul_f64_e32 v[40:41], v[4:5], v[40:41]
	v_add_f64_e32 v[143:144], v[143:144], v[131:132]
	v_add_f64_e32 v[145:146], v[145:146], v[133:134]
	ds_load_b128 v[131:134], v1 offset:1088
	v_fma_f64 v[141:142], v[141:142], v[30:31], v[147:148]
	v_fma_f64 v[139:140], v[139:140], v[30:31], -v[32:33]
	scratch_load_b128 v[30:33], off, off offset:560
	v_add_f64_e32 v[143:144], v[143:144], v[151:152]
	v_add_f64_e32 v[145:146], v[145:146], v[149:150]
	v_fma_f64 v[151:152], v[4:5], v[38:39], v[153:154]
	v_fma_f64 v[153:154], v[2:3], v[38:39], -v[40:41]
	ds_load_b128 v[2:5], v1 offset:1104
	s_wait_loadcnt_dscnt 0x801
	v_mul_f64_e32 v[147:148], v[131:132], v[137:138]
	v_mul_f64_e32 v[149:150], v[133:134], v[137:138]
	scratch_load_b128 v[38:41], off, off offset:576
	v_add_f64_e32 v[143:144], v[143:144], v[139:140]
	v_add_f64_e32 v[141:142], v[145:146], v[141:142]
	ds_load_b128 v[137:140], v1 offset:1120
	v_fma_f64 v[147:148], v[133:134], v[135:136], v[147:148]
	v_fma_f64 v[135:136], v[131:132], v[135:136], -v[149:150]
	scratch_load_b128 v[131:134], off, off offset:592
	s_wait_loadcnt_dscnt 0x901
	v_mul_f64_e32 v[145:146], v[2:3], v[36:37]
	v_mul_f64_e32 v[36:37], v[4:5], v[36:37]
	v_add_f64_e32 v[143:144], v[143:144], v[153:154]
	v_add_f64_e32 v[141:142], v[141:142], v[151:152]
	s_delay_alu instid0(VALU_DEP_4) | instskip(NEXT) | instid1(VALU_DEP_4)
	v_fma_f64 v[145:146], v[4:5], v[34:35], v[145:146]
	v_fma_f64 v[151:152], v[2:3], v[34:35], -v[36:37]
	ds_load_b128 v[2:5], v1 offset:1136
	s_wait_loadcnt_dscnt 0x801
	v_mul_f64_e32 v[149:150], v[137:138], v[8:9]
	v_mul_f64_e32 v[8:9], v[139:140], v[8:9]
	scratch_load_b128 v[34:37], off, off offset:608
	s_wait_loadcnt_dscnt 0x800
	v_mul_f64_e32 v[153:154], v[2:3], v[12:13]
	v_add_f64_e32 v[135:136], v[143:144], v[135:136]
	v_add_f64_e32 v[147:148], v[141:142], v[147:148]
	v_mul_f64_e32 v[12:13], v[4:5], v[12:13]
	ds_load_b128 v[141:144], v1 offset:1152
	v_fma_f64 v[139:140], v[139:140], v[6:7], v[149:150]
	v_fma_f64 v[137:138], v[137:138], v[6:7], -v[8:9]
	scratch_load_b128 v[6:9], off, off offset:624
	v_fma_f64 v[149:150], v[4:5], v[10:11], v[153:154]
	v_add_f64_e32 v[135:136], v[135:136], v[151:152]
	v_add_f64_e32 v[145:146], v[147:148], v[145:146]
	v_fma_f64 v[151:152], v[2:3], v[10:11], -v[12:13]
	ds_load_b128 v[2:5], v1 offset:1168
	s_wait_loadcnt_dscnt 0x801
	v_mul_f64_e32 v[147:148], v[141:142], v[16:17]
	v_mul_f64_e32 v[16:17], v[143:144], v[16:17]
	scratch_load_b128 v[10:13], off, off offset:640
	v_add_f64_e32 v[153:154], v[135:136], v[137:138]
	v_add_f64_e32 v[139:140], v[145:146], v[139:140]
	s_wait_loadcnt_dscnt 0x800
	v_mul_f64_e32 v[145:146], v[2:3], v[20:21]
	v_mul_f64_e32 v[20:21], v[4:5], v[20:21]
	v_fma_f64 v[143:144], v[143:144], v[14:15], v[147:148]
	v_fma_f64 v[141:142], v[141:142], v[14:15], -v[16:17]
	ds_load_b128 v[135:138], v1 offset:1184
	scratch_load_b128 v[14:17], off, off offset:656
	v_add_f64_e32 v[147:148], v[153:154], v[151:152]
	v_add_f64_e32 v[139:140], v[139:140], v[149:150]
	v_fma_f64 v[145:146], v[4:5], v[18:19], v[145:146]
	v_fma_f64 v[151:152], v[2:3], v[18:19], -v[20:21]
	ds_load_b128 v[2:5], v1 offset:1200
	s_wait_loadcnt_dscnt 0x801
	v_mul_f64_e32 v[149:150], v[135:136], v[24:25]
	v_mul_f64_e32 v[24:25], v[137:138], v[24:25]
	scratch_load_b128 v[18:21], off, off offset:672
	s_wait_loadcnt_dscnt 0x800
	v_mul_f64_e32 v[153:154], v[2:3], v[28:29]
	v_mul_f64_e32 v[28:29], v[4:5], v[28:29]
	v_add_f64_e32 v[147:148], v[147:148], v[141:142]
	v_add_f64_e32 v[143:144], v[139:140], v[143:144]
	ds_load_b128 v[139:142], v1 offset:1216
	v_fma_f64 v[137:138], v[137:138], v[22:23], v[149:150]
	v_fma_f64 v[22:23], v[135:136], v[22:23], -v[24:25]
	v_add_f64_e32 v[24:25], v[147:148], v[151:152]
	v_add_f64_e32 v[135:136], v[143:144], v[145:146]
	s_wait_loadcnt_dscnt 0x700
	v_mul_f64_e32 v[143:144], v[139:140], v[32:33]
	v_mul_f64_e32 v[32:33], v[141:142], v[32:33]
	v_fma_f64 v[145:146], v[4:5], v[26:27], v[153:154]
	v_fma_f64 v[26:27], v[2:3], v[26:27], -v[28:29]
	v_add_f64_e32 v[28:29], v[24:25], v[22:23]
	v_add_f64_e32 v[135:136], v[135:136], v[137:138]
	ds_load_b128 v[2:5], v1 offset:1232
	ds_load_b128 v[22:25], v1 offset:1248
	v_fma_f64 v[141:142], v[141:142], v[30:31], v[143:144]
	v_fma_f64 v[30:31], v[139:140], v[30:31], -v[32:33]
	s_wait_loadcnt_dscnt 0x601
	v_mul_f64_e32 v[137:138], v[2:3], v[40:41]
	v_mul_f64_e32 v[40:41], v[4:5], v[40:41]
	s_wait_loadcnt_dscnt 0x500
	v_mul_f64_e32 v[32:33], v[22:23], v[133:134]
	v_mul_f64_e32 v[133:134], v[24:25], v[133:134]
	v_add_f64_e32 v[26:27], v[28:29], v[26:27]
	v_add_f64_e32 v[28:29], v[135:136], v[145:146]
	v_fma_f64 v[135:136], v[4:5], v[38:39], v[137:138]
	v_fma_f64 v[38:39], v[2:3], v[38:39], -v[40:41]
	v_fma_f64 v[24:25], v[24:25], v[131:132], v[32:33]
	v_fma_f64 v[22:23], v[22:23], v[131:132], -v[133:134]
	v_add_f64_e32 v[30:31], v[26:27], v[30:31]
	v_add_f64_e32 v[40:41], v[28:29], v[141:142]
	ds_load_b128 v[2:5], v1 offset:1264
	ds_load_b128 v[26:29], v1 offset:1280
	s_wait_loadcnt_dscnt 0x401
	v_mul_f64_e32 v[137:138], v[2:3], v[36:37]
	v_mul_f64_e32 v[36:37], v[4:5], v[36:37]
	v_add_f64_e32 v[30:31], v[30:31], v[38:39]
	v_add_f64_e32 v[32:33], v[40:41], v[135:136]
	s_wait_loadcnt_dscnt 0x300
	v_mul_f64_e32 v[38:39], v[26:27], v[8:9]
	v_mul_f64_e32 v[8:9], v[28:29], v[8:9]
	v_fma_f64 v[40:41], v[4:5], v[34:35], v[137:138]
	v_fma_f64 v[34:35], v[2:3], v[34:35], -v[36:37]
	v_add_f64_e32 v[30:31], v[30:31], v[22:23]
	v_add_f64_e32 v[32:33], v[32:33], v[24:25]
	ds_load_b128 v[2:5], v1 offset:1296
	ds_load_b128 v[22:25], v1 offset:1312
	v_fma_f64 v[28:29], v[28:29], v[6:7], v[38:39]
	v_fma_f64 v[6:7], v[26:27], v[6:7], -v[8:9]
	s_wait_loadcnt_dscnt 0x201
	v_mul_f64_e32 v[36:37], v[2:3], v[12:13]
	v_mul_f64_e32 v[12:13], v[4:5], v[12:13]
	v_add_f64_e32 v[8:9], v[30:31], v[34:35]
	v_add_f64_e32 v[26:27], v[32:33], v[40:41]
	s_wait_loadcnt_dscnt 0x100
	v_mul_f64_e32 v[30:31], v[22:23], v[16:17]
	v_mul_f64_e32 v[16:17], v[24:25], v[16:17]
	v_fma_f64 v[32:33], v[4:5], v[10:11], v[36:37]
	v_fma_f64 v[10:11], v[2:3], v[10:11], -v[12:13]
	ds_load_b128 v[2:5], v1 offset:1328
	v_add_f64_e32 v[6:7], v[8:9], v[6:7]
	v_add_f64_e32 v[8:9], v[26:27], v[28:29]
	v_fma_f64 v[24:25], v[24:25], v[14:15], v[30:31]
	v_fma_f64 v[14:15], v[22:23], v[14:15], -v[16:17]
	s_wait_loadcnt_dscnt 0x0
	v_mul_f64_e32 v[12:13], v[2:3], v[20:21]
	v_mul_f64_e32 v[20:21], v[4:5], v[20:21]
	v_add_f64_e32 v[6:7], v[6:7], v[10:11]
	v_add_f64_e32 v[8:9], v[8:9], v[32:33]
	s_delay_alu instid0(VALU_DEP_4) | instskip(NEXT) | instid1(VALU_DEP_4)
	v_fma_f64 v[4:5], v[4:5], v[18:19], v[12:13]
	v_fma_f64 v[2:3], v[2:3], v[18:19], -v[20:21]
	s_delay_alu instid0(VALU_DEP_4) | instskip(NEXT) | instid1(VALU_DEP_4)
	v_add_f64_e32 v[6:7], v[6:7], v[14:15]
	v_add_f64_e32 v[8:9], v[8:9], v[24:25]
	s_delay_alu instid0(VALU_DEP_2) | instskip(NEXT) | instid1(VALU_DEP_2)
	v_add_f64_e32 v[2:3], v[6:7], v[2:3]
	v_add_f64_e32 v[4:5], v[8:9], v[4:5]
	s_delay_alu instid0(VALU_DEP_2) | instskip(NEXT) | instid1(VALU_DEP_2)
	v_add_f64_e64 v[2:3], v[42:43], -v[2:3]
	v_add_f64_e64 v[4:5], v[44:45], -v[4:5]
	scratch_store_b128 off, v[2:5], off offset:272
	v_cmpx_lt_u32_e32 15, v0
	s_cbranch_execz .LBB105_235
; %bb.234:
	scratch_load_b128 v[5:8], off, s14
	v_dual_mov_b32 v2, v1 :: v_dual_mov_b32 v3, v1
	v_mov_b32_e32 v4, v1
	scratch_store_b128 off, v[1:4], off offset:256
	s_wait_loadcnt 0x0
	ds_store_b128 v130, v[5:8]
.LBB105_235:
	s_wait_alu 0xfffe
	s_or_b32 exec_lo, exec_lo, s0
	s_wait_storecnt_dscnt 0x0
	s_barrier_signal -1
	s_barrier_wait -1
	global_inv scope:SCOPE_SE
	s_clause 0x8
	scratch_load_b128 v[2:5], off, off offset:272
	scratch_load_b128 v[6:9], off, off offset:288
	;; [unrolled: 1-line block ×9, first 2 shown]
	ds_load_b128 v[38:41], v1 offset:928
	ds_load_b128 v[42:45], v1 offset:944
	s_clause 0x1
	scratch_load_b128 v[131:134], off, off offset:256
	scratch_load_b128 v[135:138], off, off offset:416
	s_mov_b32 s0, exec_lo
	s_wait_loadcnt_dscnt 0xa01
	v_mul_f64_e32 v[139:140], v[40:41], v[4:5]
	v_mul_f64_e32 v[4:5], v[38:39], v[4:5]
	s_wait_loadcnt_dscnt 0x900
	v_mul_f64_e32 v[143:144], v[42:43], v[8:9]
	v_mul_f64_e32 v[8:9], v[44:45], v[8:9]
	s_delay_alu instid0(VALU_DEP_4) | instskip(NEXT) | instid1(VALU_DEP_4)
	v_fma_f64 v[145:146], v[38:39], v[2:3], -v[139:140]
	v_fma_f64 v[147:148], v[40:41], v[2:3], v[4:5]
	ds_load_b128 v[2:5], v1 offset:960
	ds_load_b128 v[139:142], v1 offset:976
	scratch_load_b128 v[38:41], off, off offset:432
	v_fma_f64 v[44:45], v[44:45], v[6:7], v[143:144]
	v_fma_f64 v[42:43], v[42:43], v[6:7], -v[8:9]
	scratch_load_b128 v[6:9], off, off offset:448
	s_wait_loadcnt_dscnt 0xa01
	v_mul_f64_e32 v[149:150], v[2:3], v[12:13]
	v_mul_f64_e32 v[12:13], v[4:5], v[12:13]
	v_add_f64_e32 v[143:144], 0, v[145:146]
	v_add_f64_e32 v[145:146], 0, v[147:148]
	s_wait_loadcnt_dscnt 0x900
	v_mul_f64_e32 v[147:148], v[139:140], v[16:17]
	v_mul_f64_e32 v[16:17], v[141:142], v[16:17]
	v_fma_f64 v[149:150], v[4:5], v[10:11], v[149:150]
	v_fma_f64 v[151:152], v[2:3], v[10:11], -v[12:13]
	ds_load_b128 v[2:5], v1 offset:992
	scratch_load_b128 v[10:13], off, off offset:464
	v_add_f64_e32 v[143:144], v[143:144], v[42:43]
	v_add_f64_e32 v[145:146], v[145:146], v[44:45]
	ds_load_b128 v[42:45], v1 offset:1008
	v_fma_f64 v[141:142], v[141:142], v[14:15], v[147:148]
	v_fma_f64 v[139:140], v[139:140], v[14:15], -v[16:17]
	scratch_load_b128 v[14:17], off, off offset:480
	s_wait_loadcnt_dscnt 0xa01
	v_mul_f64_e32 v[153:154], v[2:3], v[20:21]
	v_mul_f64_e32 v[20:21], v[4:5], v[20:21]
	s_wait_loadcnt_dscnt 0x900
	v_mul_f64_e32 v[147:148], v[42:43], v[24:25]
	v_mul_f64_e32 v[24:25], v[44:45], v[24:25]
	v_add_f64_e32 v[143:144], v[143:144], v[151:152]
	v_add_f64_e32 v[145:146], v[145:146], v[149:150]
	v_fma_f64 v[149:150], v[4:5], v[18:19], v[153:154]
	v_fma_f64 v[151:152], v[2:3], v[18:19], -v[20:21]
	ds_load_b128 v[2:5], v1 offset:1024
	scratch_load_b128 v[18:21], off, off offset:496
	v_fma_f64 v[44:45], v[44:45], v[22:23], v[147:148]
	v_fma_f64 v[42:43], v[42:43], v[22:23], -v[24:25]
	scratch_load_b128 v[22:25], off, off offset:512
	v_add_f64_e32 v[143:144], v[143:144], v[139:140]
	v_add_f64_e32 v[145:146], v[145:146], v[141:142]
	ds_load_b128 v[139:142], v1 offset:1040
	s_wait_loadcnt_dscnt 0xa01
	v_mul_f64_e32 v[153:154], v[2:3], v[28:29]
	v_mul_f64_e32 v[28:29], v[4:5], v[28:29]
	s_wait_loadcnt_dscnt 0x900
	v_mul_f64_e32 v[147:148], v[139:140], v[32:33]
	v_mul_f64_e32 v[32:33], v[141:142], v[32:33]
	v_add_f64_e32 v[143:144], v[143:144], v[151:152]
	v_add_f64_e32 v[145:146], v[145:146], v[149:150]
	v_fma_f64 v[149:150], v[4:5], v[26:27], v[153:154]
	v_fma_f64 v[151:152], v[2:3], v[26:27], -v[28:29]
	ds_load_b128 v[2:5], v1 offset:1056
	scratch_load_b128 v[26:29], off, off offset:528
	v_fma_f64 v[141:142], v[141:142], v[30:31], v[147:148]
	v_fma_f64 v[139:140], v[139:140], v[30:31], -v[32:33]
	scratch_load_b128 v[30:33], off, off offset:544
	v_add_f64_e32 v[143:144], v[143:144], v[42:43]
	v_add_f64_e32 v[145:146], v[145:146], v[44:45]
	ds_load_b128 v[42:45], v1 offset:1072
	s_wait_loadcnt_dscnt 0xa01
	v_mul_f64_e32 v[153:154], v[2:3], v[36:37]
	v_mul_f64_e32 v[36:37], v[4:5], v[36:37]
	s_wait_loadcnt_dscnt 0x800
	v_mul_f64_e32 v[147:148], v[42:43], v[137:138]
	v_add_f64_e32 v[143:144], v[143:144], v[151:152]
	v_add_f64_e32 v[145:146], v[145:146], v[149:150]
	v_mul_f64_e32 v[149:150], v[44:45], v[137:138]
	v_fma_f64 v[151:152], v[4:5], v[34:35], v[153:154]
	v_fma_f64 v[153:154], v[2:3], v[34:35], -v[36:37]
	ds_load_b128 v[2:5], v1 offset:1088
	scratch_load_b128 v[34:37], off, off offset:560
	v_fma_f64 v[44:45], v[44:45], v[135:136], v[147:148]
	v_add_f64_e32 v[143:144], v[143:144], v[139:140]
	v_add_f64_e32 v[141:142], v[145:146], v[141:142]
	ds_load_b128 v[137:140], v1 offset:1104
	v_fma_f64 v[135:136], v[42:43], v[135:136], -v[149:150]
	s_wait_loadcnt_dscnt 0x801
	v_mul_f64_e32 v[145:146], v[2:3], v[40:41]
	v_mul_f64_e32 v[155:156], v[4:5], v[40:41]
	scratch_load_b128 v[40:43], off, off offset:576
	s_wait_loadcnt_dscnt 0x800
	v_mul_f64_e32 v[149:150], v[137:138], v[8:9]
	v_mul_f64_e32 v[8:9], v[139:140], v[8:9]
	v_add_f64_e32 v[143:144], v[143:144], v[153:154]
	v_add_f64_e32 v[141:142], v[141:142], v[151:152]
	v_fma_f64 v[151:152], v[4:5], v[38:39], v[145:146]
	v_fma_f64 v[38:39], v[2:3], v[38:39], -v[155:156]
	ds_load_b128 v[2:5], v1 offset:1120
	ds_load_b128 v[145:148], v1 offset:1136
	v_fma_f64 v[139:140], v[139:140], v[6:7], v[149:150]
	v_fma_f64 v[137:138], v[137:138], v[6:7], -v[8:9]
	scratch_load_b128 v[6:9], off, off offset:608
	v_add_f64_e32 v[135:136], v[143:144], v[135:136]
	v_add_f64_e32 v[44:45], v[141:142], v[44:45]
	scratch_load_b128 v[141:144], off, off offset:592
	s_wait_loadcnt_dscnt 0x901
	v_mul_f64_e32 v[153:154], v[2:3], v[12:13]
	v_mul_f64_e32 v[12:13], v[4:5], v[12:13]
	s_wait_loadcnt_dscnt 0x800
	v_mul_f64_e32 v[149:150], v[145:146], v[16:17]
	v_mul_f64_e32 v[16:17], v[147:148], v[16:17]
	v_add_f64_e32 v[38:39], v[135:136], v[38:39]
	v_add_f64_e32 v[44:45], v[44:45], v[151:152]
	v_fma_f64 v[151:152], v[4:5], v[10:11], v[153:154]
	v_fma_f64 v[153:154], v[2:3], v[10:11], -v[12:13]
	ds_load_b128 v[2:5], v1 offset:1152
	scratch_load_b128 v[10:13], off, off offset:624
	v_fma_f64 v[147:148], v[147:148], v[14:15], v[149:150]
	v_fma_f64 v[145:146], v[145:146], v[14:15], -v[16:17]
	scratch_load_b128 v[14:17], off, off offset:640
	v_add_f64_e32 v[38:39], v[38:39], v[137:138]
	v_add_f64_e32 v[44:45], v[44:45], v[139:140]
	ds_load_b128 v[135:138], v1 offset:1168
	s_wait_loadcnt_dscnt 0x901
	v_mul_f64_e32 v[139:140], v[2:3], v[20:21]
	v_mul_f64_e32 v[20:21], v[4:5], v[20:21]
	s_wait_loadcnt_dscnt 0x800
	v_mul_f64_e32 v[149:150], v[135:136], v[24:25]
	v_mul_f64_e32 v[24:25], v[137:138], v[24:25]
	v_add_f64_e32 v[38:39], v[38:39], v[153:154]
	v_add_f64_e32 v[44:45], v[44:45], v[151:152]
	v_fma_f64 v[139:140], v[4:5], v[18:19], v[139:140]
	v_fma_f64 v[151:152], v[2:3], v[18:19], -v[20:21]
	ds_load_b128 v[2:5], v1 offset:1184
	scratch_load_b128 v[18:21], off, off offset:656
	v_fma_f64 v[137:138], v[137:138], v[22:23], v[149:150]
	v_fma_f64 v[135:136], v[135:136], v[22:23], -v[24:25]
	scratch_load_b128 v[22:25], off, off offset:672
	v_add_f64_e32 v[38:39], v[38:39], v[145:146]
	v_add_f64_e32 v[44:45], v[44:45], v[147:148]
	ds_load_b128 v[145:148], v1 offset:1200
	s_wait_loadcnt_dscnt 0x901
	v_mul_f64_e32 v[153:154], v[2:3], v[28:29]
	v_mul_f64_e32 v[28:29], v[4:5], v[28:29]
	v_add_f64_e32 v[38:39], v[38:39], v[151:152]
	v_add_f64_e32 v[44:45], v[44:45], v[139:140]
	s_wait_loadcnt_dscnt 0x800
	v_mul_f64_e32 v[139:140], v[145:146], v[32:33]
	v_mul_f64_e32 v[32:33], v[147:148], v[32:33]
	v_fma_f64 v[149:150], v[4:5], v[26:27], v[153:154]
	v_fma_f64 v[151:152], v[2:3], v[26:27], -v[28:29]
	ds_load_b128 v[2:5], v1 offset:1216
	ds_load_b128 v[26:29], v1 offset:1232
	v_add_f64_e32 v[38:39], v[38:39], v[135:136]
	v_add_f64_e32 v[44:45], v[44:45], v[137:138]
	s_wait_loadcnt_dscnt 0x701
	v_mul_f64_e32 v[135:136], v[2:3], v[36:37]
	v_mul_f64_e32 v[36:37], v[4:5], v[36:37]
	v_fma_f64 v[137:138], v[147:148], v[30:31], v[139:140]
	v_fma_f64 v[30:31], v[145:146], v[30:31], -v[32:33]
	v_add_f64_e32 v[32:33], v[38:39], v[151:152]
	v_add_f64_e32 v[38:39], v[44:45], v[149:150]
	s_wait_loadcnt_dscnt 0x600
	v_mul_f64_e32 v[44:45], v[26:27], v[42:43]
	v_mul_f64_e32 v[42:43], v[28:29], v[42:43]
	v_fma_f64 v[135:136], v[4:5], v[34:35], v[135:136]
	v_fma_f64 v[34:35], v[2:3], v[34:35], -v[36:37]
	v_add_f64_e32 v[36:37], v[32:33], v[30:31]
	v_add_f64_e32 v[38:39], v[38:39], v[137:138]
	ds_load_b128 v[2:5], v1 offset:1248
	ds_load_b128 v[30:33], v1 offset:1264
	v_fma_f64 v[28:29], v[28:29], v[40:41], v[44:45]
	v_fma_f64 v[26:27], v[26:27], v[40:41], -v[42:43]
	s_wait_loadcnt_dscnt 0x401
	v_mul_f64_e32 v[137:138], v[2:3], v[143:144]
	v_mul_f64_e32 v[139:140], v[4:5], v[143:144]
	v_add_f64_e32 v[34:35], v[36:37], v[34:35]
	v_add_f64_e32 v[36:37], v[38:39], v[135:136]
	s_wait_dscnt 0x0
	v_mul_f64_e32 v[38:39], v[30:31], v[8:9]
	v_mul_f64_e32 v[8:9], v[32:33], v[8:9]
	v_fma_f64 v[40:41], v[4:5], v[141:142], v[137:138]
	v_fma_f64 v[42:43], v[2:3], v[141:142], -v[139:140]
	v_add_f64_e32 v[34:35], v[34:35], v[26:27]
	v_add_f64_e32 v[36:37], v[36:37], v[28:29]
	ds_load_b128 v[2:5], v1 offset:1280
	ds_load_b128 v[26:29], v1 offset:1296
	v_fma_f64 v[32:33], v[32:33], v[6:7], v[38:39]
	v_fma_f64 v[6:7], v[30:31], v[6:7], -v[8:9]
	s_wait_loadcnt_dscnt 0x301
	v_mul_f64_e32 v[44:45], v[2:3], v[12:13]
	v_mul_f64_e32 v[12:13], v[4:5], v[12:13]
	v_add_f64_e32 v[8:9], v[34:35], v[42:43]
	v_add_f64_e32 v[30:31], v[36:37], v[40:41]
	s_wait_loadcnt_dscnt 0x200
	v_mul_f64_e32 v[34:35], v[26:27], v[16:17]
	v_mul_f64_e32 v[16:17], v[28:29], v[16:17]
	v_fma_f64 v[36:37], v[4:5], v[10:11], v[44:45]
	v_fma_f64 v[10:11], v[2:3], v[10:11], -v[12:13]
	v_add_f64_e32 v[12:13], v[8:9], v[6:7]
	v_add_f64_e32 v[30:31], v[30:31], v[32:33]
	ds_load_b128 v[2:5], v1 offset:1312
	ds_load_b128 v[6:9], v1 offset:1328
	v_fma_f64 v[28:29], v[28:29], v[14:15], v[34:35]
	v_fma_f64 v[14:15], v[26:27], v[14:15], -v[16:17]
	s_wait_loadcnt_dscnt 0x101
	v_mul_f64_e32 v[32:33], v[2:3], v[20:21]
	v_mul_f64_e32 v[20:21], v[4:5], v[20:21]
	s_wait_loadcnt_dscnt 0x0
	v_mul_f64_e32 v[16:17], v[6:7], v[24:25]
	v_mul_f64_e32 v[24:25], v[8:9], v[24:25]
	v_add_f64_e32 v[10:11], v[12:13], v[10:11]
	v_add_f64_e32 v[12:13], v[30:31], v[36:37]
	v_fma_f64 v[4:5], v[4:5], v[18:19], v[32:33]
	v_fma_f64 v[1:2], v[2:3], v[18:19], -v[20:21]
	v_fma_f64 v[8:9], v[8:9], v[22:23], v[16:17]
	v_fma_f64 v[6:7], v[6:7], v[22:23], -v[24:25]
	v_add_f64_e32 v[10:11], v[10:11], v[14:15]
	v_add_f64_e32 v[12:13], v[12:13], v[28:29]
	s_delay_alu instid0(VALU_DEP_2) | instskip(NEXT) | instid1(VALU_DEP_2)
	v_add_f64_e32 v[1:2], v[10:11], v[1:2]
	v_add_f64_e32 v[3:4], v[12:13], v[4:5]
	s_delay_alu instid0(VALU_DEP_2) | instskip(NEXT) | instid1(VALU_DEP_2)
	;; [unrolled: 3-line block ×3, first 2 shown]
	v_add_f64_e64 v[1:2], v[131:132], -v[1:2]
	v_add_f64_e64 v[3:4], v[133:134], -v[3:4]
	scratch_store_b128 off, v[1:4], off offset:256
	v_cmpx_lt_u32_e32 14, v0
	s_cbranch_execz .LBB105_237
; %bb.236:
	scratch_load_b128 v[1:4], off, s35
	v_mov_b32_e32 v5, 0
	s_delay_alu instid0(VALU_DEP_1)
	v_dual_mov_b32 v6, v5 :: v_dual_mov_b32 v7, v5
	v_mov_b32_e32 v8, v5
	scratch_store_b128 off, v[5:8], off offset:240
	s_wait_loadcnt 0x0
	ds_store_b128 v130, v[1:4]
.LBB105_237:
	s_wait_alu 0xfffe
	s_or_b32 exec_lo, exec_lo, s0
	s_wait_storecnt_dscnt 0x0
	s_barrier_signal -1
	s_barrier_wait -1
	global_inv scope:SCOPE_SE
	s_clause 0x7
	scratch_load_b128 v[2:5], off, off offset:256
	scratch_load_b128 v[6:9], off, off offset:272
	;; [unrolled: 1-line block ×8, first 2 shown]
	v_mov_b32_e32 v1, 0
	s_mov_b32 s0, exec_lo
	ds_load_b128 v[34:37], v1 offset:912
	s_clause 0x1
	scratch_load_b128 v[38:41], off, off offset:384
	scratch_load_b128 v[42:45], off, off offset:240
	ds_load_b128 v[131:134], v1 offset:928
	scratch_load_b128 v[135:138], off, off offset:400
	s_wait_loadcnt_dscnt 0xa01
	v_mul_f64_e32 v[139:140], v[36:37], v[4:5]
	v_mul_f64_e32 v[4:5], v[34:35], v[4:5]
	s_delay_alu instid0(VALU_DEP_2) | instskip(NEXT) | instid1(VALU_DEP_2)
	v_fma_f64 v[145:146], v[34:35], v[2:3], -v[139:140]
	v_fma_f64 v[147:148], v[36:37], v[2:3], v[4:5]
	ds_load_b128 v[2:5], v1 offset:944
	s_wait_loadcnt_dscnt 0x901
	v_mul_f64_e32 v[143:144], v[131:132], v[8:9]
	v_mul_f64_e32 v[8:9], v[133:134], v[8:9]
	scratch_load_b128 v[34:37], off, off offset:416
	ds_load_b128 v[139:142], v1 offset:960
	s_wait_loadcnt_dscnt 0x901
	v_mul_f64_e32 v[149:150], v[2:3], v[12:13]
	v_mul_f64_e32 v[12:13], v[4:5], v[12:13]
	v_fma_f64 v[133:134], v[133:134], v[6:7], v[143:144]
	v_fma_f64 v[131:132], v[131:132], v[6:7], -v[8:9]
	v_add_f64_e32 v[143:144], 0, v[145:146]
	v_add_f64_e32 v[145:146], 0, v[147:148]
	scratch_load_b128 v[6:9], off, off offset:432
	v_fma_f64 v[149:150], v[4:5], v[10:11], v[149:150]
	v_fma_f64 v[151:152], v[2:3], v[10:11], -v[12:13]
	ds_load_b128 v[2:5], v1 offset:976
	s_wait_loadcnt_dscnt 0x901
	v_mul_f64_e32 v[147:148], v[139:140], v[16:17]
	v_mul_f64_e32 v[16:17], v[141:142], v[16:17]
	scratch_load_b128 v[10:13], off, off offset:448
	v_add_f64_e32 v[143:144], v[143:144], v[131:132]
	v_add_f64_e32 v[145:146], v[145:146], v[133:134]
	s_wait_loadcnt_dscnt 0x900
	v_mul_f64_e32 v[153:154], v[2:3], v[20:21]
	v_mul_f64_e32 v[20:21], v[4:5], v[20:21]
	ds_load_b128 v[131:134], v1 offset:992
	v_fma_f64 v[141:142], v[141:142], v[14:15], v[147:148]
	v_fma_f64 v[139:140], v[139:140], v[14:15], -v[16:17]
	scratch_load_b128 v[14:17], off, off offset:464
	v_add_f64_e32 v[143:144], v[143:144], v[151:152]
	v_add_f64_e32 v[145:146], v[145:146], v[149:150]
	v_fma_f64 v[149:150], v[4:5], v[18:19], v[153:154]
	v_fma_f64 v[151:152], v[2:3], v[18:19], -v[20:21]
	ds_load_b128 v[2:5], v1 offset:1008
	s_wait_loadcnt_dscnt 0x901
	v_mul_f64_e32 v[147:148], v[131:132], v[24:25]
	v_mul_f64_e32 v[24:25], v[133:134], v[24:25]
	scratch_load_b128 v[18:21], off, off offset:480
	s_wait_loadcnt_dscnt 0x900
	v_mul_f64_e32 v[153:154], v[2:3], v[28:29]
	v_mul_f64_e32 v[28:29], v[4:5], v[28:29]
	v_add_f64_e32 v[143:144], v[143:144], v[139:140]
	v_add_f64_e32 v[145:146], v[145:146], v[141:142]
	ds_load_b128 v[139:142], v1 offset:1024
	v_fma_f64 v[133:134], v[133:134], v[22:23], v[147:148]
	v_fma_f64 v[131:132], v[131:132], v[22:23], -v[24:25]
	scratch_load_b128 v[22:25], off, off offset:496
	v_add_f64_e32 v[143:144], v[143:144], v[151:152]
	v_add_f64_e32 v[145:146], v[145:146], v[149:150]
	v_fma_f64 v[149:150], v[4:5], v[26:27], v[153:154]
	v_fma_f64 v[151:152], v[2:3], v[26:27], -v[28:29]
	ds_load_b128 v[2:5], v1 offset:1040
	s_wait_loadcnt_dscnt 0x901
	v_mul_f64_e32 v[147:148], v[139:140], v[32:33]
	v_mul_f64_e32 v[32:33], v[141:142], v[32:33]
	scratch_load_b128 v[26:29], off, off offset:512
	s_wait_loadcnt_dscnt 0x900
	v_mul_f64_e32 v[153:154], v[2:3], v[40:41]
	v_mul_f64_e32 v[40:41], v[4:5], v[40:41]
	v_add_f64_e32 v[143:144], v[143:144], v[131:132]
	v_add_f64_e32 v[145:146], v[145:146], v[133:134]
	ds_load_b128 v[131:134], v1 offset:1056
	v_fma_f64 v[141:142], v[141:142], v[30:31], v[147:148]
	v_fma_f64 v[139:140], v[139:140], v[30:31], -v[32:33]
	scratch_load_b128 v[30:33], off, off offset:528
	v_add_f64_e32 v[143:144], v[143:144], v[151:152]
	v_add_f64_e32 v[145:146], v[145:146], v[149:150]
	v_fma_f64 v[151:152], v[4:5], v[38:39], v[153:154]
	v_fma_f64 v[153:154], v[2:3], v[38:39], -v[40:41]
	ds_load_b128 v[2:5], v1 offset:1072
	s_wait_loadcnt_dscnt 0x801
	v_mul_f64_e32 v[147:148], v[131:132], v[137:138]
	v_mul_f64_e32 v[149:150], v[133:134], v[137:138]
	scratch_load_b128 v[38:41], off, off offset:544
	v_add_f64_e32 v[143:144], v[143:144], v[139:140]
	v_add_f64_e32 v[141:142], v[145:146], v[141:142]
	ds_load_b128 v[137:140], v1 offset:1088
	v_fma_f64 v[147:148], v[133:134], v[135:136], v[147:148]
	v_fma_f64 v[135:136], v[131:132], v[135:136], -v[149:150]
	scratch_load_b128 v[131:134], off, off offset:560
	s_wait_loadcnt_dscnt 0x901
	v_mul_f64_e32 v[145:146], v[2:3], v[36:37]
	v_mul_f64_e32 v[36:37], v[4:5], v[36:37]
	v_add_f64_e32 v[143:144], v[143:144], v[153:154]
	v_add_f64_e32 v[141:142], v[141:142], v[151:152]
	s_delay_alu instid0(VALU_DEP_4) | instskip(NEXT) | instid1(VALU_DEP_4)
	v_fma_f64 v[145:146], v[4:5], v[34:35], v[145:146]
	v_fma_f64 v[151:152], v[2:3], v[34:35], -v[36:37]
	ds_load_b128 v[2:5], v1 offset:1104
	s_wait_loadcnt_dscnt 0x801
	v_mul_f64_e32 v[149:150], v[137:138], v[8:9]
	v_mul_f64_e32 v[8:9], v[139:140], v[8:9]
	scratch_load_b128 v[34:37], off, off offset:576
	s_wait_loadcnt_dscnt 0x800
	v_mul_f64_e32 v[153:154], v[2:3], v[12:13]
	v_add_f64_e32 v[135:136], v[143:144], v[135:136]
	v_add_f64_e32 v[147:148], v[141:142], v[147:148]
	v_mul_f64_e32 v[12:13], v[4:5], v[12:13]
	ds_load_b128 v[141:144], v1 offset:1120
	v_fma_f64 v[139:140], v[139:140], v[6:7], v[149:150]
	v_fma_f64 v[137:138], v[137:138], v[6:7], -v[8:9]
	scratch_load_b128 v[6:9], off, off offset:592
	v_fma_f64 v[149:150], v[4:5], v[10:11], v[153:154]
	v_add_f64_e32 v[135:136], v[135:136], v[151:152]
	v_add_f64_e32 v[145:146], v[147:148], v[145:146]
	v_fma_f64 v[151:152], v[2:3], v[10:11], -v[12:13]
	ds_load_b128 v[2:5], v1 offset:1136
	s_wait_loadcnt_dscnt 0x801
	v_mul_f64_e32 v[147:148], v[141:142], v[16:17]
	v_mul_f64_e32 v[16:17], v[143:144], v[16:17]
	scratch_load_b128 v[10:13], off, off offset:608
	v_add_f64_e32 v[153:154], v[135:136], v[137:138]
	v_add_f64_e32 v[139:140], v[145:146], v[139:140]
	s_wait_loadcnt_dscnt 0x800
	v_mul_f64_e32 v[145:146], v[2:3], v[20:21]
	v_mul_f64_e32 v[20:21], v[4:5], v[20:21]
	v_fma_f64 v[143:144], v[143:144], v[14:15], v[147:148]
	v_fma_f64 v[141:142], v[141:142], v[14:15], -v[16:17]
	ds_load_b128 v[135:138], v1 offset:1152
	scratch_load_b128 v[14:17], off, off offset:624
	v_add_f64_e32 v[147:148], v[153:154], v[151:152]
	v_add_f64_e32 v[139:140], v[139:140], v[149:150]
	v_fma_f64 v[145:146], v[4:5], v[18:19], v[145:146]
	v_fma_f64 v[151:152], v[2:3], v[18:19], -v[20:21]
	ds_load_b128 v[2:5], v1 offset:1168
	s_wait_loadcnt_dscnt 0x801
	v_mul_f64_e32 v[149:150], v[135:136], v[24:25]
	v_mul_f64_e32 v[24:25], v[137:138], v[24:25]
	scratch_load_b128 v[18:21], off, off offset:640
	s_wait_loadcnt_dscnt 0x800
	v_mul_f64_e32 v[153:154], v[2:3], v[28:29]
	v_mul_f64_e32 v[28:29], v[4:5], v[28:29]
	v_add_f64_e32 v[147:148], v[147:148], v[141:142]
	v_add_f64_e32 v[143:144], v[139:140], v[143:144]
	ds_load_b128 v[139:142], v1 offset:1184
	v_fma_f64 v[137:138], v[137:138], v[22:23], v[149:150]
	v_fma_f64 v[135:136], v[135:136], v[22:23], -v[24:25]
	scratch_load_b128 v[22:25], off, off offset:656
	v_fma_f64 v[149:150], v[4:5], v[26:27], v[153:154]
	v_add_f64_e32 v[147:148], v[147:148], v[151:152]
	v_add_f64_e32 v[143:144], v[143:144], v[145:146]
	v_fma_f64 v[151:152], v[2:3], v[26:27], -v[28:29]
	ds_load_b128 v[2:5], v1 offset:1200
	s_wait_loadcnt_dscnt 0x801
	v_mul_f64_e32 v[145:146], v[139:140], v[32:33]
	v_mul_f64_e32 v[32:33], v[141:142], v[32:33]
	scratch_load_b128 v[26:29], off, off offset:672
	s_wait_loadcnt_dscnt 0x800
	v_mul_f64_e32 v[153:154], v[2:3], v[40:41]
	v_mul_f64_e32 v[40:41], v[4:5], v[40:41]
	v_add_f64_e32 v[147:148], v[147:148], v[135:136]
	v_add_f64_e32 v[143:144], v[143:144], v[137:138]
	ds_load_b128 v[135:138], v1 offset:1216
	v_fma_f64 v[141:142], v[141:142], v[30:31], v[145:146]
	v_fma_f64 v[30:31], v[139:140], v[30:31], -v[32:33]
	v_fma_f64 v[145:146], v[4:5], v[38:39], v[153:154]
	v_fma_f64 v[38:39], v[2:3], v[38:39], -v[40:41]
	v_add_f64_e32 v[32:33], v[147:148], v[151:152]
	v_add_f64_e32 v[139:140], v[143:144], v[149:150]
	s_wait_loadcnt_dscnt 0x700
	v_mul_f64_e32 v[143:144], v[135:136], v[133:134]
	v_mul_f64_e32 v[133:134], v[137:138], v[133:134]
	s_delay_alu instid0(VALU_DEP_4) | instskip(NEXT) | instid1(VALU_DEP_4)
	v_add_f64_e32 v[40:41], v[32:33], v[30:31]
	v_add_f64_e32 v[139:140], v[139:140], v[141:142]
	ds_load_b128 v[2:5], v1 offset:1232
	ds_load_b128 v[30:33], v1 offset:1248
	v_fma_f64 v[137:138], v[137:138], v[131:132], v[143:144]
	v_fma_f64 v[131:132], v[135:136], v[131:132], -v[133:134]
	s_wait_loadcnt_dscnt 0x601
	v_mul_f64_e32 v[141:142], v[2:3], v[36:37]
	v_mul_f64_e32 v[36:37], v[4:5], v[36:37]
	s_wait_loadcnt_dscnt 0x500
	v_mul_f64_e32 v[133:134], v[30:31], v[8:9]
	v_mul_f64_e32 v[8:9], v[32:33], v[8:9]
	v_add_f64_e32 v[38:39], v[40:41], v[38:39]
	v_add_f64_e32 v[40:41], v[139:140], v[145:146]
	v_fma_f64 v[135:136], v[4:5], v[34:35], v[141:142]
	v_fma_f64 v[139:140], v[2:3], v[34:35], -v[36:37]
	ds_load_b128 v[2:5], v1 offset:1264
	ds_load_b128 v[34:37], v1 offset:1280
	v_fma_f64 v[32:33], v[32:33], v[6:7], v[133:134]
	v_fma_f64 v[6:7], v[30:31], v[6:7], -v[8:9]
	v_add_f64_e32 v[38:39], v[38:39], v[131:132]
	v_add_f64_e32 v[40:41], v[40:41], v[137:138]
	s_wait_loadcnt_dscnt 0x401
	v_mul_f64_e32 v[131:132], v[2:3], v[12:13]
	v_mul_f64_e32 v[12:13], v[4:5], v[12:13]
	s_delay_alu instid0(VALU_DEP_4) | instskip(NEXT) | instid1(VALU_DEP_4)
	v_add_f64_e32 v[8:9], v[38:39], v[139:140]
	v_add_f64_e32 v[30:31], v[40:41], v[135:136]
	s_wait_loadcnt_dscnt 0x300
	v_mul_f64_e32 v[38:39], v[34:35], v[16:17]
	v_mul_f64_e32 v[16:17], v[36:37], v[16:17]
	v_fma_f64 v[40:41], v[4:5], v[10:11], v[131:132]
	v_fma_f64 v[10:11], v[2:3], v[10:11], -v[12:13]
	v_add_f64_e32 v[12:13], v[8:9], v[6:7]
	v_add_f64_e32 v[30:31], v[30:31], v[32:33]
	ds_load_b128 v[2:5], v1 offset:1296
	ds_load_b128 v[6:9], v1 offset:1312
	v_fma_f64 v[36:37], v[36:37], v[14:15], v[38:39]
	v_fma_f64 v[14:15], v[34:35], v[14:15], -v[16:17]
	s_wait_loadcnt_dscnt 0x201
	v_mul_f64_e32 v[32:33], v[2:3], v[20:21]
	v_mul_f64_e32 v[20:21], v[4:5], v[20:21]
	s_wait_loadcnt_dscnt 0x100
	v_mul_f64_e32 v[16:17], v[6:7], v[24:25]
	v_mul_f64_e32 v[24:25], v[8:9], v[24:25]
	v_add_f64_e32 v[10:11], v[12:13], v[10:11]
	v_add_f64_e32 v[12:13], v[30:31], v[40:41]
	v_fma_f64 v[30:31], v[4:5], v[18:19], v[32:33]
	v_fma_f64 v[18:19], v[2:3], v[18:19], -v[20:21]
	ds_load_b128 v[2:5], v1 offset:1328
	v_fma_f64 v[8:9], v[8:9], v[22:23], v[16:17]
	v_fma_f64 v[6:7], v[6:7], v[22:23], -v[24:25]
	v_add_f64_e32 v[10:11], v[10:11], v[14:15]
	v_add_f64_e32 v[12:13], v[12:13], v[36:37]
	s_wait_loadcnt_dscnt 0x0
	v_mul_f64_e32 v[14:15], v[2:3], v[28:29]
	v_mul_f64_e32 v[20:21], v[4:5], v[28:29]
	s_delay_alu instid0(VALU_DEP_4) | instskip(NEXT) | instid1(VALU_DEP_4)
	v_add_f64_e32 v[10:11], v[10:11], v[18:19]
	v_add_f64_e32 v[12:13], v[12:13], v[30:31]
	s_delay_alu instid0(VALU_DEP_4) | instskip(NEXT) | instid1(VALU_DEP_4)
	v_fma_f64 v[4:5], v[4:5], v[26:27], v[14:15]
	v_fma_f64 v[2:3], v[2:3], v[26:27], -v[20:21]
	s_delay_alu instid0(VALU_DEP_4) | instskip(NEXT) | instid1(VALU_DEP_4)
	v_add_f64_e32 v[6:7], v[10:11], v[6:7]
	v_add_f64_e32 v[8:9], v[12:13], v[8:9]
	s_delay_alu instid0(VALU_DEP_2) | instskip(NEXT) | instid1(VALU_DEP_2)
	v_add_f64_e32 v[2:3], v[6:7], v[2:3]
	v_add_f64_e32 v[4:5], v[8:9], v[4:5]
	s_delay_alu instid0(VALU_DEP_2) | instskip(NEXT) | instid1(VALU_DEP_2)
	v_add_f64_e64 v[2:3], v[42:43], -v[2:3]
	v_add_f64_e64 v[4:5], v[44:45], -v[4:5]
	scratch_store_b128 off, v[2:5], off offset:240
	v_cmpx_lt_u32_e32 13, v0
	s_cbranch_execz .LBB105_239
; %bb.238:
	scratch_load_b128 v[5:8], off, s13
	v_dual_mov_b32 v2, v1 :: v_dual_mov_b32 v3, v1
	v_mov_b32_e32 v4, v1
	scratch_store_b128 off, v[1:4], off offset:224
	s_wait_loadcnt 0x0
	ds_store_b128 v130, v[5:8]
.LBB105_239:
	s_wait_alu 0xfffe
	s_or_b32 exec_lo, exec_lo, s0
	s_wait_storecnt_dscnt 0x0
	s_barrier_signal -1
	s_barrier_wait -1
	global_inv scope:SCOPE_SE
	s_clause 0x8
	scratch_load_b128 v[2:5], off, off offset:240
	scratch_load_b128 v[6:9], off, off offset:256
	;; [unrolled: 1-line block ×9, first 2 shown]
	ds_load_b128 v[38:41], v1 offset:896
	ds_load_b128 v[42:45], v1 offset:912
	s_clause 0x1
	scratch_load_b128 v[131:134], off, off offset:224
	scratch_load_b128 v[135:138], off, off offset:384
	s_mov_b32 s0, exec_lo
	s_wait_loadcnt_dscnt 0xa01
	v_mul_f64_e32 v[139:140], v[40:41], v[4:5]
	v_mul_f64_e32 v[4:5], v[38:39], v[4:5]
	s_wait_loadcnt_dscnt 0x900
	v_mul_f64_e32 v[143:144], v[42:43], v[8:9]
	v_mul_f64_e32 v[8:9], v[44:45], v[8:9]
	s_delay_alu instid0(VALU_DEP_4) | instskip(NEXT) | instid1(VALU_DEP_4)
	v_fma_f64 v[145:146], v[38:39], v[2:3], -v[139:140]
	v_fma_f64 v[147:148], v[40:41], v[2:3], v[4:5]
	ds_load_b128 v[2:5], v1 offset:928
	ds_load_b128 v[139:142], v1 offset:944
	scratch_load_b128 v[38:41], off, off offset:400
	v_fma_f64 v[44:45], v[44:45], v[6:7], v[143:144]
	v_fma_f64 v[42:43], v[42:43], v[6:7], -v[8:9]
	scratch_load_b128 v[6:9], off, off offset:416
	s_wait_loadcnt_dscnt 0xa01
	v_mul_f64_e32 v[149:150], v[2:3], v[12:13]
	v_mul_f64_e32 v[12:13], v[4:5], v[12:13]
	v_add_f64_e32 v[143:144], 0, v[145:146]
	v_add_f64_e32 v[145:146], 0, v[147:148]
	s_wait_loadcnt_dscnt 0x900
	v_mul_f64_e32 v[147:148], v[139:140], v[16:17]
	v_mul_f64_e32 v[16:17], v[141:142], v[16:17]
	v_fma_f64 v[149:150], v[4:5], v[10:11], v[149:150]
	v_fma_f64 v[151:152], v[2:3], v[10:11], -v[12:13]
	ds_load_b128 v[2:5], v1 offset:960
	scratch_load_b128 v[10:13], off, off offset:432
	v_add_f64_e32 v[143:144], v[143:144], v[42:43]
	v_add_f64_e32 v[145:146], v[145:146], v[44:45]
	ds_load_b128 v[42:45], v1 offset:976
	v_fma_f64 v[141:142], v[141:142], v[14:15], v[147:148]
	v_fma_f64 v[139:140], v[139:140], v[14:15], -v[16:17]
	scratch_load_b128 v[14:17], off, off offset:448
	s_wait_loadcnt_dscnt 0xa01
	v_mul_f64_e32 v[153:154], v[2:3], v[20:21]
	v_mul_f64_e32 v[20:21], v[4:5], v[20:21]
	s_wait_loadcnt_dscnt 0x900
	v_mul_f64_e32 v[147:148], v[42:43], v[24:25]
	v_mul_f64_e32 v[24:25], v[44:45], v[24:25]
	v_add_f64_e32 v[143:144], v[143:144], v[151:152]
	v_add_f64_e32 v[145:146], v[145:146], v[149:150]
	v_fma_f64 v[149:150], v[4:5], v[18:19], v[153:154]
	v_fma_f64 v[151:152], v[2:3], v[18:19], -v[20:21]
	ds_load_b128 v[2:5], v1 offset:992
	scratch_load_b128 v[18:21], off, off offset:464
	v_fma_f64 v[44:45], v[44:45], v[22:23], v[147:148]
	v_fma_f64 v[42:43], v[42:43], v[22:23], -v[24:25]
	scratch_load_b128 v[22:25], off, off offset:480
	v_add_f64_e32 v[143:144], v[143:144], v[139:140]
	v_add_f64_e32 v[145:146], v[145:146], v[141:142]
	ds_load_b128 v[139:142], v1 offset:1008
	s_wait_loadcnt_dscnt 0xa01
	v_mul_f64_e32 v[153:154], v[2:3], v[28:29]
	v_mul_f64_e32 v[28:29], v[4:5], v[28:29]
	s_wait_loadcnt_dscnt 0x900
	v_mul_f64_e32 v[147:148], v[139:140], v[32:33]
	v_mul_f64_e32 v[32:33], v[141:142], v[32:33]
	v_add_f64_e32 v[143:144], v[143:144], v[151:152]
	v_add_f64_e32 v[145:146], v[145:146], v[149:150]
	v_fma_f64 v[149:150], v[4:5], v[26:27], v[153:154]
	v_fma_f64 v[151:152], v[2:3], v[26:27], -v[28:29]
	ds_load_b128 v[2:5], v1 offset:1024
	scratch_load_b128 v[26:29], off, off offset:496
	v_fma_f64 v[141:142], v[141:142], v[30:31], v[147:148]
	v_fma_f64 v[139:140], v[139:140], v[30:31], -v[32:33]
	scratch_load_b128 v[30:33], off, off offset:512
	v_add_f64_e32 v[143:144], v[143:144], v[42:43]
	v_add_f64_e32 v[145:146], v[145:146], v[44:45]
	ds_load_b128 v[42:45], v1 offset:1040
	s_wait_loadcnt_dscnt 0xa01
	v_mul_f64_e32 v[153:154], v[2:3], v[36:37]
	v_mul_f64_e32 v[36:37], v[4:5], v[36:37]
	s_wait_loadcnt_dscnt 0x800
	v_mul_f64_e32 v[147:148], v[42:43], v[137:138]
	v_add_f64_e32 v[143:144], v[143:144], v[151:152]
	v_add_f64_e32 v[145:146], v[145:146], v[149:150]
	v_mul_f64_e32 v[149:150], v[44:45], v[137:138]
	v_fma_f64 v[151:152], v[4:5], v[34:35], v[153:154]
	v_fma_f64 v[153:154], v[2:3], v[34:35], -v[36:37]
	ds_load_b128 v[2:5], v1 offset:1056
	scratch_load_b128 v[34:37], off, off offset:528
	v_fma_f64 v[44:45], v[44:45], v[135:136], v[147:148]
	v_add_f64_e32 v[143:144], v[143:144], v[139:140]
	v_add_f64_e32 v[141:142], v[145:146], v[141:142]
	ds_load_b128 v[137:140], v1 offset:1072
	v_fma_f64 v[135:136], v[42:43], v[135:136], -v[149:150]
	s_wait_loadcnt_dscnt 0x801
	v_mul_f64_e32 v[145:146], v[2:3], v[40:41]
	v_mul_f64_e32 v[155:156], v[4:5], v[40:41]
	scratch_load_b128 v[40:43], off, off offset:544
	s_wait_loadcnt_dscnt 0x800
	v_mul_f64_e32 v[149:150], v[137:138], v[8:9]
	v_mul_f64_e32 v[8:9], v[139:140], v[8:9]
	v_add_f64_e32 v[143:144], v[143:144], v[153:154]
	v_add_f64_e32 v[141:142], v[141:142], v[151:152]
	v_fma_f64 v[151:152], v[4:5], v[38:39], v[145:146]
	v_fma_f64 v[38:39], v[2:3], v[38:39], -v[155:156]
	ds_load_b128 v[2:5], v1 offset:1088
	ds_load_b128 v[145:148], v1 offset:1104
	v_fma_f64 v[139:140], v[139:140], v[6:7], v[149:150]
	v_fma_f64 v[137:138], v[137:138], v[6:7], -v[8:9]
	scratch_load_b128 v[6:9], off, off offset:576
	v_add_f64_e32 v[135:136], v[143:144], v[135:136]
	v_add_f64_e32 v[44:45], v[141:142], v[44:45]
	scratch_load_b128 v[141:144], off, off offset:560
	s_wait_loadcnt_dscnt 0x901
	v_mul_f64_e32 v[153:154], v[2:3], v[12:13]
	v_mul_f64_e32 v[12:13], v[4:5], v[12:13]
	s_wait_loadcnt_dscnt 0x800
	v_mul_f64_e32 v[149:150], v[145:146], v[16:17]
	v_mul_f64_e32 v[16:17], v[147:148], v[16:17]
	v_add_f64_e32 v[38:39], v[135:136], v[38:39]
	v_add_f64_e32 v[44:45], v[44:45], v[151:152]
	v_fma_f64 v[151:152], v[4:5], v[10:11], v[153:154]
	v_fma_f64 v[153:154], v[2:3], v[10:11], -v[12:13]
	ds_load_b128 v[2:5], v1 offset:1120
	scratch_load_b128 v[10:13], off, off offset:592
	v_fma_f64 v[147:148], v[147:148], v[14:15], v[149:150]
	v_fma_f64 v[145:146], v[145:146], v[14:15], -v[16:17]
	scratch_load_b128 v[14:17], off, off offset:608
	v_add_f64_e32 v[38:39], v[38:39], v[137:138]
	v_add_f64_e32 v[44:45], v[44:45], v[139:140]
	ds_load_b128 v[135:138], v1 offset:1136
	s_wait_loadcnt_dscnt 0x901
	v_mul_f64_e32 v[139:140], v[2:3], v[20:21]
	v_mul_f64_e32 v[20:21], v[4:5], v[20:21]
	s_wait_loadcnt_dscnt 0x800
	v_mul_f64_e32 v[149:150], v[135:136], v[24:25]
	v_mul_f64_e32 v[24:25], v[137:138], v[24:25]
	v_add_f64_e32 v[38:39], v[38:39], v[153:154]
	v_add_f64_e32 v[44:45], v[44:45], v[151:152]
	v_fma_f64 v[139:140], v[4:5], v[18:19], v[139:140]
	v_fma_f64 v[151:152], v[2:3], v[18:19], -v[20:21]
	ds_load_b128 v[2:5], v1 offset:1152
	scratch_load_b128 v[18:21], off, off offset:624
	v_fma_f64 v[137:138], v[137:138], v[22:23], v[149:150]
	v_fma_f64 v[135:136], v[135:136], v[22:23], -v[24:25]
	scratch_load_b128 v[22:25], off, off offset:640
	v_add_f64_e32 v[38:39], v[38:39], v[145:146]
	v_add_f64_e32 v[44:45], v[44:45], v[147:148]
	ds_load_b128 v[145:148], v1 offset:1168
	s_wait_loadcnt_dscnt 0x901
	v_mul_f64_e32 v[153:154], v[2:3], v[28:29]
	v_mul_f64_e32 v[28:29], v[4:5], v[28:29]
	v_add_f64_e32 v[38:39], v[38:39], v[151:152]
	v_add_f64_e32 v[44:45], v[44:45], v[139:140]
	s_wait_loadcnt_dscnt 0x800
	v_mul_f64_e32 v[139:140], v[145:146], v[32:33]
	v_mul_f64_e32 v[32:33], v[147:148], v[32:33]
	v_fma_f64 v[149:150], v[4:5], v[26:27], v[153:154]
	v_fma_f64 v[151:152], v[2:3], v[26:27], -v[28:29]
	ds_load_b128 v[2:5], v1 offset:1184
	scratch_load_b128 v[26:29], off, off offset:656
	v_add_f64_e32 v[38:39], v[38:39], v[135:136]
	v_add_f64_e32 v[44:45], v[44:45], v[137:138]
	ds_load_b128 v[135:138], v1 offset:1200
	s_wait_loadcnt_dscnt 0x801
	v_mul_f64_e32 v[153:154], v[2:3], v[36:37]
	v_mul_f64_e32 v[36:37], v[4:5], v[36:37]
	v_fma_f64 v[139:140], v[147:148], v[30:31], v[139:140]
	v_fma_f64 v[145:146], v[145:146], v[30:31], -v[32:33]
	scratch_load_b128 v[30:33], off, off offset:672
	s_wait_loadcnt_dscnt 0x800
	v_mul_f64_e32 v[147:148], v[135:136], v[42:43]
	v_add_f64_e32 v[38:39], v[38:39], v[151:152]
	v_add_f64_e32 v[44:45], v[44:45], v[149:150]
	v_mul_f64_e32 v[42:43], v[137:138], v[42:43]
	v_fma_f64 v[149:150], v[4:5], v[34:35], v[153:154]
	v_fma_f64 v[151:152], v[2:3], v[34:35], -v[36:37]
	ds_load_b128 v[2:5], v1 offset:1216
	ds_load_b128 v[34:37], v1 offset:1232
	v_fma_f64 v[137:138], v[137:138], v[40:41], v[147:148]
	v_add_f64_e32 v[38:39], v[38:39], v[145:146]
	v_add_f64_e32 v[44:45], v[44:45], v[139:140]
	v_fma_f64 v[40:41], v[135:136], v[40:41], -v[42:43]
	s_wait_loadcnt_dscnt 0x601
	v_mul_f64_e32 v[139:140], v[2:3], v[143:144]
	v_mul_f64_e32 v[143:144], v[4:5], v[143:144]
	v_add_f64_e32 v[38:39], v[38:39], v[151:152]
	v_add_f64_e32 v[42:43], v[44:45], v[149:150]
	s_wait_dscnt 0x0
	v_mul_f64_e32 v[44:45], v[34:35], v[8:9]
	v_mul_f64_e32 v[8:9], v[36:37], v[8:9]
	v_fma_f64 v[135:136], v[4:5], v[141:142], v[139:140]
	v_fma_f64 v[139:140], v[2:3], v[141:142], -v[143:144]
	v_add_f64_e32 v[141:142], v[38:39], v[40:41]
	v_add_f64_e32 v[42:43], v[42:43], v[137:138]
	ds_load_b128 v[2:5], v1 offset:1248
	ds_load_b128 v[38:41], v1 offset:1264
	v_fma_f64 v[36:37], v[36:37], v[6:7], v[44:45]
	v_fma_f64 v[6:7], v[34:35], v[6:7], -v[8:9]
	s_wait_loadcnt_dscnt 0x501
	v_mul_f64_e32 v[137:138], v[2:3], v[12:13]
	v_mul_f64_e32 v[12:13], v[4:5], v[12:13]
	v_add_f64_e32 v[8:9], v[141:142], v[139:140]
	v_add_f64_e32 v[34:35], v[42:43], v[135:136]
	s_wait_loadcnt_dscnt 0x400
	v_mul_f64_e32 v[42:43], v[38:39], v[16:17]
	v_mul_f64_e32 v[16:17], v[40:41], v[16:17]
	v_fma_f64 v[44:45], v[4:5], v[10:11], v[137:138]
	v_fma_f64 v[10:11], v[2:3], v[10:11], -v[12:13]
	v_add_f64_e32 v[12:13], v[8:9], v[6:7]
	v_add_f64_e32 v[34:35], v[34:35], v[36:37]
	ds_load_b128 v[2:5], v1 offset:1280
	ds_load_b128 v[6:9], v1 offset:1296
	v_fma_f64 v[40:41], v[40:41], v[14:15], v[42:43]
	v_fma_f64 v[14:15], v[38:39], v[14:15], -v[16:17]
	s_wait_loadcnt_dscnt 0x301
	v_mul_f64_e32 v[36:37], v[2:3], v[20:21]
	v_mul_f64_e32 v[20:21], v[4:5], v[20:21]
	s_wait_loadcnt_dscnt 0x200
	v_mul_f64_e32 v[16:17], v[6:7], v[24:25]
	v_mul_f64_e32 v[24:25], v[8:9], v[24:25]
	v_add_f64_e32 v[10:11], v[12:13], v[10:11]
	v_add_f64_e32 v[12:13], v[34:35], v[44:45]
	v_fma_f64 v[34:35], v[4:5], v[18:19], v[36:37]
	v_fma_f64 v[18:19], v[2:3], v[18:19], -v[20:21]
	v_fma_f64 v[8:9], v[8:9], v[22:23], v[16:17]
	v_fma_f64 v[6:7], v[6:7], v[22:23], -v[24:25]
	v_add_f64_e32 v[14:15], v[10:11], v[14:15]
	v_add_f64_e32 v[20:21], v[12:13], v[40:41]
	ds_load_b128 v[2:5], v1 offset:1312
	ds_load_b128 v[10:13], v1 offset:1328
	s_wait_loadcnt_dscnt 0x101
	v_mul_f64_e32 v[36:37], v[2:3], v[28:29]
	v_mul_f64_e32 v[28:29], v[4:5], v[28:29]
	v_add_f64_e32 v[14:15], v[14:15], v[18:19]
	v_add_f64_e32 v[16:17], v[20:21], v[34:35]
	s_wait_loadcnt_dscnt 0x0
	v_mul_f64_e32 v[18:19], v[10:11], v[32:33]
	v_mul_f64_e32 v[20:21], v[12:13], v[32:33]
	v_fma_f64 v[4:5], v[4:5], v[26:27], v[36:37]
	v_fma_f64 v[1:2], v[2:3], v[26:27], -v[28:29]
	v_add_f64_e32 v[6:7], v[14:15], v[6:7]
	v_add_f64_e32 v[8:9], v[16:17], v[8:9]
	v_fma_f64 v[12:13], v[12:13], v[30:31], v[18:19]
	v_fma_f64 v[10:11], v[10:11], v[30:31], -v[20:21]
	s_delay_alu instid0(VALU_DEP_4) | instskip(NEXT) | instid1(VALU_DEP_4)
	v_add_f64_e32 v[1:2], v[6:7], v[1:2]
	v_add_f64_e32 v[3:4], v[8:9], v[4:5]
	s_delay_alu instid0(VALU_DEP_2) | instskip(NEXT) | instid1(VALU_DEP_2)
	v_add_f64_e32 v[1:2], v[1:2], v[10:11]
	v_add_f64_e32 v[3:4], v[3:4], v[12:13]
	s_delay_alu instid0(VALU_DEP_2) | instskip(NEXT) | instid1(VALU_DEP_2)
	v_add_f64_e64 v[1:2], v[131:132], -v[1:2]
	v_add_f64_e64 v[3:4], v[133:134], -v[3:4]
	scratch_store_b128 off, v[1:4], off offset:224
	v_cmpx_lt_u32_e32 12, v0
	s_cbranch_execz .LBB105_241
; %bb.240:
	scratch_load_b128 v[1:4], off, s34
	v_mov_b32_e32 v5, 0
	s_delay_alu instid0(VALU_DEP_1)
	v_dual_mov_b32 v6, v5 :: v_dual_mov_b32 v7, v5
	v_mov_b32_e32 v8, v5
	scratch_store_b128 off, v[5:8], off offset:208
	s_wait_loadcnt 0x0
	ds_store_b128 v130, v[1:4]
.LBB105_241:
	s_wait_alu 0xfffe
	s_or_b32 exec_lo, exec_lo, s0
	s_wait_storecnt_dscnt 0x0
	s_barrier_signal -1
	s_barrier_wait -1
	global_inv scope:SCOPE_SE
	s_clause 0x7
	scratch_load_b128 v[2:5], off, off offset:224
	scratch_load_b128 v[6:9], off, off offset:240
	;; [unrolled: 1-line block ×8, first 2 shown]
	v_mov_b32_e32 v1, 0
	s_mov_b32 s0, exec_lo
	ds_load_b128 v[34:37], v1 offset:880
	s_clause 0x1
	scratch_load_b128 v[38:41], off, off offset:352
	scratch_load_b128 v[42:45], off, off offset:208
	ds_load_b128 v[131:134], v1 offset:896
	scratch_load_b128 v[135:138], off, off offset:368
	s_wait_loadcnt_dscnt 0xa01
	v_mul_f64_e32 v[139:140], v[36:37], v[4:5]
	v_mul_f64_e32 v[4:5], v[34:35], v[4:5]
	s_delay_alu instid0(VALU_DEP_2) | instskip(NEXT) | instid1(VALU_DEP_2)
	v_fma_f64 v[145:146], v[34:35], v[2:3], -v[139:140]
	v_fma_f64 v[147:148], v[36:37], v[2:3], v[4:5]
	ds_load_b128 v[2:5], v1 offset:912
	s_wait_loadcnt_dscnt 0x901
	v_mul_f64_e32 v[143:144], v[131:132], v[8:9]
	v_mul_f64_e32 v[8:9], v[133:134], v[8:9]
	scratch_load_b128 v[34:37], off, off offset:384
	ds_load_b128 v[139:142], v1 offset:928
	s_wait_loadcnt_dscnt 0x901
	v_mul_f64_e32 v[149:150], v[2:3], v[12:13]
	v_mul_f64_e32 v[12:13], v[4:5], v[12:13]
	v_fma_f64 v[133:134], v[133:134], v[6:7], v[143:144]
	v_fma_f64 v[131:132], v[131:132], v[6:7], -v[8:9]
	v_add_f64_e32 v[143:144], 0, v[145:146]
	v_add_f64_e32 v[145:146], 0, v[147:148]
	scratch_load_b128 v[6:9], off, off offset:400
	v_fma_f64 v[149:150], v[4:5], v[10:11], v[149:150]
	v_fma_f64 v[151:152], v[2:3], v[10:11], -v[12:13]
	ds_load_b128 v[2:5], v1 offset:944
	s_wait_loadcnt_dscnt 0x901
	v_mul_f64_e32 v[147:148], v[139:140], v[16:17]
	v_mul_f64_e32 v[16:17], v[141:142], v[16:17]
	scratch_load_b128 v[10:13], off, off offset:416
	v_add_f64_e32 v[143:144], v[143:144], v[131:132]
	v_add_f64_e32 v[145:146], v[145:146], v[133:134]
	s_wait_loadcnt_dscnt 0x900
	v_mul_f64_e32 v[153:154], v[2:3], v[20:21]
	v_mul_f64_e32 v[20:21], v[4:5], v[20:21]
	ds_load_b128 v[131:134], v1 offset:960
	v_fma_f64 v[141:142], v[141:142], v[14:15], v[147:148]
	v_fma_f64 v[139:140], v[139:140], v[14:15], -v[16:17]
	scratch_load_b128 v[14:17], off, off offset:432
	v_add_f64_e32 v[143:144], v[143:144], v[151:152]
	v_add_f64_e32 v[145:146], v[145:146], v[149:150]
	v_fma_f64 v[149:150], v[4:5], v[18:19], v[153:154]
	v_fma_f64 v[151:152], v[2:3], v[18:19], -v[20:21]
	ds_load_b128 v[2:5], v1 offset:976
	s_wait_loadcnt_dscnt 0x901
	v_mul_f64_e32 v[147:148], v[131:132], v[24:25]
	v_mul_f64_e32 v[24:25], v[133:134], v[24:25]
	scratch_load_b128 v[18:21], off, off offset:448
	s_wait_loadcnt_dscnt 0x900
	v_mul_f64_e32 v[153:154], v[2:3], v[28:29]
	v_mul_f64_e32 v[28:29], v[4:5], v[28:29]
	v_add_f64_e32 v[143:144], v[143:144], v[139:140]
	v_add_f64_e32 v[145:146], v[145:146], v[141:142]
	ds_load_b128 v[139:142], v1 offset:992
	v_fma_f64 v[133:134], v[133:134], v[22:23], v[147:148]
	v_fma_f64 v[131:132], v[131:132], v[22:23], -v[24:25]
	scratch_load_b128 v[22:25], off, off offset:464
	v_add_f64_e32 v[143:144], v[143:144], v[151:152]
	v_add_f64_e32 v[145:146], v[145:146], v[149:150]
	v_fma_f64 v[149:150], v[4:5], v[26:27], v[153:154]
	v_fma_f64 v[151:152], v[2:3], v[26:27], -v[28:29]
	ds_load_b128 v[2:5], v1 offset:1008
	s_wait_loadcnt_dscnt 0x901
	v_mul_f64_e32 v[147:148], v[139:140], v[32:33]
	v_mul_f64_e32 v[32:33], v[141:142], v[32:33]
	scratch_load_b128 v[26:29], off, off offset:480
	s_wait_loadcnt_dscnt 0x900
	v_mul_f64_e32 v[153:154], v[2:3], v[40:41]
	v_mul_f64_e32 v[40:41], v[4:5], v[40:41]
	v_add_f64_e32 v[143:144], v[143:144], v[131:132]
	v_add_f64_e32 v[145:146], v[145:146], v[133:134]
	ds_load_b128 v[131:134], v1 offset:1024
	v_fma_f64 v[141:142], v[141:142], v[30:31], v[147:148]
	v_fma_f64 v[139:140], v[139:140], v[30:31], -v[32:33]
	scratch_load_b128 v[30:33], off, off offset:496
	v_add_f64_e32 v[143:144], v[143:144], v[151:152]
	v_add_f64_e32 v[145:146], v[145:146], v[149:150]
	v_fma_f64 v[151:152], v[4:5], v[38:39], v[153:154]
	v_fma_f64 v[153:154], v[2:3], v[38:39], -v[40:41]
	ds_load_b128 v[2:5], v1 offset:1040
	s_wait_loadcnt_dscnt 0x801
	v_mul_f64_e32 v[147:148], v[131:132], v[137:138]
	v_mul_f64_e32 v[149:150], v[133:134], v[137:138]
	scratch_load_b128 v[38:41], off, off offset:512
	v_add_f64_e32 v[143:144], v[143:144], v[139:140]
	v_add_f64_e32 v[141:142], v[145:146], v[141:142]
	ds_load_b128 v[137:140], v1 offset:1056
	v_fma_f64 v[147:148], v[133:134], v[135:136], v[147:148]
	v_fma_f64 v[135:136], v[131:132], v[135:136], -v[149:150]
	scratch_load_b128 v[131:134], off, off offset:528
	s_wait_loadcnt_dscnt 0x901
	v_mul_f64_e32 v[145:146], v[2:3], v[36:37]
	v_mul_f64_e32 v[36:37], v[4:5], v[36:37]
	v_add_f64_e32 v[143:144], v[143:144], v[153:154]
	v_add_f64_e32 v[141:142], v[141:142], v[151:152]
	s_delay_alu instid0(VALU_DEP_4) | instskip(NEXT) | instid1(VALU_DEP_4)
	v_fma_f64 v[145:146], v[4:5], v[34:35], v[145:146]
	v_fma_f64 v[151:152], v[2:3], v[34:35], -v[36:37]
	ds_load_b128 v[2:5], v1 offset:1072
	s_wait_loadcnt_dscnt 0x801
	v_mul_f64_e32 v[149:150], v[137:138], v[8:9]
	v_mul_f64_e32 v[8:9], v[139:140], v[8:9]
	scratch_load_b128 v[34:37], off, off offset:544
	s_wait_loadcnt_dscnt 0x800
	v_mul_f64_e32 v[153:154], v[2:3], v[12:13]
	v_add_f64_e32 v[135:136], v[143:144], v[135:136]
	v_add_f64_e32 v[147:148], v[141:142], v[147:148]
	v_mul_f64_e32 v[12:13], v[4:5], v[12:13]
	ds_load_b128 v[141:144], v1 offset:1088
	v_fma_f64 v[139:140], v[139:140], v[6:7], v[149:150]
	v_fma_f64 v[137:138], v[137:138], v[6:7], -v[8:9]
	scratch_load_b128 v[6:9], off, off offset:560
	v_fma_f64 v[149:150], v[4:5], v[10:11], v[153:154]
	v_add_f64_e32 v[135:136], v[135:136], v[151:152]
	v_add_f64_e32 v[145:146], v[147:148], v[145:146]
	v_fma_f64 v[151:152], v[2:3], v[10:11], -v[12:13]
	ds_load_b128 v[2:5], v1 offset:1104
	s_wait_loadcnt_dscnt 0x801
	v_mul_f64_e32 v[147:148], v[141:142], v[16:17]
	v_mul_f64_e32 v[16:17], v[143:144], v[16:17]
	scratch_load_b128 v[10:13], off, off offset:576
	v_add_f64_e32 v[153:154], v[135:136], v[137:138]
	v_add_f64_e32 v[139:140], v[145:146], v[139:140]
	s_wait_loadcnt_dscnt 0x800
	v_mul_f64_e32 v[145:146], v[2:3], v[20:21]
	v_mul_f64_e32 v[20:21], v[4:5], v[20:21]
	v_fma_f64 v[143:144], v[143:144], v[14:15], v[147:148]
	v_fma_f64 v[141:142], v[141:142], v[14:15], -v[16:17]
	ds_load_b128 v[135:138], v1 offset:1120
	scratch_load_b128 v[14:17], off, off offset:592
	v_add_f64_e32 v[147:148], v[153:154], v[151:152]
	v_add_f64_e32 v[139:140], v[139:140], v[149:150]
	v_fma_f64 v[145:146], v[4:5], v[18:19], v[145:146]
	v_fma_f64 v[151:152], v[2:3], v[18:19], -v[20:21]
	ds_load_b128 v[2:5], v1 offset:1136
	s_wait_loadcnt_dscnt 0x801
	v_mul_f64_e32 v[149:150], v[135:136], v[24:25]
	v_mul_f64_e32 v[24:25], v[137:138], v[24:25]
	scratch_load_b128 v[18:21], off, off offset:608
	s_wait_loadcnt_dscnt 0x800
	v_mul_f64_e32 v[153:154], v[2:3], v[28:29]
	v_mul_f64_e32 v[28:29], v[4:5], v[28:29]
	v_add_f64_e32 v[147:148], v[147:148], v[141:142]
	v_add_f64_e32 v[143:144], v[139:140], v[143:144]
	ds_load_b128 v[139:142], v1 offset:1152
	v_fma_f64 v[137:138], v[137:138], v[22:23], v[149:150]
	v_fma_f64 v[135:136], v[135:136], v[22:23], -v[24:25]
	scratch_load_b128 v[22:25], off, off offset:624
	v_fma_f64 v[149:150], v[4:5], v[26:27], v[153:154]
	v_add_f64_e32 v[147:148], v[147:148], v[151:152]
	v_add_f64_e32 v[143:144], v[143:144], v[145:146]
	v_fma_f64 v[151:152], v[2:3], v[26:27], -v[28:29]
	ds_load_b128 v[2:5], v1 offset:1168
	s_wait_loadcnt_dscnt 0x801
	v_mul_f64_e32 v[145:146], v[139:140], v[32:33]
	v_mul_f64_e32 v[32:33], v[141:142], v[32:33]
	scratch_load_b128 v[26:29], off, off offset:640
	s_wait_loadcnt_dscnt 0x800
	v_mul_f64_e32 v[153:154], v[2:3], v[40:41]
	v_mul_f64_e32 v[40:41], v[4:5], v[40:41]
	v_add_f64_e32 v[147:148], v[147:148], v[135:136]
	v_add_f64_e32 v[143:144], v[143:144], v[137:138]
	ds_load_b128 v[135:138], v1 offset:1184
	v_fma_f64 v[141:142], v[141:142], v[30:31], v[145:146]
	v_fma_f64 v[139:140], v[139:140], v[30:31], -v[32:33]
	scratch_load_b128 v[30:33], off, off offset:656
	v_add_f64_e32 v[145:146], v[147:148], v[151:152]
	v_add_f64_e32 v[143:144], v[143:144], v[149:150]
	v_fma_f64 v[149:150], v[4:5], v[38:39], v[153:154]
	v_fma_f64 v[151:152], v[2:3], v[38:39], -v[40:41]
	ds_load_b128 v[2:5], v1 offset:1200
	s_wait_loadcnt_dscnt 0x801
	v_mul_f64_e32 v[147:148], v[135:136], v[133:134]
	v_mul_f64_e32 v[133:134], v[137:138], v[133:134]
	scratch_load_b128 v[38:41], off, off offset:672
	s_wait_loadcnt_dscnt 0x800
	v_mul_f64_e32 v[153:154], v[2:3], v[36:37]
	v_mul_f64_e32 v[36:37], v[4:5], v[36:37]
	v_add_f64_e32 v[145:146], v[145:146], v[139:140]
	v_add_f64_e32 v[143:144], v[143:144], v[141:142]
	ds_load_b128 v[139:142], v1 offset:1216
	v_fma_f64 v[137:138], v[137:138], v[131:132], v[147:148]
	v_fma_f64 v[131:132], v[135:136], v[131:132], -v[133:134]
	v_fma_f64 v[147:148], v[2:3], v[34:35], -v[36:37]
	v_add_f64_e32 v[133:134], v[145:146], v[151:152]
	v_add_f64_e32 v[135:136], v[143:144], v[149:150]
	s_wait_loadcnt_dscnt 0x700
	v_mul_f64_e32 v[143:144], v[139:140], v[8:9]
	v_mul_f64_e32 v[8:9], v[141:142], v[8:9]
	v_fma_f64 v[145:146], v[4:5], v[34:35], v[153:154]
	ds_load_b128 v[2:5], v1 offset:1232
	ds_load_b128 v[34:37], v1 offset:1248
	v_add_f64_e32 v[131:132], v[133:134], v[131:132]
	v_add_f64_e32 v[133:134], v[135:136], v[137:138]
	s_wait_loadcnt_dscnt 0x601
	v_mul_f64_e32 v[135:136], v[2:3], v[12:13]
	v_mul_f64_e32 v[12:13], v[4:5], v[12:13]
	v_fma_f64 v[137:138], v[141:142], v[6:7], v[143:144]
	v_fma_f64 v[6:7], v[139:140], v[6:7], -v[8:9]
	v_add_f64_e32 v[8:9], v[131:132], v[147:148]
	v_add_f64_e32 v[131:132], v[133:134], v[145:146]
	s_wait_loadcnt_dscnt 0x500
	v_mul_f64_e32 v[133:134], v[34:35], v[16:17]
	v_mul_f64_e32 v[16:17], v[36:37], v[16:17]
	v_fma_f64 v[135:136], v[4:5], v[10:11], v[135:136]
	v_fma_f64 v[10:11], v[2:3], v[10:11], -v[12:13]
	v_add_f64_e32 v[12:13], v[8:9], v[6:7]
	v_add_f64_e32 v[131:132], v[131:132], v[137:138]
	ds_load_b128 v[2:5], v1 offset:1264
	ds_load_b128 v[6:9], v1 offset:1280
	v_fma_f64 v[36:37], v[36:37], v[14:15], v[133:134]
	v_fma_f64 v[14:15], v[34:35], v[14:15], -v[16:17]
	s_wait_loadcnt_dscnt 0x401
	v_mul_f64_e32 v[137:138], v[2:3], v[20:21]
	v_mul_f64_e32 v[20:21], v[4:5], v[20:21]
	s_wait_loadcnt_dscnt 0x300
	v_mul_f64_e32 v[16:17], v[6:7], v[24:25]
	v_mul_f64_e32 v[24:25], v[8:9], v[24:25]
	v_add_f64_e32 v[10:11], v[12:13], v[10:11]
	v_add_f64_e32 v[12:13], v[131:132], v[135:136]
	v_fma_f64 v[34:35], v[4:5], v[18:19], v[137:138]
	v_fma_f64 v[18:19], v[2:3], v[18:19], -v[20:21]
	v_fma_f64 v[8:9], v[8:9], v[22:23], v[16:17]
	v_fma_f64 v[6:7], v[6:7], v[22:23], -v[24:25]
	v_add_f64_e32 v[14:15], v[10:11], v[14:15]
	v_add_f64_e32 v[20:21], v[12:13], v[36:37]
	ds_load_b128 v[2:5], v1 offset:1296
	ds_load_b128 v[10:13], v1 offset:1312
	s_wait_loadcnt_dscnt 0x201
	v_mul_f64_e32 v[36:37], v[2:3], v[28:29]
	v_mul_f64_e32 v[28:29], v[4:5], v[28:29]
	v_add_f64_e32 v[14:15], v[14:15], v[18:19]
	v_add_f64_e32 v[16:17], v[20:21], v[34:35]
	s_wait_loadcnt_dscnt 0x100
	v_mul_f64_e32 v[18:19], v[10:11], v[32:33]
	v_mul_f64_e32 v[20:21], v[12:13], v[32:33]
	v_fma_f64 v[22:23], v[4:5], v[26:27], v[36:37]
	v_fma_f64 v[24:25], v[2:3], v[26:27], -v[28:29]
	ds_load_b128 v[2:5], v1 offset:1328
	v_add_f64_e32 v[6:7], v[14:15], v[6:7]
	v_add_f64_e32 v[8:9], v[16:17], v[8:9]
	v_fma_f64 v[12:13], v[12:13], v[30:31], v[18:19]
	v_fma_f64 v[10:11], v[10:11], v[30:31], -v[20:21]
	s_wait_loadcnt_dscnt 0x0
	v_mul_f64_e32 v[14:15], v[2:3], v[40:41]
	v_mul_f64_e32 v[16:17], v[4:5], v[40:41]
	v_add_f64_e32 v[6:7], v[6:7], v[24:25]
	v_add_f64_e32 v[8:9], v[8:9], v[22:23]
	s_delay_alu instid0(VALU_DEP_4) | instskip(NEXT) | instid1(VALU_DEP_4)
	v_fma_f64 v[4:5], v[4:5], v[38:39], v[14:15]
	v_fma_f64 v[2:3], v[2:3], v[38:39], -v[16:17]
	s_delay_alu instid0(VALU_DEP_4) | instskip(NEXT) | instid1(VALU_DEP_4)
	v_add_f64_e32 v[6:7], v[6:7], v[10:11]
	v_add_f64_e32 v[8:9], v[8:9], v[12:13]
	s_delay_alu instid0(VALU_DEP_2) | instskip(NEXT) | instid1(VALU_DEP_2)
	v_add_f64_e32 v[2:3], v[6:7], v[2:3]
	v_add_f64_e32 v[4:5], v[8:9], v[4:5]
	s_delay_alu instid0(VALU_DEP_2) | instskip(NEXT) | instid1(VALU_DEP_2)
	v_add_f64_e64 v[2:3], v[42:43], -v[2:3]
	v_add_f64_e64 v[4:5], v[44:45], -v[4:5]
	scratch_store_b128 off, v[2:5], off offset:208
	v_cmpx_lt_u32_e32 11, v0
	s_cbranch_execz .LBB105_243
; %bb.242:
	scratch_load_b128 v[5:8], off, s11
	v_dual_mov_b32 v2, v1 :: v_dual_mov_b32 v3, v1
	v_mov_b32_e32 v4, v1
	scratch_store_b128 off, v[1:4], off offset:192
	s_wait_loadcnt 0x0
	ds_store_b128 v130, v[5:8]
.LBB105_243:
	s_wait_alu 0xfffe
	s_or_b32 exec_lo, exec_lo, s0
	s_wait_storecnt_dscnt 0x0
	s_barrier_signal -1
	s_barrier_wait -1
	global_inv scope:SCOPE_SE
	s_clause 0x8
	scratch_load_b128 v[2:5], off, off offset:208
	scratch_load_b128 v[6:9], off, off offset:224
	;; [unrolled: 1-line block ×9, first 2 shown]
	ds_load_b128 v[38:41], v1 offset:864
	ds_load_b128 v[42:45], v1 offset:880
	s_clause 0x1
	scratch_load_b128 v[131:134], off, off offset:192
	scratch_load_b128 v[135:138], off, off offset:352
	s_mov_b32 s0, exec_lo
	s_wait_loadcnt_dscnt 0xa01
	v_mul_f64_e32 v[139:140], v[40:41], v[4:5]
	v_mul_f64_e32 v[4:5], v[38:39], v[4:5]
	s_wait_loadcnt_dscnt 0x900
	v_mul_f64_e32 v[143:144], v[42:43], v[8:9]
	v_mul_f64_e32 v[8:9], v[44:45], v[8:9]
	s_delay_alu instid0(VALU_DEP_4) | instskip(NEXT) | instid1(VALU_DEP_4)
	v_fma_f64 v[145:146], v[38:39], v[2:3], -v[139:140]
	v_fma_f64 v[147:148], v[40:41], v[2:3], v[4:5]
	ds_load_b128 v[2:5], v1 offset:896
	ds_load_b128 v[139:142], v1 offset:912
	scratch_load_b128 v[38:41], off, off offset:368
	v_fma_f64 v[44:45], v[44:45], v[6:7], v[143:144]
	v_fma_f64 v[42:43], v[42:43], v[6:7], -v[8:9]
	scratch_load_b128 v[6:9], off, off offset:384
	s_wait_loadcnt_dscnt 0xa01
	v_mul_f64_e32 v[149:150], v[2:3], v[12:13]
	v_mul_f64_e32 v[12:13], v[4:5], v[12:13]
	v_add_f64_e32 v[143:144], 0, v[145:146]
	v_add_f64_e32 v[145:146], 0, v[147:148]
	s_wait_loadcnt_dscnt 0x900
	v_mul_f64_e32 v[147:148], v[139:140], v[16:17]
	v_mul_f64_e32 v[16:17], v[141:142], v[16:17]
	v_fma_f64 v[149:150], v[4:5], v[10:11], v[149:150]
	v_fma_f64 v[151:152], v[2:3], v[10:11], -v[12:13]
	ds_load_b128 v[2:5], v1 offset:928
	scratch_load_b128 v[10:13], off, off offset:400
	v_add_f64_e32 v[143:144], v[143:144], v[42:43]
	v_add_f64_e32 v[145:146], v[145:146], v[44:45]
	ds_load_b128 v[42:45], v1 offset:944
	v_fma_f64 v[141:142], v[141:142], v[14:15], v[147:148]
	v_fma_f64 v[139:140], v[139:140], v[14:15], -v[16:17]
	scratch_load_b128 v[14:17], off, off offset:416
	s_wait_loadcnt_dscnt 0xa01
	v_mul_f64_e32 v[153:154], v[2:3], v[20:21]
	v_mul_f64_e32 v[20:21], v[4:5], v[20:21]
	s_wait_loadcnt_dscnt 0x900
	v_mul_f64_e32 v[147:148], v[42:43], v[24:25]
	v_mul_f64_e32 v[24:25], v[44:45], v[24:25]
	v_add_f64_e32 v[143:144], v[143:144], v[151:152]
	v_add_f64_e32 v[145:146], v[145:146], v[149:150]
	v_fma_f64 v[149:150], v[4:5], v[18:19], v[153:154]
	v_fma_f64 v[151:152], v[2:3], v[18:19], -v[20:21]
	ds_load_b128 v[2:5], v1 offset:960
	scratch_load_b128 v[18:21], off, off offset:432
	v_fma_f64 v[44:45], v[44:45], v[22:23], v[147:148]
	v_fma_f64 v[42:43], v[42:43], v[22:23], -v[24:25]
	scratch_load_b128 v[22:25], off, off offset:448
	v_add_f64_e32 v[143:144], v[143:144], v[139:140]
	v_add_f64_e32 v[145:146], v[145:146], v[141:142]
	ds_load_b128 v[139:142], v1 offset:976
	s_wait_loadcnt_dscnt 0xa01
	v_mul_f64_e32 v[153:154], v[2:3], v[28:29]
	v_mul_f64_e32 v[28:29], v[4:5], v[28:29]
	s_wait_loadcnt_dscnt 0x900
	v_mul_f64_e32 v[147:148], v[139:140], v[32:33]
	v_mul_f64_e32 v[32:33], v[141:142], v[32:33]
	v_add_f64_e32 v[143:144], v[143:144], v[151:152]
	v_add_f64_e32 v[145:146], v[145:146], v[149:150]
	v_fma_f64 v[149:150], v[4:5], v[26:27], v[153:154]
	v_fma_f64 v[151:152], v[2:3], v[26:27], -v[28:29]
	ds_load_b128 v[2:5], v1 offset:992
	scratch_load_b128 v[26:29], off, off offset:464
	v_fma_f64 v[141:142], v[141:142], v[30:31], v[147:148]
	v_fma_f64 v[139:140], v[139:140], v[30:31], -v[32:33]
	scratch_load_b128 v[30:33], off, off offset:480
	v_add_f64_e32 v[143:144], v[143:144], v[42:43]
	v_add_f64_e32 v[145:146], v[145:146], v[44:45]
	ds_load_b128 v[42:45], v1 offset:1008
	s_wait_loadcnt_dscnt 0xa01
	v_mul_f64_e32 v[153:154], v[2:3], v[36:37]
	v_mul_f64_e32 v[36:37], v[4:5], v[36:37]
	s_wait_loadcnt_dscnt 0x800
	v_mul_f64_e32 v[147:148], v[42:43], v[137:138]
	v_add_f64_e32 v[143:144], v[143:144], v[151:152]
	v_add_f64_e32 v[145:146], v[145:146], v[149:150]
	v_mul_f64_e32 v[149:150], v[44:45], v[137:138]
	v_fma_f64 v[151:152], v[4:5], v[34:35], v[153:154]
	v_fma_f64 v[153:154], v[2:3], v[34:35], -v[36:37]
	ds_load_b128 v[2:5], v1 offset:1024
	scratch_load_b128 v[34:37], off, off offset:496
	v_fma_f64 v[44:45], v[44:45], v[135:136], v[147:148]
	v_add_f64_e32 v[143:144], v[143:144], v[139:140]
	v_add_f64_e32 v[141:142], v[145:146], v[141:142]
	ds_load_b128 v[137:140], v1 offset:1040
	v_fma_f64 v[135:136], v[42:43], v[135:136], -v[149:150]
	s_wait_loadcnt_dscnt 0x801
	v_mul_f64_e32 v[145:146], v[2:3], v[40:41]
	v_mul_f64_e32 v[155:156], v[4:5], v[40:41]
	scratch_load_b128 v[40:43], off, off offset:512
	s_wait_loadcnt_dscnt 0x800
	v_mul_f64_e32 v[149:150], v[137:138], v[8:9]
	v_mul_f64_e32 v[8:9], v[139:140], v[8:9]
	v_add_f64_e32 v[143:144], v[143:144], v[153:154]
	v_add_f64_e32 v[141:142], v[141:142], v[151:152]
	v_fma_f64 v[151:152], v[4:5], v[38:39], v[145:146]
	v_fma_f64 v[38:39], v[2:3], v[38:39], -v[155:156]
	ds_load_b128 v[2:5], v1 offset:1056
	ds_load_b128 v[145:148], v1 offset:1072
	v_fma_f64 v[139:140], v[139:140], v[6:7], v[149:150]
	v_fma_f64 v[137:138], v[137:138], v[6:7], -v[8:9]
	scratch_load_b128 v[6:9], off, off offset:544
	v_add_f64_e32 v[135:136], v[143:144], v[135:136]
	v_add_f64_e32 v[44:45], v[141:142], v[44:45]
	scratch_load_b128 v[141:144], off, off offset:528
	s_wait_loadcnt_dscnt 0x901
	v_mul_f64_e32 v[153:154], v[2:3], v[12:13]
	v_mul_f64_e32 v[12:13], v[4:5], v[12:13]
	s_wait_loadcnt_dscnt 0x800
	v_mul_f64_e32 v[149:150], v[145:146], v[16:17]
	v_mul_f64_e32 v[16:17], v[147:148], v[16:17]
	v_add_f64_e32 v[38:39], v[135:136], v[38:39]
	v_add_f64_e32 v[44:45], v[44:45], v[151:152]
	v_fma_f64 v[151:152], v[4:5], v[10:11], v[153:154]
	v_fma_f64 v[153:154], v[2:3], v[10:11], -v[12:13]
	ds_load_b128 v[2:5], v1 offset:1088
	scratch_load_b128 v[10:13], off, off offset:560
	v_fma_f64 v[147:148], v[147:148], v[14:15], v[149:150]
	v_fma_f64 v[145:146], v[145:146], v[14:15], -v[16:17]
	scratch_load_b128 v[14:17], off, off offset:576
	v_add_f64_e32 v[38:39], v[38:39], v[137:138]
	v_add_f64_e32 v[44:45], v[44:45], v[139:140]
	ds_load_b128 v[135:138], v1 offset:1104
	s_wait_loadcnt_dscnt 0x901
	v_mul_f64_e32 v[139:140], v[2:3], v[20:21]
	v_mul_f64_e32 v[20:21], v[4:5], v[20:21]
	s_wait_loadcnt_dscnt 0x800
	v_mul_f64_e32 v[149:150], v[135:136], v[24:25]
	v_mul_f64_e32 v[24:25], v[137:138], v[24:25]
	v_add_f64_e32 v[38:39], v[38:39], v[153:154]
	v_add_f64_e32 v[44:45], v[44:45], v[151:152]
	v_fma_f64 v[139:140], v[4:5], v[18:19], v[139:140]
	v_fma_f64 v[151:152], v[2:3], v[18:19], -v[20:21]
	ds_load_b128 v[2:5], v1 offset:1120
	scratch_load_b128 v[18:21], off, off offset:592
	v_fma_f64 v[137:138], v[137:138], v[22:23], v[149:150]
	v_fma_f64 v[135:136], v[135:136], v[22:23], -v[24:25]
	scratch_load_b128 v[22:25], off, off offset:608
	v_add_f64_e32 v[38:39], v[38:39], v[145:146]
	v_add_f64_e32 v[44:45], v[44:45], v[147:148]
	ds_load_b128 v[145:148], v1 offset:1136
	s_wait_loadcnt_dscnt 0x901
	v_mul_f64_e32 v[153:154], v[2:3], v[28:29]
	v_mul_f64_e32 v[28:29], v[4:5], v[28:29]
	v_add_f64_e32 v[38:39], v[38:39], v[151:152]
	v_add_f64_e32 v[44:45], v[44:45], v[139:140]
	s_wait_loadcnt_dscnt 0x800
	v_mul_f64_e32 v[139:140], v[145:146], v[32:33]
	v_mul_f64_e32 v[32:33], v[147:148], v[32:33]
	v_fma_f64 v[149:150], v[4:5], v[26:27], v[153:154]
	v_fma_f64 v[151:152], v[2:3], v[26:27], -v[28:29]
	ds_load_b128 v[2:5], v1 offset:1152
	scratch_load_b128 v[26:29], off, off offset:624
	v_add_f64_e32 v[38:39], v[38:39], v[135:136]
	v_add_f64_e32 v[44:45], v[44:45], v[137:138]
	ds_load_b128 v[135:138], v1 offset:1168
	s_wait_loadcnt_dscnt 0x801
	v_mul_f64_e32 v[153:154], v[2:3], v[36:37]
	v_mul_f64_e32 v[36:37], v[4:5], v[36:37]
	v_fma_f64 v[139:140], v[147:148], v[30:31], v[139:140]
	v_fma_f64 v[145:146], v[145:146], v[30:31], -v[32:33]
	scratch_load_b128 v[30:33], off, off offset:640
	s_wait_loadcnt_dscnt 0x800
	v_mul_f64_e32 v[147:148], v[135:136], v[42:43]
	v_add_f64_e32 v[38:39], v[38:39], v[151:152]
	v_add_f64_e32 v[44:45], v[44:45], v[149:150]
	v_mul_f64_e32 v[149:150], v[137:138], v[42:43]
	v_fma_f64 v[151:152], v[4:5], v[34:35], v[153:154]
	v_fma_f64 v[153:154], v[2:3], v[34:35], -v[36:37]
	ds_load_b128 v[2:5], v1 offset:1184
	scratch_load_b128 v[34:37], off, off offset:656
	v_fma_f64 v[137:138], v[137:138], v[40:41], v[147:148]
	v_add_f64_e32 v[38:39], v[38:39], v[145:146]
	v_add_f64_e32 v[139:140], v[44:45], v[139:140]
	ds_load_b128 v[42:45], v1 offset:1200
	v_fma_f64 v[135:136], v[135:136], v[40:41], -v[149:150]
	s_wait_loadcnt_dscnt 0x701
	v_mul_f64_e32 v[145:146], v[2:3], v[143:144]
	v_mul_f64_e32 v[143:144], v[4:5], v[143:144]
	s_wait_dscnt 0x0
	v_mul_f64_e32 v[149:150], v[42:43], v[8:9]
	v_mul_f64_e32 v[8:9], v[44:45], v[8:9]
	v_add_f64_e32 v[147:148], v[38:39], v[153:154]
	v_add_f64_e32 v[139:140], v[139:140], v[151:152]
	scratch_load_b128 v[38:41], off, off offset:672
	v_fma_f64 v[145:146], v[4:5], v[141:142], v[145:146]
	v_fma_f64 v[141:142], v[2:3], v[141:142], -v[143:144]
	v_fma_f64 v[44:45], v[44:45], v[6:7], v[149:150]
	v_fma_f64 v[6:7], v[42:43], v[6:7], -v[8:9]
	v_add_f64_e32 v[143:144], v[147:148], v[135:136]
	v_add_f64_e32 v[139:140], v[139:140], v[137:138]
	ds_load_b128 v[2:5], v1 offset:1216
	ds_load_b128 v[135:138], v1 offset:1232
	s_wait_loadcnt_dscnt 0x701
	v_mul_f64_e32 v[147:148], v[2:3], v[12:13]
	v_mul_f64_e32 v[12:13], v[4:5], v[12:13]
	v_add_f64_e32 v[8:9], v[143:144], v[141:142]
	v_add_f64_e32 v[42:43], v[139:140], v[145:146]
	s_wait_loadcnt_dscnt 0x600
	v_mul_f64_e32 v[139:140], v[135:136], v[16:17]
	v_mul_f64_e32 v[16:17], v[137:138], v[16:17]
	v_fma_f64 v[141:142], v[4:5], v[10:11], v[147:148]
	v_fma_f64 v[10:11], v[2:3], v[10:11], -v[12:13]
	v_add_f64_e32 v[12:13], v[8:9], v[6:7]
	v_add_f64_e32 v[42:43], v[42:43], v[44:45]
	ds_load_b128 v[2:5], v1 offset:1248
	ds_load_b128 v[6:9], v1 offset:1264
	v_fma_f64 v[137:138], v[137:138], v[14:15], v[139:140]
	v_fma_f64 v[14:15], v[135:136], v[14:15], -v[16:17]
	s_wait_loadcnt_dscnt 0x501
	v_mul_f64_e32 v[44:45], v[2:3], v[20:21]
	v_mul_f64_e32 v[20:21], v[4:5], v[20:21]
	s_wait_loadcnt_dscnt 0x400
	v_mul_f64_e32 v[16:17], v[6:7], v[24:25]
	v_mul_f64_e32 v[24:25], v[8:9], v[24:25]
	v_add_f64_e32 v[10:11], v[12:13], v[10:11]
	v_add_f64_e32 v[12:13], v[42:43], v[141:142]
	v_fma_f64 v[42:43], v[4:5], v[18:19], v[44:45]
	v_fma_f64 v[18:19], v[2:3], v[18:19], -v[20:21]
	v_fma_f64 v[8:9], v[8:9], v[22:23], v[16:17]
	v_fma_f64 v[6:7], v[6:7], v[22:23], -v[24:25]
	v_add_f64_e32 v[14:15], v[10:11], v[14:15]
	v_add_f64_e32 v[20:21], v[12:13], v[137:138]
	ds_load_b128 v[2:5], v1 offset:1280
	ds_load_b128 v[10:13], v1 offset:1296
	s_wait_loadcnt_dscnt 0x301
	v_mul_f64_e32 v[44:45], v[2:3], v[28:29]
	v_mul_f64_e32 v[28:29], v[4:5], v[28:29]
	v_add_f64_e32 v[14:15], v[14:15], v[18:19]
	v_add_f64_e32 v[16:17], v[20:21], v[42:43]
	s_wait_loadcnt_dscnt 0x200
	v_mul_f64_e32 v[18:19], v[10:11], v[32:33]
	v_mul_f64_e32 v[20:21], v[12:13], v[32:33]
	v_fma_f64 v[22:23], v[4:5], v[26:27], v[44:45]
	v_fma_f64 v[24:25], v[2:3], v[26:27], -v[28:29]
	v_add_f64_e32 v[14:15], v[14:15], v[6:7]
	v_add_f64_e32 v[16:17], v[16:17], v[8:9]
	ds_load_b128 v[2:5], v1 offset:1312
	ds_load_b128 v[6:9], v1 offset:1328
	v_fma_f64 v[12:13], v[12:13], v[30:31], v[18:19]
	v_fma_f64 v[10:11], v[10:11], v[30:31], -v[20:21]
	s_wait_loadcnt_dscnt 0x101
	v_mul_f64_e32 v[26:27], v[2:3], v[36:37]
	v_mul_f64_e32 v[28:29], v[4:5], v[36:37]
	v_add_f64_e32 v[14:15], v[14:15], v[24:25]
	v_add_f64_e32 v[16:17], v[16:17], v[22:23]
	s_wait_loadcnt_dscnt 0x0
	v_mul_f64_e32 v[18:19], v[6:7], v[40:41]
	v_mul_f64_e32 v[20:21], v[8:9], v[40:41]
	v_fma_f64 v[4:5], v[4:5], v[34:35], v[26:27]
	v_fma_f64 v[1:2], v[2:3], v[34:35], -v[28:29]
	v_add_f64_e32 v[10:11], v[14:15], v[10:11]
	v_add_f64_e32 v[12:13], v[16:17], v[12:13]
	v_fma_f64 v[8:9], v[8:9], v[38:39], v[18:19]
	v_fma_f64 v[6:7], v[6:7], v[38:39], -v[20:21]
	s_delay_alu instid0(VALU_DEP_4) | instskip(NEXT) | instid1(VALU_DEP_4)
	v_add_f64_e32 v[1:2], v[10:11], v[1:2]
	v_add_f64_e32 v[3:4], v[12:13], v[4:5]
	s_delay_alu instid0(VALU_DEP_2) | instskip(NEXT) | instid1(VALU_DEP_2)
	v_add_f64_e32 v[1:2], v[1:2], v[6:7]
	v_add_f64_e32 v[3:4], v[3:4], v[8:9]
	s_delay_alu instid0(VALU_DEP_2) | instskip(NEXT) | instid1(VALU_DEP_2)
	v_add_f64_e64 v[1:2], v[131:132], -v[1:2]
	v_add_f64_e64 v[3:4], v[133:134], -v[3:4]
	scratch_store_b128 off, v[1:4], off offset:192
	v_cmpx_lt_u32_e32 10, v0
	s_cbranch_execz .LBB105_245
; %bb.244:
	scratch_load_b128 v[1:4], off, s33
	v_mov_b32_e32 v5, 0
	s_delay_alu instid0(VALU_DEP_1)
	v_dual_mov_b32 v6, v5 :: v_dual_mov_b32 v7, v5
	v_mov_b32_e32 v8, v5
	scratch_store_b128 off, v[5:8], off offset:176
	s_wait_loadcnt 0x0
	ds_store_b128 v130, v[1:4]
.LBB105_245:
	s_wait_alu 0xfffe
	s_or_b32 exec_lo, exec_lo, s0
	s_wait_storecnt_dscnt 0x0
	s_barrier_signal -1
	s_barrier_wait -1
	global_inv scope:SCOPE_SE
	s_clause 0x7
	scratch_load_b128 v[2:5], off, off offset:192
	scratch_load_b128 v[6:9], off, off offset:208
	;; [unrolled: 1-line block ×8, first 2 shown]
	v_mov_b32_e32 v1, 0
	s_mov_b32 s0, exec_lo
	ds_load_b128 v[34:37], v1 offset:848
	s_clause 0x1
	scratch_load_b128 v[38:41], off, off offset:320
	scratch_load_b128 v[42:45], off, off offset:176
	ds_load_b128 v[131:134], v1 offset:864
	scratch_load_b128 v[135:138], off, off offset:336
	s_wait_loadcnt_dscnt 0xa01
	v_mul_f64_e32 v[139:140], v[36:37], v[4:5]
	v_mul_f64_e32 v[4:5], v[34:35], v[4:5]
	s_delay_alu instid0(VALU_DEP_2) | instskip(NEXT) | instid1(VALU_DEP_2)
	v_fma_f64 v[145:146], v[34:35], v[2:3], -v[139:140]
	v_fma_f64 v[147:148], v[36:37], v[2:3], v[4:5]
	ds_load_b128 v[2:5], v1 offset:880
	s_wait_loadcnt_dscnt 0x901
	v_mul_f64_e32 v[143:144], v[131:132], v[8:9]
	v_mul_f64_e32 v[8:9], v[133:134], v[8:9]
	scratch_load_b128 v[34:37], off, off offset:352
	ds_load_b128 v[139:142], v1 offset:896
	s_wait_loadcnt_dscnt 0x901
	v_mul_f64_e32 v[149:150], v[2:3], v[12:13]
	v_mul_f64_e32 v[12:13], v[4:5], v[12:13]
	v_fma_f64 v[133:134], v[133:134], v[6:7], v[143:144]
	v_fma_f64 v[131:132], v[131:132], v[6:7], -v[8:9]
	v_add_f64_e32 v[143:144], 0, v[145:146]
	v_add_f64_e32 v[145:146], 0, v[147:148]
	scratch_load_b128 v[6:9], off, off offset:368
	v_fma_f64 v[149:150], v[4:5], v[10:11], v[149:150]
	v_fma_f64 v[151:152], v[2:3], v[10:11], -v[12:13]
	ds_load_b128 v[2:5], v1 offset:912
	s_wait_loadcnt_dscnt 0x901
	v_mul_f64_e32 v[147:148], v[139:140], v[16:17]
	v_mul_f64_e32 v[16:17], v[141:142], v[16:17]
	scratch_load_b128 v[10:13], off, off offset:384
	v_add_f64_e32 v[143:144], v[143:144], v[131:132]
	v_add_f64_e32 v[145:146], v[145:146], v[133:134]
	s_wait_loadcnt_dscnt 0x900
	v_mul_f64_e32 v[153:154], v[2:3], v[20:21]
	v_mul_f64_e32 v[20:21], v[4:5], v[20:21]
	ds_load_b128 v[131:134], v1 offset:928
	v_fma_f64 v[141:142], v[141:142], v[14:15], v[147:148]
	v_fma_f64 v[139:140], v[139:140], v[14:15], -v[16:17]
	scratch_load_b128 v[14:17], off, off offset:400
	v_add_f64_e32 v[143:144], v[143:144], v[151:152]
	v_add_f64_e32 v[145:146], v[145:146], v[149:150]
	v_fma_f64 v[149:150], v[4:5], v[18:19], v[153:154]
	v_fma_f64 v[151:152], v[2:3], v[18:19], -v[20:21]
	ds_load_b128 v[2:5], v1 offset:944
	s_wait_loadcnt_dscnt 0x901
	v_mul_f64_e32 v[147:148], v[131:132], v[24:25]
	v_mul_f64_e32 v[24:25], v[133:134], v[24:25]
	scratch_load_b128 v[18:21], off, off offset:416
	s_wait_loadcnt_dscnt 0x900
	v_mul_f64_e32 v[153:154], v[2:3], v[28:29]
	v_mul_f64_e32 v[28:29], v[4:5], v[28:29]
	v_add_f64_e32 v[143:144], v[143:144], v[139:140]
	v_add_f64_e32 v[145:146], v[145:146], v[141:142]
	ds_load_b128 v[139:142], v1 offset:960
	v_fma_f64 v[133:134], v[133:134], v[22:23], v[147:148]
	v_fma_f64 v[131:132], v[131:132], v[22:23], -v[24:25]
	scratch_load_b128 v[22:25], off, off offset:432
	v_add_f64_e32 v[143:144], v[143:144], v[151:152]
	v_add_f64_e32 v[145:146], v[145:146], v[149:150]
	v_fma_f64 v[149:150], v[4:5], v[26:27], v[153:154]
	v_fma_f64 v[151:152], v[2:3], v[26:27], -v[28:29]
	ds_load_b128 v[2:5], v1 offset:976
	s_wait_loadcnt_dscnt 0x901
	v_mul_f64_e32 v[147:148], v[139:140], v[32:33]
	v_mul_f64_e32 v[32:33], v[141:142], v[32:33]
	scratch_load_b128 v[26:29], off, off offset:448
	s_wait_loadcnt_dscnt 0x900
	v_mul_f64_e32 v[153:154], v[2:3], v[40:41]
	v_mul_f64_e32 v[40:41], v[4:5], v[40:41]
	v_add_f64_e32 v[143:144], v[143:144], v[131:132]
	v_add_f64_e32 v[145:146], v[145:146], v[133:134]
	ds_load_b128 v[131:134], v1 offset:992
	v_fma_f64 v[141:142], v[141:142], v[30:31], v[147:148]
	v_fma_f64 v[139:140], v[139:140], v[30:31], -v[32:33]
	scratch_load_b128 v[30:33], off, off offset:464
	v_add_f64_e32 v[143:144], v[143:144], v[151:152]
	v_add_f64_e32 v[145:146], v[145:146], v[149:150]
	v_fma_f64 v[151:152], v[4:5], v[38:39], v[153:154]
	v_fma_f64 v[153:154], v[2:3], v[38:39], -v[40:41]
	ds_load_b128 v[2:5], v1 offset:1008
	s_wait_loadcnt_dscnt 0x801
	v_mul_f64_e32 v[147:148], v[131:132], v[137:138]
	v_mul_f64_e32 v[149:150], v[133:134], v[137:138]
	scratch_load_b128 v[38:41], off, off offset:480
	v_add_f64_e32 v[143:144], v[143:144], v[139:140]
	v_add_f64_e32 v[141:142], v[145:146], v[141:142]
	ds_load_b128 v[137:140], v1 offset:1024
	v_fma_f64 v[147:148], v[133:134], v[135:136], v[147:148]
	v_fma_f64 v[135:136], v[131:132], v[135:136], -v[149:150]
	scratch_load_b128 v[131:134], off, off offset:496
	s_wait_loadcnt_dscnt 0x901
	v_mul_f64_e32 v[145:146], v[2:3], v[36:37]
	v_mul_f64_e32 v[36:37], v[4:5], v[36:37]
	v_add_f64_e32 v[143:144], v[143:144], v[153:154]
	v_add_f64_e32 v[141:142], v[141:142], v[151:152]
	s_delay_alu instid0(VALU_DEP_4) | instskip(NEXT) | instid1(VALU_DEP_4)
	v_fma_f64 v[145:146], v[4:5], v[34:35], v[145:146]
	v_fma_f64 v[151:152], v[2:3], v[34:35], -v[36:37]
	ds_load_b128 v[2:5], v1 offset:1040
	s_wait_loadcnt_dscnt 0x801
	v_mul_f64_e32 v[149:150], v[137:138], v[8:9]
	v_mul_f64_e32 v[8:9], v[139:140], v[8:9]
	scratch_load_b128 v[34:37], off, off offset:512
	s_wait_loadcnt_dscnt 0x800
	v_mul_f64_e32 v[153:154], v[2:3], v[12:13]
	v_add_f64_e32 v[135:136], v[143:144], v[135:136]
	v_add_f64_e32 v[147:148], v[141:142], v[147:148]
	v_mul_f64_e32 v[12:13], v[4:5], v[12:13]
	ds_load_b128 v[141:144], v1 offset:1056
	v_fma_f64 v[139:140], v[139:140], v[6:7], v[149:150]
	v_fma_f64 v[137:138], v[137:138], v[6:7], -v[8:9]
	scratch_load_b128 v[6:9], off, off offset:528
	v_fma_f64 v[149:150], v[4:5], v[10:11], v[153:154]
	v_add_f64_e32 v[135:136], v[135:136], v[151:152]
	v_add_f64_e32 v[145:146], v[147:148], v[145:146]
	v_fma_f64 v[151:152], v[2:3], v[10:11], -v[12:13]
	ds_load_b128 v[2:5], v1 offset:1072
	s_wait_loadcnt_dscnt 0x801
	v_mul_f64_e32 v[147:148], v[141:142], v[16:17]
	v_mul_f64_e32 v[16:17], v[143:144], v[16:17]
	scratch_load_b128 v[10:13], off, off offset:544
	v_add_f64_e32 v[153:154], v[135:136], v[137:138]
	v_add_f64_e32 v[139:140], v[145:146], v[139:140]
	s_wait_loadcnt_dscnt 0x800
	v_mul_f64_e32 v[145:146], v[2:3], v[20:21]
	v_mul_f64_e32 v[20:21], v[4:5], v[20:21]
	v_fma_f64 v[143:144], v[143:144], v[14:15], v[147:148]
	v_fma_f64 v[141:142], v[141:142], v[14:15], -v[16:17]
	ds_load_b128 v[135:138], v1 offset:1088
	scratch_load_b128 v[14:17], off, off offset:560
	v_add_f64_e32 v[147:148], v[153:154], v[151:152]
	v_add_f64_e32 v[139:140], v[139:140], v[149:150]
	v_fma_f64 v[145:146], v[4:5], v[18:19], v[145:146]
	v_fma_f64 v[151:152], v[2:3], v[18:19], -v[20:21]
	ds_load_b128 v[2:5], v1 offset:1104
	s_wait_loadcnt_dscnt 0x801
	v_mul_f64_e32 v[149:150], v[135:136], v[24:25]
	v_mul_f64_e32 v[24:25], v[137:138], v[24:25]
	scratch_load_b128 v[18:21], off, off offset:576
	s_wait_loadcnt_dscnt 0x800
	v_mul_f64_e32 v[153:154], v[2:3], v[28:29]
	v_mul_f64_e32 v[28:29], v[4:5], v[28:29]
	v_add_f64_e32 v[147:148], v[147:148], v[141:142]
	v_add_f64_e32 v[143:144], v[139:140], v[143:144]
	ds_load_b128 v[139:142], v1 offset:1120
	v_fma_f64 v[137:138], v[137:138], v[22:23], v[149:150]
	v_fma_f64 v[135:136], v[135:136], v[22:23], -v[24:25]
	scratch_load_b128 v[22:25], off, off offset:592
	v_fma_f64 v[149:150], v[4:5], v[26:27], v[153:154]
	v_add_f64_e32 v[147:148], v[147:148], v[151:152]
	v_add_f64_e32 v[143:144], v[143:144], v[145:146]
	v_fma_f64 v[151:152], v[2:3], v[26:27], -v[28:29]
	ds_load_b128 v[2:5], v1 offset:1136
	s_wait_loadcnt_dscnt 0x801
	v_mul_f64_e32 v[145:146], v[139:140], v[32:33]
	v_mul_f64_e32 v[32:33], v[141:142], v[32:33]
	scratch_load_b128 v[26:29], off, off offset:608
	s_wait_loadcnt_dscnt 0x800
	v_mul_f64_e32 v[153:154], v[2:3], v[40:41]
	v_mul_f64_e32 v[40:41], v[4:5], v[40:41]
	v_add_f64_e32 v[147:148], v[147:148], v[135:136]
	v_add_f64_e32 v[143:144], v[143:144], v[137:138]
	ds_load_b128 v[135:138], v1 offset:1152
	v_fma_f64 v[141:142], v[141:142], v[30:31], v[145:146]
	v_fma_f64 v[139:140], v[139:140], v[30:31], -v[32:33]
	scratch_load_b128 v[30:33], off, off offset:624
	v_add_f64_e32 v[145:146], v[147:148], v[151:152]
	v_add_f64_e32 v[143:144], v[143:144], v[149:150]
	v_fma_f64 v[149:150], v[4:5], v[38:39], v[153:154]
	v_fma_f64 v[151:152], v[2:3], v[38:39], -v[40:41]
	ds_load_b128 v[2:5], v1 offset:1168
	s_wait_loadcnt_dscnt 0x801
	v_mul_f64_e32 v[147:148], v[135:136], v[133:134]
	v_mul_f64_e32 v[133:134], v[137:138], v[133:134]
	scratch_load_b128 v[38:41], off, off offset:640
	s_wait_loadcnt_dscnt 0x800
	v_mul_f64_e32 v[153:154], v[2:3], v[36:37]
	v_mul_f64_e32 v[36:37], v[4:5], v[36:37]
	v_add_f64_e32 v[145:146], v[145:146], v[139:140]
	v_add_f64_e32 v[143:144], v[143:144], v[141:142]
	ds_load_b128 v[139:142], v1 offset:1184
	v_fma_f64 v[137:138], v[137:138], v[131:132], v[147:148]
	v_fma_f64 v[135:136], v[135:136], v[131:132], -v[133:134]
	scratch_load_b128 v[131:134], off, off offset:656
	v_add_f64_e32 v[145:146], v[145:146], v[151:152]
	v_add_f64_e32 v[143:144], v[143:144], v[149:150]
	v_fma_f64 v[149:150], v[4:5], v[34:35], v[153:154]
	v_fma_f64 v[151:152], v[2:3], v[34:35], -v[36:37]
	ds_load_b128 v[2:5], v1 offset:1200
	s_wait_loadcnt_dscnt 0x801
	v_mul_f64_e32 v[147:148], v[139:140], v[8:9]
	v_mul_f64_e32 v[8:9], v[141:142], v[8:9]
	scratch_load_b128 v[34:37], off, off offset:672
	s_wait_loadcnt_dscnt 0x800
	v_mul_f64_e32 v[153:154], v[2:3], v[12:13]
	v_mul_f64_e32 v[12:13], v[4:5], v[12:13]
	v_add_f64_e32 v[145:146], v[145:146], v[135:136]
	v_add_f64_e32 v[143:144], v[143:144], v[137:138]
	ds_load_b128 v[135:138], v1 offset:1216
	v_fma_f64 v[141:142], v[141:142], v[6:7], v[147:148]
	v_fma_f64 v[6:7], v[139:140], v[6:7], -v[8:9]
	v_add_f64_e32 v[8:9], v[145:146], v[151:152]
	v_add_f64_e32 v[139:140], v[143:144], v[149:150]
	s_wait_loadcnt_dscnt 0x700
	v_mul_f64_e32 v[143:144], v[135:136], v[16:17]
	v_mul_f64_e32 v[16:17], v[137:138], v[16:17]
	v_fma_f64 v[145:146], v[4:5], v[10:11], v[153:154]
	v_fma_f64 v[10:11], v[2:3], v[10:11], -v[12:13]
	v_add_f64_e32 v[12:13], v[8:9], v[6:7]
	v_add_f64_e32 v[139:140], v[139:140], v[141:142]
	ds_load_b128 v[2:5], v1 offset:1232
	ds_load_b128 v[6:9], v1 offset:1248
	v_fma_f64 v[137:138], v[137:138], v[14:15], v[143:144]
	v_fma_f64 v[14:15], v[135:136], v[14:15], -v[16:17]
	s_wait_loadcnt_dscnt 0x601
	v_mul_f64_e32 v[141:142], v[2:3], v[20:21]
	v_mul_f64_e32 v[20:21], v[4:5], v[20:21]
	s_wait_loadcnt_dscnt 0x500
	v_mul_f64_e32 v[16:17], v[6:7], v[24:25]
	v_mul_f64_e32 v[24:25], v[8:9], v[24:25]
	v_add_f64_e32 v[10:11], v[12:13], v[10:11]
	v_add_f64_e32 v[12:13], v[139:140], v[145:146]
	v_fma_f64 v[135:136], v[4:5], v[18:19], v[141:142]
	v_fma_f64 v[18:19], v[2:3], v[18:19], -v[20:21]
	v_fma_f64 v[8:9], v[8:9], v[22:23], v[16:17]
	v_fma_f64 v[6:7], v[6:7], v[22:23], -v[24:25]
	v_add_f64_e32 v[14:15], v[10:11], v[14:15]
	v_add_f64_e32 v[20:21], v[12:13], v[137:138]
	ds_load_b128 v[2:5], v1 offset:1264
	ds_load_b128 v[10:13], v1 offset:1280
	s_wait_loadcnt_dscnt 0x401
	v_mul_f64_e32 v[137:138], v[2:3], v[28:29]
	v_mul_f64_e32 v[28:29], v[4:5], v[28:29]
	v_add_f64_e32 v[14:15], v[14:15], v[18:19]
	v_add_f64_e32 v[16:17], v[20:21], v[135:136]
	s_wait_loadcnt_dscnt 0x300
	v_mul_f64_e32 v[18:19], v[10:11], v[32:33]
	v_mul_f64_e32 v[20:21], v[12:13], v[32:33]
	v_fma_f64 v[22:23], v[4:5], v[26:27], v[137:138]
	v_fma_f64 v[24:25], v[2:3], v[26:27], -v[28:29]
	v_add_f64_e32 v[14:15], v[14:15], v[6:7]
	v_add_f64_e32 v[16:17], v[16:17], v[8:9]
	ds_load_b128 v[2:5], v1 offset:1296
	ds_load_b128 v[6:9], v1 offset:1312
	v_fma_f64 v[12:13], v[12:13], v[30:31], v[18:19]
	v_fma_f64 v[10:11], v[10:11], v[30:31], -v[20:21]
	s_wait_loadcnt_dscnt 0x201
	v_mul_f64_e32 v[26:27], v[2:3], v[40:41]
	v_mul_f64_e32 v[28:29], v[4:5], v[40:41]
	s_wait_loadcnt_dscnt 0x100
	v_mul_f64_e32 v[18:19], v[6:7], v[133:134]
	v_mul_f64_e32 v[20:21], v[8:9], v[133:134]
	v_add_f64_e32 v[14:15], v[14:15], v[24:25]
	v_add_f64_e32 v[16:17], v[16:17], v[22:23]
	v_fma_f64 v[22:23], v[4:5], v[38:39], v[26:27]
	v_fma_f64 v[24:25], v[2:3], v[38:39], -v[28:29]
	ds_load_b128 v[2:5], v1 offset:1328
	v_fma_f64 v[8:9], v[8:9], v[131:132], v[18:19]
	v_fma_f64 v[6:7], v[6:7], v[131:132], -v[20:21]
	v_add_f64_e32 v[10:11], v[14:15], v[10:11]
	v_add_f64_e32 v[12:13], v[16:17], v[12:13]
	s_wait_loadcnt_dscnt 0x0
	v_mul_f64_e32 v[14:15], v[2:3], v[36:37]
	v_mul_f64_e32 v[16:17], v[4:5], v[36:37]
	s_delay_alu instid0(VALU_DEP_4) | instskip(NEXT) | instid1(VALU_DEP_4)
	v_add_f64_e32 v[10:11], v[10:11], v[24:25]
	v_add_f64_e32 v[12:13], v[12:13], v[22:23]
	s_delay_alu instid0(VALU_DEP_4) | instskip(NEXT) | instid1(VALU_DEP_4)
	v_fma_f64 v[4:5], v[4:5], v[34:35], v[14:15]
	v_fma_f64 v[2:3], v[2:3], v[34:35], -v[16:17]
	s_delay_alu instid0(VALU_DEP_4) | instskip(NEXT) | instid1(VALU_DEP_4)
	v_add_f64_e32 v[6:7], v[10:11], v[6:7]
	v_add_f64_e32 v[8:9], v[12:13], v[8:9]
	s_delay_alu instid0(VALU_DEP_2) | instskip(NEXT) | instid1(VALU_DEP_2)
	v_add_f64_e32 v[2:3], v[6:7], v[2:3]
	v_add_f64_e32 v[4:5], v[8:9], v[4:5]
	s_delay_alu instid0(VALU_DEP_2) | instskip(NEXT) | instid1(VALU_DEP_2)
	v_add_f64_e64 v[2:3], v[42:43], -v[2:3]
	v_add_f64_e64 v[4:5], v[44:45], -v[4:5]
	scratch_store_b128 off, v[2:5], off offset:176
	v_cmpx_lt_u32_e32 9, v0
	s_cbranch_execz .LBB105_247
; %bb.246:
	scratch_load_b128 v[5:8], off, s10
	v_dual_mov_b32 v2, v1 :: v_dual_mov_b32 v3, v1
	v_mov_b32_e32 v4, v1
	scratch_store_b128 off, v[1:4], off offset:160
	s_wait_loadcnt 0x0
	ds_store_b128 v130, v[5:8]
.LBB105_247:
	s_wait_alu 0xfffe
	s_or_b32 exec_lo, exec_lo, s0
	s_wait_storecnt_dscnt 0x0
	s_barrier_signal -1
	s_barrier_wait -1
	global_inv scope:SCOPE_SE
	s_clause 0x8
	scratch_load_b128 v[2:5], off, off offset:176
	scratch_load_b128 v[6:9], off, off offset:192
	;; [unrolled: 1-line block ×9, first 2 shown]
	ds_load_b128 v[38:41], v1 offset:832
	ds_load_b128 v[42:45], v1 offset:848
	s_clause 0x1
	scratch_load_b128 v[131:134], off, off offset:160
	scratch_load_b128 v[135:138], off, off offset:320
	s_mov_b32 s0, exec_lo
	s_wait_loadcnt_dscnt 0xa01
	v_mul_f64_e32 v[139:140], v[40:41], v[4:5]
	v_mul_f64_e32 v[4:5], v[38:39], v[4:5]
	s_wait_loadcnt_dscnt 0x900
	v_mul_f64_e32 v[143:144], v[42:43], v[8:9]
	v_mul_f64_e32 v[8:9], v[44:45], v[8:9]
	s_delay_alu instid0(VALU_DEP_4) | instskip(NEXT) | instid1(VALU_DEP_4)
	v_fma_f64 v[145:146], v[38:39], v[2:3], -v[139:140]
	v_fma_f64 v[147:148], v[40:41], v[2:3], v[4:5]
	ds_load_b128 v[2:5], v1 offset:864
	ds_load_b128 v[139:142], v1 offset:880
	scratch_load_b128 v[38:41], off, off offset:336
	v_fma_f64 v[44:45], v[44:45], v[6:7], v[143:144]
	v_fma_f64 v[42:43], v[42:43], v[6:7], -v[8:9]
	scratch_load_b128 v[6:9], off, off offset:352
	s_wait_loadcnt_dscnt 0xa01
	v_mul_f64_e32 v[149:150], v[2:3], v[12:13]
	v_mul_f64_e32 v[12:13], v[4:5], v[12:13]
	v_add_f64_e32 v[143:144], 0, v[145:146]
	v_add_f64_e32 v[145:146], 0, v[147:148]
	s_wait_loadcnt_dscnt 0x900
	v_mul_f64_e32 v[147:148], v[139:140], v[16:17]
	v_mul_f64_e32 v[16:17], v[141:142], v[16:17]
	v_fma_f64 v[149:150], v[4:5], v[10:11], v[149:150]
	v_fma_f64 v[151:152], v[2:3], v[10:11], -v[12:13]
	ds_load_b128 v[2:5], v1 offset:896
	scratch_load_b128 v[10:13], off, off offset:368
	v_add_f64_e32 v[143:144], v[143:144], v[42:43]
	v_add_f64_e32 v[145:146], v[145:146], v[44:45]
	ds_load_b128 v[42:45], v1 offset:912
	v_fma_f64 v[141:142], v[141:142], v[14:15], v[147:148]
	v_fma_f64 v[139:140], v[139:140], v[14:15], -v[16:17]
	scratch_load_b128 v[14:17], off, off offset:384
	s_wait_loadcnt_dscnt 0xa01
	v_mul_f64_e32 v[153:154], v[2:3], v[20:21]
	v_mul_f64_e32 v[20:21], v[4:5], v[20:21]
	s_wait_loadcnt_dscnt 0x900
	v_mul_f64_e32 v[147:148], v[42:43], v[24:25]
	v_mul_f64_e32 v[24:25], v[44:45], v[24:25]
	v_add_f64_e32 v[143:144], v[143:144], v[151:152]
	v_add_f64_e32 v[145:146], v[145:146], v[149:150]
	v_fma_f64 v[149:150], v[4:5], v[18:19], v[153:154]
	v_fma_f64 v[151:152], v[2:3], v[18:19], -v[20:21]
	ds_load_b128 v[2:5], v1 offset:928
	scratch_load_b128 v[18:21], off, off offset:400
	v_fma_f64 v[44:45], v[44:45], v[22:23], v[147:148]
	v_fma_f64 v[42:43], v[42:43], v[22:23], -v[24:25]
	scratch_load_b128 v[22:25], off, off offset:416
	v_add_f64_e32 v[143:144], v[143:144], v[139:140]
	v_add_f64_e32 v[145:146], v[145:146], v[141:142]
	ds_load_b128 v[139:142], v1 offset:944
	s_wait_loadcnt_dscnt 0xa01
	v_mul_f64_e32 v[153:154], v[2:3], v[28:29]
	v_mul_f64_e32 v[28:29], v[4:5], v[28:29]
	s_wait_loadcnt_dscnt 0x900
	v_mul_f64_e32 v[147:148], v[139:140], v[32:33]
	v_mul_f64_e32 v[32:33], v[141:142], v[32:33]
	v_add_f64_e32 v[143:144], v[143:144], v[151:152]
	v_add_f64_e32 v[145:146], v[145:146], v[149:150]
	v_fma_f64 v[149:150], v[4:5], v[26:27], v[153:154]
	v_fma_f64 v[151:152], v[2:3], v[26:27], -v[28:29]
	ds_load_b128 v[2:5], v1 offset:960
	scratch_load_b128 v[26:29], off, off offset:432
	v_fma_f64 v[141:142], v[141:142], v[30:31], v[147:148]
	v_fma_f64 v[139:140], v[139:140], v[30:31], -v[32:33]
	scratch_load_b128 v[30:33], off, off offset:448
	v_add_f64_e32 v[143:144], v[143:144], v[42:43]
	v_add_f64_e32 v[145:146], v[145:146], v[44:45]
	ds_load_b128 v[42:45], v1 offset:976
	s_wait_loadcnt_dscnt 0xa01
	v_mul_f64_e32 v[153:154], v[2:3], v[36:37]
	v_mul_f64_e32 v[36:37], v[4:5], v[36:37]
	s_wait_loadcnt_dscnt 0x800
	v_mul_f64_e32 v[147:148], v[42:43], v[137:138]
	v_add_f64_e32 v[143:144], v[143:144], v[151:152]
	v_add_f64_e32 v[145:146], v[145:146], v[149:150]
	v_mul_f64_e32 v[149:150], v[44:45], v[137:138]
	v_fma_f64 v[151:152], v[4:5], v[34:35], v[153:154]
	v_fma_f64 v[153:154], v[2:3], v[34:35], -v[36:37]
	ds_load_b128 v[2:5], v1 offset:992
	scratch_load_b128 v[34:37], off, off offset:464
	v_fma_f64 v[44:45], v[44:45], v[135:136], v[147:148]
	v_add_f64_e32 v[143:144], v[143:144], v[139:140]
	v_add_f64_e32 v[141:142], v[145:146], v[141:142]
	ds_load_b128 v[137:140], v1 offset:1008
	v_fma_f64 v[135:136], v[42:43], v[135:136], -v[149:150]
	s_wait_loadcnt_dscnt 0x801
	v_mul_f64_e32 v[145:146], v[2:3], v[40:41]
	v_mul_f64_e32 v[155:156], v[4:5], v[40:41]
	scratch_load_b128 v[40:43], off, off offset:480
	s_wait_loadcnt_dscnt 0x800
	v_mul_f64_e32 v[149:150], v[137:138], v[8:9]
	v_mul_f64_e32 v[8:9], v[139:140], v[8:9]
	v_add_f64_e32 v[143:144], v[143:144], v[153:154]
	v_add_f64_e32 v[141:142], v[141:142], v[151:152]
	v_fma_f64 v[151:152], v[4:5], v[38:39], v[145:146]
	v_fma_f64 v[38:39], v[2:3], v[38:39], -v[155:156]
	ds_load_b128 v[2:5], v1 offset:1024
	ds_load_b128 v[145:148], v1 offset:1040
	v_fma_f64 v[139:140], v[139:140], v[6:7], v[149:150]
	v_fma_f64 v[137:138], v[137:138], v[6:7], -v[8:9]
	scratch_load_b128 v[6:9], off, off offset:512
	v_add_f64_e32 v[135:136], v[143:144], v[135:136]
	v_add_f64_e32 v[44:45], v[141:142], v[44:45]
	scratch_load_b128 v[141:144], off, off offset:496
	s_wait_loadcnt_dscnt 0x901
	v_mul_f64_e32 v[153:154], v[2:3], v[12:13]
	v_mul_f64_e32 v[12:13], v[4:5], v[12:13]
	s_wait_loadcnt_dscnt 0x800
	v_mul_f64_e32 v[149:150], v[145:146], v[16:17]
	v_mul_f64_e32 v[16:17], v[147:148], v[16:17]
	v_add_f64_e32 v[38:39], v[135:136], v[38:39]
	v_add_f64_e32 v[44:45], v[44:45], v[151:152]
	v_fma_f64 v[151:152], v[4:5], v[10:11], v[153:154]
	v_fma_f64 v[153:154], v[2:3], v[10:11], -v[12:13]
	ds_load_b128 v[2:5], v1 offset:1056
	scratch_load_b128 v[10:13], off, off offset:528
	v_fma_f64 v[147:148], v[147:148], v[14:15], v[149:150]
	v_fma_f64 v[145:146], v[145:146], v[14:15], -v[16:17]
	scratch_load_b128 v[14:17], off, off offset:544
	v_add_f64_e32 v[38:39], v[38:39], v[137:138]
	v_add_f64_e32 v[44:45], v[44:45], v[139:140]
	ds_load_b128 v[135:138], v1 offset:1072
	s_wait_loadcnt_dscnt 0x901
	v_mul_f64_e32 v[139:140], v[2:3], v[20:21]
	v_mul_f64_e32 v[20:21], v[4:5], v[20:21]
	s_wait_loadcnt_dscnt 0x800
	v_mul_f64_e32 v[149:150], v[135:136], v[24:25]
	v_mul_f64_e32 v[24:25], v[137:138], v[24:25]
	v_add_f64_e32 v[38:39], v[38:39], v[153:154]
	v_add_f64_e32 v[44:45], v[44:45], v[151:152]
	v_fma_f64 v[139:140], v[4:5], v[18:19], v[139:140]
	v_fma_f64 v[151:152], v[2:3], v[18:19], -v[20:21]
	ds_load_b128 v[2:5], v1 offset:1088
	scratch_load_b128 v[18:21], off, off offset:560
	v_fma_f64 v[137:138], v[137:138], v[22:23], v[149:150]
	v_fma_f64 v[135:136], v[135:136], v[22:23], -v[24:25]
	scratch_load_b128 v[22:25], off, off offset:576
	v_add_f64_e32 v[38:39], v[38:39], v[145:146]
	v_add_f64_e32 v[44:45], v[44:45], v[147:148]
	ds_load_b128 v[145:148], v1 offset:1104
	s_wait_loadcnt_dscnt 0x901
	v_mul_f64_e32 v[153:154], v[2:3], v[28:29]
	v_mul_f64_e32 v[28:29], v[4:5], v[28:29]
	v_add_f64_e32 v[38:39], v[38:39], v[151:152]
	v_add_f64_e32 v[44:45], v[44:45], v[139:140]
	s_wait_loadcnt_dscnt 0x800
	v_mul_f64_e32 v[139:140], v[145:146], v[32:33]
	v_mul_f64_e32 v[32:33], v[147:148], v[32:33]
	v_fma_f64 v[149:150], v[4:5], v[26:27], v[153:154]
	v_fma_f64 v[151:152], v[2:3], v[26:27], -v[28:29]
	ds_load_b128 v[2:5], v1 offset:1120
	scratch_load_b128 v[26:29], off, off offset:592
	v_add_f64_e32 v[38:39], v[38:39], v[135:136]
	v_add_f64_e32 v[44:45], v[44:45], v[137:138]
	ds_load_b128 v[135:138], v1 offset:1136
	s_wait_loadcnt_dscnt 0x801
	v_mul_f64_e32 v[153:154], v[2:3], v[36:37]
	v_mul_f64_e32 v[36:37], v[4:5], v[36:37]
	v_fma_f64 v[139:140], v[147:148], v[30:31], v[139:140]
	v_fma_f64 v[145:146], v[145:146], v[30:31], -v[32:33]
	scratch_load_b128 v[30:33], off, off offset:608
	s_wait_loadcnt_dscnt 0x800
	v_mul_f64_e32 v[147:148], v[135:136], v[42:43]
	v_add_f64_e32 v[38:39], v[38:39], v[151:152]
	v_add_f64_e32 v[44:45], v[44:45], v[149:150]
	v_mul_f64_e32 v[149:150], v[137:138], v[42:43]
	v_fma_f64 v[151:152], v[4:5], v[34:35], v[153:154]
	v_fma_f64 v[153:154], v[2:3], v[34:35], -v[36:37]
	ds_load_b128 v[2:5], v1 offset:1152
	scratch_load_b128 v[34:37], off, off offset:624
	v_fma_f64 v[137:138], v[137:138], v[40:41], v[147:148]
	v_add_f64_e32 v[38:39], v[38:39], v[145:146]
	v_add_f64_e32 v[139:140], v[44:45], v[139:140]
	ds_load_b128 v[42:45], v1 offset:1168
	v_fma_f64 v[135:136], v[135:136], v[40:41], -v[149:150]
	s_wait_loadcnt_dscnt 0x701
	v_mul_f64_e32 v[145:146], v[2:3], v[143:144]
	v_mul_f64_e32 v[143:144], v[4:5], v[143:144]
	s_wait_dscnt 0x0
	v_mul_f64_e32 v[149:150], v[42:43], v[8:9]
	v_mul_f64_e32 v[8:9], v[44:45], v[8:9]
	v_add_f64_e32 v[147:148], v[38:39], v[153:154]
	v_add_f64_e32 v[139:140], v[139:140], v[151:152]
	scratch_load_b128 v[38:41], off, off offset:640
	v_fma_f64 v[145:146], v[4:5], v[141:142], v[145:146]
	v_fma_f64 v[143:144], v[2:3], v[141:142], -v[143:144]
	ds_load_b128 v[2:5], v1 offset:1184
	v_fma_f64 v[44:45], v[44:45], v[6:7], v[149:150]
	v_fma_f64 v[42:43], v[42:43], v[6:7], -v[8:9]
	scratch_load_b128 v[6:9], off, off offset:672
	v_add_f64_e32 v[147:148], v[147:148], v[135:136]
	v_add_f64_e32 v[151:152], v[139:140], v[137:138]
	scratch_load_b128 v[135:138], off, off offset:656
	ds_load_b128 v[139:142], v1 offset:1200
	s_wait_loadcnt_dscnt 0x901
	v_mul_f64_e32 v[153:154], v[2:3], v[12:13]
	v_mul_f64_e32 v[12:13], v[4:5], v[12:13]
	v_add_f64_e32 v[143:144], v[147:148], v[143:144]
	v_add_f64_e32 v[145:146], v[151:152], v[145:146]
	s_wait_loadcnt_dscnt 0x800
	v_mul_f64_e32 v[147:148], v[139:140], v[16:17]
	v_mul_f64_e32 v[16:17], v[141:142], v[16:17]
	v_fma_f64 v[149:150], v[4:5], v[10:11], v[153:154]
	v_fma_f64 v[151:152], v[2:3], v[10:11], -v[12:13]
	ds_load_b128 v[2:5], v1 offset:1216
	ds_load_b128 v[10:13], v1 offset:1232
	v_add_f64_e32 v[42:43], v[143:144], v[42:43]
	v_add_f64_e32 v[44:45], v[145:146], v[44:45]
	s_wait_loadcnt_dscnt 0x701
	v_mul_f64_e32 v[143:144], v[2:3], v[20:21]
	v_mul_f64_e32 v[20:21], v[4:5], v[20:21]
	v_fma_f64 v[141:142], v[141:142], v[14:15], v[147:148]
	v_fma_f64 v[14:15], v[139:140], v[14:15], -v[16:17]
	v_add_f64_e32 v[16:17], v[42:43], v[151:152]
	v_add_f64_e32 v[42:43], v[44:45], v[149:150]
	s_wait_loadcnt_dscnt 0x600
	v_mul_f64_e32 v[44:45], v[10:11], v[24:25]
	v_mul_f64_e32 v[24:25], v[12:13], v[24:25]
	v_fma_f64 v[139:140], v[4:5], v[18:19], v[143:144]
	v_fma_f64 v[18:19], v[2:3], v[18:19], -v[20:21]
	v_add_f64_e32 v[20:21], v[16:17], v[14:15]
	v_add_f64_e32 v[42:43], v[42:43], v[141:142]
	ds_load_b128 v[2:5], v1 offset:1248
	ds_load_b128 v[14:17], v1 offset:1264
	v_fma_f64 v[12:13], v[12:13], v[22:23], v[44:45]
	v_fma_f64 v[10:11], v[10:11], v[22:23], -v[24:25]
	s_wait_loadcnt_dscnt 0x501
	v_mul_f64_e32 v[141:142], v[2:3], v[28:29]
	v_mul_f64_e32 v[28:29], v[4:5], v[28:29]
	s_wait_loadcnt_dscnt 0x400
	v_mul_f64_e32 v[22:23], v[14:15], v[32:33]
	v_mul_f64_e32 v[24:25], v[16:17], v[32:33]
	v_add_f64_e32 v[18:19], v[20:21], v[18:19]
	v_add_f64_e32 v[20:21], v[42:43], v[139:140]
	v_fma_f64 v[32:33], v[4:5], v[26:27], v[141:142]
	v_fma_f64 v[26:27], v[2:3], v[26:27], -v[28:29]
	v_fma_f64 v[16:17], v[16:17], v[30:31], v[22:23]
	v_fma_f64 v[14:15], v[14:15], v[30:31], -v[24:25]
	v_add_f64_e32 v[18:19], v[18:19], v[10:11]
	v_add_f64_e32 v[20:21], v[20:21], v[12:13]
	ds_load_b128 v[2:5], v1 offset:1280
	ds_load_b128 v[10:13], v1 offset:1296
	s_wait_loadcnt_dscnt 0x301
	v_mul_f64_e32 v[28:29], v[2:3], v[36:37]
	v_mul_f64_e32 v[36:37], v[4:5], v[36:37]
	v_add_f64_e32 v[18:19], v[18:19], v[26:27]
	v_add_f64_e32 v[20:21], v[20:21], v[32:33]
	s_wait_loadcnt_dscnt 0x200
	v_mul_f64_e32 v[22:23], v[10:11], v[40:41]
	v_mul_f64_e32 v[24:25], v[12:13], v[40:41]
	v_fma_f64 v[26:27], v[4:5], v[34:35], v[28:29]
	v_fma_f64 v[28:29], v[2:3], v[34:35], -v[36:37]
	v_add_f64_e32 v[18:19], v[18:19], v[14:15]
	v_add_f64_e32 v[20:21], v[20:21], v[16:17]
	ds_load_b128 v[2:5], v1 offset:1312
	ds_load_b128 v[14:17], v1 offset:1328
	v_fma_f64 v[12:13], v[12:13], v[38:39], v[22:23]
	v_fma_f64 v[10:11], v[10:11], v[38:39], -v[24:25]
	s_wait_loadcnt_dscnt 0x1
	v_mul_f64_e32 v[30:31], v[2:3], v[137:138]
	v_mul_f64_e32 v[32:33], v[4:5], v[137:138]
	s_wait_dscnt 0x0
	v_mul_f64_e32 v[22:23], v[14:15], v[8:9]
	v_mul_f64_e32 v[8:9], v[16:17], v[8:9]
	v_add_f64_e32 v[18:19], v[18:19], v[28:29]
	v_add_f64_e32 v[20:21], v[20:21], v[26:27]
	v_fma_f64 v[4:5], v[4:5], v[135:136], v[30:31]
	v_fma_f64 v[1:2], v[2:3], v[135:136], -v[32:33]
	v_fma_f64 v[16:17], v[16:17], v[6:7], v[22:23]
	v_fma_f64 v[6:7], v[14:15], v[6:7], -v[8:9]
	v_add_f64_e32 v[10:11], v[18:19], v[10:11]
	v_add_f64_e32 v[12:13], v[20:21], v[12:13]
	s_delay_alu instid0(VALU_DEP_2) | instskip(NEXT) | instid1(VALU_DEP_2)
	v_add_f64_e32 v[1:2], v[10:11], v[1:2]
	v_add_f64_e32 v[3:4], v[12:13], v[4:5]
	s_delay_alu instid0(VALU_DEP_2) | instskip(NEXT) | instid1(VALU_DEP_2)
	;; [unrolled: 3-line block ×3, first 2 shown]
	v_add_f64_e64 v[1:2], v[131:132], -v[1:2]
	v_add_f64_e64 v[3:4], v[133:134], -v[3:4]
	scratch_store_b128 off, v[1:4], off offset:160
	v_cmpx_lt_u32_e32 8, v0
	s_cbranch_execz .LBB105_249
; %bb.248:
	scratch_load_b128 v[1:4], off, s31
	v_mov_b32_e32 v5, 0
	s_delay_alu instid0(VALU_DEP_1)
	v_dual_mov_b32 v6, v5 :: v_dual_mov_b32 v7, v5
	v_mov_b32_e32 v8, v5
	scratch_store_b128 off, v[5:8], off offset:144
	s_wait_loadcnt 0x0
	ds_store_b128 v130, v[1:4]
.LBB105_249:
	s_wait_alu 0xfffe
	s_or_b32 exec_lo, exec_lo, s0
	s_wait_storecnt_dscnt 0x0
	s_barrier_signal -1
	s_barrier_wait -1
	global_inv scope:SCOPE_SE
	s_clause 0x7
	scratch_load_b128 v[2:5], off, off offset:160
	scratch_load_b128 v[6:9], off, off offset:176
	;; [unrolled: 1-line block ×8, first 2 shown]
	v_mov_b32_e32 v1, 0
	s_mov_b32 s0, exec_lo
	ds_load_b128 v[34:37], v1 offset:816
	s_clause 0x1
	scratch_load_b128 v[38:41], off, off offset:288
	scratch_load_b128 v[42:45], off, off offset:144
	ds_load_b128 v[131:134], v1 offset:832
	scratch_load_b128 v[135:138], off, off offset:304
	s_wait_loadcnt_dscnt 0xa01
	v_mul_f64_e32 v[139:140], v[36:37], v[4:5]
	v_mul_f64_e32 v[4:5], v[34:35], v[4:5]
	s_delay_alu instid0(VALU_DEP_2) | instskip(NEXT) | instid1(VALU_DEP_2)
	v_fma_f64 v[145:146], v[34:35], v[2:3], -v[139:140]
	v_fma_f64 v[147:148], v[36:37], v[2:3], v[4:5]
	ds_load_b128 v[2:5], v1 offset:848
	s_wait_loadcnt_dscnt 0x901
	v_mul_f64_e32 v[143:144], v[131:132], v[8:9]
	v_mul_f64_e32 v[8:9], v[133:134], v[8:9]
	scratch_load_b128 v[34:37], off, off offset:320
	ds_load_b128 v[139:142], v1 offset:864
	s_wait_loadcnt_dscnt 0x901
	v_mul_f64_e32 v[149:150], v[2:3], v[12:13]
	v_mul_f64_e32 v[12:13], v[4:5], v[12:13]
	v_fma_f64 v[133:134], v[133:134], v[6:7], v[143:144]
	v_fma_f64 v[131:132], v[131:132], v[6:7], -v[8:9]
	v_add_f64_e32 v[143:144], 0, v[145:146]
	v_add_f64_e32 v[145:146], 0, v[147:148]
	scratch_load_b128 v[6:9], off, off offset:336
	v_fma_f64 v[149:150], v[4:5], v[10:11], v[149:150]
	v_fma_f64 v[151:152], v[2:3], v[10:11], -v[12:13]
	ds_load_b128 v[2:5], v1 offset:880
	s_wait_loadcnt_dscnt 0x901
	v_mul_f64_e32 v[147:148], v[139:140], v[16:17]
	v_mul_f64_e32 v[16:17], v[141:142], v[16:17]
	scratch_load_b128 v[10:13], off, off offset:352
	v_add_f64_e32 v[143:144], v[143:144], v[131:132]
	v_add_f64_e32 v[145:146], v[145:146], v[133:134]
	s_wait_loadcnt_dscnt 0x900
	v_mul_f64_e32 v[153:154], v[2:3], v[20:21]
	v_mul_f64_e32 v[20:21], v[4:5], v[20:21]
	ds_load_b128 v[131:134], v1 offset:896
	v_fma_f64 v[141:142], v[141:142], v[14:15], v[147:148]
	v_fma_f64 v[139:140], v[139:140], v[14:15], -v[16:17]
	scratch_load_b128 v[14:17], off, off offset:368
	v_add_f64_e32 v[143:144], v[143:144], v[151:152]
	v_add_f64_e32 v[145:146], v[145:146], v[149:150]
	v_fma_f64 v[149:150], v[4:5], v[18:19], v[153:154]
	v_fma_f64 v[151:152], v[2:3], v[18:19], -v[20:21]
	ds_load_b128 v[2:5], v1 offset:912
	s_wait_loadcnt_dscnt 0x901
	v_mul_f64_e32 v[147:148], v[131:132], v[24:25]
	v_mul_f64_e32 v[24:25], v[133:134], v[24:25]
	scratch_load_b128 v[18:21], off, off offset:384
	s_wait_loadcnt_dscnt 0x900
	v_mul_f64_e32 v[153:154], v[2:3], v[28:29]
	v_mul_f64_e32 v[28:29], v[4:5], v[28:29]
	v_add_f64_e32 v[143:144], v[143:144], v[139:140]
	v_add_f64_e32 v[145:146], v[145:146], v[141:142]
	ds_load_b128 v[139:142], v1 offset:928
	v_fma_f64 v[133:134], v[133:134], v[22:23], v[147:148]
	v_fma_f64 v[131:132], v[131:132], v[22:23], -v[24:25]
	scratch_load_b128 v[22:25], off, off offset:400
	v_add_f64_e32 v[143:144], v[143:144], v[151:152]
	v_add_f64_e32 v[145:146], v[145:146], v[149:150]
	v_fma_f64 v[149:150], v[4:5], v[26:27], v[153:154]
	v_fma_f64 v[151:152], v[2:3], v[26:27], -v[28:29]
	ds_load_b128 v[2:5], v1 offset:944
	s_wait_loadcnt_dscnt 0x901
	v_mul_f64_e32 v[147:148], v[139:140], v[32:33]
	v_mul_f64_e32 v[32:33], v[141:142], v[32:33]
	scratch_load_b128 v[26:29], off, off offset:416
	s_wait_loadcnt_dscnt 0x900
	v_mul_f64_e32 v[153:154], v[2:3], v[40:41]
	v_mul_f64_e32 v[40:41], v[4:5], v[40:41]
	v_add_f64_e32 v[143:144], v[143:144], v[131:132]
	v_add_f64_e32 v[145:146], v[145:146], v[133:134]
	ds_load_b128 v[131:134], v1 offset:960
	v_fma_f64 v[141:142], v[141:142], v[30:31], v[147:148]
	v_fma_f64 v[139:140], v[139:140], v[30:31], -v[32:33]
	scratch_load_b128 v[30:33], off, off offset:432
	v_add_f64_e32 v[143:144], v[143:144], v[151:152]
	v_add_f64_e32 v[145:146], v[145:146], v[149:150]
	v_fma_f64 v[151:152], v[4:5], v[38:39], v[153:154]
	v_fma_f64 v[153:154], v[2:3], v[38:39], -v[40:41]
	ds_load_b128 v[2:5], v1 offset:976
	s_wait_loadcnt_dscnt 0x801
	v_mul_f64_e32 v[147:148], v[131:132], v[137:138]
	v_mul_f64_e32 v[149:150], v[133:134], v[137:138]
	scratch_load_b128 v[38:41], off, off offset:448
	v_add_f64_e32 v[143:144], v[143:144], v[139:140]
	v_add_f64_e32 v[141:142], v[145:146], v[141:142]
	ds_load_b128 v[137:140], v1 offset:992
	v_fma_f64 v[147:148], v[133:134], v[135:136], v[147:148]
	v_fma_f64 v[135:136], v[131:132], v[135:136], -v[149:150]
	scratch_load_b128 v[131:134], off, off offset:464
	s_wait_loadcnt_dscnt 0x901
	v_mul_f64_e32 v[145:146], v[2:3], v[36:37]
	v_mul_f64_e32 v[36:37], v[4:5], v[36:37]
	v_add_f64_e32 v[143:144], v[143:144], v[153:154]
	v_add_f64_e32 v[141:142], v[141:142], v[151:152]
	s_delay_alu instid0(VALU_DEP_4) | instskip(NEXT) | instid1(VALU_DEP_4)
	v_fma_f64 v[145:146], v[4:5], v[34:35], v[145:146]
	v_fma_f64 v[151:152], v[2:3], v[34:35], -v[36:37]
	ds_load_b128 v[2:5], v1 offset:1008
	s_wait_loadcnt_dscnt 0x801
	v_mul_f64_e32 v[149:150], v[137:138], v[8:9]
	v_mul_f64_e32 v[8:9], v[139:140], v[8:9]
	scratch_load_b128 v[34:37], off, off offset:480
	s_wait_loadcnt_dscnt 0x800
	v_mul_f64_e32 v[153:154], v[2:3], v[12:13]
	v_add_f64_e32 v[135:136], v[143:144], v[135:136]
	v_add_f64_e32 v[147:148], v[141:142], v[147:148]
	v_mul_f64_e32 v[12:13], v[4:5], v[12:13]
	ds_load_b128 v[141:144], v1 offset:1024
	v_fma_f64 v[139:140], v[139:140], v[6:7], v[149:150]
	v_fma_f64 v[137:138], v[137:138], v[6:7], -v[8:9]
	scratch_load_b128 v[6:9], off, off offset:496
	v_fma_f64 v[149:150], v[4:5], v[10:11], v[153:154]
	v_add_f64_e32 v[135:136], v[135:136], v[151:152]
	v_add_f64_e32 v[145:146], v[147:148], v[145:146]
	v_fma_f64 v[151:152], v[2:3], v[10:11], -v[12:13]
	ds_load_b128 v[2:5], v1 offset:1040
	s_wait_loadcnt_dscnt 0x801
	v_mul_f64_e32 v[147:148], v[141:142], v[16:17]
	v_mul_f64_e32 v[16:17], v[143:144], v[16:17]
	scratch_load_b128 v[10:13], off, off offset:512
	v_add_f64_e32 v[153:154], v[135:136], v[137:138]
	v_add_f64_e32 v[139:140], v[145:146], v[139:140]
	s_wait_loadcnt_dscnt 0x800
	v_mul_f64_e32 v[145:146], v[2:3], v[20:21]
	v_mul_f64_e32 v[20:21], v[4:5], v[20:21]
	v_fma_f64 v[143:144], v[143:144], v[14:15], v[147:148]
	v_fma_f64 v[141:142], v[141:142], v[14:15], -v[16:17]
	ds_load_b128 v[135:138], v1 offset:1056
	scratch_load_b128 v[14:17], off, off offset:528
	v_add_f64_e32 v[147:148], v[153:154], v[151:152]
	v_add_f64_e32 v[139:140], v[139:140], v[149:150]
	v_fma_f64 v[145:146], v[4:5], v[18:19], v[145:146]
	v_fma_f64 v[151:152], v[2:3], v[18:19], -v[20:21]
	ds_load_b128 v[2:5], v1 offset:1072
	s_wait_loadcnt_dscnt 0x801
	v_mul_f64_e32 v[149:150], v[135:136], v[24:25]
	v_mul_f64_e32 v[24:25], v[137:138], v[24:25]
	scratch_load_b128 v[18:21], off, off offset:544
	s_wait_loadcnt_dscnt 0x800
	v_mul_f64_e32 v[153:154], v[2:3], v[28:29]
	v_mul_f64_e32 v[28:29], v[4:5], v[28:29]
	v_add_f64_e32 v[147:148], v[147:148], v[141:142]
	v_add_f64_e32 v[143:144], v[139:140], v[143:144]
	ds_load_b128 v[139:142], v1 offset:1088
	v_fma_f64 v[137:138], v[137:138], v[22:23], v[149:150]
	v_fma_f64 v[135:136], v[135:136], v[22:23], -v[24:25]
	scratch_load_b128 v[22:25], off, off offset:560
	v_fma_f64 v[149:150], v[4:5], v[26:27], v[153:154]
	v_add_f64_e32 v[147:148], v[147:148], v[151:152]
	v_add_f64_e32 v[143:144], v[143:144], v[145:146]
	v_fma_f64 v[151:152], v[2:3], v[26:27], -v[28:29]
	ds_load_b128 v[2:5], v1 offset:1104
	s_wait_loadcnt_dscnt 0x801
	v_mul_f64_e32 v[145:146], v[139:140], v[32:33]
	v_mul_f64_e32 v[32:33], v[141:142], v[32:33]
	scratch_load_b128 v[26:29], off, off offset:576
	s_wait_loadcnt_dscnt 0x800
	v_mul_f64_e32 v[153:154], v[2:3], v[40:41]
	v_mul_f64_e32 v[40:41], v[4:5], v[40:41]
	v_add_f64_e32 v[147:148], v[147:148], v[135:136]
	v_add_f64_e32 v[143:144], v[143:144], v[137:138]
	ds_load_b128 v[135:138], v1 offset:1120
	v_fma_f64 v[141:142], v[141:142], v[30:31], v[145:146]
	v_fma_f64 v[139:140], v[139:140], v[30:31], -v[32:33]
	scratch_load_b128 v[30:33], off, off offset:592
	v_add_f64_e32 v[145:146], v[147:148], v[151:152]
	v_add_f64_e32 v[143:144], v[143:144], v[149:150]
	v_fma_f64 v[149:150], v[4:5], v[38:39], v[153:154]
	v_fma_f64 v[151:152], v[2:3], v[38:39], -v[40:41]
	ds_load_b128 v[2:5], v1 offset:1136
	s_wait_loadcnt_dscnt 0x801
	v_mul_f64_e32 v[147:148], v[135:136], v[133:134]
	v_mul_f64_e32 v[133:134], v[137:138], v[133:134]
	scratch_load_b128 v[38:41], off, off offset:608
	s_wait_loadcnt_dscnt 0x800
	v_mul_f64_e32 v[153:154], v[2:3], v[36:37]
	v_mul_f64_e32 v[36:37], v[4:5], v[36:37]
	v_add_f64_e32 v[145:146], v[145:146], v[139:140]
	v_add_f64_e32 v[143:144], v[143:144], v[141:142]
	ds_load_b128 v[139:142], v1 offset:1152
	v_fma_f64 v[137:138], v[137:138], v[131:132], v[147:148]
	v_fma_f64 v[135:136], v[135:136], v[131:132], -v[133:134]
	scratch_load_b128 v[131:134], off, off offset:624
	v_add_f64_e32 v[145:146], v[145:146], v[151:152]
	v_add_f64_e32 v[143:144], v[143:144], v[149:150]
	v_fma_f64 v[149:150], v[4:5], v[34:35], v[153:154]
	;; [unrolled: 18-line block ×3, first 2 shown]
	v_fma_f64 v[151:152], v[2:3], v[10:11], -v[12:13]
	ds_load_b128 v[2:5], v1 offset:1200
	s_wait_loadcnt_dscnt 0x801
	v_mul_f64_e32 v[147:148], v[135:136], v[16:17]
	v_mul_f64_e32 v[16:17], v[137:138], v[16:17]
	scratch_load_b128 v[10:13], off, off offset:672
	s_wait_loadcnt_dscnt 0x800
	v_mul_f64_e32 v[153:154], v[2:3], v[20:21]
	v_mul_f64_e32 v[20:21], v[4:5], v[20:21]
	v_add_f64_e32 v[145:146], v[145:146], v[139:140]
	v_add_f64_e32 v[143:144], v[143:144], v[141:142]
	ds_load_b128 v[139:142], v1 offset:1216
	v_fma_f64 v[137:138], v[137:138], v[14:15], v[147:148]
	v_fma_f64 v[14:15], v[135:136], v[14:15], -v[16:17]
	v_add_f64_e32 v[16:17], v[145:146], v[151:152]
	v_add_f64_e32 v[135:136], v[143:144], v[149:150]
	s_wait_loadcnt_dscnt 0x700
	v_mul_f64_e32 v[143:144], v[139:140], v[24:25]
	v_mul_f64_e32 v[24:25], v[141:142], v[24:25]
	v_fma_f64 v[145:146], v[4:5], v[18:19], v[153:154]
	v_fma_f64 v[18:19], v[2:3], v[18:19], -v[20:21]
	v_add_f64_e32 v[20:21], v[16:17], v[14:15]
	v_add_f64_e32 v[135:136], v[135:136], v[137:138]
	ds_load_b128 v[2:5], v1 offset:1232
	ds_load_b128 v[14:17], v1 offset:1248
	v_fma_f64 v[141:142], v[141:142], v[22:23], v[143:144]
	v_fma_f64 v[22:23], v[139:140], v[22:23], -v[24:25]
	s_wait_loadcnt_dscnt 0x601
	v_mul_f64_e32 v[137:138], v[2:3], v[28:29]
	v_mul_f64_e32 v[28:29], v[4:5], v[28:29]
	s_wait_loadcnt_dscnt 0x500
	v_mul_f64_e32 v[24:25], v[14:15], v[32:33]
	v_mul_f64_e32 v[32:33], v[16:17], v[32:33]
	v_add_f64_e32 v[18:19], v[20:21], v[18:19]
	v_add_f64_e32 v[20:21], v[135:136], v[145:146]
	v_fma_f64 v[135:136], v[4:5], v[26:27], v[137:138]
	v_fma_f64 v[26:27], v[2:3], v[26:27], -v[28:29]
	v_fma_f64 v[16:17], v[16:17], v[30:31], v[24:25]
	v_fma_f64 v[14:15], v[14:15], v[30:31], -v[32:33]
	v_add_f64_e32 v[22:23], v[18:19], v[22:23]
	v_add_f64_e32 v[28:29], v[20:21], v[141:142]
	ds_load_b128 v[2:5], v1 offset:1264
	ds_load_b128 v[18:21], v1 offset:1280
	s_wait_loadcnt_dscnt 0x401
	v_mul_f64_e32 v[137:138], v[2:3], v[40:41]
	v_mul_f64_e32 v[40:41], v[4:5], v[40:41]
	v_add_f64_e32 v[22:23], v[22:23], v[26:27]
	v_add_f64_e32 v[24:25], v[28:29], v[135:136]
	s_wait_loadcnt_dscnt 0x300
	v_mul_f64_e32 v[26:27], v[18:19], v[133:134]
	v_mul_f64_e32 v[28:29], v[20:21], v[133:134]
	v_fma_f64 v[30:31], v[4:5], v[38:39], v[137:138]
	v_fma_f64 v[32:33], v[2:3], v[38:39], -v[40:41]
	v_add_f64_e32 v[22:23], v[22:23], v[14:15]
	v_add_f64_e32 v[24:25], v[24:25], v[16:17]
	ds_load_b128 v[2:5], v1 offset:1296
	ds_load_b128 v[14:17], v1 offset:1312
	v_fma_f64 v[20:21], v[20:21], v[131:132], v[26:27]
	v_fma_f64 v[18:19], v[18:19], v[131:132], -v[28:29]
	s_wait_loadcnt_dscnt 0x201
	v_mul_f64_e32 v[38:39], v[2:3], v[36:37]
	v_mul_f64_e32 v[36:37], v[4:5], v[36:37]
	s_wait_loadcnt_dscnt 0x100
	v_mul_f64_e32 v[26:27], v[14:15], v[8:9]
	v_mul_f64_e32 v[8:9], v[16:17], v[8:9]
	v_add_f64_e32 v[22:23], v[22:23], v[32:33]
	v_add_f64_e32 v[24:25], v[24:25], v[30:31]
	v_fma_f64 v[28:29], v[4:5], v[34:35], v[38:39]
	v_fma_f64 v[30:31], v[2:3], v[34:35], -v[36:37]
	ds_load_b128 v[2:5], v1 offset:1328
	v_fma_f64 v[16:17], v[16:17], v[6:7], v[26:27]
	v_fma_f64 v[6:7], v[14:15], v[6:7], -v[8:9]
	v_add_f64_e32 v[18:19], v[22:23], v[18:19]
	v_add_f64_e32 v[20:21], v[24:25], v[20:21]
	s_wait_loadcnt_dscnt 0x0
	v_mul_f64_e32 v[22:23], v[2:3], v[12:13]
	v_mul_f64_e32 v[12:13], v[4:5], v[12:13]
	s_delay_alu instid0(VALU_DEP_4) | instskip(NEXT) | instid1(VALU_DEP_4)
	v_add_f64_e32 v[8:9], v[18:19], v[30:31]
	v_add_f64_e32 v[14:15], v[20:21], v[28:29]
	s_delay_alu instid0(VALU_DEP_4) | instskip(NEXT) | instid1(VALU_DEP_4)
	v_fma_f64 v[4:5], v[4:5], v[10:11], v[22:23]
	v_fma_f64 v[2:3], v[2:3], v[10:11], -v[12:13]
	s_delay_alu instid0(VALU_DEP_4) | instskip(NEXT) | instid1(VALU_DEP_4)
	v_add_f64_e32 v[6:7], v[8:9], v[6:7]
	v_add_f64_e32 v[8:9], v[14:15], v[16:17]
	s_delay_alu instid0(VALU_DEP_2) | instskip(NEXT) | instid1(VALU_DEP_2)
	v_add_f64_e32 v[2:3], v[6:7], v[2:3]
	v_add_f64_e32 v[4:5], v[8:9], v[4:5]
	s_delay_alu instid0(VALU_DEP_2) | instskip(NEXT) | instid1(VALU_DEP_2)
	v_add_f64_e64 v[2:3], v[42:43], -v[2:3]
	v_add_f64_e64 v[4:5], v[44:45], -v[4:5]
	scratch_store_b128 off, v[2:5], off offset:144
	v_cmpx_lt_u32_e32 7, v0
	s_cbranch_execz .LBB105_251
; %bb.250:
	scratch_load_b128 v[5:8], off, s5
	v_dual_mov_b32 v2, v1 :: v_dual_mov_b32 v3, v1
	v_mov_b32_e32 v4, v1
	scratch_store_b128 off, v[1:4], off offset:128
	s_wait_loadcnt 0x0
	ds_store_b128 v130, v[5:8]
.LBB105_251:
	s_wait_alu 0xfffe
	s_or_b32 exec_lo, exec_lo, s0
	s_wait_storecnt_dscnt 0x0
	s_barrier_signal -1
	s_barrier_wait -1
	global_inv scope:SCOPE_SE
	s_clause 0x8
	scratch_load_b128 v[2:5], off, off offset:144
	scratch_load_b128 v[6:9], off, off offset:160
	scratch_load_b128 v[10:13], off, off offset:176
	scratch_load_b128 v[14:17], off, off offset:192
	scratch_load_b128 v[18:21], off, off offset:208
	scratch_load_b128 v[22:25], off, off offset:224
	scratch_load_b128 v[26:29], off, off offset:240
	scratch_load_b128 v[30:33], off, off offset:256
	scratch_load_b128 v[34:37], off, off offset:272
	ds_load_b128 v[38:41], v1 offset:800
	ds_load_b128 v[42:45], v1 offset:816
	s_clause 0x1
	scratch_load_b128 v[131:134], off, off offset:128
	scratch_load_b128 v[135:138], off, off offset:288
	s_mov_b32 s0, exec_lo
	s_wait_loadcnt_dscnt 0xa01
	v_mul_f64_e32 v[139:140], v[40:41], v[4:5]
	v_mul_f64_e32 v[4:5], v[38:39], v[4:5]
	s_wait_loadcnt_dscnt 0x900
	v_mul_f64_e32 v[143:144], v[42:43], v[8:9]
	v_mul_f64_e32 v[8:9], v[44:45], v[8:9]
	s_delay_alu instid0(VALU_DEP_4) | instskip(NEXT) | instid1(VALU_DEP_4)
	v_fma_f64 v[145:146], v[38:39], v[2:3], -v[139:140]
	v_fma_f64 v[147:148], v[40:41], v[2:3], v[4:5]
	ds_load_b128 v[2:5], v1 offset:832
	ds_load_b128 v[139:142], v1 offset:848
	scratch_load_b128 v[38:41], off, off offset:304
	v_fma_f64 v[44:45], v[44:45], v[6:7], v[143:144]
	v_fma_f64 v[42:43], v[42:43], v[6:7], -v[8:9]
	scratch_load_b128 v[6:9], off, off offset:320
	s_wait_loadcnt_dscnt 0xa01
	v_mul_f64_e32 v[149:150], v[2:3], v[12:13]
	v_mul_f64_e32 v[12:13], v[4:5], v[12:13]
	v_add_f64_e32 v[143:144], 0, v[145:146]
	v_add_f64_e32 v[145:146], 0, v[147:148]
	s_wait_loadcnt_dscnt 0x900
	v_mul_f64_e32 v[147:148], v[139:140], v[16:17]
	v_mul_f64_e32 v[16:17], v[141:142], v[16:17]
	v_fma_f64 v[149:150], v[4:5], v[10:11], v[149:150]
	v_fma_f64 v[151:152], v[2:3], v[10:11], -v[12:13]
	ds_load_b128 v[2:5], v1 offset:864
	scratch_load_b128 v[10:13], off, off offset:336
	v_add_f64_e32 v[143:144], v[143:144], v[42:43]
	v_add_f64_e32 v[145:146], v[145:146], v[44:45]
	ds_load_b128 v[42:45], v1 offset:880
	v_fma_f64 v[141:142], v[141:142], v[14:15], v[147:148]
	v_fma_f64 v[139:140], v[139:140], v[14:15], -v[16:17]
	scratch_load_b128 v[14:17], off, off offset:352
	s_wait_loadcnt_dscnt 0xa01
	v_mul_f64_e32 v[153:154], v[2:3], v[20:21]
	v_mul_f64_e32 v[20:21], v[4:5], v[20:21]
	s_wait_loadcnt_dscnt 0x900
	v_mul_f64_e32 v[147:148], v[42:43], v[24:25]
	v_mul_f64_e32 v[24:25], v[44:45], v[24:25]
	v_add_f64_e32 v[143:144], v[143:144], v[151:152]
	v_add_f64_e32 v[145:146], v[145:146], v[149:150]
	v_fma_f64 v[149:150], v[4:5], v[18:19], v[153:154]
	v_fma_f64 v[151:152], v[2:3], v[18:19], -v[20:21]
	ds_load_b128 v[2:5], v1 offset:896
	scratch_load_b128 v[18:21], off, off offset:368
	v_fma_f64 v[44:45], v[44:45], v[22:23], v[147:148]
	v_fma_f64 v[42:43], v[42:43], v[22:23], -v[24:25]
	scratch_load_b128 v[22:25], off, off offset:384
	v_add_f64_e32 v[143:144], v[143:144], v[139:140]
	v_add_f64_e32 v[145:146], v[145:146], v[141:142]
	ds_load_b128 v[139:142], v1 offset:912
	s_wait_loadcnt_dscnt 0xa01
	v_mul_f64_e32 v[153:154], v[2:3], v[28:29]
	v_mul_f64_e32 v[28:29], v[4:5], v[28:29]
	s_wait_loadcnt_dscnt 0x900
	v_mul_f64_e32 v[147:148], v[139:140], v[32:33]
	v_mul_f64_e32 v[32:33], v[141:142], v[32:33]
	v_add_f64_e32 v[143:144], v[143:144], v[151:152]
	v_add_f64_e32 v[145:146], v[145:146], v[149:150]
	v_fma_f64 v[149:150], v[4:5], v[26:27], v[153:154]
	v_fma_f64 v[151:152], v[2:3], v[26:27], -v[28:29]
	ds_load_b128 v[2:5], v1 offset:928
	scratch_load_b128 v[26:29], off, off offset:400
	v_fma_f64 v[141:142], v[141:142], v[30:31], v[147:148]
	v_fma_f64 v[139:140], v[139:140], v[30:31], -v[32:33]
	scratch_load_b128 v[30:33], off, off offset:416
	v_add_f64_e32 v[143:144], v[143:144], v[42:43]
	v_add_f64_e32 v[145:146], v[145:146], v[44:45]
	ds_load_b128 v[42:45], v1 offset:944
	s_wait_loadcnt_dscnt 0xa01
	v_mul_f64_e32 v[153:154], v[2:3], v[36:37]
	v_mul_f64_e32 v[36:37], v[4:5], v[36:37]
	s_wait_loadcnt_dscnt 0x800
	v_mul_f64_e32 v[147:148], v[42:43], v[137:138]
	v_add_f64_e32 v[143:144], v[143:144], v[151:152]
	v_add_f64_e32 v[145:146], v[145:146], v[149:150]
	v_mul_f64_e32 v[149:150], v[44:45], v[137:138]
	v_fma_f64 v[151:152], v[4:5], v[34:35], v[153:154]
	v_fma_f64 v[153:154], v[2:3], v[34:35], -v[36:37]
	ds_load_b128 v[2:5], v1 offset:960
	scratch_load_b128 v[34:37], off, off offset:432
	v_fma_f64 v[44:45], v[44:45], v[135:136], v[147:148]
	v_add_f64_e32 v[143:144], v[143:144], v[139:140]
	v_add_f64_e32 v[141:142], v[145:146], v[141:142]
	ds_load_b128 v[137:140], v1 offset:976
	v_fma_f64 v[135:136], v[42:43], v[135:136], -v[149:150]
	s_wait_loadcnt_dscnt 0x801
	v_mul_f64_e32 v[145:146], v[2:3], v[40:41]
	v_mul_f64_e32 v[155:156], v[4:5], v[40:41]
	scratch_load_b128 v[40:43], off, off offset:448
	s_wait_loadcnt_dscnt 0x800
	v_mul_f64_e32 v[149:150], v[137:138], v[8:9]
	v_mul_f64_e32 v[8:9], v[139:140], v[8:9]
	v_add_f64_e32 v[143:144], v[143:144], v[153:154]
	v_add_f64_e32 v[141:142], v[141:142], v[151:152]
	v_fma_f64 v[151:152], v[4:5], v[38:39], v[145:146]
	v_fma_f64 v[38:39], v[2:3], v[38:39], -v[155:156]
	ds_load_b128 v[2:5], v1 offset:992
	ds_load_b128 v[145:148], v1 offset:1008
	v_fma_f64 v[139:140], v[139:140], v[6:7], v[149:150]
	v_fma_f64 v[137:138], v[137:138], v[6:7], -v[8:9]
	scratch_load_b128 v[6:9], off, off offset:480
	v_add_f64_e32 v[135:136], v[143:144], v[135:136]
	v_add_f64_e32 v[44:45], v[141:142], v[44:45]
	scratch_load_b128 v[141:144], off, off offset:464
	s_wait_loadcnt_dscnt 0x901
	v_mul_f64_e32 v[153:154], v[2:3], v[12:13]
	v_mul_f64_e32 v[12:13], v[4:5], v[12:13]
	s_wait_loadcnt_dscnt 0x800
	v_mul_f64_e32 v[149:150], v[145:146], v[16:17]
	v_mul_f64_e32 v[16:17], v[147:148], v[16:17]
	v_add_f64_e32 v[38:39], v[135:136], v[38:39]
	v_add_f64_e32 v[44:45], v[44:45], v[151:152]
	v_fma_f64 v[151:152], v[4:5], v[10:11], v[153:154]
	v_fma_f64 v[153:154], v[2:3], v[10:11], -v[12:13]
	ds_load_b128 v[2:5], v1 offset:1024
	scratch_load_b128 v[10:13], off, off offset:496
	v_fma_f64 v[147:148], v[147:148], v[14:15], v[149:150]
	v_fma_f64 v[145:146], v[145:146], v[14:15], -v[16:17]
	scratch_load_b128 v[14:17], off, off offset:512
	v_add_f64_e32 v[38:39], v[38:39], v[137:138]
	v_add_f64_e32 v[44:45], v[44:45], v[139:140]
	ds_load_b128 v[135:138], v1 offset:1040
	s_wait_loadcnt_dscnt 0x901
	v_mul_f64_e32 v[139:140], v[2:3], v[20:21]
	v_mul_f64_e32 v[20:21], v[4:5], v[20:21]
	s_wait_loadcnt_dscnt 0x800
	v_mul_f64_e32 v[149:150], v[135:136], v[24:25]
	v_mul_f64_e32 v[24:25], v[137:138], v[24:25]
	v_add_f64_e32 v[38:39], v[38:39], v[153:154]
	v_add_f64_e32 v[44:45], v[44:45], v[151:152]
	v_fma_f64 v[139:140], v[4:5], v[18:19], v[139:140]
	v_fma_f64 v[151:152], v[2:3], v[18:19], -v[20:21]
	ds_load_b128 v[2:5], v1 offset:1056
	scratch_load_b128 v[18:21], off, off offset:528
	v_fma_f64 v[137:138], v[137:138], v[22:23], v[149:150]
	v_fma_f64 v[135:136], v[135:136], v[22:23], -v[24:25]
	scratch_load_b128 v[22:25], off, off offset:544
	v_add_f64_e32 v[38:39], v[38:39], v[145:146]
	v_add_f64_e32 v[44:45], v[44:45], v[147:148]
	ds_load_b128 v[145:148], v1 offset:1072
	s_wait_loadcnt_dscnt 0x901
	v_mul_f64_e32 v[153:154], v[2:3], v[28:29]
	v_mul_f64_e32 v[28:29], v[4:5], v[28:29]
	v_add_f64_e32 v[38:39], v[38:39], v[151:152]
	v_add_f64_e32 v[44:45], v[44:45], v[139:140]
	s_wait_loadcnt_dscnt 0x800
	v_mul_f64_e32 v[139:140], v[145:146], v[32:33]
	v_mul_f64_e32 v[32:33], v[147:148], v[32:33]
	v_fma_f64 v[149:150], v[4:5], v[26:27], v[153:154]
	v_fma_f64 v[151:152], v[2:3], v[26:27], -v[28:29]
	ds_load_b128 v[2:5], v1 offset:1088
	scratch_load_b128 v[26:29], off, off offset:560
	v_add_f64_e32 v[38:39], v[38:39], v[135:136]
	v_add_f64_e32 v[44:45], v[44:45], v[137:138]
	ds_load_b128 v[135:138], v1 offset:1104
	s_wait_loadcnt_dscnt 0x801
	v_mul_f64_e32 v[153:154], v[2:3], v[36:37]
	v_mul_f64_e32 v[36:37], v[4:5], v[36:37]
	v_fma_f64 v[139:140], v[147:148], v[30:31], v[139:140]
	v_fma_f64 v[145:146], v[145:146], v[30:31], -v[32:33]
	scratch_load_b128 v[30:33], off, off offset:576
	s_wait_loadcnt_dscnt 0x800
	v_mul_f64_e32 v[147:148], v[135:136], v[42:43]
	v_add_f64_e32 v[38:39], v[38:39], v[151:152]
	v_add_f64_e32 v[44:45], v[44:45], v[149:150]
	v_mul_f64_e32 v[149:150], v[137:138], v[42:43]
	v_fma_f64 v[151:152], v[4:5], v[34:35], v[153:154]
	v_fma_f64 v[153:154], v[2:3], v[34:35], -v[36:37]
	ds_load_b128 v[2:5], v1 offset:1120
	scratch_load_b128 v[34:37], off, off offset:592
	v_fma_f64 v[137:138], v[137:138], v[40:41], v[147:148]
	v_add_f64_e32 v[38:39], v[38:39], v[145:146]
	v_add_f64_e32 v[139:140], v[44:45], v[139:140]
	ds_load_b128 v[42:45], v1 offset:1136
	v_fma_f64 v[135:136], v[135:136], v[40:41], -v[149:150]
	s_wait_loadcnt_dscnt 0x701
	v_mul_f64_e32 v[145:146], v[2:3], v[143:144]
	v_mul_f64_e32 v[143:144], v[4:5], v[143:144]
	s_wait_dscnt 0x0
	v_mul_f64_e32 v[149:150], v[42:43], v[8:9]
	v_mul_f64_e32 v[8:9], v[44:45], v[8:9]
	v_add_f64_e32 v[147:148], v[38:39], v[153:154]
	v_add_f64_e32 v[139:140], v[139:140], v[151:152]
	scratch_load_b128 v[38:41], off, off offset:608
	v_fma_f64 v[145:146], v[4:5], v[141:142], v[145:146]
	v_fma_f64 v[143:144], v[2:3], v[141:142], -v[143:144]
	ds_load_b128 v[2:5], v1 offset:1152
	v_fma_f64 v[44:45], v[44:45], v[6:7], v[149:150]
	v_fma_f64 v[42:43], v[42:43], v[6:7], -v[8:9]
	scratch_load_b128 v[6:9], off, off offset:640
	v_add_f64_e32 v[147:148], v[147:148], v[135:136]
	v_add_f64_e32 v[151:152], v[139:140], v[137:138]
	scratch_load_b128 v[135:138], off, off offset:624
	ds_load_b128 v[139:142], v1 offset:1168
	s_wait_loadcnt_dscnt 0x901
	v_mul_f64_e32 v[153:154], v[2:3], v[12:13]
	v_mul_f64_e32 v[12:13], v[4:5], v[12:13]
	v_add_f64_e32 v[143:144], v[147:148], v[143:144]
	v_add_f64_e32 v[145:146], v[151:152], v[145:146]
	s_wait_loadcnt_dscnt 0x800
	v_mul_f64_e32 v[147:148], v[139:140], v[16:17]
	v_mul_f64_e32 v[16:17], v[141:142], v[16:17]
	v_fma_f64 v[149:150], v[4:5], v[10:11], v[153:154]
	v_fma_f64 v[151:152], v[2:3], v[10:11], -v[12:13]
	ds_load_b128 v[2:5], v1 offset:1184
	scratch_load_b128 v[10:13], off, off offset:656
	v_add_f64_e32 v[143:144], v[143:144], v[42:43]
	v_add_f64_e32 v[145:146], v[145:146], v[44:45]
	ds_load_b128 v[42:45], v1 offset:1200
	s_wait_loadcnt_dscnt 0x801
	v_mul_f64_e32 v[153:154], v[2:3], v[20:21]
	v_mul_f64_e32 v[20:21], v[4:5], v[20:21]
	v_fma_f64 v[141:142], v[141:142], v[14:15], v[147:148]
	v_fma_f64 v[139:140], v[139:140], v[14:15], -v[16:17]
	scratch_load_b128 v[14:17], off, off offset:672
	s_wait_loadcnt_dscnt 0x800
	v_mul_f64_e32 v[147:148], v[42:43], v[24:25]
	v_mul_f64_e32 v[24:25], v[44:45], v[24:25]
	v_add_f64_e32 v[143:144], v[143:144], v[151:152]
	v_add_f64_e32 v[145:146], v[145:146], v[149:150]
	v_fma_f64 v[149:150], v[4:5], v[18:19], v[153:154]
	v_fma_f64 v[151:152], v[2:3], v[18:19], -v[20:21]
	ds_load_b128 v[2:5], v1 offset:1216
	ds_load_b128 v[18:21], v1 offset:1232
	v_fma_f64 v[44:45], v[44:45], v[22:23], v[147:148]
	v_fma_f64 v[22:23], v[42:43], v[22:23], -v[24:25]
	v_add_f64_e32 v[139:140], v[143:144], v[139:140]
	v_add_f64_e32 v[141:142], v[145:146], v[141:142]
	s_wait_loadcnt_dscnt 0x701
	v_mul_f64_e32 v[143:144], v[2:3], v[28:29]
	v_mul_f64_e32 v[28:29], v[4:5], v[28:29]
	s_delay_alu instid0(VALU_DEP_4) | instskip(NEXT) | instid1(VALU_DEP_4)
	v_add_f64_e32 v[24:25], v[139:140], v[151:152]
	v_add_f64_e32 v[42:43], v[141:142], v[149:150]
	s_wait_loadcnt_dscnt 0x600
	v_mul_f64_e32 v[139:140], v[18:19], v[32:33]
	v_mul_f64_e32 v[32:33], v[20:21], v[32:33]
	v_fma_f64 v[141:142], v[4:5], v[26:27], v[143:144]
	v_fma_f64 v[26:27], v[2:3], v[26:27], -v[28:29]
	v_add_f64_e32 v[28:29], v[24:25], v[22:23]
	v_add_f64_e32 v[42:43], v[42:43], v[44:45]
	ds_load_b128 v[2:5], v1 offset:1248
	ds_load_b128 v[22:25], v1 offset:1264
	v_fma_f64 v[20:21], v[20:21], v[30:31], v[139:140]
	v_fma_f64 v[18:19], v[18:19], v[30:31], -v[32:33]
	s_wait_loadcnt_dscnt 0x501
	v_mul_f64_e32 v[44:45], v[2:3], v[36:37]
	v_mul_f64_e32 v[36:37], v[4:5], v[36:37]
	v_add_f64_e32 v[26:27], v[28:29], v[26:27]
	v_add_f64_e32 v[28:29], v[42:43], v[141:142]
	s_wait_loadcnt_dscnt 0x400
	v_mul_f64_e32 v[30:31], v[22:23], v[40:41]
	v_mul_f64_e32 v[32:33], v[24:25], v[40:41]
	v_fma_f64 v[40:41], v[4:5], v[34:35], v[44:45]
	v_fma_f64 v[34:35], v[2:3], v[34:35], -v[36:37]
	v_add_f64_e32 v[26:27], v[26:27], v[18:19]
	v_add_f64_e32 v[28:29], v[28:29], v[20:21]
	ds_load_b128 v[2:5], v1 offset:1280
	ds_load_b128 v[18:21], v1 offset:1296
	v_fma_f64 v[24:25], v[24:25], v[38:39], v[30:31]
	v_fma_f64 v[22:23], v[22:23], v[38:39], -v[32:33]
	s_wait_loadcnt_dscnt 0x201
	v_mul_f64_e32 v[36:37], v[2:3], v[137:138]
	v_mul_f64_e32 v[42:43], v[4:5], v[137:138]
	s_wait_dscnt 0x0
	v_mul_f64_e32 v[30:31], v[18:19], v[8:9]
	v_mul_f64_e32 v[8:9], v[20:21], v[8:9]
	v_add_f64_e32 v[26:27], v[26:27], v[34:35]
	v_add_f64_e32 v[28:29], v[28:29], v[40:41]
	v_fma_f64 v[32:33], v[4:5], v[135:136], v[36:37]
	v_fma_f64 v[34:35], v[2:3], v[135:136], -v[42:43]
	v_fma_f64 v[20:21], v[20:21], v[6:7], v[30:31]
	v_fma_f64 v[6:7], v[18:19], v[6:7], -v[8:9]
	v_add_f64_e32 v[26:27], v[26:27], v[22:23]
	v_add_f64_e32 v[28:29], v[28:29], v[24:25]
	ds_load_b128 v[2:5], v1 offset:1312
	ds_load_b128 v[22:25], v1 offset:1328
	s_wait_loadcnt_dscnt 0x101
	v_mul_f64_e32 v[36:37], v[2:3], v[12:13]
	v_mul_f64_e32 v[12:13], v[4:5], v[12:13]
	v_add_f64_e32 v[8:9], v[26:27], v[34:35]
	v_add_f64_e32 v[18:19], v[28:29], v[32:33]
	s_wait_loadcnt_dscnt 0x0
	v_mul_f64_e32 v[26:27], v[22:23], v[16:17]
	v_mul_f64_e32 v[16:17], v[24:25], v[16:17]
	v_fma_f64 v[4:5], v[4:5], v[10:11], v[36:37]
	v_fma_f64 v[1:2], v[2:3], v[10:11], -v[12:13]
	v_add_f64_e32 v[6:7], v[8:9], v[6:7]
	v_add_f64_e32 v[8:9], v[18:19], v[20:21]
	v_fma_f64 v[10:11], v[24:25], v[14:15], v[26:27]
	v_fma_f64 v[12:13], v[22:23], v[14:15], -v[16:17]
	s_delay_alu instid0(VALU_DEP_4) | instskip(NEXT) | instid1(VALU_DEP_4)
	v_add_f64_e32 v[1:2], v[6:7], v[1:2]
	v_add_f64_e32 v[3:4], v[8:9], v[4:5]
	s_delay_alu instid0(VALU_DEP_2) | instskip(NEXT) | instid1(VALU_DEP_2)
	v_add_f64_e32 v[1:2], v[1:2], v[12:13]
	v_add_f64_e32 v[3:4], v[3:4], v[10:11]
	s_delay_alu instid0(VALU_DEP_2) | instskip(NEXT) | instid1(VALU_DEP_2)
	v_add_f64_e64 v[1:2], v[131:132], -v[1:2]
	v_add_f64_e64 v[3:4], v[133:134], -v[3:4]
	scratch_store_b128 off, v[1:4], off offset:128
	v_cmpx_lt_u32_e32 6, v0
	s_cbranch_execz .LBB105_253
; %bb.252:
	scratch_load_b128 v[1:4], off, s30
	v_mov_b32_e32 v5, 0
	s_delay_alu instid0(VALU_DEP_1)
	v_dual_mov_b32 v6, v5 :: v_dual_mov_b32 v7, v5
	v_mov_b32_e32 v8, v5
	scratch_store_b128 off, v[5:8], off offset:112
	s_wait_loadcnt 0x0
	ds_store_b128 v130, v[1:4]
.LBB105_253:
	s_wait_alu 0xfffe
	s_or_b32 exec_lo, exec_lo, s0
	s_wait_storecnt_dscnt 0x0
	s_barrier_signal -1
	s_barrier_wait -1
	global_inv scope:SCOPE_SE
	s_clause 0x7
	scratch_load_b128 v[2:5], off, off offset:128
	scratch_load_b128 v[6:9], off, off offset:144
	;; [unrolled: 1-line block ×8, first 2 shown]
	v_mov_b32_e32 v1, 0
	s_mov_b32 s0, exec_lo
	ds_load_b128 v[38:41], v1 offset:784
	s_clause 0x1
	scratch_load_b128 v[34:37], off, off offset:256
	scratch_load_b128 v[42:45], off, off offset:112
	ds_load_b128 v[131:134], v1 offset:800
	scratch_load_b128 v[135:138], off, off offset:272
	s_wait_loadcnt_dscnt 0xa01
	v_mul_f64_e32 v[139:140], v[40:41], v[4:5]
	v_mul_f64_e32 v[4:5], v[38:39], v[4:5]
	s_delay_alu instid0(VALU_DEP_2) | instskip(NEXT) | instid1(VALU_DEP_2)
	v_fma_f64 v[145:146], v[38:39], v[2:3], -v[139:140]
	v_fma_f64 v[147:148], v[40:41], v[2:3], v[4:5]
	ds_load_b128 v[2:5], v1 offset:816
	s_wait_loadcnt_dscnt 0x901
	v_mul_f64_e32 v[143:144], v[131:132], v[8:9]
	v_mul_f64_e32 v[8:9], v[133:134], v[8:9]
	scratch_load_b128 v[38:41], off, off offset:288
	ds_load_b128 v[139:142], v1 offset:832
	s_wait_loadcnt_dscnt 0x901
	v_mul_f64_e32 v[149:150], v[2:3], v[12:13]
	v_mul_f64_e32 v[12:13], v[4:5], v[12:13]
	v_fma_f64 v[133:134], v[133:134], v[6:7], v[143:144]
	v_fma_f64 v[131:132], v[131:132], v[6:7], -v[8:9]
	v_add_f64_e32 v[143:144], 0, v[145:146]
	v_add_f64_e32 v[145:146], 0, v[147:148]
	scratch_load_b128 v[6:9], off, off offset:304
	v_fma_f64 v[149:150], v[4:5], v[10:11], v[149:150]
	v_fma_f64 v[151:152], v[2:3], v[10:11], -v[12:13]
	ds_load_b128 v[2:5], v1 offset:848
	s_wait_loadcnt_dscnt 0x901
	v_mul_f64_e32 v[147:148], v[139:140], v[16:17]
	v_mul_f64_e32 v[16:17], v[141:142], v[16:17]
	scratch_load_b128 v[10:13], off, off offset:320
	v_add_f64_e32 v[143:144], v[143:144], v[131:132]
	v_add_f64_e32 v[145:146], v[145:146], v[133:134]
	s_wait_loadcnt_dscnt 0x900
	v_mul_f64_e32 v[153:154], v[2:3], v[20:21]
	v_mul_f64_e32 v[20:21], v[4:5], v[20:21]
	ds_load_b128 v[131:134], v1 offset:864
	v_fma_f64 v[141:142], v[141:142], v[14:15], v[147:148]
	v_fma_f64 v[139:140], v[139:140], v[14:15], -v[16:17]
	scratch_load_b128 v[14:17], off, off offset:336
	v_add_f64_e32 v[143:144], v[143:144], v[151:152]
	v_add_f64_e32 v[145:146], v[145:146], v[149:150]
	v_fma_f64 v[149:150], v[4:5], v[18:19], v[153:154]
	v_fma_f64 v[151:152], v[2:3], v[18:19], -v[20:21]
	ds_load_b128 v[2:5], v1 offset:880
	s_wait_loadcnt_dscnt 0x901
	v_mul_f64_e32 v[147:148], v[131:132], v[24:25]
	v_mul_f64_e32 v[24:25], v[133:134], v[24:25]
	scratch_load_b128 v[18:21], off, off offset:352
	s_wait_loadcnt_dscnt 0x900
	v_mul_f64_e32 v[153:154], v[2:3], v[28:29]
	v_mul_f64_e32 v[28:29], v[4:5], v[28:29]
	v_add_f64_e32 v[143:144], v[143:144], v[139:140]
	v_add_f64_e32 v[145:146], v[145:146], v[141:142]
	ds_load_b128 v[139:142], v1 offset:896
	v_fma_f64 v[133:134], v[133:134], v[22:23], v[147:148]
	v_fma_f64 v[131:132], v[131:132], v[22:23], -v[24:25]
	scratch_load_b128 v[22:25], off, off offset:368
	v_add_f64_e32 v[143:144], v[143:144], v[151:152]
	v_add_f64_e32 v[145:146], v[145:146], v[149:150]
	v_fma_f64 v[149:150], v[4:5], v[26:27], v[153:154]
	v_fma_f64 v[151:152], v[2:3], v[26:27], -v[28:29]
	ds_load_b128 v[2:5], v1 offset:912
	s_wait_loadcnt_dscnt 0x901
	v_mul_f64_e32 v[147:148], v[139:140], v[32:33]
	v_mul_f64_e32 v[32:33], v[141:142], v[32:33]
	scratch_load_b128 v[26:29], off, off offset:384
	s_wait_loadcnt_dscnt 0x900
	v_mul_f64_e32 v[153:154], v[2:3], v[36:37]
	v_mul_f64_e32 v[36:37], v[4:5], v[36:37]
	v_add_f64_e32 v[143:144], v[143:144], v[131:132]
	v_add_f64_e32 v[145:146], v[145:146], v[133:134]
	ds_load_b128 v[131:134], v1 offset:928
	v_fma_f64 v[141:142], v[141:142], v[30:31], v[147:148]
	v_fma_f64 v[139:140], v[139:140], v[30:31], -v[32:33]
	scratch_load_b128 v[30:33], off, off offset:400
	v_add_f64_e32 v[143:144], v[143:144], v[151:152]
	v_add_f64_e32 v[145:146], v[145:146], v[149:150]
	v_fma_f64 v[151:152], v[4:5], v[34:35], v[153:154]
	v_fma_f64 v[153:154], v[2:3], v[34:35], -v[36:37]
	ds_load_b128 v[2:5], v1 offset:944
	s_wait_loadcnt_dscnt 0x801
	v_mul_f64_e32 v[147:148], v[131:132], v[137:138]
	v_mul_f64_e32 v[149:150], v[133:134], v[137:138]
	scratch_load_b128 v[34:37], off, off offset:416
	v_add_f64_e32 v[143:144], v[143:144], v[139:140]
	v_add_f64_e32 v[141:142], v[145:146], v[141:142]
	ds_load_b128 v[137:140], v1 offset:960
	v_fma_f64 v[147:148], v[133:134], v[135:136], v[147:148]
	v_fma_f64 v[135:136], v[131:132], v[135:136], -v[149:150]
	scratch_load_b128 v[131:134], off, off offset:432
	s_wait_loadcnt_dscnt 0x901
	v_mul_f64_e32 v[145:146], v[2:3], v[40:41]
	v_mul_f64_e32 v[40:41], v[4:5], v[40:41]
	v_add_f64_e32 v[143:144], v[143:144], v[153:154]
	v_add_f64_e32 v[141:142], v[141:142], v[151:152]
	s_delay_alu instid0(VALU_DEP_4) | instskip(NEXT) | instid1(VALU_DEP_4)
	v_fma_f64 v[145:146], v[4:5], v[38:39], v[145:146]
	v_fma_f64 v[151:152], v[2:3], v[38:39], -v[40:41]
	ds_load_b128 v[2:5], v1 offset:976
	s_wait_loadcnt_dscnt 0x801
	v_mul_f64_e32 v[149:150], v[137:138], v[8:9]
	v_mul_f64_e32 v[8:9], v[139:140], v[8:9]
	scratch_load_b128 v[38:41], off, off offset:448
	s_wait_loadcnt_dscnt 0x800
	v_mul_f64_e32 v[153:154], v[2:3], v[12:13]
	v_add_f64_e32 v[135:136], v[143:144], v[135:136]
	v_add_f64_e32 v[147:148], v[141:142], v[147:148]
	v_mul_f64_e32 v[12:13], v[4:5], v[12:13]
	ds_load_b128 v[141:144], v1 offset:992
	v_fma_f64 v[139:140], v[139:140], v[6:7], v[149:150]
	v_fma_f64 v[137:138], v[137:138], v[6:7], -v[8:9]
	scratch_load_b128 v[6:9], off, off offset:464
	v_fma_f64 v[149:150], v[4:5], v[10:11], v[153:154]
	v_add_f64_e32 v[135:136], v[135:136], v[151:152]
	v_add_f64_e32 v[145:146], v[147:148], v[145:146]
	v_fma_f64 v[151:152], v[2:3], v[10:11], -v[12:13]
	ds_load_b128 v[2:5], v1 offset:1008
	s_wait_loadcnt_dscnt 0x801
	v_mul_f64_e32 v[147:148], v[141:142], v[16:17]
	v_mul_f64_e32 v[16:17], v[143:144], v[16:17]
	scratch_load_b128 v[10:13], off, off offset:480
	v_add_f64_e32 v[153:154], v[135:136], v[137:138]
	v_add_f64_e32 v[139:140], v[145:146], v[139:140]
	s_wait_loadcnt_dscnt 0x800
	v_mul_f64_e32 v[145:146], v[2:3], v[20:21]
	v_mul_f64_e32 v[20:21], v[4:5], v[20:21]
	v_fma_f64 v[143:144], v[143:144], v[14:15], v[147:148]
	v_fma_f64 v[141:142], v[141:142], v[14:15], -v[16:17]
	ds_load_b128 v[135:138], v1 offset:1024
	scratch_load_b128 v[14:17], off, off offset:496
	v_add_f64_e32 v[147:148], v[153:154], v[151:152]
	v_add_f64_e32 v[139:140], v[139:140], v[149:150]
	v_fma_f64 v[145:146], v[4:5], v[18:19], v[145:146]
	v_fma_f64 v[151:152], v[2:3], v[18:19], -v[20:21]
	ds_load_b128 v[2:5], v1 offset:1040
	s_wait_loadcnt_dscnt 0x801
	v_mul_f64_e32 v[149:150], v[135:136], v[24:25]
	v_mul_f64_e32 v[24:25], v[137:138], v[24:25]
	scratch_load_b128 v[18:21], off, off offset:512
	s_wait_loadcnt_dscnt 0x800
	v_mul_f64_e32 v[153:154], v[2:3], v[28:29]
	v_mul_f64_e32 v[28:29], v[4:5], v[28:29]
	v_add_f64_e32 v[147:148], v[147:148], v[141:142]
	v_add_f64_e32 v[143:144], v[139:140], v[143:144]
	ds_load_b128 v[139:142], v1 offset:1056
	v_fma_f64 v[137:138], v[137:138], v[22:23], v[149:150]
	v_fma_f64 v[135:136], v[135:136], v[22:23], -v[24:25]
	scratch_load_b128 v[22:25], off, off offset:528
	v_fma_f64 v[149:150], v[4:5], v[26:27], v[153:154]
	v_add_f64_e32 v[147:148], v[147:148], v[151:152]
	v_add_f64_e32 v[143:144], v[143:144], v[145:146]
	v_fma_f64 v[151:152], v[2:3], v[26:27], -v[28:29]
	ds_load_b128 v[2:5], v1 offset:1072
	s_wait_loadcnt_dscnt 0x801
	v_mul_f64_e32 v[145:146], v[139:140], v[32:33]
	v_mul_f64_e32 v[32:33], v[141:142], v[32:33]
	scratch_load_b128 v[26:29], off, off offset:544
	s_wait_loadcnt_dscnt 0x800
	v_mul_f64_e32 v[153:154], v[2:3], v[36:37]
	v_mul_f64_e32 v[36:37], v[4:5], v[36:37]
	v_add_f64_e32 v[147:148], v[147:148], v[135:136]
	v_add_f64_e32 v[143:144], v[143:144], v[137:138]
	ds_load_b128 v[135:138], v1 offset:1088
	v_fma_f64 v[141:142], v[141:142], v[30:31], v[145:146]
	v_fma_f64 v[139:140], v[139:140], v[30:31], -v[32:33]
	scratch_load_b128 v[30:33], off, off offset:560
	v_add_f64_e32 v[145:146], v[147:148], v[151:152]
	v_add_f64_e32 v[143:144], v[143:144], v[149:150]
	v_fma_f64 v[149:150], v[4:5], v[34:35], v[153:154]
	v_fma_f64 v[151:152], v[2:3], v[34:35], -v[36:37]
	ds_load_b128 v[2:5], v1 offset:1104
	s_wait_loadcnt_dscnt 0x801
	v_mul_f64_e32 v[147:148], v[135:136], v[133:134]
	v_mul_f64_e32 v[133:134], v[137:138], v[133:134]
	scratch_load_b128 v[34:37], off, off offset:576
	s_wait_loadcnt_dscnt 0x800
	v_mul_f64_e32 v[153:154], v[2:3], v[40:41]
	v_mul_f64_e32 v[40:41], v[4:5], v[40:41]
	v_add_f64_e32 v[145:146], v[145:146], v[139:140]
	v_add_f64_e32 v[143:144], v[143:144], v[141:142]
	ds_load_b128 v[139:142], v1 offset:1120
	v_fma_f64 v[137:138], v[137:138], v[131:132], v[147:148]
	v_fma_f64 v[135:136], v[135:136], v[131:132], -v[133:134]
	scratch_load_b128 v[131:134], off, off offset:592
	v_add_f64_e32 v[145:146], v[145:146], v[151:152]
	v_add_f64_e32 v[143:144], v[143:144], v[149:150]
	v_fma_f64 v[149:150], v[4:5], v[38:39], v[153:154]
	;; [unrolled: 18-line block ×4, first 2 shown]
	v_fma_f64 v[151:152], v[2:3], v[18:19], -v[20:21]
	ds_load_b128 v[2:5], v1 offset:1200
	s_wait_loadcnt_dscnt 0x801
	v_mul_f64_e32 v[147:148], v[139:140], v[24:25]
	v_mul_f64_e32 v[24:25], v[141:142], v[24:25]
	scratch_load_b128 v[18:21], off, off offset:672
	s_wait_loadcnt_dscnt 0x800
	v_mul_f64_e32 v[153:154], v[2:3], v[28:29]
	v_mul_f64_e32 v[28:29], v[4:5], v[28:29]
	v_add_f64_e32 v[145:146], v[145:146], v[135:136]
	v_add_f64_e32 v[143:144], v[143:144], v[137:138]
	ds_load_b128 v[135:138], v1 offset:1216
	v_fma_f64 v[141:142], v[141:142], v[22:23], v[147:148]
	v_fma_f64 v[22:23], v[139:140], v[22:23], -v[24:25]
	v_add_f64_e32 v[24:25], v[145:146], v[151:152]
	v_add_f64_e32 v[139:140], v[143:144], v[149:150]
	s_wait_loadcnt_dscnt 0x700
	v_mul_f64_e32 v[143:144], v[135:136], v[32:33]
	v_mul_f64_e32 v[32:33], v[137:138], v[32:33]
	v_fma_f64 v[145:146], v[4:5], v[26:27], v[153:154]
	v_fma_f64 v[26:27], v[2:3], v[26:27], -v[28:29]
	v_add_f64_e32 v[28:29], v[24:25], v[22:23]
	v_add_f64_e32 v[139:140], v[139:140], v[141:142]
	ds_load_b128 v[2:5], v1 offset:1232
	ds_load_b128 v[22:25], v1 offset:1248
	v_fma_f64 v[137:138], v[137:138], v[30:31], v[143:144]
	v_fma_f64 v[30:31], v[135:136], v[30:31], -v[32:33]
	s_wait_loadcnt_dscnt 0x601
	v_mul_f64_e32 v[141:142], v[2:3], v[36:37]
	v_mul_f64_e32 v[36:37], v[4:5], v[36:37]
	s_wait_loadcnt_dscnt 0x500
	v_mul_f64_e32 v[32:33], v[22:23], v[133:134]
	v_mul_f64_e32 v[133:134], v[24:25], v[133:134]
	v_add_f64_e32 v[26:27], v[28:29], v[26:27]
	v_add_f64_e32 v[28:29], v[139:140], v[145:146]
	v_fma_f64 v[135:136], v[4:5], v[34:35], v[141:142]
	v_fma_f64 v[34:35], v[2:3], v[34:35], -v[36:37]
	v_fma_f64 v[24:25], v[24:25], v[131:132], v[32:33]
	v_fma_f64 v[22:23], v[22:23], v[131:132], -v[133:134]
	v_add_f64_e32 v[30:31], v[26:27], v[30:31]
	v_add_f64_e32 v[36:37], v[28:29], v[137:138]
	ds_load_b128 v[2:5], v1 offset:1264
	ds_load_b128 v[26:29], v1 offset:1280
	s_wait_loadcnt_dscnt 0x401
	v_mul_f64_e32 v[137:138], v[2:3], v[40:41]
	v_mul_f64_e32 v[40:41], v[4:5], v[40:41]
	v_add_f64_e32 v[30:31], v[30:31], v[34:35]
	v_add_f64_e32 v[32:33], v[36:37], v[135:136]
	s_wait_loadcnt_dscnt 0x300
	v_mul_f64_e32 v[34:35], v[26:27], v[8:9]
	v_mul_f64_e32 v[8:9], v[28:29], v[8:9]
	v_fma_f64 v[36:37], v[4:5], v[38:39], v[137:138]
	v_fma_f64 v[38:39], v[2:3], v[38:39], -v[40:41]
	v_add_f64_e32 v[30:31], v[30:31], v[22:23]
	v_add_f64_e32 v[32:33], v[32:33], v[24:25]
	ds_load_b128 v[2:5], v1 offset:1296
	ds_load_b128 v[22:25], v1 offset:1312
	v_fma_f64 v[28:29], v[28:29], v[6:7], v[34:35]
	v_fma_f64 v[6:7], v[26:27], v[6:7], -v[8:9]
	s_wait_loadcnt_dscnt 0x201
	v_mul_f64_e32 v[40:41], v[2:3], v[12:13]
	v_mul_f64_e32 v[12:13], v[4:5], v[12:13]
	v_add_f64_e32 v[8:9], v[30:31], v[38:39]
	v_add_f64_e32 v[26:27], v[32:33], v[36:37]
	s_wait_loadcnt_dscnt 0x100
	v_mul_f64_e32 v[30:31], v[22:23], v[16:17]
	v_mul_f64_e32 v[16:17], v[24:25], v[16:17]
	v_fma_f64 v[32:33], v[4:5], v[10:11], v[40:41]
	v_fma_f64 v[10:11], v[2:3], v[10:11], -v[12:13]
	ds_load_b128 v[2:5], v1 offset:1328
	v_add_f64_e32 v[6:7], v[8:9], v[6:7]
	v_add_f64_e32 v[8:9], v[26:27], v[28:29]
	v_fma_f64 v[24:25], v[24:25], v[14:15], v[30:31]
	v_fma_f64 v[14:15], v[22:23], v[14:15], -v[16:17]
	s_wait_loadcnt_dscnt 0x0
	v_mul_f64_e32 v[12:13], v[2:3], v[20:21]
	v_mul_f64_e32 v[20:21], v[4:5], v[20:21]
	v_add_f64_e32 v[6:7], v[6:7], v[10:11]
	v_add_f64_e32 v[8:9], v[8:9], v[32:33]
	s_delay_alu instid0(VALU_DEP_4) | instskip(NEXT) | instid1(VALU_DEP_4)
	v_fma_f64 v[4:5], v[4:5], v[18:19], v[12:13]
	v_fma_f64 v[2:3], v[2:3], v[18:19], -v[20:21]
	s_delay_alu instid0(VALU_DEP_4) | instskip(NEXT) | instid1(VALU_DEP_4)
	v_add_f64_e32 v[6:7], v[6:7], v[14:15]
	v_add_f64_e32 v[8:9], v[8:9], v[24:25]
	s_delay_alu instid0(VALU_DEP_2) | instskip(NEXT) | instid1(VALU_DEP_2)
	v_add_f64_e32 v[2:3], v[6:7], v[2:3]
	v_add_f64_e32 v[4:5], v[8:9], v[4:5]
	s_delay_alu instid0(VALU_DEP_2) | instskip(NEXT) | instid1(VALU_DEP_2)
	v_add_f64_e64 v[2:3], v[42:43], -v[2:3]
	v_add_f64_e64 v[4:5], v[44:45], -v[4:5]
	scratch_store_b128 off, v[2:5], off offset:112
	v_cmpx_lt_u32_e32 5, v0
	s_cbranch_execz .LBB105_255
; %bb.254:
	scratch_load_b128 v[5:8], off, s4
	v_dual_mov_b32 v2, v1 :: v_dual_mov_b32 v3, v1
	v_mov_b32_e32 v4, v1
	scratch_store_b128 off, v[1:4], off offset:96
	s_wait_loadcnt 0x0
	ds_store_b128 v130, v[5:8]
.LBB105_255:
	s_wait_alu 0xfffe
	s_or_b32 exec_lo, exec_lo, s0
	s_wait_storecnt_dscnt 0x0
	s_barrier_signal -1
	s_barrier_wait -1
	global_inv scope:SCOPE_SE
	s_clause 0x8
	scratch_load_b128 v[2:5], off, off offset:112
	scratch_load_b128 v[6:9], off, off offset:128
	;; [unrolled: 1-line block ×9, first 2 shown]
	ds_load_b128 v[38:41], v1 offset:768
	ds_load_b128 v[42:45], v1 offset:784
	s_clause 0x1
	scratch_load_b128 v[131:134], off, off offset:96
	scratch_load_b128 v[135:138], off, off offset:256
	s_mov_b32 s0, exec_lo
	s_wait_loadcnt_dscnt 0xa01
	v_mul_f64_e32 v[139:140], v[40:41], v[4:5]
	v_mul_f64_e32 v[4:5], v[38:39], v[4:5]
	s_wait_loadcnt_dscnt 0x900
	v_mul_f64_e32 v[143:144], v[42:43], v[8:9]
	v_mul_f64_e32 v[8:9], v[44:45], v[8:9]
	s_delay_alu instid0(VALU_DEP_4) | instskip(NEXT) | instid1(VALU_DEP_4)
	v_fma_f64 v[145:146], v[38:39], v[2:3], -v[139:140]
	v_fma_f64 v[147:148], v[40:41], v[2:3], v[4:5]
	ds_load_b128 v[2:5], v1 offset:800
	ds_load_b128 v[139:142], v1 offset:816
	scratch_load_b128 v[38:41], off, off offset:272
	v_fma_f64 v[44:45], v[44:45], v[6:7], v[143:144]
	v_fma_f64 v[42:43], v[42:43], v[6:7], -v[8:9]
	scratch_load_b128 v[6:9], off, off offset:288
	s_wait_loadcnt_dscnt 0xa01
	v_mul_f64_e32 v[149:150], v[2:3], v[12:13]
	v_mul_f64_e32 v[12:13], v[4:5], v[12:13]
	v_add_f64_e32 v[143:144], 0, v[145:146]
	v_add_f64_e32 v[145:146], 0, v[147:148]
	s_wait_loadcnt_dscnt 0x900
	v_mul_f64_e32 v[147:148], v[139:140], v[16:17]
	v_mul_f64_e32 v[16:17], v[141:142], v[16:17]
	v_fma_f64 v[149:150], v[4:5], v[10:11], v[149:150]
	v_fma_f64 v[151:152], v[2:3], v[10:11], -v[12:13]
	ds_load_b128 v[2:5], v1 offset:832
	scratch_load_b128 v[10:13], off, off offset:304
	v_add_f64_e32 v[143:144], v[143:144], v[42:43]
	v_add_f64_e32 v[145:146], v[145:146], v[44:45]
	ds_load_b128 v[42:45], v1 offset:848
	v_fma_f64 v[141:142], v[141:142], v[14:15], v[147:148]
	v_fma_f64 v[139:140], v[139:140], v[14:15], -v[16:17]
	scratch_load_b128 v[14:17], off, off offset:320
	s_wait_loadcnt_dscnt 0xa01
	v_mul_f64_e32 v[153:154], v[2:3], v[20:21]
	v_mul_f64_e32 v[20:21], v[4:5], v[20:21]
	s_wait_loadcnt_dscnt 0x900
	v_mul_f64_e32 v[147:148], v[42:43], v[24:25]
	v_mul_f64_e32 v[24:25], v[44:45], v[24:25]
	v_add_f64_e32 v[143:144], v[143:144], v[151:152]
	v_add_f64_e32 v[145:146], v[145:146], v[149:150]
	v_fma_f64 v[149:150], v[4:5], v[18:19], v[153:154]
	v_fma_f64 v[151:152], v[2:3], v[18:19], -v[20:21]
	ds_load_b128 v[2:5], v1 offset:864
	scratch_load_b128 v[18:21], off, off offset:336
	v_fma_f64 v[44:45], v[44:45], v[22:23], v[147:148]
	v_fma_f64 v[42:43], v[42:43], v[22:23], -v[24:25]
	scratch_load_b128 v[22:25], off, off offset:352
	v_add_f64_e32 v[143:144], v[143:144], v[139:140]
	v_add_f64_e32 v[145:146], v[145:146], v[141:142]
	ds_load_b128 v[139:142], v1 offset:880
	s_wait_loadcnt_dscnt 0xa01
	v_mul_f64_e32 v[153:154], v[2:3], v[28:29]
	v_mul_f64_e32 v[28:29], v[4:5], v[28:29]
	s_wait_loadcnt_dscnt 0x900
	v_mul_f64_e32 v[147:148], v[139:140], v[32:33]
	v_mul_f64_e32 v[32:33], v[141:142], v[32:33]
	v_add_f64_e32 v[143:144], v[143:144], v[151:152]
	v_add_f64_e32 v[145:146], v[145:146], v[149:150]
	v_fma_f64 v[149:150], v[4:5], v[26:27], v[153:154]
	v_fma_f64 v[151:152], v[2:3], v[26:27], -v[28:29]
	ds_load_b128 v[2:5], v1 offset:896
	scratch_load_b128 v[26:29], off, off offset:368
	v_fma_f64 v[141:142], v[141:142], v[30:31], v[147:148]
	v_fma_f64 v[139:140], v[139:140], v[30:31], -v[32:33]
	scratch_load_b128 v[30:33], off, off offset:384
	v_add_f64_e32 v[143:144], v[143:144], v[42:43]
	v_add_f64_e32 v[145:146], v[145:146], v[44:45]
	ds_load_b128 v[42:45], v1 offset:912
	s_wait_loadcnt_dscnt 0xa01
	v_mul_f64_e32 v[153:154], v[2:3], v[36:37]
	v_mul_f64_e32 v[36:37], v[4:5], v[36:37]
	s_wait_loadcnt_dscnt 0x800
	v_mul_f64_e32 v[147:148], v[42:43], v[137:138]
	v_add_f64_e32 v[143:144], v[143:144], v[151:152]
	v_add_f64_e32 v[145:146], v[145:146], v[149:150]
	v_mul_f64_e32 v[149:150], v[44:45], v[137:138]
	v_fma_f64 v[151:152], v[4:5], v[34:35], v[153:154]
	v_fma_f64 v[153:154], v[2:3], v[34:35], -v[36:37]
	ds_load_b128 v[2:5], v1 offset:928
	scratch_load_b128 v[34:37], off, off offset:400
	v_fma_f64 v[44:45], v[44:45], v[135:136], v[147:148]
	v_add_f64_e32 v[143:144], v[143:144], v[139:140]
	v_add_f64_e32 v[141:142], v[145:146], v[141:142]
	ds_load_b128 v[137:140], v1 offset:944
	v_fma_f64 v[135:136], v[42:43], v[135:136], -v[149:150]
	s_wait_loadcnt_dscnt 0x801
	v_mul_f64_e32 v[145:146], v[2:3], v[40:41]
	v_mul_f64_e32 v[155:156], v[4:5], v[40:41]
	scratch_load_b128 v[40:43], off, off offset:416
	s_wait_loadcnt_dscnt 0x800
	v_mul_f64_e32 v[149:150], v[137:138], v[8:9]
	v_mul_f64_e32 v[8:9], v[139:140], v[8:9]
	v_add_f64_e32 v[143:144], v[143:144], v[153:154]
	v_add_f64_e32 v[141:142], v[141:142], v[151:152]
	v_fma_f64 v[151:152], v[4:5], v[38:39], v[145:146]
	v_fma_f64 v[38:39], v[2:3], v[38:39], -v[155:156]
	ds_load_b128 v[2:5], v1 offset:960
	ds_load_b128 v[145:148], v1 offset:976
	v_fma_f64 v[139:140], v[139:140], v[6:7], v[149:150]
	v_fma_f64 v[137:138], v[137:138], v[6:7], -v[8:9]
	scratch_load_b128 v[6:9], off, off offset:448
	v_add_f64_e32 v[135:136], v[143:144], v[135:136]
	v_add_f64_e32 v[44:45], v[141:142], v[44:45]
	scratch_load_b128 v[141:144], off, off offset:432
	s_wait_loadcnt_dscnt 0x901
	v_mul_f64_e32 v[153:154], v[2:3], v[12:13]
	v_mul_f64_e32 v[12:13], v[4:5], v[12:13]
	s_wait_loadcnt_dscnt 0x800
	v_mul_f64_e32 v[149:150], v[145:146], v[16:17]
	v_mul_f64_e32 v[16:17], v[147:148], v[16:17]
	v_add_f64_e32 v[38:39], v[135:136], v[38:39]
	v_add_f64_e32 v[44:45], v[44:45], v[151:152]
	v_fma_f64 v[151:152], v[4:5], v[10:11], v[153:154]
	v_fma_f64 v[153:154], v[2:3], v[10:11], -v[12:13]
	ds_load_b128 v[2:5], v1 offset:992
	scratch_load_b128 v[10:13], off, off offset:464
	v_fma_f64 v[147:148], v[147:148], v[14:15], v[149:150]
	v_fma_f64 v[145:146], v[145:146], v[14:15], -v[16:17]
	scratch_load_b128 v[14:17], off, off offset:480
	v_add_f64_e32 v[38:39], v[38:39], v[137:138]
	v_add_f64_e32 v[44:45], v[44:45], v[139:140]
	ds_load_b128 v[135:138], v1 offset:1008
	s_wait_loadcnt_dscnt 0x901
	v_mul_f64_e32 v[139:140], v[2:3], v[20:21]
	v_mul_f64_e32 v[20:21], v[4:5], v[20:21]
	s_wait_loadcnt_dscnt 0x800
	v_mul_f64_e32 v[149:150], v[135:136], v[24:25]
	v_mul_f64_e32 v[24:25], v[137:138], v[24:25]
	v_add_f64_e32 v[38:39], v[38:39], v[153:154]
	v_add_f64_e32 v[44:45], v[44:45], v[151:152]
	v_fma_f64 v[139:140], v[4:5], v[18:19], v[139:140]
	v_fma_f64 v[151:152], v[2:3], v[18:19], -v[20:21]
	ds_load_b128 v[2:5], v1 offset:1024
	scratch_load_b128 v[18:21], off, off offset:496
	v_fma_f64 v[137:138], v[137:138], v[22:23], v[149:150]
	v_fma_f64 v[135:136], v[135:136], v[22:23], -v[24:25]
	scratch_load_b128 v[22:25], off, off offset:512
	v_add_f64_e32 v[38:39], v[38:39], v[145:146]
	v_add_f64_e32 v[44:45], v[44:45], v[147:148]
	ds_load_b128 v[145:148], v1 offset:1040
	s_wait_loadcnt_dscnt 0x901
	v_mul_f64_e32 v[153:154], v[2:3], v[28:29]
	v_mul_f64_e32 v[28:29], v[4:5], v[28:29]
	v_add_f64_e32 v[38:39], v[38:39], v[151:152]
	v_add_f64_e32 v[44:45], v[44:45], v[139:140]
	s_wait_loadcnt_dscnt 0x800
	v_mul_f64_e32 v[139:140], v[145:146], v[32:33]
	v_mul_f64_e32 v[32:33], v[147:148], v[32:33]
	v_fma_f64 v[149:150], v[4:5], v[26:27], v[153:154]
	v_fma_f64 v[151:152], v[2:3], v[26:27], -v[28:29]
	ds_load_b128 v[2:5], v1 offset:1056
	scratch_load_b128 v[26:29], off, off offset:528
	v_add_f64_e32 v[38:39], v[38:39], v[135:136]
	v_add_f64_e32 v[44:45], v[44:45], v[137:138]
	ds_load_b128 v[135:138], v1 offset:1072
	s_wait_loadcnt_dscnt 0x801
	v_mul_f64_e32 v[153:154], v[2:3], v[36:37]
	v_mul_f64_e32 v[36:37], v[4:5], v[36:37]
	v_fma_f64 v[139:140], v[147:148], v[30:31], v[139:140]
	v_fma_f64 v[145:146], v[145:146], v[30:31], -v[32:33]
	scratch_load_b128 v[30:33], off, off offset:544
	s_wait_loadcnt_dscnt 0x800
	v_mul_f64_e32 v[147:148], v[135:136], v[42:43]
	v_add_f64_e32 v[38:39], v[38:39], v[151:152]
	v_add_f64_e32 v[44:45], v[44:45], v[149:150]
	v_mul_f64_e32 v[149:150], v[137:138], v[42:43]
	v_fma_f64 v[151:152], v[4:5], v[34:35], v[153:154]
	v_fma_f64 v[153:154], v[2:3], v[34:35], -v[36:37]
	ds_load_b128 v[2:5], v1 offset:1088
	scratch_load_b128 v[34:37], off, off offset:560
	v_fma_f64 v[137:138], v[137:138], v[40:41], v[147:148]
	v_add_f64_e32 v[38:39], v[38:39], v[145:146]
	v_add_f64_e32 v[139:140], v[44:45], v[139:140]
	ds_load_b128 v[42:45], v1 offset:1104
	v_fma_f64 v[135:136], v[135:136], v[40:41], -v[149:150]
	s_wait_loadcnt_dscnt 0x701
	v_mul_f64_e32 v[145:146], v[2:3], v[143:144]
	v_mul_f64_e32 v[143:144], v[4:5], v[143:144]
	s_wait_dscnt 0x0
	v_mul_f64_e32 v[149:150], v[42:43], v[8:9]
	v_mul_f64_e32 v[8:9], v[44:45], v[8:9]
	v_add_f64_e32 v[147:148], v[38:39], v[153:154]
	v_add_f64_e32 v[139:140], v[139:140], v[151:152]
	scratch_load_b128 v[38:41], off, off offset:576
	v_fma_f64 v[145:146], v[4:5], v[141:142], v[145:146]
	v_fma_f64 v[143:144], v[2:3], v[141:142], -v[143:144]
	ds_load_b128 v[2:5], v1 offset:1120
	v_fma_f64 v[44:45], v[44:45], v[6:7], v[149:150]
	v_fma_f64 v[42:43], v[42:43], v[6:7], -v[8:9]
	scratch_load_b128 v[6:9], off, off offset:608
	v_add_f64_e32 v[147:148], v[147:148], v[135:136]
	v_add_f64_e32 v[151:152], v[139:140], v[137:138]
	scratch_load_b128 v[135:138], off, off offset:592
	ds_load_b128 v[139:142], v1 offset:1136
	s_wait_loadcnt_dscnt 0x901
	v_mul_f64_e32 v[153:154], v[2:3], v[12:13]
	v_mul_f64_e32 v[12:13], v[4:5], v[12:13]
	v_add_f64_e32 v[143:144], v[147:148], v[143:144]
	v_add_f64_e32 v[145:146], v[151:152], v[145:146]
	s_wait_loadcnt_dscnt 0x800
	v_mul_f64_e32 v[147:148], v[139:140], v[16:17]
	v_mul_f64_e32 v[16:17], v[141:142], v[16:17]
	v_fma_f64 v[149:150], v[4:5], v[10:11], v[153:154]
	v_fma_f64 v[151:152], v[2:3], v[10:11], -v[12:13]
	ds_load_b128 v[2:5], v1 offset:1152
	scratch_load_b128 v[10:13], off, off offset:624
	v_add_f64_e32 v[143:144], v[143:144], v[42:43]
	v_add_f64_e32 v[145:146], v[145:146], v[44:45]
	ds_load_b128 v[42:45], v1 offset:1168
	s_wait_loadcnt_dscnt 0x801
	v_mul_f64_e32 v[153:154], v[2:3], v[20:21]
	v_mul_f64_e32 v[20:21], v[4:5], v[20:21]
	v_fma_f64 v[141:142], v[141:142], v[14:15], v[147:148]
	v_fma_f64 v[139:140], v[139:140], v[14:15], -v[16:17]
	scratch_load_b128 v[14:17], off, off offset:640
	s_wait_loadcnt_dscnt 0x800
	v_mul_f64_e32 v[147:148], v[42:43], v[24:25]
	v_mul_f64_e32 v[24:25], v[44:45], v[24:25]
	v_add_f64_e32 v[143:144], v[143:144], v[151:152]
	v_add_f64_e32 v[145:146], v[145:146], v[149:150]
	v_fma_f64 v[149:150], v[4:5], v[18:19], v[153:154]
	v_fma_f64 v[151:152], v[2:3], v[18:19], -v[20:21]
	ds_load_b128 v[2:5], v1 offset:1184
	scratch_load_b128 v[18:21], off, off offset:656
	v_fma_f64 v[44:45], v[44:45], v[22:23], v[147:148]
	v_fma_f64 v[42:43], v[42:43], v[22:23], -v[24:25]
	scratch_load_b128 v[22:25], off, off offset:672
	v_add_f64_e32 v[143:144], v[143:144], v[139:140]
	v_add_f64_e32 v[145:146], v[145:146], v[141:142]
	ds_load_b128 v[139:142], v1 offset:1200
	s_wait_loadcnt_dscnt 0x901
	v_mul_f64_e32 v[153:154], v[2:3], v[28:29]
	v_mul_f64_e32 v[28:29], v[4:5], v[28:29]
	s_wait_loadcnt_dscnt 0x800
	v_mul_f64_e32 v[147:148], v[139:140], v[32:33]
	v_mul_f64_e32 v[32:33], v[141:142], v[32:33]
	v_add_f64_e32 v[143:144], v[143:144], v[151:152]
	v_add_f64_e32 v[145:146], v[145:146], v[149:150]
	v_fma_f64 v[149:150], v[4:5], v[26:27], v[153:154]
	v_fma_f64 v[151:152], v[2:3], v[26:27], -v[28:29]
	ds_load_b128 v[2:5], v1 offset:1216
	ds_load_b128 v[26:29], v1 offset:1232
	v_fma_f64 v[141:142], v[141:142], v[30:31], v[147:148]
	v_fma_f64 v[30:31], v[139:140], v[30:31], -v[32:33]
	v_add_f64_e32 v[42:43], v[143:144], v[42:43]
	v_add_f64_e32 v[44:45], v[145:146], v[44:45]
	s_wait_loadcnt_dscnt 0x701
	v_mul_f64_e32 v[143:144], v[2:3], v[36:37]
	v_mul_f64_e32 v[36:37], v[4:5], v[36:37]
	s_delay_alu instid0(VALU_DEP_4) | instskip(NEXT) | instid1(VALU_DEP_4)
	v_add_f64_e32 v[32:33], v[42:43], v[151:152]
	v_add_f64_e32 v[42:43], v[44:45], v[149:150]
	s_delay_alu instid0(VALU_DEP_4) | instskip(NEXT) | instid1(VALU_DEP_4)
	v_fma_f64 v[139:140], v[4:5], v[34:35], v[143:144]
	v_fma_f64 v[34:35], v[2:3], v[34:35], -v[36:37]
	s_wait_loadcnt_dscnt 0x600
	v_mul_f64_e32 v[44:45], v[26:27], v[40:41]
	v_mul_f64_e32 v[40:41], v[28:29], v[40:41]
	v_add_f64_e32 v[36:37], v[32:33], v[30:31]
	v_add_f64_e32 v[42:43], v[42:43], v[141:142]
	ds_load_b128 v[2:5], v1 offset:1248
	ds_load_b128 v[30:33], v1 offset:1264
	v_fma_f64 v[28:29], v[28:29], v[38:39], v[44:45]
	v_fma_f64 v[26:27], v[26:27], v[38:39], -v[40:41]
	s_wait_loadcnt_dscnt 0x401
	v_mul_f64_e32 v[141:142], v[2:3], v[137:138]
	v_mul_f64_e32 v[137:138], v[4:5], v[137:138]
	s_wait_dscnt 0x0
	v_mul_f64_e32 v[38:39], v[30:31], v[8:9]
	v_mul_f64_e32 v[8:9], v[32:33], v[8:9]
	v_add_f64_e32 v[34:35], v[36:37], v[34:35]
	v_add_f64_e32 v[36:37], v[42:43], v[139:140]
	v_fma_f64 v[40:41], v[4:5], v[135:136], v[141:142]
	v_fma_f64 v[42:43], v[2:3], v[135:136], -v[137:138]
	v_fma_f64 v[32:33], v[32:33], v[6:7], v[38:39]
	v_fma_f64 v[6:7], v[30:31], v[6:7], -v[8:9]
	v_add_f64_e32 v[34:35], v[34:35], v[26:27]
	v_add_f64_e32 v[36:37], v[36:37], v[28:29]
	ds_load_b128 v[2:5], v1 offset:1280
	ds_load_b128 v[26:29], v1 offset:1296
	s_wait_loadcnt_dscnt 0x301
	v_mul_f64_e32 v[44:45], v[2:3], v[12:13]
	v_mul_f64_e32 v[12:13], v[4:5], v[12:13]
	v_add_f64_e32 v[8:9], v[34:35], v[42:43]
	v_add_f64_e32 v[30:31], v[36:37], v[40:41]
	s_wait_loadcnt_dscnt 0x200
	v_mul_f64_e32 v[34:35], v[26:27], v[16:17]
	v_mul_f64_e32 v[16:17], v[28:29], v[16:17]
	v_fma_f64 v[36:37], v[4:5], v[10:11], v[44:45]
	v_fma_f64 v[10:11], v[2:3], v[10:11], -v[12:13]
	v_add_f64_e32 v[12:13], v[8:9], v[6:7]
	v_add_f64_e32 v[30:31], v[30:31], v[32:33]
	ds_load_b128 v[2:5], v1 offset:1312
	ds_load_b128 v[6:9], v1 offset:1328
	v_fma_f64 v[28:29], v[28:29], v[14:15], v[34:35]
	v_fma_f64 v[14:15], v[26:27], v[14:15], -v[16:17]
	s_wait_loadcnt_dscnt 0x101
	v_mul_f64_e32 v[32:33], v[2:3], v[20:21]
	v_mul_f64_e32 v[20:21], v[4:5], v[20:21]
	s_wait_loadcnt_dscnt 0x0
	v_mul_f64_e32 v[16:17], v[6:7], v[24:25]
	v_mul_f64_e32 v[24:25], v[8:9], v[24:25]
	v_add_f64_e32 v[10:11], v[12:13], v[10:11]
	v_add_f64_e32 v[12:13], v[30:31], v[36:37]
	v_fma_f64 v[4:5], v[4:5], v[18:19], v[32:33]
	v_fma_f64 v[1:2], v[2:3], v[18:19], -v[20:21]
	v_fma_f64 v[8:9], v[8:9], v[22:23], v[16:17]
	v_fma_f64 v[6:7], v[6:7], v[22:23], -v[24:25]
	v_add_f64_e32 v[10:11], v[10:11], v[14:15]
	v_add_f64_e32 v[12:13], v[12:13], v[28:29]
	s_delay_alu instid0(VALU_DEP_2) | instskip(NEXT) | instid1(VALU_DEP_2)
	v_add_f64_e32 v[1:2], v[10:11], v[1:2]
	v_add_f64_e32 v[3:4], v[12:13], v[4:5]
	s_delay_alu instid0(VALU_DEP_2) | instskip(NEXT) | instid1(VALU_DEP_2)
	;; [unrolled: 3-line block ×3, first 2 shown]
	v_add_f64_e64 v[1:2], v[131:132], -v[1:2]
	v_add_f64_e64 v[3:4], v[133:134], -v[3:4]
	scratch_store_b128 off, v[1:4], off offset:96
	v_cmpx_lt_u32_e32 4, v0
	s_cbranch_execz .LBB105_257
; %bb.256:
	scratch_load_b128 v[1:4], off, s29
	v_mov_b32_e32 v5, 0
	s_delay_alu instid0(VALU_DEP_1)
	v_dual_mov_b32 v6, v5 :: v_dual_mov_b32 v7, v5
	v_mov_b32_e32 v8, v5
	scratch_store_b128 off, v[5:8], off offset:80
	s_wait_loadcnt 0x0
	ds_store_b128 v130, v[1:4]
.LBB105_257:
	s_wait_alu 0xfffe
	s_or_b32 exec_lo, exec_lo, s0
	s_wait_storecnt_dscnt 0x0
	s_barrier_signal -1
	s_barrier_wait -1
	global_inv scope:SCOPE_SE
	s_clause 0x7
	scratch_load_b128 v[2:5], off, off offset:96
	scratch_load_b128 v[6:9], off, off offset:112
	;; [unrolled: 1-line block ×8, first 2 shown]
	v_mov_b32_e32 v1, 0
	s_mov_b32 s0, exec_lo
	ds_load_b128 v[38:41], v1 offset:752
	s_clause 0x1
	scratch_load_b128 v[34:37], off, off offset:224
	scratch_load_b128 v[42:45], off, off offset:80
	ds_load_b128 v[131:134], v1 offset:768
	scratch_load_b128 v[135:138], off, off offset:240
	s_wait_loadcnt_dscnt 0xa01
	v_mul_f64_e32 v[139:140], v[40:41], v[4:5]
	v_mul_f64_e32 v[4:5], v[38:39], v[4:5]
	s_delay_alu instid0(VALU_DEP_2) | instskip(NEXT) | instid1(VALU_DEP_2)
	v_fma_f64 v[145:146], v[38:39], v[2:3], -v[139:140]
	v_fma_f64 v[147:148], v[40:41], v[2:3], v[4:5]
	ds_load_b128 v[2:5], v1 offset:784
	s_wait_loadcnt_dscnt 0x901
	v_mul_f64_e32 v[143:144], v[131:132], v[8:9]
	v_mul_f64_e32 v[8:9], v[133:134], v[8:9]
	scratch_load_b128 v[38:41], off, off offset:256
	ds_load_b128 v[139:142], v1 offset:800
	s_wait_loadcnt_dscnt 0x901
	v_mul_f64_e32 v[149:150], v[2:3], v[12:13]
	v_mul_f64_e32 v[12:13], v[4:5], v[12:13]
	v_fma_f64 v[133:134], v[133:134], v[6:7], v[143:144]
	v_fma_f64 v[131:132], v[131:132], v[6:7], -v[8:9]
	v_add_f64_e32 v[143:144], 0, v[145:146]
	v_add_f64_e32 v[145:146], 0, v[147:148]
	scratch_load_b128 v[6:9], off, off offset:272
	v_fma_f64 v[149:150], v[4:5], v[10:11], v[149:150]
	v_fma_f64 v[151:152], v[2:3], v[10:11], -v[12:13]
	ds_load_b128 v[2:5], v1 offset:816
	s_wait_loadcnt_dscnt 0x901
	v_mul_f64_e32 v[147:148], v[139:140], v[16:17]
	v_mul_f64_e32 v[16:17], v[141:142], v[16:17]
	scratch_load_b128 v[10:13], off, off offset:288
	v_add_f64_e32 v[143:144], v[143:144], v[131:132]
	v_add_f64_e32 v[145:146], v[145:146], v[133:134]
	s_wait_loadcnt_dscnt 0x900
	v_mul_f64_e32 v[153:154], v[2:3], v[20:21]
	v_mul_f64_e32 v[20:21], v[4:5], v[20:21]
	ds_load_b128 v[131:134], v1 offset:832
	v_fma_f64 v[141:142], v[141:142], v[14:15], v[147:148]
	v_fma_f64 v[139:140], v[139:140], v[14:15], -v[16:17]
	scratch_load_b128 v[14:17], off, off offset:304
	v_add_f64_e32 v[143:144], v[143:144], v[151:152]
	v_add_f64_e32 v[145:146], v[145:146], v[149:150]
	v_fma_f64 v[149:150], v[4:5], v[18:19], v[153:154]
	v_fma_f64 v[151:152], v[2:3], v[18:19], -v[20:21]
	ds_load_b128 v[2:5], v1 offset:848
	s_wait_loadcnt_dscnt 0x901
	v_mul_f64_e32 v[147:148], v[131:132], v[24:25]
	v_mul_f64_e32 v[24:25], v[133:134], v[24:25]
	scratch_load_b128 v[18:21], off, off offset:320
	s_wait_loadcnt_dscnt 0x900
	v_mul_f64_e32 v[153:154], v[2:3], v[28:29]
	v_mul_f64_e32 v[28:29], v[4:5], v[28:29]
	v_add_f64_e32 v[143:144], v[143:144], v[139:140]
	v_add_f64_e32 v[145:146], v[145:146], v[141:142]
	ds_load_b128 v[139:142], v1 offset:864
	v_fma_f64 v[133:134], v[133:134], v[22:23], v[147:148]
	v_fma_f64 v[131:132], v[131:132], v[22:23], -v[24:25]
	scratch_load_b128 v[22:25], off, off offset:336
	v_add_f64_e32 v[143:144], v[143:144], v[151:152]
	v_add_f64_e32 v[145:146], v[145:146], v[149:150]
	v_fma_f64 v[149:150], v[4:5], v[26:27], v[153:154]
	v_fma_f64 v[151:152], v[2:3], v[26:27], -v[28:29]
	ds_load_b128 v[2:5], v1 offset:880
	s_wait_loadcnt_dscnt 0x901
	v_mul_f64_e32 v[147:148], v[139:140], v[32:33]
	v_mul_f64_e32 v[32:33], v[141:142], v[32:33]
	scratch_load_b128 v[26:29], off, off offset:352
	s_wait_loadcnt_dscnt 0x900
	v_mul_f64_e32 v[153:154], v[2:3], v[36:37]
	v_mul_f64_e32 v[36:37], v[4:5], v[36:37]
	v_add_f64_e32 v[143:144], v[143:144], v[131:132]
	v_add_f64_e32 v[145:146], v[145:146], v[133:134]
	ds_load_b128 v[131:134], v1 offset:896
	v_fma_f64 v[141:142], v[141:142], v[30:31], v[147:148]
	v_fma_f64 v[139:140], v[139:140], v[30:31], -v[32:33]
	scratch_load_b128 v[30:33], off, off offset:368
	v_add_f64_e32 v[143:144], v[143:144], v[151:152]
	v_add_f64_e32 v[145:146], v[145:146], v[149:150]
	v_fma_f64 v[151:152], v[4:5], v[34:35], v[153:154]
	v_fma_f64 v[153:154], v[2:3], v[34:35], -v[36:37]
	ds_load_b128 v[2:5], v1 offset:912
	s_wait_loadcnt_dscnt 0x801
	v_mul_f64_e32 v[147:148], v[131:132], v[137:138]
	v_mul_f64_e32 v[149:150], v[133:134], v[137:138]
	scratch_load_b128 v[34:37], off, off offset:384
	v_add_f64_e32 v[143:144], v[143:144], v[139:140]
	v_add_f64_e32 v[141:142], v[145:146], v[141:142]
	ds_load_b128 v[137:140], v1 offset:928
	v_fma_f64 v[147:148], v[133:134], v[135:136], v[147:148]
	v_fma_f64 v[135:136], v[131:132], v[135:136], -v[149:150]
	scratch_load_b128 v[131:134], off, off offset:400
	s_wait_loadcnt_dscnt 0x901
	v_mul_f64_e32 v[145:146], v[2:3], v[40:41]
	v_mul_f64_e32 v[40:41], v[4:5], v[40:41]
	v_add_f64_e32 v[143:144], v[143:144], v[153:154]
	v_add_f64_e32 v[141:142], v[141:142], v[151:152]
	s_delay_alu instid0(VALU_DEP_4) | instskip(NEXT) | instid1(VALU_DEP_4)
	v_fma_f64 v[145:146], v[4:5], v[38:39], v[145:146]
	v_fma_f64 v[151:152], v[2:3], v[38:39], -v[40:41]
	ds_load_b128 v[2:5], v1 offset:944
	s_wait_loadcnt_dscnt 0x801
	v_mul_f64_e32 v[149:150], v[137:138], v[8:9]
	v_mul_f64_e32 v[8:9], v[139:140], v[8:9]
	scratch_load_b128 v[38:41], off, off offset:416
	s_wait_loadcnt_dscnt 0x800
	v_mul_f64_e32 v[153:154], v[2:3], v[12:13]
	v_add_f64_e32 v[135:136], v[143:144], v[135:136]
	v_add_f64_e32 v[147:148], v[141:142], v[147:148]
	v_mul_f64_e32 v[12:13], v[4:5], v[12:13]
	ds_load_b128 v[141:144], v1 offset:960
	v_fma_f64 v[139:140], v[139:140], v[6:7], v[149:150]
	v_fma_f64 v[137:138], v[137:138], v[6:7], -v[8:9]
	scratch_load_b128 v[6:9], off, off offset:432
	v_fma_f64 v[149:150], v[4:5], v[10:11], v[153:154]
	v_add_f64_e32 v[135:136], v[135:136], v[151:152]
	v_add_f64_e32 v[145:146], v[147:148], v[145:146]
	v_fma_f64 v[151:152], v[2:3], v[10:11], -v[12:13]
	ds_load_b128 v[2:5], v1 offset:976
	s_wait_loadcnt_dscnt 0x801
	v_mul_f64_e32 v[147:148], v[141:142], v[16:17]
	v_mul_f64_e32 v[16:17], v[143:144], v[16:17]
	scratch_load_b128 v[10:13], off, off offset:448
	v_add_f64_e32 v[153:154], v[135:136], v[137:138]
	v_add_f64_e32 v[139:140], v[145:146], v[139:140]
	s_wait_loadcnt_dscnt 0x800
	v_mul_f64_e32 v[145:146], v[2:3], v[20:21]
	v_mul_f64_e32 v[20:21], v[4:5], v[20:21]
	v_fma_f64 v[143:144], v[143:144], v[14:15], v[147:148]
	v_fma_f64 v[141:142], v[141:142], v[14:15], -v[16:17]
	ds_load_b128 v[135:138], v1 offset:992
	scratch_load_b128 v[14:17], off, off offset:464
	v_add_f64_e32 v[147:148], v[153:154], v[151:152]
	v_add_f64_e32 v[139:140], v[139:140], v[149:150]
	v_fma_f64 v[145:146], v[4:5], v[18:19], v[145:146]
	v_fma_f64 v[151:152], v[2:3], v[18:19], -v[20:21]
	ds_load_b128 v[2:5], v1 offset:1008
	s_wait_loadcnt_dscnt 0x801
	v_mul_f64_e32 v[149:150], v[135:136], v[24:25]
	v_mul_f64_e32 v[24:25], v[137:138], v[24:25]
	scratch_load_b128 v[18:21], off, off offset:480
	s_wait_loadcnt_dscnt 0x800
	v_mul_f64_e32 v[153:154], v[2:3], v[28:29]
	v_mul_f64_e32 v[28:29], v[4:5], v[28:29]
	v_add_f64_e32 v[147:148], v[147:148], v[141:142]
	v_add_f64_e32 v[143:144], v[139:140], v[143:144]
	ds_load_b128 v[139:142], v1 offset:1024
	v_fma_f64 v[137:138], v[137:138], v[22:23], v[149:150]
	v_fma_f64 v[135:136], v[135:136], v[22:23], -v[24:25]
	scratch_load_b128 v[22:25], off, off offset:496
	v_fma_f64 v[149:150], v[4:5], v[26:27], v[153:154]
	v_add_f64_e32 v[147:148], v[147:148], v[151:152]
	v_add_f64_e32 v[143:144], v[143:144], v[145:146]
	v_fma_f64 v[151:152], v[2:3], v[26:27], -v[28:29]
	ds_load_b128 v[2:5], v1 offset:1040
	s_wait_loadcnt_dscnt 0x801
	v_mul_f64_e32 v[145:146], v[139:140], v[32:33]
	v_mul_f64_e32 v[32:33], v[141:142], v[32:33]
	scratch_load_b128 v[26:29], off, off offset:512
	s_wait_loadcnt_dscnt 0x800
	v_mul_f64_e32 v[153:154], v[2:3], v[36:37]
	v_mul_f64_e32 v[36:37], v[4:5], v[36:37]
	v_add_f64_e32 v[147:148], v[147:148], v[135:136]
	v_add_f64_e32 v[143:144], v[143:144], v[137:138]
	ds_load_b128 v[135:138], v1 offset:1056
	v_fma_f64 v[141:142], v[141:142], v[30:31], v[145:146]
	v_fma_f64 v[139:140], v[139:140], v[30:31], -v[32:33]
	scratch_load_b128 v[30:33], off, off offset:528
	v_add_f64_e32 v[145:146], v[147:148], v[151:152]
	v_add_f64_e32 v[143:144], v[143:144], v[149:150]
	v_fma_f64 v[149:150], v[4:5], v[34:35], v[153:154]
	v_fma_f64 v[151:152], v[2:3], v[34:35], -v[36:37]
	ds_load_b128 v[2:5], v1 offset:1072
	s_wait_loadcnt_dscnt 0x801
	v_mul_f64_e32 v[147:148], v[135:136], v[133:134]
	v_mul_f64_e32 v[133:134], v[137:138], v[133:134]
	scratch_load_b128 v[34:37], off, off offset:544
	s_wait_loadcnt_dscnt 0x800
	v_mul_f64_e32 v[153:154], v[2:3], v[40:41]
	v_mul_f64_e32 v[40:41], v[4:5], v[40:41]
	v_add_f64_e32 v[145:146], v[145:146], v[139:140]
	v_add_f64_e32 v[143:144], v[143:144], v[141:142]
	ds_load_b128 v[139:142], v1 offset:1088
	v_fma_f64 v[137:138], v[137:138], v[131:132], v[147:148]
	v_fma_f64 v[135:136], v[135:136], v[131:132], -v[133:134]
	scratch_load_b128 v[131:134], off, off offset:560
	v_add_f64_e32 v[145:146], v[145:146], v[151:152]
	v_add_f64_e32 v[143:144], v[143:144], v[149:150]
	v_fma_f64 v[149:150], v[4:5], v[38:39], v[153:154]
	;; [unrolled: 18-line block ×5, first 2 shown]
	v_fma_f64 v[151:152], v[2:3], v[26:27], -v[28:29]
	ds_load_b128 v[2:5], v1 offset:1200
	s_wait_loadcnt_dscnt 0x801
	v_mul_f64_e32 v[147:148], v[135:136], v[32:33]
	v_mul_f64_e32 v[32:33], v[137:138], v[32:33]
	scratch_load_b128 v[26:29], off, off offset:672
	s_wait_loadcnt_dscnt 0x800
	v_mul_f64_e32 v[153:154], v[2:3], v[36:37]
	v_mul_f64_e32 v[36:37], v[4:5], v[36:37]
	v_add_f64_e32 v[145:146], v[145:146], v[139:140]
	v_add_f64_e32 v[143:144], v[143:144], v[141:142]
	ds_load_b128 v[139:142], v1 offset:1216
	v_fma_f64 v[137:138], v[137:138], v[30:31], v[147:148]
	v_fma_f64 v[30:31], v[135:136], v[30:31], -v[32:33]
	v_add_f64_e32 v[32:33], v[145:146], v[151:152]
	v_add_f64_e32 v[135:136], v[143:144], v[149:150]
	s_wait_loadcnt_dscnt 0x700
	v_mul_f64_e32 v[143:144], v[139:140], v[133:134]
	v_mul_f64_e32 v[133:134], v[141:142], v[133:134]
	v_fma_f64 v[145:146], v[4:5], v[34:35], v[153:154]
	v_fma_f64 v[34:35], v[2:3], v[34:35], -v[36:37]
	v_add_f64_e32 v[36:37], v[32:33], v[30:31]
	v_add_f64_e32 v[135:136], v[135:136], v[137:138]
	ds_load_b128 v[2:5], v1 offset:1232
	ds_load_b128 v[30:33], v1 offset:1248
	v_fma_f64 v[141:142], v[141:142], v[131:132], v[143:144]
	v_fma_f64 v[131:132], v[139:140], v[131:132], -v[133:134]
	s_wait_loadcnt_dscnt 0x601
	v_mul_f64_e32 v[137:138], v[2:3], v[40:41]
	v_mul_f64_e32 v[40:41], v[4:5], v[40:41]
	s_wait_loadcnt_dscnt 0x500
	v_mul_f64_e32 v[133:134], v[30:31], v[8:9]
	v_mul_f64_e32 v[8:9], v[32:33], v[8:9]
	v_add_f64_e32 v[34:35], v[36:37], v[34:35]
	v_add_f64_e32 v[36:37], v[135:136], v[145:146]
	v_fma_f64 v[135:136], v[4:5], v[38:39], v[137:138]
	v_fma_f64 v[38:39], v[2:3], v[38:39], -v[40:41]
	v_fma_f64 v[32:33], v[32:33], v[6:7], v[133:134]
	v_fma_f64 v[6:7], v[30:31], v[6:7], -v[8:9]
	v_add_f64_e32 v[40:41], v[34:35], v[131:132]
	v_add_f64_e32 v[131:132], v[36:37], v[141:142]
	ds_load_b128 v[2:5], v1 offset:1264
	ds_load_b128 v[34:37], v1 offset:1280
	s_wait_loadcnt_dscnt 0x401
	v_mul_f64_e32 v[137:138], v[2:3], v[12:13]
	v_mul_f64_e32 v[12:13], v[4:5], v[12:13]
	v_add_f64_e32 v[8:9], v[40:41], v[38:39]
	v_add_f64_e32 v[30:31], v[131:132], v[135:136]
	s_wait_loadcnt_dscnt 0x300
	v_mul_f64_e32 v[38:39], v[34:35], v[16:17]
	v_mul_f64_e32 v[16:17], v[36:37], v[16:17]
	v_fma_f64 v[40:41], v[4:5], v[10:11], v[137:138]
	v_fma_f64 v[10:11], v[2:3], v[10:11], -v[12:13]
	v_add_f64_e32 v[12:13], v[8:9], v[6:7]
	v_add_f64_e32 v[30:31], v[30:31], v[32:33]
	ds_load_b128 v[2:5], v1 offset:1296
	ds_load_b128 v[6:9], v1 offset:1312
	v_fma_f64 v[36:37], v[36:37], v[14:15], v[38:39]
	v_fma_f64 v[14:15], v[34:35], v[14:15], -v[16:17]
	s_wait_loadcnt_dscnt 0x201
	v_mul_f64_e32 v[32:33], v[2:3], v[20:21]
	v_mul_f64_e32 v[20:21], v[4:5], v[20:21]
	s_wait_loadcnt_dscnt 0x100
	v_mul_f64_e32 v[16:17], v[6:7], v[24:25]
	v_mul_f64_e32 v[24:25], v[8:9], v[24:25]
	v_add_f64_e32 v[10:11], v[12:13], v[10:11]
	v_add_f64_e32 v[12:13], v[30:31], v[40:41]
	v_fma_f64 v[30:31], v[4:5], v[18:19], v[32:33]
	v_fma_f64 v[18:19], v[2:3], v[18:19], -v[20:21]
	ds_load_b128 v[2:5], v1 offset:1328
	v_fma_f64 v[8:9], v[8:9], v[22:23], v[16:17]
	v_fma_f64 v[6:7], v[6:7], v[22:23], -v[24:25]
	v_add_f64_e32 v[10:11], v[10:11], v[14:15]
	v_add_f64_e32 v[12:13], v[12:13], v[36:37]
	s_wait_loadcnt_dscnt 0x0
	v_mul_f64_e32 v[14:15], v[2:3], v[28:29]
	v_mul_f64_e32 v[20:21], v[4:5], v[28:29]
	s_delay_alu instid0(VALU_DEP_4) | instskip(NEXT) | instid1(VALU_DEP_4)
	v_add_f64_e32 v[10:11], v[10:11], v[18:19]
	v_add_f64_e32 v[12:13], v[12:13], v[30:31]
	s_delay_alu instid0(VALU_DEP_4) | instskip(NEXT) | instid1(VALU_DEP_4)
	v_fma_f64 v[4:5], v[4:5], v[26:27], v[14:15]
	v_fma_f64 v[2:3], v[2:3], v[26:27], -v[20:21]
	s_delay_alu instid0(VALU_DEP_4) | instskip(NEXT) | instid1(VALU_DEP_4)
	v_add_f64_e32 v[6:7], v[10:11], v[6:7]
	v_add_f64_e32 v[8:9], v[12:13], v[8:9]
	s_delay_alu instid0(VALU_DEP_2) | instskip(NEXT) | instid1(VALU_DEP_2)
	v_add_f64_e32 v[2:3], v[6:7], v[2:3]
	v_add_f64_e32 v[4:5], v[8:9], v[4:5]
	s_delay_alu instid0(VALU_DEP_2) | instskip(NEXT) | instid1(VALU_DEP_2)
	v_add_f64_e64 v[2:3], v[42:43], -v[2:3]
	v_add_f64_e64 v[4:5], v[44:45], -v[4:5]
	scratch_store_b128 off, v[2:5], off offset:80
	v_cmpx_lt_u32_e32 3, v0
	s_cbranch_execz .LBB105_259
; %bb.258:
	scratch_load_b128 v[5:8], off, s28
	v_dual_mov_b32 v2, v1 :: v_dual_mov_b32 v3, v1
	v_mov_b32_e32 v4, v1
	scratch_store_b128 off, v[1:4], off offset:64
	s_wait_loadcnt 0x0
	ds_store_b128 v130, v[5:8]
.LBB105_259:
	s_wait_alu 0xfffe
	s_or_b32 exec_lo, exec_lo, s0
	s_wait_storecnt_dscnt 0x0
	s_barrier_signal -1
	s_barrier_wait -1
	global_inv scope:SCOPE_SE
	s_clause 0x8
	scratch_load_b128 v[2:5], off, off offset:80
	scratch_load_b128 v[6:9], off, off offset:96
	;; [unrolled: 1-line block ×9, first 2 shown]
	ds_load_b128 v[42:45], v1 offset:736
	ds_load_b128 v[38:41], v1 offset:752
	s_clause 0x1
	scratch_load_b128 v[131:134], off, off offset:64
	scratch_load_b128 v[135:138], off, off offset:224
	s_mov_b32 s0, exec_lo
	s_wait_loadcnt_dscnt 0xa01
	v_mul_f64_e32 v[139:140], v[44:45], v[4:5]
	v_mul_f64_e32 v[4:5], v[42:43], v[4:5]
	s_wait_loadcnt_dscnt 0x900
	v_mul_f64_e32 v[143:144], v[38:39], v[8:9]
	v_mul_f64_e32 v[8:9], v[40:41], v[8:9]
	s_delay_alu instid0(VALU_DEP_4) | instskip(NEXT) | instid1(VALU_DEP_4)
	v_fma_f64 v[145:146], v[42:43], v[2:3], -v[139:140]
	v_fma_f64 v[147:148], v[44:45], v[2:3], v[4:5]
	ds_load_b128 v[2:5], v1 offset:768
	ds_load_b128 v[139:142], v1 offset:784
	scratch_load_b128 v[42:45], off, off offset:240
	v_fma_f64 v[40:41], v[40:41], v[6:7], v[143:144]
	v_fma_f64 v[38:39], v[38:39], v[6:7], -v[8:9]
	scratch_load_b128 v[6:9], off, off offset:256
	s_wait_loadcnt_dscnt 0xa01
	v_mul_f64_e32 v[149:150], v[2:3], v[12:13]
	v_mul_f64_e32 v[12:13], v[4:5], v[12:13]
	v_add_f64_e32 v[143:144], 0, v[145:146]
	v_add_f64_e32 v[145:146], 0, v[147:148]
	s_wait_loadcnt_dscnt 0x900
	v_mul_f64_e32 v[147:148], v[139:140], v[16:17]
	v_mul_f64_e32 v[16:17], v[141:142], v[16:17]
	v_fma_f64 v[149:150], v[4:5], v[10:11], v[149:150]
	v_fma_f64 v[151:152], v[2:3], v[10:11], -v[12:13]
	ds_load_b128 v[2:5], v1 offset:800
	scratch_load_b128 v[10:13], off, off offset:272
	v_add_f64_e32 v[143:144], v[143:144], v[38:39]
	v_add_f64_e32 v[145:146], v[145:146], v[40:41]
	ds_load_b128 v[38:41], v1 offset:816
	v_fma_f64 v[141:142], v[141:142], v[14:15], v[147:148]
	v_fma_f64 v[139:140], v[139:140], v[14:15], -v[16:17]
	scratch_load_b128 v[14:17], off, off offset:288
	s_wait_loadcnt_dscnt 0xa01
	v_mul_f64_e32 v[153:154], v[2:3], v[20:21]
	v_mul_f64_e32 v[20:21], v[4:5], v[20:21]
	s_wait_loadcnt_dscnt 0x900
	v_mul_f64_e32 v[147:148], v[38:39], v[24:25]
	v_mul_f64_e32 v[24:25], v[40:41], v[24:25]
	v_add_f64_e32 v[143:144], v[143:144], v[151:152]
	v_add_f64_e32 v[145:146], v[145:146], v[149:150]
	v_fma_f64 v[149:150], v[4:5], v[18:19], v[153:154]
	v_fma_f64 v[151:152], v[2:3], v[18:19], -v[20:21]
	ds_load_b128 v[2:5], v1 offset:832
	scratch_load_b128 v[18:21], off, off offset:304
	v_fma_f64 v[40:41], v[40:41], v[22:23], v[147:148]
	v_fma_f64 v[38:39], v[38:39], v[22:23], -v[24:25]
	scratch_load_b128 v[22:25], off, off offset:320
	v_add_f64_e32 v[143:144], v[143:144], v[139:140]
	v_add_f64_e32 v[145:146], v[145:146], v[141:142]
	ds_load_b128 v[139:142], v1 offset:848
	s_wait_loadcnt_dscnt 0xa01
	v_mul_f64_e32 v[153:154], v[2:3], v[28:29]
	v_mul_f64_e32 v[28:29], v[4:5], v[28:29]
	s_wait_loadcnt_dscnt 0x900
	v_mul_f64_e32 v[147:148], v[139:140], v[32:33]
	v_mul_f64_e32 v[32:33], v[141:142], v[32:33]
	v_add_f64_e32 v[143:144], v[143:144], v[151:152]
	v_add_f64_e32 v[145:146], v[145:146], v[149:150]
	v_fma_f64 v[149:150], v[4:5], v[26:27], v[153:154]
	v_fma_f64 v[151:152], v[2:3], v[26:27], -v[28:29]
	ds_load_b128 v[2:5], v1 offset:864
	scratch_load_b128 v[26:29], off, off offset:336
	v_fma_f64 v[141:142], v[141:142], v[30:31], v[147:148]
	v_fma_f64 v[139:140], v[139:140], v[30:31], -v[32:33]
	scratch_load_b128 v[30:33], off, off offset:352
	v_add_f64_e32 v[143:144], v[143:144], v[38:39]
	v_add_f64_e32 v[145:146], v[145:146], v[40:41]
	ds_load_b128 v[38:41], v1 offset:880
	s_wait_loadcnt_dscnt 0xa01
	v_mul_f64_e32 v[153:154], v[2:3], v[36:37]
	v_mul_f64_e32 v[36:37], v[4:5], v[36:37]
	s_wait_loadcnt_dscnt 0x800
	v_mul_f64_e32 v[147:148], v[38:39], v[137:138]
	v_add_f64_e32 v[143:144], v[143:144], v[151:152]
	v_add_f64_e32 v[145:146], v[145:146], v[149:150]
	v_mul_f64_e32 v[149:150], v[40:41], v[137:138]
	v_fma_f64 v[151:152], v[4:5], v[34:35], v[153:154]
	v_fma_f64 v[153:154], v[2:3], v[34:35], -v[36:37]
	ds_load_b128 v[2:5], v1 offset:896
	scratch_load_b128 v[34:37], off, off offset:368
	v_fma_f64 v[147:148], v[40:41], v[135:136], v[147:148]
	v_add_f64_e32 v[143:144], v[143:144], v[139:140]
	v_add_f64_e32 v[141:142], v[145:146], v[141:142]
	ds_load_b128 v[137:140], v1 offset:912
	v_fma_f64 v[135:136], v[38:39], v[135:136], -v[149:150]
	scratch_load_b128 v[38:41], off, off offset:384
	s_wait_loadcnt_dscnt 0x901
	v_mul_f64_e32 v[145:146], v[2:3], v[44:45]
	v_mul_f64_e32 v[44:45], v[4:5], v[44:45]
	s_wait_loadcnt_dscnt 0x800
	v_mul_f64_e32 v[149:150], v[137:138], v[8:9]
	v_mul_f64_e32 v[8:9], v[139:140], v[8:9]
	v_add_f64_e32 v[143:144], v[143:144], v[153:154]
	v_add_f64_e32 v[141:142], v[141:142], v[151:152]
	v_fma_f64 v[145:146], v[4:5], v[42:43], v[145:146]
	v_fma_f64 v[151:152], v[2:3], v[42:43], -v[44:45]
	ds_load_b128 v[2:5], v1 offset:928
	scratch_load_b128 v[42:45], off, off offset:400
	v_fma_f64 v[139:140], v[139:140], v[6:7], v[149:150]
	v_fma_f64 v[137:138], v[137:138], v[6:7], -v[8:9]
	scratch_load_b128 v[6:9], off, off offset:416
	v_add_f64_e32 v[135:136], v[143:144], v[135:136]
	v_add_f64_e32 v[147:148], v[141:142], v[147:148]
	ds_load_b128 v[141:144], v1 offset:944
	s_wait_loadcnt_dscnt 0x901
	v_mul_f64_e32 v[153:154], v[2:3], v[12:13]
	v_mul_f64_e32 v[12:13], v[4:5], v[12:13]
	v_add_f64_e32 v[135:136], v[135:136], v[151:152]
	v_add_f64_e32 v[145:146], v[147:148], v[145:146]
	s_wait_loadcnt_dscnt 0x800
	v_mul_f64_e32 v[147:148], v[141:142], v[16:17]
	v_mul_f64_e32 v[16:17], v[143:144], v[16:17]
	v_fma_f64 v[149:150], v[4:5], v[10:11], v[153:154]
	v_fma_f64 v[151:152], v[2:3], v[10:11], -v[12:13]
	ds_load_b128 v[2:5], v1 offset:960
	scratch_load_b128 v[10:13], off, off offset:432
	v_add_f64_e32 v[153:154], v[135:136], v[137:138]
	v_add_f64_e32 v[139:140], v[145:146], v[139:140]
	ds_load_b128 v[135:138], v1 offset:976
	s_wait_loadcnt_dscnt 0x801
	v_mul_f64_e32 v[145:146], v[2:3], v[20:21]
	v_mul_f64_e32 v[20:21], v[4:5], v[20:21]
	v_fma_f64 v[143:144], v[143:144], v[14:15], v[147:148]
	v_fma_f64 v[141:142], v[141:142], v[14:15], -v[16:17]
	scratch_load_b128 v[14:17], off, off offset:448
	v_add_f64_e32 v[147:148], v[153:154], v[151:152]
	v_add_f64_e32 v[139:140], v[139:140], v[149:150]
	s_wait_loadcnt_dscnt 0x800
	v_mul_f64_e32 v[149:150], v[135:136], v[24:25]
	v_mul_f64_e32 v[24:25], v[137:138], v[24:25]
	v_fma_f64 v[145:146], v[4:5], v[18:19], v[145:146]
	v_fma_f64 v[151:152], v[2:3], v[18:19], -v[20:21]
	ds_load_b128 v[2:5], v1 offset:992
	scratch_load_b128 v[18:21], off, off offset:464
	v_add_f64_e32 v[147:148], v[147:148], v[141:142]
	v_add_f64_e32 v[143:144], v[139:140], v[143:144]
	ds_load_b128 v[139:142], v1 offset:1008
	s_wait_loadcnt_dscnt 0x801
	v_mul_f64_e32 v[153:154], v[2:3], v[28:29]
	v_mul_f64_e32 v[28:29], v[4:5], v[28:29]
	v_fma_f64 v[137:138], v[137:138], v[22:23], v[149:150]
	v_fma_f64 v[135:136], v[135:136], v[22:23], -v[24:25]
	scratch_load_b128 v[22:25], off, off offset:480
	;; [unrolled: 18-line block ×4, first 2 shown]
	s_wait_loadcnt_dscnt 0x800
	v_mul_f64_e32 v[147:148], v[139:140], v[8:9]
	v_mul_f64_e32 v[8:9], v[141:142], v[8:9]
	v_add_f64_e32 v[145:146], v[145:146], v[151:152]
	v_add_f64_e32 v[143:144], v[143:144], v[149:150]
	v_fma_f64 v[149:150], v[4:5], v[42:43], v[153:154]
	v_fma_f64 v[151:152], v[2:3], v[42:43], -v[44:45]
	ds_load_b128 v[2:5], v1 offset:1088
	scratch_load_b128 v[42:45], off, off offset:560
	v_fma_f64 v[141:142], v[141:142], v[6:7], v[147:148]
	v_fma_f64 v[139:140], v[139:140], v[6:7], -v[8:9]
	scratch_load_b128 v[6:9], off, off offset:576
	v_add_f64_e32 v[145:146], v[145:146], v[135:136]
	v_add_f64_e32 v[143:144], v[143:144], v[137:138]
	ds_load_b128 v[135:138], v1 offset:1104
	s_wait_loadcnt_dscnt 0x901
	v_mul_f64_e32 v[153:154], v[2:3], v[12:13]
	v_mul_f64_e32 v[12:13], v[4:5], v[12:13]
	s_wait_loadcnt_dscnt 0x800
	v_mul_f64_e32 v[147:148], v[135:136], v[16:17]
	v_mul_f64_e32 v[16:17], v[137:138], v[16:17]
	v_add_f64_e32 v[145:146], v[145:146], v[151:152]
	v_add_f64_e32 v[143:144], v[143:144], v[149:150]
	v_fma_f64 v[149:150], v[4:5], v[10:11], v[153:154]
	v_fma_f64 v[151:152], v[2:3], v[10:11], -v[12:13]
	ds_load_b128 v[2:5], v1 offset:1120
	scratch_load_b128 v[10:13], off, off offset:592
	v_fma_f64 v[137:138], v[137:138], v[14:15], v[147:148]
	v_fma_f64 v[135:136], v[135:136], v[14:15], -v[16:17]
	scratch_load_b128 v[14:17], off, off offset:608
	v_add_f64_e32 v[145:146], v[145:146], v[139:140]
	v_add_f64_e32 v[143:144], v[143:144], v[141:142]
	ds_load_b128 v[139:142], v1 offset:1136
	s_wait_loadcnt_dscnt 0x901
	v_mul_f64_e32 v[153:154], v[2:3], v[20:21]
	v_mul_f64_e32 v[20:21], v[4:5], v[20:21]
	;; [unrolled: 18-line block ×4, first 2 shown]
	s_wait_loadcnt_dscnt 0x800
	v_mul_f64_e32 v[147:148], v[139:140], v[40:41]
	v_mul_f64_e32 v[40:41], v[141:142], v[40:41]
	v_add_f64_e32 v[145:146], v[145:146], v[151:152]
	v_add_f64_e32 v[143:144], v[143:144], v[149:150]
	v_fma_f64 v[149:150], v[4:5], v[34:35], v[153:154]
	v_fma_f64 v[151:152], v[2:3], v[34:35], -v[36:37]
	ds_load_b128 v[2:5], v1 offset:1216
	ds_load_b128 v[34:37], v1 offset:1232
	v_fma_f64 v[141:142], v[141:142], v[38:39], v[147:148]
	v_fma_f64 v[38:39], v[139:140], v[38:39], -v[40:41]
	v_add_f64_e32 v[135:136], v[145:146], v[135:136]
	v_add_f64_e32 v[137:138], v[143:144], v[137:138]
	s_wait_loadcnt_dscnt 0x701
	v_mul_f64_e32 v[143:144], v[2:3], v[44:45]
	v_mul_f64_e32 v[44:45], v[4:5], v[44:45]
	s_delay_alu instid0(VALU_DEP_4) | instskip(NEXT) | instid1(VALU_DEP_4)
	v_add_f64_e32 v[40:41], v[135:136], v[151:152]
	v_add_f64_e32 v[135:136], v[137:138], v[149:150]
	s_wait_loadcnt_dscnt 0x600
	v_mul_f64_e32 v[137:138], v[34:35], v[8:9]
	v_mul_f64_e32 v[8:9], v[36:37], v[8:9]
	v_fma_f64 v[139:140], v[4:5], v[42:43], v[143:144]
	v_fma_f64 v[42:43], v[2:3], v[42:43], -v[44:45]
	v_add_f64_e32 v[44:45], v[40:41], v[38:39]
	v_add_f64_e32 v[135:136], v[135:136], v[141:142]
	ds_load_b128 v[2:5], v1 offset:1248
	ds_load_b128 v[38:41], v1 offset:1264
	v_fma_f64 v[36:37], v[36:37], v[6:7], v[137:138]
	v_fma_f64 v[6:7], v[34:35], v[6:7], -v[8:9]
	s_wait_loadcnt_dscnt 0x501
	v_mul_f64_e32 v[141:142], v[2:3], v[12:13]
	v_mul_f64_e32 v[12:13], v[4:5], v[12:13]
	v_add_f64_e32 v[8:9], v[44:45], v[42:43]
	v_add_f64_e32 v[34:35], v[135:136], v[139:140]
	s_wait_loadcnt_dscnt 0x400
	v_mul_f64_e32 v[42:43], v[38:39], v[16:17]
	v_mul_f64_e32 v[16:17], v[40:41], v[16:17]
	v_fma_f64 v[44:45], v[4:5], v[10:11], v[141:142]
	v_fma_f64 v[10:11], v[2:3], v[10:11], -v[12:13]
	v_add_f64_e32 v[12:13], v[8:9], v[6:7]
	v_add_f64_e32 v[34:35], v[34:35], v[36:37]
	ds_load_b128 v[2:5], v1 offset:1280
	ds_load_b128 v[6:9], v1 offset:1296
	v_fma_f64 v[40:41], v[40:41], v[14:15], v[42:43]
	v_fma_f64 v[14:15], v[38:39], v[14:15], -v[16:17]
	s_wait_loadcnt_dscnt 0x301
	v_mul_f64_e32 v[36:37], v[2:3], v[20:21]
	v_mul_f64_e32 v[20:21], v[4:5], v[20:21]
	s_wait_loadcnt_dscnt 0x200
	v_mul_f64_e32 v[16:17], v[6:7], v[24:25]
	v_mul_f64_e32 v[24:25], v[8:9], v[24:25]
	v_add_f64_e32 v[10:11], v[12:13], v[10:11]
	v_add_f64_e32 v[12:13], v[34:35], v[44:45]
	v_fma_f64 v[34:35], v[4:5], v[18:19], v[36:37]
	v_fma_f64 v[18:19], v[2:3], v[18:19], -v[20:21]
	v_fma_f64 v[8:9], v[8:9], v[22:23], v[16:17]
	v_fma_f64 v[6:7], v[6:7], v[22:23], -v[24:25]
	v_add_f64_e32 v[14:15], v[10:11], v[14:15]
	v_add_f64_e32 v[20:21], v[12:13], v[40:41]
	ds_load_b128 v[2:5], v1 offset:1312
	ds_load_b128 v[10:13], v1 offset:1328
	s_wait_loadcnt_dscnt 0x101
	v_mul_f64_e32 v[36:37], v[2:3], v[28:29]
	v_mul_f64_e32 v[28:29], v[4:5], v[28:29]
	v_add_f64_e32 v[14:15], v[14:15], v[18:19]
	v_add_f64_e32 v[16:17], v[20:21], v[34:35]
	s_wait_loadcnt_dscnt 0x0
	v_mul_f64_e32 v[18:19], v[10:11], v[32:33]
	v_mul_f64_e32 v[20:21], v[12:13], v[32:33]
	v_fma_f64 v[4:5], v[4:5], v[26:27], v[36:37]
	v_fma_f64 v[1:2], v[2:3], v[26:27], -v[28:29]
	v_add_f64_e32 v[6:7], v[14:15], v[6:7]
	v_add_f64_e32 v[8:9], v[16:17], v[8:9]
	v_fma_f64 v[12:13], v[12:13], v[30:31], v[18:19]
	v_fma_f64 v[10:11], v[10:11], v[30:31], -v[20:21]
	s_delay_alu instid0(VALU_DEP_4) | instskip(NEXT) | instid1(VALU_DEP_4)
	v_add_f64_e32 v[1:2], v[6:7], v[1:2]
	v_add_f64_e32 v[3:4], v[8:9], v[4:5]
	s_delay_alu instid0(VALU_DEP_2) | instskip(NEXT) | instid1(VALU_DEP_2)
	v_add_f64_e32 v[1:2], v[1:2], v[10:11]
	v_add_f64_e32 v[3:4], v[3:4], v[12:13]
	s_delay_alu instid0(VALU_DEP_2) | instskip(NEXT) | instid1(VALU_DEP_2)
	v_add_f64_e64 v[1:2], v[131:132], -v[1:2]
	v_add_f64_e64 v[3:4], v[133:134], -v[3:4]
	scratch_store_b128 off, v[1:4], off offset:64
	v_cmpx_lt_u32_e32 2, v0
	s_cbranch_execz .LBB105_261
; %bb.260:
	scratch_load_b128 v[1:4], off, s49
	v_mov_b32_e32 v5, 0
	s_delay_alu instid0(VALU_DEP_1)
	v_dual_mov_b32 v6, v5 :: v_dual_mov_b32 v7, v5
	v_mov_b32_e32 v8, v5
	scratch_store_b128 off, v[5:8], off offset:48
	s_wait_loadcnt 0x0
	ds_store_b128 v130, v[1:4]
.LBB105_261:
	s_wait_alu 0xfffe
	s_or_b32 exec_lo, exec_lo, s0
	s_wait_storecnt_dscnt 0x0
	s_barrier_signal -1
	s_barrier_wait -1
	global_inv scope:SCOPE_SE
	s_clause 0x7
	scratch_load_b128 v[2:5], off, off offset:64
	scratch_load_b128 v[6:9], off, off offset:80
	;; [unrolled: 1-line block ×8, first 2 shown]
	v_mov_b32_e32 v1, 0
	s_mov_b32 s0, exec_lo
	ds_load_b128 v[38:41], v1 offset:720
	s_clause 0x1
	scratch_load_b128 v[34:37], off, off offset:192
	scratch_load_b128 v[42:45], off, off offset:48
	ds_load_b128 v[131:134], v1 offset:736
	scratch_load_b128 v[135:138], off, off offset:208
	s_wait_loadcnt_dscnt 0xa01
	v_mul_f64_e32 v[139:140], v[40:41], v[4:5]
	v_mul_f64_e32 v[4:5], v[38:39], v[4:5]
	s_delay_alu instid0(VALU_DEP_2) | instskip(NEXT) | instid1(VALU_DEP_2)
	v_fma_f64 v[145:146], v[38:39], v[2:3], -v[139:140]
	v_fma_f64 v[147:148], v[40:41], v[2:3], v[4:5]
	ds_load_b128 v[2:5], v1 offset:752
	s_wait_loadcnt_dscnt 0x901
	v_mul_f64_e32 v[143:144], v[131:132], v[8:9]
	v_mul_f64_e32 v[8:9], v[133:134], v[8:9]
	scratch_load_b128 v[38:41], off, off offset:224
	ds_load_b128 v[139:142], v1 offset:768
	s_wait_loadcnt_dscnt 0x901
	v_mul_f64_e32 v[149:150], v[2:3], v[12:13]
	v_mul_f64_e32 v[12:13], v[4:5], v[12:13]
	v_fma_f64 v[133:134], v[133:134], v[6:7], v[143:144]
	v_fma_f64 v[131:132], v[131:132], v[6:7], -v[8:9]
	v_add_f64_e32 v[143:144], 0, v[145:146]
	v_add_f64_e32 v[145:146], 0, v[147:148]
	scratch_load_b128 v[6:9], off, off offset:240
	v_fma_f64 v[149:150], v[4:5], v[10:11], v[149:150]
	v_fma_f64 v[151:152], v[2:3], v[10:11], -v[12:13]
	ds_load_b128 v[2:5], v1 offset:784
	s_wait_loadcnt_dscnt 0x901
	v_mul_f64_e32 v[147:148], v[139:140], v[16:17]
	v_mul_f64_e32 v[16:17], v[141:142], v[16:17]
	scratch_load_b128 v[10:13], off, off offset:256
	v_add_f64_e32 v[143:144], v[143:144], v[131:132]
	v_add_f64_e32 v[145:146], v[145:146], v[133:134]
	s_wait_loadcnt_dscnt 0x900
	v_mul_f64_e32 v[153:154], v[2:3], v[20:21]
	v_mul_f64_e32 v[20:21], v[4:5], v[20:21]
	ds_load_b128 v[131:134], v1 offset:800
	v_fma_f64 v[141:142], v[141:142], v[14:15], v[147:148]
	v_fma_f64 v[139:140], v[139:140], v[14:15], -v[16:17]
	scratch_load_b128 v[14:17], off, off offset:272
	v_add_f64_e32 v[143:144], v[143:144], v[151:152]
	v_add_f64_e32 v[145:146], v[145:146], v[149:150]
	v_fma_f64 v[149:150], v[4:5], v[18:19], v[153:154]
	v_fma_f64 v[151:152], v[2:3], v[18:19], -v[20:21]
	ds_load_b128 v[2:5], v1 offset:816
	s_wait_loadcnt_dscnt 0x901
	v_mul_f64_e32 v[147:148], v[131:132], v[24:25]
	v_mul_f64_e32 v[24:25], v[133:134], v[24:25]
	scratch_load_b128 v[18:21], off, off offset:288
	s_wait_loadcnt_dscnt 0x900
	v_mul_f64_e32 v[153:154], v[2:3], v[28:29]
	v_mul_f64_e32 v[28:29], v[4:5], v[28:29]
	v_add_f64_e32 v[143:144], v[143:144], v[139:140]
	v_add_f64_e32 v[145:146], v[145:146], v[141:142]
	ds_load_b128 v[139:142], v1 offset:832
	v_fma_f64 v[133:134], v[133:134], v[22:23], v[147:148]
	v_fma_f64 v[131:132], v[131:132], v[22:23], -v[24:25]
	scratch_load_b128 v[22:25], off, off offset:304
	v_add_f64_e32 v[143:144], v[143:144], v[151:152]
	v_add_f64_e32 v[145:146], v[145:146], v[149:150]
	v_fma_f64 v[149:150], v[4:5], v[26:27], v[153:154]
	v_fma_f64 v[151:152], v[2:3], v[26:27], -v[28:29]
	ds_load_b128 v[2:5], v1 offset:848
	s_wait_loadcnt_dscnt 0x901
	v_mul_f64_e32 v[147:148], v[139:140], v[32:33]
	v_mul_f64_e32 v[32:33], v[141:142], v[32:33]
	scratch_load_b128 v[26:29], off, off offset:320
	s_wait_loadcnt_dscnt 0x900
	v_mul_f64_e32 v[153:154], v[2:3], v[36:37]
	v_mul_f64_e32 v[36:37], v[4:5], v[36:37]
	v_add_f64_e32 v[143:144], v[143:144], v[131:132]
	v_add_f64_e32 v[145:146], v[145:146], v[133:134]
	ds_load_b128 v[131:134], v1 offset:864
	v_fma_f64 v[141:142], v[141:142], v[30:31], v[147:148]
	v_fma_f64 v[139:140], v[139:140], v[30:31], -v[32:33]
	scratch_load_b128 v[30:33], off, off offset:336
	v_add_f64_e32 v[143:144], v[143:144], v[151:152]
	v_add_f64_e32 v[145:146], v[145:146], v[149:150]
	v_fma_f64 v[151:152], v[4:5], v[34:35], v[153:154]
	v_fma_f64 v[153:154], v[2:3], v[34:35], -v[36:37]
	ds_load_b128 v[2:5], v1 offset:880
	s_wait_loadcnt_dscnt 0x801
	v_mul_f64_e32 v[147:148], v[131:132], v[137:138]
	v_mul_f64_e32 v[149:150], v[133:134], v[137:138]
	scratch_load_b128 v[34:37], off, off offset:352
	v_add_f64_e32 v[143:144], v[143:144], v[139:140]
	v_add_f64_e32 v[141:142], v[145:146], v[141:142]
	ds_load_b128 v[137:140], v1 offset:896
	v_fma_f64 v[147:148], v[133:134], v[135:136], v[147:148]
	v_fma_f64 v[135:136], v[131:132], v[135:136], -v[149:150]
	scratch_load_b128 v[131:134], off, off offset:368
	s_wait_loadcnt_dscnt 0x901
	v_mul_f64_e32 v[145:146], v[2:3], v[40:41]
	v_mul_f64_e32 v[40:41], v[4:5], v[40:41]
	v_add_f64_e32 v[143:144], v[143:144], v[153:154]
	v_add_f64_e32 v[141:142], v[141:142], v[151:152]
	s_delay_alu instid0(VALU_DEP_4) | instskip(NEXT) | instid1(VALU_DEP_4)
	v_fma_f64 v[145:146], v[4:5], v[38:39], v[145:146]
	v_fma_f64 v[151:152], v[2:3], v[38:39], -v[40:41]
	ds_load_b128 v[2:5], v1 offset:912
	s_wait_loadcnt_dscnt 0x801
	v_mul_f64_e32 v[149:150], v[137:138], v[8:9]
	v_mul_f64_e32 v[8:9], v[139:140], v[8:9]
	scratch_load_b128 v[38:41], off, off offset:384
	s_wait_loadcnt_dscnt 0x800
	v_mul_f64_e32 v[153:154], v[2:3], v[12:13]
	v_add_f64_e32 v[135:136], v[143:144], v[135:136]
	v_add_f64_e32 v[147:148], v[141:142], v[147:148]
	v_mul_f64_e32 v[12:13], v[4:5], v[12:13]
	ds_load_b128 v[141:144], v1 offset:928
	v_fma_f64 v[139:140], v[139:140], v[6:7], v[149:150]
	v_fma_f64 v[137:138], v[137:138], v[6:7], -v[8:9]
	scratch_load_b128 v[6:9], off, off offset:400
	v_fma_f64 v[149:150], v[4:5], v[10:11], v[153:154]
	v_add_f64_e32 v[135:136], v[135:136], v[151:152]
	v_add_f64_e32 v[145:146], v[147:148], v[145:146]
	v_fma_f64 v[151:152], v[2:3], v[10:11], -v[12:13]
	ds_load_b128 v[2:5], v1 offset:944
	s_wait_loadcnt_dscnt 0x801
	v_mul_f64_e32 v[147:148], v[141:142], v[16:17]
	v_mul_f64_e32 v[16:17], v[143:144], v[16:17]
	scratch_load_b128 v[10:13], off, off offset:416
	v_add_f64_e32 v[153:154], v[135:136], v[137:138]
	v_add_f64_e32 v[139:140], v[145:146], v[139:140]
	s_wait_loadcnt_dscnt 0x800
	v_mul_f64_e32 v[145:146], v[2:3], v[20:21]
	v_mul_f64_e32 v[20:21], v[4:5], v[20:21]
	v_fma_f64 v[143:144], v[143:144], v[14:15], v[147:148]
	v_fma_f64 v[141:142], v[141:142], v[14:15], -v[16:17]
	ds_load_b128 v[135:138], v1 offset:960
	scratch_load_b128 v[14:17], off, off offset:432
	v_add_f64_e32 v[147:148], v[153:154], v[151:152]
	v_add_f64_e32 v[139:140], v[139:140], v[149:150]
	v_fma_f64 v[145:146], v[4:5], v[18:19], v[145:146]
	v_fma_f64 v[151:152], v[2:3], v[18:19], -v[20:21]
	ds_load_b128 v[2:5], v1 offset:976
	s_wait_loadcnt_dscnt 0x801
	v_mul_f64_e32 v[149:150], v[135:136], v[24:25]
	v_mul_f64_e32 v[24:25], v[137:138], v[24:25]
	scratch_load_b128 v[18:21], off, off offset:448
	s_wait_loadcnt_dscnt 0x800
	v_mul_f64_e32 v[153:154], v[2:3], v[28:29]
	v_mul_f64_e32 v[28:29], v[4:5], v[28:29]
	v_add_f64_e32 v[147:148], v[147:148], v[141:142]
	v_add_f64_e32 v[143:144], v[139:140], v[143:144]
	ds_load_b128 v[139:142], v1 offset:992
	v_fma_f64 v[137:138], v[137:138], v[22:23], v[149:150]
	v_fma_f64 v[135:136], v[135:136], v[22:23], -v[24:25]
	scratch_load_b128 v[22:25], off, off offset:464
	v_fma_f64 v[149:150], v[4:5], v[26:27], v[153:154]
	v_add_f64_e32 v[147:148], v[147:148], v[151:152]
	v_add_f64_e32 v[143:144], v[143:144], v[145:146]
	v_fma_f64 v[151:152], v[2:3], v[26:27], -v[28:29]
	ds_load_b128 v[2:5], v1 offset:1008
	s_wait_loadcnt_dscnt 0x801
	v_mul_f64_e32 v[145:146], v[139:140], v[32:33]
	v_mul_f64_e32 v[32:33], v[141:142], v[32:33]
	scratch_load_b128 v[26:29], off, off offset:480
	s_wait_loadcnt_dscnt 0x800
	v_mul_f64_e32 v[153:154], v[2:3], v[36:37]
	v_mul_f64_e32 v[36:37], v[4:5], v[36:37]
	v_add_f64_e32 v[147:148], v[147:148], v[135:136]
	v_add_f64_e32 v[143:144], v[143:144], v[137:138]
	ds_load_b128 v[135:138], v1 offset:1024
	v_fma_f64 v[141:142], v[141:142], v[30:31], v[145:146]
	v_fma_f64 v[139:140], v[139:140], v[30:31], -v[32:33]
	scratch_load_b128 v[30:33], off, off offset:496
	v_add_f64_e32 v[145:146], v[147:148], v[151:152]
	v_add_f64_e32 v[143:144], v[143:144], v[149:150]
	v_fma_f64 v[149:150], v[4:5], v[34:35], v[153:154]
	v_fma_f64 v[151:152], v[2:3], v[34:35], -v[36:37]
	ds_load_b128 v[2:5], v1 offset:1040
	s_wait_loadcnt_dscnt 0x801
	v_mul_f64_e32 v[147:148], v[135:136], v[133:134]
	v_mul_f64_e32 v[133:134], v[137:138], v[133:134]
	scratch_load_b128 v[34:37], off, off offset:512
	s_wait_loadcnt_dscnt 0x800
	v_mul_f64_e32 v[153:154], v[2:3], v[40:41]
	v_mul_f64_e32 v[40:41], v[4:5], v[40:41]
	v_add_f64_e32 v[145:146], v[145:146], v[139:140]
	v_add_f64_e32 v[143:144], v[143:144], v[141:142]
	ds_load_b128 v[139:142], v1 offset:1056
	v_fma_f64 v[137:138], v[137:138], v[131:132], v[147:148]
	v_fma_f64 v[135:136], v[135:136], v[131:132], -v[133:134]
	scratch_load_b128 v[131:134], off, off offset:528
	v_add_f64_e32 v[145:146], v[145:146], v[151:152]
	v_add_f64_e32 v[143:144], v[143:144], v[149:150]
	v_fma_f64 v[149:150], v[4:5], v[38:39], v[153:154]
	;; [unrolled: 18-line block ×6, first 2 shown]
	v_fma_f64 v[153:154], v[2:3], v[34:35], -v[36:37]
	ds_load_b128 v[2:5], v1 offset:1200
	s_wait_loadcnt_dscnt 0x801
	v_mul_f64_e32 v[147:148], v[139:140], v[133:134]
	v_mul_f64_e32 v[149:150], v[141:142], v[133:134]
	scratch_load_b128 v[34:37], off, off offset:672
	v_add_f64_e32 v[145:146], v[145:146], v[135:136]
	v_add_f64_e32 v[137:138], v[143:144], v[137:138]
	s_wait_loadcnt_dscnt 0x800
	v_mul_f64_e32 v[143:144], v[2:3], v[40:41]
	v_mul_f64_e32 v[40:41], v[4:5], v[40:41]
	ds_load_b128 v[133:136], v1 offset:1216
	v_fma_f64 v[141:142], v[141:142], v[131:132], v[147:148]
	v_fma_f64 v[131:132], v[139:140], v[131:132], -v[149:150]
	v_add_f64_e32 v[139:140], v[145:146], v[153:154]
	v_add_f64_e32 v[137:138], v[137:138], v[151:152]
	s_wait_loadcnt_dscnt 0x700
	v_mul_f64_e32 v[145:146], v[133:134], v[8:9]
	v_mul_f64_e32 v[8:9], v[135:136], v[8:9]
	v_fma_f64 v[143:144], v[4:5], v[38:39], v[143:144]
	v_fma_f64 v[147:148], v[2:3], v[38:39], -v[40:41]
	ds_load_b128 v[2:5], v1 offset:1232
	ds_load_b128 v[38:41], v1 offset:1248
	v_add_f64_e32 v[131:132], v[139:140], v[131:132]
	v_add_f64_e32 v[137:138], v[137:138], v[141:142]
	s_wait_loadcnt_dscnt 0x601
	v_mul_f64_e32 v[139:140], v[2:3], v[12:13]
	v_mul_f64_e32 v[12:13], v[4:5], v[12:13]
	v_fma_f64 v[135:136], v[135:136], v[6:7], v[145:146]
	v_fma_f64 v[6:7], v[133:134], v[6:7], -v[8:9]
	s_wait_loadcnt_dscnt 0x500
	v_mul_f64_e32 v[133:134], v[38:39], v[16:17]
	v_mul_f64_e32 v[16:17], v[40:41], v[16:17]
	v_add_f64_e32 v[8:9], v[131:132], v[147:148]
	v_add_f64_e32 v[131:132], v[137:138], v[143:144]
	v_fma_f64 v[137:138], v[4:5], v[10:11], v[139:140]
	v_fma_f64 v[10:11], v[2:3], v[10:11], -v[12:13]
	v_fma_f64 v[40:41], v[40:41], v[14:15], v[133:134]
	v_fma_f64 v[14:15], v[38:39], v[14:15], -v[16:17]
	v_add_f64_e32 v[12:13], v[8:9], v[6:7]
	v_add_f64_e32 v[131:132], v[131:132], v[135:136]
	ds_load_b128 v[2:5], v1 offset:1264
	ds_load_b128 v[6:9], v1 offset:1280
	s_wait_loadcnt_dscnt 0x401
	v_mul_f64_e32 v[135:136], v[2:3], v[20:21]
	v_mul_f64_e32 v[20:21], v[4:5], v[20:21]
	s_wait_loadcnt_dscnt 0x300
	v_mul_f64_e32 v[16:17], v[6:7], v[24:25]
	v_mul_f64_e32 v[24:25], v[8:9], v[24:25]
	v_add_f64_e32 v[10:11], v[12:13], v[10:11]
	v_add_f64_e32 v[12:13], v[131:132], v[137:138]
	v_fma_f64 v[38:39], v[4:5], v[18:19], v[135:136]
	v_fma_f64 v[18:19], v[2:3], v[18:19], -v[20:21]
	v_fma_f64 v[8:9], v[8:9], v[22:23], v[16:17]
	v_fma_f64 v[6:7], v[6:7], v[22:23], -v[24:25]
	v_add_f64_e32 v[14:15], v[10:11], v[14:15]
	v_add_f64_e32 v[20:21], v[12:13], v[40:41]
	ds_load_b128 v[2:5], v1 offset:1296
	ds_load_b128 v[10:13], v1 offset:1312
	s_wait_loadcnt_dscnt 0x201
	v_mul_f64_e32 v[40:41], v[2:3], v[28:29]
	v_mul_f64_e32 v[28:29], v[4:5], v[28:29]
	v_add_f64_e32 v[14:15], v[14:15], v[18:19]
	v_add_f64_e32 v[16:17], v[20:21], v[38:39]
	s_wait_loadcnt_dscnt 0x100
	v_mul_f64_e32 v[18:19], v[10:11], v[32:33]
	v_mul_f64_e32 v[20:21], v[12:13], v[32:33]
	v_fma_f64 v[22:23], v[4:5], v[26:27], v[40:41]
	v_fma_f64 v[24:25], v[2:3], v[26:27], -v[28:29]
	ds_load_b128 v[2:5], v1 offset:1328
	v_add_f64_e32 v[6:7], v[14:15], v[6:7]
	v_add_f64_e32 v[8:9], v[16:17], v[8:9]
	v_fma_f64 v[12:13], v[12:13], v[30:31], v[18:19]
	v_fma_f64 v[10:11], v[10:11], v[30:31], -v[20:21]
	s_wait_loadcnt_dscnt 0x0
	v_mul_f64_e32 v[14:15], v[2:3], v[36:37]
	v_mul_f64_e32 v[16:17], v[4:5], v[36:37]
	v_add_f64_e32 v[6:7], v[6:7], v[24:25]
	v_add_f64_e32 v[8:9], v[8:9], v[22:23]
	s_delay_alu instid0(VALU_DEP_4) | instskip(NEXT) | instid1(VALU_DEP_4)
	v_fma_f64 v[4:5], v[4:5], v[34:35], v[14:15]
	v_fma_f64 v[2:3], v[2:3], v[34:35], -v[16:17]
	s_delay_alu instid0(VALU_DEP_4) | instskip(NEXT) | instid1(VALU_DEP_4)
	v_add_f64_e32 v[6:7], v[6:7], v[10:11]
	v_add_f64_e32 v[8:9], v[8:9], v[12:13]
	s_delay_alu instid0(VALU_DEP_2) | instskip(NEXT) | instid1(VALU_DEP_2)
	v_add_f64_e32 v[2:3], v[6:7], v[2:3]
	v_add_f64_e32 v[4:5], v[8:9], v[4:5]
	s_delay_alu instid0(VALU_DEP_2) | instskip(NEXT) | instid1(VALU_DEP_2)
	v_add_f64_e64 v[2:3], v[42:43], -v[2:3]
	v_add_f64_e64 v[4:5], v[44:45], -v[4:5]
	scratch_store_b128 off, v[2:5], off offset:48
	v_cmpx_lt_u32_e32 1, v0
	s_cbranch_execz .LBB105_263
; %bb.262:
	scratch_load_b128 v[5:8], off, s50
	v_dual_mov_b32 v2, v1 :: v_dual_mov_b32 v3, v1
	v_mov_b32_e32 v4, v1
	scratch_store_b128 off, v[1:4], off offset:32
	s_wait_loadcnt 0x0
	ds_store_b128 v130, v[5:8]
.LBB105_263:
	s_wait_alu 0xfffe
	s_or_b32 exec_lo, exec_lo, s0
	s_wait_storecnt_dscnt 0x0
	s_barrier_signal -1
	s_barrier_wait -1
	global_inv scope:SCOPE_SE
	s_clause 0x8
	scratch_load_b128 v[2:5], off, off offset:48
	scratch_load_b128 v[6:9], off, off offset:64
	scratch_load_b128 v[10:13], off, off offset:80
	scratch_load_b128 v[14:17], off, off offset:96
	scratch_load_b128 v[18:21], off, off offset:112
	scratch_load_b128 v[22:25], off, off offset:128
	scratch_load_b128 v[26:29], off, off offset:144
	scratch_load_b128 v[30:33], off, off offset:160
	scratch_load_b128 v[34:37], off, off offset:176
	ds_load_b128 v[42:45], v1 offset:704
	ds_load_b128 v[38:41], v1 offset:720
	s_clause 0x1
	scratch_load_b128 v[131:134], off, off offset:32
	scratch_load_b128 v[135:138], off, off offset:192
	s_mov_b32 s0, exec_lo
	s_wait_loadcnt_dscnt 0xa01
	v_mul_f64_e32 v[139:140], v[44:45], v[4:5]
	v_mul_f64_e32 v[4:5], v[42:43], v[4:5]
	s_wait_loadcnt_dscnt 0x900
	v_mul_f64_e32 v[143:144], v[38:39], v[8:9]
	v_mul_f64_e32 v[8:9], v[40:41], v[8:9]
	s_delay_alu instid0(VALU_DEP_4) | instskip(NEXT) | instid1(VALU_DEP_4)
	v_fma_f64 v[145:146], v[42:43], v[2:3], -v[139:140]
	v_fma_f64 v[147:148], v[44:45], v[2:3], v[4:5]
	ds_load_b128 v[2:5], v1 offset:736
	ds_load_b128 v[139:142], v1 offset:752
	scratch_load_b128 v[42:45], off, off offset:208
	v_fma_f64 v[40:41], v[40:41], v[6:7], v[143:144]
	v_fma_f64 v[38:39], v[38:39], v[6:7], -v[8:9]
	scratch_load_b128 v[6:9], off, off offset:224
	s_wait_loadcnt_dscnt 0xa01
	v_mul_f64_e32 v[149:150], v[2:3], v[12:13]
	v_mul_f64_e32 v[12:13], v[4:5], v[12:13]
	v_add_f64_e32 v[143:144], 0, v[145:146]
	v_add_f64_e32 v[145:146], 0, v[147:148]
	s_wait_loadcnt_dscnt 0x900
	v_mul_f64_e32 v[147:148], v[139:140], v[16:17]
	v_mul_f64_e32 v[16:17], v[141:142], v[16:17]
	v_fma_f64 v[149:150], v[4:5], v[10:11], v[149:150]
	v_fma_f64 v[151:152], v[2:3], v[10:11], -v[12:13]
	ds_load_b128 v[2:5], v1 offset:768
	scratch_load_b128 v[10:13], off, off offset:240
	v_add_f64_e32 v[143:144], v[143:144], v[38:39]
	v_add_f64_e32 v[145:146], v[145:146], v[40:41]
	ds_load_b128 v[38:41], v1 offset:784
	v_fma_f64 v[141:142], v[141:142], v[14:15], v[147:148]
	v_fma_f64 v[139:140], v[139:140], v[14:15], -v[16:17]
	scratch_load_b128 v[14:17], off, off offset:256
	s_wait_loadcnt_dscnt 0xa01
	v_mul_f64_e32 v[153:154], v[2:3], v[20:21]
	v_mul_f64_e32 v[20:21], v[4:5], v[20:21]
	s_wait_loadcnt_dscnt 0x900
	v_mul_f64_e32 v[147:148], v[38:39], v[24:25]
	v_mul_f64_e32 v[24:25], v[40:41], v[24:25]
	v_add_f64_e32 v[143:144], v[143:144], v[151:152]
	v_add_f64_e32 v[145:146], v[145:146], v[149:150]
	v_fma_f64 v[149:150], v[4:5], v[18:19], v[153:154]
	v_fma_f64 v[151:152], v[2:3], v[18:19], -v[20:21]
	ds_load_b128 v[2:5], v1 offset:800
	scratch_load_b128 v[18:21], off, off offset:272
	v_fma_f64 v[40:41], v[40:41], v[22:23], v[147:148]
	v_fma_f64 v[38:39], v[38:39], v[22:23], -v[24:25]
	scratch_load_b128 v[22:25], off, off offset:288
	v_add_f64_e32 v[143:144], v[143:144], v[139:140]
	v_add_f64_e32 v[145:146], v[145:146], v[141:142]
	ds_load_b128 v[139:142], v1 offset:816
	s_wait_loadcnt_dscnt 0xa01
	v_mul_f64_e32 v[153:154], v[2:3], v[28:29]
	v_mul_f64_e32 v[28:29], v[4:5], v[28:29]
	s_wait_loadcnt_dscnt 0x900
	v_mul_f64_e32 v[147:148], v[139:140], v[32:33]
	v_mul_f64_e32 v[32:33], v[141:142], v[32:33]
	v_add_f64_e32 v[143:144], v[143:144], v[151:152]
	v_add_f64_e32 v[145:146], v[145:146], v[149:150]
	v_fma_f64 v[149:150], v[4:5], v[26:27], v[153:154]
	v_fma_f64 v[151:152], v[2:3], v[26:27], -v[28:29]
	ds_load_b128 v[2:5], v1 offset:832
	scratch_load_b128 v[26:29], off, off offset:304
	v_fma_f64 v[141:142], v[141:142], v[30:31], v[147:148]
	v_fma_f64 v[139:140], v[139:140], v[30:31], -v[32:33]
	scratch_load_b128 v[30:33], off, off offset:320
	v_add_f64_e32 v[143:144], v[143:144], v[38:39]
	v_add_f64_e32 v[145:146], v[145:146], v[40:41]
	ds_load_b128 v[38:41], v1 offset:848
	s_wait_loadcnt_dscnt 0xa01
	v_mul_f64_e32 v[153:154], v[2:3], v[36:37]
	v_mul_f64_e32 v[36:37], v[4:5], v[36:37]
	s_wait_loadcnt_dscnt 0x800
	v_mul_f64_e32 v[147:148], v[38:39], v[137:138]
	v_add_f64_e32 v[143:144], v[143:144], v[151:152]
	v_add_f64_e32 v[145:146], v[145:146], v[149:150]
	v_mul_f64_e32 v[149:150], v[40:41], v[137:138]
	v_fma_f64 v[151:152], v[4:5], v[34:35], v[153:154]
	v_fma_f64 v[153:154], v[2:3], v[34:35], -v[36:37]
	ds_load_b128 v[2:5], v1 offset:864
	scratch_load_b128 v[34:37], off, off offset:336
	v_fma_f64 v[147:148], v[40:41], v[135:136], v[147:148]
	v_add_f64_e32 v[143:144], v[143:144], v[139:140]
	v_add_f64_e32 v[141:142], v[145:146], v[141:142]
	ds_load_b128 v[137:140], v1 offset:880
	v_fma_f64 v[135:136], v[38:39], v[135:136], -v[149:150]
	scratch_load_b128 v[38:41], off, off offset:352
	s_wait_loadcnt_dscnt 0x901
	v_mul_f64_e32 v[145:146], v[2:3], v[44:45]
	v_mul_f64_e32 v[44:45], v[4:5], v[44:45]
	s_wait_loadcnt_dscnt 0x800
	v_mul_f64_e32 v[149:150], v[137:138], v[8:9]
	v_mul_f64_e32 v[8:9], v[139:140], v[8:9]
	v_add_f64_e32 v[143:144], v[143:144], v[153:154]
	v_add_f64_e32 v[141:142], v[141:142], v[151:152]
	v_fma_f64 v[145:146], v[4:5], v[42:43], v[145:146]
	v_fma_f64 v[151:152], v[2:3], v[42:43], -v[44:45]
	ds_load_b128 v[2:5], v1 offset:896
	scratch_load_b128 v[42:45], off, off offset:368
	v_fma_f64 v[139:140], v[139:140], v[6:7], v[149:150]
	v_fma_f64 v[137:138], v[137:138], v[6:7], -v[8:9]
	scratch_load_b128 v[6:9], off, off offset:384
	v_add_f64_e32 v[135:136], v[143:144], v[135:136]
	v_add_f64_e32 v[147:148], v[141:142], v[147:148]
	ds_load_b128 v[141:144], v1 offset:912
	s_wait_loadcnt_dscnt 0x901
	v_mul_f64_e32 v[153:154], v[2:3], v[12:13]
	v_mul_f64_e32 v[12:13], v[4:5], v[12:13]
	v_add_f64_e32 v[135:136], v[135:136], v[151:152]
	v_add_f64_e32 v[145:146], v[147:148], v[145:146]
	s_wait_loadcnt_dscnt 0x800
	v_mul_f64_e32 v[147:148], v[141:142], v[16:17]
	v_mul_f64_e32 v[16:17], v[143:144], v[16:17]
	v_fma_f64 v[149:150], v[4:5], v[10:11], v[153:154]
	v_fma_f64 v[151:152], v[2:3], v[10:11], -v[12:13]
	ds_load_b128 v[2:5], v1 offset:928
	scratch_load_b128 v[10:13], off, off offset:400
	v_add_f64_e32 v[153:154], v[135:136], v[137:138]
	v_add_f64_e32 v[139:140], v[145:146], v[139:140]
	ds_load_b128 v[135:138], v1 offset:944
	s_wait_loadcnt_dscnt 0x801
	v_mul_f64_e32 v[145:146], v[2:3], v[20:21]
	v_mul_f64_e32 v[20:21], v[4:5], v[20:21]
	v_fma_f64 v[143:144], v[143:144], v[14:15], v[147:148]
	v_fma_f64 v[141:142], v[141:142], v[14:15], -v[16:17]
	scratch_load_b128 v[14:17], off, off offset:416
	v_add_f64_e32 v[147:148], v[153:154], v[151:152]
	v_add_f64_e32 v[139:140], v[139:140], v[149:150]
	s_wait_loadcnt_dscnt 0x800
	v_mul_f64_e32 v[149:150], v[135:136], v[24:25]
	v_mul_f64_e32 v[24:25], v[137:138], v[24:25]
	v_fma_f64 v[145:146], v[4:5], v[18:19], v[145:146]
	v_fma_f64 v[151:152], v[2:3], v[18:19], -v[20:21]
	ds_load_b128 v[2:5], v1 offset:960
	scratch_load_b128 v[18:21], off, off offset:432
	v_add_f64_e32 v[147:148], v[147:148], v[141:142]
	v_add_f64_e32 v[143:144], v[139:140], v[143:144]
	ds_load_b128 v[139:142], v1 offset:976
	s_wait_loadcnt_dscnt 0x801
	v_mul_f64_e32 v[153:154], v[2:3], v[28:29]
	v_mul_f64_e32 v[28:29], v[4:5], v[28:29]
	v_fma_f64 v[137:138], v[137:138], v[22:23], v[149:150]
	v_fma_f64 v[135:136], v[135:136], v[22:23], -v[24:25]
	scratch_load_b128 v[22:25], off, off offset:448
	;; [unrolled: 18-line block ×4, first 2 shown]
	s_wait_loadcnt_dscnt 0x800
	v_mul_f64_e32 v[147:148], v[139:140], v[8:9]
	v_mul_f64_e32 v[8:9], v[141:142], v[8:9]
	v_add_f64_e32 v[145:146], v[145:146], v[151:152]
	v_add_f64_e32 v[143:144], v[143:144], v[149:150]
	v_fma_f64 v[149:150], v[4:5], v[42:43], v[153:154]
	v_fma_f64 v[151:152], v[2:3], v[42:43], -v[44:45]
	ds_load_b128 v[2:5], v1 offset:1056
	scratch_load_b128 v[42:45], off, off offset:528
	v_fma_f64 v[141:142], v[141:142], v[6:7], v[147:148]
	v_fma_f64 v[139:140], v[139:140], v[6:7], -v[8:9]
	scratch_load_b128 v[6:9], off, off offset:544
	v_add_f64_e32 v[145:146], v[145:146], v[135:136]
	v_add_f64_e32 v[143:144], v[143:144], v[137:138]
	ds_load_b128 v[135:138], v1 offset:1072
	s_wait_loadcnt_dscnt 0x901
	v_mul_f64_e32 v[153:154], v[2:3], v[12:13]
	v_mul_f64_e32 v[12:13], v[4:5], v[12:13]
	s_wait_loadcnt_dscnt 0x800
	v_mul_f64_e32 v[147:148], v[135:136], v[16:17]
	v_mul_f64_e32 v[16:17], v[137:138], v[16:17]
	v_add_f64_e32 v[145:146], v[145:146], v[151:152]
	v_add_f64_e32 v[143:144], v[143:144], v[149:150]
	v_fma_f64 v[149:150], v[4:5], v[10:11], v[153:154]
	v_fma_f64 v[151:152], v[2:3], v[10:11], -v[12:13]
	ds_load_b128 v[2:5], v1 offset:1088
	scratch_load_b128 v[10:13], off, off offset:560
	v_fma_f64 v[137:138], v[137:138], v[14:15], v[147:148]
	v_fma_f64 v[135:136], v[135:136], v[14:15], -v[16:17]
	scratch_load_b128 v[14:17], off, off offset:576
	v_add_f64_e32 v[145:146], v[145:146], v[139:140]
	v_add_f64_e32 v[143:144], v[143:144], v[141:142]
	ds_load_b128 v[139:142], v1 offset:1104
	s_wait_loadcnt_dscnt 0x901
	v_mul_f64_e32 v[153:154], v[2:3], v[20:21]
	v_mul_f64_e32 v[20:21], v[4:5], v[20:21]
	;; [unrolled: 18-line block ×5, first 2 shown]
	s_wait_loadcnt_dscnt 0x800
	v_mul_f64_e32 v[147:148], v[135:136], v[8:9]
	v_mul_f64_e32 v[8:9], v[137:138], v[8:9]
	v_add_f64_e32 v[145:146], v[145:146], v[151:152]
	v_add_f64_e32 v[143:144], v[143:144], v[149:150]
	v_fma_f64 v[149:150], v[4:5], v[42:43], v[153:154]
	v_fma_f64 v[151:152], v[2:3], v[42:43], -v[44:45]
	ds_load_b128 v[2:5], v1 offset:1216
	ds_load_b128 v[42:45], v1 offset:1232
	v_fma_f64 v[137:138], v[137:138], v[6:7], v[147:148]
	v_fma_f64 v[6:7], v[135:136], v[6:7], -v[8:9]
	v_add_f64_e32 v[139:140], v[145:146], v[139:140]
	v_add_f64_e32 v[141:142], v[143:144], v[141:142]
	s_wait_loadcnt_dscnt 0x701
	v_mul_f64_e32 v[143:144], v[2:3], v[12:13]
	v_mul_f64_e32 v[12:13], v[4:5], v[12:13]
	s_delay_alu instid0(VALU_DEP_4) | instskip(NEXT) | instid1(VALU_DEP_4)
	v_add_f64_e32 v[8:9], v[139:140], v[151:152]
	v_add_f64_e32 v[135:136], v[141:142], v[149:150]
	s_wait_loadcnt_dscnt 0x600
	v_mul_f64_e32 v[139:140], v[42:43], v[16:17]
	v_mul_f64_e32 v[16:17], v[44:45], v[16:17]
	v_fma_f64 v[141:142], v[4:5], v[10:11], v[143:144]
	v_fma_f64 v[10:11], v[2:3], v[10:11], -v[12:13]
	v_add_f64_e32 v[12:13], v[8:9], v[6:7]
	v_add_f64_e32 v[135:136], v[135:136], v[137:138]
	ds_load_b128 v[2:5], v1 offset:1248
	ds_load_b128 v[6:9], v1 offset:1264
	v_fma_f64 v[44:45], v[44:45], v[14:15], v[139:140]
	v_fma_f64 v[14:15], v[42:43], v[14:15], -v[16:17]
	s_wait_loadcnt_dscnt 0x501
	v_mul_f64_e32 v[137:138], v[2:3], v[20:21]
	v_mul_f64_e32 v[20:21], v[4:5], v[20:21]
	s_wait_loadcnt_dscnt 0x400
	v_mul_f64_e32 v[16:17], v[6:7], v[24:25]
	v_mul_f64_e32 v[24:25], v[8:9], v[24:25]
	v_add_f64_e32 v[10:11], v[12:13], v[10:11]
	v_add_f64_e32 v[12:13], v[135:136], v[141:142]
	v_fma_f64 v[42:43], v[4:5], v[18:19], v[137:138]
	v_fma_f64 v[18:19], v[2:3], v[18:19], -v[20:21]
	v_fma_f64 v[8:9], v[8:9], v[22:23], v[16:17]
	v_fma_f64 v[6:7], v[6:7], v[22:23], -v[24:25]
	v_add_f64_e32 v[14:15], v[10:11], v[14:15]
	v_add_f64_e32 v[20:21], v[12:13], v[44:45]
	ds_load_b128 v[2:5], v1 offset:1280
	ds_load_b128 v[10:13], v1 offset:1296
	s_wait_loadcnt_dscnt 0x301
	v_mul_f64_e32 v[44:45], v[2:3], v[28:29]
	v_mul_f64_e32 v[28:29], v[4:5], v[28:29]
	v_add_f64_e32 v[14:15], v[14:15], v[18:19]
	v_add_f64_e32 v[16:17], v[20:21], v[42:43]
	s_wait_loadcnt_dscnt 0x200
	v_mul_f64_e32 v[18:19], v[10:11], v[32:33]
	v_mul_f64_e32 v[20:21], v[12:13], v[32:33]
	v_fma_f64 v[22:23], v[4:5], v[26:27], v[44:45]
	v_fma_f64 v[24:25], v[2:3], v[26:27], -v[28:29]
	v_add_f64_e32 v[14:15], v[14:15], v[6:7]
	v_add_f64_e32 v[16:17], v[16:17], v[8:9]
	ds_load_b128 v[2:5], v1 offset:1312
	ds_load_b128 v[6:9], v1 offset:1328
	v_fma_f64 v[12:13], v[12:13], v[30:31], v[18:19]
	v_fma_f64 v[10:11], v[10:11], v[30:31], -v[20:21]
	s_wait_loadcnt_dscnt 0x101
	v_mul_f64_e32 v[26:27], v[2:3], v[36:37]
	v_mul_f64_e32 v[28:29], v[4:5], v[36:37]
	s_wait_loadcnt_dscnt 0x0
	v_mul_f64_e32 v[18:19], v[6:7], v[40:41]
	v_mul_f64_e32 v[20:21], v[8:9], v[40:41]
	v_add_f64_e32 v[14:15], v[14:15], v[24:25]
	v_add_f64_e32 v[16:17], v[16:17], v[22:23]
	v_fma_f64 v[4:5], v[4:5], v[34:35], v[26:27]
	v_fma_f64 v[1:2], v[2:3], v[34:35], -v[28:29]
	v_fma_f64 v[8:9], v[8:9], v[38:39], v[18:19]
	v_fma_f64 v[6:7], v[6:7], v[38:39], -v[20:21]
	v_add_f64_e32 v[10:11], v[14:15], v[10:11]
	v_add_f64_e32 v[12:13], v[16:17], v[12:13]
	s_delay_alu instid0(VALU_DEP_2) | instskip(NEXT) | instid1(VALU_DEP_2)
	v_add_f64_e32 v[1:2], v[10:11], v[1:2]
	v_add_f64_e32 v[3:4], v[12:13], v[4:5]
	s_delay_alu instid0(VALU_DEP_2) | instskip(NEXT) | instid1(VALU_DEP_2)
	;; [unrolled: 3-line block ×3, first 2 shown]
	v_add_f64_e64 v[1:2], v[131:132], -v[1:2]
	v_add_f64_e64 v[3:4], v[133:134], -v[3:4]
	scratch_store_b128 off, v[1:4], off offset:32
	v_cmpx_ne_u32_e32 0, v0
	s_cbranch_execz .LBB105_265
; %bb.264:
	scratch_load_b128 v[0:3], off, off offset:16
	v_mov_b32_e32 v4, 0
	s_delay_alu instid0(VALU_DEP_1)
	v_dual_mov_b32 v5, v4 :: v_dual_mov_b32 v6, v4
	v_mov_b32_e32 v7, v4
	scratch_store_b128 off, v[4:7], off offset:16
	s_wait_loadcnt 0x0
	ds_store_b128 v130, v[0:3]
.LBB105_265:
	s_wait_alu 0xfffe
	s_or_b32 exec_lo, exec_lo, s0
	s_wait_storecnt_dscnt 0x0
	s_barrier_signal -1
	s_barrier_wait -1
	global_inv scope:SCOPE_SE
	s_clause 0x7
	scratch_load_b128 v[0:3], off, off offset:32
	scratch_load_b128 v[4:7], off, off offset:48
	;; [unrolled: 1-line block ×8, first 2 shown]
	v_mov_b32_e32 v40, 0
	s_and_b32 vcc_lo, exec_lo, s12
	ds_load_b128 v[36:39], v40 offset:688
	s_clause 0x1
	scratch_load_b128 v[32:35], off, off offset:160
	scratch_load_b128 v[41:44], off, off offset:16
	ds_load_b128 v[130:133], v40 offset:704
	scratch_load_b128 v[134:137], off, off offset:176
	s_wait_loadcnt_dscnt 0xa01
	v_mul_f64_e32 v[138:139], v[38:39], v[2:3]
	v_mul_f64_e32 v[2:3], v[36:37], v[2:3]
	s_delay_alu instid0(VALU_DEP_2) | instskip(NEXT) | instid1(VALU_DEP_2)
	v_fma_f64 v[144:145], v[36:37], v[0:1], -v[138:139]
	v_fma_f64 v[146:147], v[38:39], v[0:1], v[2:3]
	ds_load_b128 v[0:3], v40 offset:720
	s_wait_loadcnt_dscnt 0x901
	v_mul_f64_e32 v[142:143], v[130:131], v[6:7]
	v_mul_f64_e32 v[6:7], v[132:133], v[6:7]
	scratch_load_b128 v[36:39], off, off offset:192
	ds_load_b128 v[138:141], v40 offset:736
	s_wait_loadcnt_dscnt 0x901
	v_mul_f64_e32 v[148:149], v[0:1], v[10:11]
	v_mul_f64_e32 v[10:11], v[2:3], v[10:11]
	v_fma_f64 v[132:133], v[132:133], v[4:5], v[142:143]
	v_fma_f64 v[130:131], v[130:131], v[4:5], -v[6:7]
	v_add_f64_e32 v[142:143], 0, v[144:145]
	v_add_f64_e32 v[144:145], 0, v[146:147]
	scratch_load_b128 v[4:7], off, off offset:208
	v_fma_f64 v[148:149], v[2:3], v[8:9], v[148:149]
	v_fma_f64 v[150:151], v[0:1], v[8:9], -v[10:11]
	ds_load_b128 v[0:3], v40 offset:752
	s_wait_loadcnt_dscnt 0x901
	v_mul_f64_e32 v[146:147], v[138:139], v[14:15]
	v_mul_f64_e32 v[14:15], v[140:141], v[14:15]
	scratch_load_b128 v[8:11], off, off offset:224
	v_add_f64_e32 v[142:143], v[142:143], v[130:131]
	v_add_f64_e32 v[144:145], v[144:145], v[132:133]
	s_wait_loadcnt_dscnt 0x900
	v_mul_f64_e32 v[152:153], v[0:1], v[18:19]
	v_mul_f64_e32 v[18:19], v[2:3], v[18:19]
	ds_load_b128 v[130:133], v40 offset:768
	v_fma_f64 v[140:141], v[140:141], v[12:13], v[146:147]
	v_fma_f64 v[138:139], v[138:139], v[12:13], -v[14:15]
	scratch_load_b128 v[12:15], off, off offset:240
	v_add_f64_e32 v[142:143], v[142:143], v[150:151]
	v_add_f64_e32 v[144:145], v[144:145], v[148:149]
	v_fma_f64 v[148:149], v[2:3], v[16:17], v[152:153]
	v_fma_f64 v[150:151], v[0:1], v[16:17], -v[18:19]
	ds_load_b128 v[0:3], v40 offset:784
	s_wait_loadcnt_dscnt 0x901
	v_mul_f64_e32 v[146:147], v[130:131], v[22:23]
	v_mul_f64_e32 v[22:23], v[132:133], v[22:23]
	scratch_load_b128 v[16:19], off, off offset:256
	s_wait_loadcnt_dscnt 0x900
	v_mul_f64_e32 v[152:153], v[0:1], v[26:27]
	v_mul_f64_e32 v[26:27], v[2:3], v[26:27]
	v_add_f64_e32 v[142:143], v[142:143], v[138:139]
	v_add_f64_e32 v[144:145], v[144:145], v[140:141]
	ds_load_b128 v[138:141], v40 offset:800
	v_fma_f64 v[132:133], v[132:133], v[20:21], v[146:147]
	v_fma_f64 v[130:131], v[130:131], v[20:21], -v[22:23]
	scratch_load_b128 v[20:23], off, off offset:272
	v_add_f64_e32 v[142:143], v[142:143], v[150:151]
	v_add_f64_e32 v[144:145], v[144:145], v[148:149]
	v_fma_f64 v[148:149], v[2:3], v[24:25], v[152:153]
	v_fma_f64 v[150:151], v[0:1], v[24:25], -v[26:27]
	ds_load_b128 v[0:3], v40 offset:816
	s_wait_loadcnt_dscnt 0x901
	v_mul_f64_e32 v[146:147], v[138:139], v[30:31]
	v_mul_f64_e32 v[30:31], v[140:141], v[30:31]
	scratch_load_b128 v[24:27], off, off offset:288
	s_wait_loadcnt_dscnt 0x900
	v_mul_f64_e32 v[152:153], v[0:1], v[34:35]
	v_mul_f64_e32 v[34:35], v[2:3], v[34:35]
	v_add_f64_e32 v[142:143], v[142:143], v[130:131]
	v_add_f64_e32 v[144:145], v[144:145], v[132:133]
	ds_load_b128 v[130:133], v40 offset:832
	v_fma_f64 v[140:141], v[140:141], v[28:29], v[146:147]
	v_fma_f64 v[138:139], v[138:139], v[28:29], -v[30:31]
	scratch_load_b128 v[28:31], off, off offset:304
	v_add_f64_e32 v[142:143], v[142:143], v[150:151]
	v_add_f64_e32 v[144:145], v[144:145], v[148:149]
	v_fma_f64 v[150:151], v[2:3], v[32:33], v[152:153]
	v_fma_f64 v[152:153], v[0:1], v[32:33], -v[34:35]
	ds_load_b128 v[0:3], v40 offset:848
	s_wait_loadcnt_dscnt 0x801
	v_mul_f64_e32 v[146:147], v[130:131], v[136:137]
	v_mul_f64_e32 v[148:149], v[132:133], v[136:137]
	scratch_load_b128 v[32:35], off, off offset:320
	v_add_f64_e32 v[142:143], v[142:143], v[138:139]
	v_add_f64_e32 v[140:141], v[144:145], v[140:141]
	ds_load_b128 v[136:139], v40 offset:864
	v_fma_f64 v[146:147], v[132:133], v[134:135], v[146:147]
	v_fma_f64 v[134:135], v[130:131], v[134:135], -v[148:149]
	scratch_load_b128 v[130:133], off, off offset:336
	s_wait_loadcnt_dscnt 0x901
	v_mul_f64_e32 v[144:145], v[0:1], v[38:39]
	v_mul_f64_e32 v[38:39], v[2:3], v[38:39]
	v_add_f64_e32 v[142:143], v[142:143], v[152:153]
	v_add_f64_e32 v[140:141], v[140:141], v[150:151]
	s_delay_alu instid0(VALU_DEP_4) | instskip(NEXT) | instid1(VALU_DEP_4)
	v_fma_f64 v[144:145], v[2:3], v[36:37], v[144:145]
	v_fma_f64 v[150:151], v[0:1], v[36:37], -v[38:39]
	ds_load_b128 v[0:3], v40 offset:880
	s_wait_loadcnt_dscnt 0x801
	v_mul_f64_e32 v[148:149], v[136:137], v[6:7]
	v_mul_f64_e32 v[6:7], v[138:139], v[6:7]
	scratch_load_b128 v[36:39], off, off offset:352
	s_wait_loadcnt_dscnt 0x800
	v_mul_f64_e32 v[152:153], v[0:1], v[10:11]
	v_add_f64_e32 v[134:135], v[142:143], v[134:135]
	v_add_f64_e32 v[146:147], v[140:141], v[146:147]
	v_mul_f64_e32 v[10:11], v[2:3], v[10:11]
	ds_load_b128 v[140:143], v40 offset:896
	v_fma_f64 v[138:139], v[138:139], v[4:5], v[148:149]
	v_fma_f64 v[136:137], v[136:137], v[4:5], -v[6:7]
	scratch_load_b128 v[4:7], off, off offset:368
	v_fma_f64 v[148:149], v[2:3], v[8:9], v[152:153]
	v_add_f64_e32 v[134:135], v[134:135], v[150:151]
	v_add_f64_e32 v[144:145], v[146:147], v[144:145]
	v_fma_f64 v[150:151], v[0:1], v[8:9], -v[10:11]
	ds_load_b128 v[0:3], v40 offset:912
	s_wait_loadcnt_dscnt 0x801
	v_mul_f64_e32 v[146:147], v[140:141], v[14:15]
	v_mul_f64_e32 v[14:15], v[142:143], v[14:15]
	scratch_load_b128 v[8:11], off, off offset:384
	v_add_f64_e32 v[152:153], v[134:135], v[136:137]
	v_add_f64_e32 v[138:139], v[144:145], v[138:139]
	s_wait_loadcnt_dscnt 0x800
	v_mul_f64_e32 v[144:145], v[0:1], v[18:19]
	v_mul_f64_e32 v[18:19], v[2:3], v[18:19]
	v_fma_f64 v[142:143], v[142:143], v[12:13], v[146:147]
	v_fma_f64 v[140:141], v[140:141], v[12:13], -v[14:15]
	ds_load_b128 v[134:137], v40 offset:928
	scratch_load_b128 v[12:15], off, off offset:400
	v_add_f64_e32 v[146:147], v[152:153], v[150:151]
	v_add_f64_e32 v[138:139], v[138:139], v[148:149]
	v_fma_f64 v[144:145], v[2:3], v[16:17], v[144:145]
	v_fma_f64 v[150:151], v[0:1], v[16:17], -v[18:19]
	ds_load_b128 v[0:3], v40 offset:944
	s_wait_loadcnt_dscnt 0x801
	v_mul_f64_e32 v[148:149], v[134:135], v[22:23]
	v_mul_f64_e32 v[22:23], v[136:137], v[22:23]
	scratch_load_b128 v[16:19], off, off offset:416
	s_wait_loadcnt_dscnt 0x800
	v_mul_f64_e32 v[152:153], v[0:1], v[26:27]
	v_mul_f64_e32 v[26:27], v[2:3], v[26:27]
	v_add_f64_e32 v[146:147], v[146:147], v[140:141]
	v_add_f64_e32 v[142:143], v[138:139], v[142:143]
	ds_load_b128 v[138:141], v40 offset:960
	v_fma_f64 v[136:137], v[136:137], v[20:21], v[148:149]
	v_fma_f64 v[134:135], v[134:135], v[20:21], -v[22:23]
	scratch_load_b128 v[20:23], off, off offset:432
	v_fma_f64 v[148:149], v[2:3], v[24:25], v[152:153]
	v_add_f64_e32 v[146:147], v[146:147], v[150:151]
	v_add_f64_e32 v[142:143], v[142:143], v[144:145]
	v_fma_f64 v[150:151], v[0:1], v[24:25], -v[26:27]
	ds_load_b128 v[0:3], v40 offset:976
	s_wait_loadcnt_dscnt 0x801
	v_mul_f64_e32 v[144:145], v[138:139], v[30:31]
	v_mul_f64_e32 v[30:31], v[140:141], v[30:31]
	scratch_load_b128 v[24:27], off, off offset:448
	s_wait_loadcnt_dscnt 0x800
	v_mul_f64_e32 v[152:153], v[0:1], v[34:35]
	v_mul_f64_e32 v[34:35], v[2:3], v[34:35]
	v_add_f64_e32 v[146:147], v[146:147], v[134:135]
	v_add_f64_e32 v[142:143], v[142:143], v[136:137]
	ds_load_b128 v[134:137], v40 offset:992
	v_fma_f64 v[140:141], v[140:141], v[28:29], v[144:145]
	v_fma_f64 v[138:139], v[138:139], v[28:29], -v[30:31]
	scratch_load_b128 v[28:31], off, off offset:464
	v_add_f64_e32 v[144:145], v[146:147], v[150:151]
	v_add_f64_e32 v[142:143], v[142:143], v[148:149]
	v_fma_f64 v[148:149], v[2:3], v[32:33], v[152:153]
	v_fma_f64 v[150:151], v[0:1], v[32:33], -v[34:35]
	ds_load_b128 v[0:3], v40 offset:1008
	s_wait_loadcnt_dscnt 0x801
	v_mul_f64_e32 v[146:147], v[134:135], v[132:133]
	v_mul_f64_e32 v[132:133], v[136:137], v[132:133]
	scratch_load_b128 v[32:35], off, off offset:480
	s_wait_loadcnt_dscnt 0x800
	v_mul_f64_e32 v[152:153], v[0:1], v[38:39]
	v_mul_f64_e32 v[38:39], v[2:3], v[38:39]
	v_add_f64_e32 v[144:145], v[144:145], v[138:139]
	v_add_f64_e32 v[142:143], v[142:143], v[140:141]
	ds_load_b128 v[138:141], v40 offset:1024
	v_fma_f64 v[136:137], v[136:137], v[130:131], v[146:147]
	v_fma_f64 v[134:135], v[134:135], v[130:131], -v[132:133]
	scratch_load_b128 v[130:133], off, off offset:496
	v_add_f64_e32 v[144:145], v[144:145], v[150:151]
	v_add_f64_e32 v[142:143], v[142:143], v[148:149]
	v_fma_f64 v[148:149], v[2:3], v[36:37], v[152:153]
	;; [unrolled: 18-line block ×6, first 2 shown]
	v_fma_f64 v[152:153], v[0:1], v[32:33], -v[34:35]
	ds_load_b128 v[0:3], v40 offset:1168
	s_wait_loadcnt_dscnt 0x801
	v_mul_f64_e32 v[146:147], v[138:139], v[132:133]
	v_mul_f64_e32 v[148:149], v[140:141], v[132:133]
	scratch_load_b128 v[32:35], off, off offset:640
	v_add_f64_e32 v[144:145], v[144:145], v[134:135]
	v_add_f64_e32 v[136:137], v[142:143], v[136:137]
	s_wait_loadcnt_dscnt 0x800
	v_mul_f64_e32 v[142:143], v[0:1], v[38:39]
	v_mul_f64_e32 v[38:39], v[2:3], v[38:39]
	ds_load_b128 v[132:135], v40 offset:1184
	v_fma_f64 v[140:141], v[140:141], v[130:131], v[146:147]
	v_fma_f64 v[130:131], v[138:139], v[130:131], -v[148:149]
	v_add_f64_e32 v[144:145], v[144:145], v[152:153]
	v_add_f64_e32 v[146:147], v[136:137], v[150:151]
	scratch_load_b128 v[136:139], off, off offset:656
	v_fma_f64 v[150:151], v[2:3], v[36:37], v[142:143]
	v_fma_f64 v[152:153], v[0:1], v[36:37], -v[38:39]
	ds_load_b128 v[0:3], v40 offset:1200
	s_wait_loadcnt_dscnt 0x801
	v_mul_f64_e32 v[148:149], v[132:133], v[6:7]
	v_mul_f64_e32 v[6:7], v[134:135], v[6:7]
	scratch_load_b128 v[36:39], off, off offset:672
	v_add_f64_e32 v[130:131], v[144:145], v[130:131]
	v_add_f64_e32 v[144:145], v[146:147], v[140:141]
	s_wait_loadcnt_dscnt 0x800
	v_mul_f64_e32 v[146:147], v[0:1], v[10:11]
	v_mul_f64_e32 v[10:11], v[2:3], v[10:11]
	ds_load_b128 v[140:143], v40 offset:1216
	v_fma_f64 v[134:135], v[134:135], v[4:5], v[148:149]
	v_fma_f64 v[4:5], v[132:133], v[4:5], -v[6:7]
	s_wait_loadcnt_dscnt 0x700
	v_mul_f64_e32 v[132:133], v[140:141], v[14:15]
	v_mul_f64_e32 v[14:15], v[142:143], v[14:15]
	v_add_f64_e32 v[6:7], v[130:131], v[152:153]
	v_add_f64_e32 v[130:131], v[144:145], v[150:151]
	v_fma_f64 v[144:145], v[2:3], v[8:9], v[146:147]
	v_fma_f64 v[8:9], v[0:1], v[8:9], -v[10:11]
	v_fma_f64 v[132:133], v[142:143], v[12:13], v[132:133]
	v_fma_f64 v[12:13], v[140:141], v[12:13], -v[14:15]
	v_add_f64_e32 v[10:11], v[6:7], v[4:5]
	v_add_f64_e32 v[130:131], v[130:131], v[134:135]
	ds_load_b128 v[0:3], v40 offset:1232
	ds_load_b128 v[4:7], v40 offset:1248
	s_wait_loadcnt_dscnt 0x601
	v_mul_f64_e32 v[134:135], v[0:1], v[18:19]
	v_mul_f64_e32 v[18:19], v[2:3], v[18:19]
	s_wait_loadcnt_dscnt 0x500
	v_mul_f64_e32 v[14:15], v[4:5], v[22:23]
	v_mul_f64_e32 v[22:23], v[6:7], v[22:23]
	v_add_f64_e32 v[8:9], v[10:11], v[8:9]
	v_add_f64_e32 v[10:11], v[130:131], v[144:145]
	v_fma_f64 v[130:131], v[2:3], v[16:17], v[134:135]
	v_fma_f64 v[16:17], v[0:1], v[16:17], -v[18:19]
	v_fma_f64 v[6:7], v[6:7], v[20:21], v[14:15]
	v_fma_f64 v[4:5], v[4:5], v[20:21], -v[22:23]
	v_add_f64_e32 v[12:13], v[8:9], v[12:13]
	v_add_f64_e32 v[18:19], v[10:11], v[132:133]
	ds_load_b128 v[0:3], v40 offset:1264
	ds_load_b128 v[8:11], v40 offset:1280
	s_wait_loadcnt_dscnt 0x401
	v_mul_f64_e32 v[132:133], v[0:1], v[26:27]
	v_mul_f64_e32 v[26:27], v[2:3], v[26:27]
	v_add_f64_e32 v[12:13], v[12:13], v[16:17]
	v_add_f64_e32 v[14:15], v[18:19], v[130:131]
	s_wait_loadcnt_dscnt 0x300
	v_mul_f64_e32 v[16:17], v[8:9], v[30:31]
	v_mul_f64_e32 v[18:19], v[10:11], v[30:31]
	v_fma_f64 v[20:21], v[2:3], v[24:25], v[132:133]
	v_fma_f64 v[22:23], v[0:1], v[24:25], -v[26:27]
	v_add_f64_e32 v[12:13], v[12:13], v[4:5]
	v_add_f64_e32 v[14:15], v[14:15], v[6:7]
	ds_load_b128 v[0:3], v40 offset:1296
	ds_load_b128 v[4:7], v40 offset:1312
	v_fma_f64 v[10:11], v[10:11], v[28:29], v[16:17]
	v_fma_f64 v[8:9], v[8:9], v[28:29], -v[18:19]
	s_wait_loadcnt_dscnt 0x201
	v_mul_f64_e32 v[24:25], v[0:1], v[34:35]
	v_mul_f64_e32 v[26:27], v[2:3], v[34:35]
	v_add_f64_e32 v[12:13], v[12:13], v[22:23]
	v_add_f64_e32 v[14:15], v[14:15], v[20:21]
	s_wait_loadcnt_dscnt 0x100
	v_mul_f64_e32 v[16:17], v[4:5], v[138:139]
	v_mul_f64_e32 v[18:19], v[6:7], v[138:139]
	v_fma_f64 v[20:21], v[2:3], v[32:33], v[24:25]
	v_fma_f64 v[22:23], v[0:1], v[32:33], -v[26:27]
	ds_load_b128 v[0:3], v40 offset:1328
	v_add_f64_e32 v[8:9], v[12:13], v[8:9]
	v_add_f64_e32 v[10:11], v[14:15], v[10:11]
	s_wait_loadcnt_dscnt 0x0
	v_mul_f64_e32 v[12:13], v[0:1], v[38:39]
	v_mul_f64_e32 v[14:15], v[2:3], v[38:39]
	v_fma_f64 v[6:7], v[6:7], v[136:137], v[16:17]
	v_fma_f64 v[4:5], v[4:5], v[136:137], -v[18:19]
	v_add_f64_e32 v[8:9], v[8:9], v[22:23]
	v_add_f64_e32 v[10:11], v[10:11], v[20:21]
	v_fma_f64 v[2:3], v[2:3], v[36:37], v[12:13]
	v_fma_f64 v[0:1], v[0:1], v[36:37], -v[14:15]
	s_delay_alu instid0(VALU_DEP_4) | instskip(NEXT) | instid1(VALU_DEP_4)
	v_add_f64_e32 v[4:5], v[8:9], v[4:5]
	v_add_f64_e32 v[6:7], v[10:11], v[6:7]
	s_delay_alu instid0(VALU_DEP_2) | instskip(NEXT) | instid1(VALU_DEP_2)
	v_add_f64_e32 v[0:1], v[4:5], v[0:1]
	v_add_f64_e32 v[2:3], v[6:7], v[2:3]
	s_delay_alu instid0(VALU_DEP_2) | instskip(NEXT) | instid1(VALU_DEP_2)
	v_add_f64_e64 v[0:1], v[41:42], -v[0:1]
	v_add_f64_e64 v[2:3], v[43:44], -v[2:3]
	scratch_store_b128 off, v[0:3], off offset:16
	s_wait_alu 0xfffe
	s_cbranch_vccz .LBB105_348
; %bb.266:
	global_load_b32 v0, v40, s[2:3] offset:160
	s_wait_loadcnt 0x0
	v_cmp_ne_u32_e32 vcc_lo, 41, v0
	s_cbranch_vccz .LBB105_268
; %bb.267:
	v_lshlrev_b32_e32 v0, 4, v0
	s_delay_alu instid0(VALU_DEP_1)
	v_add_nc_u32_e32 v8, 16, v0
	s_clause 0x1
	scratch_load_b128 v[0:3], v8, off offset:-16
	scratch_load_b128 v[4:7], off, s48
	s_wait_loadcnt 0x1
	scratch_store_b128 off, v[0:3], s48
	s_wait_loadcnt 0x0
	scratch_store_b128 v8, v[4:7], off offset:-16
.LBB105_268:
	v_mov_b32_e32 v0, 0
	global_load_b32 v1, v0, s[2:3] offset:156
	s_wait_loadcnt 0x0
	v_cmp_eq_u32_e32 vcc_lo, 40, v1
	s_cbranch_vccnz .LBB105_270
; %bb.269:
	v_lshlrev_b32_e32 v1, 4, v1
	s_delay_alu instid0(VALU_DEP_1)
	v_add_nc_u32_e32 v9, 16, v1
	s_clause 0x1
	scratch_load_b128 v[1:4], v9, off offset:-16
	scratch_load_b128 v[5:8], off, s26
	s_wait_loadcnt 0x1
	scratch_store_b128 off, v[1:4], s26
	s_wait_loadcnt 0x0
	scratch_store_b128 v9, v[5:8], off offset:-16
.LBB105_270:
	global_load_b32 v0, v0, s[2:3] offset:152
	s_wait_loadcnt 0x0
	v_cmp_eq_u32_e32 vcc_lo, 39, v0
	s_cbranch_vccnz .LBB105_272
; %bb.271:
	v_lshlrev_b32_e32 v0, 4, v0
	s_delay_alu instid0(VALU_DEP_1)
	v_add_nc_u32_e32 v8, 16, v0
	s_clause 0x1
	scratch_load_b128 v[0:3], v8, off offset:-16
	scratch_load_b128 v[4:7], off, s47
	s_wait_loadcnt 0x1
	scratch_store_b128 off, v[0:3], s47
	s_wait_loadcnt 0x0
	scratch_store_b128 v8, v[4:7], off offset:-16
.LBB105_272:
	v_mov_b32_e32 v0, 0
	global_load_b32 v1, v0, s[2:3] offset:148
	s_wait_loadcnt 0x0
	v_cmp_eq_u32_e32 vcc_lo, 38, v1
	s_cbranch_vccnz .LBB105_274
; %bb.273:
	v_lshlrev_b32_e32 v1, 4, v1
	s_delay_alu instid0(VALU_DEP_1)
	v_add_nc_u32_e32 v9, 16, v1
	s_clause 0x1
	scratch_load_b128 v[1:4], v9, off offset:-16
	scratch_load_b128 v[5:8], off, s25
	s_wait_loadcnt 0x1
	scratch_store_b128 off, v[1:4], s25
	s_wait_loadcnt 0x0
	scratch_store_b128 v9, v[5:8], off offset:-16
.LBB105_274:
	global_load_b32 v0, v0, s[2:3] offset:144
	s_wait_loadcnt 0x0
	v_cmp_eq_u32_e32 vcc_lo, 37, v0
	s_cbranch_vccnz .LBB105_276
; %bb.275:
	v_lshlrev_b32_e32 v0, 4, v0
	s_delay_alu instid0(VALU_DEP_1)
	v_add_nc_u32_e32 v8, 16, v0
	s_clause 0x1
	scratch_load_b128 v[0:3], v8, off offset:-16
	scratch_load_b128 v[4:7], off, s46
	s_wait_loadcnt 0x1
	scratch_store_b128 off, v[0:3], s46
	s_wait_loadcnt 0x0
	scratch_store_b128 v8, v[4:7], off offset:-16
.LBB105_276:
	;; [unrolled: 33-line block ×19, first 2 shown]
	v_mov_b32_e32 v0, 0
	global_load_b32 v1, v0, s[2:3] offset:4
	s_wait_loadcnt 0x0
	v_cmp_eq_u32_e32 vcc_lo, 2, v1
	s_cbranch_vccnz .LBB105_346
; %bb.345:
	v_lshlrev_b32_e32 v1, 4, v1
	s_delay_alu instid0(VALU_DEP_1)
	v_add_nc_u32_e32 v9, 16, v1
	s_clause 0x1
	scratch_load_b128 v[1:4], v9, off offset:-16
	scratch_load_b128 v[5:8], off, s50
	s_wait_loadcnt 0x1
	scratch_store_b128 off, v[1:4], s50
	s_wait_loadcnt 0x0
	scratch_store_b128 v9, v[5:8], off offset:-16
.LBB105_346:
	global_load_b32 v0, v0, s[2:3]
	s_wait_loadcnt 0x0
	v_cmp_eq_u32_e32 vcc_lo, 1, v0
	s_cbranch_vccnz .LBB105_348
; %bb.347:
	v_lshlrev_b32_e32 v0, 4, v0
	s_delay_alu instid0(VALU_DEP_1)
	v_add_nc_u32_e32 v8, 16, v0
	scratch_load_b128 v[0:3], v8, off offset:-16
	scratch_load_b128 v[4:7], off, off offset:16
	s_wait_loadcnt 0x1
	scratch_store_b128 off, v[0:3], off offset:16
	s_wait_loadcnt 0x0
	scratch_store_b128 v8, v[4:7], off offset:-16
.LBB105_348:
	scratch_load_b128 v[0:3], off, off offset:16
	s_wait_loadcnt 0x0
	flat_store_b128 v[46:47], v[0:3]
	scratch_load_b128 v[0:3], off, s50
	s_wait_loadcnt 0x0
	flat_store_b128 v[48:49], v[0:3]
	scratch_load_b128 v[0:3], off, s49
	s_wait_loadcnt 0x0
	flat_store_b128 v[50:51], v[0:3]
	scratch_load_b128 v[0:3], off, s28
	s_wait_loadcnt 0x0
	flat_store_b128 v[52:53], v[0:3]
	scratch_load_b128 v[0:3], off, s29
	s_wait_loadcnt 0x0
	flat_store_b128 v[54:55], v[0:3]
	scratch_load_b128 v[0:3], off, s4
	s_wait_loadcnt 0x0
	flat_store_b128 v[56:57], v[0:3]
	scratch_load_b128 v[0:3], off, s30
	s_wait_loadcnt 0x0
	flat_store_b128 v[58:59], v[0:3]
	scratch_load_b128 v[0:3], off, s5
	s_wait_loadcnt 0x0
	flat_store_b128 v[60:61], v[0:3]
	scratch_load_b128 v[0:3], off, s31
	s_wait_loadcnt 0x0
	flat_store_b128 v[62:63], v[0:3]
	scratch_load_b128 v[0:3], off, s10
	s_wait_loadcnt 0x0
	flat_store_b128 v[64:65], v[0:3]
	scratch_load_b128 v[0:3], off, s33
	s_wait_loadcnt 0x0
	flat_store_b128 v[66:67], v[0:3]
	scratch_load_b128 v[0:3], off, s11
	s_wait_loadcnt 0x0
	flat_store_b128 v[68:69], v[0:3]
	scratch_load_b128 v[0:3], off, s34
	s_wait_loadcnt 0x0
	flat_store_b128 v[70:71], v[0:3]
	scratch_load_b128 v[0:3], off, s13
	s_wait_loadcnt 0x0
	flat_store_b128 v[72:73], v[0:3]
	scratch_load_b128 v[0:3], off, s35
	s_wait_loadcnt 0x0
	flat_store_b128 v[74:75], v[0:3]
	scratch_load_b128 v[0:3], off, s14
	s_wait_loadcnt 0x0
	flat_store_b128 v[76:77], v[0:3]
	scratch_load_b128 v[0:3], off, s36
	s_wait_loadcnt 0x0
	flat_store_b128 v[78:79], v[0:3]
	scratch_load_b128 v[0:3], off, s15
	s_wait_loadcnt 0x0
	flat_store_b128 v[80:81], v[0:3]
	scratch_load_b128 v[0:3], off, s37
	s_wait_loadcnt 0x0
	flat_store_b128 v[82:83], v[0:3]
	scratch_load_b128 v[0:3], off, s16
	s_wait_loadcnt 0x0
	flat_store_b128 v[84:85], v[0:3]
	scratch_load_b128 v[0:3], off, s38
	s_wait_loadcnt 0x0
	flat_store_b128 v[86:87], v[0:3]
	scratch_load_b128 v[0:3], off, s17
	s_wait_loadcnt 0x0
	flat_store_b128 v[88:89], v[0:3]
	scratch_load_b128 v[0:3], off, s39
	s_wait_loadcnt 0x0
	flat_store_b128 v[90:91], v[0:3]
	scratch_load_b128 v[0:3], off, s18
	s_wait_loadcnt 0x0
	flat_store_b128 v[92:93], v[0:3]
	scratch_load_b128 v[0:3], off, s40
	s_wait_loadcnt 0x0
	flat_store_b128 v[94:95], v[0:3]
	scratch_load_b128 v[0:3], off, s19
	s_wait_loadcnt 0x0
	flat_store_b128 v[96:97], v[0:3]
	scratch_load_b128 v[0:3], off, s41
	s_wait_loadcnt 0x0
	flat_store_b128 v[98:99], v[0:3]
	scratch_load_b128 v[0:3], off, s20
	s_wait_loadcnt 0x0
	flat_store_b128 v[100:101], v[0:3]
	scratch_load_b128 v[0:3], off, s42
	s_wait_loadcnt 0x0
	flat_store_b128 v[102:103], v[0:3]
	scratch_load_b128 v[0:3], off, s21
	s_wait_loadcnt 0x0
	flat_store_b128 v[104:105], v[0:3]
	scratch_load_b128 v[0:3], off, s43
	s_wait_loadcnt 0x0
	flat_store_b128 v[106:107], v[0:3]
	scratch_load_b128 v[0:3], off, s22
	s_wait_loadcnt 0x0
	flat_store_b128 v[108:109], v[0:3]
	scratch_load_b128 v[0:3], off, s44
	s_wait_loadcnt 0x0
	flat_store_b128 v[110:111], v[0:3]
	scratch_load_b128 v[0:3], off, s23
	s_wait_loadcnt 0x0
	flat_store_b128 v[112:113], v[0:3]
	scratch_load_b128 v[0:3], off, s45
	s_wait_loadcnt 0x0
	flat_store_b128 v[114:115], v[0:3]
	scratch_load_b128 v[0:3], off, s24
	s_wait_loadcnt 0x0
	flat_store_b128 v[116:117], v[0:3]
	scratch_load_b128 v[0:3], off, s46
	s_wait_loadcnt 0x0
	flat_store_b128 v[118:119], v[0:3]
	scratch_load_b128 v[0:3], off, s25
	s_wait_loadcnt 0x0
	flat_store_b128 v[120:121], v[0:3]
	scratch_load_b128 v[0:3], off, s47
	s_wait_loadcnt 0x0
	flat_store_b128 v[122:123], v[0:3]
	scratch_load_b128 v[0:3], off, s26
	s_wait_loadcnt 0x0
	flat_store_b128 v[124:125], v[0:3]
	scratch_load_b128 v[0:3], off, s48
	s_wait_loadcnt 0x0
	flat_store_b128 v[126:127], v[0:3]
	scratch_load_b128 v[0:3], off, s27
	s_wait_loadcnt 0x0
	flat_store_b128 v[128:129], v[0:3]
	s_nop 0
	s_sendmsg sendmsg(MSG_DEALLOC_VGPRS)
	s_endpgm
	.section	.rodata,"a",@progbits
	.p2align	6, 0x0
	.amdhsa_kernel _ZN9rocsolver6v33100L18getri_kernel_smallILi42E19rocblas_complex_numIdEPKPS3_EEvT1_iilPiilS8_bb
		.amdhsa_group_segment_fixed_size 1352
		.amdhsa_private_segment_fixed_size 704
		.amdhsa_kernarg_size 60
		.amdhsa_user_sgpr_count 2
		.amdhsa_user_sgpr_dispatch_ptr 0
		.amdhsa_user_sgpr_queue_ptr 0
		.amdhsa_user_sgpr_kernarg_segment_ptr 1
		.amdhsa_user_sgpr_dispatch_id 0
		.amdhsa_user_sgpr_private_segment_size 0
		.amdhsa_wavefront_size32 1
		.amdhsa_uses_dynamic_stack 0
		.amdhsa_enable_private_segment 1
		.amdhsa_system_sgpr_workgroup_id_x 1
		.amdhsa_system_sgpr_workgroup_id_y 0
		.amdhsa_system_sgpr_workgroup_id_z 0
		.amdhsa_system_sgpr_workgroup_info 0
		.amdhsa_system_vgpr_workitem_id 0
		.amdhsa_next_free_vgpr 157
		.amdhsa_next_free_sgpr 54
		.amdhsa_reserve_vcc 1
		.amdhsa_float_round_mode_32 0
		.amdhsa_float_round_mode_16_64 0
		.amdhsa_float_denorm_mode_32 3
		.amdhsa_float_denorm_mode_16_64 3
		.amdhsa_fp16_overflow 0
		.amdhsa_workgroup_processor_mode 1
		.amdhsa_memory_ordered 1
		.amdhsa_forward_progress 1
		.amdhsa_inst_pref_size 255
		.amdhsa_round_robin_scheduling 0
		.amdhsa_exception_fp_ieee_invalid_op 0
		.amdhsa_exception_fp_denorm_src 0
		.amdhsa_exception_fp_ieee_div_zero 0
		.amdhsa_exception_fp_ieee_overflow 0
		.amdhsa_exception_fp_ieee_underflow 0
		.amdhsa_exception_fp_ieee_inexact 0
		.amdhsa_exception_int_div_zero 0
	.end_amdhsa_kernel
	.section	.text._ZN9rocsolver6v33100L18getri_kernel_smallILi42E19rocblas_complex_numIdEPKPS3_EEvT1_iilPiilS8_bb,"axG",@progbits,_ZN9rocsolver6v33100L18getri_kernel_smallILi42E19rocblas_complex_numIdEPKPS3_EEvT1_iilPiilS8_bb,comdat
.Lfunc_end105:
	.size	_ZN9rocsolver6v33100L18getri_kernel_smallILi42E19rocblas_complex_numIdEPKPS3_EEvT1_iilPiilS8_bb, .Lfunc_end105-_ZN9rocsolver6v33100L18getri_kernel_smallILi42E19rocblas_complex_numIdEPKPS3_EEvT1_iilPiilS8_bb
                                        ; -- End function
	.set _ZN9rocsolver6v33100L18getri_kernel_smallILi42E19rocblas_complex_numIdEPKPS3_EEvT1_iilPiilS8_bb.num_vgpr, 157
	.set _ZN9rocsolver6v33100L18getri_kernel_smallILi42E19rocblas_complex_numIdEPKPS3_EEvT1_iilPiilS8_bb.num_agpr, 0
	.set _ZN9rocsolver6v33100L18getri_kernel_smallILi42E19rocblas_complex_numIdEPKPS3_EEvT1_iilPiilS8_bb.numbered_sgpr, 54
	.set _ZN9rocsolver6v33100L18getri_kernel_smallILi42E19rocblas_complex_numIdEPKPS3_EEvT1_iilPiilS8_bb.num_named_barrier, 0
	.set _ZN9rocsolver6v33100L18getri_kernel_smallILi42E19rocblas_complex_numIdEPKPS3_EEvT1_iilPiilS8_bb.private_seg_size, 704
	.set _ZN9rocsolver6v33100L18getri_kernel_smallILi42E19rocblas_complex_numIdEPKPS3_EEvT1_iilPiilS8_bb.uses_vcc, 1
	.set _ZN9rocsolver6v33100L18getri_kernel_smallILi42E19rocblas_complex_numIdEPKPS3_EEvT1_iilPiilS8_bb.uses_flat_scratch, 1
	.set _ZN9rocsolver6v33100L18getri_kernel_smallILi42E19rocblas_complex_numIdEPKPS3_EEvT1_iilPiilS8_bb.has_dyn_sized_stack, 0
	.set _ZN9rocsolver6v33100L18getri_kernel_smallILi42E19rocblas_complex_numIdEPKPS3_EEvT1_iilPiilS8_bb.has_recursion, 0
	.set _ZN9rocsolver6v33100L18getri_kernel_smallILi42E19rocblas_complex_numIdEPKPS3_EEvT1_iilPiilS8_bb.has_indirect_call, 0
	.section	.AMDGPU.csdata,"",@progbits
; Kernel info:
; codeLenInByte = 76744
; TotalNumSgprs: 56
; NumVgprs: 157
; ScratchSize: 704
; MemoryBound: 0
; FloatMode: 240
; IeeeMode: 1
; LDSByteSize: 1352 bytes/workgroup (compile time only)
; SGPRBlocks: 0
; VGPRBlocks: 19
; NumSGPRsForWavesPerEU: 56
; NumVGPRsForWavesPerEU: 157
; Occupancy: 9
; WaveLimiterHint : 1
; COMPUTE_PGM_RSRC2:SCRATCH_EN: 1
; COMPUTE_PGM_RSRC2:USER_SGPR: 2
; COMPUTE_PGM_RSRC2:TRAP_HANDLER: 0
; COMPUTE_PGM_RSRC2:TGID_X_EN: 1
; COMPUTE_PGM_RSRC2:TGID_Y_EN: 0
; COMPUTE_PGM_RSRC2:TGID_Z_EN: 0
; COMPUTE_PGM_RSRC2:TIDIG_COMP_CNT: 0
	.section	.text._ZN9rocsolver6v33100L18getri_kernel_smallILi43E19rocblas_complex_numIdEPKPS3_EEvT1_iilPiilS8_bb,"axG",@progbits,_ZN9rocsolver6v33100L18getri_kernel_smallILi43E19rocblas_complex_numIdEPKPS3_EEvT1_iilPiilS8_bb,comdat
	.globl	_ZN9rocsolver6v33100L18getri_kernel_smallILi43E19rocblas_complex_numIdEPKPS3_EEvT1_iilPiilS8_bb ; -- Begin function _ZN9rocsolver6v33100L18getri_kernel_smallILi43E19rocblas_complex_numIdEPKPS3_EEvT1_iilPiilS8_bb
	.p2align	8
	.type	_ZN9rocsolver6v33100L18getri_kernel_smallILi43E19rocblas_complex_numIdEPKPS3_EEvT1_iilPiilS8_bb,@function
_ZN9rocsolver6v33100L18getri_kernel_smallILi43E19rocblas_complex_numIdEPKPS3_EEvT1_iilPiilS8_bb: ; @_ZN9rocsolver6v33100L18getri_kernel_smallILi43E19rocblas_complex_numIdEPKPS3_EEvT1_iilPiilS8_bb
; %bb.0:
	s_mov_b32 s2, exec_lo
	v_cmpx_gt_u32_e32 43, v0
	s_cbranch_execz .LBB106_186
; %bb.1:
	s_clause 0x1
	s_load_b32 s13, s[0:1], 0x38
	s_load_b64 s[2:3], s[0:1], 0x0
	s_mov_b32 s8, ttmp9
	s_load_b128 s[4:7], s[0:1], 0x28
	s_wait_kmcnt 0x0
	s_bitcmp1_b32 s13, 8
	s_cselect_b32 s12, -1, 0
	s_ashr_i32 s9, ttmp9, 31
	s_delay_alu instid0(SALU_CYCLE_1) | instskip(NEXT) | instid1(SALU_CYCLE_1)
	s_lshl_b64 s[10:11], s[8:9], 3
	s_add_nc_u64 s[2:3], s[2:3], s[10:11]
	s_load_b64 s[10:11], s[2:3], 0x0
	s_bfe_u32 s2, s13, 0x10008
	s_delay_alu instid0(SALU_CYCLE_1)
	s_cmp_eq_u32 s2, 0
                                        ; implicit-def: $sgpr2_sgpr3
	s_cbranch_scc1 .LBB106_3
; %bb.2:
	s_load_b96 s[16:18], s[0:1], 0x18
	s_mul_u64 s[2:3], s[4:5], s[8:9]
	s_delay_alu instid0(SALU_CYCLE_1)
	s_lshl_b64 s[2:3], s[2:3], 2
	s_wait_kmcnt 0x0
	s_ashr_i32 s5, s18, 31
	s_mov_b32 s4, s18
	s_add_nc_u64 s[2:3], s[16:17], s[2:3]
	s_lshl_b64 s[4:5], s[4:5], 2
	s_delay_alu instid0(SALU_CYCLE_1)
	s_add_nc_u64 s[2:3], s[2:3], s[4:5]
.LBB106_3:
	s_clause 0x1
	s_load_b64 s[4:5], s[0:1], 0x8
	s_load_b32 s52, s[0:1], 0x38
	v_lshlrev_b32_e32 v13, 4, v0
	s_mov_b32 s51, 32
	s_mov_b32 s50, 48
	;; [unrolled: 1-line block ×3, first 2 shown]
	s_wait_kmcnt 0x0
	s_ashr_i32 s1, s4, 31
	s_mov_b32 s0, s4
	v_add3_u32 v5, s5, s5, v0
	s_lshl_b64 s[0:1], s[0:1], 4
	s_delay_alu instid0(SALU_CYCLE_1)
	s_add_nc_u64 s[0:1], s[10:11], s[0:1]
	s_ashr_i32 s11, s5, 31
	v_add_co_u32 v46, s4, s0, v13
	s_wait_alu 0xf1ff
	v_add_co_ci_u32_e64 v47, null, s1, 0, s4
	s_mov_b32 s10, s5
	v_ashrrev_i32_e32 v6, 31, v5
	s_lshl_b64 s[10:11], s[10:11], 4
	flat_load_b128 v[1:4], v[46:47]
	v_add_co_u32 v48, vcc_lo, v46, s10
	s_delay_alu instid0(VALU_DEP_1) | instskip(SKIP_3) | instid1(VALU_DEP_2)
	v_add_co_ci_u32_e64 v49, null, s11, v47, vcc_lo
	v_lshlrev_b64_e32 v[6:7], 4, v[5:6]
	v_add_nc_u32_e32 v5, s5, v5
	s_movk_i32 s4, 0x50
	v_add_co_u32 v50, vcc_lo, s0, v6
	s_wait_alu 0xfffd
	s_delay_alu instid0(VALU_DEP_3) | instskip(SKIP_1) | instid1(VALU_DEP_1)
	v_add_co_ci_u32_e64 v51, null, s1, v7, vcc_lo
	v_ashrrev_i32_e32 v6, 31, v5
	v_lshlrev_b64_e32 v[6:7], 4, v[5:6]
	v_add_nc_u32_e32 v5, s5, v5
	s_delay_alu instid0(VALU_DEP_2) | instskip(SKIP_1) | instid1(VALU_DEP_3)
	v_add_co_u32 v52, vcc_lo, s0, v6
	s_wait_alu 0xfffd
	v_add_co_ci_u32_e64 v53, null, s1, v7, vcc_lo
	s_delay_alu instid0(VALU_DEP_3) | instskip(NEXT) | instid1(VALU_DEP_1)
	v_ashrrev_i32_e32 v6, 31, v5
	v_lshlrev_b64_e32 v[6:7], 4, v[5:6]
	v_add_nc_u32_e32 v5, s5, v5
	s_delay_alu instid0(VALU_DEP_2) | instskip(SKIP_1) | instid1(VALU_DEP_3)
	v_add_co_u32 v54, vcc_lo, s0, v6
	s_wait_alu 0xfffd
	v_add_co_ci_u32_e64 v55, null, s1, v7, vcc_lo
	s_delay_alu instid0(VALU_DEP_3) | instskip(NEXT) | instid1(VALU_DEP_1)
	;; [unrolled: 8-line block ×20, first 2 shown]
	v_ashrrev_i32_e32 v6, 31, v5
	v_lshlrev_b64_e32 v[6:7], 4, v[5:6]
	s_wait_loadcnt_dscnt 0x0
	scratch_store_b128 off, v[1:4], off offset:16
	flat_load_b128 v[1:4], v[48:49]
	v_add_nc_u32_e32 v5, s5, v5
	v_add_co_u32 v92, vcc_lo, s0, v6
	s_wait_alu 0xfffd
	v_add_co_ci_u32_e64 v93, null, s1, v7, vcc_lo
	s_delay_alu instid0(VALU_DEP_3) | instskip(NEXT) | instid1(VALU_DEP_1)
	v_ashrrev_i32_e32 v6, 31, v5
	v_lshlrev_b64_e32 v[6:7], 4, v[5:6]
	v_add_nc_u32_e32 v5, s5, v5
	s_delay_alu instid0(VALU_DEP_2) | instskip(SKIP_1) | instid1(VALU_DEP_3)
	v_add_co_u32 v94, vcc_lo, s0, v6
	s_wait_alu 0xfffd
	v_add_co_ci_u32_e64 v95, null, s1, v7, vcc_lo
	s_delay_alu instid0(VALU_DEP_3) | instskip(NEXT) | instid1(VALU_DEP_1)
	v_ashrrev_i32_e32 v6, 31, v5
	v_lshlrev_b64_e32 v[6:7], 4, v[5:6]
	v_add_nc_u32_e32 v5, s5, v5
	s_delay_alu instid0(VALU_DEP_2) | instskip(SKIP_1) | instid1(VALU_DEP_3)
	;; [unrolled: 8-line block ×18, first 2 shown]
	v_add_co_u32 v128, vcc_lo, s0, v6
	s_wait_alu 0xfffd
	v_add_co_ci_u32_e64 v129, null, s1, v7, vcc_lo
	s_delay_alu instid0(VALU_DEP_3) | instskip(NEXT) | instid1(VALU_DEP_1)
	v_ashrrev_i32_e32 v6, 31, v5
	v_lshlrev_b64_e32 v[5:6], 4, v[5:6]
	s_delay_alu instid0(VALU_DEP_1) | instskip(SKIP_1) | instid1(VALU_DEP_2)
	v_add_co_u32 v130, vcc_lo, s0, v5
	s_wait_alu 0xfffd
	v_add_co_ci_u32_e64 v131, null, s1, v6, vcc_lo
	s_movk_i32 s0, 0x50
	s_movk_i32 s1, 0x60
	s_wait_alu 0xfffe
	s_add_co_i32 s30, s0, 16
	s_add_co_i32 s5, s1, 16
	s_movk_i32 s0, 0x70
	s_movk_i32 s1, 0x80
	s_wait_alu 0xfffe
	s_add_co_i32 s31, s0, 16
	s_add_co_i32 s10, s1, 16
	;; [unrolled: 5-line block ×6, first 2 shown]
	s_movk_i32 s0, 0x110
	s_movk_i32 s1, 0x120
	s_wait_alu 0xfffe
	s_add_co_i32 s37, s0, 16
	s_wait_loadcnt_dscnt 0x0
	scratch_store_b128 off, v[1:4], off offset:32
	flat_load_b128 v[1:4], v[50:51]
	s_add_co_i32 s16, s1, 16
	s_movk_i32 s0, 0x130
	s_movk_i32 s1, 0x140
	s_wait_alu 0xfffe
	s_add_co_i32 s38, s0, 16
	s_add_co_i32 s17, s1, 16
	s_movk_i32 s0, 0x150
	s_movk_i32 s1, 0x160
	s_wait_alu 0xfffe
	s_add_co_i32 s39, s0, 16
	;; [unrolled: 5-line block ×12, first 2 shown]
	s_add_co_i32 s28, s1, 16
	s_bitcmp0_b32 s52, 0
	s_mov_b32 s1, -1
	s_wait_loadcnt_dscnt 0x0
	scratch_store_b128 off, v[1:4], off offset:48
	flat_load_b128 v[1:4], v[52:53]
	s_wait_loadcnt_dscnt 0x0
	scratch_store_b128 off, v[1:4], off offset:64
	flat_load_b128 v[1:4], v[54:55]
	;; [unrolled: 3-line block ×40, first 2 shown]
	s_wait_loadcnt_dscnt 0x0
	scratch_store_b128 off, v[1:4], off offset:688
	s_cbranch_scc1 .LBB106_184
; %bb.4:
	v_cmp_eq_u32_e64 s0, 0, v0
	s_and_saveexec_b32 s1, s0
; %bb.5:
	v_mov_b32_e32 v1, 0
	ds_store_b32 v1, v1 offset:1376
; %bb.6:
	s_wait_alu 0xfffe
	s_or_b32 exec_lo, exec_lo, s1
	s_wait_storecnt_dscnt 0x0
	s_barrier_signal -1
	s_barrier_wait -1
	global_inv scope:SCOPE_SE
	scratch_load_b128 v[1:4], v13, off offset:16
	s_wait_loadcnt 0x0
	v_cmp_eq_f64_e32 vcc_lo, 0, v[1:2]
	v_cmp_eq_f64_e64 s1, 0, v[3:4]
	s_and_b32 s1, vcc_lo, s1
	s_wait_alu 0xfffe
	s_and_saveexec_b32 s52, s1
	s_cbranch_execz .LBB106_10
; %bb.7:
	v_mov_b32_e32 v1, 0
	s_mov_b32 s53, 0
	ds_load_b32 v2, v1 offset:1376
	s_wait_dscnt 0x0
	v_readfirstlane_b32 s1, v2
	v_add_nc_u32_e32 v2, 1, v0
	s_cmp_eq_u32 s1, 0
	s_delay_alu instid0(VALU_DEP_1) | instskip(SKIP_1) | instid1(SALU_CYCLE_1)
	v_cmp_gt_i32_e32 vcc_lo, s1, v2
	s_cselect_b32 s54, -1, 0
	s_or_b32 s54, s54, vcc_lo
	s_delay_alu instid0(SALU_CYCLE_1)
	s_and_b32 exec_lo, exec_lo, s54
	s_cbranch_execz .LBB106_10
; %bb.8:
	v_mov_b32_e32 v3, s1
.LBB106_9:                              ; =>This Inner Loop Header: Depth=1
	ds_cmpstore_rtn_b32 v3, v1, v2, v3 offset:1376
	s_wait_dscnt 0x0
	v_cmp_ne_u32_e32 vcc_lo, 0, v3
	v_cmp_le_i32_e64 s1, v3, v2
	s_and_b32 s1, vcc_lo, s1
	s_wait_alu 0xfffe
	s_and_b32 s1, exec_lo, s1
	s_wait_alu 0xfffe
	s_or_b32 s53, s1, s53
	s_delay_alu instid0(SALU_CYCLE_1)
	s_and_not1_b32 exec_lo, exec_lo, s53
	s_cbranch_execnz .LBB106_9
.LBB106_10:
	s_or_b32 exec_lo, exec_lo, s52
	v_mov_b32_e32 v1, 0
	s_barrier_signal -1
	s_barrier_wait -1
	global_inv scope:SCOPE_SE
	ds_load_b32 v2, v1 offset:1376
	s_and_saveexec_b32 s1, s0
	s_cbranch_execz .LBB106_12
; %bb.11:
	s_lshl_b64 s[52:53], s[8:9], 2
	s_delay_alu instid0(SALU_CYCLE_1)
	s_add_nc_u64 s[52:53], s[6:7], s[52:53]
	s_wait_dscnt 0x0
	global_store_b32 v1, v2, s[52:53]
.LBB106_12:
	s_wait_alu 0xfffe
	s_or_b32 exec_lo, exec_lo, s1
	s_wait_dscnt 0x0
	v_cmp_ne_u32_e32 vcc_lo, 0, v2
	s_mov_b32 s1, 0
	s_cbranch_vccnz .LBB106_184
; %bb.13:
	v_add_nc_u32_e32 v14, 16, v13
                                        ; implicit-def: $vgpr1_vgpr2
                                        ; implicit-def: $vgpr9_vgpr10
	scratch_load_b128 v[5:8], v14, off
	s_wait_loadcnt 0x0
	v_cmp_ngt_f64_e64 s1, |v[5:6]|, |v[7:8]|
	s_wait_alu 0xfffe
	s_and_saveexec_b32 s52, s1
	s_delay_alu instid0(SALU_CYCLE_1)
	s_xor_b32 s1, exec_lo, s52
	s_cbranch_execz .LBB106_15
; %bb.14:
	v_div_scale_f64 v[1:2], null, v[7:8], v[7:8], v[5:6]
	v_div_scale_f64 v[11:12], vcc_lo, v[5:6], v[7:8], v[5:6]
	s_delay_alu instid0(VALU_DEP_2) | instskip(NEXT) | instid1(TRANS32_DEP_1)
	v_rcp_f64_e32 v[3:4], v[1:2]
	v_fma_f64 v[9:10], -v[1:2], v[3:4], 1.0
	s_delay_alu instid0(VALU_DEP_1) | instskip(NEXT) | instid1(VALU_DEP_1)
	v_fma_f64 v[3:4], v[3:4], v[9:10], v[3:4]
	v_fma_f64 v[9:10], -v[1:2], v[3:4], 1.0
	s_delay_alu instid0(VALU_DEP_1) | instskip(NEXT) | instid1(VALU_DEP_1)
	v_fma_f64 v[3:4], v[3:4], v[9:10], v[3:4]
	v_mul_f64_e32 v[9:10], v[11:12], v[3:4]
	s_delay_alu instid0(VALU_DEP_1) | instskip(SKIP_1) | instid1(VALU_DEP_1)
	v_fma_f64 v[1:2], -v[1:2], v[9:10], v[11:12]
	s_wait_alu 0xfffd
	v_div_fmas_f64 v[1:2], v[1:2], v[3:4], v[9:10]
	s_delay_alu instid0(VALU_DEP_1) | instskip(NEXT) | instid1(VALU_DEP_1)
	v_div_fixup_f64 v[1:2], v[1:2], v[7:8], v[5:6]
	v_fma_f64 v[3:4], v[5:6], v[1:2], v[7:8]
	s_delay_alu instid0(VALU_DEP_1) | instskip(SKIP_1) | instid1(VALU_DEP_2)
	v_div_scale_f64 v[5:6], null, v[3:4], v[3:4], 1.0
	v_div_scale_f64 v[11:12], vcc_lo, 1.0, v[3:4], 1.0
	v_rcp_f64_e32 v[7:8], v[5:6]
	s_delay_alu instid0(TRANS32_DEP_1) | instskip(NEXT) | instid1(VALU_DEP_1)
	v_fma_f64 v[9:10], -v[5:6], v[7:8], 1.0
	v_fma_f64 v[7:8], v[7:8], v[9:10], v[7:8]
	s_delay_alu instid0(VALU_DEP_1) | instskip(NEXT) | instid1(VALU_DEP_1)
	v_fma_f64 v[9:10], -v[5:6], v[7:8], 1.0
	v_fma_f64 v[7:8], v[7:8], v[9:10], v[7:8]
	s_delay_alu instid0(VALU_DEP_1) | instskip(NEXT) | instid1(VALU_DEP_1)
	v_mul_f64_e32 v[9:10], v[11:12], v[7:8]
	v_fma_f64 v[5:6], -v[5:6], v[9:10], v[11:12]
	s_wait_alu 0xfffd
	s_delay_alu instid0(VALU_DEP_1) | instskip(NEXT) | instid1(VALU_DEP_1)
	v_div_fmas_f64 v[5:6], v[5:6], v[7:8], v[9:10]
	v_div_fixup_f64 v[3:4], v[5:6], v[3:4], 1.0
                                        ; implicit-def: $vgpr5_vgpr6
	s_delay_alu instid0(VALU_DEP_1) | instskip(SKIP_1) | instid1(VALU_DEP_2)
	v_mul_f64_e32 v[1:2], v[1:2], v[3:4]
	v_xor_b32_e32 v4, 0x80000000, v4
	v_xor_b32_e32 v10, 0x80000000, v2
	s_delay_alu instid0(VALU_DEP_3)
	v_mov_b32_e32 v9, v1
.LBB106_15:
	s_wait_alu 0xfffe
	s_and_not1_saveexec_b32 s1, s1
	s_cbranch_execz .LBB106_17
; %bb.16:
	v_div_scale_f64 v[1:2], null, v[5:6], v[5:6], v[7:8]
	v_div_scale_f64 v[11:12], vcc_lo, v[7:8], v[5:6], v[7:8]
	s_delay_alu instid0(VALU_DEP_2) | instskip(NEXT) | instid1(TRANS32_DEP_1)
	v_rcp_f64_e32 v[3:4], v[1:2]
	v_fma_f64 v[9:10], -v[1:2], v[3:4], 1.0
	s_delay_alu instid0(VALU_DEP_1) | instskip(NEXT) | instid1(VALU_DEP_1)
	v_fma_f64 v[3:4], v[3:4], v[9:10], v[3:4]
	v_fma_f64 v[9:10], -v[1:2], v[3:4], 1.0
	s_delay_alu instid0(VALU_DEP_1) | instskip(NEXT) | instid1(VALU_DEP_1)
	v_fma_f64 v[3:4], v[3:4], v[9:10], v[3:4]
	v_mul_f64_e32 v[9:10], v[11:12], v[3:4]
	s_delay_alu instid0(VALU_DEP_1) | instskip(SKIP_1) | instid1(VALU_DEP_1)
	v_fma_f64 v[1:2], -v[1:2], v[9:10], v[11:12]
	s_wait_alu 0xfffd
	v_div_fmas_f64 v[1:2], v[1:2], v[3:4], v[9:10]
	s_delay_alu instid0(VALU_DEP_1) | instskip(NEXT) | instid1(VALU_DEP_1)
	v_div_fixup_f64 v[3:4], v[1:2], v[5:6], v[7:8]
	v_fma_f64 v[1:2], v[7:8], v[3:4], v[5:6]
	s_delay_alu instid0(VALU_DEP_1) | instskip(NEXT) | instid1(VALU_DEP_1)
	v_div_scale_f64 v[5:6], null, v[1:2], v[1:2], 1.0
	v_rcp_f64_e32 v[7:8], v[5:6]
	s_delay_alu instid0(TRANS32_DEP_1) | instskip(NEXT) | instid1(VALU_DEP_1)
	v_fma_f64 v[9:10], -v[5:6], v[7:8], 1.0
	v_fma_f64 v[7:8], v[7:8], v[9:10], v[7:8]
	s_delay_alu instid0(VALU_DEP_1) | instskip(NEXT) | instid1(VALU_DEP_1)
	v_fma_f64 v[9:10], -v[5:6], v[7:8], 1.0
	v_fma_f64 v[7:8], v[7:8], v[9:10], v[7:8]
	v_div_scale_f64 v[9:10], vcc_lo, 1.0, v[1:2], 1.0
	s_delay_alu instid0(VALU_DEP_1) | instskip(NEXT) | instid1(VALU_DEP_1)
	v_mul_f64_e32 v[11:12], v[9:10], v[7:8]
	v_fma_f64 v[5:6], -v[5:6], v[11:12], v[9:10]
	s_wait_alu 0xfffd
	s_delay_alu instid0(VALU_DEP_1) | instskip(NEXT) | instid1(VALU_DEP_1)
	v_div_fmas_f64 v[5:6], v[5:6], v[7:8], v[11:12]
	v_div_fixup_f64 v[1:2], v[5:6], v[1:2], 1.0
	s_delay_alu instid0(VALU_DEP_1)
	v_mul_f64_e64 v[3:4], v[3:4], -v[1:2]
	v_xor_b32_e32 v10, 0x80000000, v2
	v_mov_b32_e32 v9, v1
.LBB106_17:
	s_wait_alu 0xfffe
	s_or_b32 exec_lo, exec_lo, s1
	scratch_store_b128 v14, v[1:4], off
	scratch_load_b128 v[15:18], off, s51
	v_xor_b32_e32 v12, 0x80000000, v4
	v_mov_b32_e32 v11, v3
	v_add_nc_u32_e32 v5, 0x2b0, v13
	ds_store_b128 v13, v[9:12]
	s_wait_loadcnt 0x0
	ds_store_b128 v13, v[15:18] offset:688
	s_wait_storecnt_dscnt 0x0
	s_barrier_signal -1
	s_barrier_wait -1
	global_inv scope:SCOPE_SE
	s_and_saveexec_b32 s1, s0
	s_cbranch_execz .LBB106_19
; %bb.18:
	scratch_load_b128 v[1:4], v14, off
	ds_load_b128 v[6:9], v5
	v_mov_b32_e32 v10, 0
	ds_load_b128 v[15:18], v10 offset:16
	s_wait_loadcnt_dscnt 0x1
	v_mul_f64_e32 v[10:11], v[6:7], v[3:4]
	v_mul_f64_e32 v[3:4], v[8:9], v[3:4]
	s_delay_alu instid0(VALU_DEP_2) | instskip(NEXT) | instid1(VALU_DEP_2)
	v_fma_f64 v[8:9], v[8:9], v[1:2], v[10:11]
	v_fma_f64 v[1:2], v[6:7], v[1:2], -v[3:4]
	s_delay_alu instid0(VALU_DEP_2) | instskip(NEXT) | instid1(VALU_DEP_2)
	v_add_f64_e32 v[3:4], 0, v[8:9]
	v_add_f64_e32 v[1:2], 0, v[1:2]
	s_wait_dscnt 0x0
	s_delay_alu instid0(VALU_DEP_2) | instskip(NEXT) | instid1(VALU_DEP_2)
	v_mul_f64_e32 v[6:7], v[3:4], v[17:18]
	v_mul_f64_e32 v[8:9], v[1:2], v[17:18]
	s_delay_alu instid0(VALU_DEP_2) | instskip(NEXT) | instid1(VALU_DEP_2)
	v_fma_f64 v[1:2], v[1:2], v[15:16], -v[6:7]
	v_fma_f64 v[3:4], v[3:4], v[15:16], v[8:9]
	scratch_store_b128 off, v[1:4], off offset:32
.LBB106_19:
	s_wait_alu 0xfffe
	s_or_b32 exec_lo, exec_lo, s1
	s_wait_loadcnt 0x0
	s_wait_storecnt 0x0
	s_barrier_signal -1
	s_barrier_wait -1
	global_inv scope:SCOPE_SE
	scratch_load_b128 v[1:4], off, s50
	s_mov_b32 s1, exec_lo
	s_wait_loadcnt 0x0
	ds_store_b128 v5, v[1:4]
	s_wait_dscnt 0x0
	s_barrier_signal -1
	s_barrier_wait -1
	global_inv scope:SCOPE_SE
	v_cmpx_gt_u32_e32 2, v0
	s_cbranch_execz .LBB106_23
; %bb.20:
	scratch_load_b128 v[1:4], v14, off
	ds_load_b128 v[6:9], v5
	s_wait_loadcnt_dscnt 0x0
	v_mul_f64_e32 v[10:11], v[8:9], v[3:4]
	v_mul_f64_e32 v[3:4], v[6:7], v[3:4]
	s_delay_alu instid0(VALU_DEP_2) | instskip(NEXT) | instid1(VALU_DEP_2)
	v_fma_f64 v[6:7], v[6:7], v[1:2], -v[10:11]
	v_fma_f64 v[3:4], v[8:9], v[1:2], v[3:4]
	s_delay_alu instid0(VALU_DEP_2) | instskip(NEXT) | instid1(VALU_DEP_2)
	v_add_f64_e32 v[1:2], 0, v[6:7]
	v_add_f64_e32 v[3:4], 0, v[3:4]
	s_and_saveexec_b32 s52, s0
	s_cbranch_execz .LBB106_22
; %bb.21:
	scratch_load_b128 v[6:9], off, off offset:32
	v_mov_b32_e32 v10, 0
	ds_load_b128 v[15:18], v10 offset:704
	s_wait_loadcnt_dscnt 0x0
	v_mul_f64_e32 v[10:11], v[15:16], v[8:9]
	v_mul_f64_e32 v[8:9], v[17:18], v[8:9]
	s_delay_alu instid0(VALU_DEP_2) | instskip(NEXT) | instid1(VALU_DEP_2)
	v_fma_f64 v[10:11], v[17:18], v[6:7], v[10:11]
	v_fma_f64 v[6:7], v[15:16], v[6:7], -v[8:9]
	s_delay_alu instid0(VALU_DEP_2) | instskip(NEXT) | instid1(VALU_DEP_2)
	v_add_f64_e32 v[3:4], v[3:4], v[10:11]
	v_add_f64_e32 v[1:2], v[1:2], v[6:7]
.LBB106_22:
	s_or_b32 exec_lo, exec_lo, s52
	v_mov_b32_e32 v6, 0
	ds_load_b128 v[6:9], v6 offset:32
	s_wait_dscnt 0x0
	v_mul_f64_e32 v[10:11], v[3:4], v[8:9]
	v_mul_f64_e32 v[8:9], v[1:2], v[8:9]
	s_delay_alu instid0(VALU_DEP_2) | instskip(NEXT) | instid1(VALU_DEP_2)
	v_fma_f64 v[1:2], v[1:2], v[6:7], -v[10:11]
	v_fma_f64 v[3:4], v[3:4], v[6:7], v[8:9]
	scratch_store_b128 off, v[1:4], off offset:48
.LBB106_23:
	s_wait_alu 0xfffe
	s_or_b32 exec_lo, exec_lo, s1
	s_wait_loadcnt 0x0
	s_wait_storecnt 0x0
	s_barrier_signal -1
	s_barrier_wait -1
	global_inv scope:SCOPE_SE
	scratch_load_b128 v[1:4], off, s29
	v_add_nc_u32_e32 v6, -1, v0
	s_mov_b32 s0, exec_lo
	s_wait_loadcnt 0x0
	ds_store_b128 v5, v[1:4]
	s_wait_dscnt 0x0
	s_barrier_signal -1
	s_barrier_wait -1
	global_inv scope:SCOPE_SE
	v_cmpx_gt_u32_e32 3, v0
	s_cbranch_execz .LBB106_27
; %bb.24:
	v_dual_mov_b32 v1, 0 :: v_dual_add_nc_u32 v8, 0x2b0, v13
	v_mov_b32_e32 v3, 0
	v_dual_mov_b32 v2, 0 :: v_dual_add_nc_u32 v7, -1, v0
	v_mov_b32_e32 v4, 0
	v_or_b32_e32 v9, 8, v14
	s_mov_b32 s1, 0
.LBB106_25:                             ; =>This Inner Loop Header: Depth=1
	scratch_load_b128 v[15:18], v9, off offset:-8
	ds_load_b128 v[19:22], v8
	v_add_nc_u32_e32 v7, 1, v7
	v_add_nc_u32_e32 v8, 16, v8
	v_add_nc_u32_e32 v9, 16, v9
	s_delay_alu instid0(VALU_DEP_3)
	v_cmp_lt_u32_e32 vcc_lo, 1, v7
	s_wait_alu 0xfffe
	s_or_b32 s1, vcc_lo, s1
	s_wait_loadcnt_dscnt 0x0
	v_mul_f64_e32 v[10:11], v[21:22], v[17:18]
	v_mul_f64_e32 v[17:18], v[19:20], v[17:18]
	s_delay_alu instid0(VALU_DEP_2) | instskip(NEXT) | instid1(VALU_DEP_2)
	v_fma_f64 v[10:11], v[19:20], v[15:16], -v[10:11]
	v_fma_f64 v[15:16], v[21:22], v[15:16], v[17:18]
	s_delay_alu instid0(VALU_DEP_2) | instskip(NEXT) | instid1(VALU_DEP_2)
	v_add_f64_e32 v[3:4], v[3:4], v[10:11]
	v_add_f64_e32 v[1:2], v[1:2], v[15:16]
	s_wait_alu 0xfffe
	s_and_not1_b32 exec_lo, exec_lo, s1
	s_cbranch_execnz .LBB106_25
; %bb.26:
	s_or_b32 exec_lo, exec_lo, s1
	v_mov_b32_e32 v7, 0
	ds_load_b128 v[7:10], v7 offset:48
	s_wait_dscnt 0x0
	v_mul_f64_e32 v[11:12], v[1:2], v[9:10]
	v_mul_f64_e32 v[15:16], v[3:4], v[9:10]
	s_delay_alu instid0(VALU_DEP_2) | instskip(NEXT) | instid1(VALU_DEP_2)
	v_fma_f64 v[9:10], v[3:4], v[7:8], -v[11:12]
	v_fma_f64 v[11:12], v[1:2], v[7:8], v[15:16]
	scratch_store_b128 off, v[9:12], off offset:64
.LBB106_27:
	s_wait_alu 0xfffe
	s_or_b32 exec_lo, exec_lo, s0
	s_wait_loadcnt 0x0
	s_wait_storecnt 0x0
	s_barrier_signal -1
	s_barrier_wait -1
	global_inv scope:SCOPE_SE
	scratch_load_b128 v[1:4], off, s4
	s_mov_b32 s0, exec_lo
	s_wait_loadcnt 0x0
	ds_store_b128 v5, v[1:4]
	s_wait_dscnt 0x0
	s_barrier_signal -1
	s_barrier_wait -1
	global_inv scope:SCOPE_SE
	v_cmpx_gt_u32_e32 4, v0
	s_cbranch_execz .LBB106_31
; %bb.28:
	v_dual_mov_b32 v1, 0 :: v_dual_add_nc_u32 v8, 0x2b0, v13
	v_mov_b32_e32 v3, 0
	v_dual_mov_b32 v2, 0 :: v_dual_add_nc_u32 v7, -1, v0
	v_mov_b32_e32 v4, 0
	v_or_b32_e32 v9, 8, v14
	s_mov_b32 s1, 0
.LBB106_29:                             ; =>This Inner Loop Header: Depth=1
	scratch_load_b128 v[15:18], v9, off offset:-8
	ds_load_b128 v[19:22], v8
	v_add_nc_u32_e32 v7, 1, v7
	v_add_nc_u32_e32 v8, 16, v8
	v_add_nc_u32_e32 v9, 16, v9
	s_delay_alu instid0(VALU_DEP_3)
	v_cmp_lt_u32_e32 vcc_lo, 2, v7
	s_wait_alu 0xfffe
	s_or_b32 s1, vcc_lo, s1
	s_wait_loadcnt_dscnt 0x0
	v_mul_f64_e32 v[10:11], v[21:22], v[17:18]
	v_mul_f64_e32 v[17:18], v[19:20], v[17:18]
	s_delay_alu instid0(VALU_DEP_2) | instskip(NEXT) | instid1(VALU_DEP_2)
	v_fma_f64 v[10:11], v[19:20], v[15:16], -v[10:11]
	v_fma_f64 v[15:16], v[21:22], v[15:16], v[17:18]
	s_delay_alu instid0(VALU_DEP_2) | instskip(NEXT) | instid1(VALU_DEP_2)
	v_add_f64_e32 v[3:4], v[3:4], v[10:11]
	v_add_f64_e32 v[1:2], v[1:2], v[15:16]
	s_wait_alu 0xfffe
	s_and_not1_b32 exec_lo, exec_lo, s1
	s_cbranch_execnz .LBB106_29
; %bb.30:
	s_or_b32 exec_lo, exec_lo, s1
	v_mov_b32_e32 v7, 0
	ds_load_b128 v[7:10], v7 offset:64
	s_wait_dscnt 0x0
	v_mul_f64_e32 v[11:12], v[1:2], v[9:10]
	v_mul_f64_e32 v[15:16], v[3:4], v[9:10]
	s_delay_alu instid0(VALU_DEP_2) | instskip(NEXT) | instid1(VALU_DEP_2)
	v_fma_f64 v[9:10], v[3:4], v[7:8], -v[11:12]
	v_fma_f64 v[11:12], v[1:2], v[7:8], v[15:16]
	scratch_store_b128 off, v[9:12], off offset:80
.LBB106_31:
	s_wait_alu 0xfffe
	s_or_b32 exec_lo, exec_lo, s0
	s_wait_loadcnt 0x0
	s_wait_storecnt 0x0
	s_barrier_signal -1
	s_barrier_wait -1
	global_inv scope:SCOPE_SE
	scratch_load_b128 v[1:4], off, s30
	;; [unrolled: 58-line block ×19, first 2 shown]
	s_mov_b32 s0, exec_lo
	s_wait_loadcnt 0x0
	ds_store_b128 v5, v[1:4]
	s_wait_dscnt 0x0
	s_barrier_signal -1
	s_barrier_wait -1
	global_inv scope:SCOPE_SE
	v_cmpx_gt_u32_e32 22, v0
	s_cbranch_execz .LBB106_103
; %bb.100:
	v_dual_mov_b32 v1, 0 :: v_dual_add_nc_u32 v8, 0x2b0, v13
	v_mov_b32_e32 v3, 0
	v_dual_mov_b32 v2, 0 :: v_dual_add_nc_u32 v7, -1, v0
	v_mov_b32_e32 v4, 0
	v_or_b32_e32 v9, 8, v14
	s_mov_b32 s1, 0
.LBB106_101:                            ; =>This Inner Loop Header: Depth=1
	scratch_load_b128 v[15:18], v9, off offset:-8
	ds_load_b128 v[19:22], v8
	v_add_nc_u32_e32 v7, 1, v7
	v_add_nc_u32_e32 v8, 16, v8
	v_add_nc_u32_e32 v9, 16, v9
	s_delay_alu instid0(VALU_DEP_3)
	v_cmp_lt_u32_e32 vcc_lo, 20, v7
	s_wait_alu 0xfffe
	s_or_b32 s1, vcc_lo, s1
	s_wait_loadcnt_dscnt 0x0
	v_mul_f64_e32 v[10:11], v[21:22], v[17:18]
	v_mul_f64_e32 v[17:18], v[19:20], v[17:18]
	s_delay_alu instid0(VALU_DEP_2) | instskip(NEXT) | instid1(VALU_DEP_2)
	v_fma_f64 v[10:11], v[19:20], v[15:16], -v[10:11]
	v_fma_f64 v[15:16], v[21:22], v[15:16], v[17:18]
	s_delay_alu instid0(VALU_DEP_2) | instskip(NEXT) | instid1(VALU_DEP_2)
	v_add_f64_e32 v[3:4], v[3:4], v[10:11]
	v_add_f64_e32 v[1:2], v[1:2], v[15:16]
	s_wait_alu 0xfffe
	s_and_not1_b32 exec_lo, exec_lo, s1
	s_cbranch_execnz .LBB106_101
; %bb.102:
	s_or_b32 exec_lo, exec_lo, s1
	v_mov_b32_e32 v7, 0
	ds_load_b128 v[7:10], v7 offset:352
	s_wait_dscnt 0x0
	v_mul_f64_e32 v[11:12], v[1:2], v[9:10]
	v_mul_f64_e32 v[15:16], v[3:4], v[9:10]
	s_delay_alu instid0(VALU_DEP_2) | instskip(NEXT) | instid1(VALU_DEP_2)
	v_fma_f64 v[9:10], v[3:4], v[7:8], -v[11:12]
	v_fma_f64 v[11:12], v[1:2], v[7:8], v[15:16]
	scratch_store_b128 off, v[9:12], off offset:368
.LBB106_103:
	s_wait_alu 0xfffe
	s_or_b32 exec_lo, exec_lo, s0
	s_wait_loadcnt 0x0
	s_wait_storecnt 0x0
	s_barrier_signal -1
	s_barrier_wait -1
	global_inv scope:SCOPE_SE
	scratch_load_b128 v[1:4], off, s40
	s_mov_b32 s0, exec_lo
	s_wait_loadcnt 0x0
	ds_store_b128 v5, v[1:4]
	s_wait_dscnt 0x0
	s_barrier_signal -1
	s_barrier_wait -1
	global_inv scope:SCOPE_SE
	v_cmpx_gt_u32_e32 23, v0
	s_cbranch_execz .LBB106_107
; %bb.104:
	v_dual_mov_b32 v1, 0 :: v_dual_add_nc_u32 v8, 0x2b0, v13
	v_mov_b32_e32 v3, 0
	v_dual_mov_b32 v2, 0 :: v_dual_add_nc_u32 v7, -1, v0
	v_mov_b32_e32 v4, 0
	v_or_b32_e32 v9, 8, v14
	s_mov_b32 s1, 0
.LBB106_105:                            ; =>This Inner Loop Header: Depth=1
	scratch_load_b128 v[15:18], v9, off offset:-8
	ds_load_b128 v[19:22], v8
	v_add_nc_u32_e32 v7, 1, v7
	v_add_nc_u32_e32 v8, 16, v8
	v_add_nc_u32_e32 v9, 16, v9
	s_delay_alu instid0(VALU_DEP_3)
	v_cmp_lt_u32_e32 vcc_lo, 21, v7
	s_wait_alu 0xfffe
	s_or_b32 s1, vcc_lo, s1
	s_wait_loadcnt_dscnt 0x0
	v_mul_f64_e32 v[10:11], v[21:22], v[17:18]
	v_mul_f64_e32 v[17:18], v[19:20], v[17:18]
	s_delay_alu instid0(VALU_DEP_2) | instskip(NEXT) | instid1(VALU_DEP_2)
	v_fma_f64 v[10:11], v[19:20], v[15:16], -v[10:11]
	v_fma_f64 v[15:16], v[21:22], v[15:16], v[17:18]
	s_delay_alu instid0(VALU_DEP_2) | instskip(NEXT) | instid1(VALU_DEP_2)
	v_add_f64_e32 v[3:4], v[3:4], v[10:11]
	v_add_f64_e32 v[1:2], v[1:2], v[15:16]
	s_wait_alu 0xfffe
	s_and_not1_b32 exec_lo, exec_lo, s1
	s_cbranch_execnz .LBB106_105
; %bb.106:
	s_or_b32 exec_lo, exec_lo, s1
	v_mov_b32_e32 v7, 0
	ds_load_b128 v[7:10], v7 offset:368
	s_wait_dscnt 0x0
	v_mul_f64_e32 v[11:12], v[1:2], v[9:10]
	v_mul_f64_e32 v[15:16], v[3:4], v[9:10]
	s_delay_alu instid0(VALU_DEP_2) | instskip(NEXT) | instid1(VALU_DEP_2)
	v_fma_f64 v[9:10], v[3:4], v[7:8], -v[11:12]
	v_fma_f64 v[11:12], v[1:2], v[7:8], v[15:16]
	scratch_store_b128 off, v[9:12], off offset:384
.LBB106_107:
	s_wait_alu 0xfffe
	s_or_b32 exec_lo, exec_lo, s0
	s_wait_loadcnt 0x0
	s_wait_storecnt 0x0
	s_barrier_signal -1
	s_barrier_wait -1
	global_inv scope:SCOPE_SE
	scratch_load_b128 v[1:4], off, s19
	;; [unrolled: 58-line block ×20, first 2 shown]
	s_mov_b32 s0, exec_lo
	s_wait_loadcnt 0x0
	ds_store_b128 v5, v[1:4]
	s_wait_dscnt 0x0
	s_barrier_signal -1
	s_barrier_wait -1
	global_inv scope:SCOPE_SE
	v_cmpx_ne_u32_e32 42, v0
	s_cbranch_execz .LBB106_183
; %bb.180:
	v_mov_b32_e32 v1, 0
	v_dual_mov_b32 v2, 0 :: v_dual_mov_b32 v3, 0
	v_mov_b32_e32 v4, 0
	v_or_b32_e32 v7, 8, v14
	s_mov_b32 s1, 0
.LBB106_181:                            ; =>This Inner Loop Header: Depth=1
	scratch_load_b128 v[8:11], v7, off offset:-8
	ds_load_b128 v[12:15], v5
	v_add_nc_u32_e32 v6, 1, v6
	v_add_nc_u32_e32 v5, 16, v5
	;; [unrolled: 1-line block ×3, first 2 shown]
	s_delay_alu instid0(VALU_DEP_3)
	v_cmp_lt_u32_e32 vcc_lo, 40, v6
	s_wait_alu 0xfffe
	s_or_b32 s1, vcc_lo, s1
	s_wait_loadcnt_dscnt 0x0
	v_mul_f64_e32 v[16:17], v[14:15], v[10:11]
	v_mul_f64_e32 v[10:11], v[12:13], v[10:11]
	s_delay_alu instid0(VALU_DEP_2) | instskip(NEXT) | instid1(VALU_DEP_2)
	v_fma_f64 v[12:13], v[12:13], v[8:9], -v[16:17]
	v_fma_f64 v[8:9], v[14:15], v[8:9], v[10:11]
	s_delay_alu instid0(VALU_DEP_2) | instskip(NEXT) | instid1(VALU_DEP_2)
	v_add_f64_e32 v[3:4], v[3:4], v[12:13]
	v_add_f64_e32 v[1:2], v[1:2], v[8:9]
	s_wait_alu 0xfffe
	s_and_not1_b32 exec_lo, exec_lo, s1
	s_cbranch_execnz .LBB106_181
; %bb.182:
	s_or_b32 exec_lo, exec_lo, s1
	v_mov_b32_e32 v5, 0
	ds_load_b128 v[5:8], v5 offset:672
	s_wait_dscnt 0x0
	v_mul_f64_e32 v[9:10], v[1:2], v[7:8]
	v_mul_f64_e32 v[7:8], v[3:4], v[7:8]
	s_delay_alu instid0(VALU_DEP_2) | instskip(NEXT) | instid1(VALU_DEP_2)
	v_fma_f64 v[3:4], v[3:4], v[5:6], -v[9:10]
	v_fma_f64 v[5:6], v[1:2], v[5:6], v[7:8]
	scratch_store_b128 off, v[3:6], off offset:688
.LBB106_183:
	s_wait_alu 0xfffe
	s_or_b32 exec_lo, exec_lo, s0
	s_mov_b32 s1, -1
	s_wait_loadcnt 0x0
	s_wait_storecnt 0x0
	s_barrier_signal -1
	s_barrier_wait -1
	global_inv scope:SCOPE_SE
.LBB106_184:
	s_wait_alu 0xfffe
	s_and_b32 vcc_lo, exec_lo, s1
	s_wait_alu 0xfffe
	s_cbranch_vccz .LBB106_186
; %bb.185:
	v_mov_b32_e32 v1, 0
	s_lshl_b64 s[0:1], s[8:9], 2
	s_wait_alu 0xfffe
	s_add_nc_u64 s[0:1], s[6:7], s[0:1]
	global_load_b32 v1, v1, s[0:1]
	s_wait_loadcnt 0x0
	v_cmp_ne_u32_e32 vcc_lo, 0, v1
	s_cbranch_vccz .LBB106_187
.LBB106_186:
	s_nop 0
	s_sendmsg sendmsg(MSG_DEALLOC_VGPRS)
	s_endpgm
.LBB106_187:
	v_lshl_add_u32 v132, v0, 4, 0x2b0
	s_mov_b32 s0, exec_lo
	v_cmpx_eq_u32_e32 42, v0
	s_cbranch_execz .LBB106_189
; %bb.188:
	scratch_load_b128 v[1:4], off, s49
	v_mov_b32_e32 v5, 0
	s_delay_alu instid0(VALU_DEP_1)
	v_dual_mov_b32 v6, v5 :: v_dual_mov_b32 v7, v5
	v_mov_b32_e32 v8, v5
	scratch_store_b128 off, v[5:8], off offset:672
	s_wait_loadcnt 0x0
	ds_store_b128 v132, v[1:4]
.LBB106_189:
	s_wait_alu 0xfffe
	s_or_b32 exec_lo, exec_lo, s0
	s_wait_storecnt_dscnt 0x0
	s_barrier_signal -1
	s_barrier_wait -1
	global_inv scope:SCOPE_SE
	s_clause 0x1
	scratch_load_b128 v[2:5], off, off offset:688
	scratch_load_b128 v[6:9], off, off offset:672
	v_mov_b32_e32 v1, 0
	s_mov_b32 s0, exec_lo
	ds_load_b128 v[10:13], v1 offset:1360
	s_wait_loadcnt_dscnt 0x100
	v_mul_f64_e32 v[14:15], v[12:13], v[4:5]
	v_mul_f64_e32 v[4:5], v[10:11], v[4:5]
	s_delay_alu instid0(VALU_DEP_2) | instskip(NEXT) | instid1(VALU_DEP_2)
	v_fma_f64 v[10:11], v[10:11], v[2:3], -v[14:15]
	v_fma_f64 v[2:3], v[12:13], v[2:3], v[4:5]
	s_delay_alu instid0(VALU_DEP_2) | instskip(NEXT) | instid1(VALU_DEP_2)
	v_add_f64_e32 v[4:5], 0, v[10:11]
	v_add_f64_e32 v[10:11], 0, v[2:3]
	s_wait_loadcnt 0x0
	s_delay_alu instid0(VALU_DEP_2) | instskip(NEXT) | instid1(VALU_DEP_2)
	v_add_f64_e64 v[2:3], v[6:7], -v[4:5]
	v_add_f64_e64 v[4:5], v[8:9], -v[10:11]
	scratch_store_b128 off, v[2:5], off offset:672
	v_cmpx_lt_u32_e32 40, v0
	s_cbranch_execz .LBB106_191
; %bb.190:
	scratch_load_b128 v[5:8], off, s27
	v_dual_mov_b32 v2, v1 :: v_dual_mov_b32 v3, v1
	v_mov_b32_e32 v4, v1
	scratch_store_b128 off, v[1:4], off offset:656
	s_wait_loadcnt 0x0
	ds_store_b128 v132, v[5:8]
.LBB106_191:
	s_wait_alu 0xfffe
	s_or_b32 exec_lo, exec_lo, s0
	s_wait_storecnt_dscnt 0x0
	s_barrier_signal -1
	s_barrier_wait -1
	global_inv scope:SCOPE_SE
	s_clause 0x2
	scratch_load_b128 v[2:5], off, off offset:672
	scratch_load_b128 v[6:9], off, off offset:688
	;; [unrolled: 1-line block ×3, first 2 shown]
	ds_load_b128 v[14:17], v1 offset:1344
	ds_load_b128 v[18:21], v1 offset:1360
	s_mov_b32 s0, exec_lo
	s_wait_loadcnt_dscnt 0x201
	v_mul_f64_e32 v[22:23], v[16:17], v[4:5]
	v_mul_f64_e32 v[4:5], v[14:15], v[4:5]
	s_wait_loadcnt_dscnt 0x100
	v_mul_f64_e32 v[24:25], v[18:19], v[8:9]
	v_mul_f64_e32 v[8:9], v[20:21], v[8:9]
	s_delay_alu instid0(VALU_DEP_4) | instskip(NEXT) | instid1(VALU_DEP_4)
	v_fma_f64 v[14:15], v[14:15], v[2:3], -v[22:23]
	v_fma_f64 v[1:2], v[16:17], v[2:3], v[4:5]
	s_delay_alu instid0(VALU_DEP_4) | instskip(NEXT) | instid1(VALU_DEP_4)
	v_fma_f64 v[3:4], v[20:21], v[6:7], v[24:25]
	v_fma_f64 v[5:6], v[18:19], v[6:7], -v[8:9]
	s_delay_alu instid0(VALU_DEP_4) | instskip(NEXT) | instid1(VALU_DEP_4)
	v_add_f64_e32 v[7:8], 0, v[14:15]
	v_add_f64_e32 v[1:2], 0, v[1:2]
	s_delay_alu instid0(VALU_DEP_2) | instskip(NEXT) | instid1(VALU_DEP_2)
	v_add_f64_e32 v[5:6], v[7:8], v[5:6]
	v_add_f64_e32 v[3:4], v[1:2], v[3:4]
	s_wait_loadcnt 0x0
	s_delay_alu instid0(VALU_DEP_2) | instskip(NEXT) | instid1(VALU_DEP_2)
	v_add_f64_e64 v[1:2], v[10:11], -v[5:6]
	v_add_f64_e64 v[3:4], v[12:13], -v[3:4]
	scratch_store_b128 off, v[1:4], off offset:656
	v_cmpx_lt_u32_e32 39, v0
	s_cbranch_execz .LBB106_193
; %bb.192:
	scratch_load_b128 v[1:4], off, s48
	v_mov_b32_e32 v5, 0
	s_delay_alu instid0(VALU_DEP_1)
	v_dual_mov_b32 v6, v5 :: v_dual_mov_b32 v7, v5
	v_mov_b32_e32 v8, v5
	scratch_store_b128 off, v[5:8], off offset:640
	s_wait_loadcnt 0x0
	ds_store_b128 v132, v[1:4]
.LBB106_193:
	s_wait_alu 0xfffe
	s_or_b32 exec_lo, exec_lo, s0
	s_wait_storecnt_dscnt 0x0
	s_barrier_signal -1
	s_barrier_wait -1
	global_inv scope:SCOPE_SE
	s_clause 0x3
	scratch_load_b128 v[2:5], off, off offset:656
	scratch_load_b128 v[6:9], off, off offset:672
	;; [unrolled: 1-line block ×4, first 2 shown]
	v_mov_b32_e32 v1, 0
	ds_load_b128 v[18:21], v1 offset:1328
	ds_load_b128 v[22:25], v1 offset:1344
	s_mov_b32 s0, exec_lo
	s_wait_loadcnt_dscnt 0x301
	v_mul_f64_e32 v[26:27], v[20:21], v[4:5]
	v_mul_f64_e32 v[4:5], v[18:19], v[4:5]
	s_wait_loadcnt_dscnt 0x200
	v_mul_f64_e32 v[28:29], v[22:23], v[8:9]
	v_mul_f64_e32 v[8:9], v[24:25], v[8:9]
	s_delay_alu instid0(VALU_DEP_4) | instskip(NEXT) | instid1(VALU_DEP_4)
	v_fma_f64 v[18:19], v[18:19], v[2:3], -v[26:27]
	v_fma_f64 v[20:21], v[20:21], v[2:3], v[4:5]
	ds_load_b128 v[2:5], v1 offset:1360
	v_fma_f64 v[24:25], v[24:25], v[6:7], v[28:29]
	v_fma_f64 v[6:7], v[22:23], v[6:7], -v[8:9]
	s_wait_loadcnt_dscnt 0x100
	v_mul_f64_e32 v[26:27], v[2:3], v[12:13]
	v_mul_f64_e32 v[12:13], v[4:5], v[12:13]
	v_add_f64_e32 v[8:9], 0, v[18:19]
	v_add_f64_e32 v[18:19], 0, v[20:21]
	s_delay_alu instid0(VALU_DEP_4) | instskip(NEXT) | instid1(VALU_DEP_4)
	v_fma_f64 v[4:5], v[4:5], v[10:11], v[26:27]
	v_fma_f64 v[2:3], v[2:3], v[10:11], -v[12:13]
	s_delay_alu instid0(VALU_DEP_4) | instskip(NEXT) | instid1(VALU_DEP_4)
	v_add_f64_e32 v[6:7], v[8:9], v[6:7]
	v_add_f64_e32 v[8:9], v[18:19], v[24:25]
	s_delay_alu instid0(VALU_DEP_2) | instskip(NEXT) | instid1(VALU_DEP_2)
	v_add_f64_e32 v[2:3], v[6:7], v[2:3]
	v_add_f64_e32 v[4:5], v[8:9], v[4:5]
	s_wait_loadcnt 0x0
	s_delay_alu instid0(VALU_DEP_2) | instskip(NEXT) | instid1(VALU_DEP_2)
	v_add_f64_e64 v[2:3], v[14:15], -v[2:3]
	v_add_f64_e64 v[4:5], v[16:17], -v[4:5]
	scratch_store_b128 off, v[2:5], off offset:640
	v_cmpx_lt_u32_e32 38, v0
	s_cbranch_execz .LBB106_195
; %bb.194:
	scratch_load_b128 v[5:8], off, s26
	v_dual_mov_b32 v2, v1 :: v_dual_mov_b32 v3, v1
	v_mov_b32_e32 v4, v1
	scratch_store_b128 off, v[1:4], off offset:624
	s_wait_loadcnt 0x0
	ds_store_b128 v132, v[5:8]
.LBB106_195:
	s_wait_alu 0xfffe
	s_or_b32 exec_lo, exec_lo, s0
	s_wait_storecnt_dscnt 0x0
	s_barrier_signal -1
	s_barrier_wait -1
	global_inv scope:SCOPE_SE
	s_clause 0x4
	scratch_load_b128 v[2:5], off, off offset:640
	scratch_load_b128 v[6:9], off, off offset:656
	;; [unrolled: 1-line block ×5, first 2 shown]
	ds_load_b128 v[22:25], v1 offset:1312
	ds_load_b128 v[26:29], v1 offset:1328
	s_mov_b32 s0, exec_lo
	s_wait_loadcnt_dscnt 0x401
	v_mul_f64_e32 v[30:31], v[24:25], v[4:5]
	v_mul_f64_e32 v[4:5], v[22:23], v[4:5]
	s_wait_loadcnt_dscnt 0x300
	v_mul_f64_e32 v[32:33], v[26:27], v[8:9]
	v_mul_f64_e32 v[8:9], v[28:29], v[8:9]
	s_delay_alu instid0(VALU_DEP_4) | instskip(NEXT) | instid1(VALU_DEP_4)
	v_fma_f64 v[30:31], v[22:23], v[2:3], -v[30:31]
	v_fma_f64 v[34:35], v[24:25], v[2:3], v[4:5]
	ds_load_b128 v[2:5], v1 offset:1344
	ds_load_b128 v[22:25], v1 offset:1360
	v_fma_f64 v[28:29], v[28:29], v[6:7], v[32:33]
	v_fma_f64 v[6:7], v[26:27], v[6:7], -v[8:9]
	s_wait_loadcnt_dscnt 0x201
	v_mul_f64_e32 v[36:37], v[2:3], v[12:13]
	v_mul_f64_e32 v[12:13], v[4:5], v[12:13]
	v_add_f64_e32 v[8:9], 0, v[30:31]
	v_add_f64_e32 v[26:27], 0, v[34:35]
	s_wait_loadcnt_dscnt 0x100
	v_mul_f64_e32 v[30:31], v[22:23], v[16:17]
	v_mul_f64_e32 v[16:17], v[24:25], v[16:17]
	v_fma_f64 v[4:5], v[4:5], v[10:11], v[36:37]
	v_fma_f64 v[1:2], v[2:3], v[10:11], -v[12:13]
	v_add_f64_e32 v[6:7], v[8:9], v[6:7]
	v_add_f64_e32 v[8:9], v[26:27], v[28:29]
	v_fma_f64 v[10:11], v[24:25], v[14:15], v[30:31]
	v_fma_f64 v[12:13], v[22:23], v[14:15], -v[16:17]
	s_delay_alu instid0(VALU_DEP_4) | instskip(NEXT) | instid1(VALU_DEP_4)
	v_add_f64_e32 v[1:2], v[6:7], v[1:2]
	v_add_f64_e32 v[3:4], v[8:9], v[4:5]
	s_delay_alu instid0(VALU_DEP_2) | instskip(NEXT) | instid1(VALU_DEP_2)
	v_add_f64_e32 v[1:2], v[1:2], v[12:13]
	v_add_f64_e32 v[3:4], v[3:4], v[10:11]
	s_wait_loadcnt 0x0
	s_delay_alu instid0(VALU_DEP_2) | instskip(NEXT) | instid1(VALU_DEP_2)
	v_add_f64_e64 v[1:2], v[18:19], -v[1:2]
	v_add_f64_e64 v[3:4], v[20:21], -v[3:4]
	scratch_store_b128 off, v[1:4], off offset:624
	v_cmpx_lt_u32_e32 37, v0
	s_cbranch_execz .LBB106_197
; %bb.196:
	scratch_load_b128 v[1:4], off, s47
	v_mov_b32_e32 v5, 0
	s_delay_alu instid0(VALU_DEP_1)
	v_dual_mov_b32 v6, v5 :: v_dual_mov_b32 v7, v5
	v_mov_b32_e32 v8, v5
	scratch_store_b128 off, v[5:8], off offset:608
	s_wait_loadcnt 0x0
	ds_store_b128 v132, v[1:4]
.LBB106_197:
	s_wait_alu 0xfffe
	s_or_b32 exec_lo, exec_lo, s0
	s_wait_storecnt_dscnt 0x0
	s_barrier_signal -1
	s_barrier_wait -1
	global_inv scope:SCOPE_SE
	s_clause 0x5
	scratch_load_b128 v[2:5], off, off offset:624
	scratch_load_b128 v[6:9], off, off offset:640
	;; [unrolled: 1-line block ×6, first 2 shown]
	v_mov_b32_e32 v1, 0
	ds_load_b128 v[26:29], v1 offset:1296
	ds_load_b128 v[30:33], v1 offset:1312
	s_mov_b32 s0, exec_lo
	s_wait_loadcnt_dscnt 0x501
	v_mul_f64_e32 v[34:35], v[28:29], v[4:5]
	v_mul_f64_e32 v[4:5], v[26:27], v[4:5]
	s_wait_loadcnt_dscnt 0x400
	v_mul_f64_e32 v[36:37], v[30:31], v[8:9]
	v_mul_f64_e32 v[8:9], v[32:33], v[8:9]
	s_delay_alu instid0(VALU_DEP_4) | instskip(NEXT) | instid1(VALU_DEP_4)
	v_fma_f64 v[34:35], v[26:27], v[2:3], -v[34:35]
	v_fma_f64 v[38:39], v[28:29], v[2:3], v[4:5]
	ds_load_b128 v[2:5], v1 offset:1328
	ds_load_b128 v[26:29], v1 offset:1344
	v_fma_f64 v[32:33], v[32:33], v[6:7], v[36:37]
	v_fma_f64 v[6:7], v[30:31], v[6:7], -v[8:9]
	s_wait_loadcnt_dscnt 0x301
	v_mul_f64_e32 v[40:41], v[2:3], v[12:13]
	v_mul_f64_e32 v[12:13], v[4:5], v[12:13]
	v_add_f64_e32 v[8:9], 0, v[34:35]
	v_add_f64_e32 v[30:31], 0, v[38:39]
	s_wait_loadcnt_dscnt 0x200
	v_mul_f64_e32 v[34:35], v[26:27], v[16:17]
	v_mul_f64_e32 v[16:17], v[28:29], v[16:17]
	v_fma_f64 v[36:37], v[4:5], v[10:11], v[40:41]
	v_fma_f64 v[10:11], v[2:3], v[10:11], -v[12:13]
	ds_load_b128 v[2:5], v1 offset:1360
	v_add_f64_e32 v[6:7], v[8:9], v[6:7]
	v_add_f64_e32 v[8:9], v[30:31], v[32:33]
	v_fma_f64 v[28:29], v[28:29], v[14:15], v[34:35]
	v_fma_f64 v[14:15], v[26:27], v[14:15], -v[16:17]
	s_wait_loadcnt_dscnt 0x100
	v_mul_f64_e32 v[12:13], v[2:3], v[20:21]
	v_mul_f64_e32 v[20:21], v[4:5], v[20:21]
	v_add_f64_e32 v[6:7], v[6:7], v[10:11]
	v_add_f64_e32 v[8:9], v[8:9], v[36:37]
	s_delay_alu instid0(VALU_DEP_4) | instskip(NEXT) | instid1(VALU_DEP_4)
	v_fma_f64 v[4:5], v[4:5], v[18:19], v[12:13]
	v_fma_f64 v[2:3], v[2:3], v[18:19], -v[20:21]
	s_delay_alu instid0(VALU_DEP_4) | instskip(NEXT) | instid1(VALU_DEP_4)
	v_add_f64_e32 v[6:7], v[6:7], v[14:15]
	v_add_f64_e32 v[8:9], v[8:9], v[28:29]
	s_delay_alu instid0(VALU_DEP_2) | instskip(NEXT) | instid1(VALU_DEP_2)
	v_add_f64_e32 v[2:3], v[6:7], v[2:3]
	v_add_f64_e32 v[4:5], v[8:9], v[4:5]
	s_wait_loadcnt 0x0
	s_delay_alu instid0(VALU_DEP_2) | instskip(NEXT) | instid1(VALU_DEP_2)
	v_add_f64_e64 v[2:3], v[22:23], -v[2:3]
	v_add_f64_e64 v[4:5], v[24:25], -v[4:5]
	scratch_store_b128 off, v[2:5], off offset:608
	v_cmpx_lt_u32_e32 36, v0
	s_cbranch_execz .LBB106_199
; %bb.198:
	scratch_load_b128 v[5:8], off, s25
	v_dual_mov_b32 v2, v1 :: v_dual_mov_b32 v3, v1
	v_mov_b32_e32 v4, v1
	scratch_store_b128 off, v[1:4], off offset:592
	s_wait_loadcnt 0x0
	ds_store_b128 v132, v[5:8]
.LBB106_199:
	s_wait_alu 0xfffe
	s_or_b32 exec_lo, exec_lo, s0
	s_wait_storecnt_dscnt 0x0
	s_barrier_signal -1
	s_barrier_wait -1
	global_inv scope:SCOPE_SE
	s_clause 0x5
	scratch_load_b128 v[2:5], off, off offset:608
	scratch_load_b128 v[6:9], off, off offset:624
	;; [unrolled: 1-line block ×6, first 2 shown]
	ds_load_b128 v[26:29], v1 offset:1280
	ds_load_b128 v[34:37], v1 offset:1296
	scratch_load_b128 v[30:33], off, off offset:592
	s_mov_b32 s0, exec_lo
	s_wait_loadcnt_dscnt 0x601
	v_mul_f64_e32 v[38:39], v[28:29], v[4:5]
	v_mul_f64_e32 v[4:5], v[26:27], v[4:5]
	s_wait_loadcnt_dscnt 0x500
	v_mul_f64_e32 v[40:41], v[34:35], v[8:9]
	v_mul_f64_e32 v[8:9], v[36:37], v[8:9]
	s_delay_alu instid0(VALU_DEP_4) | instskip(NEXT) | instid1(VALU_DEP_4)
	v_fma_f64 v[38:39], v[26:27], v[2:3], -v[38:39]
	v_fma_f64 v[42:43], v[28:29], v[2:3], v[4:5]
	ds_load_b128 v[2:5], v1 offset:1312
	ds_load_b128 v[26:29], v1 offset:1328
	v_fma_f64 v[36:37], v[36:37], v[6:7], v[40:41]
	v_fma_f64 v[6:7], v[34:35], v[6:7], -v[8:9]
	s_wait_loadcnt_dscnt 0x401
	v_mul_f64_e32 v[44:45], v[2:3], v[12:13]
	v_mul_f64_e32 v[12:13], v[4:5], v[12:13]
	v_add_f64_e32 v[8:9], 0, v[38:39]
	v_add_f64_e32 v[34:35], 0, v[42:43]
	s_wait_loadcnt_dscnt 0x300
	v_mul_f64_e32 v[38:39], v[26:27], v[16:17]
	v_mul_f64_e32 v[16:17], v[28:29], v[16:17]
	v_fma_f64 v[40:41], v[4:5], v[10:11], v[44:45]
	v_fma_f64 v[10:11], v[2:3], v[10:11], -v[12:13]
	v_add_f64_e32 v[12:13], v[8:9], v[6:7]
	v_add_f64_e32 v[34:35], v[34:35], v[36:37]
	ds_load_b128 v[2:5], v1 offset:1344
	ds_load_b128 v[6:9], v1 offset:1360
	v_fma_f64 v[28:29], v[28:29], v[14:15], v[38:39]
	v_fma_f64 v[14:15], v[26:27], v[14:15], -v[16:17]
	s_wait_loadcnt_dscnt 0x201
	v_mul_f64_e32 v[36:37], v[2:3], v[20:21]
	v_mul_f64_e32 v[20:21], v[4:5], v[20:21]
	s_wait_loadcnt_dscnt 0x100
	v_mul_f64_e32 v[16:17], v[6:7], v[24:25]
	v_mul_f64_e32 v[24:25], v[8:9], v[24:25]
	v_add_f64_e32 v[10:11], v[12:13], v[10:11]
	v_add_f64_e32 v[12:13], v[34:35], v[40:41]
	v_fma_f64 v[4:5], v[4:5], v[18:19], v[36:37]
	v_fma_f64 v[1:2], v[2:3], v[18:19], -v[20:21]
	v_fma_f64 v[8:9], v[8:9], v[22:23], v[16:17]
	v_fma_f64 v[6:7], v[6:7], v[22:23], -v[24:25]
	v_add_f64_e32 v[10:11], v[10:11], v[14:15]
	v_add_f64_e32 v[12:13], v[12:13], v[28:29]
	s_delay_alu instid0(VALU_DEP_2) | instskip(NEXT) | instid1(VALU_DEP_2)
	v_add_f64_e32 v[1:2], v[10:11], v[1:2]
	v_add_f64_e32 v[3:4], v[12:13], v[4:5]
	s_delay_alu instid0(VALU_DEP_2) | instskip(NEXT) | instid1(VALU_DEP_2)
	v_add_f64_e32 v[1:2], v[1:2], v[6:7]
	v_add_f64_e32 v[3:4], v[3:4], v[8:9]
	s_wait_loadcnt 0x0
	s_delay_alu instid0(VALU_DEP_2) | instskip(NEXT) | instid1(VALU_DEP_2)
	v_add_f64_e64 v[1:2], v[30:31], -v[1:2]
	v_add_f64_e64 v[3:4], v[32:33], -v[3:4]
	scratch_store_b128 off, v[1:4], off offset:592
	v_cmpx_lt_u32_e32 35, v0
	s_cbranch_execz .LBB106_201
; %bb.200:
	scratch_load_b128 v[1:4], off, s46
	v_mov_b32_e32 v5, 0
	s_delay_alu instid0(VALU_DEP_1)
	v_dual_mov_b32 v6, v5 :: v_dual_mov_b32 v7, v5
	v_mov_b32_e32 v8, v5
	scratch_store_b128 off, v[5:8], off offset:576
	s_wait_loadcnt 0x0
	ds_store_b128 v132, v[1:4]
.LBB106_201:
	s_wait_alu 0xfffe
	s_or_b32 exec_lo, exec_lo, s0
	s_wait_storecnt_dscnt 0x0
	s_barrier_signal -1
	s_barrier_wait -1
	global_inv scope:SCOPE_SE
	s_clause 0x6
	scratch_load_b128 v[2:5], off, off offset:592
	scratch_load_b128 v[6:9], off, off offset:608
	;; [unrolled: 1-line block ×7, first 2 shown]
	v_mov_b32_e32 v1, 0
	scratch_load_b128 v[34:37], off, off offset:576
	s_mov_b32 s0, exec_lo
	ds_load_b128 v[30:33], v1 offset:1264
	ds_load_b128 v[38:41], v1 offset:1280
	s_wait_loadcnt_dscnt 0x701
	v_mul_f64_e32 v[42:43], v[32:33], v[4:5]
	v_mul_f64_e32 v[4:5], v[30:31], v[4:5]
	s_wait_loadcnt_dscnt 0x600
	v_mul_f64_e32 v[44:45], v[38:39], v[8:9]
	v_mul_f64_e32 v[8:9], v[40:41], v[8:9]
	s_delay_alu instid0(VALU_DEP_4) | instskip(NEXT) | instid1(VALU_DEP_4)
	v_fma_f64 v[42:43], v[30:31], v[2:3], -v[42:43]
	v_fma_f64 v[133:134], v[32:33], v[2:3], v[4:5]
	ds_load_b128 v[2:5], v1 offset:1296
	ds_load_b128 v[30:33], v1 offset:1312
	v_fma_f64 v[40:41], v[40:41], v[6:7], v[44:45]
	v_fma_f64 v[6:7], v[38:39], v[6:7], -v[8:9]
	s_wait_loadcnt_dscnt 0x501
	v_mul_f64_e32 v[135:136], v[2:3], v[12:13]
	v_mul_f64_e32 v[12:13], v[4:5], v[12:13]
	v_add_f64_e32 v[8:9], 0, v[42:43]
	v_add_f64_e32 v[38:39], 0, v[133:134]
	s_wait_loadcnt_dscnt 0x400
	v_mul_f64_e32 v[42:43], v[30:31], v[16:17]
	v_mul_f64_e32 v[16:17], v[32:33], v[16:17]
	v_fma_f64 v[44:45], v[4:5], v[10:11], v[135:136]
	v_fma_f64 v[10:11], v[2:3], v[10:11], -v[12:13]
	v_add_f64_e32 v[12:13], v[8:9], v[6:7]
	v_add_f64_e32 v[38:39], v[38:39], v[40:41]
	ds_load_b128 v[2:5], v1 offset:1328
	ds_load_b128 v[6:9], v1 offset:1344
	v_fma_f64 v[32:33], v[32:33], v[14:15], v[42:43]
	v_fma_f64 v[14:15], v[30:31], v[14:15], -v[16:17]
	s_wait_loadcnt_dscnt 0x301
	v_mul_f64_e32 v[40:41], v[2:3], v[20:21]
	v_mul_f64_e32 v[20:21], v[4:5], v[20:21]
	s_wait_loadcnt_dscnt 0x200
	v_mul_f64_e32 v[16:17], v[6:7], v[24:25]
	v_mul_f64_e32 v[24:25], v[8:9], v[24:25]
	v_add_f64_e32 v[10:11], v[12:13], v[10:11]
	v_add_f64_e32 v[12:13], v[38:39], v[44:45]
	v_fma_f64 v[30:31], v[4:5], v[18:19], v[40:41]
	v_fma_f64 v[18:19], v[2:3], v[18:19], -v[20:21]
	ds_load_b128 v[2:5], v1 offset:1360
	v_fma_f64 v[8:9], v[8:9], v[22:23], v[16:17]
	v_fma_f64 v[6:7], v[6:7], v[22:23], -v[24:25]
	v_add_f64_e32 v[10:11], v[10:11], v[14:15]
	v_add_f64_e32 v[12:13], v[12:13], v[32:33]
	s_wait_loadcnt_dscnt 0x100
	v_mul_f64_e32 v[14:15], v[2:3], v[28:29]
	v_mul_f64_e32 v[20:21], v[4:5], v[28:29]
	s_delay_alu instid0(VALU_DEP_4) | instskip(NEXT) | instid1(VALU_DEP_4)
	v_add_f64_e32 v[10:11], v[10:11], v[18:19]
	v_add_f64_e32 v[12:13], v[12:13], v[30:31]
	s_delay_alu instid0(VALU_DEP_4) | instskip(NEXT) | instid1(VALU_DEP_4)
	v_fma_f64 v[4:5], v[4:5], v[26:27], v[14:15]
	v_fma_f64 v[2:3], v[2:3], v[26:27], -v[20:21]
	s_delay_alu instid0(VALU_DEP_4) | instskip(NEXT) | instid1(VALU_DEP_4)
	v_add_f64_e32 v[6:7], v[10:11], v[6:7]
	v_add_f64_e32 v[8:9], v[12:13], v[8:9]
	s_delay_alu instid0(VALU_DEP_2) | instskip(NEXT) | instid1(VALU_DEP_2)
	v_add_f64_e32 v[2:3], v[6:7], v[2:3]
	v_add_f64_e32 v[4:5], v[8:9], v[4:5]
	s_wait_loadcnt 0x0
	s_delay_alu instid0(VALU_DEP_2) | instskip(NEXT) | instid1(VALU_DEP_2)
	v_add_f64_e64 v[2:3], v[34:35], -v[2:3]
	v_add_f64_e64 v[4:5], v[36:37], -v[4:5]
	scratch_store_b128 off, v[2:5], off offset:576
	v_cmpx_lt_u32_e32 34, v0
	s_cbranch_execz .LBB106_203
; %bb.202:
	scratch_load_b128 v[5:8], off, s24
	v_dual_mov_b32 v2, v1 :: v_dual_mov_b32 v3, v1
	v_mov_b32_e32 v4, v1
	scratch_store_b128 off, v[1:4], off offset:560
	s_wait_loadcnt 0x0
	ds_store_b128 v132, v[5:8]
.LBB106_203:
	s_wait_alu 0xfffe
	s_or_b32 exec_lo, exec_lo, s0
	s_wait_storecnt_dscnt 0x0
	s_barrier_signal -1
	s_barrier_wait -1
	global_inv scope:SCOPE_SE
	s_clause 0x7
	scratch_load_b128 v[2:5], off, off offset:576
	scratch_load_b128 v[6:9], off, off offset:592
	;; [unrolled: 1-line block ×8, first 2 shown]
	ds_load_b128 v[34:37], v1 offset:1248
	ds_load_b128 v[38:41], v1 offset:1264
	scratch_load_b128 v[42:45], off, off offset:560
	s_mov_b32 s0, exec_lo
	s_wait_loadcnt_dscnt 0x801
	v_mul_f64_e32 v[133:134], v[36:37], v[4:5]
	v_mul_f64_e32 v[4:5], v[34:35], v[4:5]
	s_wait_loadcnt_dscnt 0x700
	v_mul_f64_e32 v[135:136], v[38:39], v[8:9]
	v_mul_f64_e32 v[8:9], v[40:41], v[8:9]
	s_delay_alu instid0(VALU_DEP_4) | instskip(NEXT) | instid1(VALU_DEP_4)
	v_fma_f64 v[133:134], v[34:35], v[2:3], -v[133:134]
	v_fma_f64 v[137:138], v[36:37], v[2:3], v[4:5]
	ds_load_b128 v[2:5], v1 offset:1280
	ds_load_b128 v[34:37], v1 offset:1296
	v_fma_f64 v[40:41], v[40:41], v[6:7], v[135:136]
	v_fma_f64 v[6:7], v[38:39], v[6:7], -v[8:9]
	s_wait_loadcnt_dscnt 0x601
	v_mul_f64_e32 v[139:140], v[2:3], v[12:13]
	v_mul_f64_e32 v[12:13], v[4:5], v[12:13]
	v_add_f64_e32 v[8:9], 0, v[133:134]
	v_add_f64_e32 v[38:39], 0, v[137:138]
	s_wait_loadcnt_dscnt 0x500
	v_mul_f64_e32 v[133:134], v[34:35], v[16:17]
	v_mul_f64_e32 v[16:17], v[36:37], v[16:17]
	v_fma_f64 v[135:136], v[4:5], v[10:11], v[139:140]
	v_fma_f64 v[10:11], v[2:3], v[10:11], -v[12:13]
	v_add_f64_e32 v[12:13], v[8:9], v[6:7]
	v_add_f64_e32 v[38:39], v[38:39], v[40:41]
	ds_load_b128 v[2:5], v1 offset:1312
	ds_load_b128 v[6:9], v1 offset:1328
	v_fma_f64 v[36:37], v[36:37], v[14:15], v[133:134]
	v_fma_f64 v[14:15], v[34:35], v[14:15], -v[16:17]
	s_wait_loadcnt_dscnt 0x401
	v_mul_f64_e32 v[40:41], v[2:3], v[20:21]
	v_mul_f64_e32 v[20:21], v[4:5], v[20:21]
	s_wait_loadcnt_dscnt 0x300
	v_mul_f64_e32 v[16:17], v[6:7], v[24:25]
	v_mul_f64_e32 v[24:25], v[8:9], v[24:25]
	v_add_f64_e32 v[10:11], v[12:13], v[10:11]
	v_add_f64_e32 v[12:13], v[38:39], v[135:136]
	v_fma_f64 v[34:35], v[4:5], v[18:19], v[40:41]
	v_fma_f64 v[18:19], v[2:3], v[18:19], -v[20:21]
	v_fma_f64 v[8:9], v[8:9], v[22:23], v[16:17]
	v_fma_f64 v[6:7], v[6:7], v[22:23], -v[24:25]
	v_add_f64_e32 v[14:15], v[10:11], v[14:15]
	v_add_f64_e32 v[20:21], v[12:13], v[36:37]
	ds_load_b128 v[2:5], v1 offset:1344
	ds_load_b128 v[10:13], v1 offset:1360
	s_wait_loadcnt_dscnt 0x201
	v_mul_f64_e32 v[36:37], v[2:3], v[28:29]
	v_mul_f64_e32 v[28:29], v[4:5], v[28:29]
	v_add_f64_e32 v[14:15], v[14:15], v[18:19]
	v_add_f64_e32 v[16:17], v[20:21], v[34:35]
	s_wait_loadcnt_dscnt 0x100
	v_mul_f64_e32 v[18:19], v[10:11], v[32:33]
	v_mul_f64_e32 v[20:21], v[12:13], v[32:33]
	v_fma_f64 v[4:5], v[4:5], v[26:27], v[36:37]
	v_fma_f64 v[1:2], v[2:3], v[26:27], -v[28:29]
	v_add_f64_e32 v[6:7], v[14:15], v[6:7]
	v_add_f64_e32 v[8:9], v[16:17], v[8:9]
	v_fma_f64 v[12:13], v[12:13], v[30:31], v[18:19]
	v_fma_f64 v[10:11], v[10:11], v[30:31], -v[20:21]
	s_delay_alu instid0(VALU_DEP_4) | instskip(NEXT) | instid1(VALU_DEP_4)
	v_add_f64_e32 v[1:2], v[6:7], v[1:2]
	v_add_f64_e32 v[3:4], v[8:9], v[4:5]
	s_delay_alu instid0(VALU_DEP_2) | instskip(NEXT) | instid1(VALU_DEP_2)
	v_add_f64_e32 v[1:2], v[1:2], v[10:11]
	v_add_f64_e32 v[3:4], v[3:4], v[12:13]
	s_wait_loadcnt 0x0
	s_delay_alu instid0(VALU_DEP_2) | instskip(NEXT) | instid1(VALU_DEP_2)
	v_add_f64_e64 v[1:2], v[42:43], -v[1:2]
	v_add_f64_e64 v[3:4], v[44:45], -v[3:4]
	scratch_store_b128 off, v[1:4], off offset:560
	v_cmpx_lt_u32_e32 33, v0
	s_cbranch_execz .LBB106_205
; %bb.204:
	scratch_load_b128 v[1:4], off, s45
	v_mov_b32_e32 v5, 0
	s_delay_alu instid0(VALU_DEP_1)
	v_dual_mov_b32 v6, v5 :: v_dual_mov_b32 v7, v5
	v_mov_b32_e32 v8, v5
	scratch_store_b128 off, v[5:8], off offset:544
	s_wait_loadcnt 0x0
	ds_store_b128 v132, v[1:4]
.LBB106_205:
	s_wait_alu 0xfffe
	s_or_b32 exec_lo, exec_lo, s0
	s_wait_storecnt_dscnt 0x0
	s_barrier_signal -1
	s_barrier_wait -1
	global_inv scope:SCOPE_SE
	s_clause 0x7
	scratch_load_b128 v[2:5], off, off offset:560
	scratch_load_b128 v[6:9], off, off offset:576
	;; [unrolled: 1-line block ×8, first 2 shown]
	v_mov_b32_e32 v1, 0
	scratch_load_b128 v[38:41], off, off offset:688
	s_mov_b32 s0, exec_lo
	ds_load_b128 v[34:37], v1 offset:1232
	ds_load_b128 v[42:45], v1 offset:1248
	s_wait_loadcnt_dscnt 0x801
	v_mul_f64_e32 v[133:134], v[36:37], v[4:5]
	v_mul_f64_e32 v[4:5], v[34:35], v[4:5]
	s_wait_loadcnt_dscnt 0x700
	v_mul_f64_e32 v[135:136], v[42:43], v[8:9]
	v_mul_f64_e32 v[8:9], v[44:45], v[8:9]
	s_delay_alu instid0(VALU_DEP_4) | instskip(NEXT) | instid1(VALU_DEP_4)
	v_fma_f64 v[34:35], v[34:35], v[2:3], -v[133:134]
	v_fma_f64 v[36:37], v[36:37], v[2:3], v[4:5]
	ds_load_b128 v[2:5], v1 offset:1264
	v_fma_f64 v[44:45], v[44:45], v[6:7], v[135:136]
	v_fma_f64 v[42:43], v[42:43], v[6:7], -v[8:9]
	ds_load_b128 v[6:9], v1 offset:1280
	s_wait_loadcnt_dscnt 0x601
	v_mul_f64_e32 v[133:134], v[2:3], v[12:13]
	v_mul_f64_e32 v[12:13], v[4:5], v[12:13]
	s_wait_loadcnt_dscnt 0x500
	v_mul_f64_e32 v[139:140], v[6:7], v[16:17]
	v_mul_f64_e32 v[16:17], v[8:9], v[16:17]
	v_add_f64_e32 v[135:136], 0, v[34:35]
	v_add_f64_e32 v[137:138], 0, v[36:37]
	scratch_load_b128 v[34:37], off, off offset:544
	v_fma_f64 v[133:134], v[4:5], v[10:11], v[133:134]
	v_fma_f64 v[10:11], v[2:3], v[10:11], -v[12:13]
	ds_load_b128 v[2:5], v1 offset:1296
	v_add_f64_e32 v[12:13], v[135:136], v[42:43]
	v_add_f64_e32 v[42:43], v[137:138], v[44:45]
	v_fma_f64 v[135:136], v[8:9], v[14:15], v[139:140]
	v_fma_f64 v[14:15], v[6:7], v[14:15], -v[16:17]
	ds_load_b128 v[6:9], v1 offset:1312
	s_wait_loadcnt_dscnt 0x501
	v_mul_f64_e32 v[44:45], v[2:3], v[20:21]
	v_mul_f64_e32 v[20:21], v[4:5], v[20:21]
	s_wait_loadcnt_dscnt 0x400
	v_mul_f64_e32 v[16:17], v[6:7], v[24:25]
	v_mul_f64_e32 v[24:25], v[8:9], v[24:25]
	v_add_f64_e32 v[10:11], v[12:13], v[10:11]
	v_add_f64_e32 v[12:13], v[42:43], v[133:134]
	v_fma_f64 v[42:43], v[4:5], v[18:19], v[44:45]
	v_fma_f64 v[18:19], v[2:3], v[18:19], -v[20:21]
	ds_load_b128 v[2:5], v1 offset:1328
	v_fma_f64 v[16:17], v[8:9], v[22:23], v[16:17]
	v_fma_f64 v[22:23], v[6:7], v[22:23], -v[24:25]
	ds_load_b128 v[6:9], v1 offset:1344
	s_wait_loadcnt_dscnt 0x301
	v_mul_f64_e32 v[20:21], v[4:5], v[28:29]
	v_add_f64_e32 v[10:11], v[10:11], v[14:15]
	v_add_f64_e32 v[12:13], v[12:13], v[135:136]
	v_mul_f64_e32 v[14:15], v[2:3], v[28:29]
	s_wait_loadcnt_dscnt 0x200
	v_mul_f64_e32 v[24:25], v[8:9], v[32:33]
	v_fma_f64 v[20:21], v[2:3], v[26:27], -v[20:21]
	v_add_f64_e32 v[10:11], v[10:11], v[18:19]
	v_add_f64_e32 v[12:13], v[12:13], v[42:43]
	v_mul_f64_e32 v[18:19], v[6:7], v[32:33]
	v_fma_f64 v[14:15], v[4:5], v[26:27], v[14:15]
	ds_load_b128 v[2:5], v1 offset:1360
	v_fma_f64 v[6:7], v[6:7], v[30:31], -v[24:25]
	v_add_f64_e32 v[10:11], v[10:11], v[22:23]
	v_add_f64_e32 v[12:13], v[12:13], v[16:17]
	s_wait_loadcnt_dscnt 0x100
	v_mul_f64_e32 v[16:17], v[2:3], v[40:41]
	v_mul_f64_e32 v[22:23], v[4:5], v[40:41]
	v_fma_f64 v[8:9], v[8:9], v[30:31], v[18:19]
	v_add_f64_e32 v[10:11], v[10:11], v[20:21]
	v_add_f64_e32 v[12:13], v[12:13], v[14:15]
	v_fma_f64 v[4:5], v[4:5], v[38:39], v[16:17]
	v_fma_f64 v[2:3], v[2:3], v[38:39], -v[22:23]
	s_delay_alu instid0(VALU_DEP_4) | instskip(NEXT) | instid1(VALU_DEP_4)
	v_add_f64_e32 v[6:7], v[10:11], v[6:7]
	v_add_f64_e32 v[8:9], v[12:13], v[8:9]
	s_delay_alu instid0(VALU_DEP_2) | instskip(NEXT) | instid1(VALU_DEP_2)
	v_add_f64_e32 v[2:3], v[6:7], v[2:3]
	v_add_f64_e32 v[4:5], v[8:9], v[4:5]
	s_wait_loadcnt 0x0
	s_delay_alu instid0(VALU_DEP_2) | instskip(NEXT) | instid1(VALU_DEP_2)
	v_add_f64_e64 v[2:3], v[34:35], -v[2:3]
	v_add_f64_e64 v[4:5], v[36:37], -v[4:5]
	scratch_store_b128 off, v[2:5], off offset:544
	v_cmpx_lt_u32_e32 32, v0
	s_cbranch_execz .LBB106_207
; %bb.206:
	scratch_load_b128 v[5:8], off, s23
	v_dual_mov_b32 v2, v1 :: v_dual_mov_b32 v3, v1
	v_mov_b32_e32 v4, v1
	scratch_store_b128 off, v[1:4], off offset:528
	s_wait_loadcnt 0x0
	ds_store_b128 v132, v[5:8]
.LBB106_207:
	s_wait_alu 0xfffe
	s_or_b32 exec_lo, exec_lo, s0
	s_wait_storecnt_dscnt 0x0
	s_barrier_signal -1
	s_barrier_wait -1
	global_inv scope:SCOPE_SE
	s_clause 0x7
	scratch_load_b128 v[2:5], off, off offset:544
	scratch_load_b128 v[6:9], off, off offset:560
	;; [unrolled: 1-line block ×8, first 2 shown]
	ds_load_b128 v[34:37], v1 offset:1216
	ds_load_b128 v[42:45], v1 offset:1232
	s_clause 0x1
	scratch_load_b128 v[38:41], off, off offset:672
	scratch_load_b128 v[133:136], off, off offset:688
	s_mov_b32 s0, exec_lo
	s_wait_loadcnt_dscnt 0x901
	v_mul_f64_e32 v[137:138], v[36:37], v[4:5]
	v_mul_f64_e32 v[4:5], v[34:35], v[4:5]
	s_wait_loadcnt_dscnt 0x800
	v_mul_f64_e32 v[139:140], v[42:43], v[8:9]
	v_mul_f64_e32 v[8:9], v[44:45], v[8:9]
	s_delay_alu instid0(VALU_DEP_4) | instskip(NEXT) | instid1(VALU_DEP_4)
	v_fma_f64 v[34:35], v[34:35], v[2:3], -v[137:138]
	v_fma_f64 v[36:37], v[36:37], v[2:3], v[4:5]
	ds_load_b128 v[2:5], v1 offset:1248
	v_fma_f64 v[44:45], v[44:45], v[6:7], v[139:140]
	v_fma_f64 v[42:43], v[42:43], v[6:7], -v[8:9]
	ds_load_b128 v[6:9], v1 offset:1264
	s_wait_loadcnt_dscnt 0x701
	v_mul_f64_e32 v[137:138], v[2:3], v[12:13]
	v_mul_f64_e32 v[12:13], v[4:5], v[12:13]
	s_wait_loadcnt_dscnt 0x600
	v_mul_f64_e32 v[139:140], v[6:7], v[16:17]
	v_mul_f64_e32 v[16:17], v[8:9], v[16:17]
	v_add_f64_e32 v[34:35], 0, v[34:35]
	v_add_f64_e32 v[36:37], 0, v[36:37]
	v_fma_f64 v[137:138], v[4:5], v[10:11], v[137:138]
	v_fma_f64 v[141:142], v[2:3], v[10:11], -v[12:13]
	ds_load_b128 v[2:5], v1 offset:1280
	scratch_load_b128 v[10:13], off, off offset:528
	v_add_f64_e32 v[34:35], v[34:35], v[42:43]
	v_add_f64_e32 v[36:37], v[36:37], v[44:45]
	v_fma_f64 v[44:45], v[8:9], v[14:15], v[139:140]
	v_fma_f64 v[14:15], v[6:7], v[14:15], -v[16:17]
	ds_load_b128 v[6:9], v1 offset:1296
	s_wait_loadcnt_dscnt 0x601
	v_mul_f64_e32 v[42:43], v[2:3], v[20:21]
	v_mul_f64_e32 v[20:21], v[4:5], v[20:21]
	v_add_f64_e32 v[16:17], v[34:35], v[141:142]
	v_add_f64_e32 v[34:35], v[36:37], v[137:138]
	s_wait_loadcnt_dscnt 0x500
	v_mul_f64_e32 v[36:37], v[6:7], v[24:25]
	v_mul_f64_e32 v[24:25], v[8:9], v[24:25]
	v_fma_f64 v[42:43], v[4:5], v[18:19], v[42:43]
	v_fma_f64 v[18:19], v[2:3], v[18:19], -v[20:21]
	ds_load_b128 v[2:5], v1 offset:1312
	v_add_f64_e32 v[14:15], v[16:17], v[14:15]
	v_add_f64_e32 v[16:17], v[34:35], v[44:45]
	v_fma_f64 v[34:35], v[8:9], v[22:23], v[36:37]
	v_fma_f64 v[22:23], v[6:7], v[22:23], -v[24:25]
	ds_load_b128 v[6:9], v1 offset:1328
	s_wait_loadcnt_dscnt 0x401
	v_mul_f64_e32 v[20:21], v[2:3], v[28:29]
	v_mul_f64_e32 v[28:29], v[4:5], v[28:29]
	s_wait_loadcnt_dscnt 0x300
	v_mul_f64_e32 v[24:25], v[8:9], v[32:33]
	v_add_f64_e32 v[14:15], v[14:15], v[18:19]
	v_add_f64_e32 v[16:17], v[16:17], v[42:43]
	v_mul_f64_e32 v[18:19], v[6:7], v[32:33]
	v_fma_f64 v[20:21], v[4:5], v[26:27], v[20:21]
	v_fma_f64 v[26:27], v[2:3], v[26:27], -v[28:29]
	ds_load_b128 v[2:5], v1 offset:1344
	v_fma_f64 v[24:25], v[6:7], v[30:31], -v[24:25]
	v_add_f64_e32 v[14:15], v[14:15], v[22:23]
	v_add_f64_e32 v[16:17], v[16:17], v[34:35]
	v_fma_f64 v[18:19], v[8:9], v[30:31], v[18:19]
	ds_load_b128 v[6:9], v1 offset:1360
	s_wait_loadcnt_dscnt 0x201
	v_mul_f64_e32 v[22:23], v[2:3], v[40:41]
	v_mul_f64_e32 v[28:29], v[4:5], v[40:41]
	v_add_f64_e32 v[14:15], v[14:15], v[26:27]
	v_add_f64_e32 v[16:17], v[16:17], v[20:21]
	s_wait_loadcnt_dscnt 0x100
	v_mul_f64_e32 v[20:21], v[6:7], v[135:136]
	v_mul_f64_e32 v[26:27], v[8:9], v[135:136]
	v_fma_f64 v[4:5], v[4:5], v[38:39], v[22:23]
	v_fma_f64 v[1:2], v[2:3], v[38:39], -v[28:29]
	v_add_f64_e32 v[14:15], v[14:15], v[24:25]
	v_add_f64_e32 v[16:17], v[16:17], v[18:19]
	v_fma_f64 v[8:9], v[8:9], v[133:134], v[20:21]
	v_fma_f64 v[6:7], v[6:7], v[133:134], -v[26:27]
	s_delay_alu instid0(VALU_DEP_4) | instskip(NEXT) | instid1(VALU_DEP_4)
	v_add_f64_e32 v[1:2], v[14:15], v[1:2]
	v_add_f64_e32 v[3:4], v[16:17], v[4:5]
	s_delay_alu instid0(VALU_DEP_2) | instskip(NEXT) | instid1(VALU_DEP_2)
	v_add_f64_e32 v[1:2], v[1:2], v[6:7]
	v_add_f64_e32 v[3:4], v[3:4], v[8:9]
	s_wait_loadcnt 0x0
	s_delay_alu instid0(VALU_DEP_2) | instskip(NEXT) | instid1(VALU_DEP_2)
	v_add_f64_e64 v[1:2], v[10:11], -v[1:2]
	v_add_f64_e64 v[3:4], v[12:13], -v[3:4]
	scratch_store_b128 off, v[1:4], off offset:528
	v_cmpx_lt_u32_e32 31, v0
	s_cbranch_execz .LBB106_209
; %bb.208:
	scratch_load_b128 v[1:4], off, s44
	v_mov_b32_e32 v5, 0
	s_delay_alu instid0(VALU_DEP_1)
	v_dual_mov_b32 v6, v5 :: v_dual_mov_b32 v7, v5
	v_mov_b32_e32 v8, v5
	scratch_store_b128 off, v[5:8], off offset:512
	s_wait_loadcnt 0x0
	ds_store_b128 v132, v[1:4]
.LBB106_209:
	s_wait_alu 0xfffe
	s_or_b32 exec_lo, exec_lo, s0
	s_wait_storecnt_dscnt 0x0
	s_barrier_signal -1
	s_barrier_wait -1
	global_inv scope:SCOPE_SE
	s_clause 0x7
	scratch_load_b128 v[2:5], off, off offset:528
	scratch_load_b128 v[6:9], off, off offset:544
	;; [unrolled: 1-line block ×8, first 2 shown]
	v_mov_b32_e32 v1, 0
	s_clause 0x1
	scratch_load_b128 v[38:41], off, off offset:656
	scratch_load_b128 v[133:136], off, off offset:672
	s_mov_b32 s0, exec_lo
	ds_load_b128 v[34:37], v1 offset:1200
	ds_load_b128 v[42:45], v1 offset:1216
	s_wait_loadcnt_dscnt 0x901
	v_mul_f64_e32 v[137:138], v[36:37], v[4:5]
	v_mul_f64_e32 v[4:5], v[34:35], v[4:5]
	s_wait_loadcnt_dscnt 0x800
	v_mul_f64_e32 v[139:140], v[42:43], v[8:9]
	v_mul_f64_e32 v[8:9], v[44:45], v[8:9]
	s_delay_alu instid0(VALU_DEP_4) | instskip(NEXT) | instid1(VALU_DEP_4)
	v_fma_f64 v[137:138], v[34:35], v[2:3], -v[137:138]
	v_fma_f64 v[141:142], v[36:37], v[2:3], v[4:5]
	ds_load_b128 v[2:5], v1 offset:1232
	scratch_load_b128 v[34:37], off, off offset:688
	v_fma_f64 v[44:45], v[44:45], v[6:7], v[139:140]
	v_fma_f64 v[42:43], v[42:43], v[6:7], -v[8:9]
	ds_load_b128 v[6:9], v1 offset:1248
	s_wait_loadcnt_dscnt 0x801
	v_mul_f64_e32 v[143:144], v[2:3], v[12:13]
	v_mul_f64_e32 v[12:13], v[4:5], v[12:13]
	v_add_f64_e32 v[137:138], 0, v[137:138]
	v_add_f64_e32 v[139:140], 0, v[141:142]
	s_wait_loadcnt_dscnt 0x700
	v_mul_f64_e32 v[141:142], v[6:7], v[16:17]
	v_mul_f64_e32 v[16:17], v[8:9], v[16:17]
	v_fma_f64 v[143:144], v[4:5], v[10:11], v[143:144]
	v_fma_f64 v[10:11], v[2:3], v[10:11], -v[12:13]
	ds_load_b128 v[2:5], v1 offset:1264
	v_add_f64_e32 v[12:13], v[137:138], v[42:43]
	v_add_f64_e32 v[42:43], v[139:140], v[44:45]
	v_fma_f64 v[137:138], v[8:9], v[14:15], v[141:142]
	v_fma_f64 v[14:15], v[6:7], v[14:15], -v[16:17]
	ds_load_b128 v[6:9], v1 offset:1280
	s_wait_loadcnt_dscnt 0x601
	v_mul_f64_e32 v[44:45], v[2:3], v[20:21]
	v_mul_f64_e32 v[20:21], v[4:5], v[20:21]
	s_wait_loadcnt_dscnt 0x500
	v_mul_f64_e32 v[139:140], v[6:7], v[24:25]
	v_mul_f64_e32 v[24:25], v[8:9], v[24:25]
	v_add_f64_e32 v[16:17], v[12:13], v[10:11]
	v_add_f64_e32 v[42:43], v[42:43], v[143:144]
	scratch_load_b128 v[10:13], off, off offset:512
	v_fma_f64 v[44:45], v[4:5], v[18:19], v[44:45]
	v_fma_f64 v[18:19], v[2:3], v[18:19], -v[20:21]
	ds_load_b128 v[2:5], v1 offset:1296
	v_add_f64_e32 v[14:15], v[16:17], v[14:15]
	v_add_f64_e32 v[16:17], v[42:43], v[137:138]
	v_fma_f64 v[42:43], v[8:9], v[22:23], v[139:140]
	v_fma_f64 v[22:23], v[6:7], v[22:23], -v[24:25]
	ds_load_b128 v[6:9], v1 offset:1312
	s_wait_loadcnt_dscnt 0x501
	v_mul_f64_e32 v[20:21], v[2:3], v[28:29]
	v_mul_f64_e32 v[28:29], v[4:5], v[28:29]
	s_wait_loadcnt_dscnt 0x400
	v_mul_f64_e32 v[24:25], v[8:9], v[32:33]
	v_add_f64_e32 v[14:15], v[14:15], v[18:19]
	v_add_f64_e32 v[16:17], v[16:17], v[44:45]
	v_mul_f64_e32 v[18:19], v[6:7], v[32:33]
	v_fma_f64 v[20:21], v[4:5], v[26:27], v[20:21]
	v_fma_f64 v[26:27], v[2:3], v[26:27], -v[28:29]
	ds_load_b128 v[2:5], v1 offset:1328
	v_fma_f64 v[24:25], v[6:7], v[30:31], -v[24:25]
	v_add_f64_e32 v[14:15], v[14:15], v[22:23]
	v_add_f64_e32 v[16:17], v[16:17], v[42:43]
	v_fma_f64 v[18:19], v[8:9], v[30:31], v[18:19]
	ds_load_b128 v[6:9], v1 offset:1344
	s_wait_loadcnt_dscnt 0x301
	v_mul_f64_e32 v[22:23], v[2:3], v[40:41]
	v_mul_f64_e32 v[28:29], v[4:5], v[40:41]
	v_add_f64_e32 v[14:15], v[14:15], v[26:27]
	v_add_f64_e32 v[16:17], v[16:17], v[20:21]
	s_wait_loadcnt_dscnt 0x200
	v_mul_f64_e32 v[20:21], v[6:7], v[135:136]
	v_mul_f64_e32 v[26:27], v[8:9], v[135:136]
	v_fma_f64 v[22:23], v[4:5], v[38:39], v[22:23]
	v_fma_f64 v[28:29], v[2:3], v[38:39], -v[28:29]
	ds_load_b128 v[2:5], v1 offset:1360
	v_add_f64_e32 v[14:15], v[14:15], v[24:25]
	v_add_f64_e32 v[16:17], v[16:17], v[18:19]
	v_fma_f64 v[8:9], v[8:9], v[133:134], v[20:21]
	v_fma_f64 v[6:7], v[6:7], v[133:134], -v[26:27]
	s_wait_loadcnt_dscnt 0x100
	v_mul_f64_e32 v[18:19], v[2:3], v[36:37]
	v_mul_f64_e32 v[24:25], v[4:5], v[36:37]
	v_add_f64_e32 v[14:15], v[14:15], v[28:29]
	v_add_f64_e32 v[16:17], v[16:17], v[22:23]
	s_delay_alu instid0(VALU_DEP_4) | instskip(NEXT) | instid1(VALU_DEP_4)
	v_fma_f64 v[4:5], v[4:5], v[34:35], v[18:19]
	v_fma_f64 v[2:3], v[2:3], v[34:35], -v[24:25]
	s_delay_alu instid0(VALU_DEP_4) | instskip(NEXT) | instid1(VALU_DEP_4)
	v_add_f64_e32 v[6:7], v[14:15], v[6:7]
	v_add_f64_e32 v[8:9], v[16:17], v[8:9]
	s_delay_alu instid0(VALU_DEP_2) | instskip(NEXT) | instid1(VALU_DEP_2)
	v_add_f64_e32 v[2:3], v[6:7], v[2:3]
	v_add_f64_e32 v[4:5], v[8:9], v[4:5]
	s_wait_loadcnt 0x0
	s_delay_alu instid0(VALU_DEP_2) | instskip(NEXT) | instid1(VALU_DEP_2)
	v_add_f64_e64 v[2:3], v[10:11], -v[2:3]
	v_add_f64_e64 v[4:5], v[12:13], -v[4:5]
	scratch_store_b128 off, v[2:5], off offset:512
	v_cmpx_lt_u32_e32 30, v0
	s_cbranch_execz .LBB106_211
; %bb.210:
	scratch_load_b128 v[5:8], off, s22
	v_dual_mov_b32 v2, v1 :: v_dual_mov_b32 v3, v1
	v_mov_b32_e32 v4, v1
	scratch_store_b128 off, v[1:4], off offset:496
	s_wait_loadcnt 0x0
	ds_store_b128 v132, v[5:8]
.LBB106_211:
	s_wait_alu 0xfffe
	s_or_b32 exec_lo, exec_lo, s0
	s_wait_storecnt_dscnt 0x0
	s_barrier_signal -1
	s_barrier_wait -1
	global_inv scope:SCOPE_SE
	s_clause 0x8
	scratch_load_b128 v[2:5], off, off offset:512
	scratch_load_b128 v[6:9], off, off offset:528
	;; [unrolled: 1-line block ×9, first 2 shown]
	ds_load_b128 v[38:41], v1 offset:1184
	ds_load_b128 v[42:45], v1 offset:1200
	s_clause 0x1
	scratch_load_b128 v[133:136], off, off offset:496
	scratch_load_b128 v[137:140], off, off offset:656
	s_mov_b32 s0, exec_lo
	s_wait_loadcnt_dscnt 0xa01
	v_mul_f64_e32 v[141:142], v[40:41], v[4:5]
	v_mul_f64_e32 v[4:5], v[38:39], v[4:5]
	s_wait_loadcnt_dscnt 0x900
	v_mul_f64_e32 v[145:146], v[42:43], v[8:9]
	v_mul_f64_e32 v[8:9], v[44:45], v[8:9]
	s_delay_alu instid0(VALU_DEP_4) | instskip(NEXT) | instid1(VALU_DEP_4)
	v_fma_f64 v[147:148], v[38:39], v[2:3], -v[141:142]
	v_fma_f64 v[149:150], v[40:41], v[2:3], v[4:5]
	ds_load_b128 v[2:5], v1 offset:1216
	ds_load_b128 v[141:144], v1 offset:1232
	scratch_load_b128 v[38:41], off, off offset:672
	v_fma_f64 v[44:45], v[44:45], v[6:7], v[145:146]
	v_fma_f64 v[42:43], v[42:43], v[6:7], -v[8:9]
	scratch_load_b128 v[6:9], off, off offset:688
	s_wait_loadcnt_dscnt 0xa01
	v_mul_f64_e32 v[151:152], v[2:3], v[12:13]
	v_mul_f64_e32 v[12:13], v[4:5], v[12:13]
	v_add_f64_e32 v[145:146], 0, v[147:148]
	v_add_f64_e32 v[147:148], 0, v[149:150]
	s_wait_loadcnt_dscnt 0x900
	v_mul_f64_e32 v[149:150], v[141:142], v[16:17]
	v_mul_f64_e32 v[16:17], v[143:144], v[16:17]
	v_fma_f64 v[151:152], v[4:5], v[10:11], v[151:152]
	v_fma_f64 v[153:154], v[2:3], v[10:11], -v[12:13]
	ds_load_b128 v[2:5], v1 offset:1248
	ds_load_b128 v[10:13], v1 offset:1264
	v_add_f64_e32 v[42:43], v[145:146], v[42:43]
	v_add_f64_e32 v[44:45], v[147:148], v[44:45]
	v_fma_f64 v[143:144], v[143:144], v[14:15], v[149:150]
	v_fma_f64 v[14:15], v[141:142], v[14:15], -v[16:17]
	s_wait_loadcnt_dscnt 0x801
	v_mul_f64_e32 v[145:146], v[2:3], v[20:21]
	v_mul_f64_e32 v[20:21], v[4:5], v[20:21]
	v_add_f64_e32 v[16:17], v[42:43], v[153:154]
	v_add_f64_e32 v[42:43], v[44:45], v[151:152]
	s_wait_loadcnt_dscnt 0x700
	v_mul_f64_e32 v[44:45], v[10:11], v[24:25]
	v_mul_f64_e32 v[24:25], v[12:13], v[24:25]
	v_fma_f64 v[141:142], v[4:5], v[18:19], v[145:146]
	v_fma_f64 v[18:19], v[2:3], v[18:19], -v[20:21]
	v_add_f64_e32 v[20:21], v[16:17], v[14:15]
	v_add_f64_e32 v[42:43], v[42:43], v[143:144]
	ds_load_b128 v[2:5], v1 offset:1280
	ds_load_b128 v[14:17], v1 offset:1296
	v_fma_f64 v[12:13], v[12:13], v[22:23], v[44:45]
	v_fma_f64 v[10:11], v[10:11], v[22:23], -v[24:25]
	s_wait_loadcnt_dscnt 0x601
	v_mul_f64_e32 v[143:144], v[2:3], v[28:29]
	v_mul_f64_e32 v[28:29], v[4:5], v[28:29]
	s_wait_loadcnt_dscnt 0x500
	v_mul_f64_e32 v[22:23], v[14:15], v[32:33]
	v_mul_f64_e32 v[24:25], v[16:17], v[32:33]
	v_add_f64_e32 v[18:19], v[20:21], v[18:19]
	v_add_f64_e32 v[20:21], v[42:43], v[141:142]
	v_fma_f64 v[32:33], v[4:5], v[26:27], v[143:144]
	v_fma_f64 v[26:27], v[2:3], v[26:27], -v[28:29]
	v_fma_f64 v[16:17], v[16:17], v[30:31], v[22:23]
	v_fma_f64 v[14:15], v[14:15], v[30:31], -v[24:25]
	v_add_f64_e32 v[18:19], v[18:19], v[10:11]
	v_add_f64_e32 v[20:21], v[20:21], v[12:13]
	ds_load_b128 v[2:5], v1 offset:1312
	ds_load_b128 v[10:13], v1 offset:1328
	s_wait_loadcnt_dscnt 0x401
	v_mul_f64_e32 v[28:29], v[2:3], v[36:37]
	v_mul_f64_e32 v[36:37], v[4:5], v[36:37]
	s_wait_loadcnt_dscnt 0x200
	v_mul_f64_e32 v[22:23], v[10:11], v[139:140]
	v_mul_f64_e32 v[24:25], v[12:13], v[139:140]
	v_add_f64_e32 v[18:19], v[18:19], v[26:27]
	v_add_f64_e32 v[20:21], v[20:21], v[32:33]
	v_fma_f64 v[26:27], v[4:5], v[34:35], v[28:29]
	v_fma_f64 v[28:29], v[2:3], v[34:35], -v[36:37]
	v_fma_f64 v[12:13], v[12:13], v[137:138], v[22:23]
	v_fma_f64 v[10:11], v[10:11], v[137:138], -v[24:25]
	v_add_f64_e32 v[18:19], v[18:19], v[14:15]
	v_add_f64_e32 v[20:21], v[20:21], v[16:17]
	ds_load_b128 v[2:5], v1 offset:1344
	ds_load_b128 v[14:17], v1 offset:1360
	s_wait_loadcnt_dscnt 0x101
	v_mul_f64_e32 v[30:31], v[2:3], v[40:41]
	v_mul_f64_e32 v[32:33], v[4:5], v[40:41]
	s_wait_loadcnt_dscnt 0x0
	v_mul_f64_e32 v[22:23], v[14:15], v[8:9]
	v_mul_f64_e32 v[8:9], v[16:17], v[8:9]
	v_add_f64_e32 v[18:19], v[18:19], v[28:29]
	v_add_f64_e32 v[20:21], v[20:21], v[26:27]
	v_fma_f64 v[4:5], v[4:5], v[38:39], v[30:31]
	v_fma_f64 v[1:2], v[2:3], v[38:39], -v[32:33]
	v_fma_f64 v[16:17], v[16:17], v[6:7], v[22:23]
	v_fma_f64 v[6:7], v[14:15], v[6:7], -v[8:9]
	v_add_f64_e32 v[10:11], v[18:19], v[10:11]
	v_add_f64_e32 v[12:13], v[20:21], v[12:13]
	s_delay_alu instid0(VALU_DEP_2) | instskip(NEXT) | instid1(VALU_DEP_2)
	v_add_f64_e32 v[1:2], v[10:11], v[1:2]
	v_add_f64_e32 v[3:4], v[12:13], v[4:5]
	s_delay_alu instid0(VALU_DEP_2) | instskip(NEXT) | instid1(VALU_DEP_2)
	;; [unrolled: 3-line block ×3, first 2 shown]
	v_add_f64_e64 v[1:2], v[133:134], -v[1:2]
	v_add_f64_e64 v[3:4], v[135:136], -v[3:4]
	scratch_store_b128 off, v[1:4], off offset:496
	v_cmpx_lt_u32_e32 29, v0
	s_cbranch_execz .LBB106_213
; %bb.212:
	scratch_load_b128 v[1:4], off, s43
	v_mov_b32_e32 v5, 0
	s_delay_alu instid0(VALU_DEP_1)
	v_dual_mov_b32 v6, v5 :: v_dual_mov_b32 v7, v5
	v_mov_b32_e32 v8, v5
	scratch_store_b128 off, v[5:8], off offset:480
	s_wait_loadcnt 0x0
	ds_store_b128 v132, v[1:4]
.LBB106_213:
	s_wait_alu 0xfffe
	s_or_b32 exec_lo, exec_lo, s0
	s_wait_storecnt_dscnt 0x0
	s_barrier_signal -1
	s_barrier_wait -1
	global_inv scope:SCOPE_SE
	s_clause 0x7
	scratch_load_b128 v[2:5], off, off offset:496
	scratch_load_b128 v[6:9], off, off offset:512
	;; [unrolled: 1-line block ×8, first 2 shown]
	v_mov_b32_e32 v1, 0
	s_mov_b32 s0, exec_lo
	ds_load_b128 v[34:37], v1 offset:1168
	s_clause 0x1
	scratch_load_b128 v[38:41], off, off offset:624
	scratch_load_b128 v[42:45], off, off offset:480
	ds_load_b128 v[133:136], v1 offset:1184
	scratch_load_b128 v[137:140], off, off offset:640
	s_wait_loadcnt_dscnt 0xa01
	v_mul_f64_e32 v[141:142], v[36:37], v[4:5]
	v_mul_f64_e32 v[4:5], v[34:35], v[4:5]
	s_delay_alu instid0(VALU_DEP_2) | instskip(NEXT) | instid1(VALU_DEP_2)
	v_fma_f64 v[147:148], v[34:35], v[2:3], -v[141:142]
	v_fma_f64 v[149:150], v[36:37], v[2:3], v[4:5]
	ds_load_b128 v[2:5], v1 offset:1200
	s_wait_loadcnt_dscnt 0x901
	v_mul_f64_e32 v[145:146], v[133:134], v[8:9]
	v_mul_f64_e32 v[8:9], v[135:136], v[8:9]
	scratch_load_b128 v[34:37], off, off offset:656
	ds_load_b128 v[141:144], v1 offset:1216
	s_wait_loadcnt_dscnt 0x901
	v_mul_f64_e32 v[151:152], v[2:3], v[12:13]
	v_mul_f64_e32 v[12:13], v[4:5], v[12:13]
	v_fma_f64 v[135:136], v[135:136], v[6:7], v[145:146]
	v_fma_f64 v[133:134], v[133:134], v[6:7], -v[8:9]
	v_add_f64_e32 v[145:146], 0, v[147:148]
	v_add_f64_e32 v[147:148], 0, v[149:150]
	scratch_load_b128 v[6:9], off, off offset:672
	v_fma_f64 v[151:152], v[4:5], v[10:11], v[151:152]
	v_fma_f64 v[153:154], v[2:3], v[10:11], -v[12:13]
	ds_load_b128 v[2:5], v1 offset:1232
	s_wait_loadcnt_dscnt 0x901
	v_mul_f64_e32 v[149:150], v[141:142], v[16:17]
	v_mul_f64_e32 v[16:17], v[143:144], v[16:17]
	scratch_load_b128 v[10:13], off, off offset:688
	v_add_f64_e32 v[145:146], v[145:146], v[133:134]
	v_add_f64_e32 v[147:148], v[147:148], v[135:136]
	s_wait_loadcnt_dscnt 0x900
	v_mul_f64_e32 v[155:156], v[2:3], v[20:21]
	v_mul_f64_e32 v[20:21], v[4:5], v[20:21]
	ds_load_b128 v[133:136], v1 offset:1248
	v_fma_f64 v[143:144], v[143:144], v[14:15], v[149:150]
	v_fma_f64 v[14:15], v[141:142], v[14:15], -v[16:17]
	v_add_f64_e32 v[16:17], v[145:146], v[153:154]
	v_add_f64_e32 v[141:142], v[147:148], v[151:152]
	s_wait_loadcnt_dscnt 0x800
	v_mul_f64_e32 v[145:146], v[133:134], v[24:25]
	v_mul_f64_e32 v[24:25], v[135:136], v[24:25]
	v_fma_f64 v[147:148], v[4:5], v[18:19], v[155:156]
	v_fma_f64 v[18:19], v[2:3], v[18:19], -v[20:21]
	v_add_f64_e32 v[20:21], v[16:17], v[14:15]
	v_add_f64_e32 v[141:142], v[141:142], v[143:144]
	ds_load_b128 v[2:5], v1 offset:1264
	ds_load_b128 v[14:17], v1 offset:1280
	v_fma_f64 v[135:136], v[135:136], v[22:23], v[145:146]
	v_fma_f64 v[22:23], v[133:134], v[22:23], -v[24:25]
	s_wait_loadcnt_dscnt 0x701
	v_mul_f64_e32 v[143:144], v[2:3], v[28:29]
	v_mul_f64_e32 v[28:29], v[4:5], v[28:29]
	s_wait_loadcnt_dscnt 0x600
	v_mul_f64_e32 v[24:25], v[14:15], v[32:33]
	v_mul_f64_e32 v[32:33], v[16:17], v[32:33]
	v_add_f64_e32 v[18:19], v[20:21], v[18:19]
	v_add_f64_e32 v[20:21], v[141:142], v[147:148]
	v_fma_f64 v[133:134], v[4:5], v[26:27], v[143:144]
	v_fma_f64 v[26:27], v[2:3], v[26:27], -v[28:29]
	v_fma_f64 v[16:17], v[16:17], v[30:31], v[24:25]
	v_fma_f64 v[14:15], v[14:15], v[30:31], -v[32:33]
	v_add_f64_e32 v[22:23], v[18:19], v[22:23]
	v_add_f64_e32 v[28:29], v[20:21], v[135:136]
	ds_load_b128 v[2:5], v1 offset:1296
	ds_load_b128 v[18:21], v1 offset:1312
	s_wait_loadcnt_dscnt 0x501
	v_mul_f64_e32 v[135:136], v[2:3], v[40:41]
	v_mul_f64_e32 v[40:41], v[4:5], v[40:41]
	v_add_f64_e32 v[22:23], v[22:23], v[26:27]
	v_add_f64_e32 v[24:25], v[28:29], v[133:134]
	s_wait_loadcnt_dscnt 0x300
	v_mul_f64_e32 v[26:27], v[18:19], v[139:140]
	v_mul_f64_e32 v[28:29], v[20:21], v[139:140]
	v_fma_f64 v[30:31], v[4:5], v[38:39], v[135:136]
	v_fma_f64 v[32:33], v[2:3], v[38:39], -v[40:41]
	v_add_f64_e32 v[22:23], v[22:23], v[14:15]
	v_add_f64_e32 v[24:25], v[24:25], v[16:17]
	ds_load_b128 v[2:5], v1 offset:1328
	ds_load_b128 v[14:17], v1 offset:1344
	v_fma_f64 v[20:21], v[20:21], v[137:138], v[26:27]
	v_fma_f64 v[18:19], v[18:19], v[137:138], -v[28:29]
	s_wait_loadcnt_dscnt 0x201
	v_mul_f64_e32 v[38:39], v[2:3], v[36:37]
	v_mul_f64_e32 v[36:37], v[4:5], v[36:37]
	v_add_f64_e32 v[22:23], v[22:23], v[32:33]
	v_add_f64_e32 v[24:25], v[24:25], v[30:31]
	s_wait_loadcnt_dscnt 0x100
	v_mul_f64_e32 v[26:27], v[14:15], v[8:9]
	v_mul_f64_e32 v[8:9], v[16:17], v[8:9]
	v_fma_f64 v[28:29], v[4:5], v[34:35], v[38:39]
	v_fma_f64 v[30:31], v[2:3], v[34:35], -v[36:37]
	ds_load_b128 v[2:5], v1 offset:1360
	v_add_f64_e32 v[18:19], v[22:23], v[18:19]
	v_add_f64_e32 v[20:21], v[24:25], v[20:21]
	s_wait_loadcnt_dscnt 0x0
	v_mul_f64_e32 v[22:23], v[2:3], v[12:13]
	v_mul_f64_e32 v[12:13], v[4:5], v[12:13]
	v_fma_f64 v[16:17], v[16:17], v[6:7], v[26:27]
	v_fma_f64 v[6:7], v[14:15], v[6:7], -v[8:9]
	v_add_f64_e32 v[8:9], v[18:19], v[30:31]
	v_add_f64_e32 v[14:15], v[20:21], v[28:29]
	v_fma_f64 v[4:5], v[4:5], v[10:11], v[22:23]
	v_fma_f64 v[2:3], v[2:3], v[10:11], -v[12:13]
	s_delay_alu instid0(VALU_DEP_4) | instskip(NEXT) | instid1(VALU_DEP_4)
	v_add_f64_e32 v[6:7], v[8:9], v[6:7]
	v_add_f64_e32 v[8:9], v[14:15], v[16:17]
	s_delay_alu instid0(VALU_DEP_2) | instskip(NEXT) | instid1(VALU_DEP_2)
	v_add_f64_e32 v[2:3], v[6:7], v[2:3]
	v_add_f64_e32 v[4:5], v[8:9], v[4:5]
	s_delay_alu instid0(VALU_DEP_2) | instskip(NEXT) | instid1(VALU_DEP_2)
	v_add_f64_e64 v[2:3], v[42:43], -v[2:3]
	v_add_f64_e64 v[4:5], v[44:45], -v[4:5]
	scratch_store_b128 off, v[2:5], off offset:480
	v_cmpx_lt_u32_e32 28, v0
	s_cbranch_execz .LBB106_215
; %bb.214:
	scratch_load_b128 v[5:8], off, s21
	v_dual_mov_b32 v2, v1 :: v_dual_mov_b32 v3, v1
	v_mov_b32_e32 v4, v1
	scratch_store_b128 off, v[1:4], off offset:464
	s_wait_loadcnt 0x0
	ds_store_b128 v132, v[5:8]
.LBB106_215:
	s_wait_alu 0xfffe
	s_or_b32 exec_lo, exec_lo, s0
	s_wait_storecnt_dscnt 0x0
	s_barrier_signal -1
	s_barrier_wait -1
	global_inv scope:SCOPE_SE
	s_clause 0x8
	scratch_load_b128 v[2:5], off, off offset:480
	scratch_load_b128 v[6:9], off, off offset:496
	scratch_load_b128 v[10:13], off, off offset:512
	scratch_load_b128 v[14:17], off, off offset:528
	scratch_load_b128 v[18:21], off, off offset:544
	scratch_load_b128 v[22:25], off, off offset:560
	scratch_load_b128 v[26:29], off, off offset:576
	scratch_load_b128 v[30:33], off, off offset:592
	scratch_load_b128 v[34:37], off, off offset:608
	ds_load_b128 v[38:41], v1 offset:1152
	ds_load_b128 v[42:45], v1 offset:1168
	s_clause 0x1
	scratch_load_b128 v[133:136], off, off offset:464
	scratch_load_b128 v[137:140], off, off offset:624
	s_mov_b32 s0, exec_lo
	s_wait_loadcnt_dscnt 0xa01
	v_mul_f64_e32 v[141:142], v[40:41], v[4:5]
	v_mul_f64_e32 v[4:5], v[38:39], v[4:5]
	s_wait_loadcnt_dscnt 0x900
	v_mul_f64_e32 v[145:146], v[42:43], v[8:9]
	v_mul_f64_e32 v[8:9], v[44:45], v[8:9]
	s_delay_alu instid0(VALU_DEP_4) | instskip(NEXT) | instid1(VALU_DEP_4)
	v_fma_f64 v[147:148], v[38:39], v[2:3], -v[141:142]
	v_fma_f64 v[149:150], v[40:41], v[2:3], v[4:5]
	ds_load_b128 v[2:5], v1 offset:1184
	ds_load_b128 v[141:144], v1 offset:1200
	scratch_load_b128 v[38:41], off, off offset:640
	v_fma_f64 v[44:45], v[44:45], v[6:7], v[145:146]
	v_fma_f64 v[42:43], v[42:43], v[6:7], -v[8:9]
	scratch_load_b128 v[6:9], off, off offset:656
	s_wait_loadcnt_dscnt 0xa01
	v_mul_f64_e32 v[151:152], v[2:3], v[12:13]
	v_mul_f64_e32 v[12:13], v[4:5], v[12:13]
	v_add_f64_e32 v[145:146], 0, v[147:148]
	v_add_f64_e32 v[147:148], 0, v[149:150]
	s_wait_loadcnt_dscnt 0x900
	v_mul_f64_e32 v[149:150], v[141:142], v[16:17]
	v_mul_f64_e32 v[16:17], v[143:144], v[16:17]
	v_fma_f64 v[151:152], v[4:5], v[10:11], v[151:152]
	v_fma_f64 v[153:154], v[2:3], v[10:11], -v[12:13]
	ds_load_b128 v[2:5], v1 offset:1216
	scratch_load_b128 v[10:13], off, off offset:672
	v_add_f64_e32 v[145:146], v[145:146], v[42:43]
	v_add_f64_e32 v[147:148], v[147:148], v[44:45]
	ds_load_b128 v[42:45], v1 offset:1232
	v_fma_f64 v[143:144], v[143:144], v[14:15], v[149:150]
	v_fma_f64 v[141:142], v[141:142], v[14:15], -v[16:17]
	scratch_load_b128 v[14:17], off, off offset:688
	s_wait_loadcnt_dscnt 0xa01
	v_mul_f64_e32 v[155:156], v[2:3], v[20:21]
	v_mul_f64_e32 v[20:21], v[4:5], v[20:21]
	s_wait_loadcnt_dscnt 0x900
	v_mul_f64_e32 v[149:150], v[42:43], v[24:25]
	v_mul_f64_e32 v[24:25], v[44:45], v[24:25]
	v_add_f64_e32 v[145:146], v[145:146], v[153:154]
	v_add_f64_e32 v[147:148], v[147:148], v[151:152]
	v_fma_f64 v[151:152], v[4:5], v[18:19], v[155:156]
	v_fma_f64 v[153:154], v[2:3], v[18:19], -v[20:21]
	ds_load_b128 v[2:5], v1 offset:1248
	ds_load_b128 v[18:21], v1 offset:1264
	v_fma_f64 v[44:45], v[44:45], v[22:23], v[149:150]
	v_fma_f64 v[22:23], v[42:43], v[22:23], -v[24:25]
	v_add_f64_e32 v[141:142], v[145:146], v[141:142]
	v_add_f64_e32 v[143:144], v[147:148], v[143:144]
	s_wait_loadcnt_dscnt 0x801
	v_mul_f64_e32 v[145:146], v[2:3], v[28:29]
	v_mul_f64_e32 v[28:29], v[4:5], v[28:29]
	s_delay_alu instid0(VALU_DEP_4) | instskip(NEXT) | instid1(VALU_DEP_4)
	v_add_f64_e32 v[24:25], v[141:142], v[153:154]
	v_add_f64_e32 v[42:43], v[143:144], v[151:152]
	s_wait_loadcnt_dscnt 0x700
	v_mul_f64_e32 v[141:142], v[18:19], v[32:33]
	v_mul_f64_e32 v[32:33], v[20:21], v[32:33]
	v_fma_f64 v[143:144], v[4:5], v[26:27], v[145:146]
	v_fma_f64 v[26:27], v[2:3], v[26:27], -v[28:29]
	v_add_f64_e32 v[28:29], v[24:25], v[22:23]
	v_add_f64_e32 v[42:43], v[42:43], v[44:45]
	ds_load_b128 v[2:5], v1 offset:1280
	ds_load_b128 v[22:25], v1 offset:1296
	v_fma_f64 v[20:21], v[20:21], v[30:31], v[141:142]
	v_fma_f64 v[18:19], v[18:19], v[30:31], -v[32:33]
	s_wait_loadcnt_dscnt 0x601
	v_mul_f64_e32 v[44:45], v[2:3], v[36:37]
	v_mul_f64_e32 v[36:37], v[4:5], v[36:37]
	s_wait_loadcnt_dscnt 0x400
	v_mul_f64_e32 v[30:31], v[22:23], v[139:140]
	v_mul_f64_e32 v[32:33], v[24:25], v[139:140]
	v_add_f64_e32 v[26:27], v[28:29], v[26:27]
	v_add_f64_e32 v[28:29], v[42:43], v[143:144]
	v_fma_f64 v[42:43], v[4:5], v[34:35], v[44:45]
	v_fma_f64 v[34:35], v[2:3], v[34:35], -v[36:37]
	v_fma_f64 v[24:25], v[24:25], v[137:138], v[30:31]
	v_fma_f64 v[22:23], v[22:23], v[137:138], -v[32:33]
	v_add_f64_e32 v[26:27], v[26:27], v[18:19]
	v_add_f64_e32 v[28:29], v[28:29], v[20:21]
	ds_load_b128 v[2:5], v1 offset:1312
	ds_load_b128 v[18:21], v1 offset:1328
	s_wait_loadcnt_dscnt 0x301
	v_mul_f64_e32 v[36:37], v[2:3], v[40:41]
	v_mul_f64_e32 v[40:41], v[4:5], v[40:41]
	s_wait_loadcnt_dscnt 0x200
	v_mul_f64_e32 v[30:31], v[18:19], v[8:9]
	v_mul_f64_e32 v[8:9], v[20:21], v[8:9]
	v_add_f64_e32 v[26:27], v[26:27], v[34:35]
	v_add_f64_e32 v[28:29], v[28:29], v[42:43]
	v_fma_f64 v[32:33], v[4:5], v[38:39], v[36:37]
	v_fma_f64 v[34:35], v[2:3], v[38:39], -v[40:41]
	v_fma_f64 v[20:21], v[20:21], v[6:7], v[30:31]
	v_fma_f64 v[6:7], v[18:19], v[6:7], -v[8:9]
	v_add_f64_e32 v[26:27], v[26:27], v[22:23]
	v_add_f64_e32 v[28:29], v[28:29], v[24:25]
	ds_load_b128 v[2:5], v1 offset:1344
	ds_load_b128 v[22:25], v1 offset:1360
	s_wait_loadcnt_dscnt 0x101
	v_mul_f64_e32 v[36:37], v[2:3], v[12:13]
	v_mul_f64_e32 v[12:13], v[4:5], v[12:13]
	v_add_f64_e32 v[8:9], v[26:27], v[34:35]
	v_add_f64_e32 v[18:19], v[28:29], v[32:33]
	s_wait_loadcnt_dscnt 0x0
	v_mul_f64_e32 v[26:27], v[22:23], v[16:17]
	v_mul_f64_e32 v[16:17], v[24:25], v[16:17]
	v_fma_f64 v[4:5], v[4:5], v[10:11], v[36:37]
	v_fma_f64 v[1:2], v[2:3], v[10:11], -v[12:13]
	v_add_f64_e32 v[6:7], v[8:9], v[6:7]
	v_add_f64_e32 v[8:9], v[18:19], v[20:21]
	v_fma_f64 v[10:11], v[24:25], v[14:15], v[26:27]
	v_fma_f64 v[12:13], v[22:23], v[14:15], -v[16:17]
	s_delay_alu instid0(VALU_DEP_4) | instskip(NEXT) | instid1(VALU_DEP_4)
	v_add_f64_e32 v[1:2], v[6:7], v[1:2]
	v_add_f64_e32 v[3:4], v[8:9], v[4:5]
	s_delay_alu instid0(VALU_DEP_2) | instskip(NEXT) | instid1(VALU_DEP_2)
	v_add_f64_e32 v[1:2], v[1:2], v[12:13]
	v_add_f64_e32 v[3:4], v[3:4], v[10:11]
	s_delay_alu instid0(VALU_DEP_2) | instskip(NEXT) | instid1(VALU_DEP_2)
	v_add_f64_e64 v[1:2], v[133:134], -v[1:2]
	v_add_f64_e64 v[3:4], v[135:136], -v[3:4]
	scratch_store_b128 off, v[1:4], off offset:464
	v_cmpx_lt_u32_e32 27, v0
	s_cbranch_execz .LBB106_217
; %bb.216:
	scratch_load_b128 v[1:4], off, s42
	v_mov_b32_e32 v5, 0
	s_delay_alu instid0(VALU_DEP_1)
	v_dual_mov_b32 v6, v5 :: v_dual_mov_b32 v7, v5
	v_mov_b32_e32 v8, v5
	scratch_store_b128 off, v[5:8], off offset:448
	s_wait_loadcnt 0x0
	ds_store_b128 v132, v[1:4]
.LBB106_217:
	s_wait_alu 0xfffe
	s_or_b32 exec_lo, exec_lo, s0
	s_wait_storecnt_dscnt 0x0
	s_barrier_signal -1
	s_barrier_wait -1
	global_inv scope:SCOPE_SE
	s_clause 0x7
	scratch_load_b128 v[2:5], off, off offset:464
	scratch_load_b128 v[6:9], off, off offset:480
	;; [unrolled: 1-line block ×8, first 2 shown]
	v_mov_b32_e32 v1, 0
	s_mov_b32 s0, exec_lo
	ds_load_b128 v[34:37], v1 offset:1136
	s_clause 0x1
	scratch_load_b128 v[38:41], off, off offset:592
	scratch_load_b128 v[42:45], off, off offset:448
	ds_load_b128 v[133:136], v1 offset:1152
	scratch_load_b128 v[137:140], off, off offset:608
	s_wait_loadcnt_dscnt 0xa01
	v_mul_f64_e32 v[141:142], v[36:37], v[4:5]
	v_mul_f64_e32 v[4:5], v[34:35], v[4:5]
	s_delay_alu instid0(VALU_DEP_2) | instskip(NEXT) | instid1(VALU_DEP_2)
	v_fma_f64 v[147:148], v[34:35], v[2:3], -v[141:142]
	v_fma_f64 v[149:150], v[36:37], v[2:3], v[4:5]
	ds_load_b128 v[2:5], v1 offset:1168
	s_wait_loadcnt_dscnt 0x901
	v_mul_f64_e32 v[145:146], v[133:134], v[8:9]
	v_mul_f64_e32 v[8:9], v[135:136], v[8:9]
	scratch_load_b128 v[34:37], off, off offset:624
	ds_load_b128 v[141:144], v1 offset:1184
	s_wait_loadcnt_dscnt 0x901
	v_mul_f64_e32 v[151:152], v[2:3], v[12:13]
	v_mul_f64_e32 v[12:13], v[4:5], v[12:13]
	v_fma_f64 v[135:136], v[135:136], v[6:7], v[145:146]
	v_fma_f64 v[133:134], v[133:134], v[6:7], -v[8:9]
	v_add_f64_e32 v[145:146], 0, v[147:148]
	v_add_f64_e32 v[147:148], 0, v[149:150]
	scratch_load_b128 v[6:9], off, off offset:640
	v_fma_f64 v[151:152], v[4:5], v[10:11], v[151:152]
	v_fma_f64 v[153:154], v[2:3], v[10:11], -v[12:13]
	ds_load_b128 v[2:5], v1 offset:1200
	s_wait_loadcnt_dscnt 0x901
	v_mul_f64_e32 v[149:150], v[141:142], v[16:17]
	v_mul_f64_e32 v[16:17], v[143:144], v[16:17]
	scratch_load_b128 v[10:13], off, off offset:656
	v_add_f64_e32 v[145:146], v[145:146], v[133:134]
	v_add_f64_e32 v[147:148], v[147:148], v[135:136]
	s_wait_loadcnt_dscnt 0x900
	v_mul_f64_e32 v[155:156], v[2:3], v[20:21]
	v_mul_f64_e32 v[20:21], v[4:5], v[20:21]
	ds_load_b128 v[133:136], v1 offset:1216
	v_fma_f64 v[143:144], v[143:144], v[14:15], v[149:150]
	v_fma_f64 v[141:142], v[141:142], v[14:15], -v[16:17]
	scratch_load_b128 v[14:17], off, off offset:672
	v_add_f64_e32 v[145:146], v[145:146], v[153:154]
	v_add_f64_e32 v[147:148], v[147:148], v[151:152]
	v_fma_f64 v[151:152], v[4:5], v[18:19], v[155:156]
	v_fma_f64 v[153:154], v[2:3], v[18:19], -v[20:21]
	ds_load_b128 v[2:5], v1 offset:1232
	s_wait_loadcnt_dscnt 0x901
	v_mul_f64_e32 v[149:150], v[133:134], v[24:25]
	v_mul_f64_e32 v[24:25], v[135:136], v[24:25]
	scratch_load_b128 v[18:21], off, off offset:688
	s_wait_loadcnt_dscnt 0x900
	v_mul_f64_e32 v[155:156], v[2:3], v[28:29]
	v_mul_f64_e32 v[28:29], v[4:5], v[28:29]
	v_add_f64_e32 v[145:146], v[145:146], v[141:142]
	v_add_f64_e32 v[147:148], v[147:148], v[143:144]
	ds_load_b128 v[141:144], v1 offset:1248
	v_fma_f64 v[135:136], v[135:136], v[22:23], v[149:150]
	v_fma_f64 v[22:23], v[133:134], v[22:23], -v[24:25]
	v_add_f64_e32 v[24:25], v[145:146], v[153:154]
	v_add_f64_e32 v[133:134], v[147:148], v[151:152]
	s_wait_loadcnt_dscnt 0x800
	v_mul_f64_e32 v[145:146], v[141:142], v[32:33]
	v_mul_f64_e32 v[32:33], v[143:144], v[32:33]
	v_fma_f64 v[147:148], v[4:5], v[26:27], v[155:156]
	v_fma_f64 v[26:27], v[2:3], v[26:27], -v[28:29]
	v_add_f64_e32 v[28:29], v[24:25], v[22:23]
	v_add_f64_e32 v[133:134], v[133:134], v[135:136]
	ds_load_b128 v[2:5], v1 offset:1264
	ds_load_b128 v[22:25], v1 offset:1280
	v_fma_f64 v[143:144], v[143:144], v[30:31], v[145:146]
	v_fma_f64 v[30:31], v[141:142], v[30:31], -v[32:33]
	s_wait_loadcnt_dscnt 0x701
	v_mul_f64_e32 v[135:136], v[2:3], v[40:41]
	v_mul_f64_e32 v[40:41], v[4:5], v[40:41]
	s_wait_loadcnt_dscnt 0x500
	v_mul_f64_e32 v[32:33], v[22:23], v[139:140]
	v_add_f64_e32 v[26:27], v[28:29], v[26:27]
	v_add_f64_e32 v[28:29], v[133:134], v[147:148]
	v_mul_f64_e32 v[133:134], v[24:25], v[139:140]
	v_fma_f64 v[135:136], v[4:5], v[38:39], v[135:136]
	v_fma_f64 v[38:39], v[2:3], v[38:39], -v[40:41]
	v_fma_f64 v[24:25], v[24:25], v[137:138], v[32:33]
	v_add_f64_e32 v[30:31], v[26:27], v[30:31]
	v_add_f64_e32 v[40:41], v[28:29], v[143:144]
	ds_load_b128 v[2:5], v1 offset:1296
	ds_load_b128 v[26:29], v1 offset:1312
	v_fma_f64 v[22:23], v[22:23], v[137:138], -v[133:134]
	s_wait_loadcnt_dscnt 0x401
	v_mul_f64_e32 v[139:140], v[2:3], v[36:37]
	v_mul_f64_e32 v[36:37], v[4:5], v[36:37]
	v_add_f64_e32 v[30:31], v[30:31], v[38:39]
	v_add_f64_e32 v[32:33], v[40:41], v[135:136]
	s_wait_loadcnt_dscnt 0x300
	v_mul_f64_e32 v[38:39], v[26:27], v[8:9]
	v_mul_f64_e32 v[8:9], v[28:29], v[8:9]
	v_fma_f64 v[40:41], v[4:5], v[34:35], v[139:140]
	v_fma_f64 v[34:35], v[2:3], v[34:35], -v[36:37]
	v_add_f64_e32 v[30:31], v[30:31], v[22:23]
	v_add_f64_e32 v[32:33], v[32:33], v[24:25]
	ds_load_b128 v[2:5], v1 offset:1328
	ds_load_b128 v[22:25], v1 offset:1344
	v_fma_f64 v[28:29], v[28:29], v[6:7], v[38:39]
	v_fma_f64 v[6:7], v[26:27], v[6:7], -v[8:9]
	s_wait_loadcnt_dscnt 0x201
	v_mul_f64_e32 v[36:37], v[2:3], v[12:13]
	v_mul_f64_e32 v[12:13], v[4:5], v[12:13]
	v_add_f64_e32 v[8:9], v[30:31], v[34:35]
	v_add_f64_e32 v[26:27], v[32:33], v[40:41]
	s_wait_loadcnt_dscnt 0x100
	v_mul_f64_e32 v[30:31], v[22:23], v[16:17]
	v_mul_f64_e32 v[16:17], v[24:25], v[16:17]
	v_fma_f64 v[32:33], v[4:5], v[10:11], v[36:37]
	v_fma_f64 v[10:11], v[2:3], v[10:11], -v[12:13]
	ds_load_b128 v[2:5], v1 offset:1360
	v_add_f64_e32 v[6:7], v[8:9], v[6:7]
	v_add_f64_e32 v[8:9], v[26:27], v[28:29]
	v_fma_f64 v[24:25], v[24:25], v[14:15], v[30:31]
	v_fma_f64 v[14:15], v[22:23], v[14:15], -v[16:17]
	s_wait_loadcnt_dscnt 0x0
	v_mul_f64_e32 v[12:13], v[2:3], v[20:21]
	v_mul_f64_e32 v[20:21], v[4:5], v[20:21]
	v_add_f64_e32 v[6:7], v[6:7], v[10:11]
	v_add_f64_e32 v[8:9], v[8:9], v[32:33]
	s_delay_alu instid0(VALU_DEP_4) | instskip(NEXT) | instid1(VALU_DEP_4)
	v_fma_f64 v[4:5], v[4:5], v[18:19], v[12:13]
	v_fma_f64 v[2:3], v[2:3], v[18:19], -v[20:21]
	s_delay_alu instid0(VALU_DEP_4) | instskip(NEXT) | instid1(VALU_DEP_4)
	v_add_f64_e32 v[6:7], v[6:7], v[14:15]
	v_add_f64_e32 v[8:9], v[8:9], v[24:25]
	s_delay_alu instid0(VALU_DEP_2) | instskip(NEXT) | instid1(VALU_DEP_2)
	v_add_f64_e32 v[2:3], v[6:7], v[2:3]
	v_add_f64_e32 v[4:5], v[8:9], v[4:5]
	s_delay_alu instid0(VALU_DEP_2) | instskip(NEXT) | instid1(VALU_DEP_2)
	v_add_f64_e64 v[2:3], v[42:43], -v[2:3]
	v_add_f64_e64 v[4:5], v[44:45], -v[4:5]
	scratch_store_b128 off, v[2:5], off offset:448
	v_cmpx_lt_u32_e32 26, v0
	s_cbranch_execz .LBB106_219
; %bb.218:
	scratch_load_b128 v[5:8], off, s20
	v_dual_mov_b32 v2, v1 :: v_dual_mov_b32 v3, v1
	v_mov_b32_e32 v4, v1
	scratch_store_b128 off, v[1:4], off offset:432
	s_wait_loadcnt 0x0
	ds_store_b128 v132, v[5:8]
.LBB106_219:
	s_wait_alu 0xfffe
	s_or_b32 exec_lo, exec_lo, s0
	s_wait_storecnt_dscnt 0x0
	s_barrier_signal -1
	s_barrier_wait -1
	global_inv scope:SCOPE_SE
	s_clause 0x8
	scratch_load_b128 v[2:5], off, off offset:448
	scratch_load_b128 v[6:9], off, off offset:464
	;; [unrolled: 1-line block ×9, first 2 shown]
	ds_load_b128 v[38:41], v1 offset:1120
	ds_load_b128 v[42:45], v1 offset:1136
	s_clause 0x1
	scratch_load_b128 v[133:136], off, off offset:432
	scratch_load_b128 v[137:140], off, off offset:592
	s_mov_b32 s0, exec_lo
	s_wait_loadcnt_dscnt 0xa01
	v_mul_f64_e32 v[141:142], v[40:41], v[4:5]
	v_mul_f64_e32 v[4:5], v[38:39], v[4:5]
	s_wait_loadcnt_dscnt 0x900
	v_mul_f64_e32 v[145:146], v[42:43], v[8:9]
	v_mul_f64_e32 v[8:9], v[44:45], v[8:9]
	s_delay_alu instid0(VALU_DEP_4) | instskip(NEXT) | instid1(VALU_DEP_4)
	v_fma_f64 v[147:148], v[38:39], v[2:3], -v[141:142]
	v_fma_f64 v[149:150], v[40:41], v[2:3], v[4:5]
	ds_load_b128 v[2:5], v1 offset:1152
	ds_load_b128 v[141:144], v1 offset:1168
	scratch_load_b128 v[38:41], off, off offset:608
	v_fma_f64 v[44:45], v[44:45], v[6:7], v[145:146]
	v_fma_f64 v[42:43], v[42:43], v[6:7], -v[8:9]
	scratch_load_b128 v[6:9], off, off offset:624
	s_wait_loadcnt_dscnt 0xa01
	v_mul_f64_e32 v[151:152], v[2:3], v[12:13]
	v_mul_f64_e32 v[12:13], v[4:5], v[12:13]
	v_add_f64_e32 v[145:146], 0, v[147:148]
	v_add_f64_e32 v[147:148], 0, v[149:150]
	s_wait_loadcnt_dscnt 0x900
	v_mul_f64_e32 v[149:150], v[141:142], v[16:17]
	v_mul_f64_e32 v[16:17], v[143:144], v[16:17]
	v_fma_f64 v[151:152], v[4:5], v[10:11], v[151:152]
	v_fma_f64 v[153:154], v[2:3], v[10:11], -v[12:13]
	ds_load_b128 v[2:5], v1 offset:1184
	scratch_load_b128 v[10:13], off, off offset:640
	v_add_f64_e32 v[145:146], v[145:146], v[42:43]
	v_add_f64_e32 v[147:148], v[147:148], v[44:45]
	ds_load_b128 v[42:45], v1 offset:1200
	v_fma_f64 v[143:144], v[143:144], v[14:15], v[149:150]
	v_fma_f64 v[141:142], v[141:142], v[14:15], -v[16:17]
	scratch_load_b128 v[14:17], off, off offset:656
	s_wait_loadcnt_dscnt 0xa01
	v_mul_f64_e32 v[155:156], v[2:3], v[20:21]
	v_mul_f64_e32 v[20:21], v[4:5], v[20:21]
	s_wait_loadcnt_dscnt 0x900
	v_mul_f64_e32 v[149:150], v[42:43], v[24:25]
	v_mul_f64_e32 v[24:25], v[44:45], v[24:25]
	v_add_f64_e32 v[145:146], v[145:146], v[153:154]
	v_add_f64_e32 v[147:148], v[147:148], v[151:152]
	v_fma_f64 v[151:152], v[4:5], v[18:19], v[155:156]
	v_fma_f64 v[153:154], v[2:3], v[18:19], -v[20:21]
	ds_load_b128 v[2:5], v1 offset:1216
	scratch_load_b128 v[18:21], off, off offset:672
	v_fma_f64 v[44:45], v[44:45], v[22:23], v[149:150]
	v_fma_f64 v[42:43], v[42:43], v[22:23], -v[24:25]
	scratch_load_b128 v[22:25], off, off offset:688
	v_add_f64_e32 v[145:146], v[145:146], v[141:142]
	v_add_f64_e32 v[147:148], v[147:148], v[143:144]
	ds_load_b128 v[141:144], v1 offset:1232
	s_wait_loadcnt_dscnt 0xa01
	v_mul_f64_e32 v[155:156], v[2:3], v[28:29]
	v_mul_f64_e32 v[28:29], v[4:5], v[28:29]
	s_wait_loadcnt_dscnt 0x900
	v_mul_f64_e32 v[149:150], v[141:142], v[32:33]
	v_mul_f64_e32 v[32:33], v[143:144], v[32:33]
	v_add_f64_e32 v[145:146], v[145:146], v[153:154]
	v_add_f64_e32 v[147:148], v[147:148], v[151:152]
	v_fma_f64 v[151:152], v[4:5], v[26:27], v[155:156]
	v_fma_f64 v[153:154], v[2:3], v[26:27], -v[28:29]
	ds_load_b128 v[2:5], v1 offset:1248
	ds_load_b128 v[26:29], v1 offset:1264
	v_fma_f64 v[143:144], v[143:144], v[30:31], v[149:150]
	v_fma_f64 v[30:31], v[141:142], v[30:31], -v[32:33]
	v_add_f64_e32 v[42:43], v[145:146], v[42:43]
	v_add_f64_e32 v[44:45], v[147:148], v[44:45]
	s_wait_loadcnt_dscnt 0x801
	v_mul_f64_e32 v[145:146], v[2:3], v[36:37]
	v_mul_f64_e32 v[36:37], v[4:5], v[36:37]
	s_delay_alu instid0(VALU_DEP_4) | instskip(NEXT) | instid1(VALU_DEP_4)
	v_add_f64_e32 v[32:33], v[42:43], v[153:154]
	v_add_f64_e32 v[42:43], v[44:45], v[151:152]
	s_wait_loadcnt_dscnt 0x600
	v_mul_f64_e32 v[44:45], v[26:27], v[139:140]
	v_mul_f64_e32 v[139:140], v[28:29], v[139:140]
	v_fma_f64 v[141:142], v[4:5], v[34:35], v[145:146]
	v_fma_f64 v[34:35], v[2:3], v[34:35], -v[36:37]
	v_add_f64_e32 v[36:37], v[32:33], v[30:31]
	v_add_f64_e32 v[42:43], v[42:43], v[143:144]
	ds_load_b128 v[2:5], v1 offset:1280
	ds_load_b128 v[30:33], v1 offset:1296
	v_fma_f64 v[28:29], v[28:29], v[137:138], v[44:45]
	v_fma_f64 v[26:27], v[26:27], v[137:138], -v[139:140]
	s_wait_loadcnt_dscnt 0x501
	v_mul_f64_e32 v[143:144], v[2:3], v[40:41]
	v_mul_f64_e32 v[40:41], v[4:5], v[40:41]
	v_add_f64_e32 v[34:35], v[36:37], v[34:35]
	v_add_f64_e32 v[36:37], v[42:43], v[141:142]
	s_wait_loadcnt_dscnt 0x400
	v_mul_f64_e32 v[42:43], v[30:31], v[8:9]
	v_mul_f64_e32 v[8:9], v[32:33], v[8:9]
	v_fma_f64 v[44:45], v[4:5], v[38:39], v[143:144]
	v_fma_f64 v[38:39], v[2:3], v[38:39], -v[40:41]
	v_add_f64_e32 v[34:35], v[34:35], v[26:27]
	v_add_f64_e32 v[36:37], v[36:37], v[28:29]
	ds_load_b128 v[2:5], v1 offset:1312
	ds_load_b128 v[26:29], v1 offset:1328
	v_fma_f64 v[32:33], v[32:33], v[6:7], v[42:43]
	v_fma_f64 v[6:7], v[30:31], v[6:7], -v[8:9]
	s_wait_loadcnt_dscnt 0x301
	v_mul_f64_e32 v[40:41], v[2:3], v[12:13]
	v_mul_f64_e32 v[12:13], v[4:5], v[12:13]
	;; [unrolled: 16-line block ×3, first 2 shown]
	s_wait_loadcnt_dscnt 0x0
	v_mul_f64_e32 v[16:17], v[6:7], v[24:25]
	v_mul_f64_e32 v[24:25], v[8:9], v[24:25]
	v_add_f64_e32 v[10:11], v[12:13], v[10:11]
	v_add_f64_e32 v[12:13], v[30:31], v[36:37]
	v_fma_f64 v[4:5], v[4:5], v[18:19], v[32:33]
	v_fma_f64 v[1:2], v[2:3], v[18:19], -v[20:21]
	v_fma_f64 v[8:9], v[8:9], v[22:23], v[16:17]
	v_fma_f64 v[6:7], v[6:7], v[22:23], -v[24:25]
	v_add_f64_e32 v[10:11], v[10:11], v[14:15]
	v_add_f64_e32 v[12:13], v[12:13], v[28:29]
	s_delay_alu instid0(VALU_DEP_2) | instskip(NEXT) | instid1(VALU_DEP_2)
	v_add_f64_e32 v[1:2], v[10:11], v[1:2]
	v_add_f64_e32 v[3:4], v[12:13], v[4:5]
	s_delay_alu instid0(VALU_DEP_2) | instskip(NEXT) | instid1(VALU_DEP_2)
	;; [unrolled: 3-line block ×3, first 2 shown]
	v_add_f64_e64 v[1:2], v[133:134], -v[1:2]
	v_add_f64_e64 v[3:4], v[135:136], -v[3:4]
	scratch_store_b128 off, v[1:4], off offset:432
	v_cmpx_lt_u32_e32 25, v0
	s_cbranch_execz .LBB106_221
; %bb.220:
	scratch_load_b128 v[1:4], off, s41
	v_mov_b32_e32 v5, 0
	s_delay_alu instid0(VALU_DEP_1)
	v_dual_mov_b32 v6, v5 :: v_dual_mov_b32 v7, v5
	v_mov_b32_e32 v8, v5
	scratch_store_b128 off, v[5:8], off offset:416
	s_wait_loadcnt 0x0
	ds_store_b128 v132, v[1:4]
.LBB106_221:
	s_wait_alu 0xfffe
	s_or_b32 exec_lo, exec_lo, s0
	s_wait_storecnt_dscnt 0x0
	s_barrier_signal -1
	s_barrier_wait -1
	global_inv scope:SCOPE_SE
	s_clause 0x7
	scratch_load_b128 v[2:5], off, off offset:432
	scratch_load_b128 v[6:9], off, off offset:448
	;; [unrolled: 1-line block ×8, first 2 shown]
	v_mov_b32_e32 v1, 0
	s_mov_b32 s0, exec_lo
	ds_load_b128 v[34:37], v1 offset:1104
	s_clause 0x1
	scratch_load_b128 v[38:41], off, off offset:560
	scratch_load_b128 v[42:45], off, off offset:416
	ds_load_b128 v[133:136], v1 offset:1120
	scratch_load_b128 v[137:140], off, off offset:576
	s_wait_loadcnt_dscnt 0xa01
	v_mul_f64_e32 v[141:142], v[36:37], v[4:5]
	v_mul_f64_e32 v[4:5], v[34:35], v[4:5]
	s_delay_alu instid0(VALU_DEP_2) | instskip(NEXT) | instid1(VALU_DEP_2)
	v_fma_f64 v[147:148], v[34:35], v[2:3], -v[141:142]
	v_fma_f64 v[149:150], v[36:37], v[2:3], v[4:5]
	ds_load_b128 v[2:5], v1 offset:1136
	s_wait_loadcnt_dscnt 0x901
	v_mul_f64_e32 v[145:146], v[133:134], v[8:9]
	v_mul_f64_e32 v[8:9], v[135:136], v[8:9]
	scratch_load_b128 v[34:37], off, off offset:592
	ds_load_b128 v[141:144], v1 offset:1152
	s_wait_loadcnt_dscnt 0x901
	v_mul_f64_e32 v[151:152], v[2:3], v[12:13]
	v_mul_f64_e32 v[12:13], v[4:5], v[12:13]
	v_fma_f64 v[135:136], v[135:136], v[6:7], v[145:146]
	v_fma_f64 v[133:134], v[133:134], v[6:7], -v[8:9]
	v_add_f64_e32 v[145:146], 0, v[147:148]
	v_add_f64_e32 v[147:148], 0, v[149:150]
	scratch_load_b128 v[6:9], off, off offset:608
	v_fma_f64 v[151:152], v[4:5], v[10:11], v[151:152]
	v_fma_f64 v[153:154], v[2:3], v[10:11], -v[12:13]
	ds_load_b128 v[2:5], v1 offset:1168
	s_wait_loadcnt_dscnt 0x901
	v_mul_f64_e32 v[149:150], v[141:142], v[16:17]
	v_mul_f64_e32 v[16:17], v[143:144], v[16:17]
	scratch_load_b128 v[10:13], off, off offset:624
	v_add_f64_e32 v[145:146], v[145:146], v[133:134]
	v_add_f64_e32 v[147:148], v[147:148], v[135:136]
	s_wait_loadcnt_dscnt 0x900
	v_mul_f64_e32 v[155:156], v[2:3], v[20:21]
	v_mul_f64_e32 v[20:21], v[4:5], v[20:21]
	ds_load_b128 v[133:136], v1 offset:1184
	v_fma_f64 v[143:144], v[143:144], v[14:15], v[149:150]
	v_fma_f64 v[141:142], v[141:142], v[14:15], -v[16:17]
	scratch_load_b128 v[14:17], off, off offset:640
	v_add_f64_e32 v[145:146], v[145:146], v[153:154]
	v_add_f64_e32 v[147:148], v[147:148], v[151:152]
	v_fma_f64 v[151:152], v[4:5], v[18:19], v[155:156]
	v_fma_f64 v[153:154], v[2:3], v[18:19], -v[20:21]
	ds_load_b128 v[2:5], v1 offset:1200
	s_wait_loadcnt_dscnt 0x901
	v_mul_f64_e32 v[149:150], v[133:134], v[24:25]
	v_mul_f64_e32 v[24:25], v[135:136], v[24:25]
	scratch_load_b128 v[18:21], off, off offset:656
	s_wait_loadcnt_dscnt 0x900
	v_mul_f64_e32 v[155:156], v[2:3], v[28:29]
	v_mul_f64_e32 v[28:29], v[4:5], v[28:29]
	v_add_f64_e32 v[145:146], v[145:146], v[141:142]
	v_add_f64_e32 v[147:148], v[147:148], v[143:144]
	ds_load_b128 v[141:144], v1 offset:1216
	v_fma_f64 v[135:136], v[135:136], v[22:23], v[149:150]
	v_fma_f64 v[133:134], v[133:134], v[22:23], -v[24:25]
	scratch_load_b128 v[22:25], off, off offset:672
	v_add_f64_e32 v[145:146], v[145:146], v[153:154]
	v_add_f64_e32 v[147:148], v[147:148], v[151:152]
	v_fma_f64 v[151:152], v[4:5], v[26:27], v[155:156]
	v_fma_f64 v[153:154], v[2:3], v[26:27], -v[28:29]
	ds_load_b128 v[2:5], v1 offset:1232
	s_wait_loadcnt_dscnt 0x901
	v_mul_f64_e32 v[149:150], v[141:142], v[32:33]
	v_mul_f64_e32 v[32:33], v[143:144], v[32:33]
	scratch_load_b128 v[26:29], off, off offset:688
	s_wait_loadcnt_dscnt 0x900
	v_mul_f64_e32 v[155:156], v[2:3], v[40:41]
	v_mul_f64_e32 v[40:41], v[4:5], v[40:41]
	v_add_f64_e32 v[145:146], v[145:146], v[133:134]
	v_add_f64_e32 v[147:148], v[147:148], v[135:136]
	ds_load_b128 v[133:136], v1 offset:1248
	v_fma_f64 v[143:144], v[143:144], v[30:31], v[149:150]
	v_fma_f64 v[30:31], v[141:142], v[30:31], -v[32:33]
	v_add_f64_e32 v[32:33], v[145:146], v[153:154]
	v_add_f64_e32 v[141:142], v[147:148], v[151:152]
	s_wait_loadcnt_dscnt 0x700
	v_mul_f64_e32 v[145:146], v[133:134], v[139:140]
	v_mul_f64_e32 v[139:140], v[135:136], v[139:140]
	v_fma_f64 v[147:148], v[4:5], v[38:39], v[155:156]
	v_fma_f64 v[38:39], v[2:3], v[38:39], -v[40:41]
	v_add_f64_e32 v[40:41], v[32:33], v[30:31]
	v_add_f64_e32 v[141:142], v[141:142], v[143:144]
	ds_load_b128 v[2:5], v1 offset:1264
	ds_load_b128 v[30:33], v1 offset:1280
	v_fma_f64 v[135:136], v[135:136], v[137:138], v[145:146]
	v_fma_f64 v[133:134], v[133:134], v[137:138], -v[139:140]
	s_wait_loadcnt_dscnt 0x601
	v_mul_f64_e32 v[143:144], v[2:3], v[36:37]
	v_mul_f64_e32 v[36:37], v[4:5], v[36:37]
	v_add_f64_e32 v[38:39], v[40:41], v[38:39]
	v_add_f64_e32 v[40:41], v[141:142], v[147:148]
	s_wait_loadcnt_dscnt 0x500
	v_mul_f64_e32 v[137:138], v[30:31], v[8:9]
	v_mul_f64_e32 v[8:9], v[32:33], v[8:9]
	v_fma_f64 v[139:140], v[4:5], v[34:35], v[143:144]
	v_fma_f64 v[141:142], v[2:3], v[34:35], -v[36:37]
	ds_load_b128 v[2:5], v1 offset:1296
	ds_load_b128 v[34:37], v1 offset:1312
	v_add_f64_e32 v[38:39], v[38:39], v[133:134]
	v_add_f64_e32 v[40:41], v[40:41], v[135:136]
	s_wait_loadcnt_dscnt 0x401
	v_mul_f64_e32 v[133:134], v[2:3], v[12:13]
	v_mul_f64_e32 v[12:13], v[4:5], v[12:13]
	v_fma_f64 v[32:33], v[32:33], v[6:7], v[137:138]
	v_fma_f64 v[6:7], v[30:31], v[6:7], -v[8:9]
	v_add_f64_e32 v[8:9], v[38:39], v[141:142]
	v_add_f64_e32 v[30:31], v[40:41], v[139:140]
	s_wait_loadcnt_dscnt 0x300
	v_mul_f64_e32 v[38:39], v[34:35], v[16:17]
	v_mul_f64_e32 v[16:17], v[36:37], v[16:17]
	v_fma_f64 v[40:41], v[4:5], v[10:11], v[133:134]
	v_fma_f64 v[10:11], v[2:3], v[10:11], -v[12:13]
	v_add_f64_e32 v[12:13], v[8:9], v[6:7]
	v_add_f64_e32 v[30:31], v[30:31], v[32:33]
	ds_load_b128 v[2:5], v1 offset:1328
	ds_load_b128 v[6:9], v1 offset:1344
	v_fma_f64 v[36:37], v[36:37], v[14:15], v[38:39]
	v_fma_f64 v[14:15], v[34:35], v[14:15], -v[16:17]
	s_wait_loadcnt_dscnt 0x201
	v_mul_f64_e32 v[32:33], v[2:3], v[20:21]
	v_mul_f64_e32 v[20:21], v[4:5], v[20:21]
	s_wait_loadcnt_dscnt 0x100
	v_mul_f64_e32 v[16:17], v[6:7], v[24:25]
	v_mul_f64_e32 v[24:25], v[8:9], v[24:25]
	v_add_f64_e32 v[10:11], v[12:13], v[10:11]
	v_add_f64_e32 v[12:13], v[30:31], v[40:41]
	v_fma_f64 v[30:31], v[4:5], v[18:19], v[32:33]
	v_fma_f64 v[18:19], v[2:3], v[18:19], -v[20:21]
	ds_load_b128 v[2:5], v1 offset:1360
	v_fma_f64 v[8:9], v[8:9], v[22:23], v[16:17]
	v_fma_f64 v[6:7], v[6:7], v[22:23], -v[24:25]
	v_add_f64_e32 v[10:11], v[10:11], v[14:15]
	v_add_f64_e32 v[12:13], v[12:13], v[36:37]
	s_wait_loadcnt_dscnt 0x0
	v_mul_f64_e32 v[14:15], v[2:3], v[28:29]
	v_mul_f64_e32 v[20:21], v[4:5], v[28:29]
	s_delay_alu instid0(VALU_DEP_4) | instskip(NEXT) | instid1(VALU_DEP_4)
	v_add_f64_e32 v[10:11], v[10:11], v[18:19]
	v_add_f64_e32 v[12:13], v[12:13], v[30:31]
	s_delay_alu instid0(VALU_DEP_4) | instskip(NEXT) | instid1(VALU_DEP_4)
	v_fma_f64 v[4:5], v[4:5], v[26:27], v[14:15]
	v_fma_f64 v[2:3], v[2:3], v[26:27], -v[20:21]
	s_delay_alu instid0(VALU_DEP_4) | instskip(NEXT) | instid1(VALU_DEP_4)
	v_add_f64_e32 v[6:7], v[10:11], v[6:7]
	v_add_f64_e32 v[8:9], v[12:13], v[8:9]
	s_delay_alu instid0(VALU_DEP_2) | instskip(NEXT) | instid1(VALU_DEP_2)
	v_add_f64_e32 v[2:3], v[6:7], v[2:3]
	v_add_f64_e32 v[4:5], v[8:9], v[4:5]
	s_delay_alu instid0(VALU_DEP_2) | instskip(NEXT) | instid1(VALU_DEP_2)
	v_add_f64_e64 v[2:3], v[42:43], -v[2:3]
	v_add_f64_e64 v[4:5], v[44:45], -v[4:5]
	scratch_store_b128 off, v[2:5], off offset:416
	v_cmpx_lt_u32_e32 24, v0
	s_cbranch_execz .LBB106_223
; %bb.222:
	scratch_load_b128 v[5:8], off, s19
	v_dual_mov_b32 v2, v1 :: v_dual_mov_b32 v3, v1
	v_mov_b32_e32 v4, v1
	scratch_store_b128 off, v[1:4], off offset:400
	s_wait_loadcnt 0x0
	ds_store_b128 v132, v[5:8]
.LBB106_223:
	s_wait_alu 0xfffe
	s_or_b32 exec_lo, exec_lo, s0
	s_wait_storecnt_dscnt 0x0
	s_barrier_signal -1
	s_barrier_wait -1
	global_inv scope:SCOPE_SE
	s_clause 0x8
	scratch_load_b128 v[2:5], off, off offset:416
	scratch_load_b128 v[6:9], off, off offset:432
	;; [unrolled: 1-line block ×9, first 2 shown]
	ds_load_b128 v[38:41], v1 offset:1088
	ds_load_b128 v[42:45], v1 offset:1104
	s_clause 0x1
	scratch_load_b128 v[133:136], off, off offset:400
	scratch_load_b128 v[137:140], off, off offset:560
	s_mov_b32 s0, exec_lo
	s_wait_loadcnt_dscnt 0xa01
	v_mul_f64_e32 v[141:142], v[40:41], v[4:5]
	v_mul_f64_e32 v[4:5], v[38:39], v[4:5]
	s_wait_loadcnt_dscnt 0x900
	v_mul_f64_e32 v[145:146], v[42:43], v[8:9]
	v_mul_f64_e32 v[8:9], v[44:45], v[8:9]
	s_delay_alu instid0(VALU_DEP_4) | instskip(NEXT) | instid1(VALU_DEP_4)
	v_fma_f64 v[147:148], v[38:39], v[2:3], -v[141:142]
	v_fma_f64 v[149:150], v[40:41], v[2:3], v[4:5]
	ds_load_b128 v[2:5], v1 offset:1120
	ds_load_b128 v[141:144], v1 offset:1136
	scratch_load_b128 v[38:41], off, off offset:576
	v_fma_f64 v[44:45], v[44:45], v[6:7], v[145:146]
	v_fma_f64 v[42:43], v[42:43], v[6:7], -v[8:9]
	scratch_load_b128 v[6:9], off, off offset:592
	s_wait_loadcnt_dscnt 0xa01
	v_mul_f64_e32 v[151:152], v[2:3], v[12:13]
	v_mul_f64_e32 v[12:13], v[4:5], v[12:13]
	v_add_f64_e32 v[145:146], 0, v[147:148]
	v_add_f64_e32 v[147:148], 0, v[149:150]
	s_wait_loadcnt_dscnt 0x900
	v_mul_f64_e32 v[149:150], v[141:142], v[16:17]
	v_mul_f64_e32 v[16:17], v[143:144], v[16:17]
	v_fma_f64 v[151:152], v[4:5], v[10:11], v[151:152]
	v_fma_f64 v[153:154], v[2:3], v[10:11], -v[12:13]
	ds_load_b128 v[2:5], v1 offset:1152
	scratch_load_b128 v[10:13], off, off offset:608
	v_add_f64_e32 v[145:146], v[145:146], v[42:43]
	v_add_f64_e32 v[147:148], v[147:148], v[44:45]
	ds_load_b128 v[42:45], v1 offset:1168
	v_fma_f64 v[143:144], v[143:144], v[14:15], v[149:150]
	v_fma_f64 v[141:142], v[141:142], v[14:15], -v[16:17]
	scratch_load_b128 v[14:17], off, off offset:624
	s_wait_loadcnt_dscnt 0xa01
	v_mul_f64_e32 v[155:156], v[2:3], v[20:21]
	v_mul_f64_e32 v[20:21], v[4:5], v[20:21]
	s_wait_loadcnt_dscnt 0x900
	v_mul_f64_e32 v[149:150], v[42:43], v[24:25]
	v_mul_f64_e32 v[24:25], v[44:45], v[24:25]
	v_add_f64_e32 v[145:146], v[145:146], v[153:154]
	v_add_f64_e32 v[147:148], v[147:148], v[151:152]
	v_fma_f64 v[151:152], v[4:5], v[18:19], v[155:156]
	v_fma_f64 v[153:154], v[2:3], v[18:19], -v[20:21]
	ds_load_b128 v[2:5], v1 offset:1184
	scratch_load_b128 v[18:21], off, off offset:640
	v_fma_f64 v[44:45], v[44:45], v[22:23], v[149:150]
	v_fma_f64 v[42:43], v[42:43], v[22:23], -v[24:25]
	scratch_load_b128 v[22:25], off, off offset:656
	v_add_f64_e32 v[145:146], v[145:146], v[141:142]
	v_add_f64_e32 v[147:148], v[147:148], v[143:144]
	ds_load_b128 v[141:144], v1 offset:1200
	s_wait_loadcnt_dscnt 0xa01
	v_mul_f64_e32 v[155:156], v[2:3], v[28:29]
	v_mul_f64_e32 v[28:29], v[4:5], v[28:29]
	s_wait_loadcnt_dscnt 0x900
	v_mul_f64_e32 v[149:150], v[141:142], v[32:33]
	v_mul_f64_e32 v[32:33], v[143:144], v[32:33]
	v_add_f64_e32 v[145:146], v[145:146], v[153:154]
	v_add_f64_e32 v[147:148], v[147:148], v[151:152]
	v_fma_f64 v[151:152], v[4:5], v[26:27], v[155:156]
	v_fma_f64 v[153:154], v[2:3], v[26:27], -v[28:29]
	ds_load_b128 v[2:5], v1 offset:1216
	scratch_load_b128 v[26:29], off, off offset:672
	v_fma_f64 v[143:144], v[143:144], v[30:31], v[149:150]
	v_fma_f64 v[141:142], v[141:142], v[30:31], -v[32:33]
	scratch_load_b128 v[30:33], off, off offset:688
	v_add_f64_e32 v[145:146], v[145:146], v[42:43]
	v_add_f64_e32 v[147:148], v[147:148], v[44:45]
	ds_load_b128 v[42:45], v1 offset:1232
	s_wait_loadcnt_dscnt 0xa01
	v_mul_f64_e32 v[155:156], v[2:3], v[36:37]
	v_mul_f64_e32 v[36:37], v[4:5], v[36:37]
	s_wait_loadcnt_dscnt 0x800
	v_mul_f64_e32 v[149:150], v[42:43], v[139:140]
	v_mul_f64_e32 v[139:140], v[44:45], v[139:140]
	v_add_f64_e32 v[145:146], v[145:146], v[153:154]
	v_add_f64_e32 v[147:148], v[147:148], v[151:152]
	v_fma_f64 v[151:152], v[4:5], v[34:35], v[155:156]
	v_fma_f64 v[153:154], v[2:3], v[34:35], -v[36:37]
	ds_load_b128 v[2:5], v1 offset:1248
	ds_load_b128 v[34:37], v1 offset:1264
	v_fma_f64 v[44:45], v[44:45], v[137:138], v[149:150]
	v_fma_f64 v[42:43], v[42:43], v[137:138], -v[139:140]
	v_add_f64_e32 v[141:142], v[145:146], v[141:142]
	v_add_f64_e32 v[143:144], v[147:148], v[143:144]
	s_wait_loadcnt_dscnt 0x701
	v_mul_f64_e32 v[145:146], v[2:3], v[40:41]
	v_mul_f64_e32 v[40:41], v[4:5], v[40:41]
	s_delay_alu instid0(VALU_DEP_4) | instskip(NEXT) | instid1(VALU_DEP_4)
	v_add_f64_e32 v[137:138], v[141:142], v[153:154]
	v_add_f64_e32 v[139:140], v[143:144], v[151:152]
	s_wait_loadcnt_dscnt 0x600
	v_mul_f64_e32 v[141:142], v[34:35], v[8:9]
	v_mul_f64_e32 v[8:9], v[36:37], v[8:9]
	v_fma_f64 v[143:144], v[4:5], v[38:39], v[145:146]
	v_fma_f64 v[145:146], v[2:3], v[38:39], -v[40:41]
	ds_load_b128 v[2:5], v1 offset:1280
	ds_load_b128 v[38:41], v1 offset:1296
	v_add_f64_e32 v[42:43], v[137:138], v[42:43]
	v_add_f64_e32 v[44:45], v[139:140], v[44:45]
	v_fma_f64 v[36:37], v[36:37], v[6:7], v[141:142]
	s_wait_loadcnt_dscnt 0x501
	v_mul_f64_e32 v[137:138], v[2:3], v[12:13]
	v_mul_f64_e32 v[12:13], v[4:5], v[12:13]
	v_fma_f64 v[6:7], v[34:35], v[6:7], -v[8:9]
	v_add_f64_e32 v[8:9], v[42:43], v[145:146]
	v_add_f64_e32 v[34:35], v[44:45], v[143:144]
	s_wait_loadcnt_dscnt 0x400
	v_mul_f64_e32 v[42:43], v[38:39], v[16:17]
	v_mul_f64_e32 v[16:17], v[40:41], v[16:17]
	v_fma_f64 v[44:45], v[4:5], v[10:11], v[137:138]
	v_fma_f64 v[10:11], v[2:3], v[10:11], -v[12:13]
	v_add_f64_e32 v[12:13], v[8:9], v[6:7]
	v_add_f64_e32 v[34:35], v[34:35], v[36:37]
	ds_load_b128 v[2:5], v1 offset:1312
	ds_load_b128 v[6:9], v1 offset:1328
	v_fma_f64 v[40:41], v[40:41], v[14:15], v[42:43]
	v_fma_f64 v[14:15], v[38:39], v[14:15], -v[16:17]
	s_wait_loadcnt_dscnt 0x301
	v_mul_f64_e32 v[36:37], v[2:3], v[20:21]
	v_mul_f64_e32 v[20:21], v[4:5], v[20:21]
	s_wait_loadcnt_dscnt 0x200
	v_mul_f64_e32 v[16:17], v[6:7], v[24:25]
	v_mul_f64_e32 v[24:25], v[8:9], v[24:25]
	v_add_f64_e32 v[10:11], v[12:13], v[10:11]
	v_add_f64_e32 v[12:13], v[34:35], v[44:45]
	v_fma_f64 v[34:35], v[4:5], v[18:19], v[36:37]
	v_fma_f64 v[18:19], v[2:3], v[18:19], -v[20:21]
	v_fma_f64 v[8:9], v[8:9], v[22:23], v[16:17]
	v_fma_f64 v[6:7], v[6:7], v[22:23], -v[24:25]
	v_add_f64_e32 v[14:15], v[10:11], v[14:15]
	v_add_f64_e32 v[20:21], v[12:13], v[40:41]
	ds_load_b128 v[2:5], v1 offset:1344
	ds_load_b128 v[10:13], v1 offset:1360
	s_wait_loadcnt_dscnt 0x101
	v_mul_f64_e32 v[36:37], v[2:3], v[28:29]
	v_mul_f64_e32 v[28:29], v[4:5], v[28:29]
	v_add_f64_e32 v[14:15], v[14:15], v[18:19]
	v_add_f64_e32 v[16:17], v[20:21], v[34:35]
	s_wait_loadcnt_dscnt 0x0
	v_mul_f64_e32 v[18:19], v[10:11], v[32:33]
	v_mul_f64_e32 v[20:21], v[12:13], v[32:33]
	v_fma_f64 v[4:5], v[4:5], v[26:27], v[36:37]
	v_fma_f64 v[1:2], v[2:3], v[26:27], -v[28:29]
	v_add_f64_e32 v[6:7], v[14:15], v[6:7]
	v_add_f64_e32 v[8:9], v[16:17], v[8:9]
	v_fma_f64 v[12:13], v[12:13], v[30:31], v[18:19]
	v_fma_f64 v[10:11], v[10:11], v[30:31], -v[20:21]
	s_delay_alu instid0(VALU_DEP_4) | instskip(NEXT) | instid1(VALU_DEP_4)
	v_add_f64_e32 v[1:2], v[6:7], v[1:2]
	v_add_f64_e32 v[3:4], v[8:9], v[4:5]
	s_delay_alu instid0(VALU_DEP_2) | instskip(NEXT) | instid1(VALU_DEP_2)
	v_add_f64_e32 v[1:2], v[1:2], v[10:11]
	v_add_f64_e32 v[3:4], v[3:4], v[12:13]
	s_delay_alu instid0(VALU_DEP_2) | instskip(NEXT) | instid1(VALU_DEP_2)
	v_add_f64_e64 v[1:2], v[133:134], -v[1:2]
	v_add_f64_e64 v[3:4], v[135:136], -v[3:4]
	scratch_store_b128 off, v[1:4], off offset:400
	v_cmpx_lt_u32_e32 23, v0
	s_cbranch_execz .LBB106_225
; %bb.224:
	scratch_load_b128 v[1:4], off, s40
	v_mov_b32_e32 v5, 0
	s_delay_alu instid0(VALU_DEP_1)
	v_dual_mov_b32 v6, v5 :: v_dual_mov_b32 v7, v5
	v_mov_b32_e32 v8, v5
	scratch_store_b128 off, v[5:8], off offset:384
	s_wait_loadcnt 0x0
	ds_store_b128 v132, v[1:4]
.LBB106_225:
	s_wait_alu 0xfffe
	s_or_b32 exec_lo, exec_lo, s0
	s_wait_storecnt_dscnt 0x0
	s_barrier_signal -1
	s_barrier_wait -1
	global_inv scope:SCOPE_SE
	s_clause 0x7
	scratch_load_b128 v[2:5], off, off offset:400
	scratch_load_b128 v[6:9], off, off offset:416
	;; [unrolled: 1-line block ×8, first 2 shown]
	v_mov_b32_e32 v1, 0
	s_mov_b32 s0, exec_lo
	ds_load_b128 v[34:37], v1 offset:1072
	s_clause 0x1
	scratch_load_b128 v[38:41], off, off offset:528
	scratch_load_b128 v[42:45], off, off offset:384
	ds_load_b128 v[133:136], v1 offset:1088
	scratch_load_b128 v[137:140], off, off offset:544
	s_wait_loadcnt_dscnt 0xa01
	v_mul_f64_e32 v[141:142], v[36:37], v[4:5]
	v_mul_f64_e32 v[4:5], v[34:35], v[4:5]
	s_delay_alu instid0(VALU_DEP_2) | instskip(NEXT) | instid1(VALU_DEP_2)
	v_fma_f64 v[147:148], v[34:35], v[2:3], -v[141:142]
	v_fma_f64 v[149:150], v[36:37], v[2:3], v[4:5]
	ds_load_b128 v[2:5], v1 offset:1104
	s_wait_loadcnt_dscnt 0x901
	v_mul_f64_e32 v[145:146], v[133:134], v[8:9]
	v_mul_f64_e32 v[8:9], v[135:136], v[8:9]
	scratch_load_b128 v[34:37], off, off offset:560
	ds_load_b128 v[141:144], v1 offset:1120
	s_wait_loadcnt_dscnt 0x901
	v_mul_f64_e32 v[151:152], v[2:3], v[12:13]
	v_mul_f64_e32 v[12:13], v[4:5], v[12:13]
	v_fma_f64 v[135:136], v[135:136], v[6:7], v[145:146]
	v_fma_f64 v[133:134], v[133:134], v[6:7], -v[8:9]
	v_add_f64_e32 v[145:146], 0, v[147:148]
	v_add_f64_e32 v[147:148], 0, v[149:150]
	scratch_load_b128 v[6:9], off, off offset:576
	v_fma_f64 v[151:152], v[4:5], v[10:11], v[151:152]
	v_fma_f64 v[153:154], v[2:3], v[10:11], -v[12:13]
	ds_load_b128 v[2:5], v1 offset:1136
	s_wait_loadcnt_dscnt 0x901
	v_mul_f64_e32 v[149:150], v[141:142], v[16:17]
	v_mul_f64_e32 v[16:17], v[143:144], v[16:17]
	scratch_load_b128 v[10:13], off, off offset:592
	v_add_f64_e32 v[145:146], v[145:146], v[133:134]
	v_add_f64_e32 v[147:148], v[147:148], v[135:136]
	s_wait_loadcnt_dscnt 0x900
	v_mul_f64_e32 v[155:156], v[2:3], v[20:21]
	v_mul_f64_e32 v[20:21], v[4:5], v[20:21]
	ds_load_b128 v[133:136], v1 offset:1152
	v_fma_f64 v[143:144], v[143:144], v[14:15], v[149:150]
	v_fma_f64 v[141:142], v[141:142], v[14:15], -v[16:17]
	scratch_load_b128 v[14:17], off, off offset:608
	v_add_f64_e32 v[145:146], v[145:146], v[153:154]
	v_add_f64_e32 v[147:148], v[147:148], v[151:152]
	v_fma_f64 v[151:152], v[4:5], v[18:19], v[155:156]
	v_fma_f64 v[153:154], v[2:3], v[18:19], -v[20:21]
	ds_load_b128 v[2:5], v1 offset:1168
	s_wait_loadcnt_dscnt 0x901
	v_mul_f64_e32 v[149:150], v[133:134], v[24:25]
	v_mul_f64_e32 v[24:25], v[135:136], v[24:25]
	scratch_load_b128 v[18:21], off, off offset:624
	s_wait_loadcnt_dscnt 0x900
	v_mul_f64_e32 v[155:156], v[2:3], v[28:29]
	v_mul_f64_e32 v[28:29], v[4:5], v[28:29]
	v_add_f64_e32 v[145:146], v[145:146], v[141:142]
	v_add_f64_e32 v[147:148], v[147:148], v[143:144]
	ds_load_b128 v[141:144], v1 offset:1184
	v_fma_f64 v[135:136], v[135:136], v[22:23], v[149:150]
	v_fma_f64 v[133:134], v[133:134], v[22:23], -v[24:25]
	scratch_load_b128 v[22:25], off, off offset:640
	v_add_f64_e32 v[145:146], v[145:146], v[153:154]
	v_add_f64_e32 v[147:148], v[147:148], v[151:152]
	v_fma_f64 v[151:152], v[4:5], v[26:27], v[155:156]
	v_fma_f64 v[153:154], v[2:3], v[26:27], -v[28:29]
	ds_load_b128 v[2:5], v1 offset:1200
	s_wait_loadcnt_dscnt 0x901
	v_mul_f64_e32 v[149:150], v[141:142], v[32:33]
	v_mul_f64_e32 v[32:33], v[143:144], v[32:33]
	scratch_load_b128 v[26:29], off, off offset:656
	s_wait_loadcnt_dscnt 0x900
	v_mul_f64_e32 v[155:156], v[2:3], v[40:41]
	v_mul_f64_e32 v[40:41], v[4:5], v[40:41]
	v_add_f64_e32 v[145:146], v[145:146], v[133:134]
	v_add_f64_e32 v[147:148], v[147:148], v[135:136]
	ds_load_b128 v[133:136], v1 offset:1216
	v_fma_f64 v[143:144], v[143:144], v[30:31], v[149:150]
	v_fma_f64 v[141:142], v[141:142], v[30:31], -v[32:33]
	scratch_load_b128 v[30:33], off, off offset:672
	v_add_f64_e32 v[145:146], v[145:146], v[153:154]
	v_add_f64_e32 v[147:148], v[147:148], v[151:152]
	v_fma_f64 v[153:154], v[4:5], v[38:39], v[155:156]
	v_fma_f64 v[155:156], v[2:3], v[38:39], -v[40:41]
	ds_load_b128 v[2:5], v1 offset:1232
	s_wait_loadcnt_dscnt 0x801
	v_mul_f64_e32 v[149:150], v[133:134], v[139:140]
	v_mul_f64_e32 v[151:152], v[135:136], v[139:140]
	scratch_load_b128 v[38:41], off, off offset:688
	v_add_f64_e32 v[145:146], v[145:146], v[141:142]
	v_add_f64_e32 v[143:144], v[147:148], v[143:144]
	ds_load_b128 v[139:142], v1 offset:1248
	v_fma_f64 v[135:136], v[135:136], v[137:138], v[149:150]
	v_fma_f64 v[133:134], v[133:134], v[137:138], -v[151:152]
	s_wait_loadcnt_dscnt 0x801
	v_mul_f64_e32 v[147:148], v[2:3], v[36:37]
	v_mul_f64_e32 v[36:37], v[4:5], v[36:37]
	v_add_f64_e32 v[137:138], v[145:146], v[155:156]
	v_add_f64_e32 v[143:144], v[143:144], v[153:154]
	s_delay_alu instid0(VALU_DEP_4) | instskip(NEXT) | instid1(VALU_DEP_4)
	v_fma_f64 v[147:148], v[4:5], v[34:35], v[147:148]
	v_fma_f64 v[149:150], v[2:3], v[34:35], -v[36:37]
	s_wait_loadcnt_dscnt 0x700
	v_mul_f64_e32 v[145:146], v[139:140], v[8:9]
	v_mul_f64_e32 v[8:9], v[141:142], v[8:9]
	ds_load_b128 v[2:5], v1 offset:1264
	ds_load_b128 v[34:37], v1 offset:1280
	v_add_f64_e32 v[133:134], v[137:138], v[133:134]
	v_add_f64_e32 v[135:136], v[143:144], v[135:136]
	s_wait_loadcnt_dscnt 0x601
	v_mul_f64_e32 v[137:138], v[2:3], v[12:13]
	v_mul_f64_e32 v[12:13], v[4:5], v[12:13]
	v_fma_f64 v[141:142], v[141:142], v[6:7], v[145:146]
	v_fma_f64 v[6:7], v[139:140], v[6:7], -v[8:9]
	v_add_f64_e32 v[8:9], v[133:134], v[149:150]
	v_add_f64_e32 v[133:134], v[135:136], v[147:148]
	s_wait_loadcnt_dscnt 0x500
	v_mul_f64_e32 v[135:136], v[34:35], v[16:17]
	v_mul_f64_e32 v[16:17], v[36:37], v[16:17]
	v_fma_f64 v[137:138], v[4:5], v[10:11], v[137:138]
	v_fma_f64 v[10:11], v[2:3], v[10:11], -v[12:13]
	v_add_f64_e32 v[12:13], v[8:9], v[6:7]
	v_add_f64_e32 v[133:134], v[133:134], v[141:142]
	ds_load_b128 v[2:5], v1 offset:1296
	ds_load_b128 v[6:9], v1 offset:1312
	v_fma_f64 v[36:37], v[36:37], v[14:15], v[135:136]
	v_fma_f64 v[14:15], v[34:35], v[14:15], -v[16:17]
	s_wait_loadcnt_dscnt 0x401
	v_mul_f64_e32 v[139:140], v[2:3], v[20:21]
	v_mul_f64_e32 v[20:21], v[4:5], v[20:21]
	s_wait_loadcnt_dscnt 0x300
	v_mul_f64_e32 v[16:17], v[6:7], v[24:25]
	v_mul_f64_e32 v[24:25], v[8:9], v[24:25]
	v_add_f64_e32 v[10:11], v[12:13], v[10:11]
	v_add_f64_e32 v[12:13], v[133:134], v[137:138]
	v_fma_f64 v[34:35], v[4:5], v[18:19], v[139:140]
	v_fma_f64 v[18:19], v[2:3], v[18:19], -v[20:21]
	v_fma_f64 v[8:9], v[8:9], v[22:23], v[16:17]
	v_fma_f64 v[6:7], v[6:7], v[22:23], -v[24:25]
	v_add_f64_e32 v[14:15], v[10:11], v[14:15]
	v_add_f64_e32 v[20:21], v[12:13], v[36:37]
	ds_load_b128 v[2:5], v1 offset:1328
	ds_load_b128 v[10:13], v1 offset:1344
	s_wait_loadcnt_dscnt 0x201
	v_mul_f64_e32 v[36:37], v[2:3], v[28:29]
	v_mul_f64_e32 v[28:29], v[4:5], v[28:29]
	v_add_f64_e32 v[14:15], v[14:15], v[18:19]
	v_add_f64_e32 v[16:17], v[20:21], v[34:35]
	s_wait_loadcnt_dscnt 0x100
	v_mul_f64_e32 v[18:19], v[10:11], v[32:33]
	v_mul_f64_e32 v[20:21], v[12:13], v[32:33]
	v_fma_f64 v[22:23], v[4:5], v[26:27], v[36:37]
	v_fma_f64 v[24:25], v[2:3], v[26:27], -v[28:29]
	ds_load_b128 v[2:5], v1 offset:1360
	v_add_f64_e32 v[6:7], v[14:15], v[6:7]
	v_add_f64_e32 v[8:9], v[16:17], v[8:9]
	v_fma_f64 v[12:13], v[12:13], v[30:31], v[18:19]
	v_fma_f64 v[10:11], v[10:11], v[30:31], -v[20:21]
	s_wait_loadcnt_dscnt 0x0
	v_mul_f64_e32 v[14:15], v[2:3], v[40:41]
	v_mul_f64_e32 v[16:17], v[4:5], v[40:41]
	v_add_f64_e32 v[6:7], v[6:7], v[24:25]
	v_add_f64_e32 v[8:9], v[8:9], v[22:23]
	s_delay_alu instid0(VALU_DEP_4) | instskip(NEXT) | instid1(VALU_DEP_4)
	v_fma_f64 v[4:5], v[4:5], v[38:39], v[14:15]
	v_fma_f64 v[2:3], v[2:3], v[38:39], -v[16:17]
	s_delay_alu instid0(VALU_DEP_4) | instskip(NEXT) | instid1(VALU_DEP_4)
	v_add_f64_e32 v[6:7], v[6:7], v[10:11]
	v_add_f64_e32 v[8:9], v[8:9], v[12:13]
	s_delay_alu instid0(VALU_DEP_2) | instskip(NEXT) | instid1(VALU_DEP_2)
	v_add_f64_e32 v[2:3], v[6:7], v[2:3]
	v_add_f64_e32 v[4:5], v[8:9], v[4:5]
	s_delay_alu instid0(VALU_DEP_2) | instskip(NEXT) | instid1(VALU_DEP_2)
	v_add_f64_e64 v[2:3], v[42:43], -v[2:3]
	v_add_f64_e64 v[4:5], v[44:45], -v[4:5]
	scratch_store_b128 off, v[2:5], off offset:384
	v_cmpx_lt_u32_e32 22, v0
	s_cbranch_execz .LBB106_227
; %bb.226:
	scratch_load_b128 v[5:8], off, s18
	v_dual_mov_b32 v2, v1 :: v_dual_mov_b32 v3, v1
	v_mov_b32_e32 v4, v1
	scratch_store_b128 off, v[1:4], off offset:368
	s_wait_loadcnt 0x0
	ds_store_b128 v132, v[5:8]
.LBB106_227:
	s_wait_alu 0xfffe
	s_or_b32 exec_lo, exec_lo, s0
	s_wait_storecnt_dscnt 0x0
	s_barrier_signal -1
	s_barrier_wait -1
	global_inv scope:SCOPE_SE
	s_clause 0x8
	scratch_load_b128 v[2:5], off, off offset:384
	scratch_load_b128 v[6:9], off, off offset:400
	;; [unrolled: 1-line block ×9, first 2 shown]
	ds_load_b128 v[38:41], v1 offset:1056
	ds_load_b128 v[42:45], v1 offset:1072
	s_clause 0x1
	scratch_load_b128 v[133:136], off, off offset:368
	scratch_load_b128 v[137:140], off, off offset:528
	s_mov_b32 s0, exec_lo
	s_wait_loadcnt_dscnt 0xa01
	v_mul_f64_e32 v[141:142], v[40:41], v[4:5]
	v_mul_f64_e32 v[4:5], v[38:39], v[4:5]
	s_wait_loadcnt_dscnt 0x900
	v_mul_f64_e32 v[145:146], v[42:43], v[8:9]
	v_mul_f64_e32 v[8:9], v[44:45], v[8:9]
	s_delay_alu instid0(VALU_DEP_4) | instskip(NEXT) | instid1(VALU_DEP_4)
	v_fma_f64 v[147:148], v[38:39], v[2:3], -v[141:142]
	v_fma_f64 v[149:150], v[40:41], v[2:3], v[4:5]
	ds_load_b128 v[2:5], v1 offset:1088
	ds_load_b128 v[141:144], v1 offset:1104
	scratch_load_b128 v[38:41], off, off offset:544
	v_fma_f64 v[44:45], v[44:45], v[6:7], v[145:146]
	v_fma_f64 v[42:43], v[42:43], v[6:7], -v[8:9]
	scratch_load_b128 v[6:9], off, off offset:560
	s_wait_loadcnt_dscnt 0xa01
	v_mul_f64_e32 v[151:152], v[2:3], v[12:13]
	v_mul_f64_e32 v[12:13], v[4:5], v[12:13]
	v_add_f64_e32 v[145:146], 0, v[147:148]
	v_add_f64_e32 v[147:148], 0, v[149:150]
	s_wait_loadcnt_dscnt 0x900
	v_mul_f64_e32 v[149:150], v[141:142], v[16:17]
	v_mul_f64_e32 v[16:17], v[143:144], v[16:17]
	v_fma_f64 v[151:152], v[4:5], v[10:11], v[151:152]
	v_fma_f64 v[153:154], v[2:3], v[10:11], -v[12:13]
	ds_load_b128 v[2:5], v1 offset:1120
	scratch_load_b128 v[10:13], off, off offset:576
	v_add_f64_e32 v[145:146], v[145:146], v[42:43]
	v_add_f64_e32 v[147:148], v[147:148], v[44:45]
	ds_load_b128 v[42:45], v1 offset:1136
	v_fma_f64 v[143:144], v[143:144], v[14:15], v[149:150]
	v_fma_f64 v[141:142], v[141:142], v[14:15], -v[16:17]
	scratch_load_b128 v[14:17], off, off offset:592
	s_wait_loadcnt_dscnt 0xa01
	v_mul_f64_e32 v[155:156], v[2:3], v[20:21]
	v_mul_f64_e32 v[20:21], v[4:5], v[20:21]
	s_wait_loadcnt_dscnt 0x900
	v_mul_f64_e32 v[149:150], v[42:43], v[24:25]
	v_mul_f64_e32 v[24:25], v[44:45], v[24:25]
	v_add_f64_e32 v[145:146], v[145:146], v[153:154]
	v_add_f64_e32 v[147:148], v[147:148], v[151:152]
	v_fma_f64 v[151:152], v[4:5], v[18:19], v[155:156]
	v_fma_f64 v[153:154], v[2:3], v[18:19], -v[20:21]
	ds_load_b128 v[2:5], v1 offset:1152
	scratch_load_b128 v[18:21], off, off offset:608
	v_fma_f64 v[44:45], v[44:45], v[22:23], v[149:150]
	v_fma_f64 v[42:43], v[42:43], v[22:23], -v[24:25]
	scratch_load_b128 v[22:25], off, off offset:624
	v_add_f64_e32 v[145:146], v[145:146], v[141:142]
	v_add_f64_e32 v[147:148], v[147:148], v[143:144]
	ds_load_b128 v[141:144], v1 offset:1168
	s_wait_loadcnt_dscnt 0xa01
	v_mul_f64_e32 v[155:156], v[2:3], v[28:29]
	v_mul_f64_e32 v[28:29], v[4:5], v[28:29]
	s_wait_loadcnt_dscnt 0x900
	v_mul_f64_e32 v[149:150], v[141:142], v[32:33]
	v_mul_f64_e32 v[32:33], v[143:144], v[32:33]
	v_add_f64_e32 v[145:146], v[145:146], v[153:154]
	v_add_f64_e32 v[147:148], v[147:148], v[151:152]
	v_fma_f64 v[151:152], v[4:5], v[26:27], v[155:156]
	v_fma_f64 v[153:154], v[2:3], v[26:27], -v[28:29]
	ds_load_b128 v[2:5], v1 offset:1184
	scratch_load_b128 v[26:29], off, off offset:640
	v_fma_f64 v[143:144], v[143:144], v[30:31], v[149:150]
	v_fma_f64 v[141:142], v[141:142], v[30:31], -v[32:33]
	scratch_load_b128 v[30:33], off, off offset:656
	v_add_f64_e32 v[145:146], v[145:146], v[42:43]
	v_add_f64_e32 v[147:148], v[147:148], v[44:45]
	ds_load_b128 v[42:45], v1 offset:1200
	s_wait_loadcnt_dscnt 0xa01
	v_mul_f64_e32 v[155:156], v[2:3], v[36:37]
	v_mul_f64_e32 v[36:37], v[4:5], v[36:37]
	s_wait_loadcnt_dscnt 0x800
	v_mul_f64_e32 v[149:150], v[42:43], v[139:140]
	v_add_f64_e32 v[145:146], v[145:146], v[153:154]
	v_add_f64_e32 v[147:148], v[147:148], v[151:152]
	v_mul_f64_e32 v[151:152], v[44:45], v[139:140]
	v_fma_f64 v[153:154], v[4:5], v[34:35], v[155:156]
	v_fma_f64 v[155:156], v[2:3], v[34:35], -v[36:37]
	ds_load_b128 v[2:5], v1 offset:1216
	scratch_load_b128 v[34:37], off, off offset:672
	v_fma_f64 v[44:45], v[44:45], v[137:138], v[149:150]
	v_add_f64_e32 v[145:146], v[145:146], v[141:142]
	v_add_f64_e32 v[143:144], v[147:148], v[143:144]
	ds_load_b128 v[139:142], v1 offset:1232
	v_fma_f64 v[137:138], v[42:43], v[137:138], -v[151:152]
	s_wait_loadcnt_dscnt 0x801
	v_mul_f64_e32 v[147:148], v[2:3], v[40:41]
	v_mul_f64_e32 v[157:158], v[4:5], v[40:41]
	scratch_load_b128 v[40:43], off, off offset:688
	s_wait_loadcnt_dscnt 0x800
	v_mul_f64_e32 v[149:150], v[139:140], v[8:9]
	v_mul_f64_e32 v[8:9], v[141:142], v[8:9]
	v_add_f64_e32 v[145:146], v[145:146], v[155:156]
	v_add_f64_e32 v[143:144], v[143:144], v[153:154]
	v_fma_f64 v[147:148], v[4:5], v[38:39], v[147:148]
	v_fma_f64 v[38:39], v[2:3], v[38:39], -v[157:158]
	v_fma_f64 v[141:142], v[141:142], v[6:7], v[149:150]
	v_fma_f64 v[6:7], v[139:140], v[6:7], -v[8:9]
	v_add_f64_e32 v[137:138], v[145:146], v[137:138]
	v_add_f64_e32 v[44:45], v[143:144], v[44:45]
	ds_load_b128 v[2:5], v1 offset:1248
	ds_load_b128 v[143:146], v1 offset:1264
	s_wait_loadcnt_dscnt 0x701
	v_mul_f64_e32 v[151:152], v[2:3], v[12:13]
	v_mul_f64_e32 v[12:13], v[4:5], v[12:13]
	v_add_f64_e32 v[8:9], v[137:138], v[38:39]
	v_add_f64_e32 v[38:39], v[44:45], v[147:148]
	s_wait_loadcnt_dscnt 0x600
	v_mul_f64_e32 v[44:45], v[143:144], v[16:17]
	v_mul_f64_e32 v[16:17], v[145:146], v[16:17]
	v_fma_f64 v[137:138], v[4:5], v[10:11], v[151:152]
	v_fma_f64 v[10:11], v[2:3], v[10:11], -v[12:13]
	v_add_f64_e32 v[12:13], v[8:9], v[6:7]
	v_add_f64_e32 v[38:39], v[38:39], v[141:142]
	ds_load_b128 v[2:5], v1 offset:1280
	ds_load_b128 v[6:9], v1 offset:1296
	v_fma_f64 v[44:45], v[145:146], v[14:15], v[44:45]
	v_fma_f64 v[14:15], v[143:144], v[14:15], -v[16:17]
	s_wait_loadcnt_dscnt 0x501
	v_mul_f64_e32 v[139:140], v[2:3], v[20:21]
	v_mul_f64_e32 v[20:21], v[4:5], v[20:21]
	s_wait_loadcnt_dscnt 0x400
	v_mul_f64_e32 v[16:17], v[6:7], v[24:25]
	v_mul_f64_e32 v[24:25], v[8:9], v[24:25]
	v_add_f64_e32 v[10:11], v[12:13], v[10:11]
	v_add_f64_e32 v[12:13], v[38:39], v[137:138]
	v_fma_f64 v[38:39], v[4:5], v[18:19], v[139:140]
	v_fma_f64 v[18:19], v[2:3], v[18:19], -v[20:21]
	v_fma_f64 v[8:9], v[8:9], v[22:23], v[16:17]
	v_fma_f64 v[6:7], v[6:7], v[22:23], -v[24:25]
	v_add_f64_e32 v[14:15], v[10:11], v[14:15]
	v_add_f64_e32 v[20:21], v[12:13], v[44:45]
	ds_load_b128 v[2:5], v1 offset:1312
	ds_load_b128 v[10:13], v1 offset:1328
	s_wait_loadcnt_dscnt 0x301
	v_mul_f64_e32 v[44:45], v[2:3], v[28:29]
	v_mul_f64_e32 v[28:29], v[4:5], v[28:29]
	v_add_f64_e32 v[14:15], v[14:15], v[18:19]
	v_add_f64_e32 v[16:17], v[20:21], v[38:39]
	s_wait_loadcnt_dscnt 0x200
	v_mul_f64_e32 v[18:19], v[10:11], v[32:33]
	v_mul_f64_e32 v[20:21], v[12:13], v[32:33]
	v_fma_f64 v[22:23], v[4:5], v[26:27], v[44:45]
	v_fma_f64 v[24:25], v[2:3], v[26:27], -v[28:29]
	v_add_f64_e32 v[14:15], v[14:15], v[6:7]
	v_add_f64_e32 v[16:17], v[16:17], v[8:9]
	ds_load_b128 v[2:5], v1 offset:1344
	ds_load_b128 v[6:9], v1 offset:1360
	v_fma_f64 v[12:13], v[12:13], v[30:31], v[18:19]
	v_fma_f64 v[10:11], v[10:11], v[30:31], -v[20:21]
	s_wait_loadcnt_dscnt 0x101
	v_mul_f64_e32 v[26:27], v[2:3], v[36:37]
	v_mul_f64_e32 v[28:29], v[4:5], v[36:37]
	s_wait_loadcnt_dscnt 0x0
	v_mul_f64_e32 v[18:19], v[6:7], v[42:43]
	v_add_f64_e32 v[14:15], v[14:15], v[24:25]
	v_add_f64_e32 v[16:17], v[16:17], v[22:23]
	v_mul_f64_e32 v[20:21], v[8:9], v[42:43]
	v_fma_f64 v[4:5], v[4:5], v[34:35], v[26:27]
	v_fma_f64 v[1:2], v[2:3], v[34:35], -v[28:29]
	v_fma_f64 v[8:9], v[8:9], v[40:41], v[18:19]
	v_add_f64_e32 v[10:11], v[14:15], v[10:11]
	v_add_f64_e32 v[12:13], v[16:17], v[12:13]
	v_fma_f64 v[6:7], v[6:7], v[40:41], -v[20:21]
	s_delay_alu instid0(VALU_DEP_3) | instskip(NEXT) | instid1(VALU_DEP_3)
	v_add_f64_e32 v[1:2], v[10:11], v[1:2]
	v_add_f64_e32 v[3:4], v[12:13], v[4:5]
	s_delay_alu instid0(VALU_DEP_2) | instskip(NEXT) | instid1(VALU_DEP_2)
	v_add_f64_e32 v[1:2], v[1:2], v[6:7]
	v_add_f64_e32 v[3:4], v[3:4], v[8:9]
	s_delay_alu instid0(VALU_DEP_2) | instskip(NEXT) | instid1(VALU_DEP_2)
	v_add_f64_e64 v[1:2], v[133:134], -v[1:2]
	v_add_f64_e64 v[3:4], v[135:136], -v[3:4]
	scratch_store_b128 off, v[1:4], off offset:368
	v_cmpx_lt_u32_e32 21, v0
	s_cbranch_execz .LBB106_229
; %bb.228:
	scratch_load_b128 v[1:4], off, s39
	v_mov_b32_e32 v5, 0
	s_delay_alu instid0(VALU_DEP_1)
	v_dual_mov_b32 v6, v5 :: v_dual_mov_b32 v7, v5
	v_mov_b32_e32 v8, v5
	scratch_store_b128 off, v[5:8], off offset:352
	s_wait_loadcnt 0x0
	ds_store_b128 v132, v[1:4]
.LBB106_229:
	s_wait_alu 0xfffe
	s_or_b32 exec_lo, exec_lo, s0
	s_wait_storecnt_dscnt 0x0
	s_barrier_signal -1
	s_barrier_wait -1
	global_inv scope:SCOPE_SE
	s_clause 0x7
	scratch_load_b128 v[2:5], off, off offset:368
	scratch_load_b128 v[6:9], off, off offset:384
	;; [unrolled: 1-line block ×8, first 2 shown]
	v_mov_b32_e32 v1, 0
	s_mov_b32 s0, exec_lo
	ds_load_b128 v[34:37], v1 offset:1040
	s_clause 0x1
	scratch_load_b128 v[38:41], off, off offset:496
	scratch_load_b128 v[42:45], off, off offset:352
	ds_load_b128 v[133:136], v1 offset:1056
	scratch_load_b128 v[137:140], off, off offset:512
	s_wait_loadcnt_dscnt 0xa01
	v_mul_f64_e32 v[141:142], v[36:37], v[4:5]
	v_mul_f64_e32 v[4:5], v[34:35], v[4:5]
	s_delay_alu instid0(VALU_DEP_2) | instskip(NEXT) | instid1(VALU_DEP_2)
	v_fma_f64 v[147:148], v[34:35], v[2:3], -v[141:142]
	v_fma_f64 v[149:150], v[36:37], v[2:3], v[4:5]
	ds_load_b128 v[2:5], v1 offset:1072
	s_wait_loadcnt_dscnt 0x901
	v_mul_f64_e32 v[145:146], v[133:134], v[8:9]
	v_mul_f64_e32 v[8:9], v[135:136], v[8:9]
	scratch_load_b128 v[34:37], off, off offset:528
	ds_load_b128 v[141:144], v1 offset:1088
	s_wait_loadcnt_dscnt 0x901
	v_mul_f64_e32 v[151:152], v[2:3], v[12:13]
	v_mul_f64_e32 v[12:13], v[4:5], v[12:13]
	v_fma_f64 v[135:136], v[135:136], v[6:7], v[145:146]
	v_fma_f64 v[133:134], v[133:134], v[6:7], -v[8:9]
	v_add_f64_e32 v[145:146], 0, v[147:148]
	v_add_f64_e32 v[147:148], 0, v[149:150]
	scratch_load_b128 v[6:9], off, off offset:544
	v_fma_f64 v[151:152], v[4:5], v[10:11], v[151:152]
	v_fma_f64 v[153:154], v[2:3], v[10:11], -v[12:13]
	ds_load_b128 v[2:5], v1 offset:1104
	s_wait_loadcnt_dscnt 0x901
	v_mul_f64_e32 v[149:150], v[141:142], v[16:17]
	v_mul_f64_e32 v[16:17], v[143:144], v[16:17]
	scratch_load_b128 v[10:13], off, off offset:560
	v_add_f64_e32 v[145:146], v[145:146], v[133:134]
	v_add_f64_e32 v[147:148], v[147:148], v[135:136]
	s_wait_loadcnt_dscnt 0x900
	v_mul_f64_e32 v[155:156], v[2:3], v[20:21]
	v_mul_f64_e32 v[20:21], v[4:5], v[20:21]
	ds_load_b128 v[133:136], v1 offset:1120
	v_fma_f64 v[143:144], v[143:144], v[14:15], v[149:150]
	v_fma_f64 v[141:142], v[141:142], v[14:15], -v[16:17]
	scratch_load_b128 v[14:17], off, off offset:576
	v_add_f64_e32 v[145:146], v[145:146], v[153:154]
	v_add_f64_e32 v[147:148], v[147:148], v[151:152]
	v_fma_f64 v[151:152], v[4:5], v[18:19], v[155:156]
	v_fma_f64 v[153:154], v[2:3], v[18:19], -v[20:21]
	ds_load_b128 v[2:5], v1 offset:1136
	s_wait_loadcnt_dscnt 0x901
	v_mul_f64_e32 v[149:150], v[133:134], v[24:25]
	v_mul_f64_e32 v[24:25], v[135:136], v[24:25]
	scratch_load_b128 v[18:21], off, off offset:592
	s_wait_loadcnt_dscnt 0x900
	v_mul_f64_e32 v[155:156], v[2:3], v[28:29]
	v_mul_f64_e32 v[28:29], v[4:5], v[28:29]
	v_add_f64_e32 v[145:146], v[145:146], v[141:142]
	v_add_f64_e32 v[147:148], v[147:148], v[143:144]
	ds_load_b128 v[141:144], v1 offset:1152
	v_fma_f64 v[135:136], v[135:136], v[22:23], v[149:150]
	v_fma_f64 v[133:134], v[133:134], v[22:23], -v[24:25]
	scratch_load_b128 v[22:25], off, off offset:608
	v_add_f64_e32 v[145:146], v[145:146], v[153:154]
	v_add_f64_e32 v[147:148], v[147:148], v[151:152]
	v_fma_f64 v[151:152], v[4:5], v[26:27], v[155:156]
	v_fma_f64 v[153:154], v[2:3], v[26:27], -v[28:29]
	ds_load_b128 v[2:5], v1 offset:1168
	s_wait_loadcnt_dscnt 0x901
	v_mul_f64_e32 v[149:150], v[141:142], v[32:33]
	v_mul_f64_e32 v[32:33], v[143:144], v[32:33]
	scratch_load_b128 v[26:29], off, off offset:624
	s_wait_loadcnt_dscnt 0x900
	v_mul_f64_e32 v[155:156], v[2:3], v[40:41]
	v_mul_f64_e32 v[40:41], v[4:5], v[40:41]
	v_add_f64_e32 v[145:146], v[145:146], v[133:134]
	v_add_f64_e32 v[147:148], v[147:148], v[135:136]
	ds_load_b128 v[133:136], v1 offset:1184
	v_fma_f64 v[143:144], v[143:144], v[30:31], v[149:150]
	v_fma_f64 v[141:142], v[141:142], v[30:31], -v[32:33]
	scratch_load_b128 v[30:33], off, off offset:640
	v_add_f64_e32 v[145:146], v[145:146], v[153:154]
	v_add_f64_e32 v[147:148], v[147:148], v[151:152]
	v_fma_f64 v[153:154], v[4:5], v[38:39], v[155:156]
	v_fma_f64 v[155:156], v[2:3], v[38:39], -v[40:41]
	ds_load_b128 v[2:5], v1 offset:1200
	s_wait_loadcnt_dscnt 0x801
	v_mul_f64_e32 v[149:150], v[133:134], v[139:140]
	v_mul_f64_e32 v[151:152], v[135:136], v[139:140]
	scratch_load_b128 v[38:41], off, off offset:656
	v_add_f64_e32 v[145:146], v[145:146], v[141:142]
	v_add_f64_e32 v[143:144], v[147:148], v[143:144]
	ds_load_b128 v[139:142], v1 offset:1216
	v_fma_f64 v[149:150], v[135:136], v[137:138], v[149:150]
	v_fma_f64 v[137:138], v[133:134], v[137:138], -v[151:152]
	scratch_load_b128 v[133:136], off, off offset:672
	s_wait_loadcnt_dscnt 0x901
	v_mul_f64_e32 v[147:148], v[2:3], v[36:37]
	v_mul_f64_e32 v[36:37], v[4:5], v[36:37]
	v_add_f64_e32 v[145:146], v[145:146], v[155:156]
	v_add_f64_e32 v[143:144], v[143:144], v[153:154]
	s_delay_alu instid0(VALU_DEP_4) | instskip(NEXT) | instid1(VALU_DEP_4)
	v_fma_f64 v[147:148], v[4:5], v[34:35], v[147:148]
	v_fma_f64 v[153:154], v[2:3], v[34:35], -v[36:37]
	ds_load_b128 v[2:5], v1 offset:1232
	s_wait_loadcnt_dscnt 0x801
	v_mul_f64_e32 v[151:152], v[139:140], v[8:9]
	v_mul_f64_e32 v[8:9], v[141:142], v[8:9]
	scratch_load_b128 v[34:37], off, off offset:688
	s_wait_loadcnt_dscnt 0x800
	v_mul_f64_e32 v[155:156], v[2:3], v[12:13]
	v_add_f64_e32 v[137:138], v[145:146], v[137:138]
	v_add_f64_e32 v[149:150], v[143:144], v[149:150]
	v_mul_f64_e32 v[12:13], v[4:5], v[12:13]
	ds_load_b128 v[143:146], v1 offset:1248
	v_fma_f64 v[141:142], v[141:142], v[6:7], v[151:152]
	v_fma_f64 v[6:7], v[139:140], v[6:7], -v[8:9]
	s_wait_loadcnt_dscnt 0x700
	v_mul_f64_e32 v[139:140], v[143:144], v[16:17]
	v_add_f64_e32 v[8:9], v[137:138], v[153:154]
	v_add_f64_e32 v[137:138], v[149:150], v[147:148]
	v_mul_f64_e32 v[16:17], v[145:146], v[16:17]
	v_fma_f64 v[147:148], v[4:5], v[10:11], v[155:156]
	v_fma_f64 v[10:11], v[2:3], v[10:11], -v[12:13]
	v_fma_f64 v[139:140], v[145:146], v[14:15], v[139:140]
	v_add_f64_e32 v[12:13], v[8:9], v[6:7]
	v_add_f64_e32 v[137:138], v[137:138], v[141:142]
	ds_load_b128 v[2:5], v1 offset:1264
	ds_load_b128 v[6:9], v1 offset:1280
	v_fma_f64 v[14:15], v[143:144], v[14:15], -v[16:17]
	s_wait_loadcnt_dscnt 0x601
	v_mul_f64_e32 v[141:142], v[2:3], v[20:21]
	v_mul_f64_e32 v[20:21], v[4:5], v[20:21]
	s_wait_loadcnt_dscnt 0x500
	v_mul_f64_e32 v[16:17], v[6:7], v[24:25]
	v_mul_f64_e32 v[24:25], v[8:9], v[24:25]
	v_add_f64_e32 v[10:11], v[12:13], v[10:11]
	v_add_f64_e32 v[12:13], v[137:138], v[147:148]
	v_fma_f64 v[137:138], v[4:5], v[18:19], v[141:142]
	v_fma_f64 v[18:19], v[2:3], v[18:19], -v[20:21]
	v_fma_f64 v[8:9], v[8:9], v[22:23], v[16:17]
	v_fma_f64 v[6:7], v[6:7], v[22:23], -v[24:25]
	v_add_f64_e32 v[14:15], v[10:11], v[14:15]
	v_add_f64_e32 v[20:21], v[12:13], v[139:140]
	ds_load_b128 v[2:5], v1 offset:1296
	ds_load_b128 v[10:13], v1 offset:1312
	s_wait_loadcnt_dscnt 0x401
	v_mul_f64_e32 v[139:140], v[2:3], v[28:29]
	v_mul_f64_e32 v[28:29], v[4:5], v[28:29]
	v_add_f64_e32 v[14:15], v[14:15], v[18:19]
	v_add_f64_e32 v[16:17], v[20:21], v[137:138]
	s_wait_loadcnt_dscnt 0x300
	v_mul_f64_e32 v[18:19], v[10:11], v[32:33]
	v_mul_f64_e32 v[20:21], v[12:13], v[32:33]
	v_fma_f64 v[22:23], v[4:5], v[26:27], v[139:140]
	v_fma_f64 v[24:25], v[2:3], v[26:27], -v[28:29]
	v_add_f64_e32 v[14:15], v[14:15], v[6:7]
	v_add_f64_e32 v[16:17], v[16:17], v[8:9]
	ds_load_b128 v[2:5], v1 offset:1328
	ds_load_b128 v[6:9], v1 offset:1344
	v_fma_f64 v[12:13], v[12:13], v[30:31], v[18:19]
	v_fma_f64 v[10:11], v[10:11], v[30:31], -v[20:21]
	s_wait_loadcnt_dscnt 0x201
	v_mul_f64_e32 v[26:27], v[2:3], v[40:41]
	v_mul_f64_e32 v[28:29], v[4:5], v[40:41]
	s_wait_loadcnt_dscnt 0x100
	v_mul_f64_e32 v[18:19], v[6:7], v[135:136]
	v_mul_f64_e32 v[20:21], v[8:9], v[135:136]
	v_add_f64_e32 v[14:15], v[14:15], v[24:25]
	v_add_f64_e32 v[16:17], v[16:17], v[22:23]
	v_fma_f64 v[22:23], v[4:5], v[38:39], v[26:27]
	v_fma_f64 v[24:25], v[2:3], v[38:39], -v[28:29]
	ds_load_b128 v[2:5], v1 offset:1360
	v_fma_f64 v[8:9], v[8:9], v[133:134], v[18:19]
	v_fma_f64 v[6:7], v[6:7], v[133:134], -v[20:21]
	v_add_f64_e32 v[10:11], v[14:15], v[10:11]
	v_add_f64_e32 v[12:13], v[16:17], v[12:13]
	s_wait_loadcnt_dscnt 0x0
	v_mul_f64_e32 v[14:15], v[2:3], v[36:37]
	v_mul_f64_e32 v[16:17], v[4:5], v[36:37]
	s_delay_alu instid0(VALU_DEP_4) | instskip(NEXT) | instid1(VALU_DEP_4)
	v_add_f64_e32 v[10:11], v[10:11], v[24:25]
	v_add_f64_e32 v[12:13], v[12:13], v[22:23]
	s_delay_alu instid0(VALU_DEP_4) | instskip(NEXT) | instid1(VALU_DEP_4)
	v_fma_f64 v[4:5], v[4:5], v[34:35], v[14:15]
	v_fma_f64 v[2:3], v[2:3], v[34:35], -v[16:17]
	s_delay_alu instid0(VALU_DEP_4) | instskip(NEXT) | instid1(VALU_DEP_4)
	v_add_f64_e32 v[6:7], v[10:11], v[6:7]
	v_add_f64_e32 v[8:9], v[12:13], v[8:9]
	s_delay_alu instid0(VALU_DEP_2) | instskip(NEXT) | instid1(VALU_DEP_2)
	v_add_f64_e32 v[2:3], v[6:7], v[2:3]
	v_add_f64_e32 v[4:5], v[8:9], v[4:5]
	s_delay_alu instid0(VALU_DEP_2) | instskip(NEXT) | instid1(VALU_DEP_2)
	v_add_f64_e64 v[2:3], v[42:43], -v[2:3]
	v_add_f64_e64 v[4:5], v[44:45], -v[4:5]
	scratch_store_b128 off, v[2:5], off offset:352
	v_cmpx_lt_u32_e32 20, v0
	s_cbranch_execz .LBB106_231
; %bb.230:
	scratch_load_b128 v[5:8], off, s17
	v_dual_mov_b32 v2, v1 :: v_dual_mov_b32 v3, v1
	v_mov_b32_e32 v4, v1
	scratch_store_b128 off, v[1:4], off offset:336
	s_wait_loadcnt 0x0
	ds_store_b128 v132, v[5:8]
.LBB106_231:
	s_wait_alu 0xfffe
	s_or_b32 exec_lo, exec_lo, s0
	s_wait_storecnt_dscnt 0x0
	s_barrier_signal -1
	s_barrier_wait -1
	global_inv scope:SCOPE_SE
	s_clause 0x8
	scratch_load_b128 v[2:5], off, off offset:352
	scratch_load_b128 v[6:9], off, off offset:368
	;; [unrolled: 1-line block ×9, first 2 shown]
	ds_load_b128 v[38:41], v1 offset:1024
	ds_load_b128 v[42:45], v1 offset:1040
	s_clause 0x1
	scratch_load_b128 v[133:136], off, off offset:336
	scratch_load_b128 v[137:140], off, off offset:496
	s_mov_b32 s0, exec_lo
	s_wait_loadcnt_dscnt 0xa01
	v_mul_f64_e32 v[141:142], v[40:41], v[4:5]
	v_mul_f64_e32 v[4:5], v[38:39], v[4:5]
	s_wait_loadcnt_dscnt 0x900
	v_mul_f64_e32 v[145:146], v[42:43], v[8:9]
	v_mul_f64_e32 v[8:9], v[44:45], v[8:9]
	s_delay_alu instid0(VALU_DEP_4) | instskip(NEXT) | instid1(VALU_DEP_4)
	v_fma_f64 v[147:148], v[38:39], v[2:3], -v[141:142]
	v_fma_f64 v[149:150], v[40:41], v[2:3], v[4:5]
	ds_load_b128 v[2:5], v1 offset:1056
	ds_load_b128 v[141:144], v1 offset:1072
	scratch_load_b128 v[38:41], off, off offset:512
	v_fma_f64 v[44:45], v[44:45], v[6:7], v[145:146]
	v_fma_f64 v[42:43], v[42:43], v[6:7], -v[8:9]
	scratch_load_b128 v[6:9], off, off offset:528
	s_wait_loadcnt_dscnt 0xa01
	v_mul_f64_e32 v[151:152], v[2:3], v[12:13]
	v_mul_f64_e32 v[12:13], v[4:5], v[12:13]
	v_add_f64_e32 v[145:146], 0, v[147:148]
	v_add_f64_e32 v[147:148], 0, v[149:150]
	s_wait_loadcnt_dscnt 0x900
	v_mul_f64_e32 v[149:150], v[141:142], v[16:17]
	v_mul_f64_e32 v[16:17], v[143:144], v[16:17]
	v_fma_f64 v[151:152], v[4:5], v[10:11], v[151:152]
	v_fma_f64 v[153:154], v[2:3], v[10:11], -v[12:13]
	ds_load_b128 v[2:5], v1 offset:1088
	scratch_load_b128 v[10:13], off, off offset:544
	v_add_f64_e32 v[145:146], v[145:146], v[42:43]
	v_add_f64_e32 v[147:148], v[147:148], v[44:45]
	ds_load_b128 v[42:45], v1 offset:1104
	v_fma_f64 v[143:144], v[143:144], v[14:15], v[149:150]
	v_fma_f64 v[141:142], v[141:142], v[14:15], -v[16:17]
	scratch_load_b128 v[14:17], off, off offset:560
	s_wait_loadcnt_dscnt 0xa01
	v_mul_f64_e32 v[155:156], v[2:3], v[20:21]
	v_mul_f64_e32 v[20:21], v[4:5], v[20:21]
	s_wait_loadcnt_dscnt 0x900
	v_mul_f64_e32 v[149:150], v[42:43], v[24:25]
	v_mul_f64_e32 v[24:25], v[44:45], v[24:25]
	v_add_f64_e32 v[145:146], v[145:146], v[153:154]
	v_add_f64_e32 v[147:148], v[147:148], v[151:152]
	v_fma_f64 v[151:152], v[4:5], v[18:19], v[155:156]
	v_fma_f64 v[153:154], v[2:3], v[18:19], -v[20:21]
	ds_load_b128 v[2:5], v1 offset:1120
	scratch_load_b128 v[18:21], off, off offset:576
	v_fma_f64 v[44:45], v[44:45], v[22:23], v[149:150]
	v_fma_f64 v[42:43], v[42:43], v[22:23], -v[24:25]
	scratch_load_b128 v[22:25], off, off offset:592
	v_add_f64_e32 v[145:146], v[145:146], v[141:142]
	v_add_f64_e32 v[147:148], v[147:148], v[143:144]
	ds_load_b128 v[141:144], v1 offset:1136
	s_wait_loadcnt_dscnt 0xa01
	v_mul_f64_e32 v[155:156], v[2:3], v[28:29]
	v_mul_f64_e32 v[28:29], v[4:5], v[28:29]
	s_wait_loadcnt_dscnt 0x900
	v_mul_f64_e32 v[149:150], v[141:142], v[32:33]
	v_mul_f64_e32 v[32:33], v[143:144], v[32:33]
	v_add_f64_e32 v[145:146], v[145:146], v[153:154]
	v_add_f64_e32 v[147:148], v[147:148], v[151:152]
	v_fma_f64 v[151:152], v[4:5], v[26:27], v[155:156]
	v_fma_f64 v[153:154], v[2:3], v[26:27], -v[28:29]
	ds_load_b128 v[2:5], v1 offset:1152
	scratch_load_b128 v[26:29], off, off offset:608
	v_fma_f64 v[143:144], v[143:144], v[30:31], v[149:150]
	v_fma_f64 v[141:142], v[141:142], v[30:31], -v[32:33]
	scratch_load_b128 v[30:33], off, off offset:624
	v_add_f64_e32 v[145:146], v[145:146], v[42:43]
	v_add_f64_e32 v[147:148], v[147:148], v[44:45]
	ds_load_b128 v[42:45], v1 offset:1168
	s_wait_loadcnt_dscnt 0xa01
	v_mul_f64_e32 v[155:156], v[2:3], v[36:37]
	v_mul_f64_e32 v[36:37], v[4:5], v[36:37]
	s_wait_loadcnt_dscnt 0x800
	v_mul_f64_e32 v[149:150], v[42:43], v[139:140]
	v_add_f64_e32 v[145:146], v[145:146], v[153:154]
	v_add_f64_e32 v[147:148], v[147:148], v[151:152]
	v_mul_f64_e32 v[151:152], v[44:45], v[139:140]
	v_fma_f64 v[153:154], v[4:5], v[34:35], v[155:156]
	v_fma_f64 v[155:156], v[2:3], v[34:35], -v[36:37]
	ds_load_b128 v[2:5], v1 offset:1184
	scratch_load_b128 v[34:37], off, off offset:640
	v_fma_f64 v[44:45], v[44:45], v[137:138], v[149:150]
	v_add_f64_e32 v[145:146], v[145:146], v[141:142]
	v_add_f64_e32 v[143:144], v[147:148], v[143:144]
	ds_load_b128 v[139:142], v1 offset:1200
	v_fma_f64 v[137:138], v[42:43], v[137:138], -v[151:152]
	s_wait_loadcnt_dscnt 0x801
	v_mul_f64_e32 v[147:148], v[2:3], v[40:41]
	v_mul_f64_e32 v[157:158], v[4:5], v[40:41]
	scratch_load_b128 v[40:43], off, off offset:656
	s_wait_loadcnt_dscnt 0x800
	v_mul_f64_e32 v[151:152], v[139:140], v[8:9]
	v_mul_f64_e32 v[8:9], v[141:142], v[8:9]
	v_add_f64_e32 v[145:146], v[145:146], v[155:156]
	v_add_f64_e32 v[143:144], v[143:144], v[153:154]
	v_fma_f64 v[153:154], v[4:5], v[38:39], v[147:148]
	v_fma_f64 v[38:39], v[2:3], v[38:39], -v[157:158]
	ds_load_b128 v[2:5], v1 offset:1216
	ds_load_b128 v[147:150], v1 offset:1232
	v_fma_f64 v[141:142], v[141:142], v[6:7], v[151:152]
	v_fma_f64 v[139:140], v[139:140], v[6:7], -v[8:9]
	scratch_load_b128 v[6:9], off, off offset:688
	v_add_f64_e32 v[137:138], v[145:146], v[137:138]
	v_add_f64_e32 v[44:45], v[143:144], v[44:45]
	scratch_load_b128 v[143:146], off, off offset:672
	s_wait_loadcnt_dscnt 0x901
	v_mul_f64_e32 v[155:156], v[2:3], v[12:13]
	v_mul_f64_e32 v[12:13], v[4:5], v[12:13]
	v_add_f64_e32 v[38:39], v[137:138], v[38:39]
	v_add_f64_e32 v[44:45], v[44:45], v[153:154]
	s_wait_loadcnt_dscnt 0x800
	v_mul_f64_e32 v[137:138], v[147:148], v[16:17]
	v_mul_f64_e32 v[16:17], v[149:150], v[16:17]
	v_fma_f64 v[151:152], v[4:5], v[10:11], v[155:156]
	v_fma_f64 v[153:154], v[2:3], v[10:11], -v[12:13]
	ds_load_b128 v[2:5], v1 offset:1248
	ds_load_b128 v[10:13], v1 offset:1264
	v_add_f64_e32 v[38:39], v[38:39], v[139:140]
	v_add_f64_e32 v[44:45], v[44:45], v[141:142]
	s_wait_loadcnt_dscnt 0x701
	v_mul_f64_e32 v[139:140], v[2:3], v[20:21]
	v_mul_f64_e32 v[20:21], v[4:5], v[20:21]
	v_fma_f64 v[137:138], v[149:150], v[14:15], v[137:138]
	v_fma_f64 v[14:15], v[147:148], v[14:15], -v[16:17]
	v_add_f64_e32 v[16:17], v[38:39], v[153:154]
	v_add_f64_e32 v[38:39], v[44:45], v[151:152]
	s_wait_loadcnt_dscnt 0x600
	v_mul_f64_e32 v[44:45], v[10:11], v[24:25]
	v_mul_f64_e32 v[24:25], v[12:13], v[24:25]
	v_fma_f64 v[139:140], v[4:5], v[18:19], v[139:140]
	v_fma_f64 v[18:19], v[2:3], v[18:19], -v[20:21]
	v_add_f64_e32 v[20:21], v[16:17], v[14:15]
	v_add_f64_e32 v[38:39], v[38:39], v[137:138]
	ds_load_b128 v[2:5], v1 offset:1280
	ds_load_b128 v[14:17], v1 offset:1296
	v_fma_f64 v[12:13], v[12:13], v[22:23], v[44:45]
	v_fma_f64 v[10:11], v[10:11], v[22:23], -v[24:25]
	s_wait_loadcnt_dscnt 0x501
	v_mul_f64_e32 v[137:138], v[2:3], v[28:29]
	v_mul_f64_e32 v[28:29], v[4:5], v[28:29]
	s_wait_loadcnt_dscnt 0x400
	v_mul_f64_e32 v[22:23], v[14:15], v[32:33]
	v_mul_f64_e32 v[24:25], v[16:17], v[32:33]
	v_add_f64_e32 v[18:19], v[20:21], v[18:19]
	v_add_f64_e32 v[20:21], v[38:39], v[139:140]
	v_fma_f64 v[32:33], v[4:5], v[26:27], v[137:138]
	v_fma_f64 v[26:27], v[2:3], v[26:27], -v[28:29]
	v_fma_f64 v[16:17], v[16:17], v[30:31], v[22:23]
	v_fma_f64 v[14:15], v[14:15], v[30:31], -v[24:25]
	v_add_f64_e32 v[18:19], v[18:19], v[10:11]
	v_add_f64_e32 v[20:21], v[20:21], v[12:13]
	ds_load_b128 v[2:5], v1 offset:1312
	ds_load_b128 v[10:13], v1 offset:1328
	s_wait_loadcnt_dscnt 0x301
	v_mul_f64_e32 v[28:29], v[2:3], v[36:37]
	v_mul_f64_e32 v[36:37], v[4:5], v[36:37]
	s_wait_loadcnt_dscnt 0x200
	v_mul_f64_e32 v[22:23], v[10:11], v[42:43]
	v_add_f64_e32 v[18:19], v[18:19], v[26:27]
	v_add_f64_e32 v[20:21], v[20:21], v[32:33]
	v_mul_f64_e32 v[24:25], v[12:13], v[42:43]
	v_fma_f64 v[26:27], v[4:5], v[34:35], v[28:29]
	v_fma_f64 v[28:29], v[2:3], v[34:35], -v[36:37]
	v_fma_f64 v[12:13], v[12:13], v[40:41], v[22:23]
	v_add_f64_e32 v[18:19], v[18:19], v[14:15]
	v_add_f64_e32 v[20:21], v[20:21], v[16:17]
	ds_load_b128 v[2:5], v1 offset:1344
	ds_load_b128 v[14:17], v1 offset:1360
	v_fma_f64 v[10:11], v[10:11], v[40:41], -v[24:25]
	s_wait_loadcnt_dscnt 0x1
	v_mul_f64_e32 v[30:31], v[2:3], v[145:146]
	v_mul_f64_e32 v[32:33], v[4:5], v[145:146]
	s_wait_dscnt 0x0
	v_mul_f64_e32 v[22:23], v[14:15], v[8:9]
	v_mul_f64_e32 v[8:9], v[16:17], v[8:9]
	v_add_f64_e32 v[18:19], v[18:19], v[28:29]
	v_add_f64_e32 v[20:21], v[20:21], v[26:27]
	v_fma_f64 v[4:5], v[4:5], v[143:144], v[30:31]
	v_fma_f64 v[1:2], v[2:3], v[143:144], -v[32:33]
	v_fma_f64 v[16:17], v[16:17], v[6:7], v[22:23]
	v_fma_f64 v[6:7], v[14:15], v[6:7], -v[8:9]
	v_add_f64_e32 v[10:11], v[18:19], v[10:11]
	v_add_f64_e32 v[12:13], v[20:21], v[12:13]
	s_delay_alu instid0(VALU_DEP_2) | instskip(NEXT) | instid1(VALU_DEP_2)
	v_add_f64_e32 v[1:2], v[10:11], v[1:2]
	v_add_f64_e32 v[3:4], v[12:13], v[4:5]
	s_delay_alu instid0(VALU_DEP_2) | instskip(NEXT) | instid1(VALU_DEP_2)
	;; [unrolled: 3-line block ×3, first 2 shown]
	v_add_f64_e64 v[1:2], v[133:134], -v[1:2]
	v_add_f64_e64 v[3:4], v[135:136], -v[3:4]
	scratch_store_b128 off, v[1:4], off offset:336
	v_cmpx_lt_u32_e32 19, v0
	s_cbranch_execz .LBB106_233
; %bb.232:
	scratch_load_b128 v[1:4], off, s38
	v_mov_b32_e32 v5, 0
	s_delay_alu instid0(VALU_DEP_1)
	v_dual_mov_b32 v6, v5 :: v_dual_mov_b32 v7, v5
	v_mov_b32_e32 v8, v5
	scratch_store_b128 off, v[5:8], off offset:320
	s_wait_loadcnt 0x0
	ds_store_b128 v132, v[1:4]
.LBB106_233:
	s_wait_alu 0xfffe
	s_or_b32 exec_lo, exec_lo, s0
	s_wait_storecnt_dscnt 0x0
	s_barrier_signal -1
	s_barrier_wait -1
	global_inv scope:SCOPE_SE
	s_clause 0x7
	scratch_load_b128 v[2:5], off, off offset:336
	scratch_load_b128 v[6:9], off, off offset:352
	;; [unrolled: 1-line block ×8, first 2 shown]
	v_mov_b32_e32 v1, 0
	s_mov_b32 s0, exec_lo
	ds_load_b128 v[34:37], v1 offset:1008
	s_clause 0x1
	scratch_load_b128 v[38:41], off, off offset:464
	scratch_load_b128 v[42:45], off, off offset:320
	ds_load_b128 v[133:136], v1 offset:1024
	scratch_load_b128 v[137:140], off, off offset:480
	s_wait_loadcnt_dscnt 0xa01
	v_mul_f64_e32 v[141:142], v[36:37], v[4:5]
	v_mul_f64_e32 v[4:5], v[34:35], v[4:5]
	s_delay_alu instid0(VALU_DEP_2) | instskip(NEXT) | instid1(VALU_DEP_2)
	v_fma_f64 v[147:148], v[34:35], v[2:3], -v[141:142]
	v_fma_f64 v[149:150], v[36:37], v[2:3], v[4:5]
	ds_load_b128 v[2:5], v1 offset:1040
	s_wait_loadcnt_dscnt 0x901
	v_mul_f64_e32 v[145:146], v[133:134], v[8:9]
	v_mul_f64_e32 v[8:9], v[135:136], v[8:9]
	scratch_load_b128 v[34:37], off, off offset:496
	ds_load_b128 v[141:144], v1 offset:1056
	s_wait_loadcnt_dscnt 0x901
	v_mul_f64_e32 v[151:152], v[2:3], v[12:13]
	v_mul_f64_e32 v[12:13], v[4:5], v[12:13]
	v_fma_f64 v[135:136], v[135:136], v[6:7], v[145:146]
	v_fma_f64 v[133:134], v[133:134], v[6:7], -v[8:9]
	v_add_f64_e32 v[145:146], 0, v[147:148]
	v_add_f64_e32 v[147:148], 0, v[149:150]
	scratch_load_b128 v[6:9], off, off offset:512
	v_fma_f64 v[151:152], v[4:5], v[10:11], v[151:152]
	v_fma_f64 v[153:154], v[2:3], v[10:11], -v[12:13]
	ds_load_b128 v[2:5], v1 offset:1072
	s_wait_loadcnt_dscnt 0x901
	v_mul_f64_e32 v[149:150], v[141:142], v[16:17]
	v_mul_f64_e32 v[16:17], v[143:144], v[16:17]
	scratch_load_b128 v[10:13], off, off offset:528
	v_add_f64_e32 v[145:146], v[145:146], v[133:134]
	v_add_f64_e32 v[147:148], v[147:148], v[135:136]
	s_wait_loadcnt_dscnt 0x900
	v_mul_f64_e32 v[155:156], v[2:3], v[20:21]
	v_mul_f64_e32 v[20:21], v[4:5], v[20:21]
	ds_load_b128 v[133:136], v1 offset:1088
	v_fma_f64 v[143:144], v[143:144], v[14:15], v[149:150]
	v_fma_f64 v[141:142], v[141:142], v[14:15], -v[16:17]
	scratch_load_b128 v[14:17], off, off offset:544
	v_add_f64_e32 v[145:146], v[145:146], v[153:154]
	v_add_f64_e32 v[147:148], v[147:148], v[151:152]
	v_fma_f64 v[151:152], v[4:5], v[18:19], v[155:156]
	v_fma_f64 v[153:154], v[2:3], v[18:19], -v[20:21]
	ds_load_b128 v[2:5], v1 offset:1104
	s_wait_loadcnt_dscnt 0x901
	v_mul_f64_e32 v[149:150], v[133:134], v[24:25]
	v_mul_f64_e32 v[24:25], v[135:136], v[24:25]
	scratch_load_b128 v[18:21], off, off offset:560
	s_wait_loadcnt_dscnt 0x900
	v_mul_f64_e32 v[155:156], v[2:3], v[28:29]
	v_mul_f64_e32 v[28:29], v[4:5], v[28:29]
	v_add_f64_e32 v[145:146], v[145:146], v[141:142]
	v_add_f64_e32 v[147:148], v[147:148], v[143:144]
	ds_load_b128 v[141:144], v1 offset:1120
	v_fma_f64 v[135:136], v[135:136], v[22:23], v[149:150]
	v_fma_f64 v[133:134], v[133:134], v[22:23], -v[24:25]
	scratch_load_b128 v[22:25], off, off offset:576
	v_add_f64_e32 v[145:146], v[145:146], v[153:154]
	v_add_f64_e32 v[147:148], v[147:148], v[151:152]
	v_fma_f64 v[151:152], v[4:5], v[26:27], v[155:156]
	v_fma_f64 v[153:154], v[2:3], v[26:27], -v[28:29]
	ds_load_b128 v[2:5], v1 offset:1136
	s_wait_loadcnt_dscnt 0x901
	v_mul_f64_e32 v[149:150], v[141:142], v[32:33]
	v_mul_f64_e32 v[32:33], v[143:144], v[32:33]
	scratch_load_b128 v[26:29], off, off offset:592
	s_wait_loadcnt_dscnt 0x900
	v_mul_f64_e32 v[155:156], v[2:3], v[40:41]
	v_mul_f64_e32 v[40:41], v[4:5], v[40:41]
	v_add_f64_e32 v[145:146], v[145:146], v[133:134]
	v_add_f64_e32 v[147:148], v[147:148], v[135:136]
	ds_load_b128 v[133:136], v1 offset:1152
	v_fma_f64 v[143:144], v[143:144], v[30:31], v[149:150]
	v_fma_f64 v[141:142], v[141:142], v[30:31], -v[32:33]
	scratch_load_b128 v[30:33], off, off offset:608
	v_add_f64_e32 v[145:146], v[145:146], v[153:154]
	v_add_f64_e32 v[147:148], v[147:148], v[151:152]
	v_fma_f64 v[153:154], v[4:5], v[38:39], v[155:156]
	v_fma_f64 v[155:156], v[2:3], v[38:39], -v[40:41]
	ds_load_b128 v[2:5], v1 offset:1168
	s_wait_loadcnt_dscnt 0x801
	v_mul_f64_e32 v[149:150], v[133:134], v[139:140]
	v_mul_f64_e32 v[151:152], v[135:136], v[139:140]
	scratch_load_b128 v[38:41], off, off offset:624
	v_add_f64_e32 v[145:146], v[145:146], v[141:142]
	v_add_f64_e32 v[143:144], v[147:148], v[143:144]
	ds_load_b128 v[139:142], v1 offset:1184
	v_fma_f64 v[149:150], v[135:136], v[137:138], v[149:150]
	v_fma_f64 v[137:138], v[133:134], v[137:138], -v[151:152]
	scratch_load_b128 v[133:136], off, off offset:640
	s_wait_loadcnt_dscnt 0x901
	v_mul_f64_e32 v[147:148], v[2:3], v[36:37]
	v_mul_f64_e32 v[36:37], v[4:5], v[36:37]
	v_add_f64_e32 v[145:146], v[145:146], v[155:156]
	v_add_f64_e32 v[143:144], v[143:144], v[153:154]
	s_delay_alu instid0(VALU_DEP_4) | instskip(NEXT) | instid1(VALU_DEP_4)
	v_fma_f64 v[147:148], v[4:5], v[34:35], v[147:148]
	v_fma_f64 v[153:154], v[2:3], v[34:35], -v[36:37]
	ds_load_b128 v[2:5], v1 offset:1200
	s_wait_loadcnt_dscnt 0x801
	v_mul_f64_e32 v[151:152], v[139:140], v[8:9]
	v_mul_f64_e32 v[8:9], v[141:142], v[8:9]
	scratch_load_b128 v[34:37], off, off offset:656
	s_wait_loadcnt_dscnt 0x800
	v_mul_f64_e32 v[155:156], v[2:3], v[12:13]
	v_add_f64_e32 v[137:138], v[145:146], v[137:138]
	v_add_f64_e32 v[149:150], v[143:144], v[149:150]
	v_mul_f64_e32 v[12:13], v[4:5], v[12:13]
	ds_load_b128 v[143:146], v1 offset:1216
	v_fma_f64 v[141:142], v[141:142], v[6:7], v[151:152]
	v_fma_f64 v[139:140], v[139:140], v[6:7], -v[8:9]
	scratch_load_b128 v[6:9], off, off offset:672
	v_fma_f64 v[151:152], v[4:5], v[10:11], v[155:156]
	v_add_f64_e32 v[137:138], v[137:138], v[153:154]
	v_add_f64_e32 v[147:148], v[149:150], v[147:148]
	v_fma_f64 v[153:154], v[2:3], v[10:11], -v[12:13]
	ds_load_b128 v[2:5], v1 offset:1232
	s_wait_loadcnt_dscnt 0x801
	v_mul_f64_e32 v[149:150], v[143:144], v[16:17]
	v_mul_f64_e32 v[16:17], v[145:146], v[16:17]
	scratch_load_b128 v[10:13], off, off offset:688
	v_add_f64_e32 v[155:156], v[137:138], v[139:140]
	v_add_f64_e32 v[141:142], v[147:148], v[141:142]
	s_wait_loadcnt_dscnt 0x800
	v_mul_f64_e32 v[147:148], v[2:3], v[20:21]
	v_mul_f64_e32 v[20:21], v[4:5], v[20:21]
	v_fma_f64 v[145:146], v[145:146], v[14:15], v[149:150]
	v_fma_f64 v[14:15], v[143:144], v[14:15], -v[16:17]
	ds_load_b128 v[137:140], v1 offset:1248
	s_wait_loadcnt_dscnt 0x700
	v_mul_f64_e32 v[143:144], v[137:138], v[24:25]
	v_mul_f64_e32 v[24:25], v[139:140], v[24:25]
	v_add_f64_e32 v[16:17], v[155:156], v[153:154]
	v_add_f64_e32 v[141:142], v[141:142], v[151:152]
	v_fma_f64 v[147:148], v[4:5], v[18:19], v[147:148]
	v_fma_f64 v[18:19], v[2:3], v[18:19], -v[20:21]
	v_fma_f64 v[139:140], v[139:140], v[22:23], v[143:144]
	v_fma_f64 v[22:23], v[137:138], v[22:23], -v[24:25]
	v_add_f64_e32 v[20:21], v[16:17], v[14:15]
	v_add_f64_e32 v[141:142], v[141:142], v[145:146]
	ds_load_b128 v[2:5], v1 offset:1264
	ds_load_b128 v[14:17], v1 offset:1280
	s_wait_loadcnt_dscnt 0x601
	v_mul_f64_e32 v[145:146], v[2:3], v[28:29]
	v_mul_f64_e32 v[28:29], v[4:5], v[28:29]
	s_wait_loadcnt_dscnt 0x500
	v_mul_f64_e32 v[24:25], v[14:15], v[32:33]
	v_mul_f64_e32 v[32:33], v[16:17], v[32:33]
	v_add_f64_e32 v[18:19], v[20:21], v[18:19]
	v_add_f64_e32 v[20:21], v[141:142], v[147:148]
	v_fma_f64 v[137:138], v[4:5], v[26:27], v[145:146]
	v_fma_f64 v[26:27], v[2:3], v[26:27], -v[28:29]
	v_fma_f64 v[16:17], v[16:17], v[30:31], v[24:25]
	v_fma_f64 v[14:15], v[14:15], v[30:31], -v[32:33]
	v_add_f64_e32 v[22:23], v[18:19], v[22:23]
	v_add_f64_e32 v[28:29], v[20:21], v[139:140]
	ds_load_b128 v[2:5], v1 offset:1296
	ds_load_b128 v[18:21], v1 offset:1312
	s_wait_loadcnt_dscnt 0x401
	v_mul_f64_e32 v[139:140], v[2:3], v[40:41]
	v_mul_f64_e32 v[40:41], v[4:5], v[40:41]
	v_add_f64_e32 v[22:23], v[22:23], v[26:27]
	v_add_f64_e32 v[24:25], v[28:29], v[137:138]
	s_wait_loadcnt_dscnt 0x300
	v_mul_f64_e32 v[26:27], v[18:19], v[135:136]
	v_mul_f64_e32 v[28:29], v[20:21], v[135:136]
	v_fma_f64 v[30:31], v[4:5], v[38:39], v[139:140]
	v_fma_f64 v[32:33], v[2:3], v[38:39], -v[40:41]
	v_add_f64_e32 v[22:23], v[22:23], v[14:15]
	v_add_f64_e32 v[24:25], v[24:25], v[16:17]
	ds_load_b128 v[2:5], v1 offset:1328
	ds_load_b128 v[14:17], v1 offset:1344
	v_fma_f64 v[20:21], v[20:21], v[133:134], v[26:27]
	v_fma_f64 v[18:19], v[18:19], v[133:134], -v[28:29]
	s_wait_loadcnt_dscnt 0x201
	v_mul_f64_e32 v[38:39], v[2:3], v[36:37]
	v_mul_f64_e32 v[36:37], v[4:5], v[36:37]
	s_wait_loadcnt_dscnt 0x100
	v_mul_f64_e32 v[26:27], v[14:15], v[8:9]
	v_mul_f64_e32 v[8:9], v[16:17], v[8:9]
	v_add_f64_e32 v[22:23], v[22:23], v[32:33]
	v_add_f64_e32 v[24:25], v[24:25], v[30:31]
	v_fma_f64 v[28:29], v[4:5], v[34:35], v[38:39]
	v_fma_f64 v[30:31], v[2:3], v[34:35], -v[36:37]
	ds_load_b128 v[2:5], v1 offset:1360
	v_fma_f64 v[16:17], v[16:17], v[6:7], v[26:27]
	v_fma_f64 v[6:7], v[14:15], v[6:7], -v[8:9]
	v_add_f64_e32 v[18:19], v[22:23], v[18:19]
	v_add_f64_e32 v[20:21], v[24:25], v[20:21]
	s_wait_loadcnt_dscnt 0x0
	v_mul_f64_e32 v[22:23], v[2:3], v[12:13]
	v_mul_f64_e32 v[12:13], v[4:5], v[12:13]
	s_delay_alu instid0(VALU_DEP_4) | instskip(NEXT) | instid1(VALU_DEP_4)
	v_add_f64_e32 v[8:9], v[18:19], v[30:31]
	v_add_f64_e32 v[14:15], v[20:21], v[28:29]
	s_delay_alu instid0(VALU_DEP_4) | instskip(NEXT) | instid1(VALU_DEP_4)
	v_fma_f64 v[4:5], v[4:5], v[10:11], v[22:23]
	v_fma_f64 v[2:3], v[2:3], v[10:11], -v[12:13]
	s_delay_alu instid0(VALU_DEP_4) | instskip(NEXT) | instid1(VALU_DEP_4)
	v_add_f64_e32 v[6:7], v[8:9], v[6:7]
	v_add_f64_e32 v[8:9], v[14:15], v[16:17]
	s_delay_alu instid0(VALU_DEP_2) | instskip(NEXT) | instid1(VALU_DEP_2)
	v_add_f64_e32 v[2:3], v[6:7], v[2:3]
	v_add_f64_e32 v[4:5], v[8:9], v[4:5]
	s_delay_alu instid0(VALU_DEP_2) | instskip(NEXT) | instid1(VALU_DEP_2)
	v_add_f64_e64 v[2:3], v[42:43], -v[2:3]
	v_add_f64_e64 v[4:5], v[44:45], -v[4:5]
	scratch_store_b128 off, v[2:5], off offset:320
	v_cmpx_lt_u32_e32 18, v0
	s_cbranch_execz .LBB106_235
; %bb.234:
	scratch_load_b128 v[5:8], off, s16
	v_dual_mov_b32 v2, v1 :: v_dual_mov_b32 v3, v1
	v_mov_b32_e32 v4, v1
	scratch_store_b128 off, v[1:4], off offset:304
	s_wait_loadcnt 0x0
	ds_store_b128 v132, v[5:8]
.LBB106_235:
	s_wait_alu 0xfffe
	s_or_b32 exec_lo, exec_lo, s0
	s_wait_storecnt_dscnt 0x0
	s_barrier_signal -1
	s_barrier_wait -1
	global_inv scope:SCOPE_SE
	s_clause 0x8
	scratch_load_b128 v[2:5], off, off offset:320
	scratch_load_b128 v[6:9], off, off offset:336
	;; [unrolled: 1-line block ×9, first 2 shown]
	ds_load_b128 v[38:41], v1 offset:992
	ds_load_b128 v[42:45], v1 offset:1008
	s_clause 0x1
	scratch_load_b128 v[133:136], off, off offset:304
	scratch_load_b128 v[137:140], off, off offset:464
	s_mov_b32 s0, exec_lo
	s_wait_loadcnt_dscnt 0xa01
	v_mul_f64_e32 v[141:142], v[40:41], v[4:5]
	v_mul_f64_e32 v[4:5], v[38:39], v[4:5]
	s_wait_loadcnt_dscnt 0x900
	v_mul_f64_e32 v[145:146], v[42:43], v[8:9]
	v_mul_f64_e32 v[8:9], v[44:45], v[8:9]
	s_delay_alu instid0(VALU_DEP_4) | instskip(NEXT) | instid1(VALU_DEP_4)
	v_fma_f64 v[147:148], v[38:39], v[2:3], -v[141:142]
	v_fma_f64 v[149:150], v[40:41], v[2:3], v[4:5]
	ds_load_b128 v[2:5], v1 offset:1024
	ds_load_b128 v[141:144], v1 offset:1040
	scratch_load_b128 v[38:41], off, off offset:480
	v_fma_f64 v[44:45], v[44:45], v[6:7], v[145:146]
	v_fma_f64 v[42:43], v[42:43], v[6:7], -v[8:9]
	scratch_load_b128 v[6:9], off, off offset:496
	s_wait_loadcnt_dscnt 0xa01
	v_mul_f64_e32 v[151:152], v[2:3], v[12:13]
	v_mul_f64_e32 v[12:13], v[4:5], v[12:13]
	v_add_f64_e32 v[145:146], 0, v[147:148]
	v_add_f64_e32 v[147:148], 0, v[149:150]
	s_wait_loadcnt_dscnt 0x900
	v_mul_f64_e32 v[149:150], v[141:142], v[16:17]
	v_mul_f64_e32 v[16:17], v[143:144], v[16:17]
	v_fma_f64 v[151:152], v[4:5], v[10:11], v[151:152]
	v_fma_f64 v[153:154], v[2:3], v[10:11], -v[12:13]
	ds_load_b128 v[2:5], v1 offset:1056
	scratch_load_b128 v[10:13], off, off offset:512
	v_add_f64_e32 v[145:146], v[145:146], v[42:43]
	v_add_f64_e32 v[147:148], v[147:148], v[44:45]
	ds_load_b128 v[42:45], v1 offset:1072
	v_fma_f64 v[143:144], v[143:144], v[14:15], v[149:150]
	v_fma_f64 v[141:142], v[141:142], v[14:15], -v[16:17]
	scratch_load_b128 v[14:17], off, off offset:528
	s_wait_loadcnt_dscnt 0xa01
	v_mul_f64_e32 v[155:156], v[2:3], v[20:21]
	v_mul_f64_e32 v[20:21], v[4:5], v[20:21]
	s_wait_loadcnt_dscnt 0x900
	v_mul_f64_e32 v[149:150], v[42:43], v[24:25]
	v_mul_f64_e32 v[24:25], v[44:45], v[24:25]
	v_add_f64_e32 v[145:146], v[145:146], v[153:154]
	v_add_f64_e32 v[147:148], v[147:148], v[151:152]
	v_fma_f64 v[151:152], v[4:5], v[18:19], v[155:156]
	v_fma_f64 v[153:154], v[2:3], v[18:19], -v[20:21]
	ds_load_b128 v[2:5], v1 offset:1088
	scratch_load_b128 v[18:21], off, off offset:544
	v_fma_f64 v[44:45], v[44:45], v[22:23], v[149:150]
	v_fma_f64 v[42:43], v[42:43], v[22:23], -v[24:25]
	scratch_load_b128 v[22:25], off, off offset:560
	v_add_f64_e32 v[145:146], v[145:146], v[141:142]
	v_add_f64_e32 v[147:148], v[147:148], v[143:144]
	ds_load_b128 v[141:144], v1 offset:1104
	s_wait_loadcnt_dscnt 0xa01
	v_mul_f64_e32 v[155:156], v[2:3], v[28:29]
	v_mul_f64_e32 v[28:29], v[4:5], v[28:29]
	s_wait_loadcnt_dscnt 0x900
	v_mul_f64_e32 v[149:150], v[141:142], v[32:33]
	v_mul_f64_e32 v[32:33], v[143:144], v[32:33]
	v_add_f64_e32 v[145:146], v[145:146], v[153:154]
	v_add_f64_e32 v[147:148], v[147:148], v[151:152]
	v_fma_f64 v[151:152], v[4:5], v[26:27], v[155:156]
	v_fma_f64 v[153:154], v[2:3], v[26:27], -v[28:29]
	ds_load_b128 v[2:5], v1 offset:1120
	scratch_load_b128 v[26:29], off, off offset:576
	v_fma_f64 v[143:144], v[143:144], v[30:31], v[149:150]
	v_fma_f64 v[141:142], v[141:142], v[30:31], -v[32:33]
	scratch_load_b128 v[30:33], off, off offset:592
	v_add_f64_e32 v[145:146], v[145:146], v[42:43]
	v_add_f64_e32 v[147:148], v[147:148], v[44:45]
	ds_load_b128 v[42:45], v1 offset:1136
	s_wait_loadcnt_dscnt 0xa01
	v_mul_f64_e32 v[155:156], v[2:3], v[36:37]
	v_mul_f64_e32 v[36:37], v[4:5], v[36:37]
	s_wait_loadcnt_dscnt 0x800
	v_mul_f64_e32 v[149:150], v[42:43], v[139:140]
	v_add_f64_e32 v[145:146], v[145:146], v[153:154]
	v_add_f64_e32 v[147:148], v[147:148], v[151:152]
	v_mul_f64_e32 v[151:152], v[44:45], v[139:140]
	v_fma_f64 v[153:154], v[4:5], v[34:35], v[155:156]
	v_fma_f64 v[155:156], v[2:3], v[34:35], -v[36:37]
	ds_load_b128 v[2:5], v1 offset:1152
	scratch_load_b128 v[34:37], off, off offset:608
	v_fma_f64 v[44:45], v[44:45], v[137:138], v[149:150]
	v_add_f64_e32 v[145:146], v[145:146], v[141:142]
	v_add_f64_e32 v[143:144], v[147:148], v[143:144]
	ds_load_b128 v[139:142], v1 offset:1168
	v_fma_f64 v[137:138], v[42:43], v[137:138], -v[151:152]
	s_wait_loadcnt_dscnt 0x801
	v_mul_f64_e32 v[147:148], v[2:3], v[40:41]
	v_mul_f64_e32 v[157:158], v[4:5], v[40:41]
	scratch_load_b128 v[40:43], off, off offset:624
	s_wait_loadcnt_dscnt 0x800
	v_mul_f64_e32 v[151:152], v[139:140], v[8:9]
	v_mul_f64_e32 v[8:9], v[141:142], v[8:9]
	v_add_f64_e32 v[145:146], v[145:146], v[155:156]
	v_add_f64_e32 v[143:144], v[143:144], v[153:154]
	v_fma_f64 v[153:154], v[4:5], v[38:39], v[147:148]
	v_fma_f64 v[38:39], v[2:3], v[38:39], -v[157:158]
	ds_load_b128 v[2:5], v1 offset:1184
	ds_load_b128 v[147:150], v1 offset:1200
	v_fma_f64 v[141:142], v[141:142], v[6:7], v[151:152]
	v_fma_f64 v[139:140], v[139:140], v[6:7], -v[8:9]
	scratch_load_b128 v[6:9], off, off offset:656
	v_add_f64_e32 v[137:138], v[145:146], v[137:138]
	v_add_f64_e32 v[44:45], v[143:144], v[44:45]
	scratch_load_b128 v[143:146], off, off offset:640
	s_wait_loadcnt_dscnt 0x901
	v_mul_f64_e32 v[155:156], v[2:3], v[12:13]
	v_mul_f64_e32 v[12:13], v[4:5], v[12:13]
	s_wait_loadcnt_dscnt 0x800
	v_mul_f64_e32 v[151:152], v[147:148], v[16:17]
	v_mul_f64_e32 v[16:17], v[149:150], v[16:17]
	v_add_f64_e32 v[38:39], v[137:138], v[38:39]
	v_add_f64_e32 v[44:45], v[44:45], v[153:154]
	v_fma_f64 v[153:154], v[4:5], v[10:11], v[155:156]
	v_fma_f64 v[155:156], v[2:3], v[10:11], -v[12:13]
	ds_load_b128 v[2:5], v1 offset:1216
	scratch_load_b128 v[10:13], off, off offset:672
	v_fma_f64 v[149:150], v[149:150], v[14:15], v[151:152]
	v_fma_f64 v[147:148], v[147:148], v[14:15], -v[16:17]
	scratch_load_b128 v[14:17], off, off offset:688
	v_add_f64_e32 v[38:39], v[38:39], v[139:140]
	v_add_f64_e32 v[44:45], v[44:45], v[141:142]
	ds_load_b128 v[137:140], v1 offset:1232
	s_wait_loadcnt_dscnt 0x901
	v_mul_f64_e32 v[141:142], v[2:3], v[20:21]
	v_mul_f64_e32 v[20:21], v[4:5], v[20:21]
	s_wait_loadcnt_dscnt 0x800
	v_mul_f64_e32 v[151:152], v[137:138], v[24:25]
	v_mul_f64_e32 v[24:25], v[139:140], v[24:25]
	v_add_f64_e32 v[38:39], v[38:39], v[155:156]
	v_add_f64_e32 v[44:45], v[44:45], v[153:154]
	v_fma_f64 v[141:142], v[4:5], v[18:19], v[141:142]
	v_fma_f64 v[153:154], v[2:3], v[18:19], -v[20:21]
	ds_load_b128 v[2:5], v1 offset:1248
	ds_load_b128 v[18:21], v1 offset:1264
	v_fma_f64 v[139:140], v[139:140], v[22:23], v[151:152]
	v_fma_f64 v[22:23], v[137:138], v[22:23], -v[24:25]
	v_add_f64_e32 v[38:39], v[38:39], v[147:148]
	v_add_f64_e32 v[44:45], v[44:45], v[149:150]
	s_wait_loadcnt_dscnt 0x701
	v_mul_f64_e32 v[147:148], v[2:3], v[28:29]
	v_mul_f64_e32 v[28:29], v[4:5], v[28:29]
	s_delay_alu instid0(VALU_DEP_4) | instskip(NEXT) | instid1(VALU_DEP_4)
	v_add_f64_e32 v[24:25], v[38:39], v[153:154]
	v_add_f64_e32 v[38:39], v[44:45], v[141:142]
	s_wait_loadcnt_dscnt 0x600
	v_mul_f64_e32 v[44:45], v[18:19], v[32:33]
	v_mul_f64_e32 v[32:33], v[20:21], v[32:33]
	v_fma_f64 v[137:138], v[4:5], v[26:27], v[147:148]
	v_fma_f64 v[26:27], v[2:3], v[26:27], -v[28:29]
	v_add_f64_e32 v[28:29], v[24:25], v[22:23]
	v_add_f64_e32 v[38:39], v[38:39], v[139:140]
	ds_load_b128 v[2:5], v1 offset:1280
	ds_load_b128 v[22:25], v1 offset:1296
	v_fma_f64 v[20:21], v[20:21], v[30:31], v[44:45]
	v_fma_f64 v[18:19], v[18:19], v[30:31], -v[32:33]
	s_wait_loadcnt_dscnt 0x501
	v_mul_f64_e32 v[139:140], v[2:3], v[36:37]
	v_mul_f64_e32 v[36:37], v[4:5], v[36:37]
	s_wait_loadcnt_dscnt 0x400
	v_mul_f64_e32 v[30:31], v[22:23], v[42:43]
	v_add_f64_e32 v[26:27], v[28:29], v[26:27]
	v_add_f64_e32 v[28:29], v[38:39], v[137:138]
	v_mul_f64_e32 v[32:33], v[24:25], v[42:43]
	v_fma_f64 v[38:39], v[4:5], v[34:35], v[139:140]
	v_fma_f64 v[34:35], v[2:3], v[34:35], -v[36:37]
	v_fma_f64 v[24:25], v[24:25], v[40:41], v[30:31]
	v_add_f64_e32 v[26:27], v[26:27], v[18:19]
	v_add_f64_e32 v[28:29], v[28:29], v[20:21]
	ds_load_b128 v[2:5], v1 offset:1312
	ds_load_b128 v[18:21], v1 offset:1328
	v_fma_f64 v[22:23], v[22:23], v[40:41], -v[32:33]
	s_wait_loadcnt_dscnt 0x201
	v_mul_f64_e32 v[36:37], v[2:3], v[145:146]
	v_mul_f64_e32 v[42:43], v[4:5], v[145:146]
	s_wait_dscnt 0x0
	v_mul_f64_e32 v[30:31], v[18:19], v[8:9]
	v_mul_f64_e32 v[8:9], v[20:21], v[8:9]
	v_add_f64_e32 v[26:27], v[26:27], v[34:35]
	v_add_f64_e32 v[28:29], v[28:29], v[38:39]
	v_fma_f64 v[32:33], v[4:5], v[143:144], v[36:37]
	v_fma_f64 v[34:35], v[2:3], v[143:144], -v[42:43]
	v_fma_f64 v[20:21], v[20:21], v[6:7], v[30:31]
	v_fma_f64 v[6:7], v[18:19], v[6:7], -v[8:9]
	v_add_f64_e32 v[26:27], v[26:27], v[22:23]
	v_add_f64_e32 v[28:29], v[28:29], v[24:25]
	ds_load_b128 v[2:5], v1 offset:1344
	ds_load_b128 v[22:25], v1 offset:1360
	s_wait_loadcnt_dscnt 0x101
	v_mul_f64_e32 v[36:37], v[2:3], v[12:13]
	v_mul_f64_e32 v[12:13], v[4:5], v[12:13]
	v_add_f64_e32 v[8:9], v[26:27], v[34:35]
	v_add_f64_e32 v[18:19], v[28:29], v[32:33]
	s_wait_loadcnt_dscnt 0x0
	v_mul_f64_e32 v[26:27], v[22:23], v[16:17]
	v_mul_f64_e32 v[16:17], v[24:25], v[16:17]
	v_fma_f64 v[4:5], v[4:5], v[10:11], v[36:37]
	v_fma_f64 v[1:2], v[2:3], v[10:11], -v[12:13]
	v_add_f64_e32 v[6:7], v[8:9], v[6:7]
	v_add_f64_e32 v[8:9], v[18:19], v[20:21]
	v_fma_f64 v[10:11], v[24:25], v[14:15], v[26:27]
	v_fma_f64 v[12:13], v[22:23], v[14:15], -v[16:17]
	s_delay_alu instid0(VALU_DEP_4) | instskip(NEXT) | instid1(VALU_DEP_4)
	v_add_f64_e32 v[1:2], v[6:7], v[1:2]
	v_add_f64_e32 v[3:4], v[8:9], v[4:5]
	s_delay_alu instid0(VALU_DEP_2) | instskip(NEXT) | instid1(VALU_DEP_2)
	v_add_f64_e32 v[1:2], v[1:2], v[12:13]
	v_add_f64_e32 v[3:4], v[3:4], v[10:11]
	s_delay_alu instid0(VALU_DEP_2) | instskip(NEXT) | instid1(VALU_DEP_2)
	v_add_f64_e64 v[1:2], v[133:134], -v[1:2]
	v_add_f64_e64 v[3:4], v[135:136], -v[3:4]
	scratch_store_b128 off, v[1:4], off offset:304
	v_cmpx_lt_u32_e32 17, v0
	s_cbranch_execz .LBB106_237
; %bb.236:
	scratch_load_b128 v[1:4], off, s37
	v_mov_b32_e32 v5, 0
	s_delay_alu instid0(VALU_DEP_1)
	v_dual_mov_b32 v6, v5 :: v_dual_mov_b32 v7, v5
	v_mov_b32_e32 v8, v5
	scratch_store_b128 off, v[5:8], off offset:288
	s_wait_loadcnt 0x0
	ds_store_b128 v132, v[1:4]
.LBB106_237:
	s_wait_alu 0xfffe
	s_or_b32 exec_lo, exec_lo, s0
	s_wait_storecnt_dscnt 0x0
	s_barrier_signal -1
	s_barrier_wait -1
	global_inv scope:SCOPE_SE
	s_clause 0x7
	scratch_load_b128 v[2:5], off, off offset:304
	scratch_load_b128 v[6:9], off, off offset:320
	;; [unrolled: 1-line block ×8, first 2 shown]
	v_mov_b32_e32 v1, 0
	s_mov_b32 s0, exec_lo
	ds_load_b128 v[34:37], v1 offset:976
	s_clause 0x1
	scratch_load_b128 v[38:41], off, off offset:432
	scratch_load_b128 v[42:45], off, off offset:288
	ds_load_b128 v[133:136], v1 offset:992
	scratch_load_b128 v[137:140], off, off offset:448
	s_wait_loadcnt_dscnt 0xa01
	v_mul_f64_e32 v[141:142], v[36:37], v[4:5]
	v_mul_f64_e32 v[4:5], v[34:35], v[4:5]
	s_delay_alu instid0(VALU_DEP_2) | instskip(NEXT) | instid1(VALU_DEP_2)
	v_fma_f64 v[147:148], v[34:35], v[2:3], -v[141:142]
	v_fma_f64 v[149:150], v[36:37], v[2:3], v[4:5]
	ds_load_b128 v[2:5], v1 offset:1008
	s_wait_loadcnt_dscnt 0x901
	v_mul_f64_e32 v[145:146], v[133:134], v[8:9]
	v_mul_f64_e32 v[8:9], v[135:136], v[8:9]
	scratch_load_b128 v[34:37], off, off offset:464
	ds_load_b128 v[141:144], v1 offset:1024
	s_wait_loadcnt_dscnt 0x901
	v_mul_f64_e32 v[151:152], v[2:3], v[12:13]
	v_mul_f64_e32 v[12:13], v[4:5], v[12:13]
	v_fma_f64 v[135:136], v[135:136], v[6:7], v[145:146]
	v_fma_f64 v[133:134], v[133:134], v[6:7], -v[8:9]
	v_add_f64_e32 v[145:146], 0, v[147:148]
	v_add_f64_e32 v[147:148], 0, v[149:150]
	scratch_load_b128 v[6:9], off, off offset:480
	v_fma_f64 v[151:152], v[4:5], v[10:11], v[151:152]
	v_fma_f64 v[153:154], v[2:3], v[10:11], -v[12:13]
	ds_load_b128 v[2:5], v1 offset:1040
	s_wait_loadcnt_dscnt 0x901
	v_mul_f64_e32 v[149:150], v[141:142], v[16:17]
	v_mul_f64_e32 v[16:17], v[143:144], v[16:17]
	scratch_load_b128 v[10:13], off, off offset:496
	v_add_f64_e32 v[145:146], v[145:146], v[133:134]
	v_add_f64_e32 v[147:148], v[147:148], v[135:136]
	s_wait_loadcnt_dscnt 0x900
	v_mul_f64_e32 v[155:156], v[2:3], v[20:21]
	v_mul_f64_e32 v[20:21], v[4:5], v[20:21]
	ds_load_b128 v[133:136], v1 offset:1056
	v_fma_f64 v[143:144], v[143:144], v[14:15], v[149:150]
	v_fma_f64 v[141:142], v[141:142], v[14:15], -v[16:17]
	scratch_load_b128 v[14:17], off, off offset:512
	v_add_f64_e32 v[145:146], v[145:146], v[153:154]
	v_add_f64_e32 v[147:148], v[147:148], v[151:152]
	v_fma_f64 v[151:152], v[4:5], v[18:19], v[155:156]
	v_fma_f64 v[153:154], v[2:3], v[18:19], -v[20:21]
	ds_load_b128 v[2:5], v1 offset:1072
	s_wait_loadcnt_dscnt 0x901
	v_mul_f64_e32 v[149:150], v[133:134], v[24:25]
	v_mul_f64_e32 v[24:25], v[135:136], v[24:25]
	scratch_load_b128 v[18:21], off, off offset:528
	s_wait_loadcnt_dscnt 0x900
	v_mul_f64_e32 v[155:156], v[2:3], v[28:29]
	v_mul_f64_e32 v[28:29], v[4:5], v[28:29]
	v_add_f64_e32 v[145:146], v[145:146], v[141:142]
	v_add_f64_e32 v[147:148], v[147:148], v[143:144]
	ds_load_b128 v[141:144], v1 offset:1088
	v_fma_f64 v[135:136], v[135:136], v[22:23], v[149:150]
	v_fma_f64 v[133:134], v[133:134], v[22:23], -v[24:25]
	scratch_load_b128 v[22:25], off, off offset:544
	v_add_f64_e32 v[145:146], v[145:146], v[153:154]
	v_add_f64_e32 v[147:148], v[147:148], v[151:152]
	v_fma_f64 v[151:152], v[4:5], v[26:27], v[155:156]
	v_fma_f64 v[153:154], v[2:3], v[26:27], -v[28:29]
	ds_load_b128 v[2:5], v1 offset:1104
	s_wait_loadcnt_dscnt 0x901
	v_mul_f64_e32 v[149:150], v[141:142], v[32:33]
	v_mul_f64_e32 v[32:33], v[143:144], v[32:33]
	scratch_load_b128 v[26:29], off, off offset:560
	s_wait_loadcnt_dscnt 0x900
	v_mul_f64_e32 v[155:156], v[2:3], v[40:41]
	v_mul_f64_e32 v[40:41], v[4:5], v[40:41]
	v_add_f64_e32 v[145:146], v[145:146], v[133:134]
	v_add_f64_e32 v[147:148], v[147:148], v[135:136]
	ds_load_b128 v[133:136], v1 offset:1120
	v_fma_f64 v[143:144], v[143:144], v[30:31], v[149:150]
	v_fma_f64 v[141:142], v[141:142], v[30:31], -v[32:33]
	scratch_load_b128 v[30:33], off, off offset:576
	v_add_f64_e32 v[145:146], v[145:146], v[153:154]
	v_add_f64_e32 v[147:148], v[147:148], v[151:152]
	v_fma_f64 v[153:154], v[4:5], v[38:39], v[155:156]
	v_fma_f64 v[155:156], v[2:3], v[38:39], -v[40:41]
	ds_load_b128 v[2:5], v1 offset:1136
	s_wait_loadcnt_dscnt 0x801
	v_mul_f64_e32 v[149:150], v[133:134], v[139:140]
	v_mul_f64_e32 v[151:152], v[135:136], v[139:140]
	scratch_load_b128 v[38:41], off, off offset:592
	v_add_f64_e32 v[145:146], v[145:146], v[141:142]
	v_add_f64_e32 v[143:144], v[147:148], v[143:144]
	ds_load_b128 v[139:142], v1 offset:1152
	v_fma_f64 v[149:150], v[135:136], v[137:138], v[149:150]
	v_fma_f64 v[137:138], v[133:134], v[137:138], -v[151:152]
	scratch_load_b128 v[133:136], off, off offset:608
	s_wait_loadcnt_dscnt 0x901
	v_mul_f64_e32 v[147:148], v[2:3], v[36:37]
	v_mul_f64_e32 v[36:37], v[4:5], v[36:37]
	v_add_f64_e32 v[145:146], v[145:146], v[155:156]
	v_add_f64_e32 v[143:144], v[143:144], v[153:154]
	s_delay_alu instid0(VALU_DEP_4) | instskip(NEXT) | instid1(VALU_DEP_4)
	v_fma_f64 v[147:148], v[4:5], v[34:35], v[147:148]
	v_fma_f64 v[153:154], v[2:3], v[34:35], -v[36:37]
	ds_load_b128 v[2:5], v1 offset:1168
	s_wait_loadcnt_dscnt 0x801
	v_mul_f64_e32 v[151:152], v[139:140], v[8:9]
	v_mul_f64_e32 v[8:9], v[141:142], v[8:9]
	scratch_load_b128 v[34:37], off, off offset:624
	s_wait_loadcnt_dscnt 0x800
	v_mul_f64_e32 v[155:156], v[2:3], v[12:13]
	v_add_f64_e32 v[137:138], v[145:146], v[137:138]
	v_add_f64_e32 v[149:150], v[143:144], v[149:150]
	v_mul_f64_e32 v[12:13], v[4:5], v[12:13]
	ds_load_b128 v[143:146], v1 offset:1184
	v_fma_f64 v[141:142], v[141:142], v[6:7], v[151:152]
	v_fma_f64 v[139:140], v[139:140], v[6:7], -v[8:9]
	scratch_load_b128 v[6:9], off, off offset:640
	v_fma_f64 v[151:152], v[4:5], v[10:11], v[155:156]
	v_add_f64_e32 v[137:138], v[137:138], v[153:154]
	v_add_f64_e32 v[147:148], v[149:150], v[147:148]
	v_fma_f64 v[153:154], v[2:3], v[10:11], -v[12:13]
	ds_load_b128 v[2:5], v1 offset:1200
	s_wait_loadcnt_dscnt 0x801
	v_mul_f64_e32 v[149:150], v[143:144], v[16:17]
	v_mul_f64_e32 v[16:17], v[145:146], v[16:17]
	scratch_load_b128 v[10:13], off, off offset:656
	v_add_f64_e32 v[155:156], v[137:138], v[139:140]
	v_add_f64_e32 v[141:142], v[147:148], v[141:142]
	s_wait_loadcnt_dscnt 0x800
	v_mul_f64_e32 v[147:148], v[2:3], v[20:21]
	v_mul_f64_e32 v[20:21], v[4:5], v[20:21]
	v_fma_f64 v[145:146], v[145:146], v[14:15], v[149:150]
	v_fma_f64 v[143:144], v[143:144], v[14:15], -v[16:17]
	ds_load_b128 v[137:140], v1 offset:1216
	scratch_load_b128 v[14:17], off, off offset:672
	v_add_f64_e32 v[149:150], v[155:156], v[153:154]
	v_add_f64_e32 v[141:142], v[141:142], v[151:152]
	v_fma_f64 v[147:148], v[4:5], v[18:19], v[147:148]
	v_fma_f64 v[153:154], v[2:3], v[18:19], -v[20:21]
	ds_load_b128 v[2:5], v1 offset:1232
	s_wait_loadcnt_dscnt 0x801
	v_mul_f64_e32 v[151:152], v[137:138], v[24:25]
	v_mul_f64_e32 v[24:25], v[139:140], v[24:25]
	scratch_load_b128 v[18:21], off, off offset:688
	s_wait_loadcnt_dscnt 0x800
	v_mul_f64_e32 v[155:156], v[2:3], v[28:29]
	v_mul_f64_e32 v[28:29], v[4:5], v[28:29]
	v_add_f64_e32 v[149:150], v[149:150], v[143:144]
	v_add_f64_e32 v[145:146], v[141:142], v[145:146]
	ds_load_b128 v[141:144], v1 offset:1248
	v_fma_f64 v[139:140], v[139:140], v[22:23], v[151:152]
	v_fma_f64 v[22:23], v[137:138], v[22:23], -v[24:25]
	v_add_f64_e32 v[24:25], v[149:150], v[153:154]
	v_add_f64_e32 v[137:138], v[145:146], v[147:148]
	s_wait_loadcnt_dscnt 0x700
	v_mul_f64_e32 v[145:146], v[141:142], v[32:33]
	v_mul_f64_e32 v[32:33], v[143:144], v[32:33]
	v_fma_f64 v[147:148], v[4:5], v[26:27], v[155:156]
	v_fma_f64 v[26:27], v[2:3], v[26:27], -v[28:29]
	v_add_f64_e32 v[28:29], v[24:25], v[22:23]
	v_add_f64_e32 v[137:138], v[137:138], v[139:140]
	ds_load_b128 v[2:5], v1 offset:1264
	ds_load_b128 v[22:25], v1 offset:1280
	v_fma_f64 v[143:144], v[143:144], v[30:31], v[145:146]
	v_fma_f64 v[30:31], v[141:142], v[30:31], -v[32:33]
	s_wait_loadcnt_dscnt 0x601
	v_mul_f64_e32 v[139:140], v[2:3], v[40:41]
	v_mul_f64_e32 v[40:41], v[4:5], v[40:41]
	s_wait_loadcnt_dscnt 0x500
	v_mul_f64_e32 v[32:33], v[22:23], v[135:136]
	v_mul_f64_e32 v[135:136], v[24:25], v[135:136]
	v_add_f64_e32 v[26:27], v[28:29], v[26:27]
	v_add_f64_e32 v[28:29], v[137:138], v[147:148]
	v_fma_f64 v[137:138], v[4:5], v[38:39], v[139:140]
	v_fma_f64 v[38:39], v[2:3], v[38:39], -v[40:41]
	v_fma_f64 v[24:25], v[24:25], v[133:134], v[32:33]
	v_fma_f64 v[22:23], v[22:23], v[133:134], -v[135:136]
	v_add_f64_e32 v[30:31], v[26:27], v[30:31]
	v_add_f64_e32 v[40:41], v[28:29], v[143:144]
	ds_load_b128 v[2:5], v1 offset:1296
	ds_load_b128 v[26:29], v1 offset:1312
	s_wait_loadcnt_dscnt 0x401
	v_mul_f64_e32 v[139:140], v[2:3], v[36:37]
	v_mul_f64_e32 v[36:37], v[4:5], v[36:37]
	v_add_f64_e32 v[30:31], v[30:31], v[38:39]
	v_add_f64_e32 v[32:33], v[40:41], v[137:138]
	s_wait_loadcnt_dscnt 0x300
	v_mul_f64_e32 v[38:39], v[26:27], v[8:9]
	v_mul_f64_e32 v[8:9], v[28:29], v[8:9]
	v_fma_f64 v[40:41], v[4:5], v[34:35], v[139:140]
	v_fma_f64 v[34:35], v[2:3], v[34:35], -v[36:37]
	v_add_f64_e32 v[30:31], v[30:31], v[22:23]
	v_add_f64_e32 v[32:33], v[32:33], v[24:25]
	ds_load_b128 v[2:5], v1 offset:1328
	ds_load_b128 v[22:25], v1 offset:1344
	v_fma_f64 v[28:29], v[28:29], v[6:7], v[38:39]
	v_fma_f64 v[6:7], v[26:27], v[6:7], -v[8:9]
	s_wait_loadcnt_dscnt 0x201
	v_mul_f64_e32 v[36:37], v[2:3], v[12:13]
	v_mul_f64_e32 v[12:13], v[4:5], v[12:13]
	v_add_f64_e32 v[8:9], v[30:31], v[34:35]
	v_add_f64_e32 v[26:27], v[32:33], v[40:41]
	s_wait_loadcnt_dscnt 0x100
	v_mul_f64_e32 v[30:31], v[22:23], v[16:17]
	v_mul_f64_e32 v[16:17], v[24:25], v[16:17]
	v_fma_f64 v[32:33], v[4:5], v[10:11], v[36:37]
	v_fma_f64 v[10:11], v[2:3], v[10:11], -v[12:13]
	ds_load_b128 v[2:5], v1 offset:1360
	v_add_f64_e32 v[6:7], v[8:9], v[6:7]
	v_add_f64_e32 v[8:9], v[26:27], v[28:29]
	v_fma_f64 v[24:25], v[24:25], v[14:15], v[30:31]
	v_fma_f64 v[14:15], v[22:23], v[14:15], -v[16:17]
	s_wait_loadcnt_dscnt 0x0
	v_mul_f64_e32 v[12:13], v[2:3], v[20:21]
	v_mul_f64_e32 v[20:21], v[4:5], v[20:21]
	v_add_f64_e32 v[6:7], v[6:7], v[10:11]
	v_add_f64_e32 v[8:9], v[8:9], v[32:33]
	s_delay_alu instid0(VALU_DEP_4) | instskip(NEXT) | instid1(VALU_DEP_4)
	v_fma_f64 v[4:5], v[4:5], v[18:19], v[12:13]
	v_fma_f64 v[2:3], v[2:3], v[18:19], -v[20:21]
	s_delay_alu instid0(VALU_DEP_4) | instskip(NEXT) | instid1(VALU_DEP_4)
	v_add_f64_e32 v[6:7], v[6:7], v[14:15]
	v_add_f64_e32 v[8:9], v[8:9], v[24:25]
	s_delay_alu instid0(VALU_DEP_2) | instskip(NEXT) | instid1(VALU_DEP_2)
	v_add_f64_e32 v[2:3], v[6:7], v[2:3]
	v_add_f64_e32 v[4:5], v[8:9], v[4:5]
	s_delay_alu instid0(VALU_DEP_2) | instskip(NEXT) | instid1(VALU_DEP_2)
	v_add_f64_e64 v[2:3], v[42:43], -v[2:3]
	v_add_f64_e64 v[4:5], v[44:45], -v[4:5]
	scratch_store_b128 off, v[2:5], off offset:288
	v_cmpx_lt_u32_e32 16, v0
	s_cbranch_execz .LBB106_239
; %bb.238:
	scratch_load_b128 v[5:8], off, s15
	v_dual_mov_b32 v2, v1 :: v_dual_mov_b32 v3, v1
	v_mov_b32_e32 v4, v1
	scratch_store_b128 off, v[1:4], off offset:272
	s_wait_loadcnt 0x0
	ds_store_b128 v132, v[5:8]
.LBB106_239:
	s_wait_alu 0xfffe
	s_or_b32 exec_lo, exec_lo, s0
	s_wait_storecnt_dscnt 0x0
	s_barrier_signal -1
	s_barrier_wait -1
	global_inv scope:SCOPE_SE
	s_clause 0x8
	scratch_load_b128 v[2:5], off, off offset:288
	scratch_load_b128 v[6:9], off, off offset:304
	;; [unrolled: 1-line block ×9, first 2 shown]
	ds_load_b128 v[38:41], v1 offset:960
	ds_load_b128 v[42:45], v1 offset:976
	s_clause 0x1
	scratch_load_b128 v[133:136], off, off offset:272
	scratch_load_b128 v[137:140], off, off offset:432
	s_mov_b32 s0, exec_lo
	s_wait_loadcnt_dscnt 0xa01
	v_mul_f64_e32 v[141:142], v[40:41], v[4:5]
	v_mul_f64_e32 v[4:5], v[38:39], v[4:5]
	s_wait_loadcnt_dscnt 0x900
	v_mul_f64_e32 v[145:146], v[42:43], v[8:9]
	v_mul_f64_e32 v[8:9], v[44:45], v[8:9]
	s_delay_alu instid0(VALU_DEP_4) | instskip(NEXT) | instid1(VALU_DEP_4)
	v_fma_f64 v[147:148], v[38:39], v[2:3], -v[141:142]
	v_fma_f64 v[149:150], v[40:41], v[2:3], v[4:5]
	ds_load_b128 v[2:5], v1 offset:992
	ds_load_b128 v[141:144], v1 offset:1008
	scratch_load_b128 v[38:41], off, off offset:448
	v_fma_f64 v[44:45], v[44:45], v[6:7], v[145:146]
	v_fma_f64 v[42:43], v[42:43], v[6:7], -v[8:9]
	scratch_load_b128 v[6:9], off, off offset:464
	s_wait_loadcnt_dscnt 0xa01
	v_mul_f64_e32 v[151:152], v[2:3], v[12:13]
	v_mul_f64_e32 v[12:13], v[4:5], v[12:13]
	v_add_f64_e32 v[145:146], 0, v[147:148]
	v_add_f64_e32 v[147:148], 0, v[149:150]
	s_wait_loadcnt_dscnt 0x900
	v_mul_f64_e32 v[149:150], v[141:142], v[16:17]
	v_mul_f64_e32 v[16:17], v[143:144], v[16:17]
	v_fma_f64 v[151:152], v[4:5], v[10:11], v[151:152]
	v_fma_f64 v[153:154], v[2:3], v[10:11], -v[12:13]
	ds_load_b128 v[2:5], v1 offset:1024
	scratch_load_b128 v[10:13], off, off offset:480
	v_add_f64_e32 v[145:146], v[145:146], v[42:43]
	v_add_f64_e32 v[147:148], v[147:148], v[44:45]
	ds_load_b128 v[42:45], v1 offset:1040
	v_fma_f64 v[143:144], v[143:144], v[14:15], v[149:150]
	v_fma_f64 v[141:142], v[141:142], v[14:15], -v[16:17]
	scratch_load_b128 v[14:17], off, off offset:496
	s_wait_loadcnt_dscnt 0xa01
	v_mul_f64_e32 v[155:156], v[2:3], v[20:21]
	v_mul_f64_e32 v[20:21], v[4:5], v[20:21]
	s_wait_loadcnt_dscnt 0x900
	v_mul_f64_e32 v[149:150], v[42:43], v[24:25]
	v_mul_f64_e32 v[24:25], v[44:45], v[24:25]
	v_add_f64_e32 v[145:146], v[145:146], v[153:154]
	v_add_f64_e32 v[147:148], v[147:148], v[151:152]
	v_fma_f64 v[151:152], v[4:5], v[18:19], v[155:156]
	v_fma_f64 v[153:154], v[2:3], v[18:19], -v[20:21]
	ds_load_b128 v[2:5], v1 offset:1056
	scratch_load_b128 v[18:21], off, off offset:512
	v_fma_f64 v[44:45], v[44:45], v[22:23], v[149:150]
	v_fma_f64 v[42:43], v[42:43], v[22:23], -v[24:25]
	scratch_load_b128 v[22:25], off, off offset:528
	v_add_f64_e32 v[145:146], v[145:146], v[141:142]
	v_add_f64_e32 v[147:148], v[147:148], v[143:144]
	ds_load_b128 v[141:144], v1 offset:1072
	s_wait_loadcnt_dscnt 0xa01
	v_mul_f64_e32 v[155:156], v[2:3], v[28:29]
	v_mul_f64_e32 v[28:29], v[4:5], v[28:29]
	s_wait_loadcnt_dscnt 0x900
	v_mul_f64_e32 v[149:150], v[141:142], v[32:33]
	v_mul_f64_e32 v[32:33], v[143:144], v[32:33]
	v_add_f64_e32 v[145:146], v[145:146], v[153:154]
	v_add_f64_e32 v[147:148], v[147:148], v[151:152]
	v_fma_f64 v[151:152], v[4:5], v[26:27], v[155:156]
	v_fma_f64 v[153:154], v[2:3], v[26:27], -v[28:29]
	ds_load_b128 v[2:5], v1 offset:1088
	scratch_load_b128 v[26:29], off, off offset:544
	v_fma_f64 v[143:144], v[143:144], v[30:31], v[149:150]
	v_fma_f64 v[141:142], v[141:142], v[30:31], -v[32:33]
	scratch_load_b128 v[30:33], off, off offset:560
	v_add_f64_e32 v[145:146], v[145:146], v[42:43]
	v_add_f64_e32 v[147:148], v[147:148], v[44:45]
	ds_load_b128 v[42:45], v1 offset:1104
	s_wait_loadcnt_dscnt 0xa01
	v_mul_f64_e32 v[155:156], v[2:3], v[36:37]
	v_mul_f64_e32 v[36:37], v[4:5], v[36:37]
	s_wait_loadcnt_dscnt 0x800
	v_mul_f64_e32 v[149:150], v[42:43], v[139:140]
	v_add_f64_e32 v[145:146], v[145:146], v[153:154]
	v_add_f64_e32 v[147:148], v[147:148], v[151:152]
	v_mul_f64_e32 v[151:152], v[44:45], v[139:140]
	v_fma_f64 v[153:154], v[4:5], v[34:35], v[155:156]
	v_fma_f64 v[155:156], v[2:3], v[34:35], -v[36:37]
	ds_load_b128 v[2:5], v1 offset:1120
	scratch_load_b128 v[34:37], off, off offset:576
	v_fma_f64 v[44:45], v[44:45], v[137:138], v[149:150]
	v_add_f64_e32 v[145:146], v[145:146], v[141:142]
	v_add_f64_e32 v[143:144], v[147:148], v[143:144]
	ds_load_b128 v[139:142], v1 offset:1136
	v_fma_f64 v[137:138], v[42:43], v[137:138], -v[151:152]
	s_wait_loadcnt_dscnt 0x801
	v_mul_f64_e32 v[147:148], v[2:3], v[40:41]
	v_mul_f64_e32 v[157:158], v[4:5], v[40:41]
	scratch_load_b128 v[40:43], off, off offset:592
	s_wait_loadcnt_dscnt 0x800
	v_mul_f64_e32 v[151:152], v[139:140], v[8:9]
	v_mul_f64_e32 v[8:9], v[141:142], v[8:9]
	v_add_f64_e32 v[145:146], v[145:146], v[155:156]
	v_add_f64_e32 v[143:144], v[143:144], v[153:154]
	v_fma_f64 v[153:154], v[4:5], v[38:39], v[147:148]
	v_fma_f64 v[38:39], v[2:3], v[38:39], -v[157:158]
	ds_load_b128 v[2:5], v1 offset:1152
	ds_load_b128 v[147:150], v1 offset:1168
	v_fma_f64 v[141:142], v[141:142], v[6:7], v[151:152]
	v_fma_f64 v[139:140], v[139:140], v[6:7], -v[8:9]
	scratch_load_b128 v[6:9], off, off offset:624
	v_add_f64_e32 v[137:138], v[145:146], v[137:138]
	v_add_f64_e32 v[44:45], v[143:144], v[44:45]
	scratch_load_b128 v[143:146], off, off offset:608
	s_wait_loadcnt_dscnt 0x901
	v_mul_f64_e32 v[155:156], v[2:3], v[12:13]
	v_mul_f64_e32 v[12:13], v[4:5], v[12:13]
	s_wait_loadcnt_dscnt 0x800
	v_mul_f64_e32 v[151:152], v[147:148], v[16:17]
	v_mul_f64_e32 v[16:17], v[149:150], v[16:17]
	v_add_f64_e32 v[38:39], v[137:138], v[38:39]
	v_add_f64_e32 v[44:45], v[44:45], v[153:154]
	v_fma_f64 v[153:154], v[4:5], v[10:11], v[155:156]
	v_fma_f64 v[155:156], v[2:3], v[10:11], -v[12:13]
	ds_load_b128 v[2:5], v1 offset:1184
	scratch_load_b128 v[10:13], off, off offset:640
	v_fma_f64 v[149:150], v[149:150], v[14:15], v[151:152]
	v_fma_f64 v[147:148], v[147:148], v[14:15], -v[16:17]
	scratch_load_b128 v[14:17], off, off offset:656
	v_add_f64_e32 v[38:39], v[38:39], v[139:140]
	v_add_f64_e32 v[44:45], v[44:45], v[141:142]
	ds_load_b128 v[137:140], v1 offset:1200
	s_wait_loadcnt_dscnt 0x901
	v_mul_f64_e32 v[141:142], v[2:3], v[20:21]
	v_mul_f64_e32 v[20:21], v[4:5], v[20:21]
	s_wait_loadcnt_dscnt 0x800
	v_mul_f64_e32 v[151:152], v[137:138], v[24:25]
	v_mul_f64_e32 v[24:25], v[139:140], v[24:25]
	v_add_f64_e32 v[38:39], v[38:39], v[155:156]
	v_add_f64_e32 v[44:45], v[44:45], v[153:154]
	v_fma_f64 v[141:142], v[4:5], v[18:19], v[141:142]
	v_fma_f64 v[153:154], v[2:3], v[18:19], -v[20:21]
	ds_load_b128 v[2:5], v1 offset:1216
	scratch_load_b128 v[18:21], off, off offset:672
	v_fma_f64 v[139:140], v[139:140], v[22:23], v[151:152]
	v_fma_f64 v[137:138], v[137:138], v[22:23], -v[24:25]
	scratch_load_b128 v[22:25], off, off offset:688
	v_add_f64_e32 v[38:39], v[38:39], v[147:148]
	v_add_f64_e32 v[44:45], v[44:45], v[149:150]
	ds_load_b128 v[147:150], v1 offset:1232
	s_wait_loadcnt_dscnt 0x901
	v_mul_f64_e32 v[155:156], v[2:3], v[28:29]
	v_mul_f64_e32 v[28:29], v[4:5], v[28:29]
	v_add_f64_e32 v[38:39], v[38:39], v[153:154]
	v_add_f64_e32 v[44:45], v[44:45], v[141:142]
	s_wait_loadcnt_dscnt 0x800
	v_mul_f64_e32 v[141:142], v[147:148], v[32:33]
	v_mul_f64_e32 v[32:33], v[149:150], v[32:33]
	v_fma_f64 v[151:152], v[4:5], v[26:27], v[155:156]
	v_fma_f64 v[153:154], v[2:3], v[26:27], -v[28:29]
	ds_load_b128 v[2:5], v1 offset:1248
	ds_load_b128 v[26:29], v1 offset:1264
	v_add_f64_e32 v[38:39], v[38:39], v[137:138]
	v_add_f64_e32 v[44:45], v[44:45], v[139:140]
	s_wait_loadcnt_dscnt 0x701
	v_mul_f64_e32 v[137:138], v[2:3], v[36:37]
	v_mul_f64_e32 v[36:37], v[4:5], v[36:37]
	v_fma_f64 v[139:140], v[149:150], v[30:31], v[141:142]
	v_fma_f64 v[30:31], v[147:148], v[30:31], -v[32:33]
	v_add_f64_e32 v[32:33], v[38:39], v[153:154]
	v_add_f64_e32 v[38:39], v[44:45], v[151:152]
	s_wait_loadcnt_dscnt 0x600
	v_mul_f64_e32 v[44:45], v[26:27], v[42:43]
	v_mul_f64_e32 v[42:43], v[28:29], v[42:43]
	v_fma_f64 v[137:138], v[4:5], v[34:35], v[137:138]
	v_fma_f64 v[34:35], v[2:3], v[34:35], -v[36:37]
	v_add_f64_e32 v[36:37], v[32:33], v[30:31]
	v_add_f64_e32 v[38:39], v[38:39], v[139:140]
	ds_load_b128 v[2:5], v1 offset:1280
	ds_load_b128 v[30:33], v1 offset:1296
	v_fma_f64 v[28:29], v[28:29], v[40:41], v[44:45]
	v_fma_f64 v[26:27], v[26:27], v[40:41], -v[42:43]
	s_wait_loadcnt_dscnt 0x401
	v_mul_f64_e32 v[139:140], v[2:3], v[145:146]
	v_mul_f64_e32 v[141:142], v[4:5], v[145:146]
	v_add_f64_e32 v[34:35], v[36:37], v[34:35]
	v_add_f64_e32 v[36:37], v[38:39], v[137:138]
	s_wait_dscnt 0x0
	v_mul_f64_e32 v[38:39], v[30:31], v[8:9]
	v_mul_f64_e32 v[8:9], v[32:33], v[8:9]
	v_fma_f64 v[40:41], v[4:5], v[143:144], v[139:140]
	v_fma_f64 v[42:43], v[2:3], v[143:144], -v[141:142]
	v_add_f64_e32 v[34:35], v[34:35], v[26:27]
	v_add_f64_e32 v[36:37], v[36:37], v[28:29]
	ds_load_b128 v[2:5], v1 offset:1312
	ds_load_b128 v[26:29], v1 offset:1328
	v_fma_f64 v[32:33], v[32:33], v[6:7], v[38:39]
	v_fma_f64 v[6:7], v[30:31], v[6:7], -v[8:9]
	s_wait_loadcnt_dscnt 0x301
	v_mul_f64_e32 v[44:45], v[2:3], v[12:13]
	v_mul_f64_e32 v[12:13], v[4:5], v[12:13]
	v_add_f64_e32 v[8:9], v[34:35], v[42:43]
	v_add_f64_e32 v[30:31], v[36:37], v[40:41]
	s_wait_loadcnt_dscnt 0x200
	v_mul_f64_e32 v[34:35], v[26:27], v[16:17]
	v_mul_f64_e32 v[16:17], v[28:29], v[16:17]
	v_fma_f64 v[36:37], v[4:5], v[10:11], v[44:45]
	v_fma_f64 v[10:11], v[2:3], v[10:11], -v[12:13]
	v_add_f64_e32 v[12:13], v[8:9], v[6:7]
	v_add_f64_e32 v[30:31], v[30:31], v[32:33]
	ds_load_b128 v[2:5], v1 offset:1344
	ds_load_b128 v[6:9], v1 offset:1360
	v_fma_f64 v[28:29], v[28:29], v[14:15], v[34:35]
	v_fma_f64 v[14:15], v[26:27], v[14:15], -v[16:17]
	s_wait_loadcnt_dscnt 0x101
	v_mul_f64_e32 v[32:33], v[2:3], v[20:21]
	v_mul_f64_e32 v[20:21], v[4:5], v[20:21]
	s_wait_loadcnt_dscnt 0x0
	v_mul_f64_e32 v[16:17], v[6:7], v[24:25]
	v_mul_f64_e32 v[24:25], v[8:9], v[24:25]
	v_add_f64_e32 v[10:11], v[12:13], v[10:11]
	v_add_f64_e32 v[12:13], v[30:31], v[36:37]
	v_fma_f64 v[4:5], v[4:5], v[18:19], v[32:33]
	v_fma_f64 v[1:2], v[2:3], v[18:19], -v[20:21]
	v_fma_f64 v[8:9], v[8:9], v[22:23], v[16:17]
	v_fma_f64 v[6:7], v[6:7], v[22:23], -v[24:25]
	v_add_f64_e32 v[10:11], v[10:11], v[14:15]
	v_add_f64_e32 v[12:13], v[12:13], v[28:29]
	s_delay_alu instid0(VALU_DEP_2) | instskip(NEXT) | instid1(VALU_DEP_2)
	v_add_f64_e32 v[1:2], v[10:11], v[1:2]
	v_add_f64_e32 v[3:4], v[12:13], v[4:5]
	s_delay_alu instid0(VALU_DEP_2) | instskip(NEXT) | instid1(VALU_DEP_2)
	;; [unrolled: 3-line block ×3, first 2 shown]
	v_add_f64_e64 v[1:2], v[133:134], -v[1:2]
	v_add_f64_e64 v[3:4], v[135:136], -v[3:4]
	scratch_store_b128 off, v[1:4], off offset:272
	v_cmpx_lt_u32_e32 15, v0
	s_cbranch_execz .LBB106_241
; %bb.240:
	scratch_load_b128 v[1:4], off, s36
	v_mov_b32_e32 v5, 0
	s_delay_alu instid0(VALU_DEP_1)
	v_dual_mov_b32 v6, v5 :: v_dual_mov_b32 v7, v5
	v_mov_b32_e32 v8, v5
	scratch_store_b128 off, v[5:8], off offset:256
	s_wait_loadcnt 0x0
	ds_store_b128 v132, v[1:4]
.LBB106_241:
	s_wait_alu 0xfffe
	s_or_b32 exec_lo, exec_lo, s0
	s_wait_storecnt_dscnt 0x0
	s_barrier_signal -1
	s_barrier_wait -1
	global_inv scope:SCOPE_SE
	s_clause 0x7
	scratch_load_b128 v[2:5], off, off offset:272
	scratch_load_b128 v[6:9], off, off offset:288
	;; [unrolled: 1-line block ×8, first 2 shown]
	v_mov_b32_e32 v1, 0
	s_mov_b32 s0, exec_lo
	ds_load_b128 v[34:37], v1 offset:944
	s_clause 0x1
	scratch_load_b128 v[38:41], off, off offset:400
	scratch_load_b128 v[42:45], off, off offset:256
	ds_load_b128 v[133:136], v1 offset:960
	scratch_load_b128 v[137:140], off, off offset:416
	s_wait_loadcnt_dscnt 0xa01
	v_mul_f64_e32 v[141:142], v[36:37], v[4:5]
	v_mul_f64_e32 v[4:5], v[34:35], v[4:5]
	s_delay_alu instid0(VALU_DEP_2) | instskip(NEXT) | instid1(VALU_DEP_2)
	v_fma_f64 v[147:148], v[34:35], v[2:3], -v[141:142]
	v_fma_f64 v[149:150], v[36:37], v[2:3], v[4:5]
	ds_load_b128 v[2:5], v1 offset:976
	s_wait_loadcnt_dscnt 0x901
	v_mul_f64_e32 v[145:146], v[133:134], v[8:9]
	v_mul_f64_e32 v[8:9], v[135:136], v[8:9]
	scratch_load_b128 v[34:37], off, off offset:432
	ds_load_b128 v[141:144], v1 offset:992
	s_wait_loadcnt_dscnt 0x901
	v_mul_f64_e32 v[151:152], v[2:3], v[12:13]
	v_mul_f64_e32 v[12:13], v[4:5], v[12:13]
	v_fma_f64 v[135:136], v[135:136], v[6:7], v[145:146]
	v_fma_f64 v[133:134], v[133:134], v[6:7], -v[8:9]
	v_add_f64_e32 v[145:146], 0, v[147:148]
	v_add_f64_e32 v[147:148], 0, v[149:150]
	scratch_load_b128 v[6:9], off, off offset:448
	v_fma_f64 v[151:152], v[4:5], v[10:11], v[151:152]
	v_fma_f64 v[153:154], v[2:3], v[10:11], -v[12:13]
	ds_load_b128 v[2:5], v1 offset:1008
	s_wait_loadcnt_dscnt 0x901
	v_mul_f64_e32 v[149:150], v[141:142], v[16:17]
	v_mul_f64_e32 v[16:17], v[143:144], v[16:17]
	scratch_load_b128 v[10:13], off, off offset:464
	v_add_f64_e32 v[145:146], v[145:146], v[133:134]
	v_add_f64_e32 v[147:148], v[147:148], v[135:136]
	s_wait_loadcnt_dscnt 0x900
	v_mul_f64_e32 v[155:156], v[2:3], v[20:21]
	v_mul_f64_e32 v[20:21], v[4:5], v[20:21]
	ds_load_b128 v[133:136], v1 offset:1024
	v_fma_f64 v[143:144], v[143:144], v[14:15], v[149:150]
	v_fma_f64 v[141:142], v[141:142], v[14:15], -v[16:17]
	scratch_load_b128 v[14:17], off, off offset:480
	v_add_f64_e32 v[145:146], v[145:146], v[153:154]
	v_add_f64_e32 v[147:148], v[147:148], v[151:152]
	v_fma_f64 v[151:152], v[4:5], v[18:19], v[155:156]
	v_fma_f64 v[153:154], v[2:3], v[18:19], -v[20:21]
	ds_load_b128 v[2:5], v1 offset:1040
	s_wait_loadcnt_dscnt 0x901
	v_mul_f64_e32 v[149:150], v[133:134], v[24:25]
	v_mul_f64_e32 v[24:25], v[135:136], v[24:25]
	scratch_load_b128 v[18:21], off, off offset:496
	s_wait_loadcnt_dscnt 0x900
	v_mul_f64_e32 v[155:156], v[2:3], v[28:29]
	v_mul_f64_e32 v[28:29], v[4:5], v[28:29]
	v_add_f64_e32 v[145:146], v[145:146], v[141:142]
	v_add_f64_e32 v[147:148], v[147:148], v[143:144]
	ds_load_b128 v[141:144], v1 offset:1056
	v_fma_f64 v[135:136], v[135:136], v[22:23], v[149:150]
	v_fma_f64 v[133:134], v[133:134], v[22:23], -v[24:25]
	scratch_load_b128 v[22:25], off, off offset:512
	v_add_f64_e32 v[145:146], v[145:146], v[153:154]
	v_add_f64_e32 v[147:148], v[147:148], v[151:152]
	v_fma_f64 v[151:152], v[4:5], v[26:27], v[155:156]
	v_fma_f64 v[153:154], v[2:3], v[26:27], -v[28:29]
	ds_load_b128 v[2:5], v1 offset:1072
	s_wait_loadcnt_dscnt 0x901
	v_mul_f64_e32 v[149:150], v[141:142], v[32:33]
	v_mul_f64_e32 v[32:33], v[143:144], v[32:33]
	scratch_load_b128 v[26:29], off, off offset:528
	s_wait_loadcnt_dscnt 0x900
	v_mul_f64_e32 v[155:156], v[2:3], v[40:41]
	v_mul_f64_e32 v[40:41], v[4:5], v[40:41]
	v_add_f64_e32 v[145:146], v[145:146], v[133:134]
	v_add_f64_e32 v[147:148], v[147:148], v[135:136]
	ds_load_b128 v[133:136], v1 offset:1088
	v_fma_f64 v[143:144], v[143:144], v[30:31], v[149:150]
	v_fma_f64 v[141:142], v[141:142], v[30:31], -v[32:33]
	scratch_load_b128 v[30:33], off, off offset:544
	v_add_f64_e32 v[145:146], v[145:146], v[153:154]
	v_add_f64_e32 v[147:148], v[147:148], v[151:152]
	v_fma_f64 v[153:154], v[4:5], v[38:39], v[155:156]
	v_fma_f64 v[155:156], v[2:3], v[38:39], -v[40:41]
	ds_load_b128 v[2:5], v1 offset:1104
	s_wait_loadcnt_dscnt 0x801
	v_mul_f64_e32 v[149:150], v[133:134], v[139:140]
	v_mul_f64_e32 v[151:152], v[135:136], v[139:140]
	scratch_load_b128 v[38:41], off, off offset:560
	v_add_f64_e32 v[145:146], v[145:146], v[141:142]
	v_add_f64_e32 v[143:144], v[147:148], v[143:144]
	ds_load_b128 v[139:142], v1 offset:1120
	v_fma_f64 v[149:150], v[135:136], v[137:138], v[149:150]
	v_fma_f64 v[137:138], v[133:134], v[137:138], -v[151:152]
	scratch_load_b128 v[133:136], off, off offset:576
	s_wait_loadcnt_dscnt 0x901
	v_mul_f64_e32 v[147:148], v[2:3], v[36:37]
	v_mul_f64_e32 v[36:37], v[4:5], v[36:37]
	v_add_f64_e32 v[145:146], v[145:146], v[155:156]
	v_add_f64_e32 v[143:144], v[143:144], v[153:154]
	s_delay_alu instid0(VALU_DEP_4) | instskip(NEXT) | instid1(VALU_DEP_4)
	v_fma_f64 v[147:148], v[4:5], v[34:35], v[147:148]
	v_fma_f64 v[153:154], v[2:3], v[34:35], -v[36:37]
	ds_load_b128 v[2:5], v1 offset:1136
	s_wait_loadcnt_dscnt 0x801
	v_mul_f64_e32 v[151:152], v[139:140], v[8:9]
	v_mul_f64_e32 v[8:9], v[141:142], v[8:9]
	scratch_load_b128 v[34:37], off, off offset:592
	s_wait_loadcnt_dscnt 0x800
	v_mul_f64_e32 v[155:156], v[2:3], v[12:13]
	v_add_f64_e32 v[137:138], v[145:146], v[137:138]
	v_add_f64_e32 v[149:150], v[143:144], v[149:150]
	v_mul_f64_e32 v[12:13], v[4:5], v[12:13]
	ds_load_b128 v[143:146], v1 offset:1152
	v_fma_f64 v[141:142], v[141:142], v[6:7], v[151:152]
	v_fma_f64 v[139:140], v[139:140], v[6:7], -v[8:9]
	scratch_load_b128 v[6:9], off, off offset:608
	v_fma_f64 v[151:152], v[4:5], v[10:11], v[155:156]
	v_add_f64_e32 v[137:138], v[137:138], v[153:154]
	v_add_f64_e32 v[147:148], v[149:150], v[147:148]
	v_fma_f64 v[153:154], v[2:3], v[10:11], -v[12:13]
	ds_load_b128 v[2:5], v1 offset:1168
	s_wait_loadcnt_dscnt 0x801
	v_mul_f64_e32 v[149:150], v[143:144], v[16:17]
	v_mul_f64_e32 v[16:17], v[145:146], v[16:17]
	scratch_load_b128 v[10:13], off, off offset:624
	v_add_f64_e32 v[155:156], v[137:138], v[139:140]
	v_add_f64_e32 v[141:142], v[147:148], v[141:142]
	s_wait_loadcnt_dscnt 0x800
	v_mul_f64_e32 v[147:148], v[2:3], v[20:21]
	v_mul_f64_e32 v[20:21], v[4:5], v[20:21]
	v_fma_f64 v[145:146], v[145:146], v[14:15], v[149:150]
	v_fma_f64 v[143:144], v[143:144], v[14:15], -v[16:17]
	ds_load_b128 v[137:140], v1 offset:1184
	scratch_load_b128 v[14:17], off, off offset:640
	v_add_f64_e32 v[149:150], v[155:156], v[153:154]
	v_add_f64_e32 v[141:142], v[141:142], v[151:152]
	v_fma_f64 v[147:148], v[4:5], v[18:19], v[147:148]
	v_fma_f64 v[153:154], v[2:3], v[18:19], -v[20:21]
	ds_load_b128 v[2:5], v1 offset:1200
	s_wait_loadcnt_dscnt 0x801
	v_mul_f64_e32 v[151:152], v[137:138], v[24:25]
	v_mul_f64_e32 v[24:25], v[139:140], v[24:25]
	scratch_load_b128 v[18:21], off, off offset:656
	s_wait_loadcnt_dscnt 0x800
	v_mul_f64_e32 v[155:156], v[2:3], v[28:29]
	v_mul_f64_e32 v[28:29], v[4:5], v[28:29]
	v_add_f64_e32 v[149:150], v[149:150], v[143:144]
	v_add_f64_e32 v[145:146], v[141:142], v[145:146]
	ds_load_b128 v[141:144], v1 offset:1216
	v_fma_f64 v[139:140], v[139:140], v[22:23], v[151:152]
	v_fma_f64 v[137:138], v[137:138], v[22:23], -v[24:25]
	scratch_load_b128 v[22:25], off, off offset:672
	v_fma_f64 v[151:152], v[4:5], v[26:27], v[155:156]
	v_add_f64_e32 v[149:150], v[149:150], v[153:154]
	v_add_f64_e32 v[145:146], v[145:146], v[147:148]
	v_fma_f64 v[153:154], v[2:3], v[26:27], -v[28:29]
	ds_load_b128 v[2:5], v1 offset:1232
	s_wait_loadcnt_dscnt 0x801
	v_mul_f64_e32 v[147:148], v[141:142], v[32:33]
	v_mul_f64_e32 v[32:33], v[143:144], v[32:33]
	scratch_load_b128 v[26:29], off, off offset:688
	s_wait_loadcnt_dscnt 0x800
	v_mul_f64_e32 v[155:156], v[2:3], v[40:41]
	v_mul_f64_e32 v[40:41], v[4:5], v[40:41]
	v_add_f64_e32 v[149:150], v[149:150], v[137:138]
	v_add_f64_e32 v[145:146], v[145:146], v[139:140]
	ds_load_b128 v[137:140], v1 offset:1248
	v_fma_f64 v[143:144], v[143:144], v[30:31], v[147:148]
	v_fma_f64 v[30:31], v[141:142], v[30:31], -v[32:33]
	v_fma_f64 v[147:148], v[4:5], v[38:39], v[155:156]
	v_fma_f64 v[38:39], v[2:3], v[38:39], -v[40:41]
	v_add_f64_e32 v[32:33], v[149:150], v[153:154]
	v_add_f64_e32 v[141:142], v[145:146], v[151:152]
	s_wait_loadcnt_dscnt 0x700
	v_mul_f64_e32 v[145:146], v[137:138], v[135:136]
	v_mul_f64_e32 v[135:136], v[139:140], v[135:136]
	s_delay_alu instid0(VALU_DEP_4) | instskip(NEXT) | instid1(VALU_DEP_4)
	v_add_f64_e32 v[40:41], v[32:33], v[30:31]
	v_add_f64_e32 v[141:142], v[141:142], v[143:144]
	ds_load_b128 v[2:5], v1 offset:1264
	ds_load_b128 v[30:33], v1 offset:1280
	v_fma_f64 v[139:140], v[139:140], v[133:134], v[145:146]
	v_fma_f64 v[133:134], v[137:138], v[133:134], -v[135:136]
	s_wait_loadcnt_dscnt 0x601
	v_mul_f64_e32 v[143:144], v[2:3], v[36:37]
	v_mul_f64_e32 v[36:37], v[4:5], v[36:37]
	s_wait_loadcnt_dscnt 0x500
	v_mul_f64_e32 v[135:136], v[30:31], v[8:9]
	v_mul_f64_e32 v[8:9], v[32:33], v[8:9]
	v_add_f64_e32 v[38:39], v[40:41], v[38:39]
	v_add_f64_e32 v[40:41], v[141:142], v[147:148]
	v_fma_f64 v[137:138], v[4:5], v[34:35], v[143:144]
	v_fma_f64 v[141:142], v[2:3], v[34:35], -v[36:37]
	ds_load_b128 v[2:5], v1 offset:1296
	ds_load_b128 v[34:37], v1 offset:1312
	v_fma_f64 v[32:33], v[32:33], v[6:7], v[135:136]
	v_fma_f64 v[6:7], v[30:31], v[6:7], -v[8:9]
	v_add_f64_e32 v[38:39], v[38:39], v[133:134]
	v_add_f64_e32 v[40:41], v[40:41], v[139:140]
	s_wait_loadcnt_dscnt 0x401
	v_mul_f64_e32 v[133:134], v[2:3], v[12:13]
	v_mul_f64_e32 v[12:13], v[4:5], v[12:13]
	s_delay_alu instid0(VALU_DEP_4) | instskip(NEXT) | instid1(VALU_DEP_4)
	v_add_f64_e32 v[8:9], v[38:39], v[141:142]
	v_add_f64_e32 v[30:31], v[40:41], v[137:138]
	s_wait_loadcnt_dscnt 0x300
	v_mul_f64_e32 v[38:39], v[34:35], v[16:17]
	v_mul_f64_e32 v[16:17], v[36:37], v[16:17]
	v_fma_f64 v[40:41], v[4:5], v[10:11], v[133:134]
	v_fma_f64 v[10:11], v[2:3], v[10:11], -v[12:13]
	v_add_f64_e32 v[12:13], v[8:9], v[6:7]
	v_add_f64_e32 v[30:31], v[30:31], v[32:33]
	ds_load_b128 v[2:5], v1 offset:1328
	ds_load_b128 v[6:9], v1 offset:1344
	v_fma_f64 v[36:37], v[36:37], v[14:15], v[38:39]
	v_fma_f64 v[14:15], v[34:35], v[14:15], -v[16:17]
	s_wait_loadcnt_dscnt 0x201
	v_mul_f64_e32 v[32:33], v[2:3], v[20:21]
	v_mul_f64_e32 v[20:21], v[4:5], v[20:21]
	s_wait_loadcnt_dscnt 0x100
	v_mul_f64_e32 v[16:17], v[6:7], v[24:25]
	v_mul_f64_e32 v[24:25], v[8:9], v[24:25]
	v_add_f64_e32 v[10:11], v[12:13], v[10:11]
	v_add_f64_e32 v[12:13], v[30:31], v[40:41]
	v_fma_f64 v[30:31], v[4:5], v[18:19], v[32:33]
	v_fma_f64 v[18:19], v[2:3], v[18:19], -v[20:21]
	ds_load_b128 v[2:5], v1 offset:1360
	v_fma_f64 v[8:9], v[8:9], v[22:23], v[16:17]
	v_fma_f64 v[6:7], v[6:7], v[22:23], -v[24:25]
	v_add_f64_e32 v[10:11], v[10:11], v[14:15]
	v_add_f64_e32 v[12:13], v[12:13], v[36:37]
	s_wait_loadcnt_dscnt 0x0
	v_mul_f64_e32 v[14:15], v[2:3], v[28:29]
	v_mul_f64_e32 v[20:21], v[4:5], v[28:29]
	s_delay_alu instid0(VALU_DEP_4) | instskip(NEXT) | instid1(VALU_DEP_4)
	v_add_f64_e32 v[10:11], v[10:11], v[18:19]
	v_add_f64_e32 v[12:13], v[12:13], v[30:31]
	s_delay_alu instid0(VALU_DEP_4) | instskip(NEXT) | instid1(VALU_DEP_4)
	v_fma_f64 v[4:5], v[4:5], v[26:27], v[14:15]
	v_fma_f64 v[2:3], v[2:3], v[26:27], -v[20:21]
	s_delay_alu instid0(VALU_DEP_4) | instskip(NEXT) | instid1(VALU_DEP_4)
	v_add_f64_e32 v[6:7], v[10:11], v[6:7]
	v_add_f64_e32 v[8:9], v[12:13], v[8:9]
	s_delay_alu instid0(VALU_DEP_2) | instskip(NEXT) | instid1(VALU_DEP_2)
	v_add_f64_e32 v[2:3], v[6:7], v[2:3]
	v_add_f64_e32 v[4:5], v[8:9], v[4:5]
	s_delay_alu instid0(VALU_DEP_2) | instskip(NEXT) | instid1(VALU_DEP_2)
	v_add_f64_e64 v[2:3], v[42:43], -v[2:3]
	v_add_f64_e64 v[4:5], v[44:45], -v[4:5]
	scratch_store_b128 off, v[2:5], off offset:256
	v_cmpx_lt_u32_e32 14, v0
	s_cbranch_execz .LBB106_243
; %bb.242:
	scratch_load_b128 v[5:8], off, s14
	v_dual_mov_b32 v2, v1 :: v_dual_mov_b32 v3, v1
	v_mov_b32_e32 v4, v1
	scratch_store_b128 off, v[1:4], off offset:240
	s_wait_loadcnt 0x0
	ds_store_b128 v132, v[5:8]
.LBB106_243:
	s_wait_alu 0xfffe
	s_or_b32 exec_lo, exec_lo, s0
	s_wait_storecnt_dscnt 0x0
	s_barrier_signal -1
	s_barrier_wait -1
	global_inv scope:SCOPE_SE
	s_clause 0x8
	scratch_load_b128 v[2:5], off, off offset:256
	scratch_load_b128 v[6:9], off, off offset:272
	;; [unrolled: 1-line block ×9, first 2 shown]
	ds_load_b128 v[38:41], v1 offset:928
	ds_load_b128 v[42:45], v1 offset:944
	s_clause 0x1
	scratch_load_b128 v[133:136], off, off offset:240
	scratch_load_b128 v[137:140], off, off offset:400
	s_mov_b32 s0, exec_lo
	s_wait_loadcnt_dscnt 0xa01
	v_mul_f64_e32 v[141:142], v[40:41], v[4:5]
	v_mul_f64_e32 v[4:5], v[38:39], v[4:5]
	s_wait_loadcnt_dscnt 0x900
	v_mul_f64_e32 v[145:146], v[42:43], v[8:9]
	v_mul_f64_e32 v[8:9], v[44:45], v[8:9]
	s_delay_alu instid0(VALU_DEP_4) | instskip(NEXT) | instid1(VALU_DEP_4)
	v_fma_f64 v[147:148], v[38:39], v[2:3], -v[141:142]
	v_fma_f64 v[149:150], v[40:41], v[2:3], v[4:5]
	ds_load_b128 v[2:5], v1 offset:960
	ds_load_b128 v[141:144], v1 offset:976
	scratch_load_b128 v[38:41], off, off offset:416
	v_fma_f64 v[44:45], v[44:45], v[6:7], v[145:146]
	v_fma_f64 v[42:43], v[42:43], v[6:7], -v[8:9]
	scratch_load_b128 v[6:9], off, off offset:432
	s_wait_loadcnt_dscnt 0xa01
	v_mul_f64_e32 v[151:152], v[2:3], v[12:13]
	v_mul_f64_e32 v[12:13], v[4:5], v[12:13]
	v_add_f64_e32 v[145:146], 0, v[147:148]
	v_add_f64_e32 v[147:148], 0, v[149:150]
	s_wait_loadcnt_dscnt 0x900
	v_mul_f64_e32 v[149:150], v[141:142], v[16:17]
	v_mul_f64_e32 v[16:17], v[143:144], v[16:17]
	v_fma_f64 v[151:152], v[4:5], v[10:11], v[151:152]
	v_fma_f64 v[153:154], v[2:3], v[10:11], -v[12:13]
	ds_load_b128 v[2:5], v1 offset:992
	scratch_load_b128 v[10:13], off, off offset:448
	v_add_f64_e32 v[145:146], v[145:146], v[42:43]
	v_add_f64_e32 v[147:148], v[147:148], v[44:45]
	ds_load_b128 v[42:45], v1 offset:1008
	v_fma_f64 v[143:144], v[143:144], v[14:15], v[149:150]
	v_fma_f64 v[141:142], v[141:142], v[14:15], -v[16:17]
	scratch_load_b128 v[14:17], off, off offset:464
	s_wait_loadcnt_dscnt 0xa01
	v_mul_f64_e32 v[155:156], v[2:3], v[20:21]
	v_mul_f64_e32 v[20:21], v[4:5], v[20:21]
	s_wait_loadcnt_dscnt 0x900
	v_mul_f64_e32 v[149:150], v[42:43], v[24:25]
	v_mul_f64_e32 v[24:25], v[44:45], v[24:25]
	v_add_f64_e32 v[145:146], v[145:146], v[153:154]
	v_add_f64_e32 v[147:148], v[147:148], v[151:152]
	v_fma_f64 v[151:152], v[4:5], v[18:19], v[155:156]
	v_fma_f64 v[153:154], v[2:3], v[18:19], -v[20:21]
	ds_load_b128 v[2:5], v1 offset:1024
	scratch_load_b128 v[18:21], off, off offset:480
	v_fma_f64 v[44:45], v[44:45], v[22:23], v[149:150]
	v_fma_f64 v[42:43], v[42:43], v[22:23], -v[24:25]
	scratch_load_b128 v[22:25], off, off offset:496
	v_add_f64_e32 v[145:146], v[145:146], v[141:142]
	v_add_f64_e32 v[147:148], v[147:148], v[143:144]
	ds_load_b128 v[141:144], v1 offset:1040
	s_wait_loadcnt_dscnt 0xa01
	v_mul_f64_e32 v[155:156], v[2:3], v[28:29]
	v_mul_f64_e32 v[28:29], v[4:5], v[28:29]
	s_wait_loadcnt_dscnt 0x900
	v_mul_f64_e32 v[149:150], v[141:142], v[32:33]
	v_mul_f64_e32 v[32:33], v[143:144], v[32:33]
	v_add_f64_e32 v[145:146], v[145:146], v[153:154]
	v_add_f64_e32 v[147:148], v[147:148], v[151:152]
	v_fma_f64 v[151:152], v[4:5], v[26:27], v[155:156]
	v_fma_f64 v[153:154], v[2:3], v[26:27], -v[28:29]
	ds_load_b128 v[2:5], v1 offset:1056
	scratch_load_b128 v[26:29], off, off offset:512
	v_fma_f64 v[143:144], v[143:144], v[30:31], v[149:150]
	v_fma_f64 v[141:142], v[141:142], v[30:31], -v[32:33]
	scratch_load_b128 v[30:33], off, off offset:528
	v_add_f64_e32 v[145:146], v[145:146], v[42:43]
	v_add_f64_e32 v[147:148], v[147:148], v[44:45]
	ds_load_b128 v[42:45], v1 offset:1072
	s_wait_loadcnt_dscnt 0xa01
	v_mul_f64_e32 v[155:156], v[2:3], v[36:37]
	v_mul_f64_e32 v[36:37], v[4:5], v[36:37]
	s_wait_loadcnt_dscnt 0x800
	v_mul_f64_e32 v[149:150], v[42:43], v[139:140]
	v_add_f64_e32 v[145:146], v[145:146], v[153:154]
	v_add_f64_e32 v[147:148], v[147:148], v[151:152]
	v_mul_f64_e32 v[151:152], v[44:45], v[139:140]
	v_fma_f64 v[153:154], v[4:5], v[34:35], v[155:156]
	v_fma_f64 v[155:156], v[2:3], v[34:35], -v[36:37]
	ds_load_b128 v[2:5], v1 offset:1088
	scratch_load_b128 v[34:37], off, off offset:544
	v_fma_f64 v[44:45], v[44:45], v[137:138], v[149:150]
	v_add_f64_e32 v[145:146], v[145:146], v[141:142]
	v_add_f64_e32 v[143:144], v[147:148], v[143:144]
	ds_load_b128 v[139:142], v1 offset:1104
	v_fma_f64 v[137:138], v[42:43], v[137:138], -v[151:152]
	s_wait_loadcnt_dscnt 0x801
	v_mul_f64_e32 v[147:148], v[2:3], v[40:41]
	v_mul_f64_e32 v[157:158], v[4:5], v[40:41]
	scratch_load_b128 v[40:43], off, off offset:560
	s_wait_loadcnt_dscnt 0x800
	v_mul_f64_e32 v[151:152], v[139:140], v[8:9]
	v_mul_f64_e32 v[8:9], v[141:142], v[8:9]
	v_add_f64_e32 v[145:146], v[145:146], v[155:156]
	v_add_f64_e32 v[143:144], v[143:144], v[153:154]
	v_fma_f64 v[153:154], v[4:5], v[38:39], v[147:148]
	v_fma_f64 v[38:39], v[2:3], v[38:39], -v[157:158]
	ds_load_b128 v[2:5], v1 offset:1120
	ds_load_b128 v[147:150], v1 offset:1136
	v_fma_f64 v[141:142], v[141:142], v[6:7], v[151:152]
	v_fma_f64 v[139:140], v[139:140], v[6:7], -v[8:9]
	scratch_load_b128 v[6:9], off, off offset:592
	v_add_f64_e32 v[137:138], v[145:146], v[137:138]
	v_add_f64_e32 v[44:45], v[143:144], v[44:45]
	scratch_load_b128 v[143:146], off, off offset:576
	s_wait_loadcnt_dscnt 0x901
	v_mul_f64_e32 v[155:156], v[2:3], v[12:13]
	v_mul_f64_e32 v[12:13], v[4:5], v[12:13]
	s_wait_loadcnt_dscnt 0x800
	v_mul_f64_e32 v[151:152], v[147:148], v[16:17]
	v_mul_f64_e32 v[16:17], v[149:150], v[16:17]
	v_add_f64_e32 v[38:39], v[137:138], v[38:39]
	v_add_f64_e32 v[44:45], v[44:45], v[153:154]
	v_fma_f64 v[153:154], v[4:5], v[10:11], v[155:156]
	v_fma_f64 v[155:156], v[2:3], v[10:11], -v[12:13]
	ds_load_b128 v[2:5], v1 offset:1152
	scratch_load_b128 v[10:13], off, off offset:608
	v_fma_f64 v[149:150], v[149:150], v[14:15], v[151:152]
	v_fma_f64 v[147:148], v[147:148], v[14:15], -v[16:17]
	scratch_load_b128 v[14:17], off, off offset:624
	v_add_f64_e32 v[38:39], v[38:39], v[139:140]
	v_add_f64_e32 v[44:45], v[44:45], v[141:142]
	ds_load_b128 v[137:140], v1 offset:1168
	s_wait_loadcnt_dscnt 0x901
	v_mul_f64_e32 v[141:142], v[2:3], v[20:21]
	v_mul_f64_e32 v[20:21], v[4:5], v[20:21]
	s_wait_loadcnt_dscnt 0x800
	v_mul_f64_e32 v[151:152], v[137:138], v[24:25]
	v_mul_f64_e32 v[24:25], v[139:140], v[24:25]
	v_add_f64_e32 v[38:39], v[38:39], v[155:156]
	v_add_f64_e32 v[44:45], v[44:45], v[153:154]
	v_fma_f64 v[141:142], v[4:5], v[18:19], v[141:142]
	v_fma_f64 v[153:154], v[2:3], v[18:19], -v[20:21]
	ds_load_b128 v[2:5], v1 offset:1184
	scratch_load_b128 v[18:21], off, off offset:640
	v_fma_f64 v[139:140], v[139:140], v[22:23], v[151:152]
	v_fma_f64 v[137:138], v[137:138], v[22:23], -v[24:25]
	scratch_load_b128 v[22:25], off, off offset:656
	v_add_f64_e32 v[38:39], v[38:39], v[147:148]
	v_add_f64_e32 v[44:45], v[44:45], v[149:150]
	ds_load_b128 v[147:150], v1 offset:1200
	s_wait_loadcnt_dscnt 0x901
	v_mul_f64_e32 v[155:156], v[2:3], v[28:29]
	v_mul_f64_e32 v[28:29], v[4:5], v[28:29]
	v_add_f64_e32 v[38:39], v[38:39], v[153:154]
	v_add_f64_e32 v[44:45], v[44:45], v[141:142]
	s_wait_loadcnt_dscnt 0x800
	v_mul_f64_e32 v[141:142], v[147:148], v[32:33]
	v_mul_f64_e32 v[32:33], v[149:150], v[32:33]
	v_fma_f64 v[151:152], v[4:5], v[26:27], v[155:156]
	v_fma_f64 v[153:154], v[2:3], v[26:27], -v[28:29]
	ds_load_b128 v[2:5], v1 offset:1216
	scratch_load_b128 v[26:29], off, off offset:672
	v_add_f64_e32 v[38:39], v[38:39], v[137:138]
	v_add_f64_e32 v[44:45], v[44:45], v[139:140]
	ds_load_b128 v[137:140], v1 offset:1232
	s_wait_loadcnt_dscnt 0x801
	v_mul_f64_e32 v[155:156], v[2:3], v[36:37]
	v_mul_f64_e32 v[36:37], v[4:5], v[36:37]
	v_fma_f64 v[141:142], v[149:150], v[30:31], v[141:142]
	v_fma_f64 v[147:148], v[147:148], v[30:31], -v[32:33]
	scratch_load_b128 v[30:33], off, off offset:688
	s_wait_loadcnt_dscnt 0x800
	v_mul_f64_e32 v[149:150], v[137:138], v[42:43]
	v_add_f64_e32 v[38:39], v[38:39], v[153:154]
	v_add_f64_e32 v[44:45], v[44:45], v[151:152]
	v_mul_f64_e32 v[42:43], v[139:140], v[42:43]
	v_fma_f64 v[151:152], v[4:5], v[34:35], v[155:156]
	v_fma_f64 v[153:154], v[2:3], v[34:35], -v[36:37]
	ds_load_b128 v[2:5], v1 offset:1248
	ds_load_b128 v[34:37], v1 offset:1264
	v_fma_f64 v[139:140], v[139:140], v[40:41], v[149:150]
	v_add_f64_e32 v[38:39], v[38:39], v[147:148]
	v_add_f64_e32 v[44:45], v[44:45], v[141:142]
	v_fma_f64 v[40:41], v[137:138], v[40:41], -v[42:43]
	s_wait_loadcnt_dscnt 0x601
	v_mul_f64_e32 v[141:142], v[2:3], v[145:146]
	v_mul_f64_e32 v[145:146], v[4:5], v[145:146]
	v_add_f64_e32 v[38:39], v[38:39], v[153:154]
	v_add_f64_e32 v[42:43], v[44:45], v[151:152]
	s_wait_dscnt 0x0
	v_mul_f64_e32 v[44:45], v[34:35], v[8:9]
	v_mul_f64_e32 v[8:9], v[36:37], v[8:9]
	v_fma_f64 v[137:138], v[4:5], v[143:144], v[141:142]
	v_fma_f64 v[141:142], v[2:3], v[143:144], -v[145:146]
	v_add_f64_e32 v[143:144], v[38:39], v[40:41]
	v_add_f64_e32 v[42:43], v[42:43], v[139:140]
	ds_load_b128 v[2:5], v1 offset:1280
	ds_load_b128 v[38:41], v1 offset:1296
	v_fma_f64 v[36:37], v[36:37], v[6:7], v[44:45]
	v_fma_f64 v[6:7], v[34:35], v[6:7], -v[8:9]
	s_wait_loadcnt_dscnt 0x501
	v_mul_f64_e32 v[139:140], v[2:3], v[12:13]
	v_mul_f64_e32 v[12:13], v[4:5], v[12:13]
	v_add_f64_e32 v[8:9], v[143:144], v[141:142]
	v_add_f64_e32 v[34:35], v[42:43], v[137:138]
	s_wait_loadcnt_dscnt 0x400
	v_mul_f64_e32 v[42:43], v[38:39], v[16:17]
	v_mul_f64_e32 v[16:17], v[40:41], v[16:17]
	v_fma_f64 v[44:45], v[4:5], v[10:11], v[139:140]
	v_fma_f64 v[10:11], v[2:3], v[10:11], -v[12:13]
	v_add_f64_e32 v[12:13], v[8:9], v[6:7]
	v_add_f64_e32 v[34:35], v[34:35], v[36:37]
	ds_load_b128 v[2:5], v1 offset:1312
	ds_load_b128 v[6:9], v1 offset:1328
	v_fma_f64 v[40:41], v[40:41], v[14:15], v[42:43]
	v_fma_f64 v[14:15], v[38:39], v[14:15], -v[16:17]
	s_wait_loadcnt_dscnt 0x301
	v_mul_f64_e32 v[36:37], v[2:3], v[20:21]
	v_mul_f64_e32 v[20:21], v[4:5], v[20:21]
	s_wait_loadcnt_dscnt 0x200
	v_mul_f64_e32 v[16:17], v[6:7], v[24:25]
	v_mul_f64_e32 v[24:25], v[8:9], v[24:25]
	v_add_f64_e32 v[10:11], v[12:13], v[10:11]
	v_add_f64_e32 v[12:13], v[34:35], v[44:45]
	v_fma_f64 v[34:35], v[4:5], v[18:19], v[36:37]
	v_fma_f64 v[18:19], v[2:3], v[18:19], -v[20:21]
	v_fma_f64 v[8:9], v[8:9], v[22:23], v[16:17]
	v_fma_f64 v[6:7], v[6:7], v[22:23], -v[24:25]
	v_add_f64_e32 v[14:15], v[10:11], v[14:15]
	v_add_f64_e32 v[20:21], v[12:13], v[40:41]
	ds_load_b128 v[2:5], v1 offset:1344
	ds_load_b128 v[10:13], v1 offset:1360
	s_wait_loadcnt_dscnt 0x101
	v_mul_f64_e32 v[36:37], v[2:3], v[28:29]
	v_mul_f64_e32 v[28:29], v[4:5], v[28:29]
	v_add_f64_e32 v[14:15], v[14:15], v[18:19]
	v_add_f64_e32 v[16:17], v[20:21], v[34:35]
	s_wait_loadcnt_dscnt 0x0
	v_mul_f64_e32 v[18:19], v[10:11], v[32:33]
	v_mul_f64_e32 v[20:21], v[12:13], v[32:33]
	v_fma_f64 v[4:5], v[4:5], v[26:27], v[36:37]
	v_fma_f64 v[1:2], v[2:3], v[26:27], -v[28:29]
	v_add_f64_e32 v[6:7], v[14:15], v[6:7]
	v_add_f64_e32 v[8:9], v[16:17], v[8:9]
	v_fma_f64 v[12:13], v[12:13], v[30:31], v[18:19]
	v_fma_f64 v[10:11], v[10:11], v[30:31], -v[20:21]
	s_delay_alu instid0(VALU_DEP_4) | instskip(NEXT) | instid1(VALU_DEP_4)
	v_add_f64_e32 v[1:2], v[6:7], v[1:2]
	v_add_f64_e32 v[3:4], v[8:9], v[4:5]
	s_delay_alu instid0(VALU_DEP_2) | instskip(NEXT) | instid1(VALU_DEP_2)
	v_add_f64_e32 v[1:2], v[1:2], v[10:11]
	v_add_f64_e32 v[3:4], v[3:4], v[12:13]
	s_delay_alu instid0(VALU_DEP_2) | instskip(NEXT) | instid1(VALU_DEP_2)
	v_add_f64_e64 v[1:2], v[133:134], -v[1:2]
	v_add_f64_e64 v[3:4], v[135:136], -v[3:4]
	scratch_store_b128 off, v[1:4], off offset:240
	v_cmpx_lt_u32_e32 13, v0
	s_cbranch_execz .LBB106_245
; %bb.244:
	scratch_load_b128 v[1:4], off, s35
	v_mov_b32_e32 v5, 0
	s_delay_alu instid0(VALU_DEP_1)
	v_dual_mov_b32 v6, v5 :: v_dual_mov_b32 v7, v5
	v_mov_b32_e32 v8, v5
	scratch_store_b128 off, v[5:8], off offset:224
	s_wait_loadcnt 0x0
	ds_store_b128 v132, v[1:4]
.LBB106_245:
	s_wait_alu 0xfffe
	s_or_b32 exec_lo, exec_lo, s0
	s_wait_storecnt_dscnt 0x0
	s_barrier_signal -1
	s_barrier_wait -1
	global_inv scope:SCOPE_SE
	s_clause 0x7
	scratch_load_b128 v[2:5], off, off offset:240
	scratch_load_b128 v[6:9], off, off offset:256
	scratch_load_b128 v[10:13], off, off offset:272
	scratch_load_b128 v[14:17], off, off offset:288
	scratch_load_b128 v[18:21], off, off offset:304
	scratch_load_b128 v[22:25], off, off offset:320
	scratch_load_b128 v[26:29], off, off offset:336
	scratch_load_b128 v[30:33], off, off offset:352
	v_mov_b32_e32 v1, 0
	s_mov_b32 s0, exec_lo
	ds_load_b128 v[34:37], v1 offset:912
	s_clause 0x1
	scratch_load_b128 v[38:41], off, off offset:368
	scratch_load_b128 v[42:45], off, off offset:224
	ds_load_b128 v[133:136], v1 offset:928
	scratch_load_b128 v[137:140], off, off offset:384
	s_wait_loadcnt_dscnt 0xa01
	v_mul_f64_e32 v[141:142], v[36:37], v[4:5]
	v_mul_f64_e32 v[4:5], v[34:35], v[4:5]
	s_delay_alu instid0(VALU_DEP_2) | instskip(NEXT) | instid1(VALU_DEP_2)
	v_fma_f64 v[147:148], v[34:35], v[2:3], -v[141:142]
	v_fma_f64 v[149:150], v[36:37], v[2:3], v[4:5]
	ds_load_b128 v[2:5], v1 offset:944
	s_wait_loadcnt_dscnt 0x901
	v_mul_f64_e32 v[145:146], v[133:134], v[8:9]
	v_mul_f64_e32 v[8:9], v[135:136], v[8:9]
	scratch_load_b128 v[34:37], off, off offset:400
	ds_load_b128 v[141:144], v1 offset:960
	s_wait_loadcnt_dscnt 0x901
	v_mul_f64_e32 v[151:152], v[2:3], v[12:13]
	v_mul_f64_e32 v[12:13], v[4:5], v[12:13]
	v_fma_f64 v[135:136], v[135:136], v[6:7], v[145:146]
	v_fma_f64 v[133:134], v[133:134], v[6:7], -v[8:9]
	v_add_f64_e32 v[145:146], 0, v[147:148]
	v_add_f64_e32 v[147:148], 0, v[149:150]
	scratch_load_b128 v[6:9], off, off offset:416
	v_fma_f64 v[151:152], v[4:5], v[10:11], v[151:152]
	v_fma_f64 v[153:154], v[2:3], v[10:11], -v[12:13]
	ds_load_b128 v[2:5], v1 offset:976
	s_wait_loadcnt_dscnt 0x901
	v_mul_f64_e32 v[149:150], v[141:142], v[16:17]
	v_mul_f64_e32 v[16:17], v[143:144], v[16:17]
	scratch_load_b128 v[10:13], off, off offset:432
	v_add_f64_e32 v[145:146], v[145:146], v[133:134]
	v_add_f64_e32 v[147:148], v[147:148], v[135:136]
	s_wait_loadcnt_dscnt 0x900
	v_mul_f64_e32 v[155:156], v[2:3], v[20:21]
	v_mul_f64_e32 v[20:21], v[4:5], v[20:21]
	ds_load_b128 v[133:136], v1 offset:992
	v_fma_f64 v[143:144], v[143:144], v[14:15], v[149:150]
	v_fma_f64 v[141:142], v[141:142], v[14:15], -v[16:17]
	scratch_load_b128 v[14:17], off, off offset:448
	v_add_f64_e32 v[145:146], v[145:146], v[153:154]
	v_add_f64_e32 v[147:148], v[147:148], v[151:152]
	v_fma_f64 v[151:152], v[4:5], v[18:19], v[155:156]
	v_fma_f64 v[153:154], v[2:3], v[18:19], -v[20:21]
	ds_load_b128 v[2:5], v1 offset:1008
	s_wait_loadcnt_dscnt 0x901
	v_mul_f64_e32 v[149:150], v[133:134], v[24:25]
	v_mul_f64_e32 v[24:25], v[135:136], v[24:25]
	scratch_load_b128 v[18:21], off, off offset:464
	s_wait_loadcnt_dscnt 0x900
	v_mul_f64_e32 v[155:156], v[2:3], v[28:29]
	v_mul_f64_e32 v[28:29], v[4:5], v[28:29]
	v_add_f64_e32 v[145:146], v[145:146], v[141:142]
	v_add_f64_e32 v[147:148], v[147:148], v[143:144]
	ds_load_b128 v[141:144], v1 offset:1024
	v_fma_f64 v[135:136], v[135:136], v[22:23], v[149:150]
	v_fma_f64 v[133:134], v[133:134], v[22:23], -v[24:25]
	scratch_load_b128 v[22:25], off, off offset:480
	v_add_f64_e32 v[145:146], v[145:146], v[153:154]
	v_add_f64_e32 v[147:148], v[147:148], v[151:152]
	v_fma_f64 v[151:152], v[4:5], v[26:27], v[155:156]
	v_fma_f64 v[153:154], v[2:3], v[26:27], -v[28:29]
	ds_load_b128 v[2:5], v1 offset:1040
	s_wait_loadcnt_dscnt 0x901
	v_mul_f64_e32 v[149:150], v[141:142], v[32:33]
	v_mul_f64_e32 v[32:33], v[143:144], v[32:33]
	scratch_load_b128 v[26:29], off, off offset:496
	s_wait_loadcnt_dscnt 0x900
	v_mul_f64_e32 v[155:156], v[2:3], v[40:41]
	v_mul_f64_e32 v[40:41], v[4:5], v[40:41]
	v_add_f64_e32 v[145:146], v[145:146], v[133:134]
	v_add_f64_e32 v[147:148], v[147:148], v[135:136]
	ds_load_b128 v[133:136], v1 offset:1056
	v_fma_f64 v[143:144], v[143:144], v[30:31], v[149:150]
	v_fma_f64 v[141:142], v[141:142], v[30:31], -v[32:33]
	scratch_load_b128 v[30:33], off, off offset:512
	v_add_f64_e32 v[145:146], v[145:146], v[153:154]
	v_add_f64_e32 v[147:148], v[147:148], v[151:152]
	v_fma_f64 v[153:154], v[4:5], v[38:39], v[155:156]
	v_fma_f64 v[155:156], v[2:3], v[38:39], -v[40:41]
	ds_load_b128 v[2:5], v1 offset:1072
	s_wait_loadcnt_dscnt 0x801
	v_mul_f64_e32 v[149:150], v[133:134], v[139:140]
	v_mul_f64_e32 v[151:152], v[135:136], v[139:140]
	scratch_load_b128 v[38:41], off, off offset:528
	v_add_f64_e32 v[145:146], v[145:146], v[141:142]
	v_add_f64_e32 v[143:144], v[147:148], v[143:144]
	ds_load_b128 v[139:142], v1 offset:1088
	v_fma_f64 v[149:150], v[135:136], v[137:138], v[149:150]
	v_fma_f64 v[137:138], v[133:134], v[137:138], -v[151:152]
	scratch_load_b128 v[133:136], off, off offset:544
	s_wait_loadcnt_dscnt 0x901
	v_mul_f64_e32 v[147:148], v[2:3], v[36:37]
	v_mul_f64_e32 v[36:37], v[4:5], v[36:37]
	v_add_f64_e32 v[145:146], v[145:146], v[155:156]
	v_add_f64_e32 v[143:144], v[143:144], v[153:154]
	s_delay_alu instid0(VALU_DEP_4) | instskip(NEXT) | instid1(VALU_DEP_4)
	v_fma_f64 v[147:148], v[4:5], v[34:35], v[147:148]
	v_fma_f64 v[153:154], v[2:3], v[34:35], -v[36:37]
	ds_load_b128 v[2:5], v1 offset:1104
	s_wait_loadcnt_dscnt 0x801
	v_mul_f64_e32 v[151:152], v[139:140], v[8:9]
	v_mul_f64_e32 v[8:9], v[141:142], v[8:9]
	scratch_load_b128 v[34:37], off, off offset:560
	s_wait_loadcnt_dscnt 0x800
	v_mul_f64_e32 v[155:156], v[2:3], v[12:13]
	v_add_f64_e32 v[137:138], v[145:146], v[137:138]
	v_add_f64_e32 v[149:150], v[143:144], v[149:150]
	v_mul_f64_e32 v[12:13], v[4:5], v[12:13]
	ds_load_b128 v[143:146], v1 offset:1120
	v_fma_f64 v[141:142], v[141:142], v[6:7], v[151:152]
	v_fma_f64 v[139:140], v[139:140], v[6:7], -v[8:9]
	scratch_load_b128 v[6:9], off, off offset:576
	v_fma_f64 v[151:152], v[4:5], v[10:11], v[155:156]
	v_add_f64_e32 v[137:138], v[137:138], v[153:154]
	v_add_f64_e32 v[147:148], v[149:150], v[147:148]
	v_fma_f64 v[153:154], v[2:3], v[10:11], -v[12:13]
	ds_load_b128 v[2:5], v1 offset:1136
	s_wait_loadcnt_dscnt 0x801
	v_mul_f64_e32 v[149:150], v[143:144], v[16:17]
	v_mul_f64_e32 v[16:17], v[145:146], v[16:17]
	scratch_load_b128 v[10:13], off, off offset:592
	v_add_f64_e32 v[155:156], v[137:138], v[139:140]
	v_add_f64_e32 v[141:142], v[147:148], v[141:142]
	s_wait_loadcnt_dscnt 0x800
	v_mul_f64_e32 v[147:148], v[2:3], v[20:21]
	v_mul_f64_e32 v[20:21], v[4:5], v[20:21]
	v_fma_f64 v[145:146], v[145:146], v[14:15], v[149:150]
	v_fma_f64 v[143:144], v[143:144], v[14:15], -v[16:17]
	ds_load_b128 v[137:140], v1 offset:1152
	scratch_load_b128 v[14:17], off, off offset:608
	v_add_f64_e32 v[149:150], v[155:156], v[153:154]
	v_add_f64_e32 v[141:142], v[141:142], v[151:152]
	v_fma_f64 v[147:148], v[4:5], v[18:19], v[147:148]
	v_fma_f64 v[153:154], v[2:3], v[18:19], -v[20:21]
	ds_load_b128 v[2:5], v1 offset:1168
	s_wait_loadcnt_dscnt 0x801
	v_mul_f64_e32 v[151:152], v[137:138], v[24:25]
	v_mul_f64_e32 v[24:25], v[139:140], v[24:25]
	scratch_load_b128 v[18:21], off, off offset:624
	s_wait_loadcnt_dscnt 0x800
	v_mul_f64_e32 v[155:156], v[2:3], v[28:29]
	v_mul_f64_e32 v[28:29], v[4:5], v[28:29]
	v_add_f64_e32 v[149:150], v[149:150], v[143:144]
	v_add_f64_e32 v[145:146], v[141:142], v[145:146]
	ds_load_b128 v[141:144], v1 offset:1184
	v_fma_f64 v[139:140], v[139:140], v[22:23], v[151:152]
	v_fma_f64 v[137:138], v[137:138], v[22:23], -v[24:25]
	scratch_load_b128 v[22:25], off, off offset:640
	v_fma_f64 v[151:152], v[4:5], v[26:27], v[155:156]
	v_add_f64_e32 v[149:150], v[149:150], v[153:154]
	v_add_f64_e32 v[145:146], v[145:146], v[147:148]
	v_fma_f64 v[153:154], v[2:3], v[26:27], -v[28:29]
	ds_load_b128 v[2:5], v1 offset:1200
	s_wait_loadcnt_dscnt 0x801
	v_mul_f64_e32 v[147:148], v[141:142], v[32:33]
	v_mul_f64_e32 v[32:33], v[143:144], v[32:33]
	scratch_load_b128 v[26:29], off, off offset:656
	s_wait_loadcnt_dscnt 0x800
	v_mul_f64_e32 v[155:156], v[2:3], v[40:41]
	v_mul_f64_e32 v[40:41], v[4:5], v[40:41]
	v_add_f64_e32 v[149:150], v[149:150], v[137:138]
	v_add_f64_e32 v[145:146], v[145:146], v[139:140]
	ds_load_b128 v[137:140], v1 offset:1216
	v_fma_f64 v[143:144], v[143:144], v[30:31], v[147:148]
	v_fma_f64 v[141:142], v[141:142], v[30:31], -v[32:33]
	scratch_load_b128 v[30:33], off, off offset:672
	v_add_f64_e32 v[147:148], v[149:150], v[153:154]
	v_add_f64_e32 v[145:146], v[145:146], v[151:152]
	v_fma_f64 v[151:152], v[4:5], v[38:39], v[155:156]
	v_fma_f64 v[153:154], v[2:3], v[38:39], -v[40:41]
	ds_load_b128 v[2:5], v1 offset:1232
	s_wait_loadcnt_dscnt 0x801
	v_mul_f64_e32 v[149:150], v[137:138], v[135:136]
	v_mul_f64_e32 v[135:136], v[139:140], v[135:136]
	scratch_load_b128 v[38:41], off, off offset:688
	s_wait_loadcnt_dscnt 0x800
	v_mul_f64_e32 v[155:156], v[2:3], v[36:37]
	v_mul_f64_e32 v[36:37], v[4:5], v[36:37]
	v_add_f64_e32 v[147:148], v[147:148], v[141:142]
	v_add_f64_e32 v[145:146], v[145:146], v[143:144]
	ds_load_b128 v[141:144], v1 offset:1248
	v_fma_f64 v[139:140], v[139:140], v[133:134], v[149:150]
	v_fma_f64 v[133:134], v[137:138], v[133:134], -v[135:136]
	v_fma_f64 v[149:150], v[2:3], v[34:35], -v[36:37]
	v_add_f64_e32 v[135:136], v[147:148], v[153:154]
	v_add_f64_e32 v[137:138], v[145:146], v[151:152]
	s_wait_loadcnt_dscnt 0x700
	v_mul_f64_e32 v[145:146], v[141:142], v[8:9]
	v_mul_f64_e32 v[8:9], v[143:144], v[8:9]
	v_fma_f64 v[147:148], v[4:5], v[34:35], v[155:156]
	ds_load_b128 v[2:5], v1 offset:1264
	ds_load_b128 v[34:37], v1 offset:1280
	v_add_f64_e32 v[133:134], v[135:136], v[133:134]
	v_add_f64_e32 v[135:136], v[137:138], v[139:140]
	s_wait_loadcnt_dscnt 0x601
	v_mul_f64_e32 v[137:138], v[2:3], v[12:13]
	v_mul_f64_e32 v[12:13], v[4:5], v[12:13]
	v_fma_f64 v[139:140], v[143:144], v[6:7], v[145:146]
	v_fma_f64 v[6:7], v[141:142], v[6:7], -v[8:9]
	v_add_f64_e32 v[8:9], v[133:134], v[149:150]
	v_add_f64_e32 v[133:134], v[135:136], v[147:148]
	s_wait_loadcnt_dscnt 0x500
	v_mul_f64_e32 v[135:136], v[34:35], v[16:17]
	v_mul_f64_e32 v[16:17], v[36:37], v[16:17]
	v_fma_f64 v[137:138], v[4:5], v[10:11], v[137:138]
	v_fma_f64 v[10:11], v[2:3], v[10:11], -v[12:13]
	v_add_f64_e32 v[12:13], v[8:9], v[6:7]
	v_add_f64_e32 v[133:134], v[133:134], v[139:140]
	ds_load_b128 v[2:5], v1 offset:1296
	ds_load_b128 v[6:9], v1 offset:1312
	v_fma_f64 v[36:37], v[36:37], v[14:15], v[135:136]
	v_fma_f64 v[14:15], v[34:35], v[14:15], -v[16:17]
	s_wait_loadcnt_dscnt 0x401
	v_mul_f64_e32 v[139:140], v[2:3], v[20:21]
	v_mul_f64_e32 v[20:21], v[4:5], v[20:21]
	s_wait_loadcnt_dscnt 0x300
	v_mul_f64_e32 v[16:17], v[6:7], v[24:25]
	v_mul_f64_e32 v[24:25], v[8:9], v[24:25]
	v_add_f64_e32 v[10:11], v[12:13], v[10:11]
	v_add_f64_e32 v[12:13], v[133:134], v[137:138]
	v_fma_f64 v[34:35], v[4:5], v[18:19], v[139:140]
	v_fma_f64 v[18:19], v[2:3], v[18:19], -v[20:21]
	v_fma_f64 v[8:9], v[8:9], v[22:23], v[16:17]
	v_fma_f64 v[6:7], v[6:7], v[22:23], -v[24:25]
	v_add_f64_e32 v[14:15], v[10:11], v[14:15]
	v_add_f64_e32 v[20:21], v[12:13], v[36:37]
	ds_load_b128 v[2:5], v1 offset:1328
	ds_load_b128 v[10:13], v1 offset:1344
	s_wait_loadcnt_dscnt 0x201
	v_mul_f64_e32 v[36:37], v[2:3], v[28:29]
	v_mul_f64_e32 v[28:29], v[4:5], v[28:29]
	v_add_f64_e32 v[14:15], v[14:15], v[18:19]
	v_add_f64_e32 v[16:17], v[20:21], v[34:35]
	s_wait_loadcnt_dscnt 0x100
	v_mul_f64_e32 v[18:19], v[10:11], v[32:33]
	v_mul_f64_e32 v[20:21], v[12:13], v[32:33]
	v_fma_f64 v[22:23], v[4:5], v[26:27], v[36:37]
	v_fma_f64 v[24:25], v[2:3], v[26:27], -v[28:29]
	ds_load_b128 v[2:5], v1 offset:1360
	v_add_f64_e32 v[6:7], v[14:15], v[6:7]
	v_add_f64_e32 v[8:9], v[16:17], v[8:9]
	v_fma_f64 v[12:13], v[12:13], v[30:31], v[18:19]
	v_fma_f64 v[10:11], v[10:11], v[30:31], -v[20:21]
	s_wait_loadcnt_dscnt 0x0
	v_mul_f64_e32 v[14:15], v[2:3], v[40:41]
	v_mul_f64_e32 v[16:17], v[4:5], v[40:41]
	v_add_f64_e32 v[6:7], v[6:7], v[24:25]
	v_add_f64_e32 v[8:9], v[8:9], v[22:23]
	s_delay_alu instid0(VALU_DEP_4) | instskip(NEXT) | instid1(VALU_DEP_4)
	v_fma_f64 v[4:5], v[4:5], v[38:39], v[14:15]
	v_fma_f64 v[2:3], v[2:3], v[38:39], -v[16:17]
	s_delay_alu instid0(VALU_DEP_4) | instskip(NEXT) | instid1(VALU_DEP_4)
	v_add_f64_e32 v[6:7], v[6:7], v[10:11]
	v_add_f64_e32 v[8:9], v[8:9], v[12:13]
	s_delay_alu instid0(VALU_DEP_2) | instskip(NEXT) | instid1(VALU_DEP_2)
	v_add_f64_e32 v[2:3], v[6:7], v[2:3]
	v_add_f64_e32 v[4:5], v[8:9], v[4:5]
	s_delay_alu instid0(VALU_DEP_2) | instskip(NEXT) | instid1(VALU_DEP_2)
	v_add_f64_e64 v[2:3], v[42:43], -v[2:3]
	v_add_f64_e64 v[4:5], v[44:45], -v[4:5]
	scratch_store_b128 off, v[2:5], off offset:224
	v_cmpx_lt_u32_e32 12, v0
	s_cbranch_execz .LBB106_247
; %bb.246:
	scratch_load_b128 v[5:8], off, s13
	v_dual_mov_b32 v2, v1 :: v_dual_mov_b32 v3, v1
	v_mov_b32_e32 v4, v1
	scratch_store_b128 off, v[1:4], off offset:208
	s_wait_loadcnt 0x0
	ds_store_b128 v132, v[5:8]
.LBB106_247:
	s_wait_alu 0xfffe
	s_or_b32 exec_lo, exec_lo, s0
	s_wait_storecnt_dscnt 0x0
	s_barrier_signal -1
	s_barrier_wait -1
	global_inv scope:SCOPE_SE
	s_clause 0x8
	scratch_load_b128 v[2:5], off, off offset:224
	scratch_load_b128 v[6:9], off, off offset:240
	;; [unrolled: 1-line block ×9, first 2 shown]
	ds_load_b128 v[38:41], v1 offset:896
	ds_load_b128 v[42:45], v1 offset:912
	s_clause 0x1
	scratch_load_b128 v[133:136], off, off offset:208
	scratch_load_b128 v[137:140], off, off offset:368
	s_mov_b32 s0, exec_lo
	s_wait_loadcnt_dscnt 0xa01
	v_mul_f64_e32 v[141:142], v[40:41], v[4:5]
	v_mul_f64_e32 v[4:5], v[38:39], v[4:5]
	s_wait_loadcnt_dscnt 0x900
	v_mul_f64_e32 v[145:146], v[42:43], v[8:9]
	v_mul_f64_e32 v[8:9], v[44:45], v[8:9]
	s_delay_alu instid0(VALU_DEP_4) | instskip(NEXT) | instid1(VALU_DEP_4)
	v_fma_f64 v[147:148], v[38:39], v[2:3], -v[141:142]
	v_fma_f64 v[149:150], v[40:41], v[2:3], v[4:5]
	ds_load_b128 v[2:5], v1 offset:928
	ds_load_b128 v[141:144], v1 offset:944
	scratch_load_b128 v[38:41], off, off offset:384
	v_fma_f64 v[44:45], v[44:45], v[6:7], v[145:146]
	v_fma_f64 v[42:43], v[42:43], v[6:7], -v[8:9]
	scratch_load_b128 v[6:9], off, off offset:400
	s_wait_loadcnt_dscnt 0xa01
	v_mul_f64_e32 v[151:152], v[2:3], v[12:13]
	v_mul_f64_e32 v[12:13], v[4:5], v[12:13]
	v_add_f64_e32 v[145:146], 0, v[147:148]
	v_add_f64_e32 v[147:148], 0, v[149:150]
	s_wait_loadcnt_dscnt 0x900
	v_mul_f64_e32 v[149:150], v[141:142], v[16:17]
	v_mul_f64_e32 v[16:17], v[143:144], v[16:17]
	v_fma_f64 v[151:152], v[4:5], v[10:11], v[151:152]
	v_fma_f64 v[153:154], v[2:3], v[10:11], -v[12:13]
	ds_load_b128 v[2:5], v1 offset:960
	scratch_load_b128 v[10:13], off, off offset:416
	v_add_f64_e32 v[145:146], v[145:146], v[42:43]
	v_add_f64_e32 v[147:148], v[147:148], v[44:45]
	ds_load_b128 v[42:45], v1 offset:976
	v_fma_f64 v[143:144], v[143:144], v[14:15], v[149:150]
	v_fma_f64 v[141:142], v[141:142], v[14:15], -v[16:17]
	scratch_load_b128 v[14:17], off, off offset:432
	s_wait_loadcnt_dscnt 0xa01
	v_mul_f64_e32 v[155:156], v[2:3], v[20:21]
	v_mul_f64_e32 v[20:21], v[4:5], v[20:21]
	s_wait_loadcnt_dscnt 0x900
	v_mul_f64_e32 v[149:150], v[42:43], v[24:25]
	v_mul_f64_e32 v[24:25], v[44:45], v[24:25]
	v_add_f64_e32 v[145:146], v[145:146], v[153:154]
	v_add_f64_e32 v[147:148], v[147:148], v[151:152]
	v_fma_f64 v[151:152], v[4:5], v[18:19], v[155:156]
	v_fma_f64 v[153:154], v[2:3], v[18:19], -v[20:21]
	ds_load_b128 v[2:5], v1 offset:992
	scratch_load_b128 v[18:21], off, off offset:448
	v_fma_f64 v[44:45], v[44:45], v[22:23], v[149:150]
	v_fma_f64 v[42:43], v[42:43], v[22:23], -v[24:25]
	scratch_load_b128 v[22:25], off, off offset:464
	v_add_f64_e32 v[145:146], v[145:146], v[141:142]
	v_add_f64_e32 v[147:148], v[147:148], v[143:144]
	ds_load_b128 v[141:144], v1 offset:1008
	s_wait_loadcnt_dscnt 0xa01
	v_mul_f64_e32 v[155:156], v[2:3], v[28:29]
	v_mul_f64_e32 v[28:29], v[4:5], v[28:29]
	s_wait_loadcnt_dscnt 0x900
	v_mul_f64_e32 v[149:150], v[141:142], v[32:33]
	v_mul_f64_e32 v[32:33], v[143:144], v[32:33]
	v_add_f64_e32 v[145:146], v[145:146], v[153:154]
	v_add_f64_e32 v[147:148], v[147:148], v[151:152]
	v_fma_f64 v[151:152], v[4:5], v[26:27], v[155:156]
	v_fma_f64 v[153:154], v[2:3], v[26:27], -v[28:29]
	ds_load_b128 v[2:5], v1 offset:1024
	scratch_load_b128 v[26:29], off, off offset:480
	v_fma_f64 v[143:144], v[143:144], v[30:31], v[149:150]
	v_fma_f64 v[141:142], v[141:142], v[30:31], -v[32:33]
	scratch_load_b128 v[30:33], off, off offset:496
	v_add_f64_e32 v[145:146], v[145:146], v[42:43]
	v_add_f64_e32 v[147:148], v[147:148], v[44:45]
	ds_load_b128 v[42:45], v1 offset:1040
	s_wait_loadcnt_dscnt 0xa01
	v_mul_f64_e32 v[155:156], v[2:3], v[36:37]
	v_mul_f64_e32 v[36:37], v[4:5], v[36:37]
	s_wait_loadcnt_dscnt 0x800
	v_mul_f64_e32 v[149:150], v[42:43], v[139:140]
	v_add_f64_e32 v[145:146], v[145:146], v[153:154]
	v_add_f64_e32 v[147:148], v[147:148], v[151:152]
	v_mul_f64_e32 v[151:152], v[44:45], v[139:140]
	v_fma_f64 v[153:154], v[4:5], v[34:35], v[155:156]
	v_fma_f64 v[155:156], v[2:3], v[34:35], -v[36:37]
	ds_load_b128 v[2:5], v1 offset:1056
	scratch_load_b128 v[34:37], off, off offset:512
	v_fma_f64 v[44:45], v[44:45], v[137:138], v[149:150]
	v_add_f64_e32 v[145:146], v[145:146], v[141:142]
	v_add_f64_e32 v[143:144], v[147:148], v[143:144]
	ds_load_b128 v[139:142], v1 offset:1072
	v_fma_f64 v[137:138], v[42:43], v[137:138], -v[151:152]
	s_wait_loadcnt_dscnt 0x801
	v_mul_f64_e32 v[147:148], v[2:3], v[40:41]
	v_mul_f64_e32 v[157:158], v[4:5], v[40:41]
	scratch_load_b128 v[40:43], off, off offset:528
	s_wait_loadcnt_dscnt 0x800
	v_mul_f64_e32 v[151:152], v[139:140], v[8:9]
	v_mul_f64_e32 v[8:9], v[141:142], v[8:9]
	v_add_f64_e32 v[145:146], v[145:146], v[155:156]
	v_add_f64_e32 v[143:144], v[143:144], v[153:154]
	v_fma_f64 v[153:154], v[4:5], v[38:39], v[147:148]
	v_fma_f64 v[38:39], v[2:3], v[38:39], -v[157:158]
	ds_load_b128 v[2:5], v1 offset:1088
	ds_load_b128 v[147:150], v1 offset:1104
	v_fma_f64 v[141:142], v[141:142], v[6:7], v[151:152]
	v_fma_f64 v[139:140], v[139:140], v[6:7], -v[8:9]
	scratch_load_b128 v[6:9], off, off offset:560
	v_add_f64_e32 v[137:138], v[145:146], v[137:138]
	v_add_f64_e32 v[44:45], v[143:144], v[44:45]
	scratch_load_b128 v[143:146], off, off offset:544
	s_wait_loadcnt_dscnt 0x901
	v_mul_f64_e32 v[155:156], v[2:3], v[12:13]
	v_mul_f64_e32 v[12:13], v[4:5], v[12:13]
	s_wait_loadcnt_dscnt 0x800
	v_mul_f64_e32 v[151:152], v[147:148], v[16:17]
	v_mul_f64_e32 v[16:17], v[149:150], v[16:17]
	v_add_f64_e32 v[38:39], v[137:138], v[38:39]
	v_add_f64_e32 v[44:45], v[44:45], v[153:154]
	v_fma_f64 v[153:154], v[4:5], v[10:11], v[155:156]
	v_fma_f64 v[155:156], v[2:3], v[10:11], -v[12:13]
	ds_load_b128 v[2:5], v1 offset:1120
	scratch_load_b128 v[10:13], off, off offset:576
	v_fma_f64 v[149:150], v[149:150], v[14:15], v[151:152]
	v_fma_f64 v[147:148], v[147:148], v[14:15], -v[16:17]
	scratch_load_b128 v[14:17], off, off offset:592
	v_add_f64_e32 v[38:39], v[38:39], v[139:140]
	v_add_f64_e32 v[44:45], v[44:45], v[141:142]
	ds_load_b128 v[137:140], v1 offset:1136
	s_wait_loadcnt_dscnt 0x901
	v_mul_f64_e32 v[141:142], v[2:3], v[20:21]
	v_mul_f64_e32 v[20:21], v[4:5], v[20:21]
	s_wait_loadcnt_dscnt 0x800
	v_mul_f64_e32 v[151:152], v[137:138], v[24:25]
	v_mul_f64_e32 v[24:25], v[139:140], v[24:25]
	v_add_f64_e32 v[38:39], v[38:39], v[155:156]
	v_add_f64_e32 v[44:45], v[44:45], v[153:154]
	v_fma_f64 v[141:142], v[4:5], v[18:19], v[141:142]
	v_fma_f64 v[153:154], v[2:3], v[18:19], -v[20:21]
	ds_load_b128 v[2:5], v1 offset:1152
	scratch_load_b128 v[18:21], off, off offset:608
	v_fma_f64 v[139:140], v[139:140], v[22:23], v[151:152]
	v_fma_f64 v[137:138], v[137:138], v[22:23], -v[24:25]
	scratch_load_b128 v[22:25], off, off offset:624
	v_add_f64_e32 v[38:39], v[38:39], v[147:148]
	v_add_f64_e32 v[44:45], v[44:45], v[149:150]
	ds_load_b128 v[147:150], v1 offset:1168
	s_wait_loadcnt_dscnt 0x901
	v_mul_f64_e32 v[155:156], v[2:3], v[28:29]
	v_mul_f64_e32 v[28:29], v[4:5], v[28:29]
	v_add_f64_e32 v[38:39], v[38:39], v[153:154]
	v_add_f64_e32 v[44:45], v[44:45], v[141:142]
	s_wait_loadcnt_dscnt 0x800
	v_mul_f64_e32 v[141:142], v[147:148], v[32:33]
	v_mul_f64_e32 v[32:33], v[149:150], v[32:33]
	v_fma_f64 v[151:152], v[4:5], v[26:27], v[155:156]
	v_fma_f64 v[153:154], v[2:3], v[26:27], -v[28:29]
	ds_load_b128 v[2:5], v1 offset:1184
	scratch_load_b128 v[26:29], off, off offset:640
	v_add_f64_e32 v[38:39], v[38:39], v[137:138]
	v_add_f64_e32 v[44:45], v[44:45], v[139:140]
	ds_load_b128 v[137:140], v1 offset:1200
	s_wait_loadcnt_dscnt 0x801
	v_mul_f64_e32 v[155:156], v[2:3], v[36:37]
	v_mul_f64_e32 v[36:37], v[4:5], v[36:37]
	v_fma_f64 v[141:142], v[149:150], v[30:31], v[141:142]
	v_fma_f64 v[147:148], v[147:148], v[30:31], -v[32:33]
	scratch_load_b128 v[30:33], off, off offset:656
	s_wait_loadcnt_dscnt 0x800
	v_mul_f64_e32 v[149:150], v[137:138], v[42:43]
	v_add_f64_e32 v[38:39], v[38:39], v[153:154]
	v_add_f64_e32 v[44:45], v[44:45], v[151:152]
	v_mul_f64_e32 v[151:152], v[139:140], v[42:43]
	v_fma_f64 v[153:154], v[4:5], v[34:35], v[155:156]
	v_fma_f64 v[155:156], v[2:3], v[34:35], -v[36:37]
	ds_load_b128 v[2:5], v1 offset:1216
	scratch_load_b128 v[34:37], off, off offset:672
	v_fma_f64 v[139:140], v[139:140], v[40:41], v[149:150]
	v_add_f64_e32 v[38:39], v[38:39], v[147:148]
	v_add_f64_e32 v[141:142], v[44:45], v[141:142]
	ds_load_b128 v[42:45], v1 offset:1232
	v_fma_f64 v[137:138], v[137:138], v[40:41], -v[151:152]
	s_wait_loadcnt_dscnt 0x701
	v_mul_f64_e32 v[147:148], v[2:3], v[145:146]
	v_mul_f64_e32 v[145:146], v[4:5], v[145:146]
	s_wait_dscnt 0x0
	v_mul_f64_e32 v[151:152], v[42:43], v[8:9]
	v_mul_f64_e32 v[8:9], v[44:45], v[8:9]
	v_add_f64_e32 v[149:150], v[38:39], v[155:156]
	v_add_f64_e32 v[141:142], v[141:142], v[153:154]
	scratch_load_b128 v[38:41], off, off offset:688
	v_fma_f64 v[147:148], v[4:5], v[143:144], v[147:148]
	v_fma_f64 v[143:144], v[2:3], v[143:144], -v[145:146]
	v_fma_f64 v[44:45], v[44:45], v[6:7], v[151:152]
	v_fma_f64 v[6:7], v[42:43], v[6:7], -v[8:9]
	v_add_f64_e32 v[145:146], v[149:150], v[137:138]
	v_add_f64_e32 v[141:142], v[141:142], v[139:140]
	ds_load_b128 v[2:5], v1 offset:1248
	ds_load_b128 v[137:140], v1 offset:1264
	s_wait_loadcnt_dscnt 0x701
	v_mul_f64_e32 v[149:150], v[2:3], v[12:13]
	v_mul_f64_e32 v[12:13], v[4:5], v[12:13]
	v_add_f64_e32 v[8:9], v[145:146], v[143:144]
	v_add_f64_e32 v[42:43], v[141:142], v[147:148]
	s_wait_loadcnt_dscnt 0x600
	v_mul_f64_e32 v[141:142], v[137:138], v[16:17]
	v_mul_f64_e32 v[16:17], v[139:140], v[16:17]
	v_fma_f64 v[143:144], v[4:5], v[10:11], v[149:150]
	v_fma_f64 v[10:11], v[2:3], v[10:11], -v[12:13]
	v_add_f64_e32 v[12:13], v[8:9], v[6:7]
	v_add_f64_e32 v[42:43], v[42:43], v[44:45]
	ds_load_b128 v[2:5], v1 offset:1280
	ds_load_b128 v[6:9], v1 offset:1296
	v_fma_f64 v[139:140], v[139:140], v[14:15], v[141:142]
	v_fma_f64 v[14:15], v[137:138], v[14:15], -v[16:17]
	s_wait_loadcnt_dscnt 0x501
	v_mul_f64_e32 v[44:45], v[2:3], v[20:21]
	v_mul_f64_e32 v[20:21], v[4:5], v[20:21]
	s_wait_loadcnt_dscnt 0x400
	v_mul_f64_e32 v[16:17], v[6:7], v[24:25]
	v_mul_f64_e32 v[24:25], v[8:9], v[24:25]
	v_add_f64_e32 v[10:11], v[12:13], v[10:11]
	v_add_f64_e32 v[12:13], v[42:43], v[143:144]
	v_fma_f64 v[42:43], v[4:5], v[18:19], v[44:45]
	v_fma_f64 v[18:19], v[2:3], v[18:19], -v[20:21]
	v_fma_f64 v[8:9], v[8:9], v[22:23], v[16:17]
	v_fma_f64 v[6:7], v[6:7], v[22:23], -v[24:25]
	v_add_f64_e32 v[14:15], v[10:11], v[14:15]
	v_add_f64_e32 v[20:21], v[12:13], v[139:140]
	ds_load_b128 v[2:5], v1 offset:1312
	ds_load_b128 v[10:13], v1 offset:1328
	s_wait_loadcnt_dscnt 0x301
	v_mul_f64_e32 v[44:45], v[2:3], v[28:29]
	v_mul_f64_e32 v[28:29], v[4:5], v[28:29]
	v_add_f64_e32 v[14:15], v[14:15], v[18:19]
	v_add_f64_e32 v[16:17], v[20:21], v[42:43]
	s_wait_loadcnt_dscnt 0x200
	v_mul_f64_e32 v[18:19], v[10:11], v[32:33]
	v_mul_f64_e32 v[20:21], v[12:13], v[32:33]
	v_fma_f64 v[22:23], v[4:5], v[26:27], v[44:45]
	v_fma_f64 v[24:25], v[2:3], v[26:27], -v[28:29]
	v_add_f64_e32 v[14:15], v[14:15], v[6:7]
	v_add_f64_e32 v[16:17], v[16:17], v[8:9]
	ds_load_b128 v[2:5], v1 offset:1344
	ds_load_b128 v[6:9], v1 offset:1360
	v_fma_f64 v[12:13], v[12:13], v[30:31], v[18:19]
	v_fma_f64 v[10:11], v[10:11], v[30:31], -v[20:21]
	s_wait_loadcnt_dscnt 0x101
	v_mul_f64_e32 v[26:27], v[2:3], v[36:37]
	v_mul_f64_e32 v[28:29], v[4:5], v[36:37]
	v_add_f64_e32 v[14:15], v[14:15], v[24:25]
	v_add_f64_e32 v[16:17], v[16:17], v[22:23]
	s_wait_loadcnt_dscnt 0x0
	v_mul_f64_e32 v[18:19], v[6:7], v[40:41]
	v_mul_f64_e32 v[20:21], v[8:9], v[40:41]
	v_fma_f64 v[4:5], v[4:5], v[34:35], v[26:27]
	v_fma_f64 v[1:2], v[2:3], v[34:35], -v[28:29]
	v_add_f64_e32 v[10:11], v[14:15], v[10:11]
	v_add_f64_e32 v[12:13], v[16:17], v[12:13]
	v_fma_f64 v[8:9], v[8:9], v[38:39], v[18:19]
	v_fma_f64 v[6:7], v[6:7], v[38:39], -v[20:21]
	s_delay_alu instid0(VALU_DEP_4) | instskip(NEXT) | instid1(VALU_DEP_4)
	v_add_f64_e32 v[1:2], v[10:11], v[1:2]
	v_add_f64_e32 v[3:4], v[12:13], v[4:5]
	s_delay_alu instid0(VALU_DEP_2) | instskip(NEXT) | instid1(VALU_DEP_2)
	v_add_f64_e32 v[1:2], v[1:2], v[6:7]
	v_add_f64_e32 v[3:4], v[3:4], v[8:9]
	s_delay_alu instid0(VALU_DEP_2) | instskip(NEXT) | instid1(VALU_DEP_2)
	v_add_f64_e64 v[1:2], v[133:134], -v[1:2]
	v_add_f64_e64 v[3:4], v[135:136], -v[3:4]
	scratch_store_b128 off, v[1:4], off offset:208
	v_cmpx_lt_u32_e32 11, v0
	s_cbranch_execz .LBB106_249
; %bb.248:
	scratch_load_b128 v[1:4], off, s34
	v_mov_b32_e32 v5, 0
	s_delay_alu instid0(VALU_DEP_1)
	v_dual_mov_b32 v6, v5 :: v_dual_mov_b32 v7, v5
	v_mov_b32_e32 v8, v5
	scratch_store_b128 off, v[5:8], off offset:192
	s_wait_loadcnt 0x0
	ds_store_b128 v132, v[1:4]
.LBB106_249:
	s_wait_alu 0xfffe
	s_or_b32 exec_lo, exec_lo, s0
	s_wait_storecnt_dscnt 0x0
	s_barrier_signal -1
	s_barrier_wait -1
	global_inv scope:SCOPE_SE
	s_clause 0x7
	scratch_load_b128 v[2:5], off, off offset:208
	scratch_load_b128 v[6:9], off, off offset:224
	;; [unrolled: 1-line block ×8, first 2 shown]
	v_mov_b32_e32 v1, 0
	s_mov_b32 s0, exec_lo
	ds_load_b128 v[34:37], v1 offset:880
	s_clause 0x1
	scratch_load_b128 v[38:41], off, off offset:336
	scratch_load_b128 v[42:45], off, off offset:192
	ds_load_b128 v[133:136], v1 offset:896
	scratch_load_b128 v[137:140], off, off offset:352
	s_wait_loadcnt_dscnt 0xa01
	v_mul_f64_e32 v[141:142], v[36:37], v[4:5]
	v_mul_f64_e32 v[4:5], v[34:35], v[4:5]
	s_delay_alu instid0(VALU_DEP_2) | instskip(NEXT) | instid1(VALU_DEP_2)
	v_fma_f64 v[147:148], v[34:35], v[2:3], -v[141:142]
	v_fma_f64 v[149:150], v[36:37], v[2:3], v[4:5]
	ds_load_b128 v[2:5], v1 offset:912
	s_wait_loadcnt_dscnt 0x901
	v_mul_f64_e32 v[145:146], v[133:134], v[8:9]
	v_mul_f64_e32 v[8:9], v[135:136], v[8:9]
	scratch_load_b128 v[34:37], off, off offset:368
	ds_load_b128 v[141:144], v1 offset:928
	s_wait_loadcnt_dscnt 0x901
	v_mul_f64_e32 v[151:152], v[2:3], v[12:13]
	v_mul_f64_e32 v[12:13], v[4:5], v[12:13]
	v_fma_f64 v[135:136], v[135:136], v[6:7], v[145:146]
	v_fma_f64 v[133:134], v[133:134], v[6:7], -v[8:9]
	v_add_f64_e32 v[145:146], 0, v[147:148]
	v_add_f64_e32 v[147:148], 0, v[149:150]
	scratch_load_b128 v[6:9], off, off offset:384
	v_fma_f64 v[151:152], v[4:5], v[10:11], v[151:152]
	v_fma_f64 v[153:154], v[2:3], v[10:11], -v[12:13]
	ds_load_b128 v[2:5], v1 offset:944
	s_wait_loadcnt_dscnt 0x901
	v_mul_f64_e32 v[149:150], v[141:142], v[16:17]
	v_mul_f64_e32 v[16:17], v[143:144], v[16:17]
	scratch_load_b128 v[10:13], off, off offset:400
	v_add_f64_e32 v[145:146], v[145:146], v[133:134]
	v_add_f64_e32 v[147:148], v[147:148], v[135:136]
	s_wait_loadcnt_dscnt 0x900
	v_mul_f64_e32 v[155:156], v[2:3], v[20:21]
	v_mul_f64_e32 v[20:21], v[4:5], v[20:21]
	ds_load_b128 v[133:136], v1 offset:960
	v_fma_f64 v[143:144], v[143:144], v[14:15], v[149:150]
	v_fma_f64 v[141:142], v[141:142], v[14:15], -v[16:17]
	scratch_load_b128 v[14:17], off, off offset:416
	v_add_f64_e32 v[145:146], v[145:146], v[153:154]
	v_add_f64_e32 v[147:148], v[147:148], v[151:152]
	v_fma_f64 v[151:152], v[4:5], v[18:19], v[155:156]
	v_fma_f64 v[153:154], v[2:3], v[18:19], -v[20:21]
	ds_load_b128 v[2:5], v1 offset:976
	s_wait_loadcnt_dscnt 0x901
	v_mul_f64_e32 v[149:150], v[133:134], v[24:25]
	v_mul_f64_e32 v[24:25], v[135:136], v[24:25]
	scratch_load_b128 v[18:21], off, off offset:432
	s_wait_loadcnt_dscnt 0x900
	v_mul_f64_e32 v[155:156], v[2:3], v[28:29]
	v_mul_f64_e32 v[28:29], v[4:5], v[28:29]
	v_add_f64_e32 v[145:146], v[145:146], v[141:142]
	v_add_f64_e32 v[147:148], v[147:148], v[143:144]
	ds_load_b128 v[141:144], v1 offset:992
	v_fma_f64 v[135:136], v[135:136], v[22:23], v[149:150]
	v_fma_f64 v[133:134], v[133:134], v[22:23], -v[24:25]
	scratch_load_b128 v[22:25], off, off offset:448
	v_add_f64_e32 v[145:146], v[145:146], v[153:154]
	v_add_f64_e32 v[147:148], v[147:148], v[151:152]
	v_fma_f64 v[151:152], v[4:5], v[26:27], v[155:156]
	v_fma_f64 v[153:154], v[2:3], v[26:27], -v[28:29]
	ds_load_b128 v[2:5], v1 offset:1008
	s_wait_loadcnt_dscnt 0x901
	v_mul_f64_e32 v[149:150], v[141:142], v[32:33]
	v_mul_f64_e32 v[32:33], v[143:144], v[32:33]
	scratch_load_b128 v[26:29], off, off offset:464
	s_wait_loadcnt_dscnt 0x900
	v_mul_f64_e32 v[155:156], v[2:3], v[40:41]
	v_mul_f64_e32 v[40:41], v[4:5], v[40:41]
	v_add_f64_e32 v[145:146], v[145:146], v[133:134]
	v_add_f64_e32 v[147:148], v[147:148], v[135:136]
	ds_load_b128 v[133:136], v1 offset:1024
	v_fma_f64 v[143:144], v[143:144], v[30:31], v[149:150]
	v_fma_f64 v[141:142], v[141:142], v[30:31], -v[32:33]
	scratch_load_b128 v[30:33], off, off offset:480
	v_add_f64_e32 v[145:146], v[145:146], v[153:154]
	v_add_f64_e32 v[147:148], v[147:148], v[151:152]
	v_fma_f64 v[153:154], v[4:5], v[38:39], v[155:156]
	v_fma_f64 v[155:156], v[2:3], v[38:39], -v[40:41]
	ds_load_b128 v[2:5], v1 offset:1040
	s_wait_loadcnt_dscnt 0x801
	v_mul_f64_e32 v[149:150], v[133:134], v[139:140]
	v_mul_f64_e32 v[151:152], v[135:136], v[139:140]
	scratch_load_b128 v[38:41], off, off offset:496
	v_add_f64_e32 v[145:146], v[145:146], v[141:142]
	v_add_f64_e32 v[143:144], v[147:148], v[143:144]
	ds_load_b128 v[139:142], v1 offset:1056
	v_fma_f64 v[149:150], v[135:136], v[137:138], v[149:150]
	v_fma_f64 v[137:138], v[133:134], v[137:138], -v[151:152]
	scratch_load_b128 v[133:136], off, off offset:512
	s_wait_loadcnt_dscnt 0x901
	v_mul_f64_e32 v[147:148], v[2:3], v[36:37]
	v_mul_f64_e32 v[36:37], v[4:5], v[36:37]
	v_add_f64_e32 v[145:146], v[145:146], v[155:156]
	v_add_f64_e32 v[143:144], v[143:144], v[153:154]
	s_delay_alu instid0(VALU_DEP_4) | instskip(NEXT) | instid1(VALU_DEP_4)
	v_fma_f64 v[147:148], v[4:5], v[34:35], v[147:148]
	v_fma_f64 v[153:154], v[2:3], v[34:35], -v[36:37]
	ds_load_b128 v[2:5], v1 offset:1072
	s_wait_loadcnt_dscnt 0x801
	v_mul_f64_e32 v[151:152], v[139:140], v[8:9]
	v_mul_f64_e32 v[8:9], v[141:142], v[8:9]
	scratch_load_b128 v[34:37], off, off offset:528
	s_wait_loadcnt_dscnt 0x800
	v_mul_f64_e32 v[155:156], v[2:3], v[12:13]
	v_add_f64_e32 v[137:138], v[145:146], v[137:138]
	v_add_f64_e32 v[149:150], v[143:144], v[149:150]
	v_mul_f64_e32 v[12:13], v[4:5], v[12:13]
	ds_load_b128 v[143:146], v1 offset:1088
	v_fma_f64 v[141:142], v[141:142], v[6:7], v[151:152]
	v_fma_f64 v[139:140], v[139:140], v[6:7], -v[8:9]
	scratch_load_b128 v[6:9], off, off offset:544
	v_fma_f64 v[151:152], v[4:5], v[10:11], v[155:156]
	v_add_f64_e32 v[137:138], v[137:138], v[153:154]
	v_add_f64_e32 v[147:148], v[149:150], v[147:148]
	v_fma_f64 v[153:154], v[2:3], v[10:11], -v[12:13]
	ds_load_b128 v[2:5], v1 offset:1104
	s_wait_loadcnt_dscnt 0x801
	v_mul_f64_e32 v[149:150], v[143:144], v[16:17]
	v_mul_f64_e32 v[16:17], v[145:146], v[16:17]
	scratch_load_b128 v[10:13], off, off offset:560
	v_add_f64_e32 v[155:156], v[137:138], v[139:140]
	v_add_f64_e32 v[141:142], v[147:148], v[141:142]
	s_wait_loadcnt_dscnt 0x800
	v_mul_f64_e32 v[147:148], v[2:3], v[20:21]
	v_mul_f64_e32 v[20:21], v[4:5], v[20:21]
	v_fma_f64 v[145:146], v[145:146], v[14:15], v[149:150]
	v_fma_f64 v[143:144], v[143:144], v[14:15], -v[16:17]
	ds_load_b128 v[137:140], v1 offset:1120
	scratch_load_b128 v[14:17], off, off offset:576
	v_add_f64_e32 v[149:150], v[155:156], v[153:154]
	v_add_f64_e32 v[141:142], v[141:142], v[151:152]
	v_fma_f64 v[147:148], v[4:5], v[18:19], v[147:148]
	v_fma_f64 v[153:154], v[2:3], v[18:19], -v[20:21]
	ds_load_b128 v[2:5], v1 offset:1136
	s_wait_loadcnt_dscnt 0x801
	v_mul_f64_e32 v[151:152], v[137:138], v[24:25]
	v_mul_f64_e32 v[24:25], v[139:140], v[24:25]
	scratch_load_b128 v[18:21], off, off offset:592
	s_wait_loadcnt_dscnt 0x800
	v_mul_f64_e32 v[155:156], v[2:3], v[28:29]
	v_mul_f64_e32 v[28:29], v[4:5], v[28:29]
	v_add_f64_e32 v[149:150], v[149:150], v[143:144]
	v_add_f64_e32 v[145:146], v[141:142], v[145:146]
	ds_load_b128 v[141:144], v1 offset:1152
	v_fma_f64 v[139:140], v[139:140], v[22:23], v[151:152]
	v_fma_f64 v[137:138], v[137:138], v[22:23], -v[24:25]
	scratch_load_b128 v[22:25], off, off offset:608
	v_fma_f64 v[151:152], v[4:5], v[26:27], v[155:156]
	v_add_f64_e32 v[149:150], v[149:150], v[153:154]
	v_add_f64_e32 v[145:146], v[145:146], v[147:148]
	v_fma_f64 v[153:154], v[2:3], v[26:27], -v[28:29]
	ds_load_b128 v[2:5], v1 offset:1168
	s_wait_loadcnt_dscnt 0x801
	v_mul_f64_e32 v[147:148], v[141:142], v[32:33]
	v_mul_f64_e32 v[32:33], v[143:144], v[32:33]
	scratch_load_b128 v[26:29], off, off offset:624
	s_wait_loadcnt_dscnt 0x800
	v_mul_f64_e32 v[155:156], v[2:3], v[40:41]
	v_mul_f64_e32 v[40:41], v[4:5], v[40:41]
	v_add_f64_e32 v[149:150], v[149:150], v[137:138]
	v_add_f64_e32 v[145:146], v[145:146], v[139:140]
	ds_load_b128 v[137:140], v1 offset:1184
	v_fma_f64 v[143:144], v[143:144], v[30:31], v[147:148]
	v_fma_f64 v[141:142], v[141:142], v[30:31], -v[32:33]
	scratch_load_b128 v[30:33], off, off offset:640
	v_add_f64_e32 v[147:148], v[149:150], v[153:154]
	v_add_f64_e32 v[145:146], v[145:146], v[151:152]
	v_fma_f64 v[151:152], v[4:5], v[38:39], v[155:156]
	v_fma_f64 v[153:154], v[2:3], v[38:39], -v[40:41]
	ds_load_b128 v[2:5], v1 offset:1200
	s_wait_loadcnt_dscnt 0x801
	v_mul_f64_e32 v[149:150], v[137:138], v[135:136]
	v_mul_f64_e32 v[135:136], v[139:140], v[135:136]
	scratch_load_b128 v[38:41], off, off offset:656
	s_wait_loadcnt_dscnt 0x800
	v_mul_f64_e32 v[155:156], v[2:3], v[36:37]
	v_mul_f64_e32 v[36:37], v[4:5], v[36:37]
	v_add_f64_e32 v[147:148], v[147:148], v[141:142]
	v_add_f64_e32 v[145:146], v[145:146], v[143:144]
	ds_load_b128 v[141:144], v1 offset:1216
	v_fma_f64 v[139:140], v[139:140], v[133:134], v[149:150]
	v_fma_f64 v[137:138], v[137:138], v[133:134], -v[135:136]
	scratch_load_b128 v[133:136], off, off offset:672
	v_add_f64_e32 v[147:148], v[147:148], v[153:154]
	v_add_f64_e32 v[145:146], v[145:146], v[151:152]
	v_fma_f64 v[151:152], v[4:5], v[34:35], v[155:156]
	v_fma_f64 v[153:154], v[2:3], v[34:35], -v[36:37]
	ds_load_b128 v[2:5], v1 offset:1232
	s_wait_loadcnt_dscnt 0x801
	v_mul_f64_e32 v[149:150], v[141:142], v[8:9]
	v_mul_f64_e32 v[8:9], v[143:144], v[8:9]
	scratch_load_b128 v[34:37], off, off offset:688
	s_wait_loadcnt_dscnt 0x800
	v_mul_f64_e32 v[155:156], v[2:3], v[12:13]
	v_mul_f64_e32 v[12:13], v[4:5], v[12:13]
	v_add_f64_e32 v[147:148], v[147:148], v[137:138]
	v_add_f64_e32 v[145:146], v[145:146], v[139:140]
	ds_load_b128 v[137:140], v1 offset:1248
	v_fma_f64 v[143:144], v[143:144], v[6:7], v[149:150]
	v_fma_f64 v[6:7], v[141:142], v[6:7], -v[8:9]
	v_add_f64_e32 v[8:9], v[147:148], v[153:154]
	v_add_f64_e32 v[141:142], v[145:146], v[151:152]
	s_wait_loadcnt_dscnt 0x700
	v_mul_f64_e32 v[145:146], v[137:138], v[16:17]
	v_mul_f64_e32 v[16:17], v[139:140], v[16:17]
	v_fma_f64 v[147:148], v[4:5], v[10:11], v[155:156]
	v_fma_f64 v[10:11], v[2:3], v[10:11], -v[12:13]
	v_add_f64_e32 v[12:13], v[8:9], v[6:7]
	v_add_f64_e32 v[141:142], v[141:142], v[143:144]
	ds_load_b128 v[2:5], v1 offset:1264
	ds_load_b128 v[6:9], v1 offset:1280
	v_fma_f64 v[139:140], v[139:140], v[14:15], v[145:146]
	v_fma_f64 v[14:15], v[137:138], v[14:15], -v[16:17]
	s_wait_loadcnt_dscnt 0x601
	v_mul_f64_e32 v[143:144], v[2:3], v[20:21]
	v_mul_f64_e32 v[20:21], v[4:5], v[20:21]
	s_wait_loadcnt_dscnt 0x500
	v_mul_f64_e32 v[16:17], v[6:7], v[24:25]
	v_mul_f64_e32 v[24:25], v[8:9], v[24:25]
	v_add_f64_e32 v[10:11], v[12:13], v[10:11]
	v_add_f64_e32 v[12:13], v[141:142], v[147:148]
	v_fma_f64 v[137:138], v[4:5], v[18:19], v[143:144]
	v_fma_f64 v[18:19], v[2:3], v[18:19], -v[20:21]
	v_fma_f64 v[8:9], v[8:9], v[22:23], v[16:17]
	v_fma_f64 v[6:7], v[6:7], v[22:23], -v[24:25]
	v_add_f64_e32 v[14:15], v[10:11], v[14:15]
	v_add_f64_e32 v[20:21], v[12:13], v[139:140]
	ds_load_b128 v[2:5], v1 offset:1296
	ds_load_b128 v[10:13], v1 offset:1312
	s_wait_loadcnt_dscnt 0x401
	v_mul_f64_e32 v[139:140], v[2:3], v[28:29]
	v_mul_f64_e32 v[28:29], v[4:5], v[28:29]
	v_add_f64_e32 v[14:15], v[14:15], v[18:19]
	v_add_f64_e32 v[16:17], v[20:21], v[137:138]
	s_wait_loadcnt_dscnt 0x300
	v_mul_f64_e32 v[18:19], v[10:11], v[32:33]
	v_mul_f64_e32 v[20:21], v[12:13], v[32:33]
	v_fma_f64 v[22:23], v[4:5], v[26:27], v[139:140]
	v_fma_f64 v[24:25], v[2:3], v[26:27], -v[28:29]
	v_add_f64_e32 v[14:15], v[14:15], v[6:7]
	v_add_f64_e32 v[16:17], v[16:17], v[8:9]
	ds_load_b128 v[2:5], v1 offset:1328
	ds_load_b128 v[6:9], v1 offset:1344
	v_fma_f64 v[12:13], v[12:13], v[30:31], v[18:19]
	v_fma_f64 v[10:11], v[10:11], v[30:31], -v[20:21]
	s_wait_loadcnt_dscnt 0x201
	v_mul_f64_e32 v[26:27], v[2:3], v[40:41]
	v_mul_f64_e32 v[28:29], v[4:5], v[40:41]
	s_wait_loadcnt_dscnt 0x100
	v_mul_f64_e32 v[18:19], v[6:7], v[135:136]
	v_mul_f64_e32 v[20:21], v[8:9], v[135:136]
	v_add_f64_e32 v[14:15], v[14:15], v[24:25]
	v_add_f64_e32 v[16:17], v[16:17], v[22:23]
	v_fma_f64 v[22:23], v[4:5], v[38:39], v[26:27]
	v_fma_f64 v[24:25], v[2:3], v[38:39], -v[28:29]
	ds_load_b128 v[2:5], v1 offset:1360
	v_fma_f64 v[8:9], v[8:9], v[133:134], v[18:19]
	v_fma_f64 v[6:7], v[6:7], v[133:134], -v[20:21]
	v_add_f64_e32 v[10:11], v[14:15], v[10:11]
	v_add_f64_e32 v[12:13], v[16:17], v[12:13]
	s_wait_loadcnt_dscnt 0x0
	v_mul_f64_e32 v[14:15], v[2:3], v[36:37]
	v_mul_f64_e32 v[16:17], v[4:5], v[36:37]
	s_delay_alu instid0(VALU_DEP_4) | instskip(NEXT) | instid1(VALU_DEP_4)
	v_add_f64_e32 v[10:11], v[10:11], v[24:25]
	v_add_f64_e32 v[12:13], v[12:13], v[22:23]
	s_delay_alu instid0(VALU_DEP_4) | instskip(NEXT) | instid1(VALU_DEP_4)
	v_fma_f64 v[4:5], v[4:5], v[34:35], v[14:15]
	v_fma_f64 v[2:3], v[2:3], v[34:35], -v[16:17]
	s_delay_alu instid0(VALU_DEP_4) | instskip(NEXT) | instid1(VALU_DEP_4)
	v_add_f64_e32 v[6:7], v[10:11], v[6:7]
	v_add_f64_e32 v[8:9], v[12:13], v[8:9]
	s_delay_alu instid0(VALU_DEP_2) | instskip(NEXT) | instid1(VALU_DEP_2)
	v_add_f64_e32 v[2:3], v[6:7], v[2:3]
	v_add_f64_e32 v[4:5], v[8:9], v[4:5]
	s_delay_alu instid0(VALU_DEP_2) | instskip(NEXT) | instid1(VALU_DEP_2)
	v_add_f64_e64 v[2:3], v[42:43], -v[2:3]
	v_add_f64_e64 v[4:5], v[44:45], -v[4:5]
	scratch_store_b128 off, v[2:5], off offset:192
	v_cmpx_lt_u32_e32 10, v0
	s_cbranch_execz .LBB106_251
; %bb.250:
	scratch_load_b128 v[5:8], off, s11
	v_dual_mov_b32 v2, v1 :: v_dual_mov_b32 v3, v1
	v_mov_b32_e32 v4, v1
	scratch_store_b128 off, v[1:4], off offset:176
	s_wait_loadcnt 0x0
	ds_store_b128 v132, v[5:8]
.LBB106_251:
	s_wait_alu 0xfffe
	s_or_b32 exec_lo, exec_lo, s0
	s_wait_storecnt_dscnt 0x0
	s_barrier_signal -1
	s_barrier_wait -1
	global_inv scope:SCOPE_SE
	s_clause 0x8
	scratch_load_b128 v[2:5], off, off offset:192
	scratch_load_b128 v[6:9], off, off offset:208
	;; [unrolled: 1-line block ×9, first 2 shown]
	ds_load_b128 v[38:41], v1 offset:864
	ds_load_b128 v[42:45], v1 offset:880
	s_clause 0x1
	scratch_load_b128 v[133:136], off, off offset:176
	scratch_load_b128 v[137:140], off, off offset:336
	s_mov_b32 s0, exec_lo
	s_wait_loadcnt_dscnt 0xa01
	v_mul_f64_e32 v[141:142], v[40:41], v[4:5]
	v_mul_f64_e32 v[4:5], v[38:39], v[4:5]
	s_wait_loadcnt_dscnt 0x900
	v_mul_f64_e32 v[145:146], v[42:43], v[8:9]
	v_mul_f64_e32 v[8:9], v[44:45], v[8:9]
	s_delay_alu instid0(VALU_DEP_4) | instskip(NEXT) | instid1(VALU_DEP_4)
	v_fma_f64 v[147:148], v[38:39], v[2:3], -v[141:142]
	v_fma_f64 v[149:150], v[40:41], v[2:3], v[4:5]
	ds_load_b128 v[2:5], v1 offset:896
	ds_load_b128 v[141:144], v1 offset:912
	scratch_load_b128 v[38:41], off, off offset:352
	v_fma_f64 v[44:45], v[44:45], v[6:7], v[145:146]
	v_fma_f64 v[42:43], v[42:43], v[6:7], -v[8:9]
	scratch_load_b128 v[6:9], off, off offset:368
	s_wait_loadcnt_dscnt 0xa01
	v_mul_f64_e32 v[151:152], v[2:3], v[12:13]
	v_mul_f64_e32 v[12:13], v[4:5], v[12:13]
	v_add_f64_e32 v[145:146], 0, v[147:148]
	v_add_f64_e32 v[147:148], 0, v[149:150]
	s_wait_loadcnt_dscnt 0x900
	v_mul_f64_e32 v[149:150], v[141:142], v[16:17]
	v_mul_f64_e32 v[16:17], v[143:144], v[16:17]
	v_fma_f64 v[151:152], v[4:5], v[10:11], v[151:152]
	v_fma_f64 v[153:154], v[2:3], v[10:11], -v[12:13]
	ds_load_b128 v[2:5], v1 offset:928
	scratch_load_b128 v[10:13], off, off offset:384
	v_add_f64_e32 v[145:146], v[145:146], v[42:43]
	v_add_f64_e32 v[147:148], v[147:148], v[44:45]
	ds_load_b128 v[42:45], v1 offset:944
	v_fma_f64 v[143:144], v[143:144], v[14:15], v[149:150]
	v_fma_f64 v[141:142], v[141:142], v[14:15], -v[16:17]
	scratch_load_b128 v[14:17], off, off offset:400
	s_wait_loadcnt_dscnt 0xa01
	v_mul_f64_e32 v[155:156], v[2:3], v[20:21]
	v_mul_f64_e32 v[20:21], v[4:5], v[20:21]
	s_wait_loadcnt_dscnt 0x900
	v_mul_f64_e32 v[149:150], v[42:43], v[24:25]
	v_mul_f64_e32 v[24:25], v[44:45], v[24:25]
	v_add_f64_e32 v[145:146], v[145:146], v[153:154]
	v_add_f64_e32 v[147:148], v[147:148], v[151:152]
	v_fma_f64 v[151:152], v[4:5], v[18:19], v[155:156]
	v_fma_f64 v[153:154], v[2:3], v[18:19], -v[20:21]
	ds_load_b128 v[2:5], v1 offset:960
	scratch_load_b128 v[18:21], off, off offset:416
	v_fma_f64 v[44:45], v[44:45], v[22:23], v[149:150]
	v_fma_f64 v[42:43], v[42:43], v[22:23], -v[24:25]
	scratch_load_b128 v[22:25], off, off offset:432
	v_add_f64_e32 v[145:146], v[145:146], v[141:142]
	v_add_f64_e32 v[147:148], v[147:148], v[143:144]
	ds_load_b128 v[141:144], v1 offset:976
	s_wait_loadcnt_dscnt 0xa01
	v_mul_f64_e32 v[155:156], v[2:3], v[28:29]
	v_mul_f64_e32 v[28:29], v[4:5], v[28:29]
	s_wait_loadcnt_dscnt 0x900
	v_mul_f64_e32 v[149:150], v[141:142], v[32:33]
	v_mul_f64_e32 v[32:33], v[143:144], v[32:33]
	v_add_f64_e32 v[145:146], v[145:146], v[153:154]
	v_add_f64_e32 v[147:148], v[147:148], v[151:152]
	v_fma_f64 v[151:152], v[4:5], v[26:27], v[155:156]
	v_fma_f64 v[153:154], v[2:3], v[26:27], -v[28:29]
	ds_load_b128 v[2:5], v1 offset:992
	scratch_load_b128 v[26:29], off, off offset:448
	v_fma_f64 v[143:144], v[143:144], v[30:31], v[149:150]
	v_fma_f64 v[141:142], v[141:142], v[30:31], -v[32:33]
	scratch_load_b128 v[30:33], off, off offset:464
	v_add_f64_e32 v[145:146], v[145:146], v[42:43]
	v_add_f64_e32 v[147:148], v[147:148], v[44:45]
	ds_load_b128 v[42:45], v1 offset:1008
	s_wait_loadcnt_dscnt 0xa01
	v_mul_f64_e32 v[155:156], v[2:3], v[36:37]
	v_mul_f64_e32 v[36:37], v[4:5], v[36:37]
	s_wait_loadcnt_dscnt 0x800
	v_mul_f64_e32 v[149:150], v[42:43], v[139:140]
	v_add_f64_e32 v[145:146], v[145:146], v[153:154]
	v_add_f64_e32 v[147:148], v[147:148], v[151:152]
	v_mul_f64_e32 v[151:152], v[44:45], v[139:140]
	v_fma_f64 v[153:154], v[4:5], v[34:35], v[155:156]
	v_fma_f64 v[155:156], v[2:3], v[34:35], -v[36:37]
	ds_load_b128 v[2:5], v1 offset:1024
	scratch_load_b128 v[34:37], off, off offset:480
	v_fma_f64 v[44:45], v[44:45], v[137:138], v[149:150]
	v_add_f64_e32 v[145:146], v[145:146], v[141:142]
	v_add_f64_e32 v[143:144], v[147:148], v[143:144]
	ds_load_b128 v[139:142], v1 offset:1040
	v_fma_f64 v[137:138], v[42:43], v[137:138], -v[151:152]
	s_wait_loadcnt_dscnt 0x801
	v_mul_f64_e32 v[147:148], v[2:3], v[40:41]
	v_mul_f64_e32 v[157:158], v[4:5], v[40:41]
	scratch_load_b128 v[40:43], off, off offset:496
	s_wait_loadcnt_dscnt 0x800
	v_mul_f64_e32 v[151:152], v[139:140], v[8:9]
	v_mul_f64_e32 v[8:9], v[141:142], v[8:9]
	v_add_f64_e32 v[145:146], v[145:146], v[155:156]
	v_add_f64_e32 v[143:144], v[143:144], v[153:154]
	v_fma_f64 v[153:154], v[4:5], v[38:39], v[147:148]
	v_fma_f64 v[38:39], v[2:3], v[38:39], -v[157:158]
	ds_load_b128 v[2:5], v1 offset:1056
	ds_load_b128 v[147:150], v1 offset:1072
	v_fma_f64 v[141:142], v[141:142], v[6:7], v[151:152]
	v_fma_f64 v[139:140], v[139:140], v[6:7], -v[8:9]
	scratch_load_b128 v[6:9], off, off offset:528
	v_add_f64_e32 v[137:138], v[145:146], v[137:138]
	v_add_f64_e32 v[44:45], v[143:144], v[44:45]
	scratch_load_b128 v[143:146], off, off offset:512
	s_wait_loadcnt_dscnt 0x901
	v_mul_f64_e32 v[155:156], v[2:3], v[12:13]
	v_mul_f64_e32 v[12:13], v[4:5], v[12:13]
	s_wait_loadcnt_dscnt 0x800
	v_mul_f64_e32 v[151:152], v[147:148], v[16:17]
	v_mul_f64_e32 v[16:17], v[149:150], v[16:17]
	v_add_f64_e32 v[38:39], v[137:138], v[38:39]
	v_add_f64_e32 v[44:45], v[44:45], v[153:154]
	v_fma_f64 v[153:154], v[4:5], v[10:11], v[155:156]
	v_fma_f64 v[155:156], v[2:3], v[10:11], -v[12:13]
	ds_load_b128 v[2:5], v1 offset:1088
	scratch_load_b128 v[10:13], off, off offset:544
	v_fma_f64 v[149:150], v[149:150], v[14:15], v[151:152]
	v_fma_f64 v[147:148], v[147:148], v[14:15], -v[16:17]
	scratch_load_b128 v[14:17], off, off offset:560
	v_add_f64_e32 v[38:39], v[38:39], v[139:140]
	v_add_f64_e32 v[44:45], v[44:45], v[141:142]
	ds_load_b128 v[137:140], v1 offset:1104
	s_wait_loadcnt_dscnt 0x901
	v_mul_f64_e32 v[141:142], v[2:3], v[20:21]
	v_mul_f64_e32 v[20:21], v[4:5], v[20:21]
	s_wait_loadcnt_dscnt 0x800
	v_mul_f64_e32 v[151:152], v[137:138], v[24:25]
	v_mul_f64_e32 v[24:25], v[139:140], v[24:25]
	v_add_f64_e32 v[38:39], v[38:39], v[155:156]
	v_add_f64_e32 v[44:45], v[44:45], v[153:154]
	v_fma_f64 v[141:142], v[4:5], v[18:19], v[141:142]
	v_fma_f64 v[153:154], v[2:3], v[18:19], -v[20:21]
	ds_load_b128 v[2:5], v1 offset:1120
	scratch_load_b128 v[18:21], off, off offset:576
	v_fma_f64 v[139:140], v[139:140], v[22:23], v[151:152]
	v_fma_f64 v[137:138], v[137:138], v[22:23], -v[24:25]
	scratch_load_b128 v[22:25], off, off offset:592
	v_add_f64_e32 v[38:39], v[38:39], v[147:148]
	v_add_f64_e32 v[44:45], v[44:45], v[149:150]
	ds_load_b128 v[147:150], v1 offset:1136
	s_wait_loadcnt_dscnt 0x901
	v_mul_f64_e32 v[155:156], v[2:3], v[28:29]
	v_mul_f64_e32 v[28:29], v[4:5], v[28:29]
	v_add_f64_e32 v[38:39], v[38:39], v[153:154]
	v_add_f64_e32 v[44:45], v[44:45], v[141:142]
	s_wait_loadcnt_dscnt 0x800
	v_mul_f64_e32 v[141:142], v[147:148], v[32:33]
	v_mul_f64_e32 v[32:33], v[149:150], v[32:33]
	v_fma_f64 v[151:152], v[4:5], v[26:27], v[155:156]
	v_fma_f64 v[153:154], v[2:3], v[26:27], -v[28:29]
	ds_load_b128 v[2:5], v1 offset:1152
	scratch_load_b128 v[26:29], off, off offset:608
	v_add_f64_e32 v[38:39], v[38:39], v[137:138]
	v_add_f64_e32 v[44:45], v[44:45], v[139:140]
	ds_load_b128 v[137:140], v1 offset:1168
	s_wait_loadcnt_dscnt 0x801
	v_mul_f64_e32 v[155:156], v[2:3], v[36:37]
	v_mul_f64_e32 v[36:37], v[4:5], v[36:37]
	v_fma_f64 v[141:142], v[149:150], v[30:31], v[141:142]
	v_fma_f64 v[147:148], v[147:148], v[30:31], -v[32:33]
	scratch_load_b128 v[30:33], off, off offset:624
	s_wait_loadcnt_dscnt 0x800
	v_mul_f64_e32 v[149:150], v[137:138], v[42:43]
	v_add_f64_e32 v[38:39], v[38:39], v[153:154]
	v_add_f64_e32 v[44:45], v[44:45], v[151:152]
	v_mul_f64_e32 v[151:152], v[139:140], v[42:43]
	v_fma_f64 v[153:154], v[4:5], v[34:35], v[155:156]
	v_fma_f64 v[155:156], v[2:3], v[34:35], -v[36:37]
	ds_load_b128 v[2:5], v1 offset:1184
	scratch_load_b128 v[34:37], off, off offset:640
	v_fma_f64 v[139:140], v[139:140], v[40:41], v[149:150]
	v_add_f64_e32 v[38:39], v[38:39], v[147:148]
	v_add_f64_e32 v[141:142], v[44:45], v[141:142]
	ds_load_b128 v[42:45], v1 offset:1200
	v_fma_f64 v[137:138], v[137:138], v[40:41], -v[151:152]
	s_wait_loadcnt_dscnt 0x701
	v_mul_f64_e32 v[147:148], v[2:3], v[145:146]
	v_mul_f64_e32 v[145:146], v[4:5], v[145:146]
	s_wait_dscnt 0x0
	v_mul_f64_e32 v[151:152], v[42:43], v[8:9]
	v_mul_f64_e32 v[8:9], v[44:45], v[8:9]
	v_add_f64_e32 v[149:150], v[38:39], v[155:156]
	v_add_f64_e32 v[141:142], v[141:142], v[153:154]
	scratch_load_b128 v[38:41], off, off offset:656
	v_fma_f64 v[147:148], v[4:5], v[143:144], v[147:148]
	v_fma_f64 v[145:146], v[2:3], v[143:144], -v[145:146]
	ds_load_b128 v[2:5], v1 offset:1216
	v_fma_f64 v[44:45], v[44:45], v[6:7], v[151:152]
	v_fma_f64 v[42:43], v[42:43], v[6:7], -v[8:9]
	scratch_load_b128 v[6:9], off, off offset:688
	v_add_f64_e32 v[149:150], v[149:150], v[137:138]
	v_add_f64_e32 v[153:154], v[141:142], v[139:140]
	scratch_load_b128 v[137:140], off, off offset:672
	ds_load_b128 v[141:144], v1 offset:1232
	s_wait_loadcnt_dscnt 0x901
	v_mul_f64_e32 v[155:156], v[2:3], v[12:13]
	v_mul_f64_e32 v[12:13], v[4:5], v[12:13]
	v_add_f64_e32 v[145:146], v[149:150], v[145:146]
	v_add_f64_e32 v[147:148], v[153:154], v[147:148]
	s_wait_loadcnt_dscnt 0x800
	v_mul_f64_e32 v[149:150], v[141:142], v[16:17]
	v_mul_f64_e32 v[16:17], v[143:144], v[16:17]
	v_fma_f64 v[151:152], v[4:5], v[10:11], v[155:156]
	v_fma_f64 v[153:154], v[2:3], v[10:11], -v[12:13]
	ds_load_b128 v[2:5], v1 offset:1248
	ds_load_b128 v[10:13], v1 offset:1264
	v_add_f64_e32 v[42:43], v[145:146], v[42:43]
	v_add_f64_e32 v[44:45], v[147:148], v[44:45]
	s_wait_loadcnt_dscnt 0x701
	v_mul_f64_e32 v[145:146], v[2:3], v[20:21]
	v_mul_f64_e32 v[20:21], v[4:5], v[20:21]
	v_fma_f64 v[143:144], v[143:144], v[14:15], v[149:150]
	v_fma_f64 v[14:15], v[141:142], v[14:15], -v[16:17]
	v_add_f64_e32 v[16:17], v[42:43], v[153:154]
	v_add_f64_e32 v[42:43], v[44:45], v[151:152]
	s_wait_loadcnt_dscnt 0x600
	v_mul_f64_e32 v[44:45], v[10:11], v[24:25]
	v_mul_f64_e32 v[24:25], v[12:13], v[24:25]
	v_fma_f64 v[141:142], v[4:5], v[18:19], v[145:146]
	v_fma_f64 v[18:19], v[2:3], v[18:19], -v[20:21]
	v_add_f64_e32 v[20:21], v[16:17], v[14:15]
	v_add_f64_e32 v[42:43], v[42:43], v[143:144]
	ds_load_b128 v[2:5], v1 offset:1280
	ds_load_b128 v[14:17], v1 offset:1296
	v_fma_f64 v[12:13], v[12:13], v[22:23], v[44:45]
	v_fma_f64 v[10:11], v[10:11], v[22:23], -v[24:25]
	s_wait_loadcnt_dscnt 0x501
	v_mul_f64_e32 v[143:144], v[2:3], v[28:29]
	v_mul_f64_e32 v[28:29], v[4:5], v[28:29]
	s_wait_loadcnt_dscnt 0x400
	v_mul_f64_e32 v[22:23], v[14:15], v[32:33]
	v_mul_f64_e32 v[24:25], v[16:17], v[32:33]
	v_add_f64_e32 v[18:19], v[20:21], v[18:19]
	v_add_f64_e32 v[20:21], v[42:43], v[141:142]
	v_fma_f64 v[32:33], v[4:5], v[26:27], v[143:144]
	v_fma_f64 v[26:27], v[2:3], v[26:27], -v[28:29]
	v_fma_f64 v[16:17], v[16:17], v[30:31], v[22:23]
	v_fma_f64 v[14:15], v[14:15], v[30:31], -v[24:25]
	v_add_f64_e32 v[18:19], v[18:19], v[10:11]
	v_add_f64_e32 v[20:21], v[20:21], v[12:13]
	ds_load_b128 v[2:5], v1 offset:1312
	ds_load_b128 v[10:13], v1 offset:1328
	s_wait_loadcnt_dscnt 0x301
	v_mul_f64_e32 v[28:29], v[2:3], v[36:37]
	v_mul_f64_e32 v[36:37], v[4:5], v[36:37]
	v_add_f64_e32 v[18:19], v[18:19], v[26:27]
	v_add_f64_e32 v[20:21], v[20:21], v[32:33]
	s_wait_loadcnt_dscnt 0x200
	v_mul_f64_e32 v[22:23], v[10:11], v[40:41]
	v_mul_f64_e32 v[24:25], v[12:13], v[40:41]
	v_fma_f64 v[26:27], v[4:5], v[34:35], v[28:29]
	v_fma_f64 v[28:29], v[2:3], v[34:35], -v[36:37]
	v_add_f64_e32 v[18:19], v[18:19], v[14:15]
	v_add_f64_e32 v[20:21], v[20:21], v[16:17]
	ds_load_b128 v[2:5], v1 offset:1344
	ds_load_b128 v[14:17], v1 offset:1360
	v_fma_f64 v[12:13], v[12:13], v[38:39], v[22:23]
	v_fma_f64 v[10:11], v[10:11], v[38:39], -v[24:25]
	s_wait_loadcnt_dscnt 0x1
	v_mul_f64_e32 v[30:31], v[2:3], v[139:140]
	v_mul_f64_e32 v[32:33], v[4:5], v[139:140]
	s_wait_dscnt 0x0
	v_mul_f64_e32 v[22:23], v[14:15], v[8:9]
	v_mul_f64_e32 v[8:9], v[16:17], v[8:9]
	v_add_f64_e32 v[18:19], v[18:19], v[28:29]
	v_add_f64_e32 v[20:21], v[20:21], v[26:27]
	v_fma_f64 v[4:5], v[4:5], v[137:138], v[30:31]
	v_fma_f64 v[1:2], v[2:3], v[137:138], -v[32:33]
	v_fma_f64 v[16:17], v[16:17], v[6:7], v[22:23]
	v_fma_f64 v[6:7], v[14:15], v[6:7], -v[8:9]
	v_add_f64_e32 v[10:11], v[18:19], v[10:11]
	v_add_f64_e32 v[12:13], v[20:21], v[12:13]
	s_delay_alu instid0(VALU_DEP_2) | instskip(NEXT) | instid1(VALU_DEP_2)
	v_add_f64_e32 v[1:2], v[10:11], v[1:2]
	v_add_f64_e32 v[3:4], v[12:13], v[4:5]
	s_delay_alu instid0(VALU_DEP_2) | instskip(NEXT) | instid1(VALU_DEP_2)
	v_add_f64_e32 v[1:2], v[1:2], v[6:7]
	v_add_f64_e32 v[3:4], v[3:4], v[16:17]
	s_delay_alu instid0(VALU_DEP_2) | instskip(NEXT) | instid1(VALU_DEP_2)
	v_add_f64_e64 v[1:2], v[133:134], -v[1:2]
	v_add_f64_e64 v[3:4], v[135:136], -v[3:4]
	scratch_store_b128 off, v[1:4], off offset:176
	v_cmpx_lt_u32_e32 9, v0
	s_cbranch_execz .LBB106_253
; %bb.252:
	scratch_load_b128 v[1:4], off, s33
	v_mov_b32_e32 v5, 0
	s_delay_alu instid0(VALU_DEP_1)
	v_dual_mov_b32 v6, v5 :: v_dual_mov_b32 v7, v5
	v_mov_b32_e32 v8, v5
	scratch_store_b128 off, v[5:8], off offset:160
	s_wait_loadcnt 0x0
	ds_store_b128 v132, v[1:4]
.LBB106_253:
	s_wait_alu 0xfffe
	s_or_b32 exec_lo, exec_lo, s0
	s_wait_storecnt_dscnt 0x0
	s_barrier_signal -1
	s_barrier_wait -1
	global_inv scope:SCOPE_SE
	s_clause 0x7
	scratch_load_b128 v[2:5], off, off offset:176
	scratch_load_b128 v[6:9], off, off offset:192
	;; [unrolled: 1-line block ×8, first 2 shown]
	v_mov_b32_e32 v1, 0
	s_mov_b32 s0, exec_lo
	ds_load_b128 v[34:37], v1 offset:848
	s_clause 0x1
	scratch_load_b128 v[38:41], off, off offset:304
	scratch_load_b128 v[42:45], off, off offset:160
	ds_load_b128 v[133:136], v1 offset:864
	scratch_load_b128 v[137:140], off, off offset:320
	s_wait_loadcnt_dscnt 0xa01
	v_mul_f64_e32 v[141:142], v[36:37], v[4:5]
	v_mul_f64_e32 v[4:5], v[34:35], v[4:5]
	s_delay_alu instid0(VALU_DEP_2) | instskip(NEXT) | instid1(VALU_DEP_2)
	v_fma_f64 v[147:148], v[34:35], v[2:3], -v[141:142]
	v_fma_f64 v[149:150], v[36:37], v[2:3], v[4:5]
	ds_load_b128 v[2:5], v1 offset:880
	s_wait_loadcnt_dscnt 0x901
	v_mul_f64_e32 v[145:146], v[133:134], v[8:9]
	v_mul_f64_e32 v[8:9], v[135:136], v[8:9]
	scratch_load_b128 v[34:37], off, off offset:336
	ds_load_b128 v[141:144], v1 offset:896
	s_wait_loadcnt_dscnt 0x901
	v_mul_f64_e32 v[151:152], v[2:3], v[12:13]
	v_mul_f64_e32 v[12:13], v[4:5], v[12:13]
	v_fma_f64 v[135:136], v[135:136], v[6:7], v[145:146]
	v_fma_f64 v[133:134], v[133:134], v[6:7], -v[8:9]
	v_add_f64_e32 v[145:146], 0, v[147:148]
	v_add_f64_e32 v[147:148], 0, v[149:150]
	scratch_load_b128 v[6:9], off, off offset:352
	v_fma_f64 v[151:152], v[4:5], v[10:11], v[151:152]
	v_fma_f64 v[153:154], v[2:3], v[10:11], -v[12:13]
	ds_load_b128 v[2:5], v1 offset:912
	s_wait_loadcnt_dscnt 0x901
	v_mul_f64_e32 v[149:150], v[141:142], v[16:17]
	v_mul_f64_e32 v[16:17], v[143:144], v[16:17]
	scratch_load_b128 v[10:13], off, off offset:368
	v_add_f64_e32 v[145:146], v[145:146], v[133:134]
	v_add_f64_e32 v[147:148], v[147:148], v[135:136]
	s_wait_loadcnt_dscnt 0x900
	v_mul_f64_e32 v[155:156], v[2:3], v[20:21]
	v_mul_f64_e32 v[20:21], v[4:5], v[20:21]
	ds_load_b128 v[133:136], v1 offset:928
	v_fma_f64 v[143:144], v[143:144], v[14:15], v[149:150]
	v_fma_f64 v[141:142], v[141:142], v[14:15], -v[16:17]
	scratch_load_b128 v[14:17], off, off offset:384
	v_add_f64_e32 v[145:146], v[145:146], v[153:154]
	v_add_f64_e32 v[147:148], v[147:148], v[151:152]
	v_fma_f64 v[151:152], v[4:5], v[18:19], v[155:156]
	v_fma_f64 v[153:154], v[2:3], v[18:19], -v[20:21]
	ds_load_b128 v[2:5], v1 offset:944
	s_wait_loadcnt_dscnt 0x901
	v_mul_f64_e32 v[149:150], v[133:134], v[24:25]
	v_mul_f64_e32 v[24:25], v[135:136], v[24:25]
	scratch_load_b128 v[18:21], off, off offset:400
	s_wait_loadcnt_dscnt 0x900
	v_mul_f64_e32 v[155:156], v[2:3], v[28:29]
	v_mul_f64_e32 v[28:29], v[4:5], v[28:29]
	v_add_f64_e32 v[145:146], v[145:146], v[141:142]
	v_add_f64_e32 v[147:148], v[147:148], v[143:144]
	ds_load_b128 v[141:144], v1 offset:960
	v_fma_f64 v[135:136], v[135:136], v[22:23], v[149:150]
	v_fma_f64 v[133:134], v[133:134], v[22:23], -v[24:25]
	scratch_load_b128 v[22:25], off, off offset:416
	v_add_f64_e32 v[145:146], v[145:146], v[153:154]
	v_add_f64_e32 v[147:148], v[147:148], v[151:152]
	v_fma_f64 v[151:152], v[4:5], v[26:27], v[155:156]
	v_fma_f64 v[153:154], v[2:3], v[26:27], -v[28:29]
	ds_load_b128 v[2:5], v1 offset:976
	s_wait_loadcnt_dscnt 0x901
	v_mul_f64_e32 v[149:150], v[141:142], v[32:33]
	v_mul_f64_e32 v[32:33], v[143:144], v[32:33]
	scratch_load_b128 v[26:29], off, off offset:432
	s_wait_loadcnt_dscnt 0x900
	v_mul_f64_e32 v[155:156], v[2:3], v[40:41]
	v_mul_f64_e32 v[40:41], v[4:5], v[40:41]
	v_add_f64_e32 v[145:146], v[145:146], v[133:134]
	v_add_f64_e32 v[147:148], v[147:148], v[135:136]
	ds_load_b128 v[133:136], v1 offset:992
	v_fma_f64 v[143:144], v[143:144], v[30:31], v[149:150]
	v_fma_f64 v[141:142], v[141:142], v[30:31], -v[32:33]
	scratch_load_b128 v[30:33], off, off offset:448
	v_add_f64_e32 v[145:146], v[145:146], v[153:154]
	v_add_f64_e32 v[147:148], v[147:148], v[151:152]
	v_fma_f64 v[153:154], v[4:5], v[38:39], v[155:156]
	v_fma_f64 v[155:156], v[2:3], v[38:39], -v[40:41]
	ds_load_b128 v[2:5], v1 offset:1008
	s_wait_loadcnt_dscnt 0x801
	v_mul_f64_e32 v[149:150], v[133:134], v[139:140]
	v_mul_f64_e32 v[151:152], v[135:136], v[139:140]
	scratch_load_b128 v[38:41], off, off offset:464
	v_add_f64_e32 v[145:146], v[145:146], v[141:142]
	v_add_f64_e32 v[143:144], v[147:148], v[143:144]
	ds_load_b128 v[139:142], v1 offset:1024
	v_fma_f64 v[149:150], v[135:136], v[137:138], v[149:150]
	v_fma_f64 v[137:138], v[133:134], v[137:138], -v[151:152]
	scratch_load_b128 v[133:136], off, off offset:480
	s_wait_loadcnt_dscnt 0x901
	v_mul_f64_e32 v[147:148], v[2:3], v[36:37]
	v_mul_f64_e32 v[36:37], v[4:5], v[36:37]
	v_add_f64_e32 v[145:146], v[145:146], v[155:156]
	v_add_f64_e32 v[143:144], v[143:144], v[153:154]
	s_delay_alu instid0(VALU_DEP_4) | instskip(NEXT) | instid1(VALU_DEP_4)
	v_fma_f64 v[147:148], v[4:5], v[34:35], v[147:148]
	v_fma_f64 v[153:154], v[2:3], v[34:35], -v[36:37]
	ds_load_b128 v[2:5], v1 offset:1040
	s_wait_loadcnt_dscnt 0x801
	v_mul_f64_e32 v[151:152], v[139:140], v[8:9]
	v_mul_f64_e32 v[8:9], v[141:142], v[8:9]
	scratch_load_b128 v[34:37], off, off offset:496
	s_wait_loadcnt_dscnt 0x800
	v_mul_f64_e32 v[155:156], v[2:3], v[12:13]
	v_add_f64_e32 v[137:138], v[145:146], v[137:138]
	v_add_f64_e32 v[149:150], v[143:144], v[149:150]
	v_mul_f64_e32 v[12:13], v[4:5], v[12:13]
	ds_load_b128 v[143:146], v1 offset:1056
	v_fma_f64 v[141:142], v[141:142], v[6:7], v[151:152]
	v_fma_f64 v[139:140], v[139:140], v[6:7], -v[8:9]
	scratch_load_b128 v[6:9], off, off offset:512
	v_fma_f64 v[151:152], v[4:5], v[10:11], v[155:156]
	v_add_f64_e32 v[137:138], v[137:138], v[153:154]
	v_add_f64_e32 v[147:148], v[149:150], v[147:148]
	v_fma_f64 v[153:154], v[2:3], v[10:11], -v[12:13]
	ds_load_b128 v[2:5], v1 offset:1072
	s_wait_loadcnt_dscnt 0x801
	v_mul_f64_e32 v[149:150], v[143:144], v[16:17]
	v_mul_f64_e32 v[16:17], v[145:146], v[16:17]
	scratch_load_b128 v[10:13], off, off offset:528
	v_add_f64_e32 v[155:156], v[137:138], v[139:140]
	v_add_f64_e32 v[141:142], v[147:148], v[141:142]
	s_wait_loadcnt_dscnt 0x800
	v_mul_f64_e32 v[147:148], v[2:3], v[20:21]
	v_mul_f64_e32 v[20:21], v[4:5], v[20:21]
	v_fma_f64 v[145:146], v[145:146], v[14:15], v[149:150]
	v_fma_f64 v[143:144], v[143:144], v[14:15], -v[16:17]
	ds_load_b128 v[137:140], v1 offset:1088
	scratch_load_b128 v[14:17], off, off offset:544
	v_add_f64_e32 v[149:150], v[155:156], v[153:154]
	v_add_f64_e32 v[141:142], v[141:142], v[151:152]
	v_fma_f64 v[147:148], v[4:5], v[18:19], v[147:148]
	v_fma_f64 v[153:154], v[2:3], v[18:19], -v[20:21]
	ds_load_b128 v[2:5], v1 offset:1104
	s_wait_loadcnt_dscnt 0x801
	v_mul_f64_e32 v[151:152], v[137:138], v[24:25]
	v_mul_f64_e32 v[24:25], v[139:140], v[24:25]
	scratch_load_b128 v[18:21], off, off offset:560
	s_wait_loadcnt_dscnt 0x800
	v_mul_f64_e32 v[155:156], v[2:3], v[28:29]
	v_mul_f64_e32 v[28:29], v[4:5], v[28:29]
	v_add_f64_e32 v[149:150], v[149:150], v[143:144]
	v_add_f64_e32 v[145:146], v[141:142], v[145:146]
	ds_load_b128 v[141:144], v1 offset:1120
	v_fma_f64 v[139:140], v[139:140], v[22:23], v[151:152]
	v_fma_f64 v[137:138], v[137:138], v[22:23], -v[24:25]
	scratch_load_b128 v[22:25], off, off offset:576
	v_fma_f64 v[151:152], v[4:5], v[26:27], v[155:156]
	v_add_f64_e32 v[149:150], v[149:150], v[153:154]
	v_add_f64_e32 v[145:146], v[145:146], v[147:148]
	v_fma_f64 v[153:154], v[2:3], v[26:27], -v[28:29]
	ds_load_b128 v[2:5], v1 offset:1136
	s_wait_loadcnt_dscnt 0x801
	v_mul_f64_e32 v[147:148], v[141:142], v[32:33]
	v_mul_f64_e32 v[32:33], v[143:144], v[32:33]
	scratch_load_b128 v[26:29], off, off offset:592
	s_wait_loadcnt_dscnt 0x800
	v_mul_f64_e32 v[155:156], v[2:3], v[40:41]
	v_mul_f64_e32 v[40:41], v[4:5], v[40:41]
	v_add_f64_e32 v[149:150], v[149:150], v[137:138]
	v_add_f64_e32 v[145:146], v[145:146], v[139:140]
	ds_load_b128 v[137:140], v1 offset:1152
	v_fma_f64 v[143:144], v[143:144], v[30:31], v[147:148]
	v_fma_f64 v[141:142], v[141:142], v[30:31], -v[32:33]
	scratch_load_b128 v[30:33], off, off offset:608
	v_add_f64_e32 v[147:148], v[149:150], v[153:154]
	v_add_f64_e32 v[145:146], v[145:146], v[151:152]
	v_fma_f64 v[151:152], v[4:5], v[38:39], v[155:156]
	v_fma_f64 v[153:154], v[2:3], v[38:39], -v[40:41]
	ds_load_b128 v[2:5], v1 offset:1168
	s_wait_loadcnt_dscnt 0x801
	v_mul_f64_e32 v[149:150], v[137:138], v[135:136]
	v_mul_f64_e32 v[135:136], v[139:140], v[135:136]
	scratch_load_b128 v[38:41], off, off offset:624
	s_wait_loadcnt_dscnt 0x800
	v_mul_f64_e32 v[155:156], v[2:3], v[36:37]
	v_mul_f64_e32 v[36:37], v[4:5], v[36:37]
	v_add_f64_e32 v[147:148], v[147:148], v[141:142]
	v_add_f64_e32 v[145:146], v[145:146], v[143:144]
	ds_load_b128 v[141:144], v1 offset:1184
	v_fma_f64 v[139:140], v[139:140], v[133:134], v[149:150]
	v_fma_f64 v[137:138], v[137:138], v[133:134], -v[135:136]
	scratch_load_b128 v[133:136], off, off offset:640
	v_add_f64_e32 v[147:148], v[147:148], v[153:154]
	v_add_f64_e32 v[145:146], v[145:146], v[151:152]
	v_fma_f64 v[151:152], v[4:5], v[34:35], v[155:156]
	;; [unrolled: 18-line block ×3, first 2 shown]
	v_fma_f64 v[153:154], v[2:3], v[10:11], -v[12:13]
	ds_load_b128 v[2:5], v1 offset:1232
	s_wait_loadcnt_dscnt 0x801
	v_mul_f64_e32 v[149:150], v[137:138], v[16:17]
	v_mul_f64_e32 v[16:17], v[139:140], v[16:17]
	scratch_load_b128 v[10:13], off, off offset:688
	s_wait_loadcnt_dscnt 0x800
	v_mul_f64_e32 v[155:156], v[2:3], v[20:21]
	v_mul_f64_e32 v[20:21], v[4:5], v[20:21]
	v_add_f64_e32 v[147:148], v[147:148], v[141:142]
	v_add_f64_e32 v[145:146], v[145:146], v[143:144]
	ds_load_b128 v[141:144], v1 offset:1248
	v_fma_f64 v[139:140], v[139:140], v[14:15], v[149:150]
	v_fma_f64 v[14:15], v[137:138], v[14:15], -v[16:17]
	v_add_f64_e32 v[16:17], v[147:148], v[153:154]
	v_add_f64_e32 v[137:138], v[145:146], v[151:152]
	s_wait_loadcnt_dscnt 0x700
	v_mul_f64_e32 v[145:146], v[141:142], v[24:25]
	v_mul_f64_e32 v[24:25], v[143:144], v[24:25]
	v_fma_f64 v[147:148], v[4:5], v[18:19], v[155:156]
	v_fma_f64 v[18:19], v[2:3], v[18:19], -v[20:21]
	v_add_f64_e32 v[20:21], v[16:17], v[14:15]
	v_add_f64_e32 v[137:138], v[137:138], v[139:140]
	ds_load_b128 v[2:5], v1 offset:1264
	ds_load_b128 v[14:17], v1 offset:1280
	v_fma_f64 v[143:144], v[143:144], v[22:23], v[145:146]
	v_fma_f64 v[22:23], v[141:142], v[22:23], -v[24:25]
	s_wait_loadcnt_dscnt 0x601
	v_mul_f64_e32 v[139:140], v[2:3], v[28:29]
	v_mul_f64_e32 v[28:29], v[4:5], v[28:29]
	s_wait_loadcnt_dscnt 0x500
	v_mul_f64_e32 v[24:25], v[14:15], v[32:33]
	v_mul_f64_e32 v[32:33], v[16:17], v[32:33]
	v_add_f64_e32 v[18:19], v[20:21], v[18:19]
	v_add_f64_e32 v[20:21], v[137:138], v[147:148]
	v_fma_f64 v[137:138], v[4:5], v[26:27], v[139:140]
	v_fma_f64 v[26:27], v[2:3], v[26:27], -v[28:29]
	v_fma_f64 v[16:17], v[16:17], v[30:31], v[24:25]
	v_fma_f64 v[14:15], v[14:15], v[30:31], -v[32:33]
	v_add_f64_e32 v[22:23], v[18:19], v[22:23]
	v_add_f64_e32 v[28:29], v[20:21], v[143:144]
	ds_load_b128 v[2:5], v1 offset:1296
	ds_load_b128 v[18:21], v1 offset:1312
	s_wait_loadcnt_dscnt 0x401
	v_mul_f64_e32 v[139:140], v[2:3], v[40:41]
	v_mul_f64_e32 v[40:41], v[4:5], v[40:41]
	v_add_f64_e32 v[22:23], v[22:23], v[26:27]
	v_add_f64_e32 v[24:25], v[28:29], v[137:138]
	s_wait_loadcnt_dscnt 0x300
	v_mul_f64_e32 v[26:27], v[18:19], v[135:136]
	v_mul_f64_e32 v[28:29], v[20:21], v[135:136]
	v_fma_f64 v[30:31], v[4:5], v[38:39], v[139:140]
	v_fma_f64 v[32:33], v[2:3], v[38:39], -v[40:41]
	v_add_f64_e32 v[22:23], v[22:23], v[14:15]
	v_add_f64_e32 v[24:25], v[24:25], v[16:17]
	ds_load_b128 v[2:5], v1 offset:1328
	ds_load_b128 v[14:17], v1 offset:1344
	v_fma_f64 v[20:21], v[20:21], v[133:134], v[26:27]
	v_fma_f64 v[18:19], v[18:19], v[133:134], -v[28:29]
	s_wait_loadcnt_dscnt 0x201
	v_mul_f64_e32 v[38:39], v[2:3], v[36:37]
	v_mul_f64_e32 v[36:37], v[4:5], v[36:37]
	s_wait_loadcnt_dscnt 0x100
	v_mul_f64_e32 v[26:27], v[14:15], v[8:9]
	v_mul_f64_e32 v[8:9], v[16:17], v[8:9]
	v_add_f64_e32 v[22:23], v[22:23], v[32:33]
	v_add_f64_e32 v[24:25], v[24:25], v[30:31]
	v_fma_f64 v[28:29], v[4:5], v[34:35], v[38:39]
	v_fma_f64 v[30:31], v[2:3], v[34:35], -v[36:37]
	ds_load_b128 v[2:5], v1 offset:1360
	v_fma_f64 v[16:17], v[16:17], v[6:7], v[26:27]
	v_fma_f64 v[6:7], v[14:15], v[6:7], -v[8:9]
	v_add_f64_e32 v[18:19], v[22:23], v[18:19]
	v_add_f64_e32 v[20:21], v[24:25], v[20:21]
	s_wait_loadcnt_dscnt 0x0
	v_mul_f64_e32 v[22:23], v[2:3], v[12:13]
	v_mul_f64_e32 v[12:13], v[4:5], v[12:13]
	s_delay_alu instid0(VALU_DEP_4) | instskip(NEXT) | instid1(VALU_DEP_4)
	v_add_f64_e32 v[8:9], v[18:19], v[30:31]
	v_add_f64_e32 v[14:15], v[20:21], v[28:29]
	s_delay_alu instid0(VALU_DEP_4) | instskip(NEXT) | instid1(VALU_DEP_4)
	v_fma_f64 v[4:5], v[4:5], v[10:11], v[22:23]
	v_fma_f64 v[2:3], v[2:3], v[10:11], -v[12:13]
	s_delay_alu instid0(VALU_DEP_4) | instskip(NEXT) | instid1(VALU_DEP_4)
	v_add_f64_e32 v[6:7], v[8:9], v[6:7]
	v_add_f64_e32 v[8:9], v[14:15], v[16:17]
	s_delay_alu instid0(VALU_DEP_2) | instskip(NEXT) | instid1(VALU_DEP_2)
	v_add_f64_e32 v[2:3], v[6:7], v[2:3]
	v_add_f64_e32 v[4:5], v[8:9], v[4:5]
	s_delay_alu instid0(VALU_DEP_2) | instskip(NEXT) | instid1(VALU_DEP_2)
	v_add_f64_e64 v[2:3], v[42:43], -v[2:3]
	v_add_f64_e64 v[4:5], v[44:45], -v[4:5]
	scratch_store_b128 off, v[2:5], off offset:160
	v_cmpx_lt_u32_e32 8, v0
	s_cbranch_execz .LBB106_255
; %bb.254:
	scratch_load_b128 v[5:8], off, s10
	v_dual_mov_b32 v2, v1 :: v_dual_mov_b32 v3, v1
	v_mov_b32_e32 v4, v1
	scratch_store_b128 off, v[1:4], off offset:144
	s_wait_loadcnt 0x0
	ds_store_b128 v132, v[5:8]
.LBB106_255:
	s_wait_alu 0xfffe
	s_or_b32 exec_lo, exec_lo, s0
	s_wait_storecnt_dscnt 0x0
	s_barrier_signal -1
	s_barrier_wait -1
	global_inv scope:SCOPE_SE
	s_clause 0x8
	scratch_load_b128 v[2:5], off, off offset:160
	scratch_load_b128 v[6:9], off, off offset:176
	;; [unrolled: 1-line block ×9, first 2 shown]
	ds_load_b128 v[38:41], v1 offset:832
	ds_load_b128 v[42:45], v1 offset:848
	s_clause 0x1
	scratch_load_b128 v[133:136], off, off offset:144
	scratch_load_b128 v[137:140], off, off offset:304
	s_mov_b32 s0, exec_lo
	s_wait_loadcnt_dscnt 0xa01
	v_mul_f64_e32 v[141:142], v[40:41], v[4:5]
	v_mul_f64_e32 v[4:5], v[38:39], v[4:5]
	s_wait_loadcnt_dscnt 0x900
	v_mul_f64_e32 v[145:146], v[42:43], v[8:9]
	v_mul_f64_e32 v[8:9], v[44:45], v[8:9]
	s_delay_alu instid0(VALU_DEP_4) | instskip(NEXT) | instid1(VALU_DEP_4)
	v_fma_f64 v[147:148], v[38:39], v[2:3], -v[141:142]
	v_fma_f64 v[149:150], v[40:41], v[2:3], v[4:5]
	ds_load_b128 v[2:5], v1 offset:864
	ds_load_b128 v[141:144], v1 offset:880
	scratch_load_b128 v[38:41], off, off offset:320
	v_fma_f64 v[44:45], v[44:45], v[6:7], v[145:146]
	v_fma_f64 v[42:43], v[42:43], v[6:7], -v[8:9]
	scratch_load_b128 v[6:9], off, off offset:336
	s_wait_loadcnt_dscnt 0xa01
	v_mul_f64_e32 v[151:152], v[2:3], v[12:13]
	v_mul_f64_e32 v[12:13], v[4:5], v[12:13]
	v_add_f64_e32 v[145:146], 0, v[147:148]
	v_add_f64_e32 v[147:148], 0, v[149:150]
	s_wait_loadcnt_dscnt 0x900
	v_mul_f64_e32 v[149:150], v[141:142], v[16:17]
	v_mul_f64_e32 v[16:17], v[143:144], v[16:17]
	v_fma_f64 v[151:152], v[4:5], v[10:11], v[151:152]
	v_fma_f64 v[153:154], v[2:3], v[10:11], -v[12:13]
	ds_load_b128 v[2:5], v1 offset:896
	scratch_load_b128 v[10:13], off, off offset:352
	v_add_f64_e32 v[145:146], v[145:146], v[42:43]
	v_add_f64_e32 v[147:148], v[147:148], v[44:45]
	ds_load_b128 v[42:45], v1 offset:912
	v_fma_f64 v[143:144], v[143:144], v[14:15], v[149:150]
	v_fma_f64 v[141:142], v[141:142], v[14:15], -v[16:17]
	scratch_load_b128 v[14:17], off, off offset:368
	s_wait_loadcnt_dscnt 0xa01
	v_mul_f64_e32 v[155:156], v[2:3], v[20:21]
	v_mul_f64_e32 v[20:21], v[4:5], v[20:21]
	s_wait_loadcnt_dscnt 0x900
	v_mul_f64_e32 v[149:150], v[42:43], v[24:25]
	v_mul_f64_e32 v[24:25], v[44:45], v[24:25]
	v_add_f64_e32 v[145:146], v[145:146], v[153:154]
	v_add_f64_e32 v[147:148], v[147:148], v[151:152]
	v_fma_f64 v[151:152], v[4:5], v[18:19], v[155:156]
	v_fma_f64 v[153:154], v[2:3], v[18:19], -v[20:21]
	ds_load_b128 v[2:5], v1 offset:928
	scratch_load_b128 v[18:21], off, off offset:384
	v_fma_f64 v[44:45], v[44:45], v[22:23], v[149:150]
	v_fma_f64 v[42:43], v[42:43], v[22:23], -v[24:25]
	scratch_load_b128 v[22:25], off, off offset:400
	v_add_f64_e32 v[145:146], v[145:146], v[141:142]
	v_add_f64_e32 v[147:148], v[147:148], v[143:144]
	ds_load_b128 v[141:144], v1 offset:944
	s_wait_loadcnt_dscnt 0xa01
	v_mul_f64_e32 v[155:156], v[2:3], v[28:29]
	v_mul_f64_e32 v[28:29], v[4:5], v[28:29]
	s_wait_loadcnt_dscnt 0x900
	v_mul_f64_e32 v[149:150], v[141:142], v[32:33]
	v_mul_f64_e32 v[32:33], v[143:144], v[32:33]
	v_add_f64_e32 v[145:146], v[145:146], v[153:154]
	v_add_f64_e32 v[147:148], v[147:148], v[151:152]
	v_fma_f64 v[151:152], v[4:5], v[26:27], v[155:156]
	v_fma_f64 v[153:154], v[2:3], v[26:27], -v[28:29]
	ds_load_b128 v[2:5], v1 offset:960
	scratch_load_b128 v[26:29], off, off offset:416
	v_fma_f64 v[143:144], v[143:144], v[30:31], v[149:150]
	v_fma_f64 v[141:142], v[141:142], v[30:31], -v[32:33]
	scratch_load_b128 v[30:33], off, off offset:432
	v_add_f64_e32 v[145:146], v[145:146], v[42:43]
	v_add_f64_e32 v[147:148], v[147:148], v[44:45]
	ds_load_b128 v[42:45], v1 offset:976
	s_wait_loadcnt_dscnt 0xa01
	v_mul_f64_e32 v[155:156], v[2:3], v[36:37]
	v_mul_f64_e32 v[36:37], v[4:5], v[36:37]
	s_wait_loadcnt_dscnt 0x800
	v_mul_f64_e32 v[149:150], v[42:43], v[139:140]
	v_add_f64_e32 v[145:146], v[145:146], v[153:154]
	v_add_f64_e32 v[147:148], v[147:148], v[151:152]
	v_mul_f64_e32 v[151:152], v[44:45], v[139:140]
	v_fma_f64 v[153:154], v[4:5], v[34:35], v[155:156]
	v_fma_f64 v[155:156], v[2:3], v[34:35], -v[36:37]
	ds_load_b128 v[2:5], v1 offset:992
	scratch_load_b128 v[34:37], off, off offset:448
	v_fma_f64 v[44:45], v[44:45], v[137:138], v[149:150]
	v_add_f64_e32 v[145:146], v[145:146], v[141:142]
	v_add_f64_e32 v[143:144], v[147:148], v[143:144]
	ds_load_b128 v[139:142], v1 offset:1008
	v_fma_f64 v[137:138], v[42:43], v[137:138], -v[151:152]
	s_wait_loadcnt_dscnt 0x801
	v_mul_f64_e32 v[147:148], v[2:3], v[40:41]
	v_mul_f64_e32 v[157:158], v[4:5], v[40:41]
	scratch_load_b128 v[40:43], off, off offset:464
	s_wait_loadcnt_dscnt 0x800
	v_mul_f64_e32 v[151:152], v[139:140], v[8:9]
	v_mul_f64_e32 v[8:9], v[141:142], v[8:9]
	v_add_f64_e32 v[145:146], v[145:146], v[155:156]
	v_add_f64_e32 v[143:144], v[143:144], v[153:154]
	v_fma_f64 v[153:154], v[4:5], v[38:39], v[147:148]
	v_fma_f64 v[38:39], v[2:3], v[38:39], -v[157:158]
	ds_load_b128 v[2:5], v1 offset:1024
	ds_load_b128 v[147:150], v1 offset:1040
	v_fma_f64 v[141:142], v[141:142], v[6:7], v[151:152]
	v_fma_f64 v[139:140], v[139:140], v[6:7], -v[8:9]
	scratch_load_b128 v[6:9], off, off offset:496
	v_add_f64_e32 v[137:138], v[145:146], v[137:138]
	v_add_f64_e32 v[44:45], v[143:144], v[44:45]
	scratch_load_b128 v[143:146], off, off offset:480
	s_wait_loadcnt_dscnt 0x901
	v_mul_f64_e32 v[155:156], v[2:3], v[12:13]
	v_mul_f64_e32 v[12:13], v[4:5], v[12:13]
	s_wait_loadcnt_dscnt 0x800
	v_mul_f64_e32 v[151:152], v[147:148], v[16:17]
	v_mul_f64_e32 v[16:17], v[149:150], v[16:17]
	v_add_f64_e32 v[38:39], v[137:138], v[38:39]
	v_add_f64_e32 v[44:45], v[44:45], v[153:154]
	v_fma_f64 v[153:154], v[4:5], v[10:11], v[155:156]
	v_fma_f64 v[155:156], v[2:3], v[10:11], -v[12:13]
	ds_load_b128 v[2:5], v1 offset:1056
	scratch_load_b128 v[10:13], off, off offset:512
	v_fma_f64 v[149:150], v[149:150], v[14:15], v[151:152]
	v_fma_f64 v[147:148], v[147:148], v[14:15], -v[16:17]
	scratch_load_b128 v[14:17], off, off offset:528
	v_add_f64_e32 v[38:39], v[38:39], v[139:140]
	v_add_f64_e32 v[44:45], v[44:45], v[141:142]
	ds_load_b128 v[137:140], v1 offset:1072
	s_wait_loadcnt_dscnt 0x901
	v_mul_f64_e32 v[141:142], v[2:3], v[20:21]
	v_mul_f64_e32 v[20:21], v[4:5], v[20:21]
	s_wait_loadcnt_dscnt 0x800
	v_mul_f64_e32 v[151:152], v[137:138], v[24:25]
	v_mul_f64_e32 v[24:25], v[139:140], v[24:25]
	v_add_f64_e32 v[38:39], v[38:39], v[155:156]
	v_add_f64_e32 v[44:45], v[44:45], v[153:154]
	v_fma_f64 v[141:142], v[4:5], v[18:19], v[141:142]
	v_fma_f64 v[153:154], v[2:3], v[18:19], -v[20:21]
	ds_load_b128 v[2:5], v1 offset:1088
	scratch_load_b128 v[18:21], off, off offset:544
	v_fma_f64 v[139:140], v[139:140], v[22:23], v[151:152]
	v_fma_f64 v[137:138], v[137:138], v[22:23], -v[24:25]
	scratch_load_b128 v[22:25], off, off offset:560
	v_add_f64_e32 v[38:39], v[38:39], v[147:148]
	v_add_f64_e32 v[44:45], v[44:45], v[149:150]
	ds_load_b128 v[147:150], v1 offset:1104
	s_wait_loadcnt_dscnt 0x901
	v_mul_f64_e32 v[155:156], v[2:3], v[28:29]
	v_mul_f64_e32 v[28:29], v[4:5], v[28:29]
	v_add_f64_e32 v[38:39], v[38:39], v[153:154]
	v_add_f64_e32 v[44:45], v[44:45], v[141:142]
	s_wait_loadcnt_dscnt 0x800
	v_mul_f64_e32 v[141:142], v[147:148], v[32:33]
	v_mul_f64_e32 v[32:33], v[149:150], v[32:33]
	v_fma_f64 v[151:152], v[4:5], v[26:27], v[155:156]
	v_fma_f64 v[153:154], v[2:3], v[26:27], -v[28:29]
	ds_load_b128 v[2:5], v1 offset:1120
	scratch_load_b128 v[26:29], off, off offset:576
	v_add_f64_e32 v[38:39], v[38:39], v[137:138]
	v_add_f64_e32 v[44:45], v[44:45], v[139:140]
	ds_load_b128 v[137:140], v1 offset:1136
	s_wait_loadcnt_dscnt 0x801
	v_mul_f64_e32 v[155:156], v[2:3], v[36:37]
	v_mul_f64_e32 v[36:37], v[4:5], v[36:37]
	v_fma_f64 v[141:142], v[149:150], v[30:31], v[141:142]
	v_fma_f64 v[147:148], v[147:148], v[30:31], -v[32:33]
	scratch_load_b128 v[30:33], off, off offset:592
	s_wait_loadcnt_dscnt 0x800
	v_mul_f64_e32 v[149:150], v[137:138], v[42:43]
	v_add_f64_e32 v[38:39], v[38:39], v[153:154]
	v_add_f64_e32 v[44:45], v[44:45], v[151:152]
	v_mul_f64_e32 v[151:152], v[139:140], v[42:43]
	v_fma_f64 v[153:154], v[4:5], v[34:35], v[155:156]
	v_fma_f64 v[155:156], v[2:3], v[34:35], -v[36:37]
	ds_load_b128 v[2:5], v1 offset:1152
	scratch_load_b128 v[34:37], off, off offset:608
	v_fma_f64 v[139:140], v[139:140], v[40:41], v[149:150]
	v_add_f64_e32 v[38:39], v[38:39], v[147:148]
	v_add_f64_e32 v[141:142], v[44:45], v[141:142]
	ds_load_b128 v[42:45], v1 offset:1168
	v_fma_f64 v[137:138], v[137:138], v[40:41], -v[151:152]
	s_wait_loadcnt_dscnt 0x701
	v_mul_f64_e32 v[147:148], v[2:3], v[145:146]
	v_mul_f64_e32 v[145:146], v[4:5], v[145:146]
	s_wait_dscnt 0x0
	v_mul_f64_e32 v[151:152], v[42:43], v[8:9]
	v_mul_f64_e32 v[8:9], v[44:45], v[8:9]
	v_add_f64_e32 v[149:150], v[38:39], v[155:156]
	v_add_f64_e32 v[141:142], v[141:142], v[153:154]
	scratch_load_b128 v[38:41], off, off offset:624
	v_fma_f64 v[147:148], v[4:5], v[143:144], v[147:148]
	v_fma_f64 v[145:146], v[2:3], v[143:144], -v[145:146]
	ds_load_b128 v[2:5], v1 offset:1184
	v_fma_f64 v[44:45], v[44:45], v[6:7], v[151:152]
	v_fma_f64 v[42:43], v[42:43], v[6:7], -v[8:9]
	scratch_load_b128 v[6:9], off, off offset:656
	v_add_f64_e32 v[149:150], v[149:150], v[137:138]
	v_add_f64_e32 v[153:154], v[141:142], v[139:140]
	scratch_load_b128 v[137:140], off, off offset:640
	ds_load_b128 v[141:144], v1 offset:1200
	s_wait_loadcnt_dscnt 0x901
	v_mul_f64_e32 v[155:156], v[2:3], v[12:13]
	v_mul_f64_e32 v[12:13], v[4:5], v[12:13]
	v_add_f64_e32 v[145:146], v[149:150], v[145:146]
	v_add_f64_e32 v[147:148], v[153:154], v[147:148]
	s_wait_loadcnt_dscnt 0x800
	v_mul_f64_e32 v[149:150], v[141:142], v[16:17]
	v_mul_f64_e32 v[16:17], v[143:144], v[16:17]
	v_fma_f64 v[151:152], v[4:5], v[10:11], v[155:156]
	v_fma_f64 v[153:154], v[2:3], v[10:11], -v[12:13]
	ds_load_b128 v[2:5], v1 offset:1216
	scratch_load_b128 v[10:13], off, off offset:672
	v_add_f64_e32 v[145:146], v[145:146], v[42:43]
	v_add_f64_e32 v[147:148], v[147:148], v[44:45]
	ds_load_b128 v[42:45], v1 offset:1232
	s_wait_loadcnt_dscnt 0x801
	v_mul_f64_e32 v[155:156], v[2:3], v[20:21]
	v_mul_f64_e32 v[20:21], v[4:5], v[20:21]
	v_fma_f64 v[143:144], v[143:144], v[14:15], v[149:150]
	v_fma_f64 v[141:142], v[141:142], v[14:15], -v[16:17]
	scratch_load_b128 v[14:17], off, off offset:688
	s_wait_loadcnt_dscnt 0x800
	v_mul_f64_e32 v[149:150], v[42:43], v[24:25]
	v_mul_f64_e32 v[24:25], v[44:45], v[24:25]
	v_add_f64_e32 v[145:146], v[145:146], v[153:154]
	v_add_f64_e32 v[147:148], v[147:148], v[151:152]
	v_fma_f64 v[151:152], v[4:5], v[18:19], v[155:156]
	v_fma_f64 v[153:154], v[2:3], v[18:19], -v[20:21]
	ds_load_b128 v[2:5], v1 offset:1248
	ds_load_b128 v[18:21], v1 offset:1264
	v_fma_f64 v[44:45], v[44:45], v[22:23], v[149:150]
	v_fma_f64 v[22:23], v[42:43], v[22:23], -v[24:25]
	v_add_f64_e32 v[141:142], v[145:146], v[141:142]
	v_add_f64_e32 v[143:144], v[147:148], v[143:144]
	s_wait_loadcnt_dscnt 0x701
	v_mul_f64_e32 v[145:146], v[2:3], v[28:29]
	v_mul_f64_e32 v[28:29], v[4:5], v[28:29]
	s_delay_alu instid0(VALU_DEP_4) | instskip(NEXT) | instid1(VALU_DEP_4)
	v_add_f64_e32 v[24:25], v[141:142], v[153:154]
	v_add_f64_e32 v[42:43], v[143:144], v[151:152]
	s_wait_loadcnt_dscnt 0x600
	v_mul_f64_e32 v[141:142], v[18:19], v[32:33]
	v_mul_f64_e32 v[32:33], v[20:21], v[32:33]
	v_fma_f64 v[143:144], v[4:5], v[26:27], v[145:146]
	v_fma_f64 v[26:27], v[2:3], v[26:27], -v[28:29]
	v_add_f64_e32 v[28:29], v[24:25], v[22:23]
	v_add_f64_e32 v[42:43], v[42:43], v[44:45]
	ds_load_b128 v[2:5], v1 offset:1280
	ds_load_b128 v[22:25], v1 offset:1296
	v_fma_f64 v[20:21], v[20:21], v[30:31], v[141:142]
	v_fma_f64 v[18:19], v[18:19], v[30:31], -v[32:33]
	s_wait_loadcnt_dscnt 0x501
	v_mul_f64_e32 v[44:45], v[2:3], v[36:37]
	v_mul_f64_e32 v[36:37], v[4:5], v[36:37]
	v_add_f64_e32 v[26:27], v[28:29], v[26:27]
	v_add_f64_e32 v[28:29], v[42:43], v[143:144]
	s_wait_loadcnt_dscnt 0x400
	v_mul_f64_e32 v[30:31], v[22:23], v[40:41]
	v_mul_f64_e32 v[32:33], v[24:25], v[40:41]
	v_fma_f64 v[40:41], v[4:5], v[34:35], v[44:45]
	v_fma_f64 v[34:35], v[2:3], v[34:35], -v[36:37]
	v_add_f64_e32 v[26:27], v[26:27], v[18:19]
	v_add_f64_e32 v[28:29], v[28:29], v[20:21]
	ds_load_b128 v[2:5], v1 offset:1312
	ds_load_b128 v[18:21], v1 offset:1328
	v_fma_f64 v[24:25], v[24:25], v[38:39], v[30:31]
	v_fma_f64 v[22:23], v[22:23], v[38:39], -v[32:33]
	s_wait_loadcnt_dscnt 0x201
	v_mul_f64_e32 v[36:37], v[2:3], v[139:140]
	v_mul_f64_e32 v[42:43], v[4:5], v[139:140]
	s_wait_dscnt 0x0
	v_mul_f64_e32 v[30:31], v[18:19], v[8:9]
	v_mul_f64_e32 v[8:9], v[20:21], v[8:9]
	v_add_f64_e32 v[26:27], v[26:27], v[34:35]
	v_add_f64_e32 v[28:29], v[28:29], v[40:41]
	v_fma_f64 v[32:33], v[4:5], v[137:138], v[36:37]
	v_fma_f64 v[34:35], v[2:3], v[137:138], -v[42:43]
	v_fma_f64 v[20:21], v[20:21], v[6:7], v[30:31]
	v_fma_f64 v[6:7], v[18:19], v[6:7], -v[8:9]
	v_add_f64_e32 v[26:27], v[26:27], v[22:23]
	v_add_f64_e32 v[28:29], v[28:29], v[24:25]
	ds_load_b128 v[2:5], v1 offset:1344
	ds_load_b128 v[22:25], v1 offset:1360
	s_wait_loadcnt_dscnt 0x101
	v_mul_f64_e32 v[36:37], v[2:3], v[12:13]
	v_mul_f64_e32 v[12:13], v[4:5], v[12:13]
	v_add_f64_e32 v[8:9], v[26:27], v[34:35]
	v_add_f64_e32 v[18:19], v[28:29], v[32:33]
	s_wait_loadcnt_dscnt 0x0
	v_mul_f64_e32 v[26:27], v[22:23], v[16:17]
	v_mul_f64_e32 v[16:17], v[24:25], v[16:17]
	v_fma_f64 v[4:5], v[4:5], v[10:11], v[36:37]
	v_fma_f64 v[1:2], v[2:3], v[10:11], -v[12:13]
	v_add_f64_e32 v[6:7], v[8:9], v[6:7]
	v_add_f64_e32 v[8:9], v[18:19], v[20:21]
	v_fma_f64 v[10:11], v[24:25], v[14:15], v[26:27]
	v_fma_f64 v[12:13], v[22:23], v[14:15], -v[16:17]
	s_delay_alu instid0(VALU_DEP_4) | instskip(NEXT) | instid1(VALU_DEP_4)
	v_add_f64_e32 v[1:2], v[6:7], v[1:2]
	v_add_f64_e32 v[3:4], v[8:9], v[4:5]
	s_delay_alu instid0(VALU_DEP_2) | instskip(NEXT) | instid1(VALU_DEP_2)
	v_add_f64_e32 v[1:2], v[1:2], v[12:13]
	v_add_f64_e32 v[3:4], v[3:4], v[10:11]
	s_delay_alu instid0(VALU_DEP_2) | instskip(NEXT) | instid1(VALU_DEP_2)
	v_add_f64_e64 v[1:2], v[133:134], -v[1:2]
	v_add_f64_e64 v[3:4], v[135:136], -v[3:4]
	scratch_store_b128 off, v[1:4], off offset:144
	v_cmpx_lt_u32_e32 7, v0
	s_cbranch_execz .LBB106_257
; %bb.256:
	scratch_load_b128 v[1:4], off, s31
	v_mov_b32_e32 v5, 0
	s_delay_alu instid0(VALU_DEP_1)
	v_dual_mov_b32 v6, v5 :: v_dual_mov_b32 v7, v5
	v_mov_b32_e32 v8, v5
	scratch_store_b128 off, v[5:8], off offset:128
	s_wait_loadcnt 0x0
	ds_store_b128 v132, v[1:4]
.LBB106_257:
	s_wait_alu 0xfffe
	s_or_b32 exec_lo, exec_lo, s0
	s_wait_storecnt_dscnt 0x0
	s_barrier_signal -1
	s_barrier_wait -1
	global_inv scope:SCOPE_SE
	s_clause 0x7
	scratch_load_b128 v[2:5], off, off offset:144
	scratch_load_b128 v[6:9], off, off offset:160
	;; [unrolled: 1-line block ×8, first 2 shown]
	v_mov_b32_e32 v1, 0
	s_mov_b32 s0, exec_lo
	ds_load_b128 v[38:41], v1 offset:816
	s_clause 0x1
	scratch_load_b128 v[34:37], off, off offset:272
	scratch_load_b128 v[42:45], off, off offset:128
	ds_load_b128 v[133:136], v1 offset:832
	scratch_load_b128 v[137:140], off, off offset:288
	s_wait_loadcnt_dscnt 0xa01
	v_mul_f64_e32 v[141:142], v[40:41], v[4:5]
	v_mul_f64_e32 v[4:5], v[38:39], v[4:5]
	s_delay_alu instid0(VALU_DEP_2) | instskip(NEXT) | instid1(VALU_DEP_2)
	v_fma_f64 v[147:148], v[38:39], v[2:3], -v[141:142]
	v_fma_f64 v[149:150], v[40:41], v[2:3], v[4:5]
	ds_load_b128 v[2:5], v1 offset:848
	s_wait_loadcnt_dscnt 0x901
	v_mul_f64_e32 v[145:146], v[133:134], v[8:9]
	v_mul_f64_e32 v[8:9], v[135:136], v[8:9]
	scratch_load_b128 v[38:41], off, off offset:304
	ds_load_b128 v[141:144], v1 offset:864
	s_wait_loadcnt_dscnt 0x901
	v_mul_f64_e32 v[151:152], v[2:3], v[12:13]
	v_mul_f64_e32 v[12:13], v[4:5], v[12:13]
	v_fma_f64 v[135:136], v[135:136], v[6:7], v[145:146]
	v_fma_f64 v[133:134], v[133:134], v[6:7], -v[8:9]
	v_add_f64_e32 v[145:146], 0, v[147:148]
	v_add_f64_e32 v[147:148], 0, v[149:150]
	scratch_load_b128 v[6:9], off, off offset:320
	v_fma_f64 v[151:152], v[4:5], v[10:11], v[151:152]
	v_fma_f64 v[153:154], v[2:3], v[10:11], -v[12:13]
	ds_load_b128 v[2:5], v1 offset:880
	s_wait_loadcnt_dscnt 0x901
	v_mul_f64_e32 v[149:150], v[141:142], v[16:17]
	v_mul_f64_e32 v[16:17], v[143:144], v[16:17]
	scratch_load_b128 v[10:13], off, off offset:336
	v_add_f64_e32 v[145:146], v[145:146], v[133:134]
	v_add_f64_e32 v[147:148], v[147:148], v[135:136]
	s_wait_loadcnt_dscnt 0x900
	v_mul_f64_e32 v[155:156], v[2:3], v[20:21]
	v_mul_f64_e32 v[20:21], v[4:5], v[20:21]
	ds_load_b128 v[133:136], v1 offset:896
	v_fma_f64 v[143:144], v[143:144], v[14:15], v[149:150]
	v_fma_f64 v[141:142], v[141:142], v[14:15], -v[16:17]
	scratch_load_b128 v[14:17], off, off offset:352
	v_add_f64_e32 v[145:146], v[145:146], v[153:154]
	v_add_f64_e32 v[147:148], v[147:148], v[151:152]
	v_fma_f64 v[151:152], v[4:5], v[18:19], v[155:156]
	v_fma_f64 v[153:154], v[2:3], v[18:19], -v[20:21]
	ds_load_b128 v[2:5], v1 offset:912
	s_wait_loadcnt_dscnt 0x901
	v_mul_f64_e32 v[149:150], v[133:134], v[24:25]
	v_mul_f64_e32 v[24:25], v[135:136], v[24:25]
	scratch_load_b128 v[18:21], off, off offset:368
	s_wait_loadcnt_dscnt 0x900
	v_mul_f64_e32 v[155:156], v[2:3], v[28:29]
	v_mul_f64_e32 v[28:29], v[4:5], v[28:29]
	v_add_f64_e32 v[145:146], v[145:146], v[141:142]
	v_add_f64_e32 v[147:148], v[147:148], v[143:144]
	ds_load_b128 v[141:144], v1 offset:928
	v_fma_f64 v[135:136], v[135:136], v[22:23], v[149:150]
	v_fma_f64 v[133:134], v[133:134], v[22:23], -v[24:25]
	scratch_load_b128 v[22:25], off, off offset:384
	v_add_f64_e32 v[145:146], v[145:146], v[153:154]
	v_add_f64_e32 v[147:148], v[147:148], v[151:152]
	v_fma_f64 v[151:152], v[4:5], v[26:27], v[155:156]
	v_fma_f64 v[153:154], v[2:3], v[26:27], -v[28:29]
	ds_load_b128 v[2:5], v1 offset:944
	s_wait_loadcnt_dscnt 0x901
	v_mul_f64_e32 v[149:150], v[141:142], v[32:33]
	v_mul_f64_e32 v[32:33], v[143:144], v[32:33]
	scratch_load_b128 v[26:29], off, off offset:400
	s_wait_loadcnt_dscnt 0x900
	v_mul_f64_e32 v[155:156], v[2:3], v[36:37]
	v_mul_f64_e32 v[36:37], v[4:5], v[36:37]
	v_add_f64_e32 v[145:146], v[145:146], v[133:134]
	v_add_f64_e32 v[147:148], v[147:148], v[135:136]
	ds_load_b128 v[133:136], v1 offset:960
	v_fma_f64 v[143:144], v[143:144], v[30:31], v[149:150]
	v_fma_f64 v[141:142], v[141:142], v[30:31], -v[32:33]
	scratch_load_b128 v[30:33], off, off offset:416
	v_add_f64_e32 v[145:146], v[145:146], v[153:154]
	v_add_f64_e32 v[147:148], v[147:148], v[151:152]
	v_fma_f64 v[153:154], v[4:5], v[34:35], v[155:156]
	v_fma_f64 v[155:156], v[2:3], v[34:35], -v[36:37]
	ds_load_b128 v[2:5], v1 offset:976
	s_wait_loadcnt_dscnt 0x801
	v_mul_f64_e32 v[149:150], v[133:134], v[139:140]
	v_mul_f64_e32 v[151:152], v[135:136], v[139:140]
	scratch_load_b128 v[34:37], off, off offset:432
	v_add_f64_e32 v[145:146], v[145:146], v[141:142]
	v_add_f64_e32 v[143:144], v[147:148], v[143:144]
	ds_load_b128 v[139:142], v1 offset:992
	v_fma_f64 v[149:150], v[135:136], v[137:138], v[149:150]
	v_fma_f64 v[137:138], v[133:134], v[137:138], -v[151:152]
	scratch_load_b128 v[133:136], off, off offset:448
	s_wait_loadcnt_dscnt 0x901
	v_mul_f64_e32 v[147:148], v[2:3], v[40:41]
	v_mul_f64_e32 v[40:41], v[4:5], v[40:41]
	v_add_f64_e32 v[145:146], v[145:146], v[155:156]
	v_add_f64_e32 v[143:144], v[143:144], v[153:154]
	s_delay_alu instid0(VALU_DEP_4) | instskip(NEXT) | instid1(VALU_DEP_4)
	v_fma_f64 v[147:148], v[4:5], v[38:39], v[147:148]
	v_fma_f64 v[153:154], v[2:3], v[38:39], -v[40:41]
	ds_load_b128 v[2:5], v1 offset:1008
	s_wait_loadcnt_dscnt 0x801
	v_mul_f64_e32 v[151:152], v[139:140], v[8:9]
	v_mul_f64_e32 v[8:9], v[141:142], v[8:9]
	scratch_load_b128 v[38:41], off, off offset:464
	s_wait_loadcnt_dscnt 0x800
	v_mul_f64_e32 v[155:156], v[2:3], v[12:13]
	v_add_f64_e32 v[137:138], v[145:146], v[137:138]
	v_add_f64_e32 v[149:150], v[143:144], v[149:150]
	v_mul_f64_e32 v[12:13], v[4:5], v[12:13]
	ds_load_b128 v[143:146], v1 offset:1024
	v_fma_f64 v[141:142], v[141:142], v[6:7], v[151:152]
	v_fma_f64 v[139:140], v[139:140], v[6:7], -v[8:9]
	scratch_load_b128 v[6:9], off, off offset:480
	v_fma_f64 v[151:152], v[4:5], v[10:11], v[155:156]
	v_add_f64_e32 v[137:138], v[137:138], v[153:154]
	v_add_f64_e32 v[147:148], v[149:150], v[147:148]
	v_fma_f64 v[153:154], v[2:3], v[10:11], -v[12:13]
	ds_load_b128 v[2:5], v1 offset:1040
	s_wait_loadcnt_dscnt 0x801
	v_mul_f64_e32 v[149:150], v[143:144], v[16:17]
	v_mul_f64_e32 v[16:17], v[145:146], v[16:17]
	scratch_load_b128 v[10:13], off, off offset:496
	v_add_f64_e32 v[155:156], v[137:138], v[139:140]
	v_add_f64_e32 v[141:142], v[147:148], v[141:142]
	s_wait_loadcnt_dscnt 0x800
	v_mul_f64_e32 v[147:148], v[2:3], v[20:21]
	v_mul_f64_e32 v[20:21], v[4:5], v[20:21]
	v_fma_f64 v[145:146], v[145:146], v[14:15], v[149:150]
	v_fma_f64 v[143:144], v[143:144], v[14:15], -v[16:17]
	ds_load_b128 v[137:140], v1 offset:1056
	scratch_load_b128 v[14:17], off, off offset:512
	v_add_f64_e32 v[149:150], v[155:156], v[153:154]
	v_add_f64_e32 v[141:142], v[141:142], v[151:152]
	v_fma_f64 v[147:148], v[4:5], v[18:19], v[147:148]
	v_fma_f64 v[153:154], v[2:3], v[18:19], -v[20:21]
	ds_load_b128 v[2:5], v1 offset:1072
	s_wait_loadcnt_dscnt 0x801
	v_mul_f64_e32 v[151:152], v[137:138], v[24:25]
	v_mul_f64_e32 v[24:25], v[139:140], v[24:25]
	scratch_load_b128 v[18:21], off, off offset:528
	s_wait_loadcnt_dscnt 0x800
	v_mul_f64_e32 v[155:156], v[2:3], v[28:29]
	v_mul_f64_e32 v[28:29], v[4:5], v[28:29]
	v_add_f64_e32 v[149:150], v[149:150], v[143:144]
	v_add_f64_e32 v[145:146], v[141:142], v[145:146]
	ds_load_b128 v[141:144], v1 offset:1088
	v_fma_f64 v[139:140], v[139:140], v[22:23], v[151:152]
	v_fma_f64 v[137:138], v[137:138], v[22:23], -v[24:25]
	scratch_load_b128 v[22:25], off, off offset:544
	v_fma_f64 v[151:152], v[4:5], v[26:27], v[155:156]
	v_add_f64_e32 v[149:150], v[149:150], v[153:154]
	v_add_f64_e32 v[145:146], v[145:146], v[147:148]
	v_fma_f64 v[153:154], v[2:3], v[26:27], -v[28:29]
	ds_load_b128 v[2:5], v1 offset:1104
	s_wait_loadcnt_dscnt 0x801
	v_mul_f64_e32 v[147:148], v[141:142], v[32:33]
	v_mul_f64_e32 v[32:33], v[143:144], v[32:33]
	scratch_load_b128 v[26:29], off, off offset:560
	s_wait_loadcnt_dscnt 0x800
	v_mul_f64_e32 v[155:156], v[2:3], v[36:37]
	v_mul_f64_e32 v[36:37], v[4:5], v[36:37]
	v_add_f64_e32 v[149:150], v[149:150], v[137:138]
	v_add_f64_e32 v[145:146], v[145:146], v[139:140]
	ds_load_b128 v[137:140], v1 offset:1120
	v_fma_f64 v[143:144], v[143:144], v[30:31], v[147:148]
	v_fma_f64 v[141:142], v[141:142], v[30:31], -v[32:33]
	scratch_load_b128 v[30:33], off, off offset:576
	v_add_f64_e32 v[147:148], v[149:150], v[153:154]
	v_add_f64_e32 v[145:146], v[145:146], v[151:152]
	v_fma_f64 v[151:152], v[4:5], v[34:35], v[155:156]
	v_fma_f64 v[153:154], v[2:3], v[34:35], -v[36:37]
	ds_load_b128 v[2:5], v1 offset:1136
	s_wait_loadcnt_dscnt 0x801
	v_mul_f64_e32 v[149:150], v[137:138], v[135:136]
	v_mul_f64_e32 v[135:136], v[139:140], v[135:136]
	scratch_load_b128 v[34:37], off, off offset:592
	s_wait_loadcnt_dscnt 0x800
	v_mul_f64_e32 v[155:156], v[2:3], v[40:41]
	v_mul_f64_e32 v[40:41], v[4:5], v[40:41]
	v_add_f64_e32 v[147:148], v[147:148], v[141:142]
	v_add_f64_e32 v[145:146], v[145:146], v[143:144]
	ds_load_b128 v[141:144], v1 offset:1152
	v_fma_f64 v[139:140], v[139:140], v[133:134], v[149:150]
	v_fma_f64 v[137:138], v[137:138], v[133:134], -v[135:136]
	scratch_load_b128 v[133:136], off, off offset:608
	v_add_f64_e32 v[147:148], v[147:148], v[153:154]
	v_add_f64_e32 v[145:146], v[145:146], v[151:152]
	v_fma_f64 v[151:152], v[4:5], v[38:39], v[155:156]
	;; [unrolled: 18-line block ×4, first 2 shown]
	v_fma_f64 v[153:154], v[2:3], v[18:19], -v[20:21]
	ds_load_b128 v[2:5], v1 offset:1232
	s_wait_loadcnt_dscnt 0x801
	v_mul_f64_e32 v[149:150], v[141:142], v[24:25]
	v_mul_f64_e32 v[24:25], v[143:144], v[24:25]
	scratch_load_b128 v[18:21], off, off offset:688
	s_wait_loadcnt_dscnt 0x800
	v_mul_f64_e32 v[155:156], v[2:3], v[28:29]
	v_mul_f64_e32 v[28:29], v[4:5], v[28:29]
	v_add_f64_e32 v[147:148], v[147:148], v[137:138]
	v_add_f64_e32 v[145:146], v[145:146], v[139:140]
	ds_load_b128 v[137:140], v1 offset:1248
	v_fma_f64 v[143:144], v[143:144], v[22:23], v[149:150]
	v_fma_f64 v[22:23], v[141:142], v[22:23], -v[24:25]
	v_add_f64_e32 v[24:25], v[147:148], v[153:154]
	v_add_f64_e32 v[141:142], v[145:146], v[151:152]
	s_wait_loadcnt_dscnt 0x700
	v_mul_f64_e32 v[145:146], v[137:138], v[32:33]
	v_mul_f64_e32 v[32:33], v[139:140], v[32:33]
	v_fma_f64 v[147:148], v[4:5], v[26:27], v[155:156]
	v_fma_f64 v[26:27], v[2:3], v[26:27], -v[28:29]
	v_add_f64_e32 v[28:29], v[24:25], v[22:23]
	v_add_f64_e32 v[141:142], v[141:142], v[143:144]
	ds_load_b128 v[2:5], v1 offset:1264
	ds_load_b128 v[22:25], v1 offset:1280
	v_fma_f64 v[139:140], v[139:140], v[30:31], v[145:146]
	v_fma_f64 v[30:31], v[137:138], v[30:31], -v[32:33]
	s_wait_loadcnt_dscnt 0x601
	v_mul_f64_e32 v[143:144], v[2:3], v[36:37]
	v_mul_f64_e32 v[36:37], v[4:5], v[36:37]
	s_wait_loadcnt_dscnt 0x500
	v_mul_f64_e32 v[32:33], v[22:23], v[135:136]
	v_mul_f64_e32 v[135:136], v[24:25], v[135:136]
	v_add_f64_e32 v[26:27], v[28:29], v[26:27]
	v_add_f64_e32 v[28:29], v[141:142], v[147:148]
	v_fma_f64 v[137:138], v[4:5], v[34:35], v[143:144]
	v_fma_f64 v[34:35], v[2:3], v[34:35], -v[36:37]
	v_fma_f64 v[24:25], v[24:25], v[133:134], v[32:33]
	v_fma_f64 v[22:23], v[22:23], v[133:134], -v[135:136]
	v_add_f64_e32 v[30:31], v[26:27], v[30:31]
	v_add_f64_e32 v[36:37], v[28:29], v[139:140]
	ds_load_b128 v[2:5], v1 offset:1296
	ds_load_b128 v[26:29], v1 offset:1312
	s_wait_loadcnt_dscnt 0x401
	v_mul_f64_e32 v[139:140], v[2:3], v[40:41]
	v_mul_f64_e32 v[40:41], v[4:5], v[40:41]
	v_add_f64_e32 v[30:31], v[30:31], v[34:35]
	v_add_f64_e32 v[32:33], v[36:37], v[137:138]
	s_wait_loadcnt_dscnt 0x300
	v_mul_f64_e32 v[34:35], v[26:27], v[8:9]
	v_mul_f64_e32 v[8:9], v[28:29], v[8:9]
	v_fma_f64 v[36:37], v[4:5], v[38:39], v[139:140]
	v_fma_f64 v[38:39], v[2:3], v[38:39], -v[40:41]
	v_add_f64_e32 v[30:31], v[30:31], v[22:23]
	v_add_f64_e32 v[32:33], v[32:33], v[24:25]
	ds_load_b128 v[2:5], v1 offset:1328
	ds_load_b128 v[22:25], v1 offset:1344
	v_fma_f64 v[28:29], v[28:29], v[6:7], v[34:35]
	v_fma_f64 v[6:7], v[26:27], v[6:7], -v[8:9]
	s_wait_loadcnt_dscnt 0x201
	v_mul_f64_e32 v[40:41], v[2:3], v[12:13]
	v_mul_f64_e32 v[12:13], v[4:5], v[12:13]
	v_add_f64_e32 v[8:9], v[30:31], v[38:39]
	v_add_f64_e32 v[26:27], v[32:33], v[36:37]
	s_wait_loadcnt_dscnt 0x100
	v_mul_f64_e32 v[30:31], v[22:23], v[16:17]
	v_mul_f64_e32 v[16:17], v[24:25], v[16:17]
	v_fma_f64 v[32:33], v[4:5], v[10:11], v[40:41]
	v_fma_f64 v[10:11], v[2:3], v[10:11], -v[12:13]
	ds_load_b128 v[2:5], v1 offset:1360
	v_add_f64_e32 v[6:7], v[8:9], v[6:7]
	v_add_f64_e32 v[8:9], v[26:27], v[28:29]
	v_fma_f64 v[24:25], v[24:25], v[14:15], v[30:31]
	v_fma_f64 v[14:15], v[22:23], v[14:15], -v[16:17]
	s_wait_loadcnt_dscnt 0x0
	v_mul_f64_e32 v[12:13], v[2:3], v[20:21]
	v_mul_f64_e32 v[20:21], v[4:5], v[20:21]
	v_add_f64_e32 v[6:7], v[6:7], v[10:11]
	v_add_f64_e32 v[8:9], v[8:9], v[32:33]
	s_delay_alu instid0(VALU_DEP_4) | instskip(NEXT) | instid1(VALU_DEP_4)
	v_fma_f64 v[4:5], v[4:5], v[18:19], v[12:13]
	v_fma_f64 v[2:3], v[2:3], v[18:19], -v[20:21]
	s_delay_alu instid0(VALU_DEP_4) | instskip(NEXT) | instid1(VALU_DEP_4)
	v_add_f64_e32 v[6:7], v[6:7], v[14:15]
	v_add_f64_e32 v[8:9], v[8:9], v[24:25]
	s_delay_alu instid0(VALU_DEP_2) | instskip(NEXT) | instid1(VALU_DEP_2)
	v_add_f64_e32 v[2:3], v[6:7], v[2:3]
	v_add_f64_e32 v[4:5], v[8:9], v[4:5]
	s_delay_alu instid0(VALU_DEP_2) | instskip(NEXT) | instid1(VALU_DEP_2)
	v_add_f64_e64 v[2:3], v[42:43], -v[2:3]
	v_add_f64_e64 v[4:5], v[44:45], -v[4:5]
	scratch_store_b128 off, v[2:5], off offset:128
	v_cmpx_lt_u32_e32 6, v0
	s_cbranch_execz .LBB106_259
; %bb.258:
	scratch_load_b128 v[5:8], off, s5
	v_dual_mov_b32 v2, v1 :: v_dual_mov_b32 v3, v1
	v_mov_b32_e32 v4, v1
	scratch_store_b128 off, v[1:4], off offset:112
	s_wait_loadcnt 0x0
	ds_store_b128 v132, v[5:8]
.LBB106_259:
	s_wait_alu 0xfffe
	s_or_b32 exec_lo, exec_lo, s0
	s_wait_storecnt_dscnt 0x0
	s_barrier_signal -1
	s_barrier_wait -1
	global_inv scope:SCOPE_SE
	s_clause 0x8
	scratch_load_b128 v[2:5], off, off offset:128
	scratch_load_b128 v[6:9], off, off offset:144
	;; [unrolled: 1-line block ×9, first 2 shown]
	ds_load_b128 v[38:41], v1 offset:800
	ds_load_b128 v[42:45], v1 offset:816
	s_clause 0x1
	scratch_load_b128 v[133:136], off, off offset:112
	scratch_load_b128 v[137:140], off, off offset:272
	s_mov_b32 s0, exec_lo
	s_wait_loadcnt_dscnt 0xa01
	v_mul_f64_e32 v[141:142], v[40:41], v[4:5]
	v_mul_f64_e32 v[4:5], v[38:39], v[4:5]
	s_wait_loadcnt_dscnt 0x900
	v_mul_f64_e32 v[145:146], v[42:43], v[8:9]
	v_mul_f64_e32 v[8:9], v[44:45], v[8:9]
	s_delay_alu instid0(VALU_DEP_4) | instskip(NEXT) | instid1(VALU_DEP_4)
	v_fma_f64 v[147:148], v[38:39], v[2:3], -v[141:142]
	v_fma_f64 v[149:150], v[40:41], v[2:3], v[4:5]
	ds_load_b128 v[2:5], v1 offset:832
	ds_load_b128 v[141:144], v1 offset:848
	scratch_load_b128 v[38:41], off, off offset:288
	v_fma_f64 v[44:45], v[44:45], v[6:7], v[145:146]
	v_fma_f64 v[42:43], v[42:43], v[6:7], -v[8:9]
	scratch_load_b128 v[6:9], off, off offset:304
	s_wait_loadcnt_dscnt 0xa01
	v_mul_f64_e32 v[151:152], v[2:3], v[12:13]
	v_mul_f64_e32 v[12:13], v[4:5], v[12:13]
	v_add_f64_e32 v[145:146], 0, v[147:148]
	v_add_f64_e32 v[147:148], 0, v[149:150]
	s_wait_loadcnt_dscnt 0x900
	v_mul_f64_e32 v[149:150], v[141:142], v[16:17]
	v_mul_f64_e32 v[16:17], v[143:144], v[16:17]
	v_fma_f64 v[151:152], v[4:5], v[10:11], v[151:152]
	v_fma_f64 v[153:154], v[2:3], v[10:11], -v[12:13]
	ds_load_b128 v[2:5], v1 offset:864
	scratch_load_b128 v[10:13], off, off offset:320
	v_add_f64_e32 v[145:146], v[145:146], v[42:43]
	v_add_f64_e32 v[147:148], v[147:148], v[44:45]
	ds_load_b128 v[42:45], v1 offset:880
	v_fma_f64 v[143:144], v[143:144], v[14:15], v[149:150]
	v_fma_f64 v[141:142], v[141:142], v[14:15], -v[16:17]
	scratch_load_b128 v[14:17], off, off offset:336
	s_wait_loadcnt_dscnt 0xa01
	v_mul_f64_e32 v[155:156], v[2:3], v[20:21]
	v_mul_f64_e32 v[20:21], v[4:5], v[20:21]
	s_wait_loadcnt_dscnt 0x900
	v_mul_f64_e32 v[149:150], v[42:43], v[24:25]
	v_mul_f64_e32 v[24:25], v[44:45], v[24:25]
	v_add_f64_e32 v[145:146], v[145:146], v[153:154]
	v_add_f64_e32 v[147:148], v[147:148], v[151:152]
	v_fma_f64 v[151:152], v[4:5], v[18:19], v[155:156]
	v_fma_f64 v[153:154], v[2:3], v[18:19], -v[20:21]
	ds_load_b128 v[2:5], v1 offset:896
	scratch_load_b128 v[18:21], off, off offset:352
	v_fma_f64 v[44:45], v[44:45], v[22:23], v[149:150]
	v_fma_f64 v[42:43], v[42:43], v[22:23], -v[24:25]
	scratch_load_b128 v[22:25], off, off offset:368
	v_add_f64_e32 v[145:146], v[145:146], v[141:142]
	v_add_f64_e32 v[147:148], v[147:148], v[143:144]
	ds_load_b128 v[141:144], v1 offset:912
	s_wait_loadcnt_dscnt 0xa01
	v_mul_f64_e32 v[155:156], v[2:3], v[28:29]
	v_mul_f64_e32 v[28:29], v[4:5], v[28:29]
	s_wait_loadcnt_dscnt 0x900
	v_mul_f64_e32 v[149:150], v[141:142], v[32:33]
	v_mul_f64_e32 v[32:33], v[143:144], v[32:33]
	v_add_f64_e32 v[145:146], v[145:146], v[153:154]
	v_add_f64_e32 v[147:148], v[147:148], v[151:152]
	v_fma_f64 v[151:152], v[4:5], v[26:27], v[155:156]
	v_fma_f64 v[153:154], v[2:3], v[26:27], -v[28:29]
	ds_load_b128 v[2:5], v1 offset:928
	scratch_load_b128 v[26:29], off, off offset:384
	v_fma_f64 v[143:144], v[143:144], v[30:31], v[149:150]
	v_fma_f64 v[141:142], v[141:142], v[30:31], -v[32:33]
	scratch_load_b128 v[30:33], off, off offset:400
	v_add_f64_e32 v[145:146], v[145:146], v[42:43]
	v_add_f64_e32 v[147:148], v[147:148], v[44:45]
	ds_load_b128 v[42:45], v1 offset:944
	s_wait_loadcnt_dscnt 0xa01
	v_mul_f64_e32 v[155:156], v[2:3], v[36:37]
	v_mul_f64_e32 v[36:37], v[4:5], v[36:37]
	s_wait_loadcnt_dscnt 0x800
	v_mul_f64_e32 v[149:150], v[42:43], v[139:140]
	v_add_f64_e32 v[145:146], v[145:146], v[153:154]
	v_add_f64_e32 v[147:148], v[147:148], v[151:152]
	v_mul_f64_e32 v[151:152], v[44:45], v[139:140]
	v_fma_f64 v[153:154], v[4:5], v[34:35], v[155:156]
	v_fma_f64 v[155:156], v[2:3], v[34:35], -v[36:37]
	ds_load_b128 v[2:5], v1 offset:960
	scratch_load_b128 v[34:37], off, off offset:416
	v_fma_f64 v[44:45], v[44:45], v[137:138], v[149:150]
	v_add_f64_e32 v[145:146], v[145:146], v[141:142]
	v_add_f64_e32 v[143:144], v[147:148], v[143:144]
	ds_load_b128 v[139:142], v1 offset:976
	v_fma_f64 v[137:138], v[42:43], v[137:138], -v[151:152]
	s_wait_loadcnt_dscnt 0x801
	v_mul_f64_e32 v[147:148], v[2:3], v[40:41]
	v_mul_f64_e32 v[157:158], v[4:5], v[40:41]
	scratch_load_b128 v[40:43], off, off offset:432
	s_wait_loadcnt_dscnt 0x800
	v_mul_f64_e32 v[151:152], v[139:140], v[8:9]
	v_mul_f64_e32 v[8:9], v[141:142], v[8:9]
	v_add_f64_e32 v[145:146], v[145:146], v[155:156]
	v_add_f64_e32 v[143:144], v[143:144], v[153:154]
	v_fma_f64 v[153:154], v[4:5], v[38:39], v[147:148]
	v_fma_f64 v[38:39], v[2:3], v[38:39], -v[157:158]
	ds_load_b128 v[2:5], v1 offset:992
	ds_load_b128 v[147:150], v1 offset:1008
	v_fma_f64 v[141:142], v[141:142], v[6:7], v[151:152]
	v_fma_f64 v[139:140], v[139:140], v[6:7], -v[8:9]
	scratch_load_b128 v[6:9], off, off offset:464
	v_add_f64_e32 v[137:138], v[145:146], v[137:138]
	v_add_f64_e32 v[44:45], v[143:144], v[44:45]
	scratch_load_b128 v[143:146], off, off offset:448
	s_wait_loadcnt_dscnt 0x901
	v_mul_f64_e32 v[155:156], v[2:3], v[12:13]
	v_mul_f64_e32 v[12:13], v[4:5], v[12:13]
	s_wait_loadcnt_dscnt 0x800
	v_mul_f64_e32 v[151:152], v[147:148], v[16:17]
	v_mul_f64_e32 v[16:17], v[149:150], v[16:17]
	v_add_f64_e32 v[38:39], v[137:138], v[38:39]
	v_add_f64_e32 v[44:45], v[44:45], v[153:154]
	v_fma_f64 v[153:154], v[4:5], v[10:11], v[155:156]
	v_fma_f64 v[155:156], v[2:3], v[10:11], -v[12:13]
	ds_load_b128 v[2:5], v1 offset:1024
	scratch_load_b128 v[10:13], off, off offset:480
	v_fma_f64 v[149:150], v[149:150], v[14:15], v[151:152]
	v_fma_f64 v[147:148], v[147:148], v[14:15], -v[16:17]
	scratch_load_b128 v[14:17], off, off offset:496
	v_add_f64_e32 v[38:39], v[38:39], v[139:140]
	v_add_f64_e32 v[44:45], v[44:45], v[141:142]
	ds_load_b128 v[137:140], v1 offset:1040
	s_wait_loadcnt_dscnt 0x901
	v_mul_f64_e32 v[141:142], v[2:3], v[20:21]
	v_mul_f64_e32 v[20:21], v[4:5], v[20:21]
	s_wait_loadcnt_dscnt 0x800
	v_mul_f64_e32 v[151:152], v[137:138], v[24:25]
	v_mul_f64_e32 v[24:25], v[139:140], v[24:25]
	v_add_f64_e32 v[38:39], v[38:39], v[155:156]
	v_add_f64_e32 v[44:45], v[44:45], v[153:154]
	v_fma_f64 v[141:142], v[4:5], v[18:19], v[141:142]
	v_fma_f64 v[153:154], v[2:3], v[18:19], -v[20:21]
	ds_load_b128 v[2:5], v1 offset:1056
	scratch_load_b128 v[18:21], off, off offset:512
	v_fma_f64 v[139:140], v[139:140], v[22:23], v[151:152]
	v_fma_f64 v[137:138], v[137:138], v[22:23], -v[24:25]
	scratch_load_b128 v[22:25], off, off offset:528
	v_add_f64_e32 v[38:39], v[38:39], v[147:148]
	v_add_f64_e32 v[44:45], v[44:45], v[149:150]
	ds_load_b128 v[147:150], v1 offset:1072
	s_wait_loadcnt_dscnt 0x901
	v_mul_f64_e32 v[155:156], v[2:3], v[28:29]
	v_mul_f64_e32 v[28:29], v[4:5], v[28:29]
	v_add_f64_e32 v[38:39], v[38:39], v[153:154]
	v_add_f64_e32 v[44:45], v[44:45], v[141:142]
	s_wait_loadcnt_dscnt 0x800
	v_mul_f64_e32 v[141:142], v[147:148], v[32:33]
	v_mul_f64_e32 v[32:33], v[149:150], v[32:33]
	v_fma_f64 v[151:152], v[4:5], v[26:27], v[155:156]
	v_fma_f64 v[153:154], v[2:3], v[26:27], -v[28:29]
	ds_load_b128 v[2:5], v1 offset:1088
	scratch_load_b128 v[26:29], off, off offset:544
	v_add_f64_e32 v[38:39], v[38:39], v[137:138]
	v_add_f64_e32 v[44:45], v[44:45], v[139:140]
	ds_load_b128 v[137:140], v1 offset:1104
	s_wait_loadcnt_dscnt 0x801
	v_mul_f64_e32 v[155:156], v[2:3], v[36:37]
	v_mul_f64_e32 v[36:37], v[4:5], v[36:37]
	v_fma_f64 v[141:142], v[149:150], v[30:31], v[141:142]
	v_fma_f64 v[147:148], v[147:148], v[30:31], -v[32:33]
	scratch_load_b128 v[30:33], off, off offset:560
	s_wait_loadcnt_dscnt 0x800
	v_mul_f64_e32 v[149:150], v[137:138], v[42:43]
	v_add_f64_e32 v[38:39], v[38:39], v[153:154]
	v_add_f64_e32 v[44:45], v[44:45], v[151:152]
	v_mul_f64_e32 v[151:152], v[139:140], v[42:43]
	v_fma_f64 v[153:154], v[4:5], v[34:35], v[155:156]
	v_fma_f64 v[155:156], v[2:3], v[34:35], -v[36:37]
	ds_load_b128 v[2:5], v1 offset:1120
	scratch_load_b128 v[34:37], off, off offset:576
	v_fma_f64 v[139:140], v[139:140], v[40:41], v[149:150]
	v_add_f64_e32 v[38:39], v[38:39], v[147:148]
	v_add_f64_e32 v[141:142], v[44:45], v[141:142]
	ds_load_b128 v[42:45], v1 offset:1136
	v_fma_f64 v[137:138], v[137:138], v[40:41], -v[151:152]
	s_wait_loadcnt_dscnt 0x701
	v_mul_f64_e32 v[147:148], v[2:3], v[145:146]
	v_mul_f64_e32 v[145:146], v[4:5], v[145:146]
	s_wait_dscnt 0x0
	v_mul_f64_e32 v[151:152], v[42:43], v[8:9]
	v_mul_f64_e32 v[8:9], v[44:45], v[8:9]
	v_add_f64_e32 v[149:150], v[38:39], v[155:156]
	v_add_f64_e32 v[141:142], v[141:142], v[153:154]
	scratch_load_b128 v[38:41], off, off offset:592
	v_fma_f64 v[147:148], v[4:5], v[143:144], v[147:148]
	v_fma_f64 v[145:146], v[2:3], v[143:144], -v[145:146]
	ds_load_b128 v[2:5], v1 offset:1152
	v_fma_f64 v[44:45], v[44:45], v[6:7], v[151:152]
	v_fma_f64 v[42:43], v[42:43], v[6:7], -v[8:9]
	scratch_load_b128 v[6:9], off, off offset:624
	v_add_f64_e32 v[149:150], v[149:150], v[137:138]
	v_add_f64_e32 v[153:154], v[141:142], v[139:140]
	scratch_load_b128 v[137:140], off, off offset:608
	ds_load_b128 v[141:144], v1 offset:1168
	s_wait_loadcnt_dscnt 0x901
	v_mul_f64_e32 v[155:156], v[2:3], v[12:13]
	v_mul_f64_e32 v[12:13], v[4:5], v[12:13]
	v_add_f64_e32 v[145:146], v[149:150], v[145:146]
	v_add_f64_e32 v[147:148], v[153:154], v[147:148]
	s_wait_loadcnt_dscnt 0x800
	v_mul_f64_e32 v[149:150], v[141:142], v[16:17]
	v_mul_f64_e32 v[16:17], v[143:144], v[16:17]
	v_fma_f64 v[151:152], v[4:5], v[10:11], v[155:156]
	v_fma_f64 v[153:154], v[2:3], v[10:11], -v[12:13]
	ds_load_b128 v[2:5], v1 offset:1184
	scratch_load_b128 v[10:13], off, off offset:640
	v_add_f64_e32 v[145:146], v[145:146], v[42:43]
	v_add_f64_e32 v[147:148], v[147:148], v[44:45]
	ds_load_b128 v[42:45], v1 offset:1200
	s_wait_loadcnt_dscnt 0x801
	v_mul_f64_e32 v[155:156], v[2:3], v[20:21]
	v_mul_f64_e32 v[20:21], v[4:5], v[20:21]
	v_fma_f64 v[143:144], v[143:144], v[14:15], v[149:150]
	v_fma_f64 v[141:142], v[141:142], v[14:15], -v[16:17]
	scratch_load_b128 v[14:17], off, off offset:656
	s_wait_loadcnt_dscnt 0x800
	v_mul_f64_e32 v[149:150], v[42:43], v[24:25]
	v_mul_f64_e32 v[24:25], v[44:45], v[24:25]
	v_add_f64_e32 v[145:146], v[145:146], v[153:154]
	v_add_f64_e32 v[147:148], v[147:148], v[151:152]
	v_fma_f64 v[151:152], v[4:5], v[18:19], v[155:156]
	v_fma_f64 v[153:154], v[2:3], v[18:19], -v[20:21]
	ds_load_b128 v[2:5], v1 offset:1216
	scratch_load_b128 v[18:21], off, off offset:672
	v_fma_f64 v[44:45], v[44:45], v[22:23], v[149:150]
	v_fma_f64 v[42:43], v[42:43], v[22:23], -v[24:25]
	scratch_load_b128 v[22:25], off, off offset:688
	v_add_f64_e32 v[145:146], v[145:146], v[141:142]
	v_add_f64_e32 v[147:148], v[147:148], v[143:144]
	ds_load_b128 v[141:144], v1 offset:1232
	s_wait_loadcnt_dscnt 0x901
	v_mul_f64_e32 v[155:156], v[2:3], v[28:29]
	v_mul_f64_e32 v[28:29], v[4:5], v[28:29]
	s_wait_loadcnt_dscnt 0x800
	v_mul_f64_e32 v[149:150], v[141:142], v[32:33]
	v_mul_f64_e32 v[32:33], v[143:144], v[32:33]
	v_add_f64_e32 v[145:146], v[145:146], v[153:154]
	v_add_f64_e32 v[147:148], v[147:148], v[151:152]
	v_fma_f64 v[151:152], v[4:5], v[26:27], v[155:156]
	v_fma_f64 v[153:154], v[2:3], v[26:27], -v[28:29]
	ds_load_b128 v[2:5], v1 offset:1248
	ds_load_b128 v[26:29], v1 offset:1264
	v_fma_f64 v[143:144], v[143:144], v[30:31], v[149:150]
	v_fma_f64 v[30:31], v[141:142], v[30:31], -v[32:33]
	v_add_f64_e32 v[42:43], v[145:146], v[42:43]
	v_add_f64_e32 v[44:45], v[147:148], v[44:45]
	s_wait_loadcnt_dscnt 0x701
	v_mul_f64_e32 v[145:146], v[2:3], v[36:37]
	v_mul_f64_e32 v[36:37], v[4:5], v[36:37]
	s_delay_alu instid0(VALU_DEP_4) | instskip(NEXT) | instid1(VALU_DEP_4)
	v_add_f64_e32 v[32:33], v[42:43], v[153:154]
	v_add_f64_e32 v[42:43], v[44:45], v[151:152]
	s_delay_alu instid0(VALU_DEP_4) | instskip(NEXT) | instid1(VALU_DEP_4)
	v_fma_f64 v[141:142], v[4:5], v[34:35], v[145:146]
	v_fma_f64 v[34:35], v[2:3], v[34:35], -v[36:37]
	s_wait_loadcnt_dscnt 0x600
	v_mul_f64_e32 v[44:45], v[26:27], v[40:41]
	v_mul_f64_e32 v[40:41], v[28:29], v[40:41]
	v_add_f64_e32 v[36:37], v[32:33], v[30:31]
	v_add_f64_e32 v[42:43], v[42:43], v[143:144]
	ds_load_b128 v[2:5], v1 offset:1280
	ds_load_b128 v[30:33], v1 offset:1296
	v_fma_f64 v[28:29], v[28:29], v[38:39], v[44:45]
	v_fma_f64 v[26:27], v[26:27], v[38:39], -v[40:41]
	s_wait_loadcnt_dscnt 0x401
	v_mul_f64_e32 v[143:144], v[2:3], v[139:140]
	v_mul_f64_e32 v[139:140], v[4:5], v[139:140]
	s_wait_dscnt 0x0
	v_mul_f64_e32 v[38:39], v[30:31], v[8:9]
	v_mul_f64_e32 v[8:9], v[32:33], v[8:9]
	v_add_f64_e32 v[34:35], v[36:37], v[34:35]
	v_add_f64_e32 v[36:37], v[42:43], v[141:142]
	v_fma_f64 v[40:41], v[4:5], v[137:138], v[143:144]
	v_fma_f64 v[42:43], v[2:3], v[137:138], -v[139:140]
	v_fma_f64 v[32:33], v[32:33], v[6:7], v[38:39]
	v_fma_f64 v[6:7], v[30:31], v[6:7], -v[8:9]
	v_add_f64_e32 v[34:35], v[34:35], v[26:27]
	v_add_f64_e32 v[36:37], v[36:37], v[28:29]
	ds_load_b128 v[2:5], v1 offset:1312
	ds_load_b128 v[26:29], v1 offset:1328
	s_wait_loadcnt_dscnt 0x301
	v_mul_f64_e32 v[44:45], v[2:3], v[12:13]
	v_mul_f64_e32 v[12:13], v[4:5], v[12:13]
	v_add_f64_e32 v[8:9], v[34:35], v[42:43]
	v_add_f64_e32 v[30:31], v[36:37], v[40:41]
	s_wait_loadcnt_dscnt 0x200
	v_mul_f64_e32 v[34:35], v[26:27], v[16:17]
	v_mul_f64_e32 v[16:17], v[28:29], v[16:17]
	v_fma_f64 v[36:37], v[4:5], v[10:11], v[44:45]
	v_fma_f64 v[10:11], v[2:3], v[10:11], -v[12:13]
	v_add_f64_e32 v[12:13], v[8:9], v[6:7]
	v_add_f64_e32 v[30:31], v[30:31], v[32:33]
	ds_load_b128 v[2:5], v1 offset:1344
	ds_load_b128 v[6:9], v1 offset:1360
	v_fma_f64 v[28:29], v[28:29], v[14:15], v[34:35]
	v_fma_f64 v[14:15], v[26:27], v[14:15], -v[16:17]
	s_wait_loadcnt_dscnt 0x101
	v_mul_f64_e32 v[32:33], v[2:3], v[20:21]
	v_mul_f64_e32 v[20:21], v[4:5], v[20:21]
	s_wait_loadcnt_dscnt 0x0
	v_mul_f64_e32 v[16:17], v[6:7], v[24:25]
	v_mul_f64_e32 v[24:25], v[8:9], v[24:25]
	v_add_f64_e32 v[10:11], v[12:13], v[10:11]
	v_add_f64_e32 v[12:13], v[30:31], v[36:37]
	v_fma_f64 v[4:5], v[4:5], v[18:19], v[32:33]
	v_fma_f64 v[1:2], v[2:3], v[18:19], -v[20:21]
	v_fma_f64 v[8:9], v[8:9], v[22:23], v[16:17]
	v_fma_f64 v[6:7], v[6:7], v[22:23], -v[24:25]
	v_add_f64_e32 v[10:11], v[10:11], v[14:15]
	v_add_f64_e32 v[12:13], v[12:13], v[28:29]
	s_delay_alu instid0(VALU_DEP_2) | instskip(NEXT) | instid1(VALU_DEP_2)
	v_add_f64_e32 v[1:2], v[10:11], v[1:2]
	v_add_f64_e32 v[3:4], v[12:13], v[4:5]
	s_delay_alu instid0(VALU_DEP_2) | instskip(NEXT) | instid1(VALU_DEP_2)
	;; [unrolled: 3-line block ×3, first 2 shown]
	v_add_f64_e64 v[1:2], v[133:134], -v[1:2]
	v_add_f64_e64 v[3:4], v[135:136], -v[3:4]
	scratch_store_b128 off, v[1:4], off offset:112
	v_cmpx_lt_u32_e32 5, v0
	s_cbranch_execz .LBB106_261
; %bb.260:
	scratch_load_b128 v[1:4], off, s30
	v_mov_b32_e32 v5, 0
	s_delay_alu instid0(VALU_DEP_1)
	v_dual_mov_b32 v6, v5 :: v_dual_mov_b32 v7, v5
	v_mov_b32_e32 v8, v5
	scratch_store_b128 off, v[5:8], off offset:96
	s_wait_loadcnt 0x0
	ds_store_b128 v132, v[1:4]
.LBB106_261:
	s_wait_alu 0xfffe
	s_or_b32 exec_lo, exec_lo, s0
	s_wait_storecnt_dscnt 0x0
	s_barrier_signal -1
	s_barrier_wait -1
	global_inv scope:SCOPE_SE
	s_clause 0x7
	scratch_load_b128 v[2:5], off, off offset:112
	scratch_load_b128 v[6:9], off, off offset:128
	;; [unrolled: 1-line block ×8, first 2 shown]
	v_mov_b32_e32 v1, 0
	s_mov_b32 s0, exec_lo
	ds_load_b128 v[38:41], v1 offset:784
	s_clause 0x1
	scratch_load_b128 v[34:37], off, off offset:240
	scratch_load_b128 v[42:45], off, off offset:96
	ds_load_b128 v[133:136], v1 offset:800
	scratch_load_b128 v[137:140], off, off offset:256
	s_wait_loadcnt_dscnt 0xa01
	v_mul_f64_e32 v[141:142], v[40:41], v[4:5]
	v_mul_f64_e32 v[4:5], v[38:39], v[4:5]
	s_delay_alu instid0(VALU_DEP_2) | instskip(NEXT) | instid1(VALU_DEP_2)
	v_fma_f64 v[147:148], v[38:39], v[2:3], -v[141:142]
	v_fma_f64 v[149:150], v[40:41], v[2:3], v[4:5]
	ds_load_b128 v[2:5], v1 offset:816
	s_wait_loadcnt_dscnt 0x901
	v_mul_f64_e32 v[145:146], v[133:134], v[8:9]
	v_mul_f64_e32 v[8:9], v[135:136], v[8:9]
	scratch_load_b128 v[38:41], off, off offset:272
	ds_load_b128 v[141:144], v1 offset:832
	s_wait_loadcnt_dscnt 0x901
	v_mul_f64_e32 v[151:152], v[2:3], v[12:13]
	v_mul_f64_e32 v[12:13], v[4:5], v[12:13]
	v_fma_f64 v[135:136], v[135:136], v[6:7], v[145:146]
	v_fma_f64 v[133:134], v[133:134], v[6:7], -v[8:9]
	v_add_f64_e32 v[145:146], 0, v[147:148]
	v_add_f64_e32 v[147:148], 0, v[149:150]
	scratch_load_b128 v[6:9], off, off offset:288
	v_fma_f64 v[151:152], v[4:5], v[10:11], v[151:152]
	v_fma_f64 v[153:154], v[2:3], v[10:11], -v[12:13]
	ds_load_b128 v[2:5], v1 offset:848
	s_wait_loadcnt_dscnt 0x901
	v_mul_f64_e32 v[149:150], v[141:142], v[16:17]
	v_mul_f64_e32 v[16:17], v[143:144], v[16:17]
	scratch_load_b128 v[10:13], off, off offset:304
	v_add_f64_e32 v[145:146], v[145:146], v[133:134]
	v_add_f64_e32 v[147:148], v[147:148], v[135:136]
	s_wait_loadcnt_dscnt 0x900
	v_mul_f64_e32 v[155:156], v[2:3], v[20:21]
	v_mul_f64_e32 v[20:21], v[4:5], v[20:21]
	ds_load_b128 v[133:136], v1 offset:864
	v_fma_f64 v[143:144], v[143:144], v[14:15], v[149:150]
	v_fma_f64 v[141:142], v[141:142], v[14:15], -v[16:17]
	scratch_load_b128 v[14:17], off, off offset:320
	v_add_f64_e32 v[145:146], v[145:146], v[153:154]
	v_add_f64_e32 v[147:148], v[147:148], v[151:152]
	v_fma_f64 v[151:152], v[4:5], v[18:19], v[155:156]
	v_fma_f64 v[153:154], v[2:3], v[18:19], -v[20:21]
	ds_load_b128 v[2:5], v1 offset:880
	s_wait_loadcnt_dscnt 0x901
	v_mul_f64_e32 v[149:150], v[133:134], v[24:25]
	v_mul_f64_e32 v[24:25], v[135:136], v[24:25]
	scratch_load_b128 v[18:21], off, off offset:336
	s_wait_loadcnt_dscnt 0x900
	v_mul_f64_e32 v[155:156], v[2:3], v[28:29]
	v_mul_f64_e32 v[28:29], v[4:5], v[28:29]
	v_add_f64_e32 v[145:146], v[145:146], v[141:142]
	v_add_f64_e32 v[147:148], v[147:148], v[143:144]
	ds_load_b128 v[141:144], v1 offset:896
	v_fma_f64 v[135:136], v[135:136], v[22:23], v[149:150]
	v_fma_f64 v[133:134], v[133:134], v[22:23], -v[24:25]
	scratch_load_b128 v[22:25], off, off offset:352
	v_add_f64_e32 v[145:146], v[145:146], v[153:154]
	v_add_f64_e32 v[147:148], v[147:148], v[151:152]
	v_fma_f64 v[151:152], v[4:5], v[26:27], v[155:156]
	v_fma_f64 v[153:154], v[2:3], v[26:27], -v[28:29]
	ds_load_b128 v[2:5], v1 offset:912
	s_wait_loadcnt_dscnt 0x901
	v_mul_f64_e32 v[149:150], v[141:142], v[32:33]
	v_mul_f64_e32 v[32:33], v[143:144], v[32:33]
	scratch_load_b128 v[26:29], off, off offset:368
	s_wait_loadcnt_dscnt 0x900
	v_mul_f64_e32 v[155:156], v[2:3], v[36:37]
	v_mul_f64_e32 v[36:37], v[4:5], v[36:37]
	v_add_f64_e32 v[145:146], v[145:146], v[133:134]
	v_add_f64_e32 v[147:148], v[147:148], v[135:136]
	ds_load_b128 v[133:136], v1 offset:928
	v_fma_f64 v[143:144], v[143:144], v[30:31], v[149:150]
	v_fma_f64 v[141:142], v[141:142], v[30:31], -v[32:33]
	scratch_load_b128 v[30:33], off, off offset:384
	v_add_f64_e32 v[145:146], v[145:146], v[153:154]
	v_add_f64_e32 v[147:148], v[147:148], v[151:152]
	v_fma_f64 v[153:154], v[4:5], v[34:35], v[155:156]
	v_fma_f64 v[155:156], v[2:3], v[34:35], -v[36:37]
	ds_load_b128 v[2:5], v1 offset:944
	s_wait_loadcnt_dscnt 0x801
	v_mul_f64_e32 v[149:150], v[133:134], v[139:140]
	v_mul_f64_e32 v[151:152], v[135:136], v[139:140]
	scratch_load_b128 v[34:37], off, off offset:400
	v_add_f64_e32 v[145:146], v[145:146], v[141:142]
	v_add_f64_e32 v[143:144], v[147:148], v[143:144]
	ds_load_b128 v[139:142], v1 offset:960
	v_fma_f64 v[149:150], v[135:136], v[137:138], v[149:150]
	v_fma_f64 v[137:138], v[133:134], v[137:138], -v[151:152]
	scratch_load_b128 v[133:136], off, off offset:416
	s_wait_loadcnt_dscnt 0x901
	v_mul_f64_e32 v[147:148], v[2:3], v[40:41]
	v_mul_f64_e32 v[40:41], v[4:5], v[40:41]
	v_add_f64_e32 v[145:146], v[145:146], v[155:156]
	v_add_f64_e32 v[143:144], v[143:144], v[153:154]
	s_delay_alu instid0(VALU_DEP_4) | instskip(NEXT) | instid1(VALU_DEP_4)
	v_fma_f64 v[147:148], v[4:5], v[38:39], v[147:148]
	v_fma_f64 v[153:154], v[2:3], v[38:39], -v[40:41]
	ds_load_b128 v[2:5], v1 offset:976
	s_wait_loadcnt_dscnt 0x801
	v_mul_f64_e32 v[151:152], v[139:140], v[8:9]
	v_mul_f64_e32 v[8:9], v[141:142], v[8:9]
	scratch_load_b128 v[38:41], off, off offset:432
	s_wait_loadcnt_dscnt 0x800
	v_mul_f64_e32 v[155:156], v[2:3], v[12:13]
	v_add_f64_e32 v[137:138], v[145:146], v[137:138]
	v_add_f64_e32 v[149:150], v[143:144], v[149:150]
	v_mul_f64_e32 v[12:13], v[4:5], v[12:13]
	ds_load_b128 v[143:146], v1 offset:992
	v_fma_f64 v[141:142], v[141:142], v[6:7], v[151:152]
	v_fma_f64 v[139:140], v[139:140], v[6:7], -v[8:9]
	scratch_load_b128 v[6:9], off, off offset:448
	v_fma_f64 v[151:152], v[4:5], v[10:11], v[155:156]
	v_add_f64_e32 v[137:138], v[137:138], v[153:154]
	v_add_f64_e32 v[147:148], v[149:150], v[147:148]
	v_fma_f64 v[153:154], v[2:3], v[10:11], -v[12:13]
	ds_load_b128 v[2:5], v1 offset:1008
	s_wait_loadcnt_dscnt 0x801
	v_mul_f64_e32 v[149:150], v[143:144], v[16:17]
	v_mul_f64_e32 v[16:17], v[145:146], v[16:17]
	scratch_load_b128 v[10:13], off, off offset:464
	v_add_f64_e32 v[155:156], v[137:138], v[139:140]
	v_add_f64_e32 v[141:142], v[147:148], v[141:142]
	s_wait_loadcnt_dscnt 0x800
	v_mul_f64_e32 v[147:148], v[2:3], v[20:21]
	v_mul_f64_e32 v[20:21], v[4:5], v[20:21]
	v_fma_f64 v[145:146], v[145:146], v[14:15], v[149:150]
	v_fma_f64 v[143:144], v[143:144], v[14:15], -v[16:17]
	ds_load_b128 v[137:140], v1 offset:1024
	scratch_load_b128 v[14:17], off, off offset:480
	v_add_f64_e32 v[149:150], v[155:156], v[153:154]
	v_add_f64_e32 v[141:142], v[141:142], v[151:152]
	v_fma_f64 v[147:148], v[4:5], v[18:19], v[147:148]
	v_fma_f64 v[153:154], v[2:3], v[18:19], -v[20:21]
	ds_load_b128 v[2:5], v1 offset:1040
	s_wait_loadcnt_dscnt 0x801
	v_mul_f64_e32 v[151:152], v[137:138], v[24:25]
	v_mul_f64_e32 v[24:25], v[139:140], v[24:25]
	scratch_load_b128 v[18:21], off, off offset:496
	s_wait_loadcnt_dscnt 0x800
	v_mul_f64_e32 v[155:156], v[2:3], v[28:29]
	v_mul_f64_e32 v[28:29], v[4:5], v[28:29]
	v_add_f64_e32 v[149:150], v[149:150], v[143:144]
	v_add_f64_e32 v[145:146], v[141:142], v[145:146]
	ds_load_b128 v[141:144], v1 offset:1056
	v_fma_f64 v[139:140], v[139:140], v[22:23], v[151:152]
	v_fma_f64 v[137:138], v[137:138], v[22:23], -v[24:25]
	scratch_load_b128 v[22:25], off, off offset:512
	v_fma_f64 v[151:152], v[4:5], v[26:27], v[155:156]
	v_add_f64_e32 v[149:150], v[149:150], v[153:154]
	v_add_f64_e32 v[145:146], v[145:146], v[147:148]
	v_fma_f64 v[153:154], v[2:3], v[26:27], -v[28:29]
	ds_load_b128 v[2:5], v1 offset:1072
	s_wait_loadcnt_dscnt 0x801
	v_mul_f64_e32 v[147:148], v[141:142], v[32:33]
	v_mul_f64_e32 v[32:33], v[143:144], v[32:33]
	scratch_load_b128 v[26:29], off, off offset:528
	s_wait_loadcnt_dscnt 0x800
	v_mul_f64_e32 v[155:156], v[2:3], v[36:37]
	v_mul_f64_e32 v[36:37], v[4:5], v[36:37]
	v_add_f64_e32 v[149:150], v[149:150], v[137:138]
	v_add_f64_e32 v[145:146], v[145:146], v[139:140]
	ds_load_b128 v[137:140], v1 offset:1088
	v_fma_f64 v[143:144], v[143:144], v[30:31], v[147:148]
	v_fma_f64 v[141:142], v[141:142], v[30:31], -v[32:33]
	scratch_load_b128 v[30:33], off, off offset:544
	v_add_f64_e32 v[147:148], v[149:150], v[153:154]
	v_add_f64_e32 v[145:146], v[145:146], v[151:152]
	v_fma_f64 v[151:152], v[4:5], v[34:35], v[155:156]
	v_fma_f64 v[153:154], v[2:3], v[34:35], -v[36:37]
	ds_load_b128 v[2:5], v1 offset:1104
	s_wait_loadcnt_dscnt 0x801
	v_mul_f64_e32 v[149:150], v[137:138], v[135:136]
	v_mul_f64_e32 v[135:136], v[139:140], v[135:136]
	scratch_load_b128 v[34:37], off, off offset:560
	s_wait_loadcnt_dscnt 0x800
	v_mul_f64_e32 v[155:156], v[2:3], v[40:41]
	v_mul_f64_e32 v[40:41], v[4:5], v[40:41]
	v_add_f64_e32 v[147:148], v[147:148], v[141:142]
	v_add_f64_e32 v[145:146], v[145:146], v[143:144]
	ds_load_b128 v[141:144], v1 offset:1120
	v_fma_f64 v[139:140], v[139:140], v[133:134], v[149:150]
	v_fma_f64 v[137:138], v[137:138], v[133:134], -v[135:136]
	scratch_load_b128 v[133:136], off, off offset:576
	v_add_f64_e32 v[147:148], v[147:148], v[153:154]
	v_add_f64_e32 v[145:146], v[145:146], v[151:152]
	v_fma_f64 v[151:152], v[4:5], v[38:39], v[155:156]
	;; [unrolled: 18-line block ×5, first 2 shown]
	v_fma_f64 v[153:154], v[2:3], v[26:27], -v[28:29]
	ds_load_b128 v[2:5], v1 offset:1232
	s_wait_loadcnt_dscnt 0x801
	v_mul_f64_e32 v[149:150], v[137:138], v[32:33]
	v_mul_f64_e32 v[32:33], v[139:140], v[32:33]
	scratch_load_b128 v[26:29], off, off offset:688
	s_wait_loadcnt_dscnt 0x800
	v_mul_f64_e32 v[155:156], v[2:3], v[36:37]
	v_mul_f64_e32 v[36:37], v[4:5], v[36:37]
	v_add_f64_e32 v[147:148], v[147:148], v[141:142]
	v_add_f64_e32 v[145:146], v[145:146], v[143:144]
	ds_load_b128 v[141:144], v1 offset:1248
	v_fma_f64 v[139:140], v[139:140], v[30:31], v[149:150]
	v_fma_f64 v[30:31], v[137:138], v[30:31], -v[32:33]
	v_add_f64_e32 v[32:33], v[147:148], v[153:154]
	v_add_f64_e32 v[137:138], v[145:146], v[151:152]
	s_wait_loadcnt_dscnt 0x700
	v_mul_f64_e32 v[145:146], v[141:142], v[135:136]
	v_mul_f64_e32 v[135:136], v[143:144], v[135:136]
	v_fma_f64 v[147:148], v[4:5], v[34:35], v[155:156]
	v_fma_f64 v[34:35], v[2:3], v[34:35], -v[36:37]
	v_add_f64_e32 v[36:37], v[32:33], v[30:31]
	v_add_f64_e32 v[137:138], v[137:138], v[139:140]
	ds_load_b128 v[2:5], v1 offset:1264
	ds_load_b128 v[30:33], v1 offset:1280
	v_fma_f64 v[143:144], v[143:144], v[133:134], v[145:146]
	v_fma_f64 v[133:134], v[141:142], v[133:134], -v[135:136]
	s_wait_loadcnt_dscnt 0x601
	v_mul_f64_e32 v[139:140], v[2:3], v[40:41]
	v_mul_f64_e32 v[40:41], v[4:5], v[40:41]
	s_wait_loadcnt_dscnt 0x500
	v_mul_f64_e32 v[135:136], v[30:31], v[8:9]
	v_mul_f64_e32 v[8:9], v[32:33], v[8:9]
	v_add_f64_e32 v[34:35], v[36:37], v[34:35]
	v_add_f64_e32 v[36:37], v[137:138], v[147:148]
	v_fma_f64 v[137:138], v[4:5], v[38:39], v[139:140]
	v_fma_f64 v[38:39], v[2:3], v[38:39], -v[40:41]
	v_fma_f64 v[32:33], v[32:33], v[6:7], v[135:136]
	v_fma_f64 v[6:7], v[30:31], v[6:7], -v[8:9]
	v_add_f64_e32 v[40:41], v[34:35], v[133:134]
	v_add_f64_e32 v[133:134], v[36:37], v[143:144]
	ds_load_b128 v[2:5], v1 offset:1296
	ds_load_b128 v[34:37], v1 offset:1312
	s_wait_loadcnt_dscnt 0x401
	v_mul_f64_e32 v[139:140], v[2:3], v[12:13]
	v_mul_f64_e32 v[12:13], v[4:5], v[12:13]
	v_add_f64_e32 v[8:9], v[40:41], v[38:39]
	v_add_f64_e32 v[30:31], v[133:134], v[137:138]
	s_wait_loadcnt_dscnt 0x300
	v_mul_f64_e32 v[38:39], v[34:35], v[16:17]
	v_mul_f64_e32 v[16:17], v[36:37], v[16:17]
	v_fma_f64 v[40:41], v[4:5], v[10:11], v[139:140]
	v_fma_f64 v[10:11], v[2:3], v[10:11], -v[12:13]
	v_add_f64_e32 v[12:13], v[8:9], v[6:7]
	v_add_f64_e32 v[30:31], v[30:31], v[32:33]
	ds_load_b128 v[2:5], v1 offset:1328
	ds_load_b128 v[6:9], v1 offset:1344
	v_fma_f64 v[36:37], v[36:37], v[14:15], v[38:39]
	v_fma_f64 v[14:15], v[34:35], v[14:15], -v[16:17]
	s_wait_loadcnt_dscnt 0x201
	v_mul_f64_e32 v[32:33], v[2:3], v[20:21]
	v_mul_f64_e32 v[20:21], v[4:5], v[20:21]
	s_wait_loadcnt_dscnt 0x100
	v_mul_f64_e32 v[16:17], v[6:7], v[24:25]
	v_mul_f64_e32 v[24:25], v[8:9], v[24:25]
	v_add_f64_e32 v[10:11], v[12:13], v[10:11]
	v_add_f64_e32 v[12:13], v[30:31], v[40:41]
	v_fma_f64 v[30:31], v[4:5], v[18:19], v[32:33]
	v_fma_f64 v[18:19], v[2:3], v[18:19], -v[20:21]
	ds_load_b128 v[2:5], v1 offset:1360
	v_fma_f64 v[8:9], v[8:9], v[22:23], v[16:17]
	v_fma_f64 v[6:7], v[6:7], v[22:23], -v[24:25]
	v_add_f64_e32 v[10:11], v[10:11], v[14:15]
	v_add_f64_e32 v[12:13], v[12:13], v[36:37]
	s_wait_loadcnt_dscnt 0x0
	v_mul_f64_e32 v[14:15], v[2:3], v[28:29]
	v_mul_f64_e32 v[20:21], v[4:5], v[28:29]
	s_delay_alu instid0(VALU_DEP_4) | instskip(NEXT) | instid1(VALU_DEP_4)
	v_add_f64_e32 v[10:11], v[10:11], v[18:19]
	v_add_f64_e32 v[12:13], v[12:13], v[30:31]
	s_delay_alu instid0(VALU_DEP_4) | instskip(NEXT) | instid1(VALU_DEP_4)
	v_fma_f64 v[4:5], v[4:5], v[26:27], v[14:15]
	v_fma_f64 v[2:3], v[2:3], v[26:27], -v[20:21]
	s_delay_alu instid0(VALU_DEP_4) | instskip(NEXT) | instid1(VALU_DEP_4)
	v_add_f64_e32 v[6:7], v[10:11], v[6:7]
	v_add_f64_e32 v[8:9], v[12:13], v[8:9]
	s_delay_alu instid0(VALU_DEP_2) | instskip(NEXT) | instid1(VALU_DEP_2)
	v_add_f64_e32 v[2:3], v[6:7], v[2:3]
	v_add_f64_e32 v[4:5], v[8:9], v[4:5]
	s_delay_alu instid0(VALU_DEP_2) | instskip(NEXT) | instid1(VALU_DEP_2)
	v_add_f64_e64 v[2:3], v[42:43], -v[2:3]
	v_add_f64_e64 v[4:5], v[44:45], -v[4:5]
	scratch_store_b128 off, v[2:5], off offset:96
	v_cmpx_lt_u32_e32 4, v0
	s_cbranch_execz .LBB106_263
; %bb.262:
	scratch_load_b128 v[5:8], off, s4
	v_dual_mov_b32 v2, v1 :: v_dual_mov_b32 v3, v1
	v_mov_b32_e32 v4, v1
	scratch_store_b128 off, v[1:4], off offset:80
	s_wait_loadcnt 0x0
	ds_store_b128 v132, v[5:8]
.LBB106_263:
	s_wait_alu 0xfffe
	s_or_b32 exec_lo, exec_lo, s0
	s_wait_storecnt_dscnt 0x0
	s_barrier_signal -1
	s_barrier_wait -1
	global_inv scope:SCOPE_SE
	s_clause 0x8
	scratch_load_b128 v[2:5], off, off offset:96
	scratch_load_b128 v[6:9], off, off offset:112
	;; [unrolled: 1-line block ×9, first 2 shown]
	ds_load_b128 v[42:45], v1 offset:768
	ds_load_b128 v[38:41], v1 offset:784
	s_clause 0x1
	scratch_load_b128 v[133:136], off, off offset:80
	scratch_load_b128 v[137:140], off, off offset:240
	s_mov_b32 s0, exec_lo
	s_wait_loadcnt_dscnt 0xa01
	v_mul_f64_e32 v[141:142], v[44:45], v[4:5]
	v_mul_f64_e32 v[4:5], v[42:43], v[4:5]
	s_wait_loadcnt_dscnt 0x900
	v_mul_f64_e32 v[145:146], v[38:39], v[8:9]
	v_mul_f64_e32 v[8:9], v[40:41], v[8:9]
	s_delay_alu instid0(VALU_DEP_4) | instskip(NEXT) | instid1(VALU_DEP_4)
	v_fma_f64 v[147:148], v[42:43], v[2:3], -v[141:142]
	v_fma_f64 v[149:150], v[44:45], v[2:3], v[4:5]
	ds_load_b128 v[2:5], v1 offset:800
	ds_load_b128 v[141:144], v1 offset:816
	scratch_load_b128 v[42:45], off, off offset:256
	v_fma_f64 v[40:41], v[40:41], v[6:7], v[145:146]
	v_fma_f64 v[38:39], v[38:39], v[6:7], -v[8:9]
	scratch_load_b128 v[6:9], off, off offset:272
	s_wait_loadcnt_dscnt 0xa01
	v_mul_f64_e32 v[151:152], v[2:3], v[12:13]
	v_mul_f64_e32 v[12:13], v[4:5], v[12:13]
	v_add_f64_e32 v[145:146], 0, v[147:148]
	v_add_f64_e32 v[147:148], 0, v[149:150]
	s_wait_loadcnt_dscnt 0x900
	v_mul_f64_e32 v[149:150], v[141:142], v[16:17]
	v_mul_f64_e32 v[16:17], v[143:144], v[16:17]
	v_fma_f64 v[151:152], v[4:5], v[10:11], v[151:152]
	v_fma_f64 v[153:154], v[2:3], v[10:11], -v[12:13]
	ds_load_b128 v[2:5], v1 offset:832
	scratch_load_b128 v[10:13], off, off offset:288
	v_add_f64_e32 v[145:146], v[145:146], v[38:39]
	v_add_f64_e32 v[147:148], v[147:148], v[40:41]
	ds_load_b128 v[38:41], v1 offset:848
	v_fma_f64 v[143:144], v[143:144], v[14:15], v[149:150]
	v_fma_f64 v[141:142], v[141:142], v[14:15], -v[16:17]
	scratch_load_b128 v[14:17], off, off offset:304
	s_wait_loadcnt_dscnt 0xa01
	v_mul_f64_e32 v[155:156], v[2:3], v[20:21]
	v_mul_f64_e32 v[20:21], v[4:5], v[20:21]
	s_wait_loadcnt_dscnt 0x900
	v_mul_f64_e32 v[149:150], v[38:39], v[24:25]
	v_mul_f64_e32 v[24:25], v[40:41], v[24:25]
	v_add_f64_e32 v[145:146], v[145:146], v[153:154]
	v_add_f64_e32 v[147:148], v[147:148], v[151:152]
	v_fma_f64 v[151:152], v[4:5], v[18:19], v[155:156]
	v_fma_f64 v[153:154], v[2:3], v[18:19], -v[20:21]
	ds_load_b128 v[2:5], v1 offset:864
	scratch_load_b128 v[18:21], off, off offset:320
	v_fma_f64 v[40:41], v[40:41], v[22:23], v[149:150]
	v_fma_f64 v[38:39], v[38:39], v[22:23], -v[24:25]
	scratch_load_b128 v[22:25], off, off offset:336
	v_add_f64_e32 v[145:146], v[145:146], v[141:142]
	v_add_f64_e32 v[147:148], v[147:148], v[143:144]
	ds_load_b128 v[141:144], v1 offset:880
	s_wait_loadcnt_dscnt 0xa01
	v_mul_f64_e32 v[155:156], v[2:3], v[28:29]
	v_mul_f64_e32 v[28:29], v[4:5], v[28:29]
	s_wait_loadcnt_dscnt 0x900
	v_mul_f64_e32 v[149:150], v[141:142], v[32:33]
	v_mul_f64_e32 v[32:33], v[143:144], v[32:33]
	v_add_f64_e32 v[145:146], v[145:146], v[153:154]
	v_add_f64_e32 v[147:148], v[147:148], v[151:152]
	v_fma_f64 v[151:152], v[4:5], v[26:27], v[155:156]
	v_fma_f64 v[153:154], v[2:3], v[26:27], -v[28:29]
	ds_load_b128 v[2:5], v1 offset:896
	scratch_load_b128 v[26:29], off, off offset:352
	v_fma_f64 v[143:144], v[143:144], v[30:31], v[149:150]
	v_fma_f64 v[141:142], v[141:142], v[30:31], -v[32:33]
	scratch_load_b128 v[30:33], off, off offset:368
	v_add_f64_e32 v[145:146], v[145:146], v[38:39]
	v_add_f64_e32 v[147:148], v[147:148], v[40:41]
	ds_load_b128 v[38:41], v1 offset:912
	s_wait_loadcnt_dscnt 0xa01
	v_mul_f64_e32 v[155:156], v[2:3], v[36:37]
	v_mul_f64_e32 v[36:37], v[4:5], v[36:37]
	s_wait_loadcnt_dscnt 0x800
	v_mul_f64_e32 v[149:150], v[38:39], v[139:140]
	v_add_f64_e32 v[145:146], v[145:146], v[153:154]
	v_add_f64_e32 v[147:148], v[147:148], v[151:152]
	v_mul_f64_e32 v[151:152], v[40:41], v[139:140]
	v_fma_f64 v[153:154], v[4:5], v[34:35], v[155:156]
	v_fma_f64 v[155:156], v[2:3], v[34:35], -v[36:37]
	ds_load_b128 v[2:5], v1 offset:928
	scratch_load_b128 v[34:37], off, off offset:384
	v_fma_f64 v[149:150], v[40:41], v[137:138], v[149:150]
	v_add_f64_e32 v[145:146], v[145:146], v[141:142]
	v_add_f64_e32 v[143:144], v[147:148], v[143:144]
	ds_load_b128 v[139:142], v1 offset:944
	v_fma_f64 v[137:138], v[38:39], v[137:138], -v[151:152]
	scratch_load_b128 v[38:41], off, off offset:400
	s_wait_loadcnt_dscnt 0x901
	v_mul_f64_e32 v[147:148], v[2:3], v[44:45]
	v_mul_f64_e32 v[44:45], v[4:5], v[44:45]
	s_wait_loadcnt_dscnt 0x800
	v_mul_f64_e32 v[151:152], v[139:140], v[8:9]
	v_mul_f64_e32 v[8:9], v[141:142], v[8:9]
	v_add_f64_e32 v[145:146], v[145:146], v[155:156]
	v_add_f64_e32 v[143:144], v[143:144], v[153:154]
	v_fma_f64 v[147:148], v[4:5], v[42:43], v[147:148]
	v_fma_f64 v[153:154], v[2:3], v[42:43], -v[44:45]
	ds_load_b128 v[2:5], v1 offset:960
	scratch_load_b128 v[42:45], off, off offset:416
	v_fma_f64 v[141:142], v[141:142], v[6:7], v[151:152]
	v_fma_f64 v[139:140], v[139:140], v[6:7], -v[8:9]
	scratch_load_b128 v[6:9], off, off offset:432
	v_add_f64_e32 v[137:138], v[145:146], v[137:138]
	v_add_f64_e32 v[149:150], v[143:144], v[149:150]
	ds_load_b128 v[143:146], v1 offset:976
	s_wait_loadcnt_dscnt 0x901
	v_mul_f64_e32 v[155:156], v[2:3], v[12:13]
	v_mul_f64_e32 v[12:13], v[4:5], v[12:13]
	v_add_f64_e32 v[137:138], v[137:138], v[153:154]
	v_add_f64_e32 v[147:148], v[149:150], v[147:148]
	s_wait_loadcnt_dscnt 0x800
	v_mul_f64_e32 v[149:150], v[143:144], v[16:17]
	v_mul_f64_e32 v[16:17], v[145:146], v[16:17]
	v_fma_f64 v[151:152], v[4:5], v[10:11], v[155:156]
	v_fma_f64 v[153:154], v[2:3], v[10:11], -v[12:13]
	ds_load_b128 v[2:5], v1 offset:992
	scratch_load_b128 v[10:13], off, off offset:448
	v_add_f64_e32 v[155:156], v[137:138], v[139:140]
	v_add_f64_e32 v[141:142], v[147:148], v[141:142]
	ds_load_b128 v[137:140], v1 offset:1008
	s_wait_loadcnt_dscnt 0x801
	v_mul_f64_e32 v[147:148], v[2:3], v[20:21]
	v_mul_f64_e32 v[20:21], v[4:5], v[20:21]
	v_fma_f64 v[145:146], v[145:146], v[14:15], v[149:150]
	v_fma_f64 v[143:144], v[143:144], v[14:15], -v[16:17]
	scratch_load_b128 v[14:17], off, off offset:464
	v_add_f64_e32 v[149:150], v[155:156], v[153:154]
	v_add_f64_e32 v[141:142], v[141:142], v[151:152]
	s_wait_loadcnt_dscnt 0x800
	v_mul_f64_e32 v[151:152], v[137:138], v[24:25]
	v_mul_f64_e32 v[24:25], v[139:140], v[24:25]
	v_fma_f64 v[147:148], v[4:5], v[18:19], v[147:148]
	v_fma_f64 v[153:154], v[2:3], v[18:19], -v[20:21]
	ds_load_b128 v[2:5], v1 offset:1024
	scratch_load_b128 v[18:21], off, off offset:480
	v_add_f64_e32 v[149:150], v[149:150], v[143:144]
	v_add_f64_e32 v[145:146], v[141:142], v[145:146]
	ds_load_b128 v[141:144], v1 offset:1040
	s_wait_loadcnt_dscnt 0x801
	v_mul_f64_e32 v[155:156], v[2:3], v[28:29]
	v_mul_f64_e32 v[28:29], v[4:5], v[28:29]
	v_fma_f64 v[139:140], v[139:140], v[22:23], v[151:152]
	v_fma_f64 v[137:138], v[137:138], v[22:23], -v[24:25]
	scratch_load_b128 v[22:25], off, off offset:496
	;; [unrolled: 18-line block ×4, first 2 shown]
	s_wait_loadcnt_dscnt 0x800
	v_mul_f64_e32 v[149:150], v[141:142], v[8:9]
	v_mul_f64_e32 v[8:9], v[143:144], v[8:9]
	v_add_f64_e32 v[147:148], v[147:148], v[153:154]
	v_add_f64_e32 v[145:146], v[145:146], v[151:152]
	v_fma_f64 v[151:152], v[4:5], v[42:43], v[155:156]
	v_fma_f64 v[153:154], v[2:3], v[42:43], -v[44:45]
	ds_load_b128 v[2:5], v1 offset:1120
	scratch_load_b128 v[42:45], off, off offset:576
	v_fma_f64 v[143:144], v[143:144], v[6:7], v[149:150]
	v_fma_f64 v[141:142], v[141:142], v[6:7], -v[8:9]
	scratch_load_b128 v[6:9], off, off offset:592
	v_add_f64_e32 v[147:148], v[147:148], v[137:138]
	v_add_f64_e32 v[145:146], v[145:146], v[139:140]
	ds_load_b128 v[137:140], v1 offset:1136
	s_wait_loadcnt_dscnt 0x901
	v_mul_f64_e32 v[155:156], v[2:3], v[12:13]
	v_mul_f64_e32 v[12:13], v[4:5], v[12:13]
	s_wait_loadcnt_dscnt 0x800
	v_mul_f64_e32 v[149:150], v[137:138], v[16:17]
	v_mul_f64_e32 v[16:17], v[139:140], v[16:17]
	v_add_f64_e32 v[147:148], v[147:148], v[153:154]
	v_add_f64_e32 v[145:146], v[145:146], v[151:152]
	v_fma_f64 v[151:152], v[4:5], v[10:11], v[155:156]
	v_fma_f64 v[153:154], v[2:3], v[10:11], -v[12:13]
	ds_load_b128 v[2:5], v1 offset:1152
	scratch_load_b128 v[10:13], off, off offset:608
	v_fma_f64 v[139:140], v[139:140], v[14:15], v[149:150]
	v_fma_f64 v[137:138], v[137:138], v[14:15], -v[16:17]
	scratch_load_b128 v[14:17], off, off offset:624
	v_add_f64_e32 v[147:148], v[147:148], v[141:142]
	v_add_f64_e32 v[145:146], v[145:146], v[143:144]
	ds_load_b128 v[141:144], v1 offset:1168
	s_wait_loadcnt_dscnt 0x901
	v_mul_f64_e32 v[155:156], v[2:3], v[20:21]
	v_mul_f64_e32 v[20:21], v[4:5], v[20:21]
	;; [unrolled: 18-line block ×4, first 2 shown]
	s_wait_loadcnt_dscnt 0x800
	v_mul_f64_e32 v[149:150], v[141:142], v[40:41]
	v_mul_f64_e32 v[40:41], v[143:144], v[40:41]
	v_add_f64_e32 v[147:148], v[147:148], v[153:154]
	v_add_f64_e32 v[145:146], v[145:146], v[151:152]
	v_fma_f64 v[151:152], v[4:5], v[34:35], v[155:156]
	v_fma_f64 v[153:154], v[2:3], v[34:35], -v[36:37]
	ds_load_b128 v[2:5], v1 offset:1248
	ds_load_b128 v[34:37], v1 offset:1264
	v_fma_f64 v[143:144], v[143:144], v[38:39], v[149:150]
	v_fma_f64 v[38:39], v[141:142], v[38:39], -v[40:41]
	v_add_f64_e32 v[137:138], v[147:148], v[137:138]
	v_add_f64_e32 v[139:140], v[145:146], v[139:140]
	s_wait_loadcnt_dscnt 0x701
	v_mul_f64_e32 v[145:146], v[2:3], v[44:45]
	v_mul_f64_e32 v[44:45], v[4:5], v[44:45]
	s_delay_alu instid0(VALU_DEP_4) | instskip(NEXT) | instid1(VALU_DEP_4)
	v_add_f64_e32 v[40:41], v[137:138], v[153:154]
	v_add_f64_e32 v[137:138], v[139:140], v[151:152]
	s_wait_loadcnt_dscnt 0x600
	v_mul_f64_e32 v[139:140], v[34:35], v[8:9]
	v_mul_f64_e32 v[8:9], v[36:37], v[8:9]
	v_fma_f64 v[141:142], v[4:5], v[42:43], v[145:146]
	v_fma_f64 v[42:43], v[2:3], v[42:43], -v[44:45]
	v_add_f64_e32 v[44:45], v[40:41], v[38:39]
	v_add_f64_e32 v[137:138], v[137:138], v[143:144]
	ds_load_b128 v[2:5], v1 offset:1280
	ds_load_b128 v[38:41], v1 offset:1296
	v_fma_f64 v[36:37], v[36:37], v[6:7], v[139:140]
	v_fma_f64 v[6:7], v[34:35], v[6:7], -v[8:9]
	s_wait_loadcnt_dscnt 0x501
	v_mul_f64_e32 v[143:144], v[2:3], v[12:13]
	v_mul_f64_e32 v[12:13], v[4:5], v[12:13]
	v_add_f64_e32 v[8:9], v[44:45], v[42:43]
	v_add_f64_e32 v[34:35], v[137:138], v[141:142]
	s_wait_loadcnt_dscnt 0x400
	v_mul_f64_e32 v[42:43], v[38:39], v[16:17]
	v_mul_f64_e32 v[16:17], v[40:41], v[16:17]
	v_fma_f64 v[44:45], v[4:5], v[10:11], v[143:144]
	v_fma_f64 v[10:11], v[2:3], v[10:11], -v[12:13]
	v_add_f64_e32 v[12:13], v[8:9], v[6:7]
	v_add_f64_e32 v[34:35], v[34:35], v[36:37]
	ds_load_b128 v[2:5], v1 offset:1312
	ds_load_b128 v[6:9], v1 offset:1328
	v_fma_f64 v[40:41], v[40:41], v[14:15], v[42:43]
	v_fma_f64 v[14:15], v[38:39], v[14:15], -v[16:17]
	s_wait_loadcnt_dscnt 0x301
	v_mul_f64_e32 v[36:37], v[2:3], v[20:21]
	v_mul_f64_e32 v[20:21], v[4:5], v[20:21]
	s_wait_loadcnt_dscnt 0x200
	v_mul_f64_e32 v[16:17], v[6:7], v[24:25]
	v_mul_f64_e32 v[24:25], v[8:9], v[24:25]
	v_add_f64_e32 v[10:11], v[12:13], v[10:11]
	v_add_f64_e32 v[12:13], v[34:35], v[44:45]
	v_fma_f64 v[34:35], v[4:5], v[18:19], v[36:37]
	v_fma_f64 v[18:19], v[2:3], v[18:19], -v[20:21]
	v_fma_f64 v[8:9], v[8:9], v[22:23], v[16:17]
	v_fma_f64 v[6:7], v[6:7], v[22:23], -v[24:25]
	v_add_f64_e32 v[14:15], v[10:11], v[14:15]
	v_add_f64_e32 v[20:21], v[12:13], v[40:41]
	ds_load_b128 v[2:5], v1 offset:1344
	ds_load_b128 v[10:13], v1 offset:1360
	s_wait_loadcnt_dscnt 0x101
	v_mul_f64_e32 v[36:37], v[2:3], v[28:29]
	v_mul_f64_e32 v[28:29], v[4:5], v[28:29]
	v_add_f64_e32 v[14:15], v[14:15], v[18:19]
	v_add_f64_e32 v[16:17], v[20:21], v[34:35]
	s_wait_loadcnt_dscnt 0x0
	v_mul_f64_e32 v[18:19], v[10:11], v[32:33]
	v_mul_f64_e32 v[20:21], v[12:13], v[32:33]
	v_fma_f64 v[4:5], v[4:5], v[26:27], v[36:37]
	v_fma_f64 v[1:2], v[2:3], v[26:27], -v[28:29]
	v_add_f64_e32 v[6:7], v[14:15], v[6:7]
	v_add_f64_e32 v[8:9], v[16:17], v[8:9]
	v_fma_f64 v[12:13], v[12:13], v[30:31], v[18:19]
	v_fma_f64 v[10:11], v[10:11], v[30:31], -v[20:21]
	s_delay_alu instid0(VALU_DEP_4) | instskip(NEXT) | instid1(VALU_DEP_4)
	v_add_f64_e32 v[1:2], v[6:7], v[1:2]
	v_add_f64_e32 v[3:4], v[8:9], v[4:5]
	s_delay_alu instid0(VALU_DEP_2) | instskip(NEXT) | instid1(VALU_DEP_2)
	v_add_f64_e32 v[1:2], v[1:2], v[10:11]
	v_add_f64_e32 v[3:4], v[3:4], v[12:13]
	s_delay_alu instid0(VALU_DEP_2) | instskip(NEXT) | instid1(VALU_DEP_2)
	v_add_f64_e64 v[1:2], v[133:134], -v[1:2]
	v_add_f64_e64 v[3:4], v[135:136], -v[3:4]
	scratch_store_b128 off, v[1:4], off offset:80
	v_cmpx_lt_u32_e32 3, v0
	s_cbranch_execz .LBB106_265
; %bb.264:
	scratch_load_b128 v[1:4], off, s29
	v_mov_b32_e32 v5, 0
	s_delay_alu instid0(VALU_DEP_1)
	v_dual_mov_b32 v6, v5 :: v_dual_mov_b32 v7, v5
	v_mov_b32_e32 v8, v5
	scratch_store_b128 off, v[5:8], off offset:64
	s_wait_loadcnt 0x0
	ds_store_b128 v132, v[1:4]
.LBB106_265:
	s_wait_alu 0xfffe
	s_or_b32 exec_lo, exec_lo, s0
	s_wait_storecnt_dscnt 0x0
	s_barrier_signal -1
	s_barrier_wait -1
	global_inv scope:SCOPE_SE
	s_clause 0x7
	scratch_load_b128 v[2:5], off, off offset:80
	scratch_load_b128 v[6:9], off, off offset:96
	scratch_load_b128 v[10:13], off, off offset:112
	scratch_load_b128 v[14:17], off, off offset:128
	scratch_load_b128 v[18:21], off, off offset:144
	scratch_load_b128 v[22:25], off, off offset:160
	scratch_load_b128 v[26:29], off, off offset:176
	scratch_load_b128 v[30:33], off, off offset:192
	v_mov_b32_e32 v1, 0
	s_mov_b32 s0, exec_lo
	ds_load_b128 v[38:41], v1 offset:752
	s_clause 0x1
	scratch_load_b128 v[34:37], off, off offset:208
	scratch_load_b128 v[42:45], off, off offset:64
	ds_load_b128 v[133:136], v1 offset:768
	scratch_load_b128 v[137:140], off, off offset:224
	s_wait_loadcnt_dscnt 0xa01
	v_mul_f64_e32 v[141:142], v[40:41], v[4:5]
	v_mul_f64_e32 v[4:5], v[38:39], v[4:5]
	s_delay_alu instid0(VALU_DEP_2) | instskip(NEXT) | instid1(VALU_DEP_2)
	v_fma_f64 v[147:148], v[38:39], v[2:3], -v[141:142]
	v_fma_f64 v[149:150], v[40:41], v[2:3], v[4:5]
	ds_load_b128 v[2:5], v1 offset:784
	s_wait_loadcnt_dscnt 0x901
	v_mul_f64_e32 v[145:146], v[133:134], v[8:9]
	v_mul_f64_e32 v[8:9], v[135:136], v[8:9]
	scratch_load_b128 v[38:41], off, off offset:240
	ds_load_b128 v[141:144], v1 offset:800
	s_wait_loadcnt_dscnt 0x901
	v_mul_f64_e32 v[151:152], v[2:3], v[12:13]
	v_mul_f64_e32 v[12:13], v[4:5], v[12:13]
	v_fma_f64 v[135:136], v[135:136], v[6:7], v[145:146]
	v_fma_f64 v[133:134], v[133:134], v[6:7], -v[8:9]
	v_add_f64_e32 v[145:146], 0, v[147:148]
	v_add_f64_e32 v[147:148], 0, v[149:150]
	scratch_load_b128 v[6:9], off, off offset:256
	v_fma_f64 v[151:152], v[4:5], v[10:11], v[151:152]
	v_fma_f64 v[153:154], v[2:3], v[10:11], -v[12:13]
	ds_load_b128 v[2:5], v1 offset:816
	s_wait_loadcnt_dscnt 0x901
	v_mul_f64_e32 v[149:150], v[141:142], v[16:17]
	v_mul_f64_e32 v[16:17], v[143:144], v[16:17]
	scratch_load_b128 v[10:13], off, off offset:272
	v_add_f64_e32 v[145:146], v[145:146], v[133:134]
	v_add_f64_e32 v[147:148], v[147:148], v[135:136]
	s_wait_loadcnt_dscnt 0x900
	v_mul_f64_e32 v[155:156], v[2:3], v[20:21]
	v_mul_f64_e32 v[20:21], v[4:5], v[20:21]
	ds_load_b128 v[133:136], v1 offset:832
	v_fma_f64 v[143:144], v[143:144], v[14:15], v[149:150]
	v_fma_f64 v[141:142], v[141:142], v[14:15], -v[16:17]
	scratch_load_b128 v[14:17], off, off offset:288
	v_add_f64_e32 v[145:146], v[145:146], v[153:154]
	v_add_f64_e32 v[147:148], v[147:148], v[151:152]
	v_fma_f64 v[151:152], v[4:5], v[18:19], v[155:156]
	v_fma_f64 v[153:154], v[2:3], v[18:19], -v[20:21]
	ds_load_b128 v[2:5], v1 offset:848
	s_wait_loadcnt_dscnt 0x901
	v_mul_f64_e32 v[149:150], v[133:134], v[24:25]
	v_mul_f64_e32 v[24:25], v[135:136], v[24:25]
	scratch_load_b128 v[18:21], off, off offset:304
	s_wait_loadcnt_dscnt 0x900
	v_mul_f64_e32 v[155:156], v[2:3], v[28:29]
	v_mul_f64_e32 v[28:29], v[4:5], v[28:29]
	v_add_f64_e32 v[145:146], v[145:146], v[141:142]
	v_add_f64_e32 v[147:148], v[147:148], v[143:144]
	ds_load_b128 v[141:144], v1 offset:864
	v_fma_f64 v[135:136], v[135:136], v[22:23], v[149:150]
	v_fma_f64 v[133:134], v[133:134], v[22:23], -v[24:25]
	scratch_load_b128 v[22:25], off, off offset:320
	v_add_f64_e32 v[145:146], v[145:146], v[153:154]
	v_add_f64_e32 v[147:148], v[147:148], v[151:152]
	v_fma_f64 v[151:152], v[4:5], v[26:27], v[155:156]
	v_fma_f64 v[153:154], v[2:3], v[26:27], -v[28:29]
	ds_load_b128 v[2:5], v1 offset:880
	s_wait_loadcnt_dscnt 0x901
	v_mul_f64_e32 v[149:150], v[141:142], v[32:33]
	v_mul_f64_e32 v[32:33], v[143:144], v[32:33]
	scratch_load_b128 v[26:29], off, off offset:336
	s_wait_loadcnt_dscnt 0x900
	v_mul_f64_e32 v[155:156], v[2:3], v[36:37]
	v_mul_f64_e32 v[36:37], v[4:5], v[36:37]
	v_add_f64_e32 v[145:146], v[145:146], v[133:134]
	v_add_f64_e32 v[147:148], v[147:148], v[135:136]
	ds_load_b128 v[133:136], v1 offset:896
	v_fma_f64 v[143:144], v[143:144], v[30:31], v[149:150]
	v_fma_f64 v[141:142], v[141:142], v[30:31], -v[32:33]
	scratch_load_b128 v[30:33], off, off offset:352
	v_add_f64_e32 v[145:146], v[145:146], v[153:154]
	v_add_f64_e32 v[147:148], v[147:148], v[151:152]
	v_fma_f64 v[153:154], v[4:5], v[34:35], v[155:156]
	v_fma_f64 v[155:156], v[2:3], v[34:35], -v[36:37]
	ds_load_b128 v[2:5], v1 offset:912
	s_wait_loadcnt_dscnt 0x801
	v_mul_f64_e32 v[149:150], v[133:134], v[139:140]
	v_mul_f64_e32 v[151:152], v[135:136], v[139:140]
	scratch_load_b128 v[34:37], off, off offset:368
	v_add_f64_e32 v[145:146], v[145:146], v[141:142]
	v_add_f64_e32 v[143:144], v[147:148], v[143:144]
	ds_load_b128 v[139:142], v1 offset:928
	v_fma_f64 v[149:150], v[135:136], v[137:138], v[149:150]
	v_fma_f64 v[137:138], v[133:134], v[137:138], -v[151:152]
	scratch_load_b128 v[133:136], off, off offset:384
	s_wait_loadcnt_dscnt 0x901
	v_mul_f64_e32 v[147:148], v[2:3], v[40:41]
	v_mul_f64_e32 v[40:41], v[4:5], v[40:41]
	v_add_f64_e32 v[145:146], v[145:146], v[155:156]
	v_add_f64_e32 v[143:144], v[143:144], v[153:154]
	s_delay_alu instid0(VALU_DEP_4) | instskip(NEXT) | instid1(VALU_DEP_4)
	v_fma_f64 v[147:148], v[4:5], v[38:39], v[147:148]
	v_fma_f64 v[153:154], v[2:3], v[38:39], -v[40:41]
	ds_load_b128 v[2:5], v1 offset:944
	s_wait_loadcnt_dscnt 0x801
	v_mul_f64_e32 v[151:152], v[139:140], v[8:9]
	v_mul_f64_e32 v[8:9], v[141:142], v[8:9]
	scratch_load_b128 v[38:41], off, off offset:400
	s_wait_loadcnt_dscnt 0x800
	v_mul_f64_e32 v[155:156], v[2:3], v[12:13]
	v_add_f64_e32 v[137:138], v[145:146], v[137:138]
	v_add_f64_e32 v[149:150], v[143:144], v[149:150]
	v_mul_f64_e32 v[12:13], v[4:5], v[12:13]
	ds_load_b128 v[143:146], v1 offset:960
	v_fma_f64 v[141:142], v[141:142], v[6:7], v[151:152]
	v_fma_f64 v[139:140], v[139:140], v[6:7], -v[8:9]
	scratch_load_b128 v[6:9], off, off offset:416
	v_fma_f64 v[151:152], v[4:5], v[10:11], v[155:156]
	v_add_f64_e32 v[137:138], v[137:138], v[153:154]
	v_add_f64_e32 v[147:148], v[149:150], v[147:148]
	v_fma_f64 v[153:154], v[2:3], v[10:11], -v[12:13]
	ds_load_b128 v[2:5], v1 offset:976
	s_wait_loadcnt_dscnt 0x801
	v_mul_f64_e32 v[149:150], v[143:144], v[16:17]
	v_mul_f64_e32 v[16:17], v[145:146], v[16:17]
	scratch_load_b128 v[10:13], off, off offset:432
	v_add_f64_e32 v[155:156], v[137:138], v[139:140]
	v_add_f64_e32 v[141:142], v[147:148], v[141:142]
	s_wait_loadcnt_dscnt 0x800
	v_mul_f64_e32 v[147:148], v[2:3], v[20:21]
	v_mul_f64_e32 v[20:21], v[4:5], v[20:21]
	v_fma_f64 v[145:146], v[145:146], v[14:15], v[149:150]
	v_fma_f64 v[143:144], v[143:144], v[14:15], -v[16:17]
	ds_load_b128 v[137:140], v1 offset:992
	scratch_load_b128 v[14:17], off, off offset:448
	v_add_f64_e32 v[149:150], v[155:156], v[153:154]
	v_add_f64_e32 v[141:142], v[141:142], v[151:152]
	v_fma_f64 v[147:148], v[4:5], v[18:19], v[147:148]
	v_fma_f64 v[153:154], v[2:3], v[18:19], -v[20:21]
	ds_load_b128 v[2:5], v1 offset:1008
	s_wait_loadcnt_dscnt 0x801
	v_mul_f64_e32 v[151:152], v[137:138], v[24:25]
	v_mul_f64_e32 v[24:25], v[139:140], v[24:25]
	scratch_load_b128 v[18:21], off, off offset:464
	s_wait_loadcnt_dscnt 0x800
	v_mul_f64_e32 v[155:156], v[2:3], v[28:29]
	v_mul_f64_e32 v[28:29], v[4:5], v[28:29]
	v_add_f64_e32 v[149:150], v[149:150], v[143:144]
	v_add_f64_e32 v[145:146], v[141:142], v[145:146]
	ds_load_b128 v[141:144], v1 offset:1024
	v_fma_f64 v[139:140], v[139:140], v[22:23], v[151:152]
	v_fma_f64 v[137:138], v[137:138], v[22:23], -v[24:25]
	scratch_load_b128 v[22:25], off, off offset:480
	v_fma_f64 v[151:152], v[4:5], v[26:27], v[155:156]
	v_add_f64_e32 v[149:150], v[149:150], v[153:154]
	v_add_f64_e32 v[145:146], v[145:146], v[147:148]
	v_fma_f64 v[153:154], v[2:3], v[26:27], -v[28:29]
	ds_load_b128 v[2:5], v1 offset:1040
	s_wait_loadcnt_dscnt 0x801
	v_mul_f64_e32 v[147:148], v[141:142], v[32:33]
	v_mul_f64_e32 v[32:33], v[143:144], v[32:33]
	scratch_load_b128 v[26:29], off, off offset:496
	s_wait_loadcnt_dscnt 0x800
	v_mul_f64_e32 v[155:156], v[2:3], v[36:37]
	v_mul_f64_e32 v[36:37], v[4:5], v[36:37]
	v_add_f64_e32 v[149:150], v[149:150], v[137:138]
	v_add_f64_e32 v[145:146], v[145:146], v[139:140]
	ds_load_b128 v[137:140], v1 offset:1056
	v_fma_f64 v[143:144], v[143:144], v[30:31], v[147:148]
	v_fma_f64 v[141:142], v[141:142], v[30:31], -v[32:33]
	scratch_load_b128 v[30:33], off, off offset:512
	v_add_f64_e32 v[147:148], v[149:150], v[153:154]
	v_add_f64_e32 v[145:146], v[145:146], v[151:152]
	v_fma_f64 v[151:152], v[4:5], v[34:35], v[155:156]
	v_fma_f64 v[153:154], v[2:3], v[34:35], -v[36:37]
	ds_load_b128 v[2:5], v1 offset:1072
	s_wait_loadcnt_dscnt 0x801
	v_mul_f64_e32 v[149:150], v[137:138], v[135:136]
	v_mul_f64_e32 v[135:136], v[139:140], v[135:136]
	scratch_load_b128 v[34:37], off, off offset:528
	s_wait_loadcnt_dscnt 0x800
	v_mul_f64_e32 v[155:156], v[2:3], v[40:41]
	v_mul_f64_e32 v[40:41], v[4:5], v[40:41]
	v_add_f64_e32 v[147:148], v[147:148], v[141:142]
	v_add_f64_e32 v[145:146], v[145:146], v[143:144]
	ds_load_b128 v[141:144], v1 offset:1088
	v_fma_f64 v[139:140], v[139:140], v[133:134], v[149:150]
	v_fma_f64 v[137:138], v[137:138], v[133:134], -v[135:136]
	scratch_load_b128 v[133:136], off, off offset:544
	v_add_f64_e32 v[147:148], v[147:148], v[153:154]
	v_add_f64_e32 v[145:146], v[145:146], v[151:152]
	v_fma_f64 v[151:152], v[4:5], v[38:39], v[155:156]
	;; [unrolled: 18-line block ×6, first 2 shown]
	v_fma_f64 v[155:156], v[2:3], v[34:35], -v[36:37]
	ds_load_b128 v[2:5], v1 offset:1232
	s_wait_loadcnt_dscnt 0x801
	v_mul_f64_e32 v[149:150], v[141:142], v[135:136]
	v_mul_f64_e32 v[151:152], v[143:144], v[135:136]
	scratch_load_b128 v[34:37], off, off offset:688
	v_add_f64_e32 v[147:148], v[147:148], v[137:138]
	v_add_f64_e32 v[139:140], v[145:146], v[139:140]
	s_wait_loadcnt_dscnt 0x800
	v_mul_f64_e32 v[145:146], v[2:3], v[40:41]
	v_mul_f64_e32 v[40:41], v[4:5], v[40:41]
	ds_load_b128 v[135:138], v1 offset:1248
	v_fma_f64 v[143:144], v[143:144], v[133:134], v[149:150]
	v_fma_f64 v[133:134], v[141:142], v[133:134], -v[151:152]
	v_add_f64_e32 v[141:142], v[147:148], v[155:156]
	v_add_f64_e32 v[139:140], v[139:140], v[153:154]
	s_wait_loadcnt_dscnt 0x700
	v_mul_f64_e32 v[147:148], v[135:136], v[8:9]
	v_mul_f64_e32 v[8:9], v[137:138], v[8:9]
	v_fma_f64 v[145:146], v[4:5], v[38:39], v[145:146]
	v_fma_f64 v[149:150], v[2:3], v[38:39], -v[40:41]
	ds_load_b128 v[2:5], v1 offset:1264
	ds_load_b128 v[38:41], v1 offset:1280
	v_add_f64_e32 v[133:134], v[141:142], v[133:134]
	v_add_f64_e32 v[139:140], v[139:140], v[143:144]
	s_wait_loadcnt_dscnt 0x601
	v_mul_f64_e32 v[141:142], v[2:3], v[12:13]
	v_mul_f64_e32 v[12:13], v[4:5], v[12:13]
	v_fma_f64 v[137:138], v[137:138], v[6:7], v[147:148]
	v_fma_f64 v[6:7], v[135:136], v[6:7], -v[8:9]
	s_wait_loadcnt_dscnt 0x500
	v_mul_f64_e32 v[135:136], v[38:39], v[16:17]
	v_mul_f64_e32 v[16:17], v[40:41], v[16:17]
	v_add_f64_e32 v[8:9], v[133:134], v[149:150]
	v_add_f64_e32 v[133:134], v[139:140], v[145:146]
	v_fma_f64 v[139:140], v[4:5], v[10:11], v[141:142]
	v_fma_f64 v[10:11], v[2:3], v[10:11], -v[12:13]
	v_fma_f64 v[40:41], v[40:41], v[14:15], v[135:136]
	v_fma_f64 v[14:15], v[38:39], v[14:15], -v[16:17]
	v_add_f64_e32 v[12:13], v[8:9], v[6:7]
	v_add_f64_e32 v[133:134], v[133:134], v[137:138]
	ds_load_b128 v[2:5], v1 offset:1296
	ds_load_b128 v[6:9], v1 offset:1312
	s_wait_loadcnt_dscnt 0x401
	v_mul_f64_e32 v[137:138], v[2:3], v[20:21]
	v_mul_f64_e32 v[20:21], v[4:5], v[20:21]
	s_wait_loadcnt_dscnt 0x300
	v_mul_f64_e32 v[16:17], v[6:7], v[24:25]
	v_mul_f64_e32 v[24:25], v[8:9], v[24:25]
	v_add_f64_e32 v[10:11], v[12:13], v[10:11]
	v_add_f64_e32 v[12:13], v[133:134], v[139:140]
	v_fma_f64 v[38:39], v[4:5], v[18:19], v[137:138]
	v_fma_f64 v[18:19], v[2:3], v[18:19], -v[20:21]
	v_fma_f64 v[8:9], v[8:9], v[22:23], v[16:17]
	v_fma_f64 v[6:7], v[6:7], v[22:23], -v[24:25]
	v_add_f64_e32 v[14:15], v[10:11], v[14:15]
	v_add_f64_e32 v[20:21], v[12:13], v[40:41]
	ds_load_b128 v[2:5], v1 offset:1328
	ds_load_b128 v[10:13], v1 offset:1344
	s_wait_loadcnt_dscnt 0x201
	v_mul_f64_e32 v[40:41], v[2:3], v[28:29]
	v_mul_f64_e32 v[28:29], v[4:5], v[28:29]
	v_add_f64_e32 v[14:15], v[14:15], v[18:19]
	v_add_f64_e32 v[16:17], v[20:21], v[38:39]
	s_wait_loadcnt_dscnt 0x100
	v_mul_f64_e32 v[18:19], v[10:11], v[32:33]
	v_mul_f64_e32 v[20:21], v[12:13], v[32:33]
	v_fma_f64 v[22:23], v[4:5], v[26:27], v[40:41]
	v_fma_f64 v[24:25], v[2:3], v[26:27], -v[28:29]
	ds_load_b128 v[2:5], v1 offset:1360
	v_add_f64_e32 v[6:7], v[14:15], v[6:7]
	v_add_f64_e32 v[8:9], v[16:17], v[8:9]
	v_fma_f64 v[12:13], v[12:13], v[30:31], v[18:19]
	v_fma_f64 v[10:11], v[10:11], v[30:31], -v[20:21]
	s_wait_loadcnt_dscnt 0x0
	v_mul_f64_e32 v[14:15], v[2:3], v[36:37]
	v_mul_f64_e32 v[16:17], v[4:5], v[36:37]
	v_add_f64_e32 v[6:7], v[6:7], v[24:25]
	v_add_f64_e32 v[8:9], v[8:9], v[22:23]
	s_delay_alu instid0(VALU_DEP_4) | instskip(NEXT) | instid1(VALU_DEP_4)
	v_fma_f64 v[4:5], v[4:5], v[34:35], v[14:15]
	v_fma_f64 v[2:3], v[2:3], v[34:35], -v[16:17]
	s_delay_alu instid0(VALU_DEP_4) | instskip(NEXT) | instid1(VALU_DEP_4)
	v_add_f64_e32 v[6:7], v[6:7], v[10:11]
	v_add_f64_e32 v[8:9], v[8:9], v[12:13]
	s_delay_alu instid0(VALU_DEP_2) | instskip(NEXT) | instid1(VALU_DEP_2)
	v_add_f64_e32 v[2:3], v[6:7], v[2:3]
	v_add_f64_e32 v[4:5], v[8:9], v[4:5]
	s_delay_alu instid0(VALU_DEP_2) | instskip(NEXT) | instid1(VALU_DEP_2)
	v_add_f64_e64 v[2:3], v[42:43], -v[2:3]
	v_add_f64_e64 v[4:5], v[44:45], -v[4:5]
	scratch_store_b128 off, v[2:5], off offset:64
	v_cmpx_lt_u32_e32 2, v0
	s_cbranch_execz .LBB106_267
; %bb.266:
	scratch_load_b128 v[5:8], off, s50
	v_dual_mov_b32 v2, v1 :: v_dual_mov_b32 v3, v1
	v_mov_b32_e32 v4, v1
	scratch_store_b128 off, v[1:4], off offset:48
	s_wait_loadcnt 0x0
	ds_store_b128 v132, v[5:8]
.LBB106_267:
	s_wait_alu 0xfffe
	s_or_b32 exec_lo, exec_lo, s0
	s_wait_storecnt_dscnt 0x0
	s_barrier_signal -1
	s_barrier_wait -1
	global_inv scope:SCOPE_SE
	s_clause 0x8
	scratch_load_b128 v[2:5], off, off offset:64
	scratch_load_b128 v[6:9], off, off offset:80
	;; [unrolled: 1-line block ×9, first 2 shown]
	ds_load_b128 v[42:45], v1 offset:736
	ds_load_b128 v[38:41], v1 offset:752
	s_clause 0x1
	scratch_load_b128 v[133:136], off, off offset:48
	scratch_load_b128 v[137:140], off, off offset:208
	s_mov_b32 s0, exec_lo
	s_wait_loadcnt_dscnt 0xa01
	v_mul_f64_e32 v[141:142], v[44:45], v[4:5]
	v_mul_f64_e32 v[4:5], v[42:43], v[4:5]
	s_wait_loadcnt_dscnt 0x900
	v_mul_f64_e32 v[145:146], v[38:39], v[8:9]
	v_mul_f64_e32 v[8:9], v[40:41], v[8:9]
	s_delay_alu instid0(VALU_DEP_4) | instskip(NEXT) | instid1(VALU_DEP_4)
	v_fma_f64 v[147:148], v[42:43], v[2:3], -v[141:142]
	v_fma_f64 v[149:150], v[44:45], v[2:3], v[4:5]
	ds_load_b128 v[2:5], v1 offset:768
	ds_load_b128 v[141:144], v1 offset:784
	scratch_load_b128 v[42:45], off, off offset:224
	v_fma_f64 v[40:41], v[40:41], v[6:7], v[145:146]
	v_fma_f64 v[38:39], v[38:39], v[6:7], -v[8:9]
	scratch_load_b128 v[6:9], off, off offset:240
	s_wait_loadcnt_dscnt 0xa01
	v_mul_f64_e32 v[151:152], v[2:3], v[12:13]
	v_mul_f64_e32 v[12:13], v[4:5], v[12:13]
	v_add_f64_e32 v[145:146], 0, v[147:148]
	v_add_f64_e32 v[147:148], 0, v[149:150]
	s_wait_loadcnt_dscnt 0x900
	v_mul_f64_e32 v[149:150], v[141:142], v[16:17]
	v_mul_f64_e32 v[16:17], v[143:144], v[16:17]
	v_fma_f64 v[151:152], v[4:5], v[10:11], v[151:152]
	v_fma_f64 v[153:154], v[2:3], v[10:11], -v[12:13]
	ds_load_b128 v[2:5], v1 offset:800
	scratch_load_b128 v[10:13], off, off offset:256
	v_add_f64_e32 v[145:146], v[145:146], v[38:39]
	v_add_f64_e32 v[147:148], v[147:148], v[40:41]
	ds_load_b128 v[38:41], v1 offset:816
	v_fma_f64 v[143:144], v[143:144], v[14:15], v[149:150]
	v_fma_f64 v[141:142], v[141:142], v[14:15], -v[16:17]
	scratch_load_b128 v[14:17], off, off offset:272
	s_wait_loadcnt_dscnt 0xa01
	v_mul_f64_e32 v[155:156], v[2:3], v[20:21]
	v_mul_f64_e32 v[20:21], v[4:5], v[20:21]
	s_wait_loadcnt_dscnt 0x900
	v_mul_f64_e32 v[149:150], v[38:39], v[24:25]
	v_mul_f64_e32 v[24:25], v[40:41], v[24:25]
	v_add_f64_e32 v[145:146], v[145:146], v[153:154]
	v_add_f64_e32 v[147:148], v[147:148], v[151:152]
	v_fma_f64 v[151:152], v[4:5], v[18:19], v[155:156]
	v_fma_f64 v[153:154], v[2:3], v[18:19], -v[20:21]
	ds_load_b128 v[2:5], v1 offset:832
	scratch_load_b128 v[18:21], off, off offset:288
	v_fma_f64 v[40:41], v[40:41], v[22:23], v[149:150]
	v_fma_f64 v[38:39], v[38:39], v[22:23], -v[24:25]
	scratch_load_b128 v[22:25], off, off offset:304
	v_add_f64_e32 v[145:146], v[145:146], v[141:142]
	v_add_f64_e32 v[147:148], v[147:148], v[143:144]
	ds_load_b128 v[141:144], v1 offset:848
	s_wait_loadcnt_dscnt 0xa01
	v_mul_f64_e32 v[155:156], v[2:3], v[28:29]
	v_mul_f64_e32 v[28:29], v[4:5], v[28:29]
	s_wait_loadcnt_dscnt 0x900
	v_mul_f64_e32 v[149:150], v[141:142], v[32:33]
	v_mul_f64_e32 v[32:33], v[143:144], v[32:33]
	v_add_f64_e32 v[145:146], v[145:146], v[153:154]
	v_add_f64_e32 v[147:148], v[147:148], v[151:152]
	v_fma_f64 v[151:152], v[4:5], v[26:27], v[155:156]
	v_fma_f64 v[153:154], v[2:3], v[26:27], -v[28:29]
	ds_load_b128 v[2:5], v1 offset:864
	scratch_load_b128 v[26:29], off, off offset:320
	v_fma_f64 v[143:144], v[143:144], v[30:31], v[149:150]
	v_fma_f64 v[141:142], v[141:142], v[30:31], -v[32:33]
	scratch_load_b128 v[30:33], off, off offset:336
	v_add_f64_e32 v[145:146], v[145:146], v[38:39]
	v_add_f64_e32 v[147:148], v[147:148], v[40:41]
	ds_load_b128 v[38:41], v1 offset:880
	s_wait_loadcnt_dscnt 0xa01
	v_mul_f64_e32 v[155:156], v[2:3], v[36:37]
	v_mul_f64_e32 v[36:37], v[4:5], v[36:37]
	s_wait_loadcnt_dscnt 0x800
	v_mul_f64_e32 v[149:150], v[38:39], v[139:140]
	v_add_f64_e32 v[145:146], v[145:146], v[153:154]
	v_add_f64_e32 v[147:148], v[147:148], v[151:152]
	v_mul_f64_e32 v[151:152], v[40:41], v[139:140]
	v_fma_f64 v[153:154], v[4:5], v[34:35], v[155:156]
	v_fma_f64 v[155:156], v[2:3], v[34:35], -v[36:37]
	ds_load_b128 v[2:5], v1 offset:896
	scratch_load_b128 v[34:37], off, off offset:352
	v_fma_f64 v[149:150], v[40:41], v[137:138], v[149:150]
	v_add_f64_e32 v[145:146], v[145:146], v[141:142]
	v_add_f64_e32 v[143:144], v[147:148], v[143:144]
	ds_load_b128 v[139:142], v1 offset:912
	v_fma_f64 v[137:138], v[38:39], v[137:138], -v[151:152]
	scratch_load_b128 v[38:41], off, off offset:368
	s_wait_loadcnt_dscnt 0x901
	v_mul_f64_e32 v[147:148], v[2:3], v[44:45]
	v_mul_f64_e32 v[44:45], v[4:5], v[44:45]
	s_wait_loadcnt_dscnt 0x800
	v_mul_f64_e32 v[151:152], v[139:140], v[8:9]
	v_mul_f64_e32 v[8:9], v[141:142], v[8:9]
	v_add_f64_e32 v[145:146], v[145:146], v[155:156]
	v_add_f64_e32 v[143:144], v[143:144], v[153:154]
	v_fma_f64 v[147:148], v[4:5], v[42:43], v[147:148]
	v_fma_f64 v[153:154], v[2:3], v[42:43], -v[44:45]
	ds_load_b128 v[2:5], v1 offset:928
	scratch_load_b128 v[42:45], off, off offset:384
	v_fma_f64 v[141:142], v[141:142], v[6:7], v[151:152]
	v_fma_f64 v[139:140], v[139:140], v[6:7], -v[8:9]
	scratch_load_b128 v[6:9], off, off offset:400
	v_add_f64_e32 v[137:138], v[145:146], v[137:138]
	v_add_f64_e32 v[149:150], v[143:144], v[149:150]
	ds_load_b128 v[143:146], v1 offset:944
	s_wait_loadcnt_dscnt 0x901
	v_mul_f64_e32 v[155:156], v[2:3], v[12:13]
	v_mul_f64_e32 v[12:13], v[4:5], v[12:13]
	v_add_f64_e32 v[137:138], v[137:138], v[153:154]
	v_add_f64_e32 v[147:148], v[149:150], v[147:148]
	s_wait_loadcnt_dscnt 0x800
	v_mul_f64_e32 v[149:150], v[143:144], v[16:17]
	v_mul_f64_e32 v[16:17], v[145:146], v[16:17]
	v_fma_f64 v[151:152], v[4:5], v[10:11], v[155:156]
	v_fma_f64 v[153:154], v[2:3], v[10:11], -v[12:13]
	ds_load_b128 v[2:5], v1 offset:960
	scratch_load_b128 v[10:13], off, off offset:416
	v_add_f64_e32 v[155:156], v[137:138], v[139:140]
	v_add_f64_e32 v[141:142], v[147:148], v[141:142]
	ds_load_b128 v[137:140], v1 offset:976
	s_wait_loadcnt_dscnt 0x801
	v_mul_f64_e32 v[147:148], v[2:3], v[20:21]
	v_mul_f64_e32 v[20:21], v[4:5], v[20:21]
	v_fma_f64 v[145:146], v[145:146], v[14:15], v[149:150]
	v_fma_f64 v[143:144], v[143:144], v[14:15], -v[16:17]
	scratch_load_b128 v[14:17], off, off offset:432
	v_add_f64_e32 v[149:150], v[155:156], v[153:154]
	v_add_f64_e32 v[141:142], v[141:142], v[151:152]
	s_wait_loadcnt_dscnt 0x800
	v_mul_f64_e32 v[151:152], v[137:138], v[24:25]
	v_mul_f64_e32 v[24:25], v[139:140], v[24:25]
	v_fma_f64 v[147:148], v[4:5], v[18:19], v[147:148]
	v_fma_f64 v[153:154], v[2:3], v[18:19], -v[20:21]
	ds_load_b128 v[2:5], v1 offset:992
	scratch_load_b128 v[18:21], off, off offset:448
	v_add_f64_e32 v[149:150], v[149:150], v[143:144]
	v_add_f64_e32 v[145:146], v[141:142], v[145:146]
	ds_load_b128 v[141:144], v1 offset:1008
	s_wait_loadcnt_dscnt 0x801
	v_mul_f64_e32 v[155:156], v[2:3], v[28:29]
	v_mul_f64_e32 v[28:29], v[4:5], v[28:29]
	v_fma_f64 v[139:140], v[139:140], v[22:23], v[151:152]
	v_fma_f64 v[137:138], v[137:138], v[22:23], -v[24:25]
	scratch_load_b128 v[22:25], off, off offset:464
	;; [unrolled: 18-line block ×4, first 2 shown]
	s_wait_loadcnt_dscnt 0x800
	v_mul_f64_e32 v[149:150], v[141:142], v[8:9]
	v_mul_f64_e32 v[8:9], v[143:144], v[8:9]
	v_add_f64_e32 v[147:148], v[147:148], v[153:154]
	v_add_f64_e32 v[145:146], v[145:146], v[151:152]
	v_fma_f64 v[151:152], v[4:5], v[42:43], v[155:156]
	v_fma_f64 v[153:154], v[2:3], v[42:43], -v[44:45]
	ds_load_b128 v[2:5], v1 offset:1088
	scratch_load_b128 v[42:45], off, off offset:544
	v_fma_f64 v[143:144], v[143:144], v[6:7], v[149:150]
	v_fma_f64 v[141:142], v[141:142], v[6:7], -v[8:9]
	scratch_load_b128 v[6:9], off, off offset:560
	v_add_f64_e32 v[147:148], v[147:148], v[137:138]
	v_add_f64_e32 v[145:146], v[145:146], v[139:140]
	ds_load_b128 v[137:140], v1 offset:1104
	s_wait_loadcnt_dscnt 0x901
	v_mul_f64_e32 v[155:156], v[2:3], v[12:13]
	v_mul_f64_e32 v[12:13], v[4:5], v[12:13]
	s_wait_loadcnt_dscnt 0x800
	v_mul_f64_e32 v[149:150], v[137:138], v[16:17]
	v_mul_f64_e32 v[16:17], v[139:140], v[16:17]
	v_add_f64_e32 v[147:148], v[147:148], v[153:154]
	v_add_f64_e32 v[145:146], v[145:146], v[151:152]
	v_fma_f64 v[151:152], v[4:5], v[10:11], v[155:156]
	v_fma_f64 v[153:154], v[2:3], v[10:11], -v[12:13]
	ds_load_b128 v[2:5], v1 offset:1120
	scratch_load_b128 v[10:13], off, off offset:576
	v_fma_f64 v[139:140], v[139:140], v[14:15], v[149:150]
	v_fma_f64 v[137:138], v[137:138], v[14:15], -v[16:17]
	scratch_load_b128 v[14:17], off, off offset:592
	v_add_f64_e32 v[147:148], v[147:148], v[141:142]
	v_add_f64_e32 v[145:146], v[145:146], v[143:144]
	ds_load_b128 v[141:144], v1 offset:1136
	s_wait_loadcnt_dscnt 0x901
	v_mul_f64_e32 v[155:156], v[2:3], v[20:21]
	v_mul_f64_e32 v[20:21], v[4:5], v[20:21]
	;; [unrolled: 18-line block ×5, first 2 shown]
	s_wait_loadcnt_dscnt 0x800
	v_mul_f64_e32 v[149:150], v[137:138], v[8:9]
	v_mul_f64_e32 v[8:9], v[139:140], v[8:9]
	v_add_f64_e32 v[147:148], v[147:148], v[153:154]
	v_add_f64_e32 v[145:146], v[145:146], v[151:152]
	v_fma_f64 v[151:152], v[4:5], v[42:43], v[155:156]
	v_fma_f64 v[153:154], v[2:3], v[42:43], -v[44:45]
	ds_load_b128 v[2:5], v1 offset:1248
	ds_load_b128 v[42:45], v1 offset:1264
	v_fma_f64 v[139:140], v[139:140], v[6:7], v[149:150]
	v_fma_f64 v[6:7], v[137:138], v[6:7], -v[8:9]
	v_add_f64_e32 v[141:142], v[147:148], v[141:142]
	v_add_f64_e32 v[143:144], v[145:146], v[143:144]
	s_wait_loadcnt_dscnt 0x701
	v_mul_f64_e32 v[145:146], v[2:3], v[12:13]
	v_mul_f64_e32 v[12:13], v[4:5], v[12:13]
	s_delay_alu instid0(VALU_DEP_4) | instskip(NEXT) | instid1(VALU_DEP_4)
	v_add_f64_e32 v[8:9], v[141:142], v[153:154]
	v_add_f64_e32 v[137:138], v[143:144], v[151:152]
	s_wait_loadcnt_dscnt 0x600
	v_mul_f64_e32 v[141:142], v[42:43], v[16:17]
	v_mul_f64_e32 v[16:17], v[44:45], v[16:17]
	v_fma_f64 v[143:144], v[4:5], v[10:11], v[145:146]
	v_fma_f64 v[10:11], v[2:3], v[10:11], -v[12:13]
	v_add_f64_e32 v[12:13], v[8:9], v[6:7]
	v_add_f64_e32 v[137:138], v[137:138], v[139:140]
	ds_load_b128 v[2:5], v1 offset:1280
	ds_load_b128 v[6:9], v1 offset:1296
	v_fma_f64 v[44:45], v[44:45], v[14:15], v[141:142]
	v_fma_f64 v[14:15], v[42:43], v[14:15], -v[16:17]
	s_wait_loadcnt_dscnt 0x501
	v_mul_f64_e32 v[139:140], v[2:3], v[20:21]
	v_mul_f64_e32 v[20:21], v[4:5], v[20:21]
	s_wait_loadcnt_dscnt 0x400
	v_mul_f64_e32 v[16:17], v[6:7], v[24:25]
	v_mul_f64_e32 v[24:25], v[8:9], v[24:25]
	v_add_f64_e32 v[10:11], v[12:13], v[10:11]
	v_add_f64_e32 v[12:13], v[137:138], v[143:144]
	v_fma_f64 v[42:43], v[4:5], v[18:19], v[139:140]
	v_fma_f64 v[18:19], v[2:3], v[18:19], -v[20:21]
	v_fma_f64 v[8:9], v[8:9], v[22:23], v[16:17]
	v_fma_f64 v[6:7], v[6:7], v[22:23], -v[24:25]
	v_add_f64_e32 v[14:15], v[10:11], v[14:15]
	v_add_f64_e32 v[20:21], v[12:13], v[44:45]
	ds_load_b128 v[2:5], v1 offset:1312
	ds_load_b128 v[10:13], v1 offset:1328
	s_wait_loadcnt_dscnt 0x301
	v_mul_f64_e32 v[44:45], v[2:3], v[28:29]
	v_mul_f64_e32 v[28:29], v[4:5], v[28:29]
	v_add_f64_e32 v[14:15], v[14:15], v[18:19]
	v_add_f64_e32 v[16:17], v[20:21], v[42:43]
	s_wait_loadcnt_dscnt 0x200
	v_mul_f64_e32 v[18:19], v[10:11], v[32:33]
	v_mul_f64_e32 v[20:21], v[12:13], v[32:33]
	v_fma_f64 v[22:23], v[4:5], v[26:27], v[44:45]
	v_fma_f64 v[24:25], v[2:3], v[26:27], -v[28:29]
	v_add_f64_e32 v[14:15], v[14:15], v[6:7]
	v_add_f64_e32 v[16:17], v[16:17], v[8:9]
	ds_load_b128 v[2:5], v1 offset:1344
	ds_load_b128 v[6:9], v1 offset:1360
	v_fma_f64 v[12:13], v[12:13], v[30:31], v[18:19]
	v_fma_f64 v[10:11], v[10:11], v[30:31], -v[20:21]
	s_wait_loadcnt_dscnt 0x101
	v_mul_f64_e32 v[26:27], v[2:3], v[36:37]
	v_mul_f64_e32 v[28:29], v[4:5], v[36:37]
	s_wait_loadcnt_dscnt 0x0
	v_mul_f64_e32 v[18:19], v[6:7], v[40:41]
	v_mul_f64_e32 v[20:21], v[8:9], v[40:41]
	v_add_f64_e32 v[14:15], v[14:15], v[24:25]
	v_add_f64_e32 v[16:17], v[16:17], v[22:23]
	v_fma_f64 v[4:5], v[4:5], v[34:35], v[26:27]
	v_fma_f64 v[1:2], v[2:3], v[34:35], -v[28:29]
	v_fma_f64 v[8:9], v[8:9], v[38:39], v[18:19]
	v_fma_f64 v[6:7], v[6:7], v[38:39], -v[20:21]
	v_add_f64_e32 v[10:11], v[14:15], v[10:11]
	v_add_f64_e32 v[12:13], v[16:17], v[12:13]
	s_delay_alu instid0(VALU_DEP_2) | instskip(NEXT) | instid1(VALU_DEP_2)
	v_add_f64_e32 v[1:2], v[10:11], v[1:2]
	v_add_f64_e32 v[3:4], v[12:13], v[4:5]
	s_delay_alu instid0(VALU_DEP_2) | instskip(NEXT) | instid1(VALU_DEP_2)
	;; [unrolled: 3-line block ×3, first 2 shown]
	v_add_f64_e64 v[1:2], v[133:134], -v[1:2]
	v_add_f64_e64 v[3:4], v[135:136], -v[3:4]
	scratch_store_b128 off, v[1:4], off offset:48
	v_cmpx_lt_u32_e32 1, v0
	s_cbranch_execz .LBB106_269
; %bb.268:
	scratch_load_b128 v[1:4], off, s51
	v_mov_b32_e32 v5, 0
	s_delay_alu instid0(VALU_DEP_1)
	v_dual_mov_b32 v6, v5 :: v_dual_mov_b32 v7, v5
	v_mov_b32_e32 v8, v5
	scratch_store_b128 off, v[5:8], off offset:32
	s_wait_loadcnt 0x0
	ds_store_b128 v132, v[1:4]
.LBB106_269:
	s_wait_alu 0xfffe
	s_or_b32 exec_lo, exec_lo, s0
	s_wait_storecnt_dscnt 0x0
	s_barrier_signal -1
	s_barrier_wait -1
	global_inv scope:SCOPE_SE
	s_clause 0x7
	scratch_load_b128 v[2:5], off, off offset:48
	scratch_load_b128 v[6:9], off, off offset:64
	;; [unrolled: 1-line block ×8, first 2 shown]
	v_mov_b32_e32 v1, 0
	s_mov_b32 s0, exec_lo
	ds_load_b128 v[38:41], v1 offset:720
	s_clause 0x1
	scratch_load_b128 v[34:37], off, off offset:176
	scratch_load_b128 v[42:45], off, off offset:32
	ds_load_b128 v[133:136], v1 offset:736
	scratch_load_b128 v[137:140], off, off offset:192
	s_wait_loadcnt_dscnt 0xa01
	v_mul_f64_e32 v[141:142], v[40:41], v[4:5]
	v_mul_f64_e32 v[4:5], v[38:39], v[4:5]
	s_delay_alu instid0(VALU_DEP_2) | instskip(NEXT) | instid1(VALU_DEP_2)
	v_fma_f64 v[147:148], v[38:39], v[2:3], -v[141:142]
	v_fma_f64 v[149:150], v[40:41], v[2:3], v[4:5]
	ds_load_b128 v[2:5], v1 offset:752
	s_wait_loadcnt_dscnt 0x901
	v_mul_f64_e32 v[145:146], v[133:134], v[8:9]
	v_mul_f64_e32 v[8:9], v[135:136], v[8:9]
	scratch_load_b128 v[38:41], off, off offset:208
	ds_load_b128 v[141:144], v1 offset:768
	s_wait_loadcnt_dscnt 0x901
	v_mul_f64_e32 v[151:152], v[2:3], v[12:13]
	v_mul_f64_e32 v[12:13], v[4:5], v[12:13]
	v_fma_f64 v[135:136], v[135:136], v[6:7], v[145:146]
	v_fma_f64 v[133:134], v[133:134], v[6:7], -v[8:9]
	v_add_f64_e32 v[145:146], 0, v[147:148]
	v_add_f64_e32 v[147:148], 0, v[149:150]
	scratch_load_b128 v[6:9], off, off offset:224
	v_fma_f64 v[151:152], v[4:5], v[10:11], v[151:152]
	v_fma_f64 v[153:154], v[2:3], v[10:11], -v[12:13]
	ds_load_b128 v[2:5], v1 offset:784
	s_wait_loadcnt_dscnt 0x901
	v_mul_f64_e32 v[149:150], v[141:142], v[16:17]
	v_mul_f64_e32 v[16:17], v[143:144], v[16:17]
	scratch_load_b128 v[10:13], off, off offset:240
	v_add_f64_e32 v[145:146], v[145:146], v[133:134]
	v_add_f64_e32 v[147:148], v[147:148], v[135:136]
	s_wait_loadcnt_dscnt 0x900
	v_mul_f64_e32 v[155:156], v[2:3], v[20:21]
	v_mul_f64_e32 v[20:21], v[4:5], v[20:21]
	ds_load_b128 v[133:136], v1 offset:800
	v_fma_f64 v[143:144], v[143:144], v[14:15], v[149:150]
	v_fma_f64 v[141:142], v[141:142], v[14:15], -v[16:17]
	scratch_load_b128 v[14:17], off, off offset:256
	v_add_f64_e32 v[145:146], v[145:146], v[153:154]
	v_add_f64_e32 v[147:148], v[147:148], v[151:152]
	v_fma_f64 v[151:152], v[4:5], v[18:19], v[155:156]
	v_fma_f64 v[153:154], v[2:3], v[18:19], -v[20:21]
	ds_load_b128 v[2:5], v1 offset:816
	s_wait_loadcnt_dscnt 0x901
	v_mul_f64_e32 v[149:150], v[133:134], v[24:25]
	v_mul_f64_e32 v[24:25], v[135:136], v[24:25]
	scratch_load_b128 v[18:21], off, off offset:272
	s_wait_loadcnt_dscnt 0x900
	v_mul_f64_e32 v[155:156], v[2:3], v[28:29]
	v_mul_f64_e32 v[28:29], v[4:5], v[28:29]
	v_add_f64_e32 v[145:146], v[145:146], v[141:142]
	v_add_f64_e32 v[147:148], v[147:148], v[143:144]
	ds_load_b128 v[141:144], v1 offset:832
	v_fma_f64 v[135:136], v[135:136], v[22:23], v[149:150]
	v_fma_f64 v[133:134], v[133:134], v[22:23], -v[24:25]
	scratch_load_b128 v[22:25], off, off offset:288
	v_add_f64_e32 v[145:146], v[145:146], v[153:154]
	v_add_f64_e32 v[147:148], v[147:148], v[151:152]
	v_fma_f64 v[151:152], v[4:5], v[26:27], v[155:156]
	v_fma_f64 v[153:154], v[2:3], v[26:27], -v[28:29]
	ds_load_b128 v[2:5], v1 offset:848
	s_wait_loadcnt_dscnt 0x901
	v_mul_f64_e32 v[149:150], v[141:142], v[32:33]
	v_mul_f64_e32 v[32:33], v[143:144], v[32:33]
	scratch_load_b128 v[26:29], off, off offset:304
	s_wait_loadcnt_dscnt 0x900
	v_mul_f64_e32 v[155:156], v[2:3], v[36:37]
	v_mul_f64_e32 v[36:37], v[4:5], v[36:37]
	v_add_f64_e32 v[145:146], v[145:146], v[133:134]
	v_add_f64_e32 v[147:148], v[147:148], v[135:136]
	ds_load_b128 v[133:136], v1 offset:864
	v_fma_f64 v[143:144], v[143:144], v[30:31], v[149:150]
	v_fma_f64 v[141:142], v[141:142], v[30:31], -v[32:33]
	scratch_load_b128 v[30:33], off, off offset:320
	v_add_f64_e32 v[145:146], v[145:146], v[153:154]
	v_add_f64_e32 v[147:148], v[147:148], v[151:152]
	v_fma_f64 v[153:154], v[4:5], v[34:35], v[155:156]
	v_fma_f64 v[155:156], v[2:3], v[34:35], -v[36:37]
	ds_load_b128 v[2:5], v1 offset:880
	s_wait_loadcnt_dscnt 0x801
	v_mul_f64_e32 v[149:150], v[133:134], v[139:140]
	v_mul_f64_e32 v[151:152], v[135:136], v[139:140]
	scratch_load_b128 v[34:37], off, off offset:336
	v_add_f64_e32 v[145:146], v[145:146], v[141:142]
	v_add_f64_e32 v[143:144], v[147:148], v[143:144]
	ds_load_b128 v[139:142], v1 offset:896
	v_fma_f64 v[149:150], v[135:136], v[137:138], v[149:150]
	v_fma_f64 v[137:138], v[133:134], v[137:138], -v[151:152]
	scratch_load_b128 v[133:136], off, off offset:352
	s_wait_loadcnt_dscnt 0x901
	v_mul_f64_e32 v[147:148], v[2:3], v[40:41]
	v_mul_f64_e32 v[40:41], v[4:5], v[40:41]
	v_add_f64_e32 v[145:146], v[145:146], v[155:156]
	v_add_f64_e32 v[143:144], v[143:144], v[153:154]
	s_delay_alu instid0(VALU_DEP_4) | instskip(NEXT) | instid1(VALU_DEP_4)
	v_fma_f64 v[147:148], v[4:5], v[38:39], v[147:148]
	v_fma_f64 v[153:154], v[2:3], v[38:39], -v[40:41]
	ds_load_b128 v[2:5], v1 offset:912
	s_wait_loadcnt_dscnt 0x801
	v_mul_f64_e32 v[151:152], v[139:140], v[8:9]
	v_mul_f64_e32 v[8:9], v[141:142], v[8:9]
	scratch_load_b128 v[38:41], off, off offset:368
	s_wait_loadcnt_dscnt 0x800
	v_mul_f64_e32 v[155:156], v[2:3], v[12:13]
	v_add_f64_e32 v[137:138], v[145:146], v[137:138]
	v_add_f64_e32 v[149:150], v[143:144], v[149:150]
	v_mul_f64_e32 v[12:13], v[4:5], v[12:13]
	ds_load_b128 v[143:146], v1 offset:928
	v_fma_f64 v[141:142], v[141:142], v[6:7], v[151:152]
	v_fma_f64 v[139:140], v[139:140], v[6:7], -v[8:9]
	scratch_load_b128 v[6:9], off, off offset:384
	v_fma_f64 v[151:152], v[4:5], v[10:11], v[155:156]
	v_add_f64_e32 v[137:138], v[137:138], v[153:154]
	v_add_f64_e32 v[147:148], v[149:150], v[147:148]
	v_fma_f64 v[153:154], v[2:3], v[10:11], -v[12:13]
	ds_load_b128 v[2:5], v1 offset:944
	s_wait_loadcnt_dscnt 0x801
	v_mul_f64_e32 v[149:150], v[143:144], v[16:17]
	v_mul_f64_e32 v[16:17], v[145:146], v[16:17]
	scratch_load_b128 v[10:13], off, off offset:400
	v_add_f64_e32 v[155:156], v[137:138], v[139:140]
	v_add_f64_e32 v[141:142], v[147:148], v[141:142]
	s_wait_loadcnt_dscnt 0x800
	v_mul_f64_e32 v[147:148], v[2:3], v[20:21]
	v_mul_f64_e32 v[20:21], v[4:5], v[20:21]
	v_fma_f64 v[145:146], v[145:146], v[14:15], v[149:150]
	v_fma_f64 v[143:144], v[143:144], v[14:15], -v[16:17]
	ds_load_b128 v[137:140], v1 offset:960
	scratch_load_b128 v[14:17], off, off offset:416
	v_add_f64_e32 v[149:150], v[155:156], v[153:154]
	v_add_f64_e32 v[141:142], v[141:142], v[151:152]
	v_fma_f64 v[147:148], v[4:5], v[18:19], v[147:148]
	v_fma_f64 v[153:154], v[2:3], v[18:19], -v[20:21]
	ds_load_b128 v[2:5], v1 offset:976
	s_wait_loadcnt_dscnt 0x801
	v_mul_f64_e32 v[151:152], v[137:138], v[24:25]
	v_mul_f64_e32 v[24:25], v[139:140], v[24:25]
	scratch_load_b128 v[18:21], off, off offset:432
	s_wait_loadcnt_dscnt 0x800
	v_mul_f64_e32 v[155:156], v[2:3], v[28:29]
	v_mul_f64_e32 v[28:29], v[4:5], v[28:29]
	v_add_f64_e32 v[149:150], v[149:150], v[143:144]
	v_add_f64_e32 v[145:146], v[141:142], v[145:146]
	ds_load_b128 v[141:144], v1 offset:992
	v_fma_f64 v[139:140], v[139:140], v[22:23], v[151:152]
	v_fma_f64 v[137:138], v[137:138], v[22:23], -v[24:25]
	scratch_load_b128 v[22:25], off, off offset:448
	v_fma_f64 v[151:152], v[4:5], v[26:27], v[155:156]
	v_add_f64_e32 v[149:150], v[149:150], v[153:154]
	v_add_f64_e32 v[145:146], v[145:146], v[147:148]
	v_fma_f64 v[153:154], v[2:3], v[26:27], -v[28:29]
	ds_load_b128 v[2:5], v1 offset:1008
	s_wait_loadcnt_dscnt 0x801
	v_mul_f64_e32 v[147:148], v[141:142], v[32:33]
	v_mul_f64_e32 v[32:33], v[143:144], v[32:33]
	scratch_load_b128 v[26:29], off, off offset:464
	s_wait_loadcnt_dscnt 0x800
	v_mul_f64_e32 v[155:156], v[2:3], v[36:37]
	v_mul_f64_e32 v[36:37], v[4:5], v[36:37]
	v_add_f64_e32 v[149:150], v[149:150], v[137:138]
	v_add_f64_e32 v[145:146], v[145:146], v[139:140]
	ds_load_b128 v[137:140], v1 offset:1024
	v_fma_f64 v[143:144], v[143:144], v[30:31], v[147:148]
	v_fma_f64 v[141:142], v[141:142], v[30:31], -v[32:33]
	scratch_load_b128 v[30:33], off, off offset:480
	v_add_f64_e32 v[147:148], v[149:150], v[153:154]
	v_add_f64_e32 v[145:146], v[145:146], v[151:152]
	v_fma_f64 v[151:152], v[4:5], v[34:35], v[155:156]
	v_fma_f64 v[153:154], v[2:3], v[34:35], -v[36:37]
	ds_load_b128 v[2:5], v1 offset:1040
	s_wait_loadcnt_dscnt 0x801
	v_mul_f64_e32 v[149:150], v[137:138], v[135:136]
	v_mul_f64_e32 v[135:136], v[139:140], v[135:136]
	scratch_load_b128 v[34:37], off, off offset:496
	s_wait_loadcnt_dscnt 0x800
	v_mul_f64_e32 v[155:156], v[2:3], v[40:41]
	v_mul_f64_e32 v[40:41], v[4:5], v[40:41]
	v_add_f64_e32 v[147:148], v[147:148], v[141:142]
	v_add_f64_e32 v[145:146], v[145:146], v[143:144]
	ds_load_b128 v[141:144], v1 offset:1056
	v_fma_f64 v[139:140], v[139:140], v[133:134], v[149:150]
	v_fma_f64 v[137:138], v[137:138], v[133:134], -v[135:136]
	scratch_load_b128 v[133:136], off, off offset:512
	v_add_f64_e32 v[147:148], v[147:148], v[153:154]
	v_add_f64_e32 v[145:146], v[145:146], v[151:152]
	v_fma_f64 v[151:152], v[4:5], v[38:39], v[155:156]
	;; [unrolled: 18-line block ×6, first 2 shown]
	v_fma_f64 v[155:156], v[2:3], v[34:35], -v[36:37]
	ds_load_b128 v[2:5], v1 offset:1200
	s_wait_loadcnt_dscnt 0x801
	v_mul_f64_e32 v[149:150], v[141:142], v[135:136]
	v_mul_f64_e32 v[151:152], v[143:144], v[135:136]
	scratch_load_b128 v[34:37], off, off offset:656
	v_add_f64_e32 v[147:148], v[147:148], v[137:138]
	v_add_f64_e32 v[139:140], v[145:146], v[139:140]
	s_wait_loadcnt_dscnt 0x800
	v_mul_f64_e32 v[145:146], v[2:3], v[40:41]
	v_mul_f64_e32 v[40:41], v[4:5], v[40:41]
	ds_load_b128 v[135:138], v1 offset:1216
	v_fma_f64 v[143:144], v[143:144], v[133:134], v[149:150]
	v_fma_f64 v[133:134], v[141:142], v[133:134], -v[151:152]
	v_add_f64_e32 v[147:148], v[147:148], v[155:156]
	v_add_f64_e32 v[149:150], v[139:140], v[153:154]
	scratch_load_b128 v[139:142], off, off offset:672
	v_fma_f64 v[153:154], v[4:5], v[38:39], v[145:146]
	v_fma_f64 v[155:156], v[2:3], v[38:39], -v[40:41]
	ds_load_b128 v[2:5], v1 offset:1232
	s_wait_loadcnt_dscnt 0x801
	v_mul_f64_e32 v[151:152], v[135:136], v[8:9]
	v_mul_f64_e32 v[8:9], v[137:138], v[8:9]
	scratch_load_b128 v[38:41], off, off offset:688
	v_add_f64_e32 v[133:134], v[147:148], v[133:134]
	v_add_f64_e32 v[147:148], v[149:150], v[143:144]
	s_wait_loadcnt_dscnt 0x800
	v_mul_f64_e32 v[149:150], v[2:3], v[12:13]
	v_mul_f64_e32 v[12:13], v[4:5], v[12:13]
	ds_load_b128 v[143:146], v1 offset:1248
	v_fma_f64 v[137:138], v[137:138], v[6:7], v[151:152]
	v_fma_f64 v[6:7], v[135:136], v[6:7], -v[8:9]
	s_wait_loadcnt_dscnt 0x700
	v_mul_f64_e32 v[135:136], v[143:144], v[16:17]
	v_mul_f64_e32 v[16:17], v[145:146], v[16:17]
	v_add_f64_e32 v[8:9], v[133:134], v[155:156]
	v_add_f64_e32 v[133:134], v[147:148], v[153:154]
	v_fma_f64 v[147:148], v[4:5], v[10:11], v[149:150]
	v_fma_f64 v[10:11], v[2:3], v[10:11], -v[12:13]
	v_fma_f64 v[135:136], v[145:146], v[14:15], v[135:136]
	v_fma_f64 v[14:15], v[143:144], v[14:15], -v[16:17]
	v_add_f64_e32 v[12:13], v[8:9], v[6:7]
	v_add_f64_e32 v[133:134], v[133:134], v[137:138]
	ds_load_b128 v[2:5], v1 offset:1264
	ds_load_b128 v[6:9], v1 offset:1280
	s_wait_loadcnt_dscnt 0x601
	v_mul_f64_e32 v[137:138], v[2:3], v[20:21]
	v_mul_f64_e32 v[20:21], v[4:5], v[20:21]
	s_wait_loadcnt_dscnt 0x500
	v_mul_f64_e32 v[16:17], v[6:7], v[24:25]
	v_mul_f64_e32 v[24:25], v[8:9], v[24:25]
	v_add_f64_e32 v[10:11], v[12:13], v[10:11]
	v_add_f64_e32 v[12:13], v[133:134], v[147:148]
	v_fma_f64 v[133:134], v[4:5], v[18:19], v[137:138]
	v_fma_f64 v[18:19], v[2:3], v[18:19], -v[20:21]
	v_fma_f64 v[8:9], v[8:9], v[22:23], v[16:17]
	v_fma_f64 v[6:7], v[6:7], v[22:23], -v[24:25]
	v_add_f64_e32 v[14:15], v[10:11], v[14:15]
	v_add_f64_e32 v[20:21], v[12:13], v[135:136]
	ds_load_b128 v[2:5], v1 offset:1296
	ds_load_b128 v[10:13], v1 offset:1312
	s_wait_loadcnt_dscnt 0x401
	v_mul_f64_e32 v[135:136], v[2:3], v[28:29]
	v_mul_f64_e32 v[28:29], v[4:5], v[28:29]
	v_add_f64_e32 v[14:15], v[14:15], v[18:19]
	v_add_f64_e32 v[16:17], v[20:21], v[133:134]
	s_wait_loadcnt_dscnt 0x300
	v_mul_f64_e32 v[18:19], v[10:11], v[32:33]
	v_mul_f64_e32 v[20:21], v[12:13], v[32:33]
	v_fma_f64 v[22:23], v[4:5], v[26:27], v[135:136]
	v_fma_f64 v[24:25], v[2:3], v[26:27], -v[28:29]
	v_add_f64_e32 v[14:15], v[14:15], v[6:7]
	v_add_f64_e32 v[16:17], v[16:17], v[8:9]
	ds_load_b128 v[2:5], v1 offset:1328
	ds_load_b128 v[6:9], v1 offset:1344
	v_fma_f64 v[12:13], v[12:13], v[30:31], v[18:19]
	v_fma_f64 v[10:11], v[10:11], v[30:31], -v[20:21]
	s_wait_loadcnt_dscnt 0x201
	v_mul_f64_e32 v[26:27], v[2:3], v[36:37]
	v_mul_f64_e32 v[28:29], v[4:5], v[36:37]
	v_add_f64_e32 v[14:15], v[14:15], v[24:25]
	v_add_f64_e32 v[16:17], v[16:17], v[22:23]
	s_wait_loadcnt_dscnt 0x100
	v_mul_f64_e32 v[18:19], v[6:7], v[141:142]
	v_mul_f64_e32 v[20:21], v[8:9], v[141:142]
	v_fma_f64 v[22:23], v[4:5], v[34:35], v[26:27]
	v_fma_f64 v[24:25], v[2:3], v[34:35], -v[28:29]
	ds_load_b128 v[2:5], v1 offset:1360
	v_add_f64_e32 v[10:11], v[14:15], v[10:11]
	v_add_f64_e32 v[12:13], v[16:17], v[12:13]
	s_wait_loadcnt_dscnt 0x0
	v_mul_f64_e32 v[14:15], v[2:3], v[40:41]
	v_mul_f64_e32 v[16:17], v[4:5], v[40:41]
	v_fma_f64 v[8:9], v[8:9], v[139:140], v[18:19]
	v_fma_f64 v[6:7], v[6:7], v[139:140], -v[20:21]
	v_add_f64_e32 v[10:11], v[10:11], v[24:25]
	v_add_f64_e32 v[12:13], v[12:13], v[22:23]
	v_fma_f64 v[4:5], v[4:5], v[38:39], v[14:15]
	v_fma_f64 v[2:3], v[2:3], v[38:39], -v[16:17]
	s_delay_alu instid0(VALU_DEP_4) | instskip(NEXT) | instid1(VALU_DEP_4)
	v_add_f64_e32 v[6:7], v[10:11], v[6:7]
	v_add_f64_e32 v[8:9], v[12:13], v[8:9]
	s_delay_alu instid0(VALU_DEP_2) | instskip(NEXT) | instid1(VALU_DEP_2)
	v_add_f64_e32 v[2:3], v[6:7], v[2:3]
	v_add_f64_e32 v[4:5], v[8:9], v[4:5]
	s_delay_alu instid0(VALU_DEP_2) | instskip(NEXT) | instid1(VALU_DEP_2)
	v_add_f64_e64 v[2:3], v[42:43], -v[2:3]
	v_add_f64_e64 v[4:5], v[44:45], -v[4:5]
	scratch_store_b128 off, v[2:5], off offset:32
	v_cmpx_ne_u32_e32 0, v0
	s_cbranch_execz .LBB106_271
; %bb.270:
	scratch_load_b128 v[5:8], off, off offset:16
	v_dual_mov_b32 v2, v1 :: v_dual_mov_b32 v3, v1
	v_mov_b32_e32 v4, v1
	scratch_store_b128 off, v[1:4], off offset:16
	s_wait_loadcnt 0x0
	ds_store_b128 v132, v[5:8]
.LBB106_271:
	s_wait_alu 0xfffe
	s_or_b32 exec_lo, exec_lo, s0
	s_wait_storecnt_dscnt 0x0
	s_barrier_signal -1
	s_barrier_wait -1
	global_inv scope:SCOPE_SE
	s_clause 0x8
	scratch_load_b128 v[2:5], off, off offset:32
	scratch_load_b128 v[6:9], off, off offset:48
	;; [unrolled: 1-line block ×9, first 2 shown]
	ds_load_b128 v[42:45], v1 offset:704
	ds_load_b128 v[38:41], v1 offset:720
	s_clause 0x1
	scratch_load_b128 v[132:135], off, off offset:16
	scratch_load_b128 v[136:139], off, off offset:176
	s_and_b32 vcc_lo, exec_lo, s12
	s_wait_loadcnt_dscnt 0xa01
	v_mul_f64_e32 v[140:141], v[44:45], v[4:5]
	v_mul_f64_e32 v[4:5], v[42:43], v[4:5]
	s_wait_loadcnt_dscnt 0x900
	v_mul_f64_e32 v[144:145], v[38:39], v[8:9]
	v_mul_f64_e32 v[8:9], v[40:41], v[8:9]
	s_delay_alu instid0(VALU_DEP_4) | instskip(NEXT) | instid1(VALU_DEP_4)
	v_fma_f64 v[146:147], v[42:43], v[2:3], -v[140:141]
	v_fma_f64 v[148:149], v[44:45], v[2:3], v[4:5]
	ds_load_b128 v[2:5], v1 offset:736
	ds_load_b128 v[140:143], v1 offset:752
	scratch_load_b128 v[42:45], off, off offset:192
	v_fma_f64 v[40:41], v[40:41], v[6:7], v[144:145]
	v_fma_f64 v[38:39], v[38:39], v[6:7], -v[8:9]
	scratch_load_b128 v[6:9], off, off offset:208
	s_wait_loadcnt_dscnt 0xa01
	v_mul_f64_e32 v[150:151], v[2:3], v[12:13]
	v_mul_f64_e32 v[12:13], v[4:5], v[12:13]
	v_add_f64_e32 v[144:145], 0, v[146:147]
	v_add_f64_e32 v[146:147], 0, v[148:149]
	s_wait_loadcnt_dscnt 0x900
	v_mul_f64_e32 v[148:149], v[140:141], v[16:17]
	v_mul_f64_e32 v[16:17], v[142:143], v[16:17]
	v_fma_f64 v[150:151], v[4:5], v[10:11], v[150:151]
	v_fma_f64 v[152:153], v[2:3], v[10:11], -v[12:13]
	ds_load_b128 v[2:5], v1 offset:768
	scratch_load_b128 v[10:13], off, off offset:224
	v_add_f64_e32 v[144:145], v[144:145], v[38:39]
	v_add_f64_e32 v[146:147], v[146:147], v[40:41]
	ds_load_b128 v[38:41], v1 offset:784
	v_fma_f64 v[142:143], v[142:143], v[14:15], v[148:149]
	v_fma_f64 v[140:141], v[140:141], v[14:15], -v[16:17]
	scratch_load_b128 v[14:17], off, off offset:240
	s_wait_loadcnt_dscnt 0xa01
	v_mul_f64_e32 v[154:155], v[2:3], v[20:21]
	v_mul_f64_e32 v[20:21], v[4:5], v[20:21]
	s_wait_loadcnt_dscnt 0x900
	v_mul_f64_e32 v[148:149], v[38:39], v[24:25]
	v_mul_f64_e32 v[24:25], v[40:41], v[24:25]
	v_add_f64_e32 v[144:145], v[144:145], v[152:153]
	v_add_f64_e32 v[146:147], v[146:147], v[150:151]
	v_fma_f64 v[150:151], v[4:5], v[18:19], v[154:155]
	v_fma_f64 v[152:153], v[2:3], v[18:19], -v[20:21]
	ds_load_b128 v[2:5], v1 offset:800
	scratch_load_b128 v[18:21], off, off offset:256
	v_fma_f64 v[40:41], v[40:41], v[22:23], v[148:149]
	v_fma_f64 v[38:39], v[38:39], v[22:23], -v[24:25]
	scratch_load_b128 v[22:25], off, off offset:272
	v_add_f64_e32 v[144:145], v[144:145], v[140:141]
	v_add_f64_e32 v[146:147], v[146:147], v[142:143]
	ds_load_b128 v[140:143], v1 offset:816
	s_wait_loadcnt_dscnt 0xa01
	v_mul_f64_e32 v[154:155], v[2:3], v[28:29]
	v_mul_f64_e32 v[28:29], v[4:5], v[28:29]
	s_wait_loadcnt_dscnt 0x900
	v_mul_f64_e32 v[148:149], v[140:141], v[32:33]
	v_mul_f64_e32 v[32:33], v[142:143], v[32:33]
	v_add_f64_e32 v[144:145], v[144:145], v[152:153]
	v_add_f64_e32 v[146:147], v[146:147], v[150:151]
	v_fma_f64 v[150:151], v[4:5], v[26:27], v[154:155]
	v_fma_f64 v[152:153], v[2:3], v[26:27], -v[28:29]
	ds_load_b128 v[2:5], v1 offset:832
	scratch_load_b128 v[26:29], off, off offset:288
	v_fma_f64 v[142:143], v[142:143], v[30:31], v[148:149]
	v_fma_f64 v[140:141], v[140:141], v[30:31], -v[32:33]
	scratch_load_b128 v[30:33], off, off offset:304
	v_add_f64_e32 v[144:145], v[144:145], v[38:39]
	v_add_f64_e32 v[146:147], v[146:147], v[40:41]
	ds_load_b128 v[38:41], v1 offset:848
	s_wait_loadcnt_dscnt 0xa01
	v_mul_f64_e32 v[154:155], v[2:3], v[36:37]
	v_mul_f64_e32 v[36:37], v[4:5], v[36:37]
	s_wait_loadcnt_dscnt 0x800
	v_mul_f64_e32 v[148:149], v[38:39], v[138:139]
	v_add_f64_e32 v[144:145], v[144:145], v[152:153]
	v_add_f64_e32 v[146:147], v[146:147], v[150:151]
	v_mul_f64_e32 v[150:151], v[40:41], v[138:139]
	v_fma_f64 v[152:153], v[4:5], v[34:35], v[154:155]
	v_fma_f64 v[154:155], v[2:3], v[34:35], -v[36:37]
	ds_load_b128 v[2:5], v1 offset:864
	scratch_load_b128 v[34:37], off, off offset:320
	v_fma_f64 v[148:149], v[40:41], v[136:137], v[148:149]
	v_add_f64_e32 v[144:145], v[144:145], v[140:141]
	v_add_f64_e32 v[142:143], v[146:147], v[142:143]
	ds_load_b128 v[138:141], v1 offset:880
	v_fma_f64 v[136:137], v[38:39], v[136:137], -v[150:151]
	scratch_load_b128 v[38:41], off, off offset:336
	s_wait_loadcnt_dscnt 0x901
	v_mul_f64_e32 v[146:147], v[2:3], v[44:45]
	v_mul_f64_e32 v[44:45], v[4:5], v[44:45]
	s_wait_loadcnt_dscnt 0x800
	v_mul_f64_e32 v[150:151], v[138:139], v[8:9]
	v_mul_f64_e32 v[8:9], v[140:141], v[8:9]
	v_add_f64_e32 v[144:145], v[144:145], v[154:155]
	v_add_f64_e32 v[142:143], v[142:143], v[152:153]
	v_fma_f64 v[146:147], v[4:5], v[42:43], v[146:147]
	v_fma_f64 v[152:153], v[2:3], v[42:43], -v[44:45]
	ds_load_b128 v[2:5], v1 offset:896
	scratch_load_b128 v[42:45], off, off offset:352
	v_fma_f64 v[140:141], v[140:141], v[6:7], v[150:151]
	v_fma_f64 v[138:139], v[138:139], v[6:7], -v[8:9]
	scratch_load_b128 v[6:9], off, off offset:368
	v_add_f64_e32 v[136:137], v[144:145], v[136:137]
	v_add_f64_e32 v[148:149], v[142:143], v[148:149]
	ds_load_b128 v[142:145], v1 offset:912
	s_wait_loadcnt_dscnt 0x901
	v_mul_f64_e32 v[154:155], v[2:3], v[12:13]
	v_mul_f64_e32 v[12:13], v[4:5], v[12:13]
	v_add_f64_e32 v[136:137], v[136:137], v[152:153]
	v_add_f64_e32 v[146:147], v[148:149], v[146:147]
	s_wait_loadcnt_dscnt 0x800
	v_mul_f64_e32 v[148:149], v[142:143], v[16:17]
	v_mul_f64_e32 v[16:17], v[144:145], v[16:17]
	v_fma_f64 v[150:151], v[4:5], v[10:11], v[154:155]
	v_fma_f64 v[152:153], v[2:3], v[10:11], -v[12:13]
	ds_load_b128 v[2:5], v1 offset:928
	scratch_load_b128 v[10:13], off, off offset:384
	v_add_f64_e32 v[154:155], v[136:137], v[138:139]
	v_add_f64_e32 v[140:141], v[146:147], v[140:141]
	ds_load_b128 v[136:139], v1 offset:944
	s_wait_loadcnt_dscnt 0x801
	v_mul_f64_e32 v[146:147], v[2:3], v[20:21]
	v_mul_f64_e32 v[20:21], v[4:5], v[20:21]
	v_fma_f64 v[144:145], v[144:145], v[14:15], v[148:149]
	v_fma_f64 v[142:143], v[142:143], v[14:15], -v[16:17]
	scratch_load_b128 v[14:17], off, off offset:400
	v_add_f64_e32 v[148:149], v[154:155], v[152:153]
	v_add_f64_e32 v[140:141], v[140:141], v[150:151]
	s_wait_loadcnt_dscnt 0x800
	v_mul_f64_e32 v[150:151], v[136:137], v[24:25]
	v_mul_f64_e32 v[24:25], v[138:139], v[24:25]
	v_fma_f64 v[146:147], v[4:5], v[18:19], v[146:147]
	v_fma_f64 v[152:153], v[2:3], v[18:19], -v[20:21]
	ds_load_b128 v[2:5], v1 offset:960
	scratch_load_b128 v[18:21], off, off offset:416
	v_add_f64_e32 v[148:149], v[148:149], v[142:143]
	v_add_f64_e32 v[144:145], v[140:141], v[144:145]
	ds_load_b128 v[140:143], v1 offset:976
	s_wait_loadcnt_dscnt 0x801
	v_mul_f64_e32 v[154:155], v[2:3], v[28:29]
	v_mul_f64_e32 v[28:29], v[4:5], v[28:29]
	v_fma_f64 v[138:139], v[138:139], v[22:23], v[150:151]
	v_fma_f64 v[136:137], v[136:137], v[22:23], -v[24:25]
	scratch_load_b128 v[22:25], off, off offset:432
	;; [unrolled: 18-line block ×4, first 2 shown]
	s_wait_loadcnt_dscnt 0x800
	v_mul_f64_e32 v[148:149], v[140:141], v[8:9]
	v_mul_f64_e32 v[8:9], v[142:143], v[8:9]
	v_add_f64_e32 v[146:147], v[146:147], v[152:153]
	v_add_f64_e32 v[144:145], v[144:145], v[150:151]
	v_fma_f64 v[150:151], v[4:5], v[42:43], v[154:155]
	v_fma_f64 v[152:153], v[2:3], v[42:43], -v[44:45]
	ds_load_b128 v[2:5], v1 offset:1056
	scratch_load_b128 v[42:45], off, off offset:512
	v_fma_f64 v[142:143], v[142:143], v[6:7], v[148:149]
	v_fma_f64 v[140:141], v[140:141], v[6:7], -v[8:9]
	scratch_load_b128 v[6:9], off, off offset:528
	v_add_f64_e32 v[146:147], v[146:147], v[136:137]
	v_add_f64_e32 v[144:145], v[144:145], v[138:139]
	ds_load_b128 v[136:139], v1 offset:1072
	s_wait_loadcnt_dscnt 0x901
	v_mul_f64_e32 v[154:155], v[2:3], v[12:13]
	v_mul_f64_e32 v[12:13], v[4:5], v[12:13]
	s_wait_loadcnt_dscnt 0x800
	v_mul_f64_e32 v[148:149], v[136:137], v[16:17]
	v_mul_f64_e32 v[16:17], v[138:139], v[16:17]
	v_add_f64_e32 v[146:147], v[146:147], v[152:153]
	v_add_f64_e32 v[144:145], v[144:145], v[150:151]
	v_fma_f64 v[150:151], v[4:5], v[10:11], v[154:155]
	v_fma_f64 v[152:153], v[2:3], v[10:11], -v[12:13]
	ds_load_b128 v[2:5], v1 offset:1088
	scratch_load_b128 v[10:13], off, off offset:544
	v_fma_f64 v[138:139], v[138:139], v[14:15], v[148:149]
	v_fma_f64 v[136:137], v[136:137], v[14:15], -v[16:17]
	scratch_load_b128 v[14:17], off, off offset:560
	v_add_f64_e32 v[146:147], v[146:147], v[140:141]
	v_add_f64_e32 v[144:145], v[144:145], v[142:143]
	ds_load_b128 v[140:143], v1 offset:1104
	s_wait_loadcnt_dscnt 0x901
	v_mul_f64_e32 v[154:155], v[2:3], v[20:21]
	v_mul_f64_e32 v[20:21], v[4:5], v[20:21]
	;; [unrolled: 18-line block ×6, first 2 shown]
	s_wait_loadcnt_dscnt 0x800
	v_mul_f64_e32 v[148:149], v[140:141], v[16:17]
	v_mul_f64_e32 v[16:17], v[142:143], v[16:17]
	v_add_f64_e32 v[146:147], v[146:147], v[152:153]
	v_add_f64_e32 v[144:145], v[144:145], v[150:151]
	v_fma_f64 v[150:151], v[4:5], v[10:11], v[154:155]
	v_fma_f64 v[152:153], v[2:3], v[10:11], -v[12:13]
	ds_load_b128 v[2:5], v1 offset:1248
	ds_load_b128 v[10:13], v1 offset:1264
	v_fma_f64 v[142:143], v[142:143], v[14:15], v[148:149]
	v_fma_f64 v[14:15], v[140:141], v[14:15], -v[16:17]
	v_add_f64_e32 v[136:137], v[146:147], v[136:137]
	v_add_f64_e32 v[138:139], v[144:145], v[138:139]
	s_wait_loadcnt_dscnt 0x701
	v_mul_f64_e32 v[144:145], v[2:3], v[20:21]
	v_mul_f64_e32 v[20:21], v[4:5], v[20:21]
	s_delay_alu instid0(VALU_DEP_4) | instskip(NEXT) | instid1(VALU_DEP_4)
	v_add_f64_e32 v[16:17], v[136:137], v[152:153]
	v_add_f64_e32 v[136:137], v[138:139], v[150:151]
	s_wait_loadcnt_dscnt 0x600
	v_mul_f64_e32 v[138:139], v[10:11], v[24:25]
	v_mul_f64_e32 v[24:25], v[12:13], v[24:25]
	v_fma_f64 v[140:141], v[4:5], v[18:19], v[144:145]
	v_fma_f64 v[18:19], v[2:3], v[18:19], -v[20:21]
	v_add_f64_e32 v[20:21], v[16:17], v[14:15]
	v_add_f64_e32 v[136:137], v[136:137], v[142:143]
	ds_load_b128 v[2:5], v1 offset:1280
	ds_load_b128 v[14:17], v1 offset:1296
	v_fma_f64 v[12:13], v[12:13], v[22:23], v[138:139]
	v_fma_f64 v[10:11], v[10:11], v[22:23], -v[24:25]
	s_wait_loadcnt_dscnt 0x501
	v_mul_f64_e32 v[142:143], v[2:3], v[28:29]
	v_mul_f64_e32 v[28:29], v[4:5], v[28:29]
	s_wait_loadcnt_dscnt 0x400
	v_mul_f64_e32 v[22:23], v[14:15], v[32:33]
	v_mul_f64_e32 v[24:25], v[16:17], v[32:33]
	v_add_f64_e32 v[18:19], v[20:21], v[18:19]
	v_add_f64_e32 v[20:21], v[136:137], v[140:141]
	v_fma_f64 v[32:33], v[4:5], v[26:27], v[142:143]
	v_fma_f64 v[26:27], v[2:3], v[26:27], -v[28:29]
	v_fma_f64 v[16:17], v[16:17], v[30:31], v[22:23]
	v_fma_f64 v[14:15], v[14:15], v[30:31], -v[24:25]
	v_add_f64_e32 v[18:19], v[18:19], v[10:11]
	v_add_f64_e32 v[20:21], v[20:21], v[12:13]
	ds_load_b128 v[2:5], v1 offset:1312
	ds_load_b128 v[10:13], v1 offset:1328
	s_wait_loadcnt_dscnt 0x301
	v_mul_f64_e32 v[28:29], v[2:3], v[36:37]
	v_mul_f64_e32 v[36:37], v[4:5], v[36:37]
	s_wait_loadcnt_dscnt 0x200
	v_mul_f64_e32 v[22:23], v[10:11], v[40:41]
	v_mul_f64_e32 v[24:25], v[12:13], v[40:41]
	v_add_f64_e32 v[18:19], v[18:19], v[26:27]
	v_add_f64_e32 v[20:21], v[20:21], v[32:33]
	v_fma_f64 v[26:27], v[4:5], v[34:35], v[28:29]
	v_fma_f64 v[28:29], v[2:3], v[34:35], -v[36:37]
	v_fma_f64 v[12:13], v[12:13], v[38:39], v[22:23]
	v_fma_f64 v[10:11], v[10:11], v[38:39], -v[24:25]
	v_add_f64_e32 v[18:19], v[18:19], v[14:15]
	v_add_f64_e32 v[20:21], v[20:21], v[16:17]
	ds_load_b128 v[2:5], v1 offset:1344
	ds_load_b128 v[14:17], v1 offset:1360
	s_wait_loadcnt_dscnt 0x101
	v_mul_f64_e32 v[0:1], v[2:3], v[44:45]
	v_mul_f64_e32 v[30:31], v[4:5], v[44:45]
	s_wait_loadcnt_dscnt 0x0
	v_mul_f64_e32 v[22:23], v[14:15], v[8:9]
	v_mul_f64_e32 v[8:9], v[16:17], v[8:9]
	v_add_f64_e32 v[18:19], v[18:19], v[28:29]
	v_add_f64_e32 v[20:21], v[20:21], v[26:27]
	v_fma_f64 v[0:1], v[4:5], v[42:43], v[0:1]
	v_fma_f64 v[2:3], v[2:3], v[42:43], -v[30:31]
	s_delay_alu instid0(VALU_DEP_4) | instskip(NEXT) | instid1(VALU_DEP_4)
	v_add_f64_e32 v[4:5], v[18:19], v[10:11]
	v_add_f64_e32 v[10:11], v[20:21], v[12:13]
	v_fma_f64 v[12:13], v[16:17], v[6:7], v[22:23]
	v_fma_f64 v[6:7], v[14:15], v[6:7], -v[8:9]
	s_delay_alu instid0(VALU_DEP_4) | instskip(NEXT) | instid1(VALU_DEP_4)
	v_add_f64_e32 v[2:3], v[4:5], v[2:3]
	v_add_f64_e32 v[0:1], v[10:11], v[0:1]
	s_delay_alu instid0(VALU_DEP_2) | instskip(NEXT) | instid1(VALU_DEP_2)
	v_add_f64_e32 v[2:3], v[2:3], v[6:7]
	v_add_f64_e32 v[4:5], v[0:1], v[12:13]
	s_delay_alu instid0(VALU_DEP_2) | instskip(NEXT) | instid1(VALU_DEP_2)
	v_add_f64_e64 v[0:1], v[132:133], -v[2:3]
	v_add_f64_e64 v[2:3], v[134:135], -v[4:5]
	scratch_store_b128 off, v[0:3], off offset:16
	s_wait_alu 0xfffe
	s_cbranch_vccz .LBB106_356
; %bb.272:
	v_mov_b32_e32 v0, 0
	global_load_b32 v1, v0, s[2:3] offset:164
	s_wait_loadcnt 0x0
	v_cmp_ne_u32_e32 vcc_lo, 42, v1
	s_cbranch_vccz .LBB106_274
; %bb.273:
	v_lshlrev_b32_e32 v1, 4, v1
	s_delay_alu instid0(VALU_DEP_1)
	v_add_nc_u32_e32 v9, 16, v1
	s_clause 0x1
	scratch_load_b128 v[1:4], v9, off offset:-16
	scratch_load_b128 v[5:8], off, s49
	s_wait_loadcnt 0x1
	scratch_store_b128 off, v[1:4], s49
	s_wait_loadcnt 0x0
	scratch_store_b128 v9, v[5:8], off offset:-16
.LBB106_274:
	global_load_b32 v0, v0, s[2:3] offset:160
	s_wait_loadcnt 0x0
	v_cmp_eq_u32_e32 vcc_lo, 41, v0
	s_cbranch_vccnz .LBB106_276
; %bb.275:
	v_lshlrev_b32_e32 v0, 4, v0
	s_delay_alu instid0(VALU_DEP_1)
	v_add_nc_u32_e32 v8, 16, v0
	s_clause 0x1
	scratch_load_b128 v[0:3], v8, off offset:-16
	scratch_load_b128 v[4:7], off, s27
	s_wait_loadcnt 0x1
	scratch_store_b128 off, v[0:3], s27
	s_wait_loadcnt 0x0
	scratch_store_b128 v8, v[4:7], off offset:-16
.LBB106_276:
	v_mov_b32_e32 v0, 0
	global_load_b32 v1, v0, s[2:3] offset:156
	s_wait_loadcnt 0x0
	v_cmp_eq_u32_e32 vcc_lo, 40, v1
	s_cbranch_vccnz .LBB106_278
; %bb.277:
	v_lshlrev_b32_e32 v1, 4, v1
	s_delay_alu instid0(VALU_DEP_1)
	v_add_nc_u32_e32 v9, 16, v1
	s_clause 0x1
	scratch_load_b128 v[1:4], v9, off offset:-16
	scratch_load_b128 v[5:8], off, s48
	s_wait_loadcnt 0x1
	scratch_store_b128 off, v[1:4], s48
	s_wait_loadcnt 0x0
	scratch_store_b128 v9, v[5:8], off offset:-16
.LBB106_278:
	global_load_b32 v0, v0, s[2:3] offset:152
	s_wait_loadcnt 0x0
	v_cmp_eq_u32_e32 vcc_lo, 39, v0
	s_cbranch_vccnz .LBB106_280
; %bb.279:
	v_lshlrev_b32_e32 v0, 4, v0
	s_delay_alu instid0(VALU_DEP_1)
	v_add_nc_u32_e32 v8, 16, v0
	s_clause 0x1
	scratch_load_b128 v[0:3], v8, off offset:-16
	scratch_load_b128 v[4:7], off, s26
	s_wait_loadcnt 0x1
	scratch_store_b128 off, v[0:3], s26
	s_wait_loadcnt 0x0
	scratch_store_b128 v8, v[4:7], off offset:-16
.LBB106_280:
	v_mov_b32_e32 v0, 0
	global_load_b32 v1, v0, s[2:3] offset:148
	s_wait_loadcnt 0x0
	v_cmp_eq_u32_e32 vcc_lo, 38, v1
	s_cbranch_vccnz .LBB106_282
; %bb.281:
	v_lshlrev_b32_e32 v1, 4, v1
	s_delay_alu instid0(VALU_DEP_1)
	v_add_nc_u32_e32 v9, 16, v1
	s_clause 0x1
	scratch_load_b128 v[1:4], v9, off offset:-16
	scratch_load_b128 v[5:8], off, s47
	s_wait_loadcnt 0x1
	scratch_store_b128 off, v[1:4], s47
	s_wait_loadcnt 0x0
	scratch_store_b128 v9, v[5:8], off offset:-16
.LBB106_282:
	;; [unrolled: 33-line block ×20, first 2 shown]
	global_load_b32 v0, v0, s[2:3]
	s_wait_loadcnt 0x0
	v_cmp_eq_u32_e32 vcc_lo, 1, v0
	s_cbranch_vccnz .LBB106_356
; %bb.355:
	v_lshlrev_b32_e32 v0, 4, v0
	s_delay_alu instid0(VALU_DEP_1)
	v_add_nc_u32_e32 v8, 16, v0
	scratch_load_b128 v[0:3], v8, off offset:-16
	scratch_load_b128 v[4:7], off, off offset:16
	s_wait_loadcnt 0x1
	scratch_store_b128 off, v[0:3], off offset:16
	s_wait_loadcnt 0x0
	scratch_store_b128 v8, v[4:7], off offset:-16
.LBB106_356:
	scratch_load_b128 v[0:3], off, off offset:16
	s_wait_loadcnt 0x0
	flat_store_b128 v[46:47], v[0:3]
	scratch_load_b128 v[0:3], off, s51
	s_wait_loadcnt 0x0
	flat_store_b128 v[48:49], v[0:3]
	scratch_load_b128 v[0:3], off, s50
	;; [unrolled: 3-line block ×42, first 2 shown]
	s_wait_loadcnt 0x0
	flat_store_b128 v[130:131], v[0:3]
	s_nop 0
	s_sendmsg sendmsg(MSG_DEALLOC_VGPRS)
	s_endpgm
	.section	.rodata,"a",@progbits
	.p2align	6, 0x0
	.amdhsa_kernel _ZN9rocsolver6v33100L18getri_kernel_smallILi43E19rocblas_complex_numIdEPKPS3_EEvT1_iilPiilS8_bb
		.amdhsa_group_segment_fixed_size 1384
		.amdhsa_private_segment_fixed_size 720
		.amdhsa_kernarg_size 60
		.amdhsa_user_sgpr_count 2
		.amdhsa_user_sgpr_dispatch_ptr 0
		.amdhsa_user_sgpr_queue_ptr 0
		.amdhsa_user_sgpr_kernarg_segment_ptr 1
		.amdhsa_user_sgpr_dispatch_id 0
		.amdhsa_user_sgpr_private_segment_size 0
		.amdhsa_wavefront_size32 1
		.amdhsa_uses_dynamic_stack 0
		.amdhsa_enable_private_segment 1
		.amdhsa_system_sgpr_workgroup_id_x 1
		.amdhsa_system_sgpr_workgroup_id_y 0
		.amdhsa_system_sgpr_workgroup_id_z 0
		.amdhsa_system_sgpr_workgroup_info 0
		.amdhsa_system_vgpr_workitem_id 0
		.amdhsa_next_free_vgpr 159
		.amdhsa_next_free_sgpr 55
		.amdhsa_reserve_vcc 1
		.amdhsa_float_round_mode_32 0
		.amdhsa_float_round_mode_16_64 0
		.amdhsa_float_denorm_mode_32 3
		.amdhsa_float_denorm_mode_16_64 3
		.amdhsa_fp16_overflow 0
		.amdhsa_workgroup_processor_mode 1
		.amdhsa_memory_ordered 1
		.amdhsa_forward_progress 1
		.amdhsa_inst_pref_size 255
		.amdhsa_round_robin_scheduling 0
		.amdhsa_exception_fp_ieee_invalid_op 0
		.amdhsa_exception_fp_denorm_src 0
		.amdhsa_exception_fp_ieee_div_zero 0
		.amdhsa_exception_fp_ieee_overflow 0
		.amdhsa_exception_fp_ieee_underflow 0
		.amdhsa_exception_fp_ieee_inexact 0
		.amdhsa_exception_int_div_zero 0
	.end_amdhsa_kernel
	.section	.text._ZN9rocsolver6v33100L18getri_kernel_smallILi43E19rocblas_complex_numIdEPKPS3_EEvT1_iilPiilS8_bb,"axG",@progbits,_ZN9rocsolver6v33100L18getri_kernel_smallILi43E19rocblas_complex_numIdEPKPS3_EEvT1_iilPiilS8_bb,comdat
.Lfunc_end106:
	.size	_ZN9rocsolver6v33100L18getri_kernel_smallILi43E19rocblas_complex_numIdEPKPS3_EEvT1_iilPiilS8_bb, .Lfunc_end106-_ZN9rocsolver6v33100L18getri_kernel_smallILi43E19rocblas_complex_numIdEPKPS3_EEvT1_iilPiilS8_bb
                                        ; -- End function
	.set _ZN9rocsolver6v33100L18getri_kernel_smallILi43E19rocblas_complex_numIdEPKPS3_EEvT1_iilPiilS8_bb.num_vgpr, 159
	.set _ZN9rocsolver6v33100L18getri_kernel_smallILi43E19rocblas_complex_numIdEPKPS3_EEvT1_iilPiilS8_bb.num_agpr, 0
	.set _ZN9rocsolver6v33100L18getri_kernel_smallILi43E19rocblas_complex_numIdEPKPS3_EEvT1_iilPiilS8_bb.numbered_sgpr, 55
	.set _ZN9rocsolver6v33100L18getri_kernel_smallILi43E19rocblas_complex_numIdEPKPS3_EEvT1_iilPiilS8_bb.num_named_barrier, 0
	.set _ZN9rocsolver6v33100L18getri_kernel_smallILi43E19rocblas_complex_numIdEPKPS3_EEvT1_iilPiilS8_bb.private_seg_size, 720
	.set _ZN9rocsolver6v33100L18getri_kernel_smallILi43E19rocblas_complex_numIdEPKPS3_EEvT1_iilPiilS8_bb.uses_vcc, 1
	.set _ZN9rocsolver6v33100L18getri_kernel_smallILi43E19rocblas_complex_numIdEPKPS3_EEvT1_iilPiilS8_bb.uses_flat_scratch, 1
	.set _ZN9rocsolver6v33100L18getri_kernel_smallILi43E19rocblas_complex_numIdEPKPS3_EEvT1_iilPiilS8_bb.has_dyn_sized_stack, 0
	.set _ZN9rocsolver6v33100L18getri_kernel_smallILi43E19rocblas_complex_numIdEPKPS3_EEvT1_iilPiilS8_bb.has_recursion, 0
	.set _ZN9rocsolver6v33100L18getri_kernel_smallILi43E19rocblas_complex_numIdEPKPS3_EEvT1_iilPiilS8_bb.has_indirect_call, 0
	.section	.AMDGPU.csdata,"",@progbits
; Kernel info:
; codeLenInByte = 79752
; TotalNumSgprs: 57
; NumVgprs: 159
; ScratchSize: 720
; MemoryBound: 0
; FloatMode: 240
; IeeeMode: 1
; LDSByteSize: 1384 bytes/workgroup (compile time only)
; SGPRBlocks: 0
; VGPRBlocks: 19
; NumSGPRsForWavesPerEU: 57
; NumVGPRsForWavesPerEU: 159
; Occupancy: 9
; WaveLimiterHint : 1
; COMPUTE_PGM_RSRC2:SCRATCH_EN: 1
; COMPUTE_PGM_RSRC2:USER_SGPR: 2
; COMPUTE_PGM_RSRC2:TRAP_HANDLER: 0
; COMPUTE_PGM_RSRC2:TGID_X_EN: 1
; COMPUTE_PGM_RSRC2:TGID_Y_EN: 0
; COMPUTE_PGM_RSRC2:TGID_Z_EN: 0
; COMPUTE_PGM_RSRC2:TIDIG_COMP_CNT: 0
	.section	.text._ZN9rocsolver6v33100L18getri_kernel_smallILi44E19rocblas_complex_numIdEPKPS3_EEvT1_iilPiilS8_bb,"axG",@progbits,_ZN9rocsolver6v33100L18getri_kernel_smallILi44E19rocblas_complex_numIdEPKPS3_EEvT1_iilPiilS8_bb,comdat
	.globl	_ZN9rocsolver6v33100L18getri_kernel_smallILi44E19rocblas_complex_numIdEPKPS3_EEvT1_iilPiilS8_bb ; -- Begin function _ZN9rocsolver6v33100L18getri_kernel_smallILi44E19rocblas_complex_numIdEPKPS3_EEvT1_iilPiilS8_bb
	.p2align	8
	.type	_ZN9rocsolver6v33100L18getri_kernel_smallILi44E19rocblas_complex_numIdEPKPS3_EEvT1_iilPiilS8_bb,@function
_ZN9rocsolver6v33100L18getri_kernel_smallILi44E19rocblas_complex_numIdEPKPS3_EEvT1_iilPiilS8_bb: ; @_ZN9rocsolver6v33100L18getri_kernel_smallILi44E19rocblas_complex_numIdEPKPS3_EEvT1_iilPiilS8_bb
; %bb.0:
	s_mov_b32 s2, exec_lo
	v_cmpx_gt_u32_e32 44, v0
	s_cbranch_execz .LBB107_190
; %bb.1:
	s_clause 0x1
	s_load_b32 s13, s[0:1], 0x38
	s_load_b64 s[2:3], s[0:1], 0x0
	s_mov_b32 s8, ttmp9
	s_load_b128 s[4:7], s[0:1], 0x28
	s_wait_kmcnt 0x0
	s_bitcmp1_b32 s13, 8
	s_cselect_b32 s12, -1, 0
	s_ashr_i32 s9, ttmp9, 31
	s_delay_alu instid0(SALU_CYCLE_1) | instskip(NEXT) | instid1(SALU_CYCLE_1)
	s_lshl_b64 s[10:11], s[8:9], 3
	s_add_nc_u64 s[2:3], s[2:3], s[10:11]
	s_load_b64 s[10:11], s[2:3], 0x0
	s_bfe_u32 s2, s13, 0x10008
	s_delay_alu instid0(SALU_CYCLE_1)
	s_cmp_eq_u32 s2, 0
                                        ; implicit-def: $sgpr2_sgpr3
	s_cbranch_scc1 .LBB107_3
; %bb.2:
	s_load_b96 s[16:18], s[0:1], 0x18
	s_mul_u64 s[2:3], s[4:5], s[8:9]
	s_delay_alu instid0(SALU_CYCLE_1)
	s_lshl_b64 s[2:3], s[2:3], 2
	s_wait_kmcnt 0x0
	s_ashr_i32 s5, s18, 31
	s_mov_b32 s4, s18
	s_add_nc_u64 s[2:3], s[16:17], s[2:3]
	s_lshl_b64 s[4:5], s[4:5], 2
	s_delay_alu instid0(SALU_CYCLE_1)
	s_add_nc_u64 s[2:3], s[2:3], s[4:5]
.LBB107_3:
	s_clause 0x1
	s_load_b64 s[4:5], s[0:1], 0x8
	s_load_b32 s53, s[0:1], 0x38
	v_lshlrev_b32_e32 v13, 4, v0
	s_movk_i32 s14, 0x90
	s_movk_i32 s16, 0xa0
	;; [unrolled: 1-line block ×17, first 2 shown]
	s_wait_kmcnt 0x0
	s_ashr_i32 s1, s4, 31
	s_mov_b32 s0, s4
	v_add3_u32 v5, s5, s5, v0
	s_lshl_b64 s[0:1], s[0:1], 4
	s_movk_i32 s54, 0x1a0
	s_add_nc_u64 s[0:1], s[10:11], s[0:1]
	s_ashr_i32 s11, s5, 31
	v_add_co_u32 v46, s4, s0, v13
	s_wait_alu 0xf1ff
	v_add_co_ci_u32_e64 v47, null, s1, 0, s4
	s_mov_b32 s10, s5
	v_ashrrev_i32_e32 v6, 31, v5
	s_lshl_b64 s[10:11], s[10:11], 4
	flat_load_b128 v[1:4], v[46:47]
	v_add_co_u32 v48, vcc_lo, v46, s10
	s_delay_alu instid0(VALU_DEP_1)
	v_add_co_ci_u32_e64 v49, null, s11, v47, vcc_lo
	v_lshlrev_b64_e32 v[6:7], 4, v[5:6]
	v_add_nc_u32_e32 v5, s5, v5
	s_movk_i32 s11, 0x80
	s_movk_i32 s55, 0x1b0
	;; [unrolled: 1-line block ×4, first 2 shown]
	v_add_co_u32 v50, vcc_lo, s0, v6
	s_wait_alu 0xfffd
	v_add_co_ci_u32_e64 v51, null, s1, v7, vcc_lo
	v_ashrrev_i32_e32 v6, 31, v5
	s_movk_i32 s58, 0x1e0
	s_movk_i32 s59, 0x1f0
	;; [unrolled: 1-line block ×4, first 2 shown]
	v_lshlrev_b64_e32 v[6:7], 4, v[5:6]
	v_add_nc_u32_e32 v5, s5, v5
	s_movk_i32 s62, 0x220
	s_movk_i32 s63, 0x230
	;; [unrolled: 1-line block ×4, first 2 shown]
	v_add_co_u32 v52, vcc_lo, s0, v6
	s_wait_alu 0xfffd
	v_add_co_ci_u32_e64 v53, null, s1, v7, vcc_lo
	v_ashrrev_i32_e32 v6, 31, v5
	s_movk_i32 s66, 0x260
	s_movk_i32 s67, 0x270
	;; [unrolled: 1-line block ×4, first 2 shown]
	v_lshlrev_b64_e32 v[6:7], 4, v[5:6]
	v_add_nc_u32_e32 v5, s5, v5
	s_movk_i32 s70, 0x2a0
	s_movk_i32 s71, 0x2b0
	s_wait_alu 0xfffe
	s_add_co_i32 s49, s11, 16
	s_add_co_i32 s48, s14, 16
	v_add_co_u32 v54, vcc_lo, s0, v6
	s_wait_alu 0xfffd
	v_add_co_ci_u32_e64 v55, null, s1, v7, vcc_lo
	v_ashrrev_i32_e32 v6, 31, v5
	s_add_co_i32 s47, s16, 16
	s_add_co_i32 s46, s17, 16
	s_add_co_i32 s45, s18, 16
	s_add_co_i32 s44, s19, 16
	v_lshlrev_b64_e32 v[6:7], 4, v[5:6]
	v_add_nc_u32_e32 v5, s5, v5
	s_add_co_i32 s43, s20, 16
	s_add_co_i32 s42, s21, 16
	s_add_co_i32 s41, s22, 16
	s_add_co_i32 s40, s23, 16
	v_add_co_u32 v56, vcc_lo, s0, v6
	s_wait_alu 0xfffd
	v_add_co_ci_u32_e64 v57, null, s1, v7, vcc_lo
	v_ashrrev_i32_e32 v6, 31, v5
	s_add_co_i32 s39, s24, 16
	s_add_co_i32 s38, s25, 16
	s_add_co_i32 s37, s26, 16
	s_add_co_i32 s36, s27, 16
	v_lshlrev_b64_e32 v[6:7], 4, v[5:6]
	v_add_nc_u32_e32 v5, s5, v5
	s_add_co_i32 s35, s28, 16
	s_add_co_i32 s34, s29, 16
	;; [unrolled: 14-line block ×4, first 2 shown]
	s_add_co_i32 s16, s68, 16
	s_add_co_i32 s14, s69, 16
	v_add_co_u32 v62, vcc_lo, s0, v6
	s_wait_alu 0xfffd
	v_add_co_ci_u32_e64 v63, null, s1, v7, vcc_lo
	v_ashrrev_i32_e32 v6, 31, v5
	s_add_co_i32 s11, s70, 16
	s_mov_b32 s15, 32
	s_mov_b32 s13, 48
	;; [unrolled: 1-line block ×3, first 2 shown]
	v_lshlrev_b64_e32 v[6:7], 4, v[5:6]
	v_add_nc_u32_e32 v5, s5, v5
	s_movk_i32 s4, 0x50
	s_delay_alu instid0(VALU_DEP_2) | instskip(SKIP_1) | instid1(VALU_DEP_3)
	v_add_co_u32 v64, vcc_lo, s0, v6
	s_wait_alu 0xfffd
	v_add_co_ci_u32_e64 v65, null, s1, v7, vcc_lo
	v_ashrrev_i32_e32 v6, 31, v5
	s_delay_alu instid0(VALU_DEP_1) | instskip(SKIP_1) | instid1(VALU_DEP_2)
	v_lshlrev_b64_e32 v[6:7], 4, v[5:6]
	v_add_nc_u32_e32 v5, s5, v5
	v_add_co_u32 v66, vcc_lo, s0, v6
	s_wait_alu 0xfffd
	s_delay_alu instid0(VALU_DEP_3) | instskip(NEXT) | instid1(VALU_DEP_3)
	v_add_co_ci_u32_e64 v67, null, s1, v7, vcc_lo
	v_ashrrev_i32_e32 v6, 31, v5
	s_delay_alu instid0(VALU_DEP_1) | instskip(SKIP_1) | instid1(VALU_DEP_2)
	v_lshlrev_b64_e32 v[6:7], 4, v[5:6]
	v_add_nc_u32_e32 v5, s5, v5
	v_add_co_u32 v68, vcc_lo, s0, v6
	s_wait_alu 0xfffd
	s_delay_alu instid0(VALU_DEP_3) | instskip(NEXT) | instid1(VALU_DEP_3)
	v_add_co_ci_u32_e64 v69, null, s1, v7, vcc_lo
	v_ashrrev_i32_e32 v6, 31, v5
	s_delay_alu instid0(VALU_DEP_1) | instskip(SKIP_1) | instid1(VALU_DEP_2)
	v_lshlrev_b64_e32 v[6:7], 4, v[5:6]
	v_add_nc_u32_e32 v5, s5, v5
	v_add_co_u32 v70, vcc_lo, s0, v6
	s_wait_alu 0xfffd
	s_delay_alu instid0(VALU_DEP_3) | instskip(NEXT) | instid1(VALU_DEP_3)
	v_add_co_ci_u32_e64 v71, null, s1, v7, vcc_lo
	v_ashrrev_i32_e32 v6, 31, v5
	s_delay_alu instid0(VALU_DEP_1) | instskip(SKIP_1) | instid1(VALU_DEP_2)
	v_lshlrev_b64_e32 v[6:7], 4, v[5:6]
	v_add_nc_u32_e32 v5, s5, v5
	v_add_co_u32 v72, vcc_lo, s0, v6
	s_wait_alu 0xfffd
	s_delay_alu instid0(VALU_DEP_3) | instskip(NEXT) | instid1(VALU_DEP_3)
	v_add_co_ci_u32_e64 v73, null, s1, v7, vcc_lo
	v_ashrrev_i32_e32 v6, 31, v5
	s_delay_alu instid0(VALU_DEP_1) | instskip(SKIP_1) | instid1(VALU_DEP_2)
	v_lshlrev_b64_e32 v[6:7], 4, v[5:6]
	v_add_nc_u32_e32 v5, s5, v5
	v_add_co_u32 v74, vcc_lo, s0, v6
	s_wait_alu 0xfffd
	s_delay_alu instid0(VALU_DEP_3) | instskip(NEXT) | instid1(VALU_DEP_3)
	v_add_co_ci_u32_e64 v75, null, s1, v7, vcc_lo
	v_ashrrev_i32_e32 v6, 31, v5
	s_delay_alu instid0(VALU_DEP_1) | instskip(SKIP_1) | instid1(VALU_DEP_2)
	v_lshlrev_b64_e32 v[6:7], 4, v[5:6]
	v_add_nc_u32_e32 v5, s5, v5
	v_add_co_u32 v76, vcc_lo, s0, v6
	s_wait_alu 0xfffd
	s_delay_alu instid0(VALU_DEP_3) | instskip(NEXT) | instid1(VALU_DEP_3)
	v_add_co_ci_u32_e64 v77, null, s1, v7, vcc_lo
	v_ashrrev_i32_e32 v6, 31, v5
	s_delay_alu instid0(VALU_DEP_1) | instskip(SKIP_1) | instid1(VALU_DEP_2)
	v_lshlrev_b64_e32 v[6:7], 4, v[5:6]
	v_add_nc_u32_e32 v5, s5, v5
	v_add_co_u32 v78, vcc_lo, s0, v6
	s_wait_alu 0xfffd
	s_delay_alu instid0(VALU_DEP_3) | instskip(NEXT) | instid1(VALU_DEP_3)
	v_add_co_ci_u32_e64 v79, null, s1, v7, vcc_lo
	v_ashrrev_i32_e32 v6, 31, v5
	s_delay_alu instid0(VALU_DEP_1) | instskip(SKIP_1) | instid1(VALU_DEP_2)
	v_lshlrev_b64_e32 v[6:7], 4, v[5:6]
	v_add_nc_u32_e32 v5, s5, v5
	v_add_co_u32 v80, vcc_lo, s0, v6
	s_wait_alu 0xfffd
	s_delay_alu instid0(VALU_DEP_3) | instskip(NEXT) | instid1(VALU_DEP_3)
	v_add_co_ci_u32_e64 v81, null, s1, v7, vcc_lo
	v_ashrrev_i32_e32 v6, 31, v5
	s_delay_alu instid0(VALU_DEP_1) | instskip(SKIP_1) | instid1(VALU_DEP_2)
	v_lshlrev_b64_e32 v[6:7], 4, v[5:6]
	v_add_nc_u32_e32 v5, s5, v5
	v_add_co_u32 v82, vcc_lo, s0, v6
	s_wait_alu 0xfffd
	s_delay_alu instid0(VALU_DEP_3) | instskip(NEXT) | instid1(VALU_DEP_3)
	v_add_co_ci_u32_e64 v83, null, s1, v7, vcc_lo
	v_ashrrev_i32_e32 v6, 31, v5
	s_delay_alu instid0(VALU_DEP_1) | instskip(SKIP_1) | instid1(VALU_DEP_2)
	v_lshlrev_b64_e32 v[6:7], 4, v[5:6]
	v_add_nc_u32_e32 v5, s5, v5
	v_add_co_u32 v84, vcc_lo, s0, v6
	s_wait_alu 0xfffd
	s_delay_alu instid0(VALU_DEP_3) | instskip(NEXT) | instid1(VALU_DEP_3)
	v_add_co_ci_u32_e64 v85, null, s1, v7, vcc_lo
	v_ashrrev_i32_e32 v6, 31, v5
	s_delay_alu instid0(VALU_DEP_1) | instskip(SKIP_1) | instid1(VALU_DEP_2)
	v_lshlrev_b64_e32 v[6:7], 4, v[5:6]
	v_add_nc_u32_e32 v5, s5, v5
	v_add_co_u32 v86, vcc_lo, s0, v6
	s_wait_alu 0xfffd
	s_delay_alu instid0(VALU_DEP_3) | instskip(NEXT) | instid1(VALU_DEP_3)
	v_add_co_ci_u32_e64 v87, null, s1, v7, vcc_lo
	v_ashrrev_i32_e32 v6, 31, v5
	s_delay_alu instid0(VALU_DEP_1) | instskip(SKIP_1) | instid1(VALU_DEP_2)
	v_lshlrev_b64_e32 v[6:7], 4, v[5:6]
	v_add_nc_u32_e32 v5, s5, v5
	v_add_co_u32 v88, vcc_lo, s0, v6
	s_wait_alu 0xfffd
	s_delay_alu instid0(VALU_DEP_3) | instskip(NEXT) | instid1(VALU_DEP_3)
	v_add_co_ci_u32_e64 v89, null, s1, v7, vcc_lo
	v_ashrrev_i32_e32 v6, 31, v5
	s_delay_alu instid0(VALU_DEP_1) | instskip(SKIP_1) | instid1(VALU_DEP_2)
	v_lshlrev_b64_e32 v[6:7], 4, v[5:6]
	v_add_nc_u32_e32 v5, s5, v5
	v_add_co_u32 v90, vcc_lo, s0, v6
	s_wait_alu 0xfffd
	s_delay_alu instid0(VALU_DEP_3) | instskip(NEXT) | instid1(VALU_DEP_3)
	v_add_co_ci_u32_e64 v91, null, s1, v7, vcc_lo
	v_ashrrev_i32_e32 v6, 31, v5
	s_delay_alu instid0(VALU_DEP_1)
	v_lshlrev_b64_e32 v[6:7], 4, v[5:6]
	s_wait_loadcnt_dscnt 0x0
	scratch_store_b128 off, v[1:4], off offset:16
	flat_load_b128 v[1:4], v[48:49]
	v_add_nc_u32_e32 v5, s5, v5
	v_add_co_u32 v92, vcc_lo, s0, v6
	s_wait_alu 0xfffd
	v_add_co_ci_u32_e64 v93, null, s1, v7, vcc_lo
	s_delay_alu instid0(VALU_DEP_3) | instskip(NEXT) | instid1(VALU_DEP_1)
	v_ashrrev_i32_e32 v6, 31, v5
	v_lshlrev_b64_e32 v[6:7], 4, v[5:6]
	v_add_nc_u32_e32 v5, s5, v5
	s_delay_alu instid0(VALU_DEP_2) | instskip(SKIP_1) | instid1(VALU_DEP_3)
	v_add_co_u32 v94, vcc_lo, s0, v6
	s_wait_alu 0xfffd
	v_add_co_ci_u32_e64 v95, null, s1, v7, vcc_lo
	s_delay_alu instid0(VALU_DEP_3) | instskip(NEXT) | instid1(VALU_DEP_1)
	v_ashrrev_i32_e32 v6, 31, v5
	v_lshlrev_b64_e32 v[6:7], 4, v[5:6]
	v_add_nc_u32_e32 v5, s5, v5
	s_delay_alu instid0(VALU_DEP_2) | instskip(SKIP_1) | instid1(VALU_DEP_3)
	;; [unrolled: 8-line block ×18, first 2 shown]
	v_add_co_u32 v128, vcc_lo, s0, v6
	s_wait_alu 0xfffd
	v_add_co_ci_u32_e64 v129, null, s1, v7, vcc_lo
	s_delay_alu instid0(VALU_DEP_3) | instskip(NEXT) | instid1(VALU_DEP_1)
	v_ashrrev_i32_e32 v6, 31, v5
	v_lshlrev_b64_e32 v[6:7], 4, v[5:6]
	v_add_nc_u32_e32 v5, s5, v5
	s_movk_i32 s5, 0x70
	s_wait_alu 0xfffe
	s_add_co_i32 s50, s5, 16
	s_add_co_i32 s5, s71, 16
	v_add_co_u32 v130, vcc_lo, s0, v6
	s_wait_alu 0xfffd
	v_add_co_ci_u32_e64 v131, null, s1, v7, vcc_lo
	v_ashrrev_i32_e32 v6, 31, v5
	s_delay_alu instid0(VALU_DEP_1) | instskip(NEXT) | instid1(VALU_DEP_1)
	v_lshlrev_b64_e32 v[5:6], 4, v[5:6]
	v_add_co_u32 v132, vcc_lo, s0, v5
	s_wait_alu 0xfffd
	s_delay_alu instid0(VALU_DEP_2)
	v_add_co_ci_u32_e64 v133, null, s1, v6, vcc_lo
	s_movk_i32 s0, 0x50
	s_movk_i32 s1, 0x60
	s_wait_alu 0xfffe
	s_add_co_i32 s52, s0, 16
	s_add_co_i32 s51, s1, 16
	s_bitcmp0_b32 s53, 0
	s_mov_b32 s1, -1
	s_wait_loadcnt_dscnt 0x0
	scratch_store_b128 off, v[1:4], off offset:32
	flat_load_b128 v[1:4], v[50:51]
	s_wait_loadcnt_dscnt 0x0
	scratch_store_b128 off, v[1:4], off offset:48
	flat_load_b128 v[1:4], v[52:53]
	;; [unrolled: 3-line block ×42, first 2 shown]
	s_wait_loadcnt_dscnt 0x0
	scratch_store_b128 off, v[1:4], off offset:704
	s_cbranch_scc1 .LBB107_188
; %bb.4:
	v_cmp_eq_u32_e64 s0, 0, v0
	s_and_saveexec_b32 s1, s0
; %bb.5:
	v_mov_b32_e32 v1, 0
	ds_store_b32 v1, v1 offset:1408
; %bb.6:
	s_wait_alu 0xfffe
	s_or_b32 exec_lo, exec_lo, s1
	s_wait_storecnt_dscnt 0x0
	s_barrier_signal -1
	s_barrier_wait -1
	global_inv scope:SCOPE_SE
	scratch_load_b128 v[1:4], v13, off offset:16
	s_wait_loadcnt 0x0
	v_cmp_eq_f64_e32 vcc_lo, 0, v[1:2]
	v_cmp_eq_f64_e64 s1, 0, v[3:4]
	s_and_b32 s1, vcc_lo, s1
	s_wait_alu 0xfffe
	s_and_saveexec_b32 s53, s1
	s_cbranch_execz .LBB107_10
; %bb.7:
	v_mov_b32_e32 v1, 0
	s_mov_b32 s54, 0
	ds_load_b32 v2, v1 offset:1408
	s_wait_dscnt 0x0
	v_readfirstlane_b32 s1, v2
	v_add_nc_u32_e32 v2, 1, v0
	s_cmp_eq_u32 s1, 0
	s_delay_alu instid0(VALU_DEP_1) | instskip(SKIP_1) | instid1(SALU_CYCLE_1)
	v_cmp_gt_i32_e32 vcc_lo, s1, v2
	s_cselect_b32 s55, -1, 0
	s_or_b32 s55, s55, vcc_lo
	s_delay_alu instid0(SALU_CYCLE_1)
	s_and_b32 exec_lo, exec_lo, s55
	s_cbranch_execz .LBB107_10
; %bb.8:
	v_mov_b32_e32 v3, s1
.LBB107_9:                              ; =>This Inner Loop Header: Depth=1
	ds_cmpstore_rtn_b32 v3, v1, v2, v3 offset:1408
	s_wait_dscnt 0x0
	v_cmp_ne_u32_e32 vcc_lo, 0, v3
	v_cmp_le_i32_e64 s1, v3, v2
	s_and_b32 s1, vcc_lo, s1
	s_wait_alu 0xfffe
	s_and_b32 s1, exec_lo, s1
	s_wait_alu 0xfffe
	s_or_b32 s54, s1, s54
	s_delay_alu instid0(SALU_CYCLE_1)
	s_and_not1_b32 exec_lo, exec_lo, s54
	s_cbranch_execnz .LBB107_9
.LBB107_10:
	s_or_b32 exec_lo, exec_lo, s53
	v_mov_b32_e32 v1, 0
	s_barrier_signal -1
	s_barrier_wait -1
	global_inv scope:SCOPE_SE
	ds_load_b32 v2, v1 offset:1408
	s_and_saveexec_b32 s1, s0
	s_cbranch_execz .LBB107_12
; %bb.11:
	s_lshl_b64 s[54:55], s[8:9], 2
	s_delay_alu instid0(SALU_CYCLE_1)
	s_add_nc_u64 s[54:55], s[6:7], s[54:55]
	s_wait_dscnt 0x0
	global_store_b32 v1, v2, s[54:55]
.LBB107_12:
	s_wait_alu 0xfffe
	s_or_b32 exec_lo, exec_lo, s1
	s_wait_dscnt 0x0
	v_cmp_ne_u32_e32 vcc_lo, 0, v2
	s_mov_b32 s1, 0
	s_cbranch_vccnz .LBB107_188
; %bb.13:
	v_add_nc_u32_e32 v14, 16, v13
                                        ; implicit-def: $vgpr1_vgpr2
                                        ; implicit-def: $vgpr9_vgpr10
	scratch_load_b128 v[5:8], v14, off
	s_wait_loadcnt 0x0
	v_cmp_ngt_f64_e64 s1, |v[5:6]|, |v[7:8]|
	s_wait_alu 0xfffe
	s_and_saveexec_b32 s53, s1
	s_delay_alu instid0(SALU_CYCLE_1)
	s_xor_b32 s1, exec_lo, s53
	s_cbranch_execz .LBB107_15
; %bb.14:
	v_div_scale_f64 v[1:2], null, v[7:8], v[7:8], v[5:6]
	v_div_scale_f64 v[11:12], vcc_lo, v[5:6], v[7:8], v[5:6]
	s_delay_alu instid0(VALU_DEP_2) | instskip(NEXT) | instid1(TRANS32_DEP_1)
	v_rcp_f64_e32 v[3:4], v[1:2]
	v_fma_f64 v[9:10], -v[1:2], v[3:4], 1.0
	s_delay_alu instid0(VALU_DEP_1) | instskip(NEXT) | instid1(VALU_DEP_1)
	v_fma_f64 v[3:4], v[3:4], v[9:10], v[3:4]
	v_fma_f64 v[9:10], -v[1:2], v[3:4], 1.0
	s_delay_alu instid0(VALU_DEP_1) | instskip(NEXT) | instid1(VALU_DEP_1)
	v_fma_f64 v[3:4], v[3:4], v[9:10], v[3:4]
	v_mul_f64_e32 v[9:10], v[11:12], v[3:4]
	s_delay_alu instid0(VALU_DEP_1) | instskip(SKIP_1) | instid1(VALU_DEP_1)
	v_fma_f64 v[1:2], -v[1:2], v[9:10], v[11:12]
	s_wait_alu 0xfffd
	v_div_fmas_f64 v[1:2], v[1:2], v[3:4], v[9:10]
	s_delay_alu instid0(VALU_DEP_1) | instskip(NEXT) | instid1(VALU_DEP_1)
	v_div_fixup_f64 v[1:2], v[1:2], v[7:8], v[5:6]
	v_fma_f64 v[3:4], v[5:6], v[1:2], v[7:8]
	s_delay_alu instid0(VALU_DEP_1) | instskip(SKIP_1) | instid1(VALU_DEP_2)
	v_div_scale_f64 v[5:6], null, v[3:4], v[3:4], 1.0
	v_div_scale_f64 v[11:12], vcc_lo, 1.0, v[3:4], 1.0
	v_rcp_f64_e32 v[7:8], v[5:6]
	s_delay_alu instid0(TRANS32_DEP_1) | instskip(NEXT) | instid1(VALU_DEP_1)
	v_fma_f64 v[9:10], -v[5:6], v[7:8], 1.0
	v_fma_f64 v[7:8], v[7:8], v[9:10], v[7:8]
	s_delay_alu instid0(VALU_DEP_1) | instskip(NEXT) | instid1(VALU_DEP_1)
	v_fma_f64 v[9:10], -v[5:6], v[7:8], 1.0
	v_fma_f64 v[7:8], v[7:8], v[9:10], v[7:8]
	s_delay_alu instid0(VALU_DEP_1) | instskip(NEXT) | instid1(VALU_DEP_1)
	v_mul_f64_e32 v[9:10], v[11:12], v[7:8]
	v_fma_f64 v[5:6], -v[5:6], v[9:10], v[11:12]
	s_wait_alu 0xfffd
	s_delay_alu instid0(VALU_DEP_1) | instskip(NEXT) | instid1(VALU_DEP_1)
	v_div_fmas_f64 v[5:6], v[5:6], v[7:8], v[9:10]
	v_div_fixup_f64 v[3:4], v[5:6], v[3:4], 1.0
                                        ; implicit-def: $vgpr5_vgpr6
	s_delay_alu instid0(VALU_DEP_1) | instskip(SKIP_1) | instid1(VALU_DEP_2)
	v_mul_f64_e32 v[1:2], v[1:2], v[3:4]
	v_xor_b32_e32 v4, 0x80000000, v4
	v_xor_b32_e32 v10, 0x80000000, v2
	s_delay_alu instid0(VALU_DEP_3)
	v_mov_b32_e32 v9, v1
.LBB107_15:
	s_wait_alu 0xfffe
	s_and_not1_saveexec_b32 s1, s1
	s_cbranch_execz .LBB107_17
; %bb.16:
	v_div_scale_f64 v[1:2], null, v[5:6], v[5:6], v[7:8]
	v_div_scale_f64 v[11:12], vcc_lo, v[7:8], v[5:6], v[7:8]
	s_delay_alu instid0(VALU_DEP_2) | instskip(NEXT) | instid1(TRANS32_DEP_1)
	v_rcp_f64_e32 v[3:4], v[1:2]
	v_fma_f64 v[9:10], -v[1:2], v[3:4], 1.0
	s_delay_alu instid0(VALU_DEP_1) | instskip(NEXT) | instid1(VALU_DEP_1)
	v_fma_f64 v[3:4], v[3:4], v[9:10], v[3:4]
	v_fma_f64 v[9:10], -v[1:2], v[3:4], 1.0
	s_delay_alu instid0(VALU_DEP_1) | instskip(NEXT) | instid1(VALU_DEP_1)
	v_fma_f64 v[3:4], v[3:4], v[9:10], v[3:4]
	v_mul_f64_e32 v[9:10], v[11:12], v[3:4]
	s_delay_alu instid0(VALU_DEP_1) | instskip(SKIP_1) | instid1(VALU_DEP_1)
	v_fma_f64 v[1:2], -v[1:2], v[9:10], v[11:12]
	s_wait_alu 0xfffd
	v_div_fmas_f64 v[1:2], v[1:2], v[3:4], v[9:10]
	s_delay_alu instid0(VALU_DEP_1) | instskip(NEXT) | instid1(VALU_DEP_1)
	v_div_fixup_f64 v[3:4], v[1:2], v[5:6], v[7:8]
	v_fma_f64 v[1:2], v[7:8], v[3:4], v[5:6]
	s_delay_alu instid0(VALU_DEP_1) | instskip(NEXT) | instid1(VALU_DEP_1)
	v_div_scale_f64 v[5:6], null, v[1:2], v[1:2], 1.0
	v_rcp_f64_e32 v[7:8], v[5:6]
	s_delay_alu instid0(TRANS32_DEP_1) | instskip(NEXT) | instid1(VALU_DEP_1)
	v_fma_f64 v[9:10], -v[5:6], v[7:8], 1.0
	v_fma_f64 v[7:8], v[7:8], v[9:10], v[7:8]
	s_delay_alu instid0(VALU_DEP_1) | instskip(NEXT) | instid1(VALU_DEP_1)
	v_fma_f64 v[9:10], -v[5:6], v[7:8], 1.0
	v_fma_f64 v[7:8], v[7:8], v[9:10], v[7:8]
	v_div_scale_f64 v[9:10], vcc_lo, 1.0, v[1:2], 1.0
	s_delay_alu instid0(VALU_DEP_1) | instskip(NEXT) | instid1(VALU_DEP_1)
	v_mul_f64_e32 v[11:12], v[9:10], v[7:8]
	v_fma_f64 v[5:6], -v[5:6], v[11:12], v[9:10]
	s_wait_alu 0xfffd
	s_delay_alu instid0(VALU_DEP_1) | instskip(NEXT) | instid1(VALU_DEP_1)
	v_div_fmas_f64 v[5:6], v[5:6], v[7:8], v[11:12]
	v_div_fixup_f64 v[1:2], v[5:6], v[1:2], 1.0
	s_delay_alu instid0(VALU_DEP_1)
	v_mul_f64_e64 v[3:4], v[3:4], -v[1:2]
	v_xor_b32_e32 v10, 0x80000000, v2
	v_mov_b32_e32 v9, v1
.LBB107_17:
	s_wait_alu 0xfffe
	s_or_b32 exec_lo, exec_lo, s1
	scratch_store_b128 v14, v[1:4], off
	scratch_load_b128 v[15:18], off, s15
	v_xor_b32_e32 v12, 0x80000000, v4
	v_mov_b32_e32 v11, v3
	v_add_nc_u32_e32 v5, 0x2c0, v13
	ds_store_b128 v13, v[9:12]
	s_wait_loadcnt 0x0
	ds_store_b128 v13, v[15:18] offset:704
	s_wait_storecnt_dscnt 0x0
	s_barrier_signal -1
	s_barrier_wait -1
	global_inv scope:SCOPE_SE
	s_and_saveexec_b32 s1, s0
	s_cbranch_execz .LBB107_19
; %bb.18:
	scratch_load_b128 v[1:4], v14, off
	ds_load_b128 v[6:9], v5
	v_mov_b32_e32 v10, 0
	ds_load_b128 v[15:18], v10 offset:16
	s_wait_loadcnt_dscnt 0x1
	v_mul_f64_e32 v[10:11], v[6:7], v[3:4]
	v_mul_f64_e32 v[3:4], v[8:9], v[3:4]
	s_delay_alu instid0(VALU_DEP_2) | instskip(NEXT) | instid1(VALU_DEP_2)
	v_fma_f64 v[8:9], v[8:9], v[1:2], v[10:11]
	v_fma_f64 v[1:2], v[6:7], v[1:2], -v[3:4]
	s_delay_alu instid0(VALU_DEP_2) | instskip(NEXT) | instid1(VALU_DEP_2)
	v_add_f64_e32 v[3:4], 0, v[8:9]
	v_add_f64_e32 v[1:2], 0, v[1:2]
	s_wait_dscnt 0x0
	s_delay_alu instid0(VALU_DEP_2) | instskip(NEXT) | instid1(VALU_DEP_2)
	v_mul_f64_e32 v[6:7], v[3:4], v[17:18]
	v_mul_f64_e32 v[8:9], v[1:2], v[17:18]
	s_delay_alu instid0(VALU_DEP_2) | instskip(NEXT) | instid1(VALU_DEP_2)
	v_fma_f64 v[1:2], v[1:2], v[15:16], -v[6:7]
	v_fma_f64 v[3:4], v[3:4], v[15:16], v[8:9]
	scratch_store_b128 off, v[1:4], off offset:32
.LBB107_19:
	s_wait_alu 0xfffe
	s_or_b32 exec_lo, exec_lo, s1
	s_wait_loadcnt 0x0
	s_wait_storecnt 0x0
	s_barrier_signal -1
	s_barrier_wait -1
	global_inv scope:SCOPE_SE
	scratch_load_b128 v[1:4], off, s13
	s_mov_b32 s1, exec_lo
	s_wait_loadcnt 0x0
	ds_store_b128 v5, v[1:4]
	s_wait_dscnt 0x0
	s_barrier_signal -1
	s_barrier_wait -1
	global_inv scope:SCOPE_SE
	v_cmpx_gt_u32_e32 2, v0
	s_cbranch_execz .LBB107_23
; %bb.20:
	scratch_load_b128 v[1:4], v14, off
	ds_load_b128 v[6:9], v5
	s_wait_loadcnt_dscnt 0x0
	v_mul_f64_e32 v[10:11], v[8:9], v[3:4]
	v_mul_f64_e32 v[3:4], v[6:7], v[3:4]
	s_delay_alu instid0(VALU_DEP_2) | instskip(NEXT) | instid1(VALU_DEP_2)
	v_fma_f64 v[6:7], v[6:7], v[1:2], -v[10:11]
	v_fma_f64 v[3:4], v[8:9], v[1:2], v[3:4]
	s_delay_alu instid0(VALU_DEP_2) | instskip(NEXT) | instid1(VALU_DEP_2)
	v_add_f64_e32 v[1:2], 0, v[6:7]
	v_add_f64_e32 v[3:4], 0, v[3:4]
	s_and_saveexec_b32 s53, s0
	s_cbranch_execz .LBB107_22
; %bb.21:
	scratch_load_b128 v[6:9], off, off offset:32
	v_mov_b32_e32 v10, 0
	ds_load_b128 v[15:18], v10 offset:720
	s_wait_loadcnt_dscnt 0x0
	v_mul_f64_e32 v[10:11], v[15:16], v[8:9]
	v_mul_f64_e32 v[8:9], v[17:18], v[8:9]
	s_delay_alu instid0(VALU_DEP_2) | instskip(NEXT) | instid1(VALU_DEP_2)
	v_fma_f64 v[10:11], v[17:18], v[6:7], v[10:11]
	v_fma_f64 v[6:7], v[15:16], v[6:7], -v[8:9]
	s_delay_alu instid0(VALU_DEP_2) | instskip(NEXT) | instid1(VALU_DEP_2)
	v_add_f64_e32 v[3:4], v[3:4], v[10:11]
	v_add_f64_e32 v[1:2], v[1:2], v[6:7]
.LBB107_22:
	s_or_b32 exec_lo, exec_lo, s53
	v_mov_b32_e32 v6, 0
	ds_load_b128 v[6:9], v6 offset:32
	s_wait_dscnt 0x0
	v_mul_f64_e32 v[10:11], v[3:4], v[8:9]
	v_mul_f64_e32 v[8:9], v[1:2], v[8:9]
	s_delay_alu instid0(VALU_DEP_2) | instskip(NEXT) | instid1(VALU_DEP_2)
	v_fma_f64 v[1:2], v[1:2], v[6:7], -v[10:11]
	v_fma_f64 v[3:4], v[3:4], v[6:7], v[8:9]
	scratch_store_b128 off, v[1:4], off offset:48
.LBB107_23:
	s_wait_alu 0xfffe
	s_or_b32 exec_lo, exec_lo, s1
	s_wait_loadcnt 0x0
	s_wait_storecnt 0x0
	s_barrier_signal -1
	s_barrier_wait -1
	global_inv scope:SCOPE_SE
	scratch_load_b128 v[1:4], off, s10
	v_add_nc_u32_e32 v6, -1, v0
	s_mov_b32 s0, exec_lo
	s_wait_loadcnt 0x0
	ds_store_b128 v5, v[1:4]
	s_wait_dscnt 0x0
	s_barrier_signal -1
	s_barrier_wait -1
	global_inv scope:SCOPE_SE
	v_cmpx_gt_u32_e32 3, v0
	s_cbranch_execz .LBB107_27
; %bb.24:
	v_dual_mov_b32 v1, 0 :: v_dual_add_nc_u32 v8, 0x2c0, v13
	v_mov_b32_e32 v3, 0
	v_dual_mov_b32 v2, 0 :: v_dual_add_nc_u32 v7, -1, v0
	v_mov_b32_e32 v4, 0
	v_or_b32_e32 v9, 8, v14
	s_mov_b32 s1, 0
.LBB107_25:                             ; =>This Inner Loop Header: Depth=1
	scratch_load_b128 v[15:18], v9, off offset:-8
	ds_load_b128 v[19:22], v8
	v_add_nc_u32_e32 v7, 1, v7
	v_add_nc_u32_e32 v8, 16, v8
	v_add_nc_u32_e32 v9, 16, v9
	s_delay_alu instid0(VALU_DEP_3)
	v_cmp_lt_u32_e32 vcc_lo, 1, v7
	s_wait_alu 0xfffe
	s_or_b32 s1, vcc_lo, s1
	s_wait_loadcnt_dscnt 0x0
	v_mul_f64_e32 v[10:11], v[21:22], v[17:18]
	v_mul_f64_e32 v[17:18], v[19:20], v[17:18]
	s_delay_alu instid0(VALU_DEP_2) | instskip(NEXT) | instid1(VALU_DEP_2)
	v_fma_f64 v[10:11], v[19:20], v[15:16], -v[10:11]
	v_fma_f64 v[15:16], v[21:22], v[15:16], v[17:18]
	s_delay_alu instid0(VALU_DEP_2) | instskip(NEXT) | instid1(VALU_DEP_2)
	v_add_f64_e32 v[3:4], v[3:4], v[10:11]
	v_add_f64_e32 v[1:2], v[1:2], v[15:16]
	s_wait_alu 0xfffe
	s_and_not1_b32 exec_lo, exec_lo, s1
	s_cbranch_execnz .LBB107_25
; %bb.26:
	s_or_b32 exec_lo, exec_lo, s1
	v_mov_b32_e32 v7, 0
	ds_load_b128 v[7:10], v7 offset:48
	s_wait_dscnt 0x0
	v_mul_f64_e32 v[11:12], v[1:2], v[9:10]
	v_mul_f64_e32 v[15:16], v[3:4], v[9:10]
	s_delay_alu instid0(VALU_DEP_2) | instskip(NEXT) | instid1(VALU_DEP_2)
	v_fma_f64 v[9:10], v[3:4], v[7:8], -v[11:12]
	v_fma_f64 v[11:12], v[1:2], v[7:8], v[15:16]
	scratch_store_b128 off, v[9:12], off offset:64
.LBB107_27:
	s_wait_alu 0xfffe
	s_or_b32 exec_lo, exec_lo, s0
	s_wait_loadcnt 0x0
	s_wait_storecnt 0x0
	s_barrier_signal -1
	s_barrier_wait -1
	global_inv scope:SCOPE_SE
	scratch_load_b128 v[1:4], off, s4
	s_mov_b32 s0, exec_lo
	s_wait_loadcnt 0x0
	ds_store_b128 v5, v[1:4]
	s_wait_dscnt 0x0
	s_barrier_signal -1
	s_barrier_wait -1
	global_inv scope:SCOPE_SE
	v_cmpx_gt_u32_e32 4, v0
	s_cbranch_execz .LBB107_31
; %bb.28:
	v_dual_mov_b32 v1, 0 :: v_dual_add_nc_u32 v8, 0x2c0, v13
	v_mov_b32_e32 v3, 0
	v_dual_mov_b32 v2, 0 :: v_dual_add_nc_u32 v7, -1, v0
	v_mov_b32_e32 v4, 0
	v_or_b32_e32 v9, 8, v14
	s_mov_b32 s1, 0
.LBB107_29:                             ; =>This Inner Loop Header: Depth=1
	scratch_load_b128 v[15:18], v9, off offset:-8
	ds_load_b128 v[19:22], v8
	v_add_nc_u32_e32 v7, 1, v7
	v_add_nc_u32_e32 v8, 16, v8
	v_add_nc_u32_e32 v9, 16, v9
	s_delay_alu instid0(VALU_DEP_3)
	v_cmp_lt_u32_e32 vcc_lo, 2, v7
	s_wait_alu 0xfffe
	s_or_b32 s1, vcc_lo, s1
	s_wait_loadcnt_dscnt 0x0
	v_mul_f64_e32 v[10:11], v[21:22], v[17:18]
	v_mul_f64_e32 v[17:18], v[19:20], v[17:18]
	s_delay_alu instid0(VALU_DEP_2) | instskip(NEXT) | instid1(VALU_DEP_2)
	v_fma_f64 v[10:11], v[19:20], v[15:16], -v[10:11]
	v_fma_f64 v[15:16], v[21:22], v[15:16], v[17:18]
	s_delay_alu instid0(VALU_DEP_2) | instskip(NEXT) | instid1(VALU_DEP_2)
	v_add_f64_e32 v[3:4], v[3:4], v[10:11]
	v_add_f64_e32 v[1:2], v[1:2], v[15:16]
	s_wait_alu 0xfffe
	s_and_not1_b32 exec_lo, exec_lo, s1
	s_cbranch_execnz .LBB107_29
; %bb.30:
	s_or_b32 exec_lo, exec_lo, s1
	v_mov_b32_e32 v7, 0
	ds_load_b128 v[7:10], v7 offset:64
	s_wait_dscnt 0x0
	v_mul_f64_e32 v[11:12], v[1:2], v[9:10]
	v_mul_f64_e32 v[15:16], v[3:4], v[9:10]
	s_delay_alu instid0(VALU_DEP_2) | instskip(NEXT) | instid1(VALU_DEP_2)
	v_fma_f64 v[9:10], v[3:4], v[7:8], -v[11:12]
	v_fma_f64 v[11:12], v[1:2], v[7:8], v[15:16]
	scratch_store_b128 off, v[9:12], off offset:80
.LBB107_31:
	s_wait_alu 0xfffe
	s_or_b32 exec_lo, exec_lo, s0
	s_wait_loadcnt 0x0
	s_wait_storecnt 0x0
	s_barrier_signal -1
	s_barrier_wait -1
	global_inv scope:SCOPE_SE
	scratch_load_b128 v[1:4], off, s52
	;; [unrolled: 58-line block ×19, first 2 shown]
	s_mov_b32 s0, exec_lo
	s_wait_loadcnt 0x0
	ds_store_b128 v5, v[1:4]
	s_wait_dscnt 0x0
	s_barrier_signal -1
	s_barrier_wait -1
	global_inv scope:SCOPE_SE
	v_cmpx_gt_u32_e32 22, v0
	s_cbranch_execz .LBB107_103
; %bb.100:
	v_dual_mov_b32 v1, 0 :: v_dual_add_nc_u32 v8, 0x2c0, v13
	v_mov_b32_e32 v3, 0
	v_dual_mov_b32 v2, 0 :: v_dual_add_nc_u32 v7, -1, v0
	v_mov_b32_e32 v4, 0
	v_or_b32_e32 v9, 8, v14
	s_mov_b32 s1, 0
.LBB107_101:                            ; =>This Inner Loop Header: Depth=1
	scratch_load_b128 v[15:18], v9, off offset:-8
	ds_load_b128 v[19:22], v8
	v_add_nc_u32_e32 v7, 1, v7
	v_add_nc_u32_e32 v8, 16, v8
	v_add_nc_u32_e32 v9, 16, v9
	s_delay_alu instid0(VALU_DEP_3)
	v_cmp_lt_u32_e32 vcc_lo, 20, v7
	s_wait_alu 0xfffe
	s_or_b32 s1, vcc_lo, s1
	s_wait_loadcnt_dscnt 0x0
	v_mul_f64_e32 v[10:11], v[21:22], v[17:18]
	v_mul_f64_e32 v[17:18], v[19:20], v[17:18]
	s_delay_alu instid0(VALU_DEP_2) | instskip(NEXT) | instid1(VALU_DEP_2)
	v_fma_f64 v[10:11], v[19:20], v[15:16], -v[10:11]
	v_fma_f64 v[15:16], v[21:22], v[15:16], v[17:18]
	s_delay_alu instid0(VALU_DEP_2) | instskip(NEXT) | instid1(VALU_DEP_2)
	v_add_f64_e32 v[3:4], v[3:4], v[10:11]
	v_add_f64_e32 v[1:2], v[1:2], v[15:16]
	s_wait_alu 0xfffe
	s_and_not1_b32 exec_lo, exec_lo, s1
	s_cbranch_execnz .LBB107_101
; %bb.102:
	s_or_b32 exec_lo, exec_lo, s1
	v_mov_b32_e32 v7, 0
	ds_load_b128 v[7:10], v7 offset:352
	s_wait_dscnt 0x0
	v_mul_f64_e32 v[11:12], v[1:2], v[9:10]
	v_mul_f64_e32 v[15:16], v[3:4], v[9:10]
	s_delay_alu instid0(VALU_DEP_2) | instskip(NEXT) | instid1(VALU_DEP_2)
	v_fma_f64 v[9:10], v[3:4], v[7:8], -v[11:12]
	v_fma_f64 v[11:12], v[1:2], v[7:8], v[15:16]
	scratch_store_b128 off, v[9:12], off offset:368
.LBB107_103:
	s_wait_alu 0xfffe
	s_or_b32 exec_lo, exec_lo, s0
	s_wait_loadcnt 0x0
	s_wait_storecnt 0x0
	s_barrier_signal -1
	s_barrier_wait -1
	global_inv scope:SCOPE_SE
	scratch_load_b128 v[1:4], off, s34
	s_mov_b32 s0, exec_lo
	s_wait_loadcnt 0x0
	ds_store_b128 v5, v[1:4]
	s_wait_dscnt 0x0
	s_barrier_signal -1
	s_barrier_wait -1
	global_inv scope:SCOPE_SE
	v_cmpx_gt_u32_e32 23, v0
	s_cbranch_execz .LBB107_107
; %bb.104:
	v_dual_mov_b32 v1, 0 :: v_dual_add_nc_u32 v8, 0x2c0, v13
	v_mov_b32_e32 v3, 0
	v_dual_mov_b32 v2, 0 :: v_dual_add_nc_u32 v7, -1, v0
	v_mov_b32_e32 v4, 0
	v_or_b32_e32 v9, 8, v14
	s_mov_b32 s1, 0
.LBB107_105:                            ; =>This Inner Loop Header: Depth=1
	scratch_load_b128 v[15:18], v9, off offset:-8
	ds_load_b128 v[19:22], v8
	v_add_nc_u32_e32 v7, 1, v7
	v_add_nc_u32_e32 v8, 16, v8
	v_add_nc_u32_e32 v9, 16, v9
	s_delay_alu instid0(VALU_DEP_3)
	v_cmp_lt_u32_e32 vcc_lo, 21, v7
	s_wait_alu 0xfffe
	s_or_b32 s1, vcc_lo, s1
	s_wait_loadcnt_dscnt 0x0
	v_mul_f64_e32 v[10:11], v[21:22], v[17:18]
	v_mul_f64_e32 v[17:18], v[19:20], v[17:18]
	s_delay_alu instid0(VALU_DEP_2) | instskip(NEXT) | instid1(VALU_DEP_2)
	v_fma_f64 v[10:11], v[19:20], v[15:16], -v[10:11]
	v_fma_f64 v[15:16], v[21:22], v[15:16], v[17:18]
	s_delay_alu instid0(VALU_DEP_2) | instskip(NEXT) | instid1(VALU_DEP_2)
	v_add_f64_e32 v[3:4], v[3:4], v[10:11]
	v_add_f64_e32 v[1:2], v[1:2], v[15:16]
	s_wait_alu 0xfffe
	s_and_not1_b32 exec_lo, exec_lo, s1
	s_cbranch_execnz .LBB107_105
; %bb.106:
	s_or_b32 exec_lo, exec_lo, s1
	v_mov_b32_e32 v7, 0
	ds_load_b128 v[7:10], v7 offset:368
	s_wait_dscnt 0x0
	v_mul_f64_e32 v[11:12], v[1:2], v[9:10]
	v_mul_f64_e32 v[15:16], v[3:4], v[9:10]
	s_delay_alu instid0(VALU_DEP_2) | instskip(NEXT) | instid1(VALU_DEP_2)
	v_fma_f64 v[9:10], v[3:4], v[7:8], -v[11:12]
	v_fma_f64 v[11:12], v[1:2], v[7:8], v[15:16]
	scratch_store_b128 off, v[9:12], off offset:384
.LBB107_107:
	s_wait_alu 0xfffe
	s_or_b32 exec_lo, exec_lo, s0
	s_wait_loadcnt 0x0
	s_wait_storecnt 0x0
	s_barrier_signal -1
	s_barrier_wait -1
	global_inv scope:SCOPE_SE
	scratch_load_b128 v[1:4], off, s33
	;; [unrolled: 58-line block ×21, first 2 shown]
	s_mov_b32 s0, exec_lo
	s_wait_loadcnt 0x0
	ds_store_b128 v5, v[1:4]
	s_wait_dscnt 0x0
	s_barrier_signal -1
	s_barrier_wait -1
	global_inv scope:SCOPE_SE
	v_cmpx_ne_u32_e32 43, v0
	s_cbranch_execz .LBB107_187
; %bb.184:
	v_mov_b32_e32 v1, 0
	v_dual_mov_b32 v2, 0 :: v_dual_mov_b32 v3, 0
	v_mov_b32_e32 v4, 0
	v_or_b32_e32 v7, 8, v14
	s_mov_b32 s1, 0
.LBB107_185:                            ; =>This Inner Loop Header: Depth=1
	scratch_load_b128 v[8:11], v7, off offset:-8
	ds_load_b128 v[12:15], v5
	v_add_nc_u32_e32 v6, 1, v6
	v_add_nc_u32_e32 v5, 16, v5
	;; [unrolled: 1-line block ×3, first 2 shown]
	s_delay_alu instid0(VALU_DEP_3)
	v_cmp_lt_u32_e32 vcc_lo, 41, v6
	s_wait_alu 0xfffe
	s_or_b32 s1, vcc_lo, s1
	s_wait_loadcnt_dscnt 0x0
	v_mul_f64_e32 v[16:17], v[14:15], v[10:11]
	v_mul_f64_e32 v[10:11], v[12:13], v[10:11]
	s_delay_alu instid0(VALU_DEP_2) | instskip(NEXT) | instid1(VALU_DEP_2)
	v_fma_f64 v[12:13], v[12:13], v[8:9], -v[16:17]
	v_fma_f64 v[8:9], v[14:15], v[8:9], v[10:11]
	s_delay_alu instid0(VALU_DEP_2) | instskip(NEXT) | instid1(VALU_DEP_2)
	v_add_f64_e32 v[3:4], v[3:4], v[12:13]
	v_add_f64_e32 v[1:2], v[1:2], v[8:9]
	s_wait_alu 0xfffe
	s_and_not1_b32 exec_lo, exec_lo, s1
	s_cbranch_execnz .LBB107_185
; %bb.186:
	s_or_b32 exec_lo, exec_lo, s1
	v_mov_b32_e32 v5, 0
	ds_load_b128 v[5:8], v5 offset:688
	s_wait_dscnt 0x0
	v_mul_f64_e32 v[9:10], v[1:2], v[7:8]
	v_mul_f64_e32 v[7:8], v[3:4], v[7:8]
	s_delay_alu instid0(VALU_DEP_2) | instskip(NEXT) | instid1(VALU_DEP_2)
	v_fma_f64 v[3:4], v[3:4], v[5:6], -v[9:10]
	v_fma_f64 v[5:6], v[1:2], v[5:6], v[7:8]
	scratch_store_b128 off, v[3:6], off offset:704
.LBB107_187:
	s_wait_alu 0xfffe
	s_or_b32 exec_lo, exec_lo, s0
	s_mov_b32 s1, -1
	s_wait_loadcnt 0x0
	s_wait_storecnt 0x0
	s_barrier_signal -1
	s_barrier_wait -1
	global_inv scope:SCOPE_SE
.LBB107_188:
	s_wait_alu 0xfffe
	s_and_b32 vcc_lo, exec_lo, s1
	s_wait_alu 0xfffe
	s_cbranch_vccz .LBB107_190
; %bb.189:
	v_mov_b32_e32 v1, 0
	s_lshl_b64 s[0:1], s[8:9], 2
	s_wait_alu 0xfffe
	s_add_nc_u64 s[0:1], s[6:7], s[0:1]
	global_load_b32 v1, v1, s[0:1]
	s_wait_loadcnt 0x0
	v_cmp_ne_u32_e32 vcc_lo, 0, v1
	s_cbranch_vccz .LBB107_191
.LBB107_190:
	s_nop 0
	s_sendmsg sendmsg(MSG_DEALLOC_VGPRS)
	s_endpgm
.LBB107_191:
	v_lshl_add_u32 v134, v0, 4, 0x2c0
	s_mov_b32 s0, exec_lo
	v_cmpx_eq_u32_e32 43, v0
	s_cbranch_execz .LBB107_193
; %bb.192:
	scratch_load_b128 v[1:4], off, s11
	v_mov_b32_e32 v5, 0
	s_delay_alu instid0(VALU_DEP_1)
	v_dual_mov_b32 v6, v5 :: v_dual_mov_b32 v7, v5
	v_mov_b32_e32 v8, v5
	scratch_store_b128 off, v[5:8], off offset:688
	s_wait_loadcnt 0x0
	ds_store_b128 v134, v[1:4]
.LBB107_193:
	s_wait_alu 0xfffe
	s_or_b32 exec_lo, exec_lo, s0
	s_wait_storecnt_dscnt 0x0
	s_barrier_signal -1
	s_barrier_wait -1
	global_inv scope:SCOPE_SE
	s_clause 0x1
	scratch_load_b128 v[2:5], off, off offset:704
	scratch_load_b128 v[6:9], off, off offset:688
	v_mov_b32_e32 v1, 0
	s_mov_b32 s0, exec_lo
	ds_load_b128 v[10:13], v1 offset:1392
	s_wait_loadcnt_dscnt 0x100
	v_mul_f64_e32 v[14:15], v[12:13], v[4:5]
	v_mul_f64_e32 v[4:5], v[10:11], v[4:5]
	s_delay_alu instid0(VALU_DEP_2) | instskip(NEXT) | instid1(VALU_DEP_2)
	v_fma_f64 v[10:11], v[10:11], v[2:3], -v[14:15]
	v_fma_f64 v[2:3], v[12:13], v[2:3], v[4:5]
	s_delay_alu instid0(VALU_DEP_2) | instskip(NEXT) | instid1(VALU_DEP_2)
	v_add_f64_e32 v[4:5], 0, v[10:11]
	v_add_f64_e32 v[10:11], 0, v[2:3]
	s_wait_loadcnt 0x0
	s_delay_alu instid0(VALU_DEP_2) | instskip(NEXT) | instid1(VALU_DEP_2)
	v_add_f64_e64 v[2:3], v[6:7], -v[4:5]
	v_add_f64_e64 v[4:5], v[8:9], -v[10:11]
	scratch_store_b128 off, v[2:5], off offset:688
	v_cmpx_lt_u32_e32 41, v0
	s_cbranch_execz .LBB107_195
; %bb.194:
	scratch_load_b128 v[5:8], off, s14
	v_dual_mov_b32 v2, v1 :: v_dual_mov_b32 v3, v1
	v_mov_b32_e32 v4, v1
	scratch_store_b128 off, v[1:4], off offset:672
	s_wait_loadcnt 0x0
	ds_store_b128 v134, v[5:8]
.LBB107_195:
	s_wait_alu 0xfffe
	s_or_b32 exec_lo, exec_lo, s0
	s_wait_storecnt_dscnt 0x0
	s_barrier_signal -1
	s_barrier_wait -1
	global_inv scope:SCOPE_SE
	s_clause 0x2
	scratch_load_b128 v[2:5], off, off offset:688
	scratch_load_b128 v[6:9], off, off offset:704
	;; [unrolled: 1-line block ×3, first 2 shown]
	ds_load_b128 v[14:17], v1 offset:1376
	ds_load_b128 v[18:21], v1 offset:1392
	s_mov_b32 s0, exec_lo
	s_wait_loadcnt_dscnt 0x201
	v_mul_f64_e32 v[22:23], v[16:17], v[4:5]
	v_mul_f64_e32 v[4:5], v[14:15], v[4:5]
	s_wait_loadcnt_dscnt 0x100
	v_mul_f64_e32 v[24:25], v[18:19], v[8:9]
	v_mul_f64_e32 v[8:9], v[20:21], v[8:9]
	s_delay_alu instid0(VALU_DEP_4) | instskip(NEXT) | instid1(VALU_DEP_4)
	v_fma_f64 v[14:15], v[14:15], v[2:3], -v[22:23]
	v_fma_f64 v[1:2], v[16:17], v[2:3], v[4:5]
	s_delay_alu instid0(VALU_DEP_4) | instskip(NEXT) | instid1(VALU_DEP_4)
	v_fma_f64 v[3:4], v[20:21], v[6:7], v[24:25]
	v_fma_f64 v[5:6], v[18:19], v[6:7], -v[8:9]
	s_delay_alu instid0(VALU_DEP_4) | instskip(NEXT) | instid1(VALU_DEP_4)
	v_add_f64_e32 v[7:8], 0, v[14:15]
	v_add_f64_e32 v[1:2], 0, v[1:2]
	s_delay_alu instid0(VALU_DEP_2) | instskip(NEXT) | instid1(VALU_DEP_2)
	v_add_f64_e32 v[5:6], v[7:8], v[5:6]
	v_add_f64_e32 v[3:4], v[1:2], v[3:4]
	s_wait_loadcnt 0x0
	s_delay_alu instid0(VALU_DEP_2) | instskip(NEXT) | instid1(VALU_DEP_2)
	v_add_f64_e64 v[1:2], v[10:11], -v[5:6]
	v_add_f64_e64 v[3:4], v[12:13], -v[3:4]
	scratch_store_b128 off, v[1:4], off offset:672
	v_cmpx_lt_u32_e32 40, v0
	s_cbranch_execz .LBB107_197
; %bb.196:
	scratch_load_b128 v[1:4], off, s16
	v_mov_b32_e32 v5, 0
	s_delay_alu instid0(VALU_DEP_1)
	v_dual_mov_b32 v6, v5 :: v_dual_mov_b32 v7, v5
	v_mov_b32_e32 v8, v5
	scratch_store_b128 off, v[5:8], off offset:656
	s_wait_loadcnt 0x0
	ds_store_b128 v134, v[1:4]
.LBB107_197:
	s_wait_alu 0xfffe
	s_or_b32 exec_lo, exec_lo, s0
	s_wait_storecnt_dscnt 0x0
	s_barrier_signal -1
	s_barrier_wait -1
	global_inv scope:SCOPE_SE
	s_clause 0x3
	scratch_load_b128 v[2:5], off, off offset:672
	scratch_load_b128 v[6:9], off, off offset:688
	;; [unrolled: 1-line block ×4, first 2 shown]
	v_mov_b32_e32 v1, 0
	ds_load_b128 v[18:21], v1 offset:1360
	ds_load_b128 v[22:25], v1 offset:1376
	s_mov_b32 s0, exec_lo
	s_wait_loadcnt_dscnt 0x301
	v_mul_f64_e32 v[26:27], v[20:21], v[4:5]
	v_mul_f64_e32 v[4:5], v[18:19], v[4:5]
	s_wait_loadcnt_dscnt 0x200
	v_mul_f64_e32 v[28:29], v[22:23], v[8:9]
	v_mul_f64_e32 v[8:9], v[24:25], v[8:9]
	s_delay_alu instid0(VALU_DEP_4) | instskip(NEXT) | instid1(VALU_DEP_4)
	v_fma_f64 v[18:19], v[18:19], v[2:3], -v[26:27]
	v_fma_f64 v[20:21], v[20:21], v[2:3], v[4:5]
	ds_load_b128 v[2:5], v1 offset:1392
	v_fma_f64 v[24:25], v[24:25], v[6:7], v[28:29]
	v_fma_f64 v[6:7], v[22:23], v[6:7], -v[8:9]
	s_wait_loadcnt_dscnt 0x100
	v_mul_f64_e32 v[26:27], v[2:3], v[12:13]
	v_mul_f64_e32 v[12:13], v[4:5], v[12:13]
	v_add_f64_e32 v[8:9], 0, v[18:19]
	v_add_f64_e32 v[18:19], 0, v[20:21]
	s_delay_alu instid0(VALU_DEP_4) | instskip(NEXT) | instid1(VALU_DEP_4)
	v_fma_f64 v[4:5], v[4:5], v[10:11], v[26:27]
	v_fma_f64 v[2:3], v[2:3], v[10:11], -v[12:13]
	s_delay_alu instid0(VALU_DEP_4) | instskip(NEXT) | instid1(VALU_DEP_4)
	v_add_f64_e32 v[6:7], v[8:9], v[6:7]
	v_add_f64_e32 v[8:9], v[18:19], v[24:25]
	s_delay_alu instid0(VALU_DEP_2) | instskip(NEXT) | instid1(VALU_DEP_2)
	v_add_f64_e32 v[2:3], v[6:7], v[2:3]
	v_add_f64_e32 v[4:5], v[8:9], v[4:5]
	s_wait_loadcnt 0x0
	s_delay_alu instid0(VALU_DEP_2) | instskip(NEXT) | instid1(VALU_DEP_2)
	v_add_f64_e64 v[2:3], v[14:15], -v[2:3]
	v_add_f64_e64 v[4:5], v[16:17], -v[4:5]
	scratch_store_b128 off, v[2:5], off offset:656
	v_cmpx_lt_u32_e32 39, v0
	s_cbranch_execz .LBB107_199
; %bb.198:
	scratch_load_b128 v[5:8], off, s17
	v_dual_mov_b32 v2, v1 :: v_dual_mov_b32 v3, v1
	v_mov_b32_e32 v4, v1
	scratch_store_b128 off, v[1:4], off offset:640
	s_wait_loadcnt 0x0
	ds_store_b128 v134, v[5:8]
.LBB107_199:
	s_wait_alu 0xfffe
	s_or_b32 exec_lo, exec_lo, s0
	s_wait_storecnt_dscnt 0x0
	s_barrier_signal -1
	s_barrier_wait -1
	global_inv scope:SCOPE_SE
	s_clause 0x4
	scratch_load_b128 v[2:5], off, off offset:656
	scratch_load_b128 v[6:9], off, off offset:672
	;; [unrolled: 1-line block ×5, first 2 shown]
	ds_load_b128 v[22:25], v1 offset:1344
	ds_load_b128 v[26:29], v1 offset:1360
	s_mov_b32 s0, exec_lo
	s_wait_loadcnt_dscnt 0x401
	v_mul_f64_e32 v[30:31], v[24:25], v[4:5]
	v_mul_f64_e32 v[4:5], v[22:23], v[4:5]
	s_wait_loadcnt_dscnt 0x300
	v_mul_f64_e32 v[32:33], v[26:27], v[8:9]
	v_mul_f64_e32 v[8:9], v[28:29], v[8:9]
	s_delay_alu instid0(VALU_DEP_4) | instskip(NEXT) | instid1(VALU_DEP_4)
	v_fma_f64 v[30:31], v[22:23], v[2:3], -v[30:31]
	v_fma_f64 v[34:35], v[24:25], v[2:3], v[4:5]
	ds_load_b128 v[2:5], v1 offset:1376
	ds_load_b128 v[22:25], v1 offset:1392
	v_fma_f64 v[28:29], v[28:29], v[6:7], v[32:33]
	v_fma_f64 v[6:7], v[26:27], v[6:7], -v[8:9]
	s_wait_loadcnt_dscnt 0x201
	v_mul_f64_e32 v[36:37], v[2:3], v[12:13]
	v_mul_f64_e32 v[12:13], v[4:5], v[12:13]
	v_add_f64_e32 v[8:9], 0, v[30:31]
	v_add_f64_e32 v[26:27], 0, v[34:35]
	s_wait_loadcnt_dscnt 0x100
	v_mul_f64_e32 v[30:31], v[22:23], v[16:17]
	v_mul_f64_e32 v[16:17], v[24:25], v[16:17]
	v_fma_f64 v[4:5], v[4:5], v[10:11], v[36:37]
	v_fma_f64 v[1:2], v[2:3], v[10:11], -v[12:13]
	v_add_f64_e32 v[6:7], v[8:9], v[6:7]
	v_add_f64_e32 v[8:9], v[26:27], v[28:29]
	v_fma_f64 v[10:11], v[24:25], v[14:15], v[30:31]
	v_fma_f64 v[12:13], v[22:23], v[14:15], -v[16:17]
	s_delay_alu instid0(VALU_DEP_4) | instskip(NEXT) | instid1(VALU_DEP_4)
	v_add_f64_e32 v[1:2], v[6:7], v[1:2]
	v_add_f64_e32 v[3:4], v[8:9], v[4:5]
	s_delay_alu instid0(VALU_DEP_2) | instskip(NEXT) | instid1(VALU_DEP_2)
	v_add_f64_e32 v[1:2], v[1:2], v[12:13]
	v_add_f64_e32 v[3:4], v[3:4], v[10:11]
	s_wait_loadcnt 0x0
	s_delay_alu instid0(VALU_DEP_2) | instskip(NEXT) | instid1(VALU_DEP_2)
	v_add_f64_e64 v[1:2], v[18:19], -v[1:2]
	v_add_f64_e64 v[3:4], v[20:21], -v[3:4]
	scratch_store_b128 off, v[1:4], off offset:640
	v_cmpx_lt_u32_e32 38, v0
	s_cbranch_execz .LBB107_201
; %bb.200:
	scratch_load_b128 v[1:4], off, s18
	v_mov_b32_e32 v5, 0
	s_delay_alu instid0(VALU_DEP_1)
	v_dual_mov_b32 v6, v5 :: v_dual_mov_b32 v7, v5
	v_mov_b32_e32 v8, v5
	scratch_store_b128 off, v[5:8], off offset:624
	s_wait_loadcnt 0x0
	ds_store_b128 v134, v[1:4]
.LBB107_201:
	s_wait_alu 0xfffe
	s_or_b32 exec_lo, exec_lo, s0
	s_wait_storecnt_dscnt 0x0
	s_barrier_signal -1
	s_barrier_wait -1
	global_inv scope:SCOPE_SE
	s_clause 0x5
	scratch_load_b128 v[2:5], off, off offset:640
	scratch_load_b128 v[6:9], off, off offset:656
	;; [unrolled: 1-line block ×6, first 2 shown]
	v_mov_b32_e32 v1, 0
	ds_load_b128 v[26:29], v1 offset:1328
	ds_load_b128 v[30:33], v1 offset:1344
	s_mov_b32 s0, exec_lo
	s_wait_loadcnt_dscnt 0x501
	v_mul_f64_e32 v[34:35], v[28:29], v[4:5]
	v_mul_f64_e32 v[4:5], v[26:27], v[4:5]
	s_wait_loadcnt_dscnt 0x400
	v_mul_f64_e32 v[36:37], v[30:31], v[8:9]
	v_mul_f64_e32 v[8:9], v[32:33], v[8:9]
	s_delay_alu instid0(VALU_DEP_4) | instskip(NEXT) | instid1(VALU_DEP_4)
	v_fma_f64 v[34:35], v[26:27], v[2:3], -v[34:35]
	v_fma_f64 v[38:39], v[28:29], v[2:3], v[4:5]
	ds_load_b128 v[2:5], v1 offset:1360
	ds_load_b128 v[26:29], v1 offset:1376
	v_fma_f64 v[32:33], v[32:33], v[6:7], v[36:37]
	v_fma_f64 v[6:7], v[30:31], v[6:7], -v[8:9]
	s_wait_loadcnt_dscnt 0x301
	v_mul_f64_e32 v[40:41], v[2:3], v[12:13]
	v_mul_f64_e32 v[12:13], v[4:5], v[12:13]
	v_add_f64_e32 v[8:9], 0, v[34:35]
	v_add_f64_e32 v[30:31], 0, v[38:39]
	s_wait_loadcnt_dscnt 0x200
	v_mul_f64_e32 v[34:35], v[26:27], v[16:17]
	v_mul_f64_e32 v[16:17], v[28:29], v[16:17]
	v_fma_f64 v[36:37], v[4:5], v[10:11], v[40:41]
	v_fma_f64 v[10:11], v[2:3], v[10:11], -v[12:13]
	ds_load_b128 v[2:5], v1 offset:1392
	v_add_f64_e32 v[6:7], v[8:9], v[6:7]
	v_add_f64_e32 v[8:9], v[30:31], v[32:33]
	v_fma_f64 v[28:29], v[28:29], v[14:15], v[34:35]
	v_fma_f64 v[14:15], v[26:27], v[14:15], -v[16:17]
	s_wait_loadcnt_dscnt 0x100
	v_mul_f64_e32 v[12:13], v[2:3], v[20:21]
	v_mul_f64_e32 v[20:21], v[4:5], v[20:21]
	v_add_f64_e32 v[6:7], v[6:7], v[10:11]
	v_add_f64_e32 v[8:9], v[8:9], v[36:37]
	s_delay_alu instid0(VALU_DEP_4) | instskip(NEXT) | instid1(VALU_DEP_4)
	v_fma_f64 v[4:5], v[4:5], v[18:19], v[12:13]
	v_fma_f64 v[2:3], v[2:3], v[18:19], -v[20:21]
	s_delay_alu instid0(VALU_DEP_4) | instskip(NEXT) | instid1(VALU_DEP_4)
	v_add_f64_e32 v[6:7], v[6:7], v[14:15]
	v_add_f64_e32 v[8:9], v[8:9], v[28:29]
	s_delay_alu instid0(VALU_DEP_2) | instskip(NEXT) | instid1(VALU_DEP_2)
	v_add_f64_e32 v[2:3], v[6:7], v[2:3]
	v_add_f64_e32 v[4:5], v[8:9], v[4:5]
	s_wait_loadcnt 0x0
	s_delay_alu instid0(VALU_DEP_2) | instskip(NEXT) | instid1(VALU_DEP_2)
	v_add_f64_e64 v[2:3], v[22:23], -v[2:3]
	v_add_f64_e64 v[4:5], v[24:25], -v[4:5]
	scratch_store_b128 off, v[2:5], off offset:624
	v_cmpx_lt_u32_e32 37, v0
	s_cbranch_execz .LBB107_203
; %bb.202:
	scratch_load_b128 v[5:8], off, s19
	v_dual_mov_b32 v2, v1 :: v_dual_mov_b32 v3, v1
	v_mov_b32_e32 v4, v1
	scratch_store_b128 off, v[1:4], off offset:608
	s_wait_loadcnt 0x0
	ds_store_b128 v134, v[5:8]
.LBB107_203:
	s_wait_alu 0xfffe
	s_or_b32 exec_lo, exec_lo, s0
	s_wait_storecnt_dscnt 0x0
	s_barrier_signal -1
	s_barrier_wait -1
	global_inv scope:SCOPE_SE
	s_clause 0x5
	scratch_load_b128 v[2:5], off, off offset:624
	scratch_load_b128 v[6:9], off, off offset:640
	;; [unrolled: 1-line block ×6, first 2 shown]
	ds_load_b128 v[26:29], v1 offset:1312
	ds_load_b128 v[34:37], v1 offset:1328
	scratch_load_b128 v[30:33], off, off offset:608
	s_mov_b32 s0, exec_lo
	s_wait_loadcnt_dscnt 0x601
	v_mul_f64_e32 v[38:39], v[28:29], v[4:5]
	v_mul_f64_e32 v[4:5], v[26:27], v[4:5]
	s_wait_loadcnt_dscnt 0x500
	v_mul_f64_e32 v[40:41], v[34:35], v[8:9]
	v_mul_f64_e32 v[8:9], v[36:37], v[8:9]
	s_delay_alu instid0(VALU_DEP_4) | instskip(NEXT) | instid1(VALU_DEP_4)
	v_fma_f64 v[38:39], v[26:27], v[2:3], -v[38:39]
	v_fma_f64 v[42:43], v[28:29], v[2:3], v[4:5]
	ds_load_b128 v[2:5], v1 offset:1344
	ds_load_b128 v[26:29], v1 offset:1360
	v_fma_f64 v[36:37], v[36:37], v[6:7], v[40:41]
	v_fma_f64 v[6:7], v[34:35], v[6:7], -v[8:9]
	s_wait_loadcnt_dscnt 0x401
	v_mul_f64_e32 v[44:45], v[2:3], v[12:13]
	v_mul_f64_e32 v[12:13], v[4:5], v[12:13]
	v_add_f64_e32 v[8:9], 0, v[38:39]
	v_add_f64_e32 v[34:35], 0, v[42:43]
	s_wait_loadcnt_dscnt 0x300
	v_mul_f64_e32 v[38:39], v[26:27], v[16:17]
	v_mul_f64_e32 v[16:17], v[28:29], v[16:17]
	v_fma_f64 v[40:41], v[4:5], v[10:11], v[44:45]
	v_fma_f64 v[10:11], v[2:3], v[10:11], -v[12:13]
	v_add_f64_e32 v[12:13], v[8:9], v[6:7]
	v_add_f64_e32 v[34:35], v[34:35], v[36:37]
	ds_load_b128 v[2:5], v1 offset:1376
	ds_load_b128 v[6:9], v1 offset:1392
	v_fma_f64 v[28:29], v[28:29], v[14:15], v[38:39]
	v_fma_f64 v[14:15], v[26:27], v[14:15], -v[16:17]
	s_wait_loadcnt_dscnt 0x201
	v_mul_f64_e32 v[36:37], v[2:3], v[20:21]
	v_mul_f64_e32 v[20:21], v[4:5], v[20:21]
	s_wait_loadcnt_dscnt 0x100
	v_mul_f64_e32 v[16:17], v[6:7], v[24:25]
	v_mul_f64_e32 v[24:25], v[8:9], v[24:25]
	v_add_f64_e32 v[10:11], v[12:13], v[10:11]
	v_add_f64_e32 v[12:13], v[34:35], v[40:41]
	v_fma_f64 v[4:5], v[4:5], v[18:19], v[36:37]
	v_fma_f64 v[1:2], v[2:3], v[18:19], -v[20:21]
	v_fma_f64 v[8:9], v[8:9], v[22:23], v[16:17]
	v_fma_f64 v[6:7], v[6:7], v[22:23], -v[24:25]
	v_add_f64_e32 v[10:11], v[10:11], v[14:15]
	v_add_f64_e32 v[12:13], v[12:13], v[28:29]
	s_delay_alu instid0(VALU_DEP_2) | instskip(NEXT) | instid1(VALU_DEP_2)
	v_add_f64_e32 v[1:2], v[10:11], v[1:2]
	v_add_f64_e32 v[3:4], v[12:13], v[4:5]
	s_delay_alu instid0(VALU_DEP_2) | instskip(NEXT) | instid1(VALU_DEP_2)
	v_add_f64_e32 v[1:2], v[1:2], v[6:7]
	v_add_f64_e32 v[3:4], v[3:4], v[8:9]
	s_wait_loadcnt 0x0
	s_delay_alu instid0(VALU_DEP_2) | instskip(NEXT) | instid1(VALU_DEP_2)
	v_add_f64_e64 v[1:2], v[30:31], -v[1:2]
	v_add_f64_e64 v[3:4], v[32:33], -v[3:4]
	scratch_store_b128 off, v[1:4], off offset:608
	v_cmpx_lt_u32_e32 36, v0
	s_cbranch_execz .LBB107_205
; %bb.204:
	scratch_load_b128 v[1:4], off, s20
	v_mov_b32_e32 v5, 0
	s_delay_alu instid0(VALU_DEP_1)
	v_dual_mov_b32 v6, v5 :: v_dual_mov_b32 v7, v5
	v_mov_b32_e32 v8, v5
	scratch_store_b128 off, v[5:8], off offset:592
	s_wait_loadcnt 0x0
	ds_store_b128 v134, v[1:4]
.LBB107_205:
	s_wait_alu 0xfffe
	s_or_b32 exec_lo, exec_lo, s0
	s_wait_storecnt_dscnt 0x0
	s_barrier_signal -1
	s_barrier_wait -1
	global_inv scope:SCOPE_SE
	s_clause 0x6
	scratch_load_b128 v[2:5], off, off offset:608
	scratch_load_b128 v[6:9], off, off offset:624
	;; [unrolled: 1-line block ×7, first 2 shown]
	v_mov_b32_e32 v1, 0
	scratch_load_b128 v[34:37], off, off offset:592
	s_mov_b32 s0, exec_lo
	ds_load_b128 v[30:33], v1 offset:1296
	ds_load_b128 v[38:41], v1 offset:1312
	s_wait_loadcnt_dscnt 0x701
	v_mul_f64_e32 v[42:43], v[32:33], v[4:5]
	v_mul_f64_e32 v[4:5], v[30:31], v[4:5]
	s_wait_loadcnt_dscnt 0x600
	v_mul_f64_e32 v[44:45], v[38:39], v[8:9]
	v_mul_f64_e32 v[8:9], v[40:41], v[8:9]
	s_delay_alu instid0(VALU_DEP_4) | instskip(NEXT) | instid1(VALU_DEP_4)
	v_fma_f64 v[42:43], v[30:31], v[2:3], -v[42:43]
	v_fma_f64 v[135:136], v[32:33], v[2:3], v[4:5]
	ds_load_b128 v[2:5], v1 offset:1328
	ds_load_b128 v[30:33], v1 offset:1344
	v_fma_f64 v[40:41], v[40:41], v[6:7], v[44:45]
	v_fma_f64 v[6:7], v[38:39], v[6:7], -v[8:9]
	s_wait_loadcnt_dscnt 0x501
	v_mul_f64_e32 v[137:138], v[2:3], v[12:13]
	v_mul_f64_e32 v[12:13], v[4:5], v[12:13]
	v_add_f64_e32 v[8:9], 0, v[42:43]
	v_add_f64_e32 v[38:39], 0, v[135:136]
	s_wait_loadcnt_dscnt 0x400
	v_mul_f64_e32 v[42:43], v[30:31], v[16:17]
	v_mul_f64_e32 v[16:17], v[32:33], v[16:17]
	v_fma_f64 v[44:45], v[4:5], v[10:11], v[137:138]
	v_fma_f64 v[10:11], v[2:3], v[10:11], -v[12:13]
	v_add_f64_e32 v[12:13], v[8:9], v[6:7]
	v_add_f64_e32 v[38:39], v[38:39], v[40:41]
	ds_load_b128 v[2:5], v1 offset:1360
	ds_load_b128 v[6:9], v1 offset:1376
	v_fma_f64 v[32:33], v[32:33], v[14:15], v[42:43]
	v_fma_f64 v[14:15], v[30:31], v[14:15], -v[16:17]
	s_wait_loadcnt_dscnt 0x301
	v_mul_f64_e32 v[40:41], v[2:3], v[20:21]
	v_mul_f64_e32 v[20:21], v[4:5], v[20:21]
	s_wait_loadcnt_dscnt 0x200
	v_mul_f64_e32 v[16:17], v[6:7], v[24:25]
	v_mul_f64_e32 v[24:25], v[8:9], v[24:25]
	v_add_f64_e32 v[10:11], v[12:13], v[10:11]
	v_add_f64_e32 v[12:13], v[38:39], v[44:45]
	v_fma_f64 v[30:31], v[4:5], v[18:19], v[40:41]
	v_fma_f64 v[18:19], v[2:3], v[18:19], -v[20:21]
	ds_load_b128 v[2:5], v1 offset:1392
	v_fma_f64 v[8:9], v[8:9], v[22:23], v[16:17]
	v_fma_f64 v[6:7], v[6:7], v[22:23], -v[24:25]
	v_add_f64_e32 v[10:11], v[10:11], v[14:15]
	v_add_f64_e32 v[12:13], v[12:13], v[32:33]
	s_wait_loadcnt_dscnt 0x100
	v_mul_f64_e32 v[14:15], v[2:3], v[28:29]
	v_mul_f64_e32 v[20:21], v[4:5], v[28:29]
	s_delay_alu instid0(VALU_DEP_4) | instskip(NEXT) | instid1(VALU_DEP_4)
	v_add_f64_e32 v[10:11], v[10:11], v[18:19]
	v_add_f64_e32 v[12:13], v[12:13], v[30:31]
	s_delay_alu instid0(VALU_DEP_4) | instskip(NEXT) | instid1(VALU_DEP_4)
	v_fma_f64 v[4:5], v[4:5], v[26:27], v[14:15]
	v_fma_f64 v[2:3], v[2:3], v[26:27], -v[20:21]
	s_delay_alu instid0(VALU_DEP_4) | instskip(NEXT) | instid1(VALU_DEP_4)
	v_add_f64_e32 v[6:7], v[10:11], v[6:7]
	v_add_f64_e32 v[8:9], v[12:13], v[8:9]
	s_delay_alu instid0(VALU_DEP_2) | instskip(NEXT) | instid1(VALU_DEP_2)
	v_add_f64_e32 v[2:3], v[6:7], v[2:3]
	v_add_f64_e32 v[4:5], v[8:9], v[4:5]
	s_wait_loadcnt 0x0
	s_delay_alu instid0(VALU_DEP_2) | instskip(NEXT) | instid1(VALU_DEP_2)
	v_add_f64_e64 v[2:3], v[34:35], -v[2:3]
	v_add_f64_e64 v[4:5], v[36:37], -v[4:5]
	scratch_store_b128 off, v[2:5], off offset:592
	v_cmpx_lt_u32_e32 35, v0
	s_cbranch_execz .LBB107_207
; %bb.206:
	scratch_load_b128 v[5:8], off, s21
	v_dual_mov_b32 v2, v1 :: v_dual_mov_b32 v3, v1
	v_mov_b32_e32 v4, v1
	scratch_store_b128 off, v[1:4], off offset:576
	s_wait_loadcnt 0x0
	ds_store_b128 v134, v[5:8]
.LBB107_207:
	s_wait_alu 0xfffe
	s_or_b32 exec_lo, exec_lo, s0
	s_wait_storecnt_dscnt 0x0
	s_barrier_signal -1
	s_barrier_wait -1
	global_inv scope:SCOPE_SE
	s_clause 0x7
	scratch_load_b128 v[2:5], off, off offset:592
	scratch_load_b128 v[6:9], off, off offset:608
	;; [unrolled: 1-line block ×8, first 2 shown]
	ds_load_b128 v[34:37], v1 offset:1280
	ds_load_b128 v[38:41], v1 offset:1296
	s_mov_b32 s0, exec_lo
	s_wait_loadcnt_dscnt 0x701
	v_mul_f64_e32 v[42:43], v[36:37], v[4:5]
	v_mul_f64_e32 v[4:5], v[34:35], v[4:5]
	s_wait_loadcnt_dscnt 0x600
	v_mul_f64_e32 v[44:45], v[38:39], v[8:9]
	v_mul_f64_e32 v[8:9], v[40:41], v[8:9]
	s_delay_alu instid0(VALU_DEP_4) | instskip(NEXT) | instid1(VALU_DEP_4)
	v_fma_f64 v[42:43], v[34:35], v[2:3], -v[42:43]
	v_fma_f64 v[135:136], v[36:37], v[2:3], v[4:5]
	ds_load_b128 v[2:5], v1 offset:1312
	scratch_load_b128 v[34:37], off, off offset:576
	v_fma_f64 v[40:41], v[40:41], v[6:7], v[44:45]
	v_fma_f64 v[38:39], v[38:39], v[6:7], -v[8:9]
	ds_load_b128 v[6:9], v1 offset:1328
	s_wait_loadcnt_dscnt 0x601
	v_mul_f64_e32 v[137:138], v[2:3], v[12:13]
	v_mul_f64_e32 v[12:13], v[4:5], v[12:13]
	v_add_f64_e32 v[42:43], 0, v[42:43]
	v_add_f64_e32 v[44:45], 0, v[135:136]
	s_wait_loadcnt_dscnt 0x500
	v_mul_f64_e32 v[135:136], v[6:7], v[16:17]
	v_mul_f64_e32 v[16:17], v[8:9], v[16:17]
	v_fma_f64 v[137:138], v[4:5], v[10:11], v[137:138]
	v_fma_f64 v[10:11], v[2:3], v[10:11], -v[12:13]
	ds_load_b128 v[2:5], v1 offset:1344
	v_add_f64_e32 v[12:13], v[42:43], v[38:39]
	v_add_f64_e32 v[38:39], v[44:45], v[40:41]
	v_fma_f64 v[42:43], v[8:9], v[14:15], v[135:136]
	v_fma_f64 v[14:15], v[6:7], v[14:15], -v[16:17]
	ds_load_b128 v[6:9], v1 offset:1360
	s_wait_loadcnt_dscnt 0x401
	v_mul_f64_e32 v[40:41], v[2:3], v[20:21]
	v_mul_f64_e32 v[20:21], v[4:5], v[20:21]
	s_wait_loadcnt_dscnt 0x300
	v_mul_f64_e32 v[16:17], v[6:7], v[24:25]
	v_mul_f64_e32 v[24:25], v[8:9], v[24:25]
	v_add_f64_e32 v[10:11], v[12:13], v[10:11]
	v_add_f64_e32 v[12:13], v[38:39], v[137:138]
	v_fma_f64 v[38:39], v[4:5], v[18:19], v[40:41]
	v_fma_f64 v[18:19], v[2:3], v[18:19], -v[20:21]
	ds_load_b128 v[2:5], v1 offset:1376
	v_fma_f64 v[16:17], v[8:9], v[22:23], v[16:17]
	v_fma_f64 v[22:23], v[6:7], v[22:23], -v[24:25]
	ds_load_b128 v[6:9], v1 offset:1392
	s_wait_loadcnt_dscnt 0x201
	v_mul_f64_e32 v[20:21], v[4:5], v[28:29]
	v_add_f64_e32 v[10:11], v[10:11], v[14:15]
	v_add_f64_e32 v[12:13], v[12:13], v[42:43]
	v_mul_f64_e32 v[14:15], v[2:3], v[28:29]
	s_wait_loadcnt_dscnt 0x100
	v_mul_f64_e32 v[24:25], v[8:9], v[32:33]
	v_fma_f64 v[1:2], v[2:3], v[26:27], -v[20:21]
	v_add_f64_e32 v[10:11], v[10:11], v[18:19]
	v_add_f64_e32 v[12:13], v[12:13], v[38:39]
	v_mul_f64_e32 v[18:19], v[6:7], v[32:33]
	v_fma_f64 v[4:5], v[4:5], v[26:27], v[14:15]
	v_fma_f64 v[6:7], v[6:7], v[30:31], -v[24:25]
	v_add_f64_e32 v[10:11], v[10:11], v[22:23]
	v_add_f64_e32 v[12:13], v[12:13], v[16:17]
	v_fma_f64 v[8:9], v[8:9], v[30:31], v[18:19]
	s_delay_alu instid0(VALU_DEP_3) | instskip(NEXT) | instid1(VALU_DEP_3)
	v_add_f64_e32 v[1:2], v[10:11], v[1:2]
	v_add_f64_e32 v[3:4], v[12:13], v[4:5]
	s_delay_alu instid0(VALU_DEP_2) | instskip(NEXT) | instid1(VALU_DEP_2)
	v_add_f64_e32 v[1:2], v[1:2], v[6:7]
	v_add_f64_e32 v[3:4], v[3:4], v[8:9]
	s_wait_loadcnt 0x0
	s_delay_alu instid0(VALU_DEP_2) | instskip(NEXT) | instid1(VALU_DEP_2)
	v_add_f64_e64 v[1:2], v[34:35], -v[1:2]
	v_add_f64_e64 v[3:4], v[36:37], -v[3:4]
	scratch_store_b128 off, v[1:4], off offset:576
	v_cmpx_lt_u32_e32 34, v0
	s_cbranch_execz .LBB107_209
; %bb.208:
	scratch_load_b128 v[1:4], off, s22
	v_mov_b32_e32 v5, 0
	s_delay_alu instid0(VALU_DEP_1)
	v_dual_mov_b32 v6, v5 :: v_dual_mov_b32 v7, v5
	v_mov_b32_e32 v8, v5
	scratch_store_b128 off, v[5:8], off offset:560
	s_wait_loadcnt 0x0
	ds_store_b128 v134, v[1:4]
.LBB107_209:
	s_wait_alu 0xfffe
	s_or_b32 exec_lo, exec_lo, s0
	s_wait_storecnt_dscnt 0x0
	s_barrier_signal -1
	s_barrier_wait -1
	global_inv scope:SCOPE_SE
	s_clause 0x7
	scratch_load_b128 v[2:5], off, off offset:576
	scratch_load_b128 v[6:9], off, off offset:592
	;; [unrolled: 1-line block ×8, first 2 shown]
	v_mov_b32_e32 v1, 0
	scratch_load_b128 v[38:41], off, off offset:704
	s_mov_b32 s0, exec_lo
	ds_load_b128 v[34:37], v1 offset:1264
	ds_load_b128 v[42:45], v1 offset:1280
	s_wait_loadcnt_dscnt 0x801
	v_mul_f64_e32 v[135:136], v[36:37], v[4:5]
	v_mul_f64_e32 v[4:5], v[34:35], v[4:5]
	s_wait_loadcnt_dscnt 0x700
	v_mul_f64_e32 v[137:138], v[42:43], v[8:9]
	v_mul_f64_e32 v[8:9], v[44:45], v[8:9]
	s_delay_alu instid0(VALU_DEP_4) | instskip(NEXT) | instid1(VALU_DEP_4)
	v_fma_f64 v[34:35], v[34:35], v[2:3], -v[135:136]
	v_fma_f64 v[36:37], v[36:37], v[2:3], v[4:5]
	ds_load_b128 v[2:5], v1 offset:1296
	v_fma_f64 v[44:45], v[44:45], v[6:7], v[137:138]
	v_fma_f64 v[42:43], v[42:43], v[6:7], -v[8:9]
	ds_load_b128 v[6:9], v1 offset:1312
	s_wait_loadcnt_dscnt 0x601
	v_mul_f64_e32 v[135:136], v[2:3], v[12:13]
	v_mul_f64_e32 v[12:13], v[4:5], v[12:13]
	s_wait_loadcnt_dscnt 0x500
	v_mul_f64_e32 v[141:142], v[6:7], v[16:17]
	v_mul_f64_e32 v[16:17], v[8:9], v[16:17]
	v_add_f64_e32 v[137:138], 0, v[34:35]
	v_add_f64_e32 v[139:140], 0, v[36:37]
	scratch_load_b128 v[34:37], off, off offset:560
	v_fma_f64 v[135:136], v[4:5], v[10:11], v[135:136]
	v_fma_f64 v[10:11], v[2:3], v[10:11], -v[12:13]
	ds_load_b128 v[2:5], v1 offset:1328
	v_add_f64_e32 v[12:13], v[137:138], v[42:43]
	v_add_f64_e32 v[42:43], v[139:140], v[44:45]
	v_fma_f64 v[137:138], v[8:9], v[14:15], v[141:142]
	v_fma_f64 v[14:15], v[6:7], v[14:15], -v[16:17]
	ds_load_b128 v[6:9], v1 offset:1344
	s_wait_loadcnt_dscnt 0x501
	v_mul_f64_e32 v[44:45], v[2:3], v[20:21]
	v_mul_f64_e32 v[20:21], v[4:5], v[20:21]
	s_wait_loadcnt_dscnt 0x400
	v_mul_f64_e32 v[16:17], v[6:7], v[24:25]
	v_mul_f64_e32 v[24:25], v[8:9], v[24:25]
	v_add_f64_e32 v[10:11], v[12:13], v[10:11]
	v_add_f64_e32 v[12:13], v[42:43], v[135:136]
	v_fma_f64 v[42:43], v[4:5], v[18:19], v[44:45]
	v_fma_f64 v[18:19], v[2:3], v[18:19], -v[20:21]
	ds_load_b128 v[2:5], v1 offset:1360
	v_fma_f64 v[16:17], v[8:9], v[22:23], v[16:17]
	v_fma_f64 v[22:23], v[6:7], v[22:23], -v[24:25]
	ds_load_b128 v[6:9], v1 offset:1376
	s_wait_loadcnt_dscnt 0x301
	v_mul_f64_e32 v[20:21], v[4:5], v[28:29]
	v_add_f64_e32 v[10:11], v[10:11], v[14:15]
	v_add_f64_e32 v[12:13], v[12:13], v[137:138]
	v_mul_f64_e32 v[14:15], v[2:3], v[28:29]
	s_wait_loadcnt_dscnt 0x200
	v_mul_f64_e32 v[24:25], v[8:9], v[32:33]
	v_fma_f64 v[20:21], v[2:3], v[26:27], -v[20:21]
	v_add_f64_e32 v[10:11], v[10:11], v[18:19]
	v_add_f64_e32 v[12:13], v[12:13], v[42:43]
	v_mul_f64_e32 v[18:19], v[6:7], v[32:33]
	v_fma_f64 v[14:15], v[4:5], v[26:27], v[14:15]
	ds_load_b128 v[2:5], v1 offset:1392
	v_fma_f64 v[6:7], v[6:7], v[30:31], -v[24:25]
	v_add_f64_e32 v[10:11], v[10:11], v[22:23]
	v_add_f64_e32 v[12:13], v[12:13], v[16:17]
	s_wait_loadcnt_dscnt 0x100
	v_mul_f64_e32 v[16:17], v[2:3], v[40:41]
	v_mul_f64_e32 v[22:23], v[4:5], v[40:41]
	v_fma_f64 v[8:9], v[8:9], v[30:31], v[18:19]
	v_add_f64_e32 v[10:11], v[10:11], v[20:21]
	v_add_f64_e32 v[12:13], v[12:13], v[14:15]
	v_fma_f64 v[4:5], v[4:5], v[38:39], v[16:17]
	v_fma_f64 v[2:3], v[2:3], v[38:39], -v[22:23]
	s_delay_alu instid0(VALU_DEP_4) | instskip(NEXT) | instid1(VALU_DEP_4)
	v_add_f64_e32 v[6:7], v[10:11], v[6:7]
	v_add_f64_e32 v[8:9], v[12:13], v[8:9]
	s_delay_alu instid0(VALU_DEP_2) | instskip(NEXT) | instid1(VALU_DEP_2)
	v_add_f64_e32 v[2:3], v[6:7], v[2:3]
	v_add_f64_e32 v[4:5], v[8:9], v[4:5]
	s_wait_loadcnt 0x0
	s_delay_alu instid0(VALU_DEP_2) | instskip(NEXT) | instid1(VALU_DEP_2)
	v_add_f64_e64 v[2:3], v[34:35], -v[2:3]
	v_add_f64_e64 v[4:5], v[36:37], -v[4:5]
	scratch_store_b128 off, v[2:5], off offset:560
	v_cmpx_lt_u32_e32 33, v0
	s_cbranch_execz .LBB107_211
; %bb.210:
	scratch_load_b128 v[5:8], off, s23
	v_dual_mov_b32 v2, v1 :: v_dual_mov_b32 v3, v1
	v_mov_b32_e32 v4, v1
	scratch_store_b128 off, v[1:4], off offset:544
	s_wait_loadcnt 0x0
	ds_store_b128 v134, v[5:8]
.LBB107_211:
	s_wait_alu 0xfffe
	s_or_b32 exec_lo, exec_lo, s0
	s_wait_storecnt_dscnt 0x0
	s_barrier_signal -1
	s_barrier_wait -1
	global_inv scope:SCOPE_SE
	s_clause 0x8
	scratch_load_b128 v[2:5], off, off offset:560
	scratch_load_b128 v[6:9], off, off offset:576
	;; [unrolled: 1-line block ×9, first 2 shown]
	ds_load_b128 v[38:41], v1 offset:1248
	ds_load_b128 v[42:45], v1 offset:1264
	s_clause 0x1
	scratch_load_b128 v[135:138], off, off offset:544
	scratch_load_b128 v[139:142], off, off offset:704
	s_mov_b32 s0, exec_lo
	s_wait_loadcnt_dscnt 0xa01
	v_mul_f64_e32 v[143:144], v[40:41], v[4:5]
	v_mul_f64_e32 v[4:5], v[38:39], v[4:5]
	s_wait_loadcnt_dscnt 0x900
	v_mul_f64_e32 v[145:146], v[42:43], v[8:9]
	v_mul_f64_e32 v[8:9], v[44:45], v[8:9]
	s_delay_alu instid0(VALU_DEP_4) | instskip(NEXT) | instid1(VALU_DEP_4)
	v_fma_f64 v[143:144], v[38:39], v[2:3], -v[143:144]
	v_fma_f64 v[147:148], v[40:41], v[2:3], v[4:5]
	ds_load_b128 v[2:5], v1 offset:1280
	ds_load_b128 v[38:41], v1 offset:1296
	v_fma_f64 v[44:45], v[44:45], v[6:7], v[145:146]
	v_fma_f64 v[6:7], v[42:43], v[6:7], -v[8:9]
	s_wait_loadcnt_dscnt 0x801
	v_mul_f64_e32 v[149:150], v[2:3], v[12:13]
	v_mul_f64_e32 v[12:13], v[4:5], v[12:13]
	v_add_f64_e32 v[8:9], 0, v[143:144]
	v_add_f64_e32 v[42:43], 0, v[147:148]
	s_wait_loadcnt_dscnt 0x700
	v_mul_f64_e32 v[143:144], v[38:39], v[16:17]
	v_mul_f64_e32 v[16:17], v[40:41], v[16:17]
	v_fma_f64 v[145:146], v[4:5], v[10:11], v[149:150]
	v_fma_f64 v[10:11], v[2:3], v[10:11], -v[12:13]
	v_add_f64_e32 v[12:13], v[8:9], v[6:7]
	v_add_f64_e32 v[42:43], v[42:43], v[44:45]
	ds_load_b128 v[2:5], v1 offset:1312
	ds_load_b128 v[6:9], v1 offset:1328
	v_fma_f64 v[40:41], v[40:41], v[14:15], v[143:144]
	v_fma_f64 v[14:15], v[38:39], v[14:15], -v[16:17]
	s_wait_loadcnt_dscnt 0x601
	v_mul_f64_e32 v[44:45], v[2:3], v[20:21]
	v_mul_f64_e32 v[20:21], v[4:5], v[20:21]
	s_wait_loadcnt_dscnt 0x500
	v_mul_f64_e32 v[16:17], v[6:7], v[24:25]
	v_mul_f64_e32 v[24:25], v[8:9], v[24:25]
	v_add_f64_e32 v[10:11], v[12:13], v[10:11]
	v_add_f64_e32 v[12:13], v[42:43], v[145:146]
	v_fma_f64 v[38:39], v[4:5], v[18:19], v[44:45]
	v_fma_f64 v[18:19], v[2:3], v[18:19], -v[20:21]
	v_fma_f64 v[8:9], v[8:9], v[22:23], v[16:17]
	v_fma_f64 v[6:7], v[6:7], v[22:23], -v[24:25]
	v_add_f64_e32 v[14:15], v[10:11], v[14:15]
	v_add_f64_e32 v[20:21], v[12:13], v[40:41]
	ds_load_b128 v[2:5], v1 offset:1344
	ds_load_b128 v[10:13], v1 offset:1360
	s_wait_loadcnt_dscnt 0x401
	v_mul_f64_e32 v[40:41], v[2:3], v[28:29]
	v_mul_f64_e32 v[28:29], v[4:5], v[28:29]
	v_add_f64_e32 v[14:15], v[14:15], v[18:19]
	v_add_f64_e32 v[16:17], v[20:21], v[38:39]
	s_wait_loadcnt_dscnt 0x300
	v_mul_f64_e32 v[18:19], v[10:11], v[32:33]
	v_mul_f64_e32 v[20:21], v[12:13], v[32:33]
	v_fma_f64 v[22:23], v[4:5], v[26:27], v[40:41]
	v_fma_f64 v[24:25], v[2:3], v[26:27], -v[28:29]
	v_add_f64_e32 v[14:15], v[14:15], v[6:7]
	v_add_f64_e32 v[16:17], v[16:17], v[8:9]
	ds_load_b128 v[2:5], v1 offset:1376
	ds_load_b128 v[6:9], v1 offset:1392
	v_fma_f64 v[12:13], v[12:13], v[30:31], v[18:19]
	v_fma_f64 v[10:11], v[10:11], v[30:31], -v[20:21]
	s_wait_loadcnt_dscnt 0x201
	v_mul_f64_e32 v[26:27], v[2:3], v[36:37]
	v_mul_f64_e32 v[28:29], v[4:5], v[36:37]
	s_wait_loadcnt_dscnt 0x0
	v_mul_f64_e32 v[18:19], v[6:7], v[141:142]
	v_mul_f64_e32 v[20:21], v[8:9], v[141:142]
	v_add_f64_e32 v[14:15], v[14:15], v[24:25]
	v_add_f64_e32 v[16:17], v[16:17], v[22:23]
	v_fma_f64 v[4:5], v[4:5], v[34:35], v[26:27]
	v_fma_f64 v[1:2], v[2:3], v[34:35], -v[28:29]
	v_fma_f64 v[8:9], v[8:9], v[139:140], v[18:19]
	v_fma_f64 v[6:7], v[6:7], v[139:140], -v[20:21]
	v_add_f64_e32 v[10:11], v[14:15], v[10:11]
	v_add_f64_e32 v[12:13], v[16:17], v[12:13]
	s_delay_alu instid0(VALU_DEP_2) | instskip(NEXT) | instid1(VALU_DEP_2)
	v_add_f64_e32 v[1:2], v[10:11], v[1:2]
	v_add_f64_e32 v[3:4], v[12:13], v[4:5]
	s_delay_alu instid0(VALU_DEP_2) | instskip(NEXT) | instid1(VALU_DEP_2)
	;; [unrolled: 3-line block ×3, first 2 shown]
	v_add_f64_e64 v[1:2], v[135:136], -v[1:2]
	v_add_f64_e64 v[3:4], v[137:138], -v[3:4]
	scratch_store_b128 off, v[1:4], off offset:544
	v_cmpx_lt_u32_e32 32, v0
	s_cbranch_execz .LBB107_213
; %bb.212:
	scratch_load_b128 v[1:4], off, s24
	v_mov_b32_e32 v5, 0
	s_delay_alu instid0(VALU_DEP_1)
	v_dual_mov_b32 v6, v5 :: v_dual_mov_b32 v7, v5
	v_mov_b32_e32 v8, v5
	scratch_store_b128 off, v[5:8], off offset:528
	s_wait_loadcnt 0x0
	ds_store_b128 v134, v[1:4]
.LBB107_213:
	s_wait_alu 0xfffe
	s_or_b32 exec_lo, exec_lo, s0
	s_wait_storecnt_dscnt 0x0
	s_barrier_signal -1
	s_barrier_wait -1
	global_inv scope:SCOPE_SE
	s_clause 0x7
	scratch_load_b128 v[2:5], off, off offset:544
	scratch_load_b128 v[6:9], off, off offset:560
	;; [unrolled: 1-line block ×8, first 2 shown]
	v_mov_b32_e32 v1, 0
	s_mov_b32 s0, exec_lo
	ds_load_b128 v[34:37], v1 offset:1232
	s_clause 0x1
	scratch_load_b128 v[38:41], off, off offset:672
	scratch_load_b128 v[42:45], off, off offset:528
	ds_load_b128 v[135:138], v1 offset:1248
	scratch_load_b128 v[139:142], off, off offset:688
	s_wait_loadcnt_dscnt 0xa01
	v_mul_f64_e32 v[143:144], v[36:37], v[4:5]
	v_mul_f64_e32 v[4:5], v[34:35], v[4:5]
	s_delay_alu instid0(VALU_DEP_2) | instskip(NEXT) | instid1(VALU_DEP_2)
	v_fma_f64 v[149:150], v[34:35], v[2:3], -v[143:144]
	v_fma_f64 v[151:152], v[36:37], v[2:3], v[4:5]
	ds_load_b128 v[2:5], v1 offset:1264
	s_wait_loadcnt_dscnt 0x901
	v_mul_f64_e32 v[147:148], v[135:136], v[8:9]
	v_mul_f64_e32 v[8:9], v[137:138], v[8:9]
	scratch_load_b128 v[34:37], off, off offset:704
	ds_load_b128 v[143:146], v1 offset:1280
	s_wait_loadcnt_dscnt 0x901
	v_mul_f64_e32 v[153:154], v[2:3], v[12:13]
	v_mul_f64_e32 v[12:13], v[4:5], v[12:13]
	v_fma_f64 v[137:138], v[137:138], v[6:7], v[147:148]
	v_fma_f64 v[6:7], v[135:136], v[6:7], -v[8:9]
	v_add_f64_e32 v[8:9], 0, v[149:150]
	v_add_f64_e32 v[135:136], 0, v[151:152]
	s_wait_loadcnt_dscnt 0x800
	v_mul_f64_e32 v[147:148], v[143:144], v[16:17]
	v_mul_f64_e32 v[16:17], v[145:146], v[16:17]
	v_fma_f64 v[149:150], v[4:5], v[10:11], v[153:154]
	v_fma_f64 v[10:11], v[2:3], v[10:11], -v[12:13]
	v_add_f64_e32 v[12:13], v[8:9], v[6:7]
	v_add_f64_e32 v[135:136], v[135:136], v[137:138]
	ds_load_b128 v[2:5], v1 offset:1296
	ds_load_b128 v[6:9], v1 offset:1312
	v_fma_f64 v[145:146], v[145:146], v[14:15], v[147:148]
	v_fma_f64 v[14:15], v[143:144], v[14:15], -v[16:17]
	s_wait_loadcnt_dscnt 0x701
	v_mul_f64_e32 v[137:138], v[2:3], v[20:21]
	v_mul_f64_e32 v[20:21], v[4:5], v[20:21]
	s_wait_loadcnt_dscnt 0x600
	v_mul_f64_e32 v[16:17], v[6:7], v[24:25]
	v_mul_f64_e32 v[24:25], v[8:9], v[24:25]
	v_add_f64_e32 v[10:11], v[12:13], v[10:11]
	v_add_f64_e32 v[12:13], v[135:136], v[149:150]
	v_fma_f64 v[135:136], v[4:5], v[18:19], v[137:138]
	v_fma_f64 v[18:19], v[2:3], v[18:19], -v[20:21]
	v_fma_f64 v[8:9], v[8:9], v[22:23], v[16:17]
	v_fma_f64 v[6:7], v[6:7], v[22:23], -v[24:25]
	v_add_f64_e32 v[14:15], v[10:11], v[14:15]
	v_add_f64_e32 v[20:21], v[12:13], v[145:146]
	ds_load_b128 v[2:5], v1 offset:1328
	ds_load_b128 v[10:13], v1 offset:1344
	s_wait_loadcnt_dscnt 0x501
	v_mul_f64_e32 v[137:138], v[2:3], v[28:29]
	v_mul_f64_e32 v[28:29], v[4:5], v[28:29]
	v_add_f64_e32 v[14:15], v[14:15], v[18:19]
	v_add_f64_e32 v[16:17], v[20:21], v[135:136]
	s_wait_loadcnt_dscnt 0x400
	v_mul_f64_e32 v[18:19], v[10:11], v[32:33]
	v_mul_f64_e32 v[20:21], v[12:13], v[32:33]
	v_fma_f64 v[22:23], v[4:5], v[26:27], v[137:138]
	v_fma_f64 v[24:25], v[2:3], v[26:27], -v[28:29]
	v_add_f64_e32 v[14:15], v[14:15], v[6:7]
	v_add_f64_e32 v[16:17], v[16:17], v[8:9]
	ds_load_b128 v[2:5], v1 offset:1360
	ds_load_b128 v[6:9], v1 offset:1376
	v_fma_f64 v[12:13], v[12:13], v[30:31], v[18:19]
	v_fma_f64 v[10:11], v[10:11], v[30:31], -v[20:21]
	s_wait_loadcnt_dscnt 0x301
	v_mul_f64_e32 v[26:27], v[2:3], v[40:41]
	v_mul_f64_e32 v[28:29], v[4:5], v[40:41]
	s_wait_loadcnt_dscnt 0x100
	v_mul_f64_e32 v[18:19], v[6:7], v[141:142]
	v_mul_f64_e32 v[20:21], v[8:9], v[141:142]
	v_add_f64_e32 v[14:15], v[14:15], v[24:25]
	v_add_f64_e32 v[16:17], v[16:17], v[22:23]
	v_fma_f64 v[22:23], v[4:5], v[38:39], v[26:27]
	v_fma_f64 v[24:25], v[2:3], v[38:39], -v[28:29]
	ds_load_b128 v[2:5], v1 offset:1392
	v_fma_f64 v[8:9], v[8:9], v[139:140], v[18:19]
	v_fma_f64 v[6:7], v[6:7], v[139:140], -v[20:21]
	v_add_f64_e32 v[10:11], v[14:15], v[10:11]
	v_add_f64_e32 v[12:13], v[16:17], v[12:13]
	s_wait_loadcnt_dscnt 0x0
	v_mul_f64_e32 v[14:15], v[2:3], v[36:37]
	v_mul_f64_e32 v[16:17], v[4:5], v[36:37]
	s_delay_alu instid0(VALU_DEP_4) | instskip(NEXT) | instid1(VALU_DEP_4)
	v_add_f64_e32 v[10:11], v[10:11], v[24:25]
	v_add_f64_e32 v[12:13], v[12:13], v[22:23]
	s_delay_alu instid0(VALU_DEP_4) | instskip(NEXT) | instid1(VALU_DEP_4)
	v_fma_f64 v[4:5], v[4:5], v[34:35], v[14:15]
	v_fma_f64 v[2:3], v[2:3], v[34:35], -v[16:17]
	s_delay_alu instid0(VALU_DEP_4) | instskip(NEXT) | instid1(VALU_DEP_4)
	v_add_f64_e32 v[6:7], v[10:11], v[6:7]
	v_add_f64_e32 v[8:9], v[12:13], v[8:9]
	s_delay_alu instid0(VALU_DEP_2) | instskip(NEXT) | instid1(VALU_DEP_2)
	v_add_f64_e32 v[2:3], v[6:7], v[2:3]
	v_add_f64_e32 v[4:5], v[8:9], v[4:5]
	s_delay_alu instid0(VALU_DEP_2) | instskip(NEXT) | instid1(VALU_DEP_2)
	v_add_f64_e64 v[2:3], v[42:43], -v[2:3]
	v_add_f64_e64 v[4:5], v[44:45], -v[4:5]
	scratch_store_b128 off, v[2:5], off offset:528
	v_cmpx_lt_u32_e32 31, v0
	s_cbranch_execz .LBB107_215
; %bb.214:
	scratch_load_b128 v[5:8], off, s25
	v_dual_mov_b32 v2, v1 :: v_dual_mov_b32 v3, v1
	v_mov_b32_e32 v4, v1
	scratch_store_b128 off, v[1:4], off offset:512
	s_wait_loadcnt 0x0
	ds_store_b128 v134, v[5:8]
.LBB107_215:
	s_wait_alu 0xfffe
	s_or_b32 exec_lo, exec_lo, s0
	s_wait_storecnt_dscnt 0x0
	s_barrier_signal -1
	s_barrier_wait -1
	global_inv scope:SCOPE_SE
	s_clause 0x8
	scratch_load_b128 v[2:5], off, off offset:528
	scratch_load_b128 v[6:9], off, off offset:544
	;; [unrolled: 1-line block ×9, first 2 shown]
	ds_load_b128 v[38:41], v1 offset:1216
	ds_load_b128 v[42:45], v1 offset:1232
	s_clause 0x1
	scratch_load_b128 v[135:138], off, off offset:512
	scratch_load_b128 v[139:142], off, off offset:672
	s_mov_b32 s0, exec_lo
	s_wait_loadcnt_dscnt 0xa01
	v_mul_f64_e32 v[143:144], v[40:41], v[4:5]
	v_mul_f64_e32 v[4:5], v[38:39], v[4:5]
	s_wait_loadcnt_dscnt 0x900
	v_mul_f64_e32 v[147:148], v[42:43], v[8:9]
	v_mul_f64_e32 v[8:9], v[44:45], v[8:9]
	s_delay_alu instid0(VALU_DEP_4) | instskip(NEXT) | instid1(VALU_DEP_4)
	v_fma_f64 v[149:150], v[38:39], v[2:3], -v[143:144]
	v_fma_f64 v[151:152], v[40:41], v[2:3], v[4:5]
	ds_load_b128 v[2:5], v1 offset:1248
	ds_load_b128 v[143:146], v1 offset:1264
	scratch_load_b128 v[38:41], off, off offset:688
	v_fma_f64 v[44:45], v[44:45], v[6:7], v[147:148]
	v_fma_f64 v[42:43], v[42:43], v[6:7], -v[8:9]
	scratch_load_b128 v[6:9], off, off offset:704
	s_wait_loadcnt_dscnt 0xa01
	v_mul_f64_e32 v[153:154], v[2:3], v[12:13]
	v_mul_f64_e32 v[12:13], v[4:5], v[12:13]
	v_add_f64_e32 v[147:148], 0, v[149:150]
	v_add_f64_e32 v[149:150], 0, v[151:152]
	s_wait_loadcnt_dscnt 0x900
	v_mul_f64_e32 v[151:152], v[143:144], v[16:17]
	v_mul_f64_e32 v[16:17], v[145:146], v[16:17]
	v_fma_f64 v[153:154], v[4:5], v[10:11], v[153:154]
	v_fma_f64 v[155:156], v[2:3], v[10:11], -v[12:13]
	ds_load_b128 v[2:5], v1 offset:1280
	ds_load_b128 v[10:13], v1 offset:1296
	v_add_f64_e32 v[42:43], v[147:148], v[42:43]
	v_add_f64_e32 v[44:45], v[149:150], v[44:45]
	v_fma_f64 v[145:146], v[145:146], v[14:15], v[151:152]
	v_fma_f64 v[14:15], v[143:144], v[14:15], -v[16:17]
	s_wait_loadcnt_dscnt 0x801
	v_mul_f64_e32 v[147:148], v[2:3], v[20:21]
	v_mul_f64_e32 v[20:21], v[4:5], v[20:21]
	v_add_f64_e32 v[16:17], v[42:43], v[155:156]
	v_add_f64_e32 v[42:43], v[44:45], v[153:154]
	s_wait_loadcnt_dscnt 0x700
	v_mul_f64_e32 v[44:45], v[10:11], v[24:25]
	v_mul_f64_e32 v[24:25], v[12:13], v[24:25]
	v_fma_f64 v[143:144], v[4:5], v[18:19], v[147:148]
	v_fma_f64 v[18:19], v[2:3], v[18:19], -v[20:21]
	v_add_f64_e32 v[20:21], v[16:17], v[14:15]
	v_add_f64_e32 v[42:43], v[42:43], v[145:146]
	ds_load_b128 v[2:5], v1 offset:1312
	ds_load_b128 v[14:17], v1 offset:1328
	v_fma_f64 v[12:13], v[12:13], v[22:23], v[44:45]
	v_fma_f64 v[10:11], v[10:11], v[22:23], -v[24:25]
	s_wait_loadcnt_dscnt 0x601
	v_mul_f64_e32 v[145:146], v[2:3], v[28:29]
	v_mul_f64_e32 v[28:29], v[4:5], v[28:29]
	s_wait_loadcnt_dscnt 0x500
	v_mul_f64_e32 v[22:23], v[14:15], v[32:33]
	v_mul_f64_e32 v[24:25], v[16:17], v[32:33]
	v_add_f64_e32 v[18:19], v[20:21], v[18:19]
	v_add_f64_e32 v[20:21], v[42:43], v[143:144]
	v_fma_f64 v[32:33], v[4:5], v[26:27], v[145:146]
	v_fma_f64 v[26:27], v[2:3], v[26:27], -v[28:29]
	v_fma_f64 v[16:17], v[16:17], v[30:31], v[22:23]
	v_fma_f64 v[14:15], v[14:15], v[30:31], -v[24:25]
	v_add_f64_e32 v[18:19], v[18:19], v[10:11]
	v_add_f64_e32 v[20:21], v[20:21], v[12:13]
	ds_load_b128 v[2:5], v1 offset:1344
	ds_load_b128 v[10:13], v1 offset:1360
	s_wait_loadcnt_dscnt 0x401
	v_mul_f64_e32 v[28:29], v[2:3], v[36:37]
	v_mul_f64_e32 v[36:37], v[4:5], v[36:37]
	s_wait_loadcnt_dscnt 0x200
	v_mul_f64_e32 v[22:23], v[10:11], v[141:142]
	v_mul_f64_e32 v[24:25], v[12:13], v[141:142]
	v_add_f64_e32 v[18:19], v[18:19], v[26:27]
	v_add_f64_e32 v[20:21], v[20:21], v[32:33]
	v_fma_f64 v[26:27], v[4:5], v[34:35], v[28:29]
	v_fma_f64 v[28:29], v[2:3], v[34:35], -v[36:37]
	v_fma_f64 v[12:13], v[12:13], v[139:140], v[22:23]
	v_fma_f64 v[10:11], v[10:11], v[139:140], -v[24:25]
	v_add_f64_e32 v[18:19], v[18:19], v[14:15]
	v_add_f64_e32 v[20:21], v[20:21], v[16:17]
	ds_load_b128 v[2:5], v1 offset:1376
	ds_load_b128 v[14:17], v1 offset:1392
	s_wait_loadcnt_dscnt 0x101
	v_mul_f64_e32 v[30:31], v[2:3], v[40:41]
	v_mul_f64_e32 v[32:33], v[4:5], v[40:41]
	s_wait_loadcnt_dscnt 0x0
	v_mul_f64_e32 v[22:23], v[14:15], v[8:9]
	v_mul_f64_e32 v[8:9], v[16:17], v[8:9]
	v_add_f64_e32 v[18:19], v[18:19], v[28:29]
	v_add_f64_e32 v[20:21], v[20:21], v[26:27]
	v_fma_f64 v[4:5], v[4:5], v[38:39], v[30:31]
	v_fma_f64 v[1:2], v[2:3], v[38:39], -v[32:33]
	v_fma_f64 v[16:17], v[16:17], v[6:7], v[22:23]
	v_fma_f64 v[6:7], v[14:15], v[6:7], -v[8:9]
	v_add_f64_e32 v[10:11], v[18:19], v[10:11]
	v_add_f64_e32 v[12:13], v[20:21], v[12:13]
	s_delay_alu instid0(VALU_DEP_2) | instskip(NEXT) | instid1(VALU_DEP_2)
	v_add_f64_e32 v[1:2], v[10:11], v[1:2]
	v_add_f64_e32 v[3:4], v[12:13], v[4:5]
	s_delay_alu instid0(VALU_DEP_2) | instskip(NEXT) | instid1(VALU_DEP_2)
	;; [unrolled: 3-line block ×3, first 2 shown]
	v_add_f64_e64 v[1:2], v[135:136], -v[1:2]
	v_add_f64_e64 v[3:4], v[137:138], -v[3:4]
	scratch_store_b128 off, v[1:4], off offset:512
	v_cmpx_lt_u32_e32 30, v0
	s_cbranch_execz .LBB107_217
; %bb.216:
	scratch_load_b128 v[1:4], off, s26
	v_mov_b32_e32 v5, 0
	s_delay_alu instid0(VALU_DEP_1)
	v_dual_mov_b32 v6, v5 :: v_dual_mov_b32 v7, v5
	v_mov_b32_e32 v8, v5
	scratch_store_b128 off, v[5:8], off offset:496
	s_wait_loadcnt 0x0
	ds_store_b128 v134, v[1:4]
.LBB107_217:
	s_wait_alu 0xfffe
	s_or_b32 exec_lo, exec_lo, s0
	s_wait_storecnt_dscnt 0x0
	s_barrier_signal -1
	s_barrier_wait -1
	global_inv scope:SCOPE_SE
	s_clause 0x7
	scratch_load_b128 v[2:5], off, off offset:512
	scratch_load_b128 v[6:9], off, off offset:528
	;; [unrolled: 1-line block ×8, first 2 shown]
	v_mov_b32_e32 v1, 0
	s_mov_b32 s0, exec_lo
	ds_load_b128 v[34:37], v1 offset:1200
	s_clause 0x1
	scratch_load_b128 v[38:41], off, off offset:640
	scratch_load_b128 v[42:45], off, off offset:496
	ds_load_b128 v[135:138], v1 offset:1216
	scratch_load_b128 v[139:142], off, off offset:656
	s_wait_loadcnt_dscnt 0xa01
	v_mul_f64_e32 v[143:144], v[36:37], v[4:5]
	v_mul_f64_e32 v[4:5], v[34:35], v[4:5]
	s_delay_alu instid0(VALU_DEP_2) | instskip(NEXT) | instid1(VALU_DEP_2)
	v_fma_f64 v[149:150], v[34:35], v[2:3], -v[143:144]
	v_fma_f64 v[151:152], v[36:37], v[2:3], v[4:5]
	ds_load_b128 v[2:5], v1 offset:1232
	s_wait_loadcnt_dscnt 0x901
	v_mul_f64_e32 v[147:148], v[135:136], v[8:9]
	v_mul_f64_e32 v[8:9], v[137:138], v[8:9]
	scratch_load_b128 v[34:37], off, off offset:672
	ds_load_b128 v[143:146], v1 offset:1248
	s_wait_loadcnt_dscnt 0x901
	v_mul_f64_e32 v[153:154], v[2:3], v[12:13]
	v_mul_f64_e32 v[12:13], v[4:5], v[12:13]
	v_fma_f64 v[137:138], v[137:138], v[6:7], v[147:148]
	v_fma_f64 v[135:136], v[135:136], v[6:7], -v[8:9]
	v_add_f64_e32 v[147:148], 0, v[149:150]
	v_add_f64_e32 v[149:150], 0, v[151:152]
	scratch_load_b128 v[6:9], off, off offset:688
	v_fma_f64 v[153:154], v[4:5], v[10:11], v[153:154]
	v_fma_f64 v[155:156], v[2:3], v[10:11], -v[12:13]
	ds_load_b128 v[2:5], v1 offset:1264
	s_wait_loadcnt_dscnt 0x901
	v_mul_f64_e32 v[151:152], v[143:144], v[16:17]
	v_mul_f64_e32 v[16:17], v[145:146], v[16:17]
	scratch_load_b128 v[10:13], off, off offset:704
	v_add_f64_e32 v[147:148], v[147:148], v[135:136]
	v_add_f64_e32 v[149:150], v[149:150], v[137:138]
	s_wait_loadcnt_dscnt 0x900
	v_mul_f64_e32 v[157:158], v[2:3], v[20:21]
	v_mul_f64_e32 v[20:21], v[4:5], v[20:21]
	ds_load_b128 v[135:138], v1 offset:1280
	v_fma_f64 v[145:146], v[145:146], v[14:15], v[151:152]
	v_fma_f64 v[14:15], v[143:144], v[14:15], -v[16:17]
	v_add_f64_e32 v[16:17], v[147:148], v[155:156]
	v_add_f64_e32 v[143:144], v[149:150], v[153:154]
	s_wait_loadcnt_dscnt 0x800
	v_mul_f64_e32 v[147:148], v[135:136], v[24:25]
	v_mul_f64_e32 v[24:25], v[137:138], v[24:25]
	v_fma_f64 v[149:150], v[4:5], v[18:19], v[157:158]
	v_fma_f64 v[18:19], v[2:3], v[18:19], -v[20:21]
	v_add_f64_e32 v[20:21], v[16:17], v[14:15]
	v_add_f64_e32 v[143:144], v[143:144], v[145:146]
	ds_load_b128 v[2:5], v1 offset:1296
	ds_load_b128 v[14:17], v1 offset:1312
	v_fma_f64 v[137:138], v[137:138], v[22:23], v[147:148]
	v_fma_f64 v[22:23], v[135:136], v[22:23], -v[24:25]
	s_wait_loadcnt_dscnt 0x701
	v_mul_f64_e32 v[145:146], v[2:3], v[28:29]
	v_mul_f64_e32 v[28:29], v[4:5], v[28:29]
	s_wait_loadcnt_dscnt 0x600
	v_mul_f64_e32 v[24:25], v[14:15], v[32:33]
	v_mul_f64_e32 v[32:33], v[16:17], v[32:33]
	v_add_f64_e32 v[18:19], v[20:21], v[18:19]
	v_add_f64_e32 v[20:21], v[143:144], v[149:150]
	v_fma_f64 v[135:136], v[4:5], v[26:27], v[145:146]
	v_fma_f64 v[26:27], v[2:3], v[26:27], -v[28:29]
	v_fma_f64 v[16:17], v[16:17], v[30:31], v[24:25]
	v_fma_f64 v[14:15], v[14:15], v[30:31], -v[32:33]
	v_add_f64_e32 v[22:23], v[18:19], v[22:23]
	v_add_f64_e32 v[28:29], v[20:21], v[137:138]
	ds_load_b128 v[2:5], v1 offset:1328
	ds_load_b128 v[18:21], v1 offset:1344
	s_wait_loadcnt_dscnt 0x501
	v_mul_f64_e32 v[137:138], v[2:3], v[40:41]
	v_mul_f64_e32 v[40:41], v[4:5], v[40:41]
	v_add_f64_e32 v[22:23], v[22:23], v[26:27]
	v_add_f64_e32 v[24:25], v[28:29], v[135:136]
	s_wait_loadcnt_dscnt 0x300
	v_mul_f64_e32 v[26:27], v[18:19], v[141:142]
	v_mul_f64_e32 v[28:29], v[20:21], v[141:142]
	v_fma_f64 v[30:31], v[4:5], v[38:39], v[137:138]
	v_fma_f64 v[32:33], v[2:3], v[38:39], -v[40:41]
	v_add_f64_e32 v[22:23], v[22:23], v[14:15]
	v_add_f64_e32 v[24:25], v[24:25], v[16:17]
	ds_load_b128 v[2:5], v1 offset:1360
	ds_load_b128 v[14:17], v1 offset:1376
	v_fma_f64 v[20:21], v[20:21], v[139:140], v[26:27]
	v_fma_f64 v[18:19], v[18:19], v[139:140], -v[28:29]
	s_wait_loadcnt_dscnt 0x201
	v_mul_f64_e32 v[38:39], v[2:3], v[36:37]
	v_mul_f64_e32 v[36:37], v[4:5], v[36:37]
	v_add_f64_e32 v[22:23], v[22:23], v[32:33]
	v_add_f64_e32 v[24:25], v[24:25], v[30:31]
	s_wait_loadcnt_dscnt 0x100
	v_mul_f64_e32 v[26:27], v[14:15], v[8:9]
	v_mul_f64_e32 v[8:9], v[16:17], v[8:9]
	v_fma_f64 v[28:29], v[4:5], v[34:35], v[38:39]
	v_fma_f64 v[30:31], v[2:3], v[34:35], -v[36:37]
	ds_load_b128 v[2:5], v1 offset:1392
	v_add_f64_e32 v[18:19], v[22:23], v[18:19]
	v_add_f64_e32 v[20:21], v[24:25], v[20:21]
	s_wait_loadcnt_dscnt 0x0
	v_mul_f64_e32 v[22:23], v[2:3], v[12:13]
	v_mul_f64_e32 v[12:13], v[4:5], v[12:13]
	v_fma_f64 v[16:17], v[16:17], v[6:7], v[26:27]
	v_fma_f64 v[6:7], v[14:15], v[6:7], -v[8:9]
	v_add_f64_e32 v[8:9], v[18:19], v[30:31]
	v_add_f64_e32 v[14:15], v[20:21], v[28:29]
	v_fma_f64 v[4:5], v[4:5], v[10:11], v[22:23]
	v_fma_f64 v[2:3], v[2:3], v[10:11], -v[12:13]
	s_delay_alu instid0(VALU_DEP_4) | instskip(NEXT) | instid1(VALU_DEP_4)
	v_add_f64_e32 v[6:7], v[8:9], v[6:7]
	v_add_f64_e32 v[8:9], v[14:15], v[16:17]
	s_delay_alu instid0(VALU_DEP_2) | instskip(NEXT) | instid1(VALU_DEP_2)
	v_add_f64_e32 v[2:3], v[6:7], v[2:3]
	v_add_f64_e32 v[4:5], v[8:9], v[4:5]
	s_delay_alu instid0(VALU_DEP_2) | instskip(NEXT) | instid1(VALU_DEP_2)
	v_add_f64_e64 v[2:3], v[42:43], -v[2:3]
	v_add_f64_e64 v[4:5], v[44:45], -v[4:5]
	scratch_store_b128 off, v[2:5], off offset:496
	v_cmpx_lt_u32_e32 29, v0
	s_cbranch_execz .LBB107_219
; %bb.218:
	scratch_load_b128 v[5:8], off, s27
	v_dual_mov_b32 v2, v1 :: v_dual_mov_b32 v3, v1
	v_mov_b32_e32 v4, v1
	scratch_store_b128 off, v[1:4], off offset:480
	s_wait_loadcnt 0x0
	ds_store_b128 v134, v[5:8]
.LBB107_219:
	s_wait_alu 0xfffe
	s_or_b32 exec_lo, exec_lo, s0
	s_wait_storecnt_dscnt 0x0
	s_barrier_signal -1
	s_barrier_wait -1
	global_inv scope:SCOPE_SE
	s_clause 0x8
	scratch_load_b128 v[2:5], off, off offset:496
	scratch_load_b128 v[6:9], off, off offset:512
	;; [unrolled: 1-line block ×9, first 2 shown]
	ds_load_b128 v[38:41], v1 offset:1184
	ds_load_b128 v[42:45], v1 offset:1200
	s_clause 0x1
	scratch_load_b128 v[135:138], off, off offset:480
	scratch_load_b128 v[139:142], off, off offset:640
	s_mov_b32 s0, exec_lo
	s_wait_loadcnt_dscnt 0xa01
	v_mul_f64_e32 v[143:144], v[40:41], v[4:5]
	v_mul_f64_e32 v[4:5], v[38:39], v[4:5]
	s_wait_loadcnt_dscnt 0x900
	v_mul_f64_e32 v[147:148], v[42:43], v[8:9]
	v_mul_f64_e32 v[8:9], v[44:45], v[8:9]
	s_delay_alu instid0(VALU_DEP_4) | instskip(NEXT) | instid1(VALU_DEP_4)
	v_fma_f64 v[149:150], v[38:39], v[2:3], -v[143:144]
	v_fma_f64 v[151:152], v[40:41], v[2:3], v[4:5]
	ds_load_b128 v[2:5], v1 offset:1216
	ds_load_b128 v[143:146], v1 offset:1232
	scratch_load_b128 v[38:41], off, off offset:656
	v_fma_f64 v[44:45], v[44:45], v[6:7], v[147:148]
	v_fma_f64 v[42:43], v[42:43], v[6:7], -v[8:9]
	scratch_load_b128 v[6:9], off, off offset:672
	s_wait_loadcnt_dscnt 0xa01
	v_mul_f64_e32 v[153:154], v[2:3], v[12:13]
	v_mul_f64_e32 v[12:13], v[4:5], v[12:13]
	v_add_f64_e32 v[147:148], 0, v[149:150]
	v_add_f64_e32 v[149:150], 0, v[151:152]
	s_wait_loadcnt_dscnt 0x900
	v_mul_f64_e32 v[151:152], v[143:144], v[16:17]
	v_mul_f64_e32 v[16:17], v[145:146], v[16:17]
	v_fma_f64 v[153:154], v[4:5], v[10:11], v[153:154]
	v_fma_f64 v[155:156], v[2:3], v[10:11], -v[12:13]
	ds_load_b128 v[2:5], v1 offset:1248
	scratch_load_b128 v[10:13], off, off offset:688
	v_add_f64_e32 v[147:148], v[147:148], v[42:43]
	v_add_f64_e32 v[149:150], v[149:150], v[44:45]
	ds_load_b128 v[42:45], v1 offset:1264
	v_fma_f64 v[145:146], v[145:146], v[14:15], v[151:152]
	v_fma_f64 v[143:144], v[143:144], v[14:15], -v[16:17]
	scratch_load_b128 v[14:17], off, off offset:704
	s_wait_loadcnt_dscnt 0xa01
	v_mul_f64_e32 v[157:158], v[2:3], v[20:21]
	v_mul_f64_e32 v[20:21], v[4:5], v[20:21]
	s_wait_loadcnt_dscnt 0x900
	v_mul_f64_e32 v[151:152], v[42:43], v[24:25]
	v_mul_f64_e32 v[24:25], v[44:45], v[24:25]
	v_add_f64_e32 v[147:148], v[147:148], v[155:156]
	v_add_f64_e32 v[149:150], v[149:150], v[153:154]
	v_fma_f64 v[153:154], v[4:5], v[18:19], v[157:158]
	v_fma_f64 v[155:156], v[2:3], v[18:19], -v[20:21]
	ds_load_b128 v[2:5], v1 offset:1280
	ds_load_b128 v[18:21], v1 offset:1296
	v_fma_f64 v[44:45], v[44:45], v[22:23], v[151:152]
	v_fma_f64 v[22:23], v[42:43], v[22:23], -v[24:25]
	v_add_f64_e32 v[143:144], v[147:148], v[143:144]
	v_add_f64_e32 v[145:146], v[149:150], v[145:146]
	s_wait_loadcnt_dscnt 0x801
	v_mul_f64_e32 v[147:148], v[2:3], v[28:29]
	v_mul_f64_e32 v[28:29], v[4:5], v[28:29]
	s_delay_alu instid0(VALU_DEP_4) | instskip(NEXT) | instid1(VALU_DEP_4)
	v_add_f64_e32 v[24:25], v[143:144], v[155:156]
	v_add_f64_e32 v[42:43], v[145:146], v[153:154]
	s_wait_loadcnt_dscnt 0x700
	v_mul_f64_e32 v[143:144], v[18:19], v[32:33]
	v_mul_f64_e32 v[32:33], v[20:21], v[32:33]
	v_fma_f64 v[145:146], v[4:5], v[26:27], v[147:148]
	v_fma_f64 v[26:27], v[2:3], v[26:27], -v[28:29]
	v_add_f64_e32 v[28:29], v[24:25], v[22:23]
	v_add_f64_e32 v[42:43], v[42:43], v[44:45]
	ds_load_b128 v[2:5], v1 offset:1312
	ds_load_b128 v[22:25], v1 offset:1328
	v_fma_f64 v[20:21], v[20:21], v[30:31], v[143:144]
	v_fma_f64 v[18:19], v[18:19], v[30:31], -v[32:33]
	s_wait_loadcnt_dscnt 0x601
	v_mul_f64_e32 v[44:45], v[2:3], v[36:37]
	v_mul_f64_e32 v[36:37], v[4:5], v[36:37]
	s_wait_loadcnt_dscnt 0x400
	v_mul_f64_e32 v[30:31], v[22:23], v[141:142]
	v_mul_f64_e32 v[32:33], v[24:25], v[141:142]
	v_add_f64_e32 v[26:27], v[28:29], v[26:27]
	v_add_f64_e32 v[28:29], v[42:43], v[145:146]
	v_fma_f64 v[42:43], v[4:5], v[34:35], v[44:45]
	v_fma_f64 v[34:35], v[2:3], v[34:35], -v[36:37]
	v_fma_f64 v[24:25], v[24:25], v[139:140], v[30:31]
	v_fma_f64 v[22:23], v[22:23], v[139:140], -v[32:33]
	v_add_f64_e32 v[26:27], v[26:27], v[18:19]
	v_add_f64_e32 v[28:29], v[28:29], v[20:21]
	ds_load_b128 v[2:5], v1 offset:1344
	ds_load_b128 v[18:21], v1 offset:1360
	s_wait_loadcnt_dscnt 0x301
	v_mul_f64_e32 v[36:37], v[2:3], v[40:41]
	v_mul_f64_e32 v[40:41], v[4:5], v[40:41]
	s_wait_loadcnt_dscnt 0x200
	v_mul_f64_e32 v[30:31], v[18:19], v[8:9]
	v_mul_f64_e32 v[8:9], v[20:21], v[8:9]
	v_add_f64_e32 v[26:27], v[26:27], v[34:35]
	v_add_f64_e32 v[28:29], v[28:29], v[42:43]
	v_fma_f64 v[32:33], v[4:5], v[38:39], v[36:37]
	v_fma_f64 v[34:35], v[2:3], v[38:39], -v[40:41]
	v_fma_f64 v[20:21], v[20:21], v[6:7], v[30:31]
	v_fma_f64 v[6:7], v[18:19], v[6:7], -v[8:9]
	v_add_f64_e32 v[26:27], v[26:27], v[22:23]
	v_add_f64_e32 v[28:29], v[28:29], v[24:25]
	ds_load_b128 v[2:5], v1 offset:1376
	ds_load_b128 v[22:25], v1 offset:1392
	s_wait_loadcnt_dscnt 0x101
	v_mul_f64_e32 v[36:37], v[2:3], v[12:13]
	v_mul_f64_e32 v[12:13], v[4:5], v[12:13]
	v_add_f64_e32 v[8:9], v[26:27], v[34:35]
	v_add_f64_e32 v[18:19], v[28:29], v[32:33]
	s_wait_loadcnt_dscnt 0x0
	v_mul_f64_e32 v[26:27], v[22:23], v[16:17]
	v_mul_f64_e32 v[16:17], v[24:25], v[16:17]
	v_fma_f64 v[4:5], v[4:5], v[10:11], v[36:37]
	v_fma_f64 v[1:2], v[2:3], v[10:11], -v[12:13]
	v_add_f64_e32 v[6:7], v[8:9], v[6:7]
	v_add_f64_e32 v[8:9], v[18:19], v[20:21]
	v_fma_f64 v[10:11], v[24:25], v[14:15], v[26:27]
	v_fma_f64 v[12:13], v[22:23], v[14:15], -v[16:17]
	s_delay_alu instid0(VALU_DEP_4) | instskip(NEXT) | instid1(VALU_DEP_4)
	v_add_f64_e32 v[1:2], v[6:7], v[1:2]
	v_add_f64_e32 v[3:4], v[8:9], v[4:5]
	s_delay_alu instid0(VALU_DEP_2) | instskip(NEXT) | instid1(VALU_DEP_2)
	v_add_f64_e32 v[1:2], v[1:2], v[12:13]
	v_add_f64_e32 v[3:4], v[3:4], v[10:11]
	s_delay_alu instid0(VALU_DEP_2) | instskip(NEXT) | instid1(VALU_DEP_2)
	v_add_f64_e64 v[1:2], v[135:136], -v[1:2]
	v_add_f64_e64 v[3:4], v[137:138], -v[3:4]
	scratch_store_b128 off, v[1:4], off offset:480
	v_cmpx_lt_u32_e32 28, v0
	s_cbranch_execz .LBB107_221
; %bb.220:
	scratch_load_b128 v[1:4], off, s28
	v_mov_b32_e32 v5, 0
	s_delay_alu instid0(VALU_DEP_1)
	v_dual_mov_b32 v6, v5 :: v_dual_mov_b32 v7, v5
	v_mov_b32_e32 v8, v5
	scratch_store_b128 off, v[5:8], off offset:464
	s_wait_loadcnt 0x0
	ds_store_b128 v134, v[1:4]
.LBB107_221:
	s_wait_alu 0xfffe
	s_or_b32 exec_lo, exec_lo, s0
	s_wait_storecnt_dscnt 0x0
	s_barrier_signal -1
	s_barrier_wait -1
	global_inv scope:SCOPE_SE
	s_clause 0x7
	scratch_load_b128 v[2:5], off, off offset:480
	scratch_load_b128 v[6:9], off, off offset:496
	;; [unrolled: 1-line block ×8, first 2 shown]
	v_mov_b32_e32 v1, 0
	s_mov_b32 s0, exec_lo
	ds_load_b128 v[34:37], v1 offset:1168
	s_clause 0x1
	scratch_load_b128 v[38:41], off, off offset:608
	scratch_load_b128 v[42:45], off, off offset:464
	ds_load_b128 v[135:138], v1 offset:1184
	scratch_load_b128 v[139:142], off, off offset:624
	s_wait_loadcnt_dscnt 0xa01
	v_mul_f64_e32 v[143:144], v[36:37], v[4:5]
	v_mul_f64_e32 v[4:5], v[34:35], v[4:5]
	s_delay_alu instid0(VALU_DEP_2) | instskip(NEXT) | instid1(VALU_DEP_2)
	v_fma_f64 v[149:150], v[34:35], v[2:3], -v[143:144]
	v_fma_f64 v[151:152], v[36:37], v[2:3], v[4:5]
	ds_load_b128 v[2:5], v1 offset:1200
	s_wait_loadcnt_dscnt 0x901
	v_mul_f64_e32 v[147:148], v[135:136], v[8:9]
	v_mul_f64_e32 v[8:9], v[137:138], v[8:9]
	scratch_load_b128 v[34:37], off, off offset:640
	ds_load_b128 v[143:146], v1 offset:1216
	s_wait_loadcnt_dscnt 0x901
	v_mul_f64_e32 v[153:154], v[2:3], v[12:13]
	v_mul_f64_e32 v[12:13], v[4:5], v[12:13]
	v_fma_f64 v[137:138], v[137:138], v[6:7], v[147:148]
	v_fma_f64 v[135:136], v[135:136], v[6:7], -v[8:9]
	v_add_f64_e32 v[147:148], 0, v[149:150]
	v_add_f64_e32 v[149:150], 0, v[151:152]
	scratch_load_b128 v[6:9], off, off offset:656
	v_fma_f64 v[153:154], v[4:5], v[10:11], v[153:154]
	v_fma_f64 v[155:156], v[2:3], v[10:11], -v[12:13]
	ds_load_b128 v[2:5], v1 offset:1232
	s_wait_loadcnt_dscnt 0x901
	v_mul_f64_e32 v[151:152], v[143:144], v[16:17]
	v_mul_f64_e32 v[16:17], v[145:146], v[16:17]
	scratch_load_b128 v[10:13], off, off offset:672
	v_add_f64_e32 v[147:148], v[147:148], v[135:136]
	v_add_f64_e32 v[149:150], v[149:150], v[137:138]
	s_wait_loadcnt_dscnt 0x900
	v_mul_f64_e32 v[157:158], v[2:3], v[20:21]
	v_mul_f64_e32 v[20:21], v[4:5], v[20:21]
	ds_load_b128 v[135:138], v1 offset:1248
	v_fma_f64 v[145:146], v[145:146], v[14:15], v[151:152]
	v_fma_f64 v[143:144], v[143:144], v[14:15], -v[16:17]
	scratch_load_b128 v[14:17], off, off offset:688
	v_add_f64_e32 v[147:148], v[147:148], v[155:156]
	v_add_f64_e32 v[149:150], v[149:150], v[153:154]
	v_fma_f64 v[153:154], v[4:5], v[18:19], v[157:158]
	v_fma_f64 v[155:156], v[2:3], v[18:19], -v[20:21]
	ds_load_b128 v[2:5], v1 offset:1264
	s_wait_loadcnt_dscnt 0x901
	v_mul_f64_e32 v[151:152], v[135:136], v[24:25]
	v_mul_f64_e32 v[24:25], v[137:138], v[24:25]
	scratch_load_b128 v[18:21], off, off offset:704
	s_wait_loadcnt_dscnt 0x900
	v_mul_f64_e32 v[157:158], v[2:3], v[28:29]
	v_mul_f64_e32 v[28:29], v[4:5], v[28:29]
	v_add_f64_e32 v[147:148], v[147:148], v[143:144]
	v_add_f64_e32 v[149:150], v[149:150], v[145:146]
	ds_load_b128 v[143:146], v1 offset:1280
	v_fma_f64 v[137:138], v[137:138], v[22:23], v[151:152]
	v_fma_f64 v[22:23], v[135:136], v[22:23], -v[24:25]
	v_add_f64_e32 v[24:25], v[147:148], v[155:156]
	v_add_f64_e32 v[135:136], v[149:150], v[153:154]
	s_wait_loadcnt_dscnt 0x800
	v_mul_f64_e32 v[147:148], v[143:144], v[32:33]
	v_mul_f64_e32 v[32:33], v[145:146], v[32:33]
	v_fma_f64 v[149:150], v[4:5], v[26:27], v[157:158]
	v_fma_f64 v[26:27], v[2:3], v[26:27], -v[28:29]
	v_add_f64_e32 v[28:29], v[24:25], v[22:23]
	v_add_f64_e32 v[135:136], v[135:136], v[137:138]
	ds_load_b128 v[2:5], v1 offset:1296
	ds_load_b128 v[22:25], v1 offset:1312
	v_fma_f64 v[145:146], v[145:146], v[30:31], v[147:148]
	v_fma_f64 v[30:31], v[143:144], v[30:31], -v[32:33]
	s_wait_loadcnt_dscnt 0x701
	v_mul_f64_e32 v[137:138], v[2:3], v[40:41]
	v_mul_f64_e32 v[40:41], v[4:5], v[40:41]
	s_wait_loadcnt_dscnt 0x500
	v_mul_f64_e32 v[32:33], v[22:23], v[141:142]
	v_add_f64_e32 v[26:27], v[28:29], v[26:27]
	v_add_f64_e32 v[28:29], v[135:136], v[149:150]
	v_mul_f64_e32 v[135:136], v[24:25], v[141:142]
	v_fma_f64 v[137:138], v[4:5], v[38:39], v[137:138]
	v_fma_f64 v[38:39], v[2:3], v[38:39], -v[40:41]
	v_fma_f64 v[24:25], v[24:25], v[139:140], v[32:33]
	v_add_f64_e32 v[30:31], v[26:27], v[30:31]
	v_add_f64_e32 v[40:41], v[28:29], v[145:146]
	ds_load_b128 v[2:5], v1 offset:1328
	ds_load_b128 v[26:29], v1 offset:1344
	v_fma_f64 v[22:23], v[22:23], v[139:140], -v[135:136]
	s_wait_loadcnt_dscnt 0x401
	v_mul_f64_e32 v[141:142], v[2:3], v[36:37]
	v_mul_f64_e32 v[36:37], v[4:5], v[36:37]
	v_add_f64_e32 v[30:31], v[30:31], v[38:39]
	v_add_f64_e32 v[32:33], v[40:41], v[137:138]
	s_wait_loadcnt_dscnt 0x300
	v_mul_f64_e32 v[38:39], v[26:27], v[8:9]
	v_mul_f64_e32 v[8:9], v[28:29], v[8:9]
	v_fma_f64 v[40:41], v[4:5], v[34:35], v[141:142]
	v_fma_f64 v[34:35], v[2:3], v[34:35], -v[36:37]
	v_add_f64_e32 v[30:31], v[30:31], v[22:23]
	v_add_f64_e32 v[32:33], v[32:33], v[24:25]
	ds_load_b128 v[2:5], v1 offset:1360
	ds_load_b128 v[22:25], v1 offset:1376
	v_fma_f64 v[28:29], v[28:29], v[6:7], v[38:39]
	v_fma_f64 v[6:7], v[26:27], v[6:7], -v[8:9]
	s_wait_loadcnt_dscnt 0x201
	v_mul_f64_e32 v[36:37], v[2:3], v[12:13]
	v_mul_f64_e32 v[12:13], v[4:5], v[12:13]
	v_add_f64_e32 v[8:9], v[30:31], v[34:35]
	v_add_f64_e32 v[26:27], v[32:33], v[40:41]
	s_wait_loadcnt_dscnt 0x100
	v_mul_f64_e32 v[30:31], v[22:23], v[16:17]
	v_mul_f64_e32 v[16:17], v[24:25], v[16:17]
	v_fma_f64 v[32:33], v[4:5], v[10:11], v[36:37]
	v_fma_f64 v[10:11], v[2:3], v[10:11], -v[12:13]
	ds_load_b128 v[2:5], v1 offset:1392
	v_add_f64_e32 v[6:7], v[8:9], v[6:7]
	v_add_f64_e32 v[8:9], v[26:27], v[28:29]
	v_fma_f64 v[24:25], v[24:25], v[14:15], v[30:31]
	v_fma_f64 v[14:15], v[22:23], v[14:15], -v[16:17]
	s_wait_loadcnt_dscnt 0x0
	v_mul_f64_e32 v[12:13], v[2:3], v[20:21]
	v_mul_f64_e32 v[20:21], v[4:5], v[20:21]
	v_add_f64_e32 v[6:7], v[6:7], v[10:11]
	v_add_f64_e32 v[8:9], v[8:9], v[32:33]
	s_delay_alu instid0(VALU_DEP_4) | instskip(NEXT) | instid1(VALU_DEP_4)
	v_fma_f64 v[4:5], v[4:5], v[18:19], v[12:13]
	v_fma_f64 v[2:3], v[2:3], v[18:19], -v[20:21]
	s_delay_alu instid0(VALU_DEP_4) | instskip(NEXT) | instid1(VALU_DEP_4)
	v_add_f64_e32 v[6:7], v[6:7], v[14:15]
	v_add_f64_e32 v[8:9], v[8:9], v[24:25]
	s_delay_alu instid0(VALU_DEP_2) | instskip(NEXT) | instid1(VALU_DEP_2)
	v_add_f64_e32 v[2:3], v[6:7], v[2:3]
	v_add_f64_e32 v[4:5], v[8:9], v[4:5]
	s_delay_alu instid0(VALU_DEP_2) | instskip(NEXT) | instid1(VALU_DEP_2)
	v_add_f64_e64 v[2:3], v[42:43], -v[2:3]
	v_add_f64_e64 v[4:5], v[44:45], -v[4:5]
	scratch_store_b128 off, v[2:5], off offset:464
	v_cmpx_lt_u32_e32 27, v0
	s_cbranch_execz .LBB107_223
; %bb.222:
	scratch_load_b128 v[5:8], off, s29
	v_dual_mov_b32 v2, v1 :: v_dual_mov_b32 v3, v1
	v_mov_b32_e32 v4, v1
	scratch_store_b128 off, v[1:4], off offset:448
	s_wait_loadcnt 0x0
	ds_store_b128 v134, v[5:8]
.LBB107_223:
	s_wait_alu 0xfffe
	s_or_b32 exec_lo, exec_lo, s0
	s_wait_storecnt_dscnt 0x0
	s_barrier_signal -1
	s_barrier_wait -1
	global_inv scope:SCOPE_SE
	s_clause 0x8
	scratch_load_b128 v[2:5], off, off offset:464
	scratch_load_b128 v[6:9], off, off offset:480
	;; [unrolled: 1-line block ×9, first 2 shown]
	ds_load_b128 v[38:41], v1 offset:1152
	ds_load_b128 v[42:45], v1 offset:1168
	s_clause 0x1
	scratch_load_b128 v[135:138], off, off offset:448
	scratch_load_b128 v[139:142], off, off offset:608
	s_mov_b32 s0, exec_lo
	s_wait_loadcnt_dscnt 0xa01
	v_mul_f64_e32 v[143:144], v[40:41], v[4:5]
	v_mul_f64_e32 v[4:5], v[38:39], v[4:5]
	s_wait_loadcnt_dscnt 0x900
	v_mul_f64_e32 v[147:148], v[42:43], v[8:9]
	v_mul_f64_e32 v[8:9], v[44:45], v[8:9]
	s_delay_alu instid0(VALU_DEP_4) | instskip(NEXT) | instid1(VALU_DEP_4)
	v_fma_f64 v[149:150], v[38:39], v[2:3], -v[143:144]
	v_fma_f64 v[151:152], v[40:41], v[2:3], v[4:5]
	ds_load_b128 v[2:5], v1 offset:1184
	ds_load_b128 v[143:146], v1 offset:1200
	scratch_load_b128 v[38:41], off, off offset:624
	v_fma_f64 v[44:45], v[44:45], v[6:7], v[147:148]
	v_fma_f64 v[42:43], v[42:43], v[6:7], -v[8:9]
	scratch_load_b128 v[6:9], off, off offset:640
	s_wait_loadcnt_dscnt 0xa01
	v_mul_f64_e32 v[153:154], v[2:3], v[12:13]
	v_mul_f64_e32 v[12:13], v[4:5], v[12:13]
	v_add_f64_e32 v[147:148], 0, v[149:150]
	v_add_f64_e32 v[149:150], 0, v[151:152]
	s_wait_loadcnt_dscnt 0x900
	v_mul_f64_e32 v[151:152], v[143:144], v[16:17]
	v_mul_f64_e32 v[16:17], v[145:146], v[16:17]
	v_fma_f64 v[153:154], v[4:5], v[10:11], v[153:154]
	v_fma_f64 v[155:156], v[2:3], v[10:11], -v[12:13]
	ds_load_b128 v[2:5], v1 offset:1216
	scratch_load_b128 v[10:13], off, off offset:656
	v_add_f64_e32 v[147:148], v[147:148], v[42:43]
	v_add_f64_e32 v[149:150], v[149:150], v[44:45]
	ds_load_b128 v[42:45], v1 offset:1232
	v_fma_f64 v[145:146], v[145:146], v[14:15], v[151:152]
	v_fma_f64 v[143:144], v[143:144], v[14:15], -v[16:17]
	scratch_load_b128 v[14:17], off, off offset:672
	s_wait_loadcnt_dscnt 0xa01
	v_mul_f64_e32 v[157:158], v[2:3], v[20:21]
	v_mul_f64_e32 v[20:21], v[4:5], v[20:21]
	s_wait_loadcnt_dscnt 0x900
	v_mul_f64_e32 v[151:152], v[42:43], v[24:25]
	v_mul_f64_e32 v[24:25], v[44:45], v[24:25]
	v_add_f64_e32 v[147:148], v[147:148], v[155:156]
	v_add_f64_e32 v[149:150], v[149:150], v[153:154]
	v_fma_f64 v[153:154], v[4:5], v[18:19], v[157:158]
	v_fma_f64 v[155:156], v[2:3], v[18:19], -v[20:21]
	ds_load_b128 v[2:5], v1 offset:1248
	scratch_load_b128 v[18:21], off, off offset:688
	v_fma_f64 v[44:45], v[44:45], v[22:23], v[151:152]
	v_fma_f64 v[42:43], v[42:43], v[22:23], -v[24:25]
	scratch_load_b128 v[22:25], off, off offset:704
	v_add_f64_e32 v[147:148], v[147:148], v[143:144]
	v_add_f64_e32 v[149:150], v[149:150], v[145:146]
	ds_load_b128 v[143:146], v1 offset:1264
	s_wait_loadcnt_dscnt 0xa01
	v_mul_f64_e32 v[157:158], v[2:3], v[28:29]
	v_mul_f64_e32 v[28:29], v[4:5], v[28:29]
	s_wait_loadcnt_dscnt 0x900
	v_mul_f64_e32 v[151:152], v[143:144], v[32:33]
	v_mul_f64_e32 v[32:33], v[145:146], v[32:33]
	v_add_f64_e32 v[147:148], v[147:148], v[155:156]
	v_add_f64_e32 v[149:150], v[149:150], v[153:154]
	v_fma_f64 v[153:154], v[4:5], v[26:27], v[157:158]
	v_fma_f64 v[155:156], v[2:3], v[26:27], -v[28:29]
	ds_load_b128 v[2:5], v1 offset:1280
	ds_load_b128 v[26:29], v1 offset:1296
	v_fma_f64 v[145:146], v[145:146], v[30:31], v[151:152]
	v_fma_f64 v[30:31], v[143:144], v[30:31], -v[32:33]
	v_add_f64_e32 v[42:43], v[147:148], v[42:43]
	v_add_f64_e32 v[44:45], v[149:150], v[44:45]
	s_wait_loadcnt_dscnt 0x801
	v_mul_f64_e32 v[147:148], v[2:3], v[36:37]
	v_mul_f64_e32 v[36:37], v[4:5], v[36:37]
	s_delay_alu instid0(VALU_DEP_4) | instskip(NEXT) | instid1(VALU_DEP_4)
	v_add_f64_e32 v[32:33], v[42:43], v[155:156]
	v_add_f64_e32 v[42:43], v[44:45], v[153:154]
	s_wait_loadcnt_dscnt 0x600
	v_mul_f64_e32 v[44:45], v[26:27], v[141:142]
	v_mul_f64_e32 v[141:142], v[28:29], v[141:142]
	v_fma_f64 v[143:144], v[4:5], v[34:35], v[147:148]
	v_fma_f64 v[34:35], v[2:3], v[34:35], -v[36:37]
	v_add_f64_e32 v[36:37], v[32:33], v[30:31]
	v_add_f64_e32 v[42:43], v[42:43], v[145:146]
	ds_load_b128 v[2:5], v1 offset:1312
	ds_load_b128 v[30:33], v1 offset:1328
	v_fma_f64 v[28:29], v[28:29], v[139:140], v[44:45]
	v_fma_f64 v[26:27], v[26:27], v[139:140], -v[141:142]
	s_wait_loadcnt_dscnt 0x501
	v_mul_f64_e32 v[145:146], v[2:3], v[40:41]
	v_mul_f64_e32 v[40:41], v[4:5], v[40:41]
	v_add_f64_e32 v[34:35], v[36:37], v[34:35]
	v_add_f64_e32 v[36:37], v[42:43], v[143:144]
	s_wait_loadcnt_dscnt 0x400
	v_mul_f64_e32 v[42:43], v[30:31], v[8:9]
	v_mul_f64_e32 v[8:9], v[32:33], v[8:9]
	v_fma_f64 v[44:45], v[4:5], v[38:39], v[145:146]
	v_fma_f64 v[38:39], v[2:3], v[38:39], -v[40:41]
	v_add_f64_e32 v[34:35], v[34:35], v[26:27]
	v_add_f64_e32 v[36:37], v[36:37], v[28:29]
	ds_load_b128 v[2:5], v1 offset:1344
	ds_load_b128 v[26:29], v1 offset:1360
	v_fma_f64 v[32:33], v[32:33], v[6:7], v[42:43]
	v_fma_f64 v[6:7], v[30:31], v[6:7], -v[8:9]
	s_wait_loadcnt_dscnt 0x301
	v_mul_f64_e32 v[40:41], v[2:3], v[12:13]
	v_mul_f64_e32 v[12:13], v[4:5], v[12:13]
	;; [unrolled: 16-line block ×3, first 2 shown]
	s_wait_loadcnt_dscnt 0x0
	v_mul_f64_e32 v[16:17], v[6:7], v[24:25]
	v_mul_f64_e32 v[24:25], v[8:9], v[24:25]
	v_add_f64_e32 v[10:11], v[12:13], v[10:11]
	v_add_f64_e32 v[12:13], v[30:31], v[36:37]
	v_fma_f64 v[4:5], v[4:5], v[18:19], v[32:33]
	v_fma_f64 v[1:2], v[2:3], v[18:19], -v[20:21]
	v_fma_f64 v[8:9], v[8:9], v[22:23], v[16:17]
	v_fma_f64 v[6:7], v[6:7], v[22:23], -v[24:25]
	v_add_f64_e32 v[10:11], v[10:11], v[14:15]
	v_add_f64_e32 v[12:13], v[12:13], v[28:29]
	s_delay_alu instid0(VALU_DEP_2) | instskip(NEXT) | instid1(VALU_DEP_2)
	v_add_f64_e32 v[1:2], v[10:11], v[1:2]
	v_add_f64_e32 v[3:4], v[12:13], v[4:5]
	s_delay_alu instid0(VALU_DEP_2) | instskip(NEXT) | instid1(VALU_DEP_2)
	;; [unrolled: 3-line block ×3, first 2 shown]
	v_add_f64_e64 v[1:2], v[135:136], -v[1:2]
	v_add_f64_e64 v[3:4], v[137:138], -v[3:4]
	scratch_store_b128 off, v[1:4], off offset:448
	v_cmpx_lt_u32_e32 26, v0
	s_cbranch_execz .LBB107_225
; %bb.224:
	scratch_load_b128 v[1:4], off, s30
	v_mov_b32_e32 v5, 0
	s_delay_alu instid0(VALU_DEP_1)
	v_dual_mov_b32 v6, v5 :: v_dual_mov_b32 v7, v5
	v_mov_b32_e32 v8, v5
	scratch_store_b128 off, v[5:8], off offset:432
	s_wait_loadcnt 0x0
	ds_store_b128 v134, v[1:4]
.LBB107_225:
	s_wait_alu 0xfffe
	s_or_b32 exec_lo, exec_lo, s0
	s_wait_storecnt_dscnt 0x0
	s_barrier_signal -1
	s_barrier_wait -1
	global_inv scope:SCOPE_SE
	s_clause 0x7
	scratch_load_b128 v[2:5], off, off offset:448
	scratch_load_b128 v[6:9], off, off offset:464
	;; [unrolled: 1-line block ×8, first 2 shown]
	v_mov_b32_e32 v1, 0
	s_mov_b32 s0, exec_lo
	ds_load_b128 v[34:37], v1 offset:1136
	s_clause 0x1
	scratch_load_b128 v[38:41], off, off offset:576
	scratch_load_b128 v[42:45], off, off offset:432
	ds_load_b128 v[135:138], v1 offset:1152
	scratch_load_b128 v[139:142], off, off offset:592
	s_wait_loadcnt_dscnt 0xa01
	v_mul_f64_e32 v[143:144], v[36:37], v[4:5]
	v_mul_f64_e32 v[4:5], v[34:35], v[4:5]
	s_delay_alu instid0(VALU_DEP_2) | instskip(NEXT) | instid1(VALU_DEP_2)
	v_fma_f64 v[149:150], v[34:35], v[2:3], -v[143:144]
	v_fma_f64 v[151:152], v[36:37], v[2:3], v[4:5]
	ds_load_b128 v[2:5], v1 offset:1168
	s_wait_loadcnt_dscnt 0x901
	v_mul_f64_e32 v[147:148], v[135:136], v[8:9]
	v_mul_f64_e32 v[8:9], v[137:138], v[8:9]
	scratch_load_b128 v[34:37], off, off offset:608
	ds_load_b128 v[143:146], v1 offset:1184
	s_wait_loadcnt_dscnt 0x901
	v_mul_f64_e32 v[153:154], v[2:3], v[12:13]
	v_mul_f64_e32 v[12:13], v[4:5], v[12:13]
	v_fma_f64 v[137:138], v[137:138], v[6:7], v[147:148]
	v_fma_f64 v[135:136], v[135:136], v[6:7], -v[8:9]
	v_add_f64_e32 v[147:148], 0, v[149:150]
	v_add_f64_e32 v[149:150], 0, v[151:152]
	scratch_load_b128 v[6:9], off, off offset:624
	v_fma_f64 v[153:154], v[4:5], v[10:11], v[153:154]
	v_fma_f64 v[155:156], v[2:3], v[10:11], -v[12:13]
	ds_load_b128 v[2:5], v1 offset:1200
	s_wait_loadcnt_dscnt 0x901
	v_mul_f64_e32 v[151:152], v[143:144], v[16:17]
	v_mul_f64_e32 v[16:17], v[145:146], v[16:17]
	scratch_load_b128 v[10:13], off, off offset:640
	v_add_f64_e32 v[147:148], v[147:148], v[135:136]
	v_add_f64_e32 v[149:150], v[149:150], v[137:138]
	s_wait_loadcnt_dscnt 0x900
	v_mul_f64_e32 v[157:158], v[2:3], v[20:21]
	v_mul_f64_e32 v[20:21], v[4:5], v[20:21]
	ds_load_b128 v[135:138], v1 offset:1216
	v_fma_f64 v[145:146], v[145:146], v[14:15], v[151:152]
	v_fma_f64 v[143:144], v[143:144], v[14:15], -v[16:17]
	scratch_load_b128 v[14:17], off, off offset:656
	v_add_f64_e32 v[147:148], v[147:148], v[155:156]
	v_add_f64_e32 v[149:150], v[149:150], v[153:154]
	v_fma_f64 v[153:154], v[4:5], v[18:19], v[157:158]
	v_fma_f64 v[155:156], v[2:3], v[18:19], -v[20:21]
	ds_load_b128 v[2:5], v1 offset:1232
	s_wait_loadcnt_dscnt 0x901
	v_mul_f64_e32 v[151:152], v[135:136], v[24:25]
	v_mul_f64_e32 v[24:25], v[137:138], v[24:25]
	scratch_load_b128 v[18:21], off, off offset:672
	s_wait_loadcnt_dscnt 0x900
	v_mul_f64_e32 v[157:158], v[2:3], v[28:29]
	v_mul_f64_e32 v[28:29], v[4:5], v[28:29]
	v_add_f64_e32 v[147:148], v[147:148], v[143:144]
	v_add_f64_e32 v[149:150], v[149:150], v[145:146]
	ds_load_b128 v[143:146], v1 offset:1248
	v_fma_f64 v[137:138], v[137:138], v[22:23], v[151:152]
	v_fma_f64 v[135:136], v[135:136], v[22:23], -v[24:25]
	scratch_load_b128 v[22:25], off, off offset:688
	v_add_f64_e32 v[147:148], v[147:148], v[155:156]
	v_add_f64_e32 v[149:150], v[149:150], v[153:154]
	v_fma_f64 v[153:154], v[4:5], v[26:27], v[157:158]
	v_fma_f64 v[155:156], v[2:3], v[26:27], -v[28:29]
	ds_load_b128 v[2:5], v1 offset:1264
	s_wait_loadcnt_dscnt 0x901
	v_mul_f64_e32 v[151:152], v[143:144], v[32:33]
	v_mul_f64_e32 v[32:33], v[145:146], v[32:33]
	scratch_load_b128 v[26:29], off, off offset:704
	s_wait_loadcnt_dscnt 0x900
	v_mul_f64_e32 v[157:158], v[2:3], v[40:41]
	v_mul_f64_e32 v[40:41], v[4:5], v[40:41]
	v_add_f64_e32 v[147:148], v[147:148], v[135:136]
	v_add_f64_e32 v[149:150], v[149:150], v[137:138]
	ds_load_b128 v[135:138], v1 offset:1280
	v_fma_f64 v[145:146], v[145:146], v[30:31], v[151:152]
	v_fma_f64 v[30:31], v[143:144], v[30:31], -v[32:33]
	v_add_f64_e32 v[32:33], v[147:148], v[155:156]
	v_add_f64_e32 v[143:144], v[149:150], v[153:154]
	s_wait_loadcnt_dscnt 0x700
	v_mul_f64_e32 v[147:148], v[135:136], v[141:142]
	v_mul_f64_e32 v[141:142], v[137:138], v[141:142]
	v_fma_f64 v[149:150], v[4:5], v[38:39], v[157:158]
	v_fma_f64 v[38:39], v[2:3], v[38:39], -v[40:41]
	v_add_f64_e32 v[40:41], v[32:33], v[30:31]
	v_add_f64_e32 v[143:144], v[143:144], v[145:146]
	ds_load_b128 v[2:5], v1 offset:1296
	ds_load_b128 v[30:33], v1 offset:1312
	v_fma_f64 v[137:138], v[137:138], v[139:140], v[147:148]
	v_fma_f64 v[135:136], v[135:136], v[139:140], -v[141:142]
	s_wait_loadcnt_dscnt 0x601
	v_mul_f64_e32 v[145:146], v[2:3], v[36:37]
	v_mul_f64_e32 v[36:37], v[4:5], v[36:37]
	v_add_f64_e32 v[38:39], v[40:41], v[38:39]
	v_add_f64_e32 v[40:41], v[143:144], v[149:150]
	s_wait_loadcnt_dscnt 0x500
	v_mul_f64_e32 v[139:140], v[30:31], v[8:9]
	v_mul_f64_e32 v[8:9], v[32:33], v[8:9]
	v_fma_f64 v[141:142], v[4:5], v[34:35], v[145:146]
	v_fma_f64 v[143:144], v[2:3], v[34:35], -v[36:37]
	ds_load_b128 v[2:5], v1 offset:1328
	ds_load_b128 v[34:37], v1 offset:1344
	v_add_f64_e32 v[38:39], v[38:39], v[135:136]
	v_add_f64_e32 v[40:41], v[40:41], v[137:138]
	s_wait_loadcnt_dscnt 0x401
	v_mul_f64_e32 v[135:136], v[2:3], v[12:13]
	v_mul_f64_e32 v[12:13], v[4:5], v[12:13]
	v_fma_f64 v[32:33], v[32:33], v[6:7], v[139:140]
	v_fma_f64 v[6:7], v[30:31], v[6:7], -v[8:9]
	v_add_f64_e32 v[8:9], v[38:39], v[143:144]
	v_add_f64_e32 v[30:31], v[40:41], v[141:142]
	s_wait_loadcnt_dscnt 0x300
	v_mul_f64_e32 v[38:39], v[34:35], v[16:17]
	v_mul_f64_e32 v[16:17], v[36:37], v[16:17]
	v_fma_f64 v[40:41], v[4:5], v[10:11], v[135:136]
	v_fma_f64 v[10:11], v[2:3], v[10:11], -v[12:13]
	v_add_f64_e32 v[12:13], v[8:9], v[6:7]
	v_add_f64_e32 v[30:31], v[30:31], v[32:33]
	ds_load_b128 v[2:5], v1 offset:1360
	ds_load_b128 v[6:9], v1 offset:1376
	v_fma_f64 v[36:37], v[36:37], v[14:15], v[38:39]
	v_fma_f64 v[14:15], v[34:35], v[14:15], -v[16:17]
	s_wait_loadcnt_dscnt 0x201
	v_mul_f64_e32 v[32:33], v[2:3], v[20:21]
	v_mul_f64_e32 v[20:21], v[4:5], v[20:21]
	s_wait_loadcnt_dscnt 0x100
	v_mul_f64_e32 v[16:17], v[6:7], v[24:25]
	v_mul_f64_e32 v[24:25], v[8:9], v[24:25]
	v_add_f64_e32 v[10:11], v[12:13], v[10:11]
	v_add_f64_e32 v[12:13], v[30:31], v[40:41]
	v_fma_f64 v[30:31], v[4:5], v[18:19], v[32:33]
	v_fma_f64 v[18:19], v[2:3], v[18:19], -v[20:21]
	ds_load_b128 v[2:5], v1 offset:1392
	v_fma_f64 v[8:9], v[8:9], v[22:23], v[16:17]
	v_fma_f64 v[6:7], v[6:7], v[22:23], -v[24:25]
	v_add_f64_e32 v[10:11], v[10:11], v[14:15]
	v_add_f64_e32 v[12:13], v[12:13], v[36:37]
	s_wait_loadcnt_dscnt 0x0
	v_mul_f64_e32 v[14:15], v[2:3], v[28:29]
	v_mul_f64_e32 v[20:21], v[4:5], v[28:29]
	s_delay_alu instid0(VALU_DEP_4) | instskip(NEXT) | instid1(VALU_DEP_4)
	v_add_f64_e32 v[10:11], v[10:11], v[18:19]
	v_add_f64_e32 v[12:13], v[12:13], v[30:31]
	s_delay_alu instid0(VALU_DEP_4) | instskip(NEXT) | instid1(VALU_DEP_4)
	v_fma_f64 v[4:5], v[4:5], v[26:27], v[14:15]
	v_fma_f64 v[2:3], v[2:3], v[26:27], -v[20:21]
	s_delay_alu instid0(VALU_DEP_4) | instskip(NEXT) | instid1(VALU_DEP_4)
	v_add_f64_e32 v[6:7], v[10:11], v[6:7]
	v_add_f64_e32 v[8:9], v[12:13], v[8:9]
	s_delay_alu instid0(VALU_DEP_2) | instskip(NEXT) | instid1(VALU_DEP_2)
	v_add_f64_e32 v[2:3], v[6:7], v[2:3]
	v_add_f64_e32 v[4:5], v[8:9], v[4:5]
	s_delay_alu instid0(VALU_DEP_2) | instskip(NEXT) | instid1(VALU_DEP_2)
	v_add_f64_e64 v[2:3], v[42:43], -v[2:3]
	v_add_f64_e64 v[4:5], v[44:45], -v[4:5]
	scratch_store_b128 off, v[2:5], off offset:432
	v_cmpx_lt_u32_e32 25, v0
	s_cbranch_execz .LBB107_227
; %bb.226:
	scratch_load_b128 v[5:8], off, s31
	v_dual_mov_b32 v2, v1 :: v_dual_mov_b32 v3, v1
	v_mov_b32_e32 v4, v1
	scratch_store_b128 off, v[1:4], off offset:416
	s_wait_loadcnt 0x0
	ds_store_b128 v134, v[5:8]
.LBB107_227:
	s_wait_alu 0xfffe
	s_or_b32 exec_lo, exec_lo, s0
	s_wait_storecnt_dscnt 0x0
	s_barrier_signal -1
	s_barrier_wait -1
	global_inv scope:SCOPE_SE
	s_clause 0x8
	scratch_load_b128 v[2:5], off, off offset:432
	scratch_load_b128 v[6:9], off, off offset:448
	;; [unrolled: 1-line block ×9, first 2 shown]
	ds_load_b128 v[38:41], v1 offset:1120
	ds_load_b128 v[42:45], v1 offset:1136
	s_clause 0x1
	scratch_load_b128 v[135:138], off, off offset:416
	scratch_load_b128 v[139:142], off, off offset:576
	s_mov_b32 s0, exec_lo
	s_wait_loadcnt_dscnt 0xa01
	v_mul_f64_e32 v[143:144], v[40:41], v[4:5]
	v_mul_f64_e32 v[4:5], v[38:39], v[4:5]
	s_wait_loadcnt_dscnt 0x900
	v_mul_f64_e32 v[147:148], v[42:43], v[8:9]
	v_mul_f64_e32 v[8:9], v[44:45], v[8:9]
	s_delay_alu instid0(VALU_DEP_4) | instskip(NEXT) | instid1(VALU_DEP_4)
	v_fma_f64 v[149:150], v[38:39], v[2:3], -v[143:144]
	v_fma_f64 v[151:152], v[40:41], v[2:3], v[4:5]
	ds_load_b128 v[2:5], v1 offset:1152
	ds_load_b128 v[143:146], v1 offset:1168
	scratch_load_b128 v[38:41], off, off offset:592
	v_fma_f64 v[44:45], v[44:45], v[6:7], v[147:148]
	v_fma_f64 v[42:43], v[42:43], v[6:7], -v[8:9]
	scratch_load_b128 v[6:9], off, off offset:608
	s_wait_loadcnt_dscnt 0xa01
	v_mul_f64_e32 v[153:154], v[2:3], v[12:13]
	v_mul_f64_e32 v[12:13], v[4:5], v[12:13]
	v_add_f64_e32 v[147:148], 0, v[149:150]
	v_add_f64_e32 v[149:150], 0, v[151:152]
	s_wait_loadcnt_dscnt 0x900
	v_mul_f64_e32 v[151:152], v[143:144], v[16:17]
	v_mul_f64_e32 v[16:17], v[145:146], v[16:17]
	v_fma_f64 v[153:154], v[4:5], v[10:11], v[153:154]
	v_fma_f64 v[155:156], v[2:3], v[10:11], -v[12:13]
	ds_load_b128 v[2:5], v1 offset:1184
	scratch_load_b128 v[10:13], off, off offset:624
	v_add_f64_e32 v[147:148], v[147:148], v[42:43]
	v_add_f64_e32 v[149:150], v[149:150], v[44:45]
	ds_load_b128 v[42:45], v1 offset:1200
	v_fma_f64 v[145:146], v[145:146], v[14:15], v[151:152]
	v_fma_f64 v[143:144], v[143:144], v[14:15], -v[16:17]
	scratch_load_b128 v[14:17], off, off offset:640
	s_wait_loadcnt_dscnt 0xa01
	v_mul_f64_e32 v[157:158], v[2:3], v[20:21]
	v_mul_f64_e32 v[20:21], v[4:5], v[20:21]
	s_wait_loadcnt_dscnt 0x900
	v_mul_f64_e32 v[151:152], v[42:43], v[24:25]
	v_mul_f64_e32 v[24:25], v[44:45], v[24:25]
	v_add_f64_e32 v[147:148], v[147:148], v[155:156]
	v_add_f64_e32 v[149:150], v[149:150], v[153:154]
	v_fma_f64 v[153:154], v[4:5], v[18:19], v[157:158]
	v_fma_f64 v[155:156], v[2:3], v[18:19], -v[20:21]
	ds_load_b128 v[2:5], v1 offset:1216
	scratch_load_b128 v[18:21], off, off offset:656
	v_fma_f64 v[44:45], v[44:45], v[22:23], v[151:152]
	v_fma_f64 v[42:43], v[42:43], v[22:23], -v[24:25]
	scratch_load_b128 v[22:25], off, off offset:672
	v_add_f64_e32 v[147:148], v[147:148], v[143:144]
	v_add_f64_e32 v[149:150], v[149:150], v[145:146]
	ds_load_b128 v[143:146], v1 offset:1232
	s_wait_loadcnt_dscnt 0xa01
	v_mul_f64_e32 v[157:158], v[2:3], v[28:29]
	v_mul_f64_e32 v[28:29], v[4:5], v[28:29]
	s_wait_loadcnt_dscnt 0x900
	v_mul_f64_e32 v[151:152], v[143:144], v[32:33]
	v_mul_f64_e32 v[32:33], v[145:146], v[32:33]
	v_add_f64_e32 v[147:148], v[147:148], v[155:156]
	v_add_f64_e32 v[149:150], v[149:150], v[153:154]
	v_fma_f64 v[153:154], v[4:5], v[26:27], v[157:158]
	v_fma_f64 v[155:156], v[2:3], v[26:27], -v[28:29]
	ds_load_b128 v[2:5], v1 offset:1248
	scratch_load_b128 v[26:29], off, off offset:688
	v_fma_f64 v[145:146], v[145:146], v[30:31], v[151:152]
	v_fma_f64 v[143:144], v[143:144], v[30:31], -v[32:33]
	scratch_load_b128 v[30:33], off, off offset:704
	v_add_f64_e32 v[147:148], v[147:148], v[42:43]
	v_add_f64_e32 v[149:150], v[149:150], v[44:45]
	ds_load_b128 v[42:45], v1 offset:1264
	s_wait_loadcnt_dscnt 0xa01
	v_mul_f64_e32 v[157:158], v[2:3], v[36:37]
	v_mul_f64_e32 v[36:37], v[4:5], v[36:37]
	s_wait_loadcnt_dscnt 0x800
	v_mul_f64_e32 v[151:152], v[42:43], v[141:142]
	v_mul_f64_e32 v[141:142], v[44:45], v[141:142]
	v_add_f64_e32 v[147:148], v[147:148], v[155:156]
	v_add_f64_e32 v[149:150], v[149:150], v[153:154]
	v_fma_f64 v[153:154], v[4:5], v[34:35], v[157:158]
	v_fma_f64 v[155:156], v[2:3], v[34:35], -v[36:37]
	ds_load_b128 v[2:5], v1 offset:1280
	ds_load_b128 v[34:37], v1 offset:1296
	v_fma_f64 v[44:45], v[44:45], v[139:140], v[151:152]
	v_fma_f64 v[42:43], v[42:43], v[139:140], -v[141:142]
	v_add_f64_e32 v[143:144], v[147:148], v[143:144]
	v_add_f64_e32 v[145:146], v[149:150], v[145:146]
	s_wait_loadcnt_dscnt 0x701
	v_mul_f64_e32 v[147:148], v[2:3], v[40:41]
	v_mul_f64_e32 v[40:41], v[4:5], v[40:41]
	s_delay_alu instid0(VALU_DEP_4) | instskip(NEXT) | instid1(VALU_DEP_4)
	v_add_f64_e32 v[139:140], v[143:144], v[155:156]
	v_add_f64_e32 v[141:142], v[145:146], v[153:154]
	s_wait_loadcnt_dscnt 0x600
	v_mul_f64_e32 v[143:144], v[34:35], v[8:9]
	v_mul_f64_e32 v[8:9], v[36:37], v[8:9]
	v_fma_f64 v[145:146], v[4:5], v[38:39], v[147:148]
	v_fma_f64 v[147:148], v[2:3], v[38:39], -v[40:41]
	ds_load_b128 v[2:5], v1 offset:1312
	ds_load_b128 v[38:41], v1 offset:1328
	v_add_f64_e32 v[42:43], v[139:140], v[42:43]
	v_add_f64_e32 v[44:45], v[141:142], v[44:45]
	v_fma_f64 v[36:37], v[36:37], v[6:7], v[143:144]
	s_wait_loadcnt_dscnt 0x501
	v_mul_f64_e32 v[139:140], v[2:3], v[12:13]
	v_mul_f64_e32 v[12:13], v[4:5], v[12:13]
	v_fma_f64 v[6:7], v[34:35], v[6:7], -v[8:9]
	v_add_f64_e32 v[8:9], v[42:43], v[147:148]
	v_add_f64_e32 v[34:35], v[44:45], v[145:146]
	s_wait_loadcnt_dscnt 0x400
	v_mul_f64_e32 v[42:43], v[38:39], v[16:17]
	v_mul_f64_e32 v[16:17], v[40:41], v[16:17]
	v_fma_f64 v[44:45], v[4:5], v[10:11], v[139:140]
	v_fma_f64 v[10:11], v[2:3], v[10:11], -v[12:13]
	v_add_f64_e32 v[12:13], v[8:9], v[6:7]
	v_add_f64_e32 v[34:35], v[34:35], v[36:37]
	ds_load_b128 v[2:5], v1 offset:1344
	ds_load_b128 v[6:9], v1 offset:1360
	v_fma_f64 v[40:41], v[40:41], v[14:15], v[42:43]
	v_fma_f64 v[14:15], v[38:39], v[14:15], -v[16:17]
	s_wait_loadcnt_dscnt 0x301
	v_mul_f64_e32 v[36:37], v[2:3], v[20:21]
	v_mul_f64_e32 v[20:21], v[4:5], v[20:21]
	s_wait_loadcnt_dscnt 0x200
	v_mul_f64_e32 v[16:17], v[6:7], v[24:25]
	v_mul_f64_e32 v[24:25], v[8:9], v[24:25]
	v_add_f64_e32 v[10:11], v[12:13], v[10:11]
	v_add_f64_e32 v[12:13], v[34:35], v[44:45]
	v_fma_f64 v[34:35], v[4:5], v[18:19], v[36:37]
	v_fma_f64 v[18:19], v[2:3], v[18:19], -v[20:21]
	v_fma_f64 v[8:9], v[8:9], v[22:23], v[16:17]
	v_fma_f64 v[6:7], v[6:7], v[22:23], -v[24:25]
	v_add_f64_e32 v[14:15], v[10:11], v[14:15]
	v_add_f64_e32 v[20:21], v[12:13], v[40:41]
	ds_load_b128 v[2:5], v1 offset:1376
	ds_load_b128 v[10:13], v1 offset:1392
	s_wait_loadcnt_dscnt 0x101
	v_mul_f64_e32 v[36:37], v[2:3], v[28:29]
	v_mul_f64_e32 v[28:29], v[4:5], v[28:29]
	v_add_f64_e32 v[14:15], v[14:15], v[18:19]
	v_add_f64_e32 v[16:17], v[20:21], v[34:35]
	s_wait_loadcnt_dscnt 0x0
	v_mul_f64_e32 v[18:19], v[10:11], v[32:33]
	v_mul_f64_e32 v[20:21], v[12:13], v[32:33]
	v_fma_f64 v[4:5], v[4:5], v[26:27], v[36:37]
	v_fma_f64 v[1:2], v[2:3], v[26:27], -v[28:29]
	v_add_f64_e32 v[6:7], v[14:15], v[6:7]
	v_add_f64_e32 v[8:9], v[16:17], v[8:9]
	v_fma_f64 v[12:13], v[12:13], v[30:31], v[18:19]
	v_fma_f64 v[10:11], v[10:11], v[30:31], -v[20:21]
	s_delay_alu instid0(VALU_DEP_4) | instskip(NEXT) | instid1(VALU_DEP_4)
	v_add_f64_e32 v[1:2], v[6:7], v[1:2]
	v_add_f64_e32 v[3:4], v[8:9], v[4:5]
	s_delay_alu instid0(VALU_DEP_2) | instskip(NEXT) | instid1(VALU_DEP_2)
	v_add_f64_e32 v[1:2], v[1:2], v[10:11]
	v_add_f64_e32 v[3:4], v[3:4], v[12:13]
	s_delay_alu instid0(VALU_DEP_2) | instskip(NEXT) | instid1(VALU_DEP_2)
	v_add_f64_e64 v[1:2], v[135:136], -v[1:2]
	v_add_f64_e64 v[3:4], v[137:138], -v[3:4]
	scratch_store_b128 off, v[1:4], off offset:416
	v_cmpx_lt_u32_e32 24, v0
	s_cbranch_execz .LBB107_229
; %bb.228:
	scratch_load_b128 v[1:4], off, s33
	v_mov_b32_e32 v5, 0
	s_delay_alu instid0(VALU_DEP_1)
	v_dual_mov_b32 v6, v5 :: v_dual_mov_b32 v7, v5
	v_mov_b32_e32 v8, v5
	scratch_store_b128 off, v[5:8], off offset:400
	s_wait_loadcnt 0x0
	ds_store_b128 v134, v[1:4]
.LBB107_229:
	s_wait_alu 0xfffe
	s_or_b32 exec_lo, exec_lo, s0
	s_wait_storecnt_dscnt 0x0
	s_barrier_signal -1
	s_barrier_wait -1
	global_inv scope:SCOPE_SE
	s_clause 0x7
	scratch_load_b128 v[2:5], off, off offset:416
	scratch_load_b128 v[6:9], off, off offset:432
	;; [unrolled: 1-line block ×8, first 2 shown]
	v_mov_b32_e32 v1, 0
	s_mov_b32 s0, exec_lo
	ds_load_b128 v[34:37], v1 offset:1104
	s_clause 0x1
	scratch_load_b128 v[38:41], off, off offset:544
	scratch_load_b128 v[42:45], off, off offset:400
	ds_load_b128 v[135:138], v1 offset:1120
	scratch_load_b128 v[139:142], off, off offset:560
	s_wait_loadcnt_dscnt 0xa01
	v_mul_f64_e32 v[143:144], v[36:37], v[4:5]
	v_mul_f64_e32 v[4:5], v[34:35], v[4:5]
	s_delay_alu instid0(VALU_DEP_2) | instskip(NEXT) | instid1(VALU_DEP_2)
	v_fma_f64 v[149:150], v[34:35], v[2:3], -v[143:144]
	v_fma_f64 v[151:152], v[36:37], v[2:3], v[4:5]
	ds_load_b128 v[2:5], v1 offset:1136
	s_wait_loadcnt_dscnt 0x901
	v_mul_f64_e32 v[147:148], v[135:136], v[8:9]
	v_mul_f64_e32 v[8:9], v[137:138], v[8:9]
	scratch_load_b128 v[34:37], off, off offset:576
	ds_load_b128 v[143:146], v1 offset:1152
	s_wait_loadcnt_dscnt 0x901
	v_mul_f64_e32 v[153:154], v[2:3], v[12:13]
	v_mul_f64_e32 v[12:13], v[4:5], v[12:13]
	v_fma_f64 v[137:138], v[137:138], v[6:7], v[147:148]
	v_fma_f64 v[135:136], v[135:136], v[6:7], -v[8:9]
	v_add_f64_e32 v[147:148], 0, v[149:150]
	v_add_f64_e32 v[149:150], 0, v[151:152]
	scratch_load_b128 v[6:9], off, off offset:592
	v_fma_f64 v[153:154], v[4:5], v[10:11], v[153:154]
	v_fma_f64 v[155:156], v[2:3], v[10:11], -v[12:13]
	ds_load_b128 v[2:5], v1 offset:1168
	s_wait_loadcnt_dscnt 0x901
	v_mul_f64_e32 v[151:152], v[143:144], v[16:17]
	v_mul_f64_e32 v[16:17], v[145:146], v[16:17]
	scratch_load_b128 v[10:13], off, off offset:608
	v_add_f64_e32 v[147:148], v[147:148], v[135:136]
	v_add_f64_e32 v[149:150], v[149:150], v[137:138]
	s_wait_loadcnt_dscnt 0x900
	v_mul_f64_e32 v[157:158], v[2:3], v[20:21]
	v_mul_f64_e32 v[20:21], v[4:5], v[20:21]
	ds_load_b128 v[135:138], v1 offset:1184
	v_fma_f64 v[145:146], v[145:146], v[14:15], v[151:152]
	v_fma_f64 v[143:144], v[143:144], v[14:15], -v[16:17]
	scratch_load_b128 v[14:17], off, off offset:624
	v_add_f64_e32 v[147:148], v[147:148], v[155:156]
	v_add_f64_e32 v[149:150], v[149:150], v[153:154]
	v_fma_f64 v[153:154], v[4:5], v[18:19], v[157:158]
	v_fma_f64 v[155:156], v[2:3], v[18:19], -v[20:21]
	ds_load_b128 v[2:5], v1 offset:1200
	s_wait_loadcnt_dscnt 0x901
	v_mul_f64_e32 v[151:152], v[135:136], v[24:25]
	v_mul_f64_e32 v[24:25], v[137:138], v[24:25]
	scratch_load_b128 v[18:21], off, off offset:640
	s_wait_loadcnt_dscnt 0x900
	v_mul_f64_e32 v[157:158], v[2:3], v[28:29]
	v_mul_f64_e32 v[28:29], v[4:5], v[28:29]
	v_add_f64_e32 v[147:148], v[147:148], v[143:144]
	v_add_f64_e32 v[149:150], v[149:150], v[145:146]
	ds_load_b128 v[143:146], v1 offset:1216
	v_fma_f64 v[137:138], v[137:138], v[22:23], v[151:152]
	v_fma_f64 v[135:136], v[135:136], v[22:23], -v[24:25]
	scratch_load_b128 v[22:25], off, off offset:656
	v_add_f64_e32 v[147:148], v[147:148], v[155:156]
	v_add_f64_e32 v[149:150], v[149:150], v[153:154]
	v_fma_f64 v[153:154], v[4:5], v[26:27], v[157:158]
	v_fma_f64 v[155:156], v[2:3], v[26:27], -v[28:29]
	ds_load_b128 v[2:5], v1 offset:1232
	s_wait_loadcnt_dscnt 0x901
	v_mul_f64_e32 v[151:152], v[143:144], v[32:33]
	v_mul_f64_e32 v[32:33], v[145:146], v[32:33]
	scratch_load_b128 v[26:29], off, off offset:672
	s_wait_loadcnt_dscnt 0x900
	v_mul_f64_e32 v[157:158], v[2:3], v[40:41]
	v_mul_f64_e32 v[40:41], v[4:5], v[40:41]
	v_add_f64_e32 v[147:148], v[147:148], v[135:136]
	v_add_f64_e32 v[149:150], v[149:150], v[137:138]
	ds_load_b128 v[135:138], v1 offset:1248
	v_fma_f64 v[145:146], v[145:146], v[30:31], v[151:152]
	v_fma_f64 v[143:144], v[143:144], v[30:31], -v[32:33]
	scratch_load_b128 v[30:33], off, off offset:688
	v_add_f64_e32 v[147:148], v[147:148], v[155:156]
	v_add_f64_e32 v[149:150], v[149:150], v[153:154]
	v_fma_f64 v[155:156], v[4:5], v[38:39], v[157:158]
	v_fma_f64 v[157:158], v[2:3], v[38:39], -v[40:41]
	ds_load_b128 v[2:5], v1 offset:1264
	s_wait_loadcnt_dscnt 0x801
	v_mul_f64_e32 v[151:152], v[135:136], v[141:142]
	v_mul_f64_e32 v[153:154], v[137:138], v[141:142]
	scratch_load_b128 v[38:41], off, off offset:704
	v_add_f64_e32 v[147:148], v[147:148], v[143:144]
	v_add_f64_e32 v[145:146], v[149:150], v[145:146]
	ds_load_b128 v[141:144], v1 offset:1280
	v_fma_f64 v[137:138], v[137:138], v[139:140], v[151:152]
	v_fma_f64 v[135:136], v[135:136], v[139:140], -v[153:154]
	s_wait_loadcnt_dscnt 0x801
	v_mul_f64_e32 v[149:150], v[2:3], v[36:37]
	v_mul_f64_e32 v[36:37], v[4:5], v[36:37]
	v_add_f64_e32 v[139:140], v[147:148], v[157:158]
	v_add_f64_e32 v[145:146], v[145:146], v[155:156]
	s_delay_alu instid0(VALU_DEP_4) | instskip(NEXT) | instid1(VALU_DEP_4)
	v_fma_f64 v[149:150], v[4:5], v[34:35], v[149:150]
	v_fma_f64 v[151:152], v[2:3], v[34:35], -v[36:37]
	s_wait_loadcnt_dscnt 0x700
	v_mul_f64_e32 v[147:148], v[141:142], v[8:9]
	v_mul_f64_e32 v[8:9], v[143:144], v[8:9]
	ds_load_b128 v[2:5], v1 offset:1296
	ds_load_b128 v[34:37], v1 offset:1312
	v_add_f64_e32 v[135:136], v[139:140], v[135:136]
	v_add_f64_e32 v[137:138], v[145:146], v[137:138]
	s_wait_loadcnt_dscnt 0x601
	v_mul_f64_e32 v[139:140], v[2:3], v[12:13]
	v_mul_f64_e32 v[12:13], v[4:5], v[12:13]
	v_fma_f64 v[143:144], v[143:144], v[6:7], v[147:148]
	v_fma_f64 v[6:7], v[141:142], v[6:7], -v[8:9]
	v_add_f64_e32 v[8:9], v[135:136], v[151:152]
	v_add_f64_e32 v[135:136], v[137:138], v[149:150]
	s_wait_loadcnt_dscnt 0x500
	v_mul_f64_e32 v[137:138], v[34:35], v[16:17]
	v_mul_f64_e32 v[16:17], v[36:37], v[16:17]
	v_fma_f64 v[139:140], v[4:5], v[10:11], v[139:140]
	v_fma_f64 v[10:11], v[2:3], v[10:11], -v[12:13]
	v_add_f64_e32 v[12:13], v[8:9], v[6:7]
	v_add_f64_e32 v[135:136], v[135:136], v[143:144]
	ds_load_b128 v[2:5], v1 offset:1328
	ds_load_b128 v[6:9], v1 offset:1344
	v_fma_f64 v[36:37], v[36:37], v[14:15], v[137:138]
	v_fma_f64 v[14:15], v[34:35], v[14:15], -v[16:17]
	s_wait_loadcnt_dscnt 0x401
	v_mul_f64_e32 v[141:142], v[2:3], v[20:21]
	v_mul_f64_e32 v[20:21], v[4:5], v[20:21]
	s_wait_loadcnt_dscnt 0x300
	v_mul_f64_e32 v[16:17], v[6:7], v[24:25]
	v_mul_f64_e32 v[24:25], v[8:9], v[24:25]
	v_add_f64_e32 v[10:11], v[12:13], v[10:11]
	v_add_f64_e32 v[12:13], v[135:136], v[139:140]
	v_fma_f64 v[34:35], v[4:5], v[18:19], v[141:142]
	v_fma_f64 v[18:19], v[2:3], v[18:19], -v[20:21]
	v_fma_f64 v[8:9], v[8:9], v[22:23], v[16:17]
	v_fma_f64 v[6:7], v[6:7], v[22:23], -v[24:25]
	v_add_f64_e32 v[14:15], v[10:11], v[14:15]
	v_add_f64_e32 v[20:21], v[12:13], v[36:37]
	ds_load_b128 v[2:5], v1 offset:1360
	ds_load_b128 v[10:13], v1 offset:1376
	s_wait_loadcnt_dscnt 0x201
	v_mul_f64_e32 v[36:37], v[2:3], v[28:29]
	v_mul_f64_e32 v[28:29], v[4:5], v[28:29]
	v_add_f64_e32 v[14:15], v[14:15], v[18:19]
	v_add_f64_e32 v[16:17], v[20:21], v[34:35]
	s_wait_loadcnt_dscnt 0x100
	v_mul_f64_e32 v[18:19], v[10:11], v[32:33]
	v_mul_f64_e32 v[20:21], v[12:13], v[32:33]
	v_fma_f64 v[22:23], v[4:5], v[26:27], v[36:37]
	v_fma_f64 v[24:25], v[2:3], v[26:27], -v[28:29]
	ds_load_b128 v[2:5], v1 offset:1392
	v_add_f64_e32 v[6:7], v[14:15], v[6:7]
	v_add_f64_e32 v[8:9], v[16:17], v[8:9]
	v_fma_f64 v[12:13], v[12:13], v[30:31], v[18:19]
	v_fma_f64 v[10:11], v[10:11], v[30:31], -v[20:21]
	s_wait_loadcnt_dscnt 0x0
	v_mul_f64_e32 v[14:15], v[2:3], v[40:41]
	v_mul_f64_e32 v[16:17], v[4:5], v[40:41]
	v_add_f64_e32 v[6:7], v[6:7], v[24:25]
	v_add_f64_e32 v[8:9], v[8:9], v[22:23]
	s_delay_alu instid0(VALU_DEP_4) | instskip(NEXT) | instid1(VALU_DEP_4)
	v_fma_f64 v[4:5], v[4:5], v[38:39], v[14:15]
	v_fma_f64 v[2:3], v[2:3], v[38:39], -v[16:17]
	s_delay_alu instid0(VALU_DEP_4) | instskip(NEXT) | instid1(VALU_DEP_4)
	v_add_f64_e32 v[6:7], v[6:7], v[10:11]
	v_add_f64_e32 v[8:9], v[8:9], v[12:13]
	s_delay_alu instid0(VALU_DEP_2) | instskip(NEXT) | instid1(VALU_DEP_2)
	v_add_f64_e32 v[2:3], v[6:7], v[2:3]
	v_add_f64_e32 v[4:5], v[8:9], v[4:5]
	s_delay_alu instid0(VALU_DEP_2) | instskip(NEXT) | instid1(VALU_DEP_2)
	v_add_f64_e64 v[2:3], v[42:43], -v[2:3]
	v_add_f64_e64 v[4:5], v[44:45], -v[4:5]
	scratch_store_b128 off, v[2:5], off offset:400
	v_cmpx_lt_u32_e32 23, v0
	s_cbranch_execz .LBB107_231
; %bb.230:
	scratch_load_b128 v[5:8], off, s34
	v_dual_mov_b32 v2, v1 :: v_dual_mov_b32 v3, v1
	v_mov_b32_e32 v4, v1
	scratch_store_b128 off, v[1:4], off offset:384
	s_wait_loadcnt 0x0
	ds_store_b128 v134, v[5:8]
.LBB107_231:
	s_wait_alu 0xfffe
	s_or_b32 exec_lo, exec_lo, s0
	s_wait_storecnt_dscnt 0x0
	s_barrier_signal -1
	s_barrier_wait -1
	global_inv scope:SCOPE_SE
	s_clause 0x8
	scratch_load_b128 v[2:5], off, off offset:400
	scratch_load_b128 v[6:9], off, off offset:416
	;; [unrolled: 1-line block ×9, first 2 shown]
	ds_load_b128 v[38:41], v1 offset:1088
	ds_load_b128 v[42:45], v1 offset:1104
	s_clause 0x1
	scratch_load_b128 v[135:138], off, off offset:384
	scratch_load_b128 v[139:142], off, off offset:544
	s_mov_b32 s0, exec_lo
	s_wait_loadcnt_dscnt 0xa01
	v_mul_f64_e32 v[143:144], v[40:41], v[4:5]
	v_mul_f64_e32 v[4:5], v[38:39], v[4:5]
	s_wait_loadcnt_dscnt 0x900
	v_mul_f64_e32 v[147:148], v[42:43], v[8:9]
	v_mul_f64_e32 v[8:9], v[44:45], v[8:9]
	s_delay_alu instid0(VALU_DEP_4) | instskip(NEXT) | instid1(VALU_DEP_4)
	v_fma_f64 v[149:150], v[38:39], v[2:3], -v[143:144]
	v_fma_f64 v[151:152], v[40:41], v[2:3], v[4:5]
	ds_load_b128 v[2:5], v1 offset:1120
	ds_load_b128 v[143:146], v1 offset:1136
	scratch_load_b128 v[38:41], off, off offset:560
	v_fma_f64 v[44:45], v[44:45], v[6:7], v[147:148]
	v_fma_f64 v[42:43], v[42:43], v[6:7], -v[8:9]
	scratch_load_b128 v[6:9], off, off offset:576
	s_wait_loadcnt_dscnt 0xa01
	v_mul_f64_e32 v[153:154], v[2:3], v[12:13]
	v_mul_f64_e32 v[12:13], v[4:5], v[12:13]
	v_add_f64_e32 v[147:148], 0, v[149:150]
	v_add_f64_e32 v[149:150], 0, v[151:152]
	s_wait_loadcnt_dscnt 0x900
	v_mul_f64_e32 v[151:152], v[143:144], v[16:17]
	v_mul_f64_e32 v[16:17], v[145:146], v[16:17]
	v_fma_f64 v[153:154], v[4:5], v[10:11], v[153:154]
	v_fma_f64 v[155:156], v[2:3], v[10:11], -v[12:13]
	ds_load_b128 v[2:5], v1 offset:1152
	scratch_load_b128 v[10:13], off, off offset:592
	v_add_f64_e32 v[147:148], v[147:148], v[42:43]
	v_add_f64_e32 v[149:150], v[149:150], v[44:45]
	ds_load_b128 v[42:45], v1 offset:1168
	v_fma_f64 v[145:146], v[145:146], v[14:15], v[151:152]
	v_fma_f64 v[143:144], v[143:144], v[14:15], -v[16:17]
	scratch_load_b128 v[14:17], off, off offset:608
	s_wait_loadcnt_dscnt 0xa01
	v_mul_f64_e32 v[157:158], v[2:3], v[20:21]
	v_mul_f64_e32 v[20:21], v[4:5], v[20:21]
	s_wait_loadcnt_dscnt 0x900
	v_mul_f64_e32 v[151:152], v[42:43], v[24:25]
	v_mul_f64_e32 v[24:25], v[44:45], v[24:25]
	v_add_f64_e32 v[147:148], v[147:148], v[155:156]
	v_add_f64_e32 v[149:150], v[149:150], v[153:154]
	v_fma_f64 v[153:154], v[4:5], v[18:19], v[157:158]
	v_fma_f64 v[155:156], v[2:3], v[18:19], -v[20:21]
	ds_load_b128 v[2:5], v1 offset:1184
	scratch_load_b128 v[18:21], off, off offset:624
	v_fma_f64 v[44:45], v[44:45], v[22:23], v[151:152]
	v_fma_f64 v[42:43], v[42:43], v[22:23], -v[24:25]
	scratch_load_b128 v[22:25], off, off offset:640
	v_add_f64_e32 v[147:148], v[147:148], v[143:144]
	v_add_f64_e32 v[149:150], v[149:150], v[145:146]
	ds_load_b128 v[143:146], v1 offset:1200
	s_wait_loadcnt_dscnt 0xa01
	v_mul_f64_e32 v[157:158], v[2:3], v[28:29]
	v_mul_f64_e32 v[28:29], v[4:5], v[28:29]
	s_wait_loadcnt_dscnt 0x900
	v_mul_f64_e32 v[151:152], v[143:144], v[32:33]
	v_mul_f64_e32 v[32:33], v[145:146], v[32:33]
	v_add_f64_e32 v[147:148], v[147:148], v[155:156]
	v_add_f64_e32 v[149:150], v[149:150], v[153:154]
	v_fma_f64 v[153:154], v[4:5], v[26:27], v[157:158]
	v_fma_f64 v[155:156], v[2:3], v[26:27], -v[28:29]
	ds_load_b128 v[2:5], v1 offset:1216
	scratch_load_b128 v[26:29], off, off offset:656
	v_fma_f64 v[145:146], v[145:146], v[30:31], v[151:152]
	v_fma_f64 v[143:144], v[143:144], v[30:31], -v[32:33]
	scratch_load_b128 v[30:33], off, off offset:672
	v_add_f64_e32 v[147:148], v[147:148], v[42:43]
	v_add_f64_e32 v[149:150], v[149:150], v[44:45]
	ds_load_b128 v[42:45], v1 offset:1232
	s_wait_loadcnt_dscnt 0xa01
	v_mul_f64_e32 v[157:158], v[2:3], v[36:37]
	v_mul_f64_e32 v[36:37], v[4:5], v[36:37]
	s_wait_loadcnt_dscnt 0x800
	v_mul_f64_e32 v[151:152], v[42:43], v[141:142]
	v_add_f64_e32 v[147:148], v[147:148], v[155:156]
	v_add_f64_e32 v[149:150], v[149:150], v[153:154]
	v_mul_f64_e32 v[153:154], v[44:45], v[141:142]
	v_fma_f64 v[155:156], v[4:5], v[34:35], v[157:158]
	v_fma_f64 v[157:158], v[2:3], v[34:35], -v[36:37]
	ds_load_b128 v[2:5], v1 offset:1248
	scratch_load_b128 v[34:37], off, off offset:688
	v_fma_f64 v[44:45], v[44:45], v[139:140], v[151:152]
	v_add_f64_e32 v[147:148], v[147:148], v[143:144]
	v_add_f64_e32 v[145:146], v[149:150], v[145:146]
	ds_load_b128 v[141:144], v1 offset:1264
	v_fma_f64 v[139:140], v[42:43], v[139:140], -v[153:154]
	s_wait_loadcnt_dscnt 0x801
	v_mul_f64_e32 v[149:150], v[2:3], v[40:41]
	v_mul_f64_e32 v[159:160], v[4:5], v[40:41]
	scratch_load_b128 v[40:43], off, off offset:704
	s_wait_loadcnt_dscnt 0x800
	v_mul_f64_e32 v[151:152], v[141:142], v[8:9]
	v_mul_f64_e32 v[8:9], v[143:144], v[8:9]
	v_add_f64_e32 v[147:148], v[147:148], v[157:158]
	v_add_f64_e32 v[145:146], v[145:146], v[155:156]
	v_fma_f64 v[149:150], v[4:5], v[38:39], v[149:150]
	v_fma_f64 v[38:39], v[2:3], v[38:39], -v[159:160]
	v_fma_f64 v[143:144], v[143:144], v[6:7], v[151:152]
	v_fma_f64 v[6:7], v[141:142], v[6:7], -v[8:9]
	v_add_f64_e32 v[139:140], v[147:148], v[139:140]
	v_add_f64_e32 v[44:45], v[145:146], v[44:45]
	ds_load_b128 v[2:5], v1 offset:1280
	ds_load_b128 v[145:148], v1 offset:1296
	s_wait_loadcnt_dscnt 0x701
	v_mul_f64_e32 v[153:154], v[2:3], v[12:13]
	v_mul_f64_e32 v[12:13], v[4:5], v[12:13]
	v_add_f64_e32 v[8:9], v[139:140], v[38:39]
	v_add_f64_e32 v[38:39], v[44:45], v[149:150]
	s_wait_loadcnt_dscnt 0x600
	v_mul_f64_e32 v[44:45], v[145:146], v[16:17]
	v_mul_f64_e32 v[16:17], v[147:148], v[16:17]
	v_fma_f64 v[139:140], v[4:5], v[10:11], v[153:154]
	v_fma_f64 v[10:11], v[2:3], v[10:11], -v[12:13]
	v_add_f64_e32 v[12:13], v[8:9], v[6:7]
	v_add_f64_e32 v[38:39], v[38:39], v[143:144]
	ds_load_b128 v[2:5], v1 offset:1312
	ds_load_b128 v[6:9], v1 offset:1328
	v_fma_f64 v[44:45], v[147:148], v[14:15], v[44:45]
	v_fma_f64 v[14:15], v[145:146], v[14:15], -v[16:17]
	s_wait_loadcnt_dscnt 0x501
	v_mul_f64_e32 v[141:142], v[2:3], v[20:21]
	v_mul_f64_e32 v[20:21], v[4:5], v[20:21]
	s_wait_loadcnt_dscnt 0x400
	v_mul_f64_e32 v[16:17], v[6:7], v[24:25]
	v_mul_f64_e32 v[24:25], v[8:9], v[24:25]
	v_add_f64_e32 v[10:11], v[12:13], v[10:11]
	v_add_f64_e32 v[12:13], v[38:39], v[139:140]
	v_fma_f64 v[38:39], v[4:5], v[18:19], v[141:142]
	v_fma_f64 v[18:19], v[2:3], v[18:19], -v[20:21]
	v_fma_f64 v[8:9], v[8:9], v[22:23], v[16:17]
	v_fma_f64 v[6:7], v[6:7], v[22:23], -v[24:25]
	v_add_f64_e32 v[14:15], v[10:11], v[14:15]
	v_add_f64_e32 v[20:21], v[12:13], v[44:45]
	ds_load_b128 v[2:5], v1 offset:1344
	ds_load_b128 v[10:13], v1 offset:1360
	s_wait_loadcnt_dscnt 0x301
	v_mul_f64_e32 v[44:45], v[2:3], v[28:29]
	v_mul_f64_e32 v[28:29], v[4:5], v[28:29]
	v_add_f64_e32 v[14:15], v[14:15], v[18:19]
	v_add_f64_e32 v[16:17], v[20:21], v[38:39]
	s_wait_loadcnt_dscnt 0x200
	v_mul_f64_e32 v[18:19], v[10:11], v[32:33]
	v_mul_f64_e32 v[20:21], v[12:13], v[32:33]
	v_fma_f64 v[22:23], v[4:5], v[26:27], v[44:45]
	v_fma_f64 v[24:25], v[2:3], v[26:27], -v[28:29]
	v_add_f64_e32 v[14:15], v[14:15], v[6:7]
	v_add_f64_e32 v[16:17], v[16:17], v[8:9]
	ds_load_b128 v[2:5], v1 offset:1376
	ds_load_b128 v[6:9], v1 offset:1392
	v_fma_f64 v[12:13], v[12:13], v[30:31], v[18:19]
	v_fma_f64 v[10:11], v[10:11], v[30:31], -v[20:21]
	s_wait_loadcnt_dscnt 0x101
	v_mul_f64_e32 v[26:27], v[2:3], v[36:37]
	v_mul_f64_e32 v[28:29], v[4:5], v[36:37]
	s_wait_loadcnt_dscnt 0x0
	v_mul_f64_e32 v[18:19], v[6:7], v[42:43]
	v_add_f64_e32 v[14:15], v[14:15], v[24:25]
	v_add_f64_e32 v[16:17], v[16:17], v[22:23]
	v_mul_f64_e32 v[20:21], v[8:9], v[42:43]
	v_fma_f64 v[4:5], v[4:5], v[34:35], v[26:27]
	v_fma_f64 v[1:2], v[2:3], v[34:35], -v[28:29]
	v_fma_f64 v[8:9], v[8:9], v[40:41], v[18:19]
	v_add_f64_e32 v[10:11], v[14:15], v[10:11]
	v_add_f64_e32 v[12:13], v[16:17], v[12:13]
	v_fma_f64 v[6:7], v[6:7], v[40:41], -v[20:21]
	s_delay_alu instid0(VALU_DEP_3) | instskip(NEXT) | instid1(VALU_DEP_3)
	v_add_f64_e32 v[1:2], v[10:11], v[1:2]
	v_add_f64_e32 v[3:4], v[12:13], v[4:5]
	s_delay_alu instid0(VALU_DEP_2) | instskip(NEXT) | instid1(VALU_DEP_2)
	v_add_f64_e32 v[1:2], v[1:2], v[6:7]
	v_add_f64_e32 v[3:4], v[3:4], v[8:9]
	s_delay_alu instid0(VALU_DEP_2) | instskip(NEXT) | instid1(VALU_DEP_2)
	v_add_f64_e64 v[1:2], v[135:136], -v[1:2]
	v_add_f64_e64 v[3:4], v[137:138], -v[3:4]
	scratch_store_b128 off, v[1:4], off offset:384
	v_cmpx_lt_u32_e32 22, v0
	s_cbranch_execz .LBB107_233
; %bb.232:
	scratch_load_b128 v[1:4], off, s35
	v_mov_b32_e32 v5, 0
	s_delay_alu instid0(VALU_DEP_1)
	v_dual_mov_b32 v6, v5 :: v_dual_mov_b32 v7, v5
	v_mov_b32_e32 v8, v5
	scratch_store_b128 off, v[5:8], off offset:368
	s_wait_loadcnt 0x0
	ds_store_b128 v134, v[1:4]
.LBB107_233:
	s_wait_alu 0xfffe
	s_or_b32 exec_lo, exec_lo, s0
	s_wait_storecnt_dscnt 0x0
	s_barrier_signal -1
	s_barrier_wait -1
	global_inv scope:SCOPE_SE
	s_clause 0x7
	scratch_load_b128 v[2:5], off, off offset:384
	scratch_load_b128 v[6:9], off, off offset:400
	;; [unrolled: 1-line block ×8, first 2 shown]
	v_mov_b32_e32 v1, 0
	s_mov_b32 s0, exec_lo
	ds_load_b128 v[34:37], v1 offset:1072
	s_clause 0x1
	scratch_load_b128 v[38:41], off, off offset:512
	scratch_load_b128 v[42:45], off, off offset:368
	ds_load_b128 v[135:138], v1 offset:1088
	scratch_load_b128 v[139:142], off, off offset:528
	s_wait_loadcnt_dscnt 0xa01
	v_mul_f64_e32 v[143:144], v[36:37], v[4:5]
	v_mul_f64_e32 v[4:5], v[34:35], v[4:5]
	s_delay_alu instid0(VALU_DEP_2) | instskip(NEXT) | instid1(VALU_DEP_2)
	v_fma_f64 v[149:150], v[34:35], v[2:3], -v[143:144]
	v_fma_f64 v[151:152], v[36:37], v[2:3], v[4:5]
	ds_load_b128 v[2:5], v1 offset:1104
	s_wait_loadcnt_dscnt 0x901
	v_mul_f64_e32 v[147:148], v[135:136], v[8:9]
	v_mul_f64_e32 v[8:9], v[137:138], v[8:9]
	scratch_load_b128 v[34:37], off, off offset:544
	ds_load_b128 v[143:146], v1 offset:1120
	s_wait_loadcnt_dscnt 0x901
	v_mul_f64_e32 v[153:154], v[2:3], v[12:13]
	v_mul_f64_e32 v[12:13], v[4:5], v[12:13]
	v_fma_f64 v[137:138], v[137:138], v[6:7], v[147:148]
	v_fma_f64 v[135:136], v[135:136], v[6:7], -v[8:9]
	v_add_f64_e32 v[147:148], 0, v[149:150]
	v_add_f64_e32 v[149:150], 0, v[151:152]
	scratch_load_b128 v[6:9], off, off offset:560
	v_fma_f64 v[153:154], v[4:5], v[10:11], v[153:154]
	v_fma_f64 v[155:156], v[2:3], v[10:11], -v[12:13]
	ds_load_b128 v[2:5], v1 offset:1136
	s_wait_loadcnt_dscnt 0x901
	v_mul_f64_e32 v[151:152], v[143:144], v[16:17]
	v_mul_f64_e32 v[16:17], v[145:146], v[16:17]
	scratch_load_b128 v[10:13], off, off offset:576
	v_add_f64_e32 v[147:148], v[147:148], v[135:136]
	v_add_f64_e32 v[149:150], v[149:150], v[137:138]
	s_wait_loadcnt_dscnt 0x900
	v_mul_f64_e32 v[157:158], v[2:3], v[20:21]
	v_mul_f64_e32 v[20:21], v[4:5], v[20:21]
	ds_load_b128 v[135:138], v1 offset:1152
	v_fma_f64 v[145:146], v[145:146], v[14:15], v[151:152]
	v_fma_f64 v[143:144], v[143:144], v[14:15], -v[16:17]
	scratch_load_b128 v[14:17], off, off offset:592
	v_add_f64_e32 v[147:148], v[147:148], v[155:156]
	v_add_f64_e32 v[149:150], v[149:150], v[153:154]
	v_fma_f64 v[153:154], v[4:5], v[18:19], v[157:158]
	v_fma_f64 v[155:156], v[2:3], v[18:19], -v[20:21]
	ds_load_b128 v[2:5], v1 offset:1168
	s_wait_loadcnt_dscnt 0x901
	v_mul_f64_e32 v[151:152], v[135:136], v[24:25]
	v_mul_f64_e32 v[24:25], v[137:138], v[24:25]
	scratch_load_b128 v[18:21], off, off offset:608
	s_wait_loadcnt_dscnt 0x900
	v_mul_f64_e32 v[157:158], v[2:3], v[28:29]
	v_mul_f64_e32 v[28:29], v[4:5], v[28:29]
	v_add_f64_e32 v[147:148], v[147:148], v[143:144]
	v_add_f64_e32 v[149:150], v[149:150], v[145:146]
	ds_load_b128 v[143:146], v1 offset:1184
	v_fma_f64 v[137:138], v[137:138], v[22:23], v[151:152]
	v_fma_f64 v[135:136], v[135:136], v[22:23], -v[24:25]
	scratch_load_b128 v[22:25], off, off offset:624
	v_add_f64_e32 v[147:148], v[147:148], v[155:156]
	v_add_f64_e32 v[149:150], v[149:150], v[153:154]
	v_fma_f64 v[153:154], v[4:5], v[26:27], v[157:158]
	v_fma_f64 v[155:156], v[2:3], v[26:27], -v[28:29]
	ds_load_b128 v[2:5], v1 offset:1200
	s_wait_loadcnt_dscnt 0x901
	v_mul_f64_e32 v[151:152], v[143:144], v[32:33]
	v_mul_f64_e32 v[32:33], v[145:146], v[32:33]
	scratch_load_b128 v[26:29], off, off offset:640
	s_wait_loadcnt_dscnt 0x900
	v_mul_f64_e32 v[157:158], v[2:3], v[40:41]
	v_mul_f64_e32 v[40:41], v[4:5], v[40:41]
	v_add_f64_e32 v[147:148], v[147:148], v[135:136]
	v_add_f64_e32 v[149:150], v[149:150], v[137:138]
	ds_load_b128 v[135:138], v1 offset:1216
	v_fma_f64 v[145:146], v[145:146], v[30:31], v[151:152]
	v_fma_f64 v[143:144], v[143:144], v[30:31], -v[32:33]
	scratch_load_b128 v[30:33], off, off offset:656
	v_add_f64_e32 v[147:148], v[147:148], v[155:156]
	v_add_f64_e32 v[149:150], v[149:150], v[153:154]
	v_fma_f64 v[155:156], v[4:5], v[38:39], v[157:158]
	v_fma_f64 v[157:158], v[2:3], v[38:39], -v[40:41]
	ds_load_b128 v[2:5], v1 offset:1232
	s_wait_loadcnt_dscnt 0x801
	v_mul_f64_e32 v[151:152], v[135:136], v[141:142]
	v_mul_f64_e32 v[153:154], v[137:138], v[141:142]
	scratch_load_b128 v[38:41], off, off offset:672
	v_add_f64_e32 v[147:148], v[147:148], v[143:144]
	v_add_f64_e32 v[145:146], v[149:150], v[145:146]
	ds_load_b128 v[141:144], v1 offset:1248
	v_fma_f64 v[151:152], v[137:138], v[139:140], v[151:152]
	v_fma_f64 v[139:140], v[135:136], v[139:140], -v[153:154]
	scratch_load_b128 v[135:138], off, off offset:688
	s_wait_loadcnt_dscnt 0x901
	v_mul_f64_e32 v[149:150], v[2:3], v[36:37]
	v_mul_f64_e32 v[36:37], v[4:5], v[36:37]
	v_add_f64_e32 v[147:148], v[147:148], v[157:158]
	v_add_f64_e32 v[145:146], v[145:146], v[155:156]
	s_delay_alu instid0(VALU_DEP_4) | instskip(NEXT) | instid1(VALU_DEP_4)
	v_fma_f64 v[149:150], v[4:5], v[34:35], v[149:150]
	v_fma_f64 v[155:156], v[2:3], v[34:35], -v[36:37]
	ds_load_b128 v[2:5], v1 offset:1264
	s_wait_loadcnt_dscnt 0x801
	v_mul_f64_e32 v[153:154], v[141:142], v[8:9]
	v_mul_f64_e32 v[8:9], v[143:144], v[8:9]
	scratch_load_b128 v[34:37], off, off offset:704
	s_wait_loadcnt_dscnt 0x800
	v_mul_f64_e32 v[157:158], v[2:3], v[12:13]
	v_add_f64_e32 v[139:140], v[147:148], v[139:140]
	v_add_f64_e32 v[151:152], v[145:146], v[151:152]
	v_mul_f64_e32 v[12:13], v[4:5], v[12:13]
	ds_load_b128 v[145:148], v1 offset:1280
	v_fma_f64 v[143:144], v[143:144], v[6:7], v[153:154]
	v_fma_f64 v[6:7], v[141:142], v[6:7], -v[8:9]
	s_wait_loadcnt_dscnt 0x700
	v_mul_f64_e32 v[141:142], v[145:146], v[16:17]
	v_add_f64_e32 v[8:9], v[139:140], v[155:156]
	v_add_f64_e32 v[139:140], v[151:152], v[149:150]
	v_mul_f64_e32 v[16:17], v[147:148], v[16:17]
	v_fma_f64 v[149:150], v[4:5], v[10:11], v[157:158]
	v_fma_f64 v[10:11], v[2:3], v[10:11], -v[12:13]
	v_fma_f64 v[141:142], v[147:148], v[14:15], v[141:142]
	v_add_f64_e32 v[12:13], v[8:9], v[6:7]
	v_add_f64_e32 v[139:140], v[139:140], v[143:144]
	ds_load_b128 v[2:5], v1 offset:1296
	ds_load_b128 v[6:9], v1 offset:1312
	v_fma_f64 v[14:15], v[145:146], v[14:15], -v[16:17]
	s_wait_loadcnt_dscnt 0x601
	v_mul_f64_e32 v[143:144], v[2:3], v[20:21]
	v_mul_f64_e32 v[20:21], v[4:5], v[20:21]
	s_wait_loadcnt_dscnt 0x500
	v_mul_f64_e32 v[16:17], v[6:7], v[24:25]
	v_mul_f64_e32 v[24:25], v[8:9], v[24:25]
	v_add_f64_e32 v[10:11], v[12:13], v[10:11]
	v_add_f64_e32 v[12:13], v[139:140], v[149:150]
	v_fma_f64 v[139:140], v[4:5], v[18:19], v[143:144]
	v_fma_f64 v[18:19], v[2:3], v[18:19], -v[20:21]
	v_fma_f64 v[8:9], v[8:9], v[22:23], v[16:17]
	v_fma_f64 v[6:7], v[6:7], v[22:23], -v[24:25]
	v_add_f64_e32 v[14:15], v[10:11], v[14:15]
	v_add_f64_e32 v[20:21], v[12:13], v[141:142]
	ds_load_b128 v[2:5], v1 offset:1328
	ds_load_b128 v[10:13], v1 offset:1344
	s_wait_loadcnt_dscnt 0x401
	v_mul_f64_e32 v[141:142], v[2:3], v[28:29]
	v_mul_f64_e32 v[28:29], v[4:5], v[28:29]
	v_add_f64_e32 v[14:15], v[14:15], v[18:19]
	v_add_f64_e32 v[16:17], v[20:21], v[139:140]
	s_wait_loadcnt_dscnt 0x300
	v_mul_f64_e32 v[18:19], v[10:11], v[32:33]
	v_mul_f64_e32 v[20:21], v[12:13], v[32:33]
	v_fma_f64 v[22:23], v[4:5], v[26:27], v[141:142]
	v_fma_f64 v[24:25], v[2:3], v[26:27], -v[28:29]
	v_add_f64_e32 v[14:15], v[14:15], v[6:7]
	v_add_f64_e32 v[16:17], v[16:17], v[8:9]
	ds_load_b128 v[2:5], v1 offset:1360
	ds_load_b128 v[6:9], v1 offset:1376
	v_fma_f64 v[12:13], v[12:13], v[30:31], v[18:19]
	v_fma_f64 v[10:11], v[10:11], v[30:31], -v[20:21]
	s_wait_loadcnt_dscnt 0x201
	v_mul_f64_e32 v[26:27], v[2:3], v[40:41]
	v_mul_f64_e32 v[28:29], v[4:5], v[40:41]
	s_wait_loadcnt_dscnt 0x100
	v_mul_f64_e32 v[18:19], v[6:7], v[137:138]
	v_mul_f64_e32 v[20:21], v[8:9], v[137:138]
	v_add_f64_e32 v[14:15], v[14:15], v[24:25]
	v_add_f64_e32 v[16:17], v[16:17], v[22:23]
	v_fma_f64 v[22:23], v[4:5], v[38:39], v[26:27]
	v_fma_f64 v[24:25], v[2:3], v[38:39], -v[28:29]
	ds_load_b128 v[2:5], v1 offset:1392
	v_fma_f64 v[8:9], v[8:9], v[135:136], v[18:19]
	v_fma_f64 v[6:7], v[6:7], v[135:136], -v[20:21]
	v_add_f64_e32 v[10:11], v[14:15], v[10:11]
	v_add_f64_e32 v[12:13], v[16:17], v[12:13]
	s_wait_loadcnt_dscnt 0x0
	v_mul_f64_e32 v[14:15], v[2:3], v[36:37]
	v_mul_f64_e32 v[16:17], v[4:5], v[36:37]
	s_delay_alu instid0(VALU_DEP_4) | instskip(NEXT) | instid1(VALU_DEP_4)
	v_add_f64_e32 v[10:11], v[10:11], v[24:25]
	v_add_f64_e32 v[12:13], v[12:13], v[22:23]
	s_delay_alu instid0(VALU_DEP_4) | instskip(NEXT) | instid1(VALU_DEP_4)
	v_fma_f64 v[4:5], v[4:5], v[34:35], v[14:15]
	v_fma_f64 v[2:3], v[2:3], v[34:35], -v[16:17]
	s_delay_alu instid0(VALU_DEP_4) | instskip(NEXT) | instid1(VALU_DEP_4)
	v_add_f64_e32 v[6:7], v[10:11], v[6:7]
	v_add_f64_e32 v[8:9], v[12:13], v[8:9]
	s_delay_alu instid0(VALU_DEP_2) | instskip(NEXT) | instid1(VALU_DEP_2)
	v_add_f64_e32 v[2:3], v[6:7], v[2:3]
	v_add_f64_e32 v[4:5], v[8:9], v[4:5]
	s_delay_alu instid0(VALU_DEP_2) | instskip(NEXT) | instid1(VALU_DEP_2)
	v_add_f64_e64 v[2:3], v[42:43], -v[2:3]
	v_add_f64_e64 v[4:5], v[44:45], -v[4:5]
	scratch_store_b128 off, v[2:5], off offset:368
	v_cmpx_lt_u32_e32 21, v0
	s_cbranch_execz .LBB107_235
; %bb.234:
	scratch_load_b128 v[5:8], off, s36
	v_dual_mov_b32 v2, v1 :: v_dual_mov_b32 v3, v1
	v_mov_b32_e32 v4, v1
	scratch_store_b128 off, v[1:4], off offset:352
	s_wait_loadcnt 0x0
	ds_store_b128 v134, v[5:8]
.LBB107_235:
	s_wait_alu 0xfffe
	s_or_b32 exec_lo, exec_lo, s0
	s_wait_storecnt_dscnt 0x0
	s_barrier_signal -1
	s_barrier_wait -1
	global_inv scope:SCOPE_SE
	s_clause 0x8
	scratch_load_b128 v[2:5], off, off offset:368
	scratch_load_b128 v[6:9], off, off offset:384
	;; [unrolled: 1-line block ×9, first 2 shown]
	ds_load_b128 v[38:41], v1 offset:1056
	ds_load_b128 v[42:45], v1 offset:1072
	s_clause 0x1
	scratch_load_b128 v[135:138], off, off offset:352
	scratch_load_b128 v[139:142], off, off offset:512
	s_mov_b32 s0, exec_lo
	s_wait_loadcnt_dscnt 0xa01
	v_mul_f64_e32 v[143:144], v[40:41], v[4:5]
	v_mul_f64_e32 v[4:5], v[38:39], v[4:5]
	s_wait_loadcnt_dscnt 0x900
	v_mul_f64_e32 v[147:148], v[42:43], v[8:9]
	v_mul_f64_e32 v[8:9], v[44:45], v[8:9]
	s_delay_alu instid0(VALU_DEP_4) | instskip(NEXT) | instid1(VALU_DEP_4)
	v_fma_f64 v[149:150], v[38:39], v[2:3], -v[143:144]
	v_fma_f64 v[151:152], v[40:41], v[2:3], v[4:5]
	ds_load_b128 v[2:5], v1 offset:1088
	ds_load_b128 v[143:146], v1 offset:1104
	scratch_load_b128 v[38:41], off, off offset:528
	v_fma_f64 v[44:45], v[44:45], v[6:7], v[147:148]
	v_fma_f64 v[42:43], v[42:43], v[6:7], -v[8:9]
	scratch_load_b128 v[6:9], off, off offset:544
	s_wait_loadcnt_dscnt 0xa01
	v_mul_f64_e32 v[153:154], v[2:3], v[12:13]
	v_mul_f64_e32 v[12:13], v[4:5], v[12:13]
	v_add_f64_e32 v[147:148], 0, v[149:150]
	v_add_f64_e32 v[149:150], 0, v[151:152]
	s_wait_loadcnt_dscnt 0x900
	v_mul_f64_e32 v[151:152], v[143:144], v[16:17]
	v_mul_f64_e32 v[16:17], v[145:146], v[16:17]
	v_fma_f64 v[153:154], v[4:5], v[10:11], v[153:154]
	v_fma_f64 v[155:156], v[2:3], v[10:11], -v[12:13]
	ds_load_b128 v[2:5], v1 offset:1120
	scratch_load_b128 v[10:13], off, off offset:560
	v_add_f64_e32 v[147:148], v[147:148], v[42:43]
	v_add_f64_e32 v[149:150], v[149:150], v[44:45]
	ds_load_b128 v[42:45], v1 offset:1136
	v_fma_f64 v[145:146], v[145:146], v[14:15], v[151:152]
	v_fma_f64 v[143:144], v[143:144], v[14:15], -v[16:17]
	scratch_load_b128 v[14:17], off, off offset:576
	s_wait_loadcnt_dscnt 0xa01
	v_mul_f64_e32 v[157:158], v[2:3], v[20:21]
	v_mul_f64_e32 v[20:21], v[4:5], v[20:21]
	s_wait_loadcnt_dscnt 0x900
	v_mul_f64_e32 v[151:152], v[42:43], v[24:25]
	v_mul_f64_e32 v[24:25], v[44:45], v[24:25]
	v_add_f64_e32 v[147:148], v[147:148], v[155:156]
	v_add_f64_e32 v[149:150], v[149:150], v[153:154]
	v_fma_f64 v[153:154], v[4:5], v[18:19], v[157:158]
	v_fma_f64 v[155:156], v[2:3], v[18:19], -v[20:21]
	ds_load_b128 v[2:5], v1 offset:1152
	scratch_load_b128 v[18:21], off, off offset:592
	v_fma_f64 v[44:45], v[44:45], v[22:23], v[151:152]
	v_fma_f64 v[42:43], v[42:43], v[22:23], -v[24:25]
	scratch_load_b128 v[22:25], off, off offset:608
	v_add_f64_e32 v[147:148], v[147:148], v[143:144]
	v_add_f64_e32 v[149:150], v[149:150], v[145:146]
	ds_load_b128 v[143:146], v1 offset:1168
	s_wait_loadcnt_dscnt 0xa01
	v_mul_f64_e32 v[157:158], v[2:3], v[28:29]
	v_mul_f64_e32 v[28:29], v[4:5], v[28:29]
	s_wait_loadcnt_dscnt 0x900
	v_mul_f64_e32 v[151:152], v[143:144], v[32:33]
	v_mul_f64_e32 v[32:33], v[145:146], v[32:33]
	v_add_f64_e32 v[147:148], v[147:148], v[155:156]
	v_add_f64_e32 v[149:150], v[149:150], v[153:154]
	v_fma_f64 v[153:154], v[4:5], v[26:27], v[157:158]
	v_fma_f64 v[155:156], v[2:3], v[26:27], -v[28:29]
	ds_load_b128 v[2:5], v1 offset:1184
	scratch_load_b128 v[26:29], off, off offset:624
	v_fma_f64 v[145:146], v[145:146], v[30:31], v[151:152]
	v_fma_f64 v[143:144], v[143:144], v[30:31], -v[32:33]
	scratch_load_b128 v[30:33], off, off offset:640
	v_add_f64_e32 v[147:148], v[147:148], v[42:43]
	v_add_f64_e32 v[149:150], v[149:150], v[44:45]
	ds_load_b128 v[42:45], v1 offset:1200
	s_wait_loadcnt_dscnt 0xa01
	v_mul_f64_e32 v[157:158], v[2:3], v[36:37]
	v_mul_f64_e32 v[36:37], v[4:5], v[36:37]
	s_wait_loadcnt_dscnt 0x800
	v_mul_f64_e32 v[151:152], v[42:43], v[141:142]
	v_add_f64_e32 v[147:148], v[147:148], v[155:156]
	v_add_f64_e32 v[149:150], v[149:150], v[153:154]
	v_mul_f64_e32 v[153:154], v[44:45], v[141:142]
	v_fma_f64 v[155:156], v[4:5], v[34:35], v[157:158]
	v_fma_f64 v[157:158], v[2:3], v[34:35], -v[36:37]
	ds_load_b128 v[2:5], v1 offset:1216
	scratch_load_b128 v[34:37], off, off offset:656
	v_fma_f64 v[44:45], v[44:45], v[139:140], v[151:152]
	v_add_f64_e32 v[147:148], v[147:148], v[143:144]
	v_add_f64_e32 v[145:146], v[149:150], v[145:146]
	ds_load_b128 v[141:144], v1 offset:1232
	v_fma_f64 v[139:140], v[42:43], v[139:140], -v[153:154]
	s_wait_loadcnt_dscnt 0x801
	v_mul_f64_e32 v[149:150], v[2:3], v[40:41]
	v_mul_f64_e32 v[159:160], v[4:5], v[40:41]
	scratch_load_b128 v[40:43], off, off offset:672
	s_wait_loadcnt_dscnt 0x800
	v_mul_f64_e32 v[153:154], v[141:142], v[8:9]
	v_mul_f64_e32 v[8:9], v[143:144], v[8:9]
	v_add_f64_e32 v[147:148], v[147:148], v[157:158]
	v_add_f64_e32 v[145:146], v[145:146], v[155:156]
	v_fma_f64 v[155:156], v[4:5], v[38:39], v[149:150]
	v_fma_f64 v[38:39], v[2:3], v[38:39], -v[159:160]
	ds_load_b128 v[2:5], v1 offset:1248
	ds_load_b128 v[149:152], v1 offset:1264
	v_fma_f64 v[143:144], v[143:144], v[6:7], v[153:154]
	v_fma_f64 v[141:142], v[141:142], v[6:7], -v[8:9]
	scratch_load_b128 v[6:9], off, off offset:704
	v_add_f64_e32 v[139:140], v[147:148], v[139:140]
	v_add_f64_e32 v[44:45], v[145:146], v[44:45]
	scratch_load_b128 v[145:148], off, off offset:688
	s_wait_loadcnt_dscnt 0x901
	v_mul_f64_e32 v[157:158], v[2:3], v[12:13]
	v_mul_f64_e32 v[12:13], v[4:5], v[12:13]
	v_add_f64_e32 v[38:39], v[139:140], v[38:39]
	v_add_f64_e32 v[44:45], v[44:45], v[155:156]
	s_wait_loadcnt_dscnt 0x800
	v_mul_f64_e32 v[139:140], v[149:150], v[16:17]
	v_mul_f64_e32 v[16:17], v[151:152], v[16:17]
	v_fma_f64 v[153:154], v[4:5], v[10:11], v[157:158]
	v_fma_f64 v[155:156], v[2:3], v[10:11], -v[12:13]
	ds_load_b128 v[2:5], v1 offset:1280
	ds_load_b128 v[10:13], v1 offset:1296
	v_add_f64_e32 v[38:39], v[38:39], v[141:142]
	v_add_f64_e32 v[44:45], v[44:45], v[143:144]
	s_wait_loadcnt_dscnt 0x701
	v_mul_f64_e32 v[141:142], v[2:3], v[20:21]
	v_mul_f64_e32 v[20:21], v[4:5], v[20:21]
	v_fma_f64 v[139:140], v[151:152], v[14:15], v[139:140]
	v_fma_f64 v[14:15], v[149:150], v[14:15], -v[16:17]
	v_add_f64_e32 v[16:17], v[38:39], v[155:156]
	v_add_f64_e32 v[38:39], v[44:45], v[153:154]
	s_wait_loadcnt_dscnt 0x600
	v_mul_f64_e32 v[44:45], v[10:11], v[24:25]
	v_mul_f64_e32 v[24:25], v[12:13], v[24:25]
	v_fma_f64 v[141:142], v[4:5], v[18:19], v[141:142]
	v_fma_f64 v[18:19], v[2:3], v[18:19], -v[20:21]
	v_add_f64_e32 v[20:21], v[16:17], v[14:15]
	v_add_f64_e32 v[38:39], v[38:39], v[139:140]
	ds_load_b128 v[2:5], v1 offset:1312
	ds_load_b128 v[14:17], v1 offset:1328
	v_fma_f64 v[12:13], v[12:13], v[22:23], v[44:45]
	v_fma_f64 v[10:11], v[10:11], v[22:23], -v[24:25]
	s_wait_loadcnt_dscnt 0x501
	v_mul_f64_e32 v[139:140], v[2:3], v[28:29]
	v_mul_f64_e32 v[28:29], v[4:5], v[28:29]
	s_wait_loadcnt_dscnt 0x400
	v_mul_f64_e32 v[22:23], v[14:15], v[32:33]
	v_mul_f64_e32 v[24:25], v[16:17], v[32:33]
	v_add_f64_e32 v[18:19], v[20:21], v[18:19]
	v_add_f64_e32 v[20:21], v[38:39], v[141:142]
	v_fma_f64 v[32:33], v[4:5], v[26:27], v[139:140]
	v_fma_f64 v[26:27], v[2:3], v[26:27], -v[28:29]
	v_fma_f64 v[16:17], v[16:17], v[30:31], v[22:23]
	v_fma_f64 v[14:15], v[14:15], v[30:31], -v[24:25]
	v_add_f64_e32 v[18:19], v[18:19], v[10:11]
	v_add_f64_e32 v[20:21], v[20:21], v[12:13]
	ds_load_b128 v[2:5], v1 offset:1344
	ds_load_b128 v[10:13], v1 offset:1360
	s_wait_loadcnt_dscnt 0x301
	v_mul_f64_e32 v[28:29], v[2:3], v[36:37]
	v_mul_f64_e32 v[36:37], v[4:5], v[36:37]
	s_wait_loadcnt_dscnt 0x200
	v_mul_f64_e32 v[22:23], v[10:11], v[42:43]
	v_add_f64_e32 v[18:19], v[18:19], v[26:27]
	v_add_f64_e32 v[20:21], v[20:21], v[32:33]
	v_mul_f64_e32 v[24:25], v[12:13], v[42:43]
	v_fma_f64 v[26:27], v[4:5], v[34:35], v[28:29]
	v_fma_f64 v[28:29], v[2:3], v[34:35], -v[36:37]
	v_fma_f64 v[12:13], v[12:13], v[40:41], v[22:23]
	v_add_f64_e32 v[18:19], v[18:19], v[14:15]
	v_add_f64_e32 v[20:21], v[20:21], v[16:17]
	ds_load_b128 v[2:5], v1 offset:1376
	ds_load_b128 v[14:17], v1 offset:1392
	v_fma_f64 v[10:11], v[10:11], v[40:41], -v[24:25]
	s_wait_loadcnt_dscnt 0x1
	v_mul_f64_e32 v[30:31], v[2:3], v[147:148]
	v_mul_f64_e32 v[32:33], v[4:5], v[147:148]
	s_wait_dscnt 0x0
	v_mul_f64_e32 v[22:23], v[14:15], v[8:9]
	v_mul_f64_e32 v[8:9], v[16:17], v[8:9]
	v_add_f64_e32 v[18:19], v[18:19], v[28:29]
	v_add_f64_e32 v[20:21], v[20:21], v[26:27]
	v_fma_f64 v[4:5], v[4:5], v[145:146], v[30:31]
	v_fma_f64 v[1:2], v[2:3], v[145:146], -v[32:33]
	v_fma_f64 v[16:17], v[16:17], v[6:7], v[22:23]
	v_fma_f64 v[6:7], v[14:15], v[6:7], -v[8:9]
	v_add_f64_e32 v[10:11], v[18:19], v[10:11]
	v_add_f64_e32 v[12:13], v[20:21], v[12:13]
	s_delay_alu instid0(VALU_DEP_2) | instskip(NEXT) | instid1(VALU_DEP_2)
	v_add_f64_e32 v[1:2], v[10:11], v[1:2]
	v_add_f64_e32 v[3:4], v[12:13], v[4:5]
	s_delay_alu instid0(VALU_DEP_2) | instskip(NEXT) | instid1(VALU_DEP_2)
	;; [unrolled: 3-line block ×3, first 2 shown]
	v_add_f64_e64 v[1:2], v[135:136], -v[1:2]
	v_add_f64_e64 v[3:4], v[137:138], -v[3:4]
	scratch_store_b128 off, v[1:4], off offset:352
	v_cmpx_lt_u32_e32 20, v0
	s_cbranch_execz .LBB107_237
; %bb.236:
	scratch_load_b128 v[1:4], off, s37
	v_mov_b32_e32 v5, 0
	s_delay_alu instid0(VALU_DEP_1)
	v_dual_mov_b32 v6, v5 :: v_dual_mov_b32 v7, v5
	v_mov_b32_e32 v8, v5
	scratch_store_b128 off, v[5:8], off offset:336
	s_wait_loadcnt 0x0
	ds_store_b128 v134, v[1:4]
.LBB107_237:
	s_wait_alu 0xfffe
	s_or_b32 exec_lo, exec_lo, s0
	s_wait_storecnt_dscnt 0x0
	s_barrier_signal -1
	s_barrier_wait -1
	global_inv scope:SCOPE_SE
	s_clause 0x7
	scratch_load_b128 v[2:5], off, off offset:352
	scratch_load_b128 v[6:9], off, off offset:368
	;; [unrolled: 1-line block ×8, first 2 shown]
	v_mov_b32_e32 v1, 0
	s_mov_b32 s0, exec_lo
	ds_load_b128 v[34:37], v1 offset:1040
	s_clause 0x1
	scratch_load_b128 v[38:41], off, off offset:480
	scratch_load_b128 v[42:45], off, off offset:336
	ds_load_b128 v[135:138], v1 offset:1056
	scratch_load_b128 v[139:142], off, off offset:496
	s_wait_loadcnt_dscnt 0xa01
	v_mul_f64_e32 v[143:144], v[36:37], v[4:5]
	v_mul_f64_e32 v[4:5], v[34:35], v[4:5]
	s_delay_alu instid0(VALU_DEP_2) | instskip(NEXT) | instid1(VALU_DEP_2)
	v_fma_f64 v[149:150], v[34:35], v[2:3], -v[143:144]
	v_fma_f64 v[151:152], v[36:37], v[2:3], v[4:5]
	ds_load_b128 v[2:5], v1 offset:1072
	s_wait_loadcnt_dscnt 0x901
	v_mul_f64_e32 v[147:148], v[135:136], v[8:9]
	v_mul_f64_e32 v[8:9], v[137:138], v[8:9]
	scratch_load_b128 v[34:37], off, off offset:512
	ds_load_b128 v[143:146], v1 offset:1088
	s_wait_loadcnt_dscnt 0x901
	v_mul_f64_e32 v[153:154], v[2:3], v[12:13]
	v_mul_f64_e32 v[12:13], v[4:5], v[12:13]
	v_fma_f64 v[137:138], v[137:138], v[6:7], v[147:148]
	v_fma_f64 v[135:136], v[135:136], v[6:7], -v[8:9]
	v_add_f64_e32 v[147:148], 0, v[149:150]
	v_add_f64_e32 v[149:150], 0, v[151:152]
	scratch_load_b128 v[6:9], off, off offset:528
	v_fma_f64 v[153:154], v[4:5], v[10:11], v[153:154]
	v_fma_f64 v[155:156], v[2:3], v[10:11], -v[12:13]
	ds_load_b128 v[2:5], v1 offset:1104
	s_wait_loadcnt_dscnt 0x901
	v_mul_f64_e32 v[151:152], v[143:144], v[16:17]
	v_mul_f64_e32 v[16:17], v[145:146], v[16:17]
	scratch_load_b128 v[10:13], off, off offset:544
	v_add_f64_e32 v[147:148], v[147:148], v[135:136]
	v_add_f64_e32 v[149:150], v[149:150], v[137:138]
	s_wait_loadcnt_dscnt 0x900
	v_mul_f64_e32 v[157:158], v[2:3], v[20:21]
	v_mul_f64_e32 v[20:21], v[4:5], v[20:21]
	ds_load_b128 v[135:138], v1 offset:1120
	v_fma_f64 v[145:146], v[145:146], v[14:15], v[151:152]
	v_fma_f64 v[143:144], v[143:144], v[14:15], -v[16:17]
	scratch_load_b128 v[14:17], off, off offset:560
	v_add_f64_e32 v[147:148], v[147:148], v[155:156]
	v_add_f64_e32 v[149:150], v[149:150], v[153:154]
	v_fma_f64 v[153:154], v[4:5], v[18:19], v[157:158]
	v_fma_f64 v[155:156], v[2:3], v[18:19], -v[20:21]
	ds_load_b128 v[2:5], v1 offset:1136
	s_wait_loadcnt_dscnt 0x901
	v_mul_f64_e32 v[151:152], v[135:136], v[24:25]
	v_mul_f64_e32 v[24:25], v[137:138], v[24:25]
	scratch_load_b128 v[18:21], off, off offset:576
	s_wait_loadcnt_dscnt 0x900
	v_mul_f64_e32 v[157:158], v[2:3], v[28:29]
	v_mul_f64_e32 v[28:29], v[4:5], v[28:29]
	v_add_f64_e32 v[147:148], v[147:148], v[143:144]
	v_add_f64_e32 v[149:150], v[149:150], v[145:146]
	ds_load_b128 v[143:146], v1 offset:1152
	v_fma_f64 v[137:138], v[137:138], v[22:23], v[151:152]
	v_fma_f64 v[135:136], v[135:136], v[22:23], -v[24:25]
	scratch_load_b128 v[22:25], off, off offset:592
	v_add_f64_e32 v[147:148], v[147:148], v[155:156]
	v_add_f64_e32 v[149:150], v[149:150], v[153:154]
	v_fma_f64 v[153:154], v[4:5], v[26:27], v[157:158]
	v_fma_f64 v[155:156], v[2:3], v[26:27], -v[28:29]
	ds_load_b128 v[2:5], v1 offset:1168
	s_wait_loadcnt_dscnt 0x901
	v_mul_f64_e32 v[151:152], v[143:144], v[32:33]
	v_mul_f64_e32 v[32:33], v[145:146], v[32:33]
	scratch_load_b128 v[26:29], off, off offset:608
	s_wait_loadcnt_dscnt 0x900
	v_mul_f64_e32 v[157:158], v[2:3], v[40:41]
	v_mul_f64_e32 v[40:41], v[4:5], v[40:41]
	v_add_f64_e32 v[147:148], v[147:148], v[135:136]
	v_add_f64_e32 v[149:150], v[149:150], v[137:138]
	ds_load_b128 v[135:138], v1 offset:1184
	v_fma_f64 v[145:146], v[145:146], v[30:31], v[151:152]
	v_fma_f64 v[143:144], v[143:144], v[30:31], -v[32:33]
	scratch_load_b128 v[30:33], off, off offset:624
	v_add_f64_e32 v[147:148], v[147:148], v[155:156]
	v_add_f64_e32 v[149:150], v[149:150], v[153:154]
	v_fma_f64 v[155:156], v[4:5], v[38:39], v[157:158]
	v_fma_f64 v[157:158], v[2:3], v[38:39], -v[40:41]
	ds_load_b128 v[2:5], v1 offset:1200
	s_wait_loadcnt_dscnt 0x801
	v_mul_f64_e32 v[151:152], v[135:136], v[141:142]
	v_mul_f64_e32 v[153:154], v[137:138], v[141:142]
	scratch_load_b128 v[38:41], off, off offset:640
	v_add_f64_e32 v[147:148], v[147:148], v[143:144]
	v_add_f64_e32 v[145:146], v[149:150], v[145:146]
	ds_load_b128 v[141:144], v1 offset:1216
	v_fma_f64 v[151:152], v[137:138], v[139:140], v[151:152]
	v_fma_f64 v[139:140], v[135:136], v[139:140], -v[153:154]
	scratch_load_b128 v[135:138], off, off offset:656
	s_wait_loadcnt_dscnt 0x901
	v_mul_f64_e32 v[149:150], v[2:3], v[36:37]
	v_mul_f64_e32 v[36:37], v[4:5], v[36:37]
	v_add_f64_e32 v[147:148], v[147:148], v[157:158]
	v_add_f64_e32 v[145:146], v[145:146], v[155:156]
	s_delay_alu instid0(VALU_DEP_4) | instskip(NEXT) | instid1(VALU_DEP_4)
	v_fma_f64 v[149:150], v[4:5], v[34:35], v[149:150]
	v_fma_f64 v[155:156], v[2:3], v[34:35], -v[36:37]
	ds_load_b128 v[2:5], v1 offset:1232
	s_wait_loadcnt_dscnt 0x801
	v_mul_f64_e32 v[153:154], v[141:142], v[8:9]
	v_mul_f64_e32 v[8:9], v[143:144], v[8:9]
	scratch_load_b128 v[34:37], off, off offset:672
	s_wait_loadcnt_dscnt 0x800
	v_mul_f64_e32 v[157:158], v[2:3], v[12:13]
	v_add_f64_e32 v[139:140], v[147:148], v[139:140]
	v_add_f64_e32 v[151:152], v[145:146], v[151:152]
	v_mul_f64_e32 v[12:13], v[4:5], v[12:13]
	ds_load_b128 v[145:148], v1 offset:1248
	v_fma_f64 v[143:144], v[143:144], v[6:7], v[153:154]
	v_fma_f64 v[141:142], v[141:142], v[6:7], -v[8:9]
	scratch_load_b128 v[6:9], off, off offset:688
	v_fma_f64 v[153:154], v[4:5], v[10:11], v[157:158]
	v_add_f64_e32 v[139:140], v[139:140], v[155:156]
	v_add_f64_e32 v[149:150], v[151:152], v[149:150]
	v_fma_f64 v[155:156], v[2:3], v[10:11], -v[12:13]
	ds_load_b128 v[2:5], v1 offset:1264
	s_wait_loadcnt_dscnt 0x801
	v_mul_f64_e32 v[151:152], v[145:146], v[16:17]
	v_mul_f64_e32 v[16:17], v[147:148], v[16:17]
	scratch_load_b128 v[10:13], off, off offset:704
	v_add_f64_e32 v[157:158], v[139:140], v[141:142]
	v_add_f64_e32 v[143:144], v[149:150], v[143:144]
	s_wait_loadcnt_dscnt 0x800
	v_mul_f64_e32 v[149:150], v[2:3], v[20:21]
	v_mul_f64_e32 v[20:21], v[4:5], v[20:21]
	v_fma_f64 v[147:148], v[147:148], v[14:15], v[151:152]
	v_fma_f64 v[14:15], v[145:146], v[14:15], -v[16:17]
	ds_load_b128 v[139:142], v1 offset:1280
	s_wait_loadcnt_dscnt 0x700
	v_mul_f64_e32 v[145:146], v[139:140], v[24:25]
	v_mul_f64_e32 v[24:25], v[141:142], v[24:25]
	v_add_f64_e32 v[16:17], v[157:158], v[155:156]
	v_add_f64_e32 v[143:144], v[143:144], v[153:154]
	v_fma_f64 v[149:150], v[4:5], v[18:19], v[149:150]
	v_fma_f64 v[18:19], v[2:3], v[18:19], -v[20:21]
	v_fma_f64 v[141:142], v[141:142], v[22:23], v[145:146]
	v_fma_f64 v[22:23], v[139:140], v[22:23], -v[24:25]
	v_add_f64_e32 v[20:21], v[16:17], v[14:15]
	v_add_f64_e32 v[143:144], v[143:144], v[147:148]
	ds_load_b128 v[2:5], v1 offset:1296
	ds_load_b128 v[14:17], v1 offset:1312
	s_wait_loadcnt_dscnt 0x601
	v_mul_f64_e32 v[147:148], v[2:3], v[28:29]
	v_mul_f64_e32 v[28:29], v[4:5], v[28:29]
	s_wait_loadcnt_dscnt 0x500
	v_mul_f64_e32 v[24:25], v[14:15], v[32:33]
	v_mul_f64_e32 v[32:33], v[16:17], v[32:33]
	v_add_f64_e32 v[18:19], v[20:21], v[18:19]
	v_add_f64_e32 v[20:21], v[143:144], v[149:150]
	v_fma_f64 v[139:140], v[4:5], v[26:27], v[147:148]
	v_fma_f64 v[26:27], v[2:3], v[26:27], -v[28:29]
	v_fma_f64 v[16:17], v[16:17], v[30:31], v[24:25]
	v_fma_f64 v[14:15], v[14:15], v[30:31], -v[32:33]
	v_add_f64_e32 v[22:23], v[18:19], v[22:23]
	v_add_f64_e32 v[28:29], v[20:21], v[141:142]
	ds_load_b128 v[2:5], v1 offset:1328
	ds_load_b128 v[18:21], v1 offset:1344
	s_wait_loadcnt_dscnt 0x401
	v_mul_f64_e32 v[141:142], v[2:3], v[40:41]
	v_mul_f64_e32 v[40:41], v[4:5], v[40:41]
	v_add_f64_e32 v[22:23], v[22:23], v[26:27]
	v_add_f64_e32 v[24:25], v[28:29], v[139:140]
	s_wait_loadcnt_dscnt 0x300
	v_mul_f64_e32 v[26:27], v[18:19], v[137:138]
	v_mul_f64_e32 v[28:29], v[20:21], v[137:138]
	v_fma_f64 v[30:31], v[4:5], v[38:39], v[141:142]
	v_fma_f64 v[32:33], v[2:3], v[38:39], -v[40:41]
	v_add_f64_e32 v[22:23], v[22:23], v[14:15]
	v_add_f64_e32 v[24:25], v[24:25], v[16:17]
	ds_load_b128 v[2:5], v1 offset:1360
	ds_load_b128 v[14:17], v1 offset:1376
	v_fma_f64 v[20:21], v[20:21], v[135:136], v[26:27]
	v_fma_f64 v[18:19], v[18:19], v[135:136], -v[28:29]
	s_wait_loadcnt_dscnt 0x201
	v_mul_f64_e32 v[38:39], v[2:3], v[36:37]
	v_mul_f64_e32 v[36:37], v[4:5], v[36:37]
	s_wait_loadcnt_dscnt 0x100
	v_mul_f64_e32 v[26:27], v[14:15], v[8:9]
	v_mul_f64_e32 v[8:9], v[16:17], v[8:9]
	v_add_f64_e32 v[22:23], v[22:23], v[32:33]
	v_add_f64_e32 v[24:25], v[24:25], v[30:31]
	v_fma_f64 v[28:29], v[4:5], v[34:35], v[38:39]
	v_fma_f64 v[30:31], v[2:3], v[34:35], -v[36:37]
	ds_load_b128 v[2:5], v1 offset:1392
	v_fma_f64 v[16:17], v[16:17], v[6:7], v[26:27]
	v_fma_f64 v[6:7], v[14:15], v[6:7], -v[8:9]
	v_add_f64_e32 v[18:19], v[22:23], v[18:19]
	v_add_f64_e32 v[20:21], v[24:25], v[20:21]
	s_wait_loadcnt_dscnt 0x0
	v_mul_f64_e32 v[22:23], v[2:3], v[12:13]
	v_mul_f64_e32 v[12:13], v[4:5], v[12:13]
	s_delay_alu instid0(VALU_DEP_4) | instskip(NEXT) | instid1(VALU_DEP_4)
	v_add_f64_e32 v[8:9], v[18:19], v[30:31]
	v_add_f64_e32 v[14:15], v[20:21], v[28:29]
	s_delay_alu instid0(VALU_DEP_4) | instskip(NEXT) | instid1(VALU_DEP_4)
	v_fma_f64 v[4:5], v[4:5], v[10:11], v[22:23]
	v_fma_f64 v[2:3], v[2:3], v[10:11], -v[12:13]
	s_delay_alu instid0(VALU_DEP_4) | instskip(NEXT) | instid1(VALU_DEP_4)
	v_add_f64_e32 v[6:7], v[8:9], v[6:7]
	v_add_f64_e32 v[8:9], v[14:15], v[16:17]
	s_delay_alu instid0(VALU_DEP_2) | instskip(NEXT) | instid1(VALU_DEP_2)
	v_add_f64_e32 v[2:3], v[6:7], v[2:3]
	v_add_f64_e32 v[4:5], v[8:9], v[4:5]
	s_delay_alu instid0(VALU_DEP_2) | instskip(NEXT) | instid1(VALU_DEP_2)
	v_add_f64_e64 v[2:3], v[42:43], -v[2:3]
	v_add_f64_e64 v[4:5], v[44:45], -v[4:5]
	scratch_store_b128 off, v[2:5], off offset:336
	v_cmpx_lt_u32_e32 19, v0
	s_cbranch_execz .LBB107_239
; %bb.238:
	scratch_load_b128 v[5:8], off, s38
	v_dual_mov_b32 v2, v1 :: v_dual_mov_b32 v3, v1
	v_mov_b32_e32 v4, v1
	scratch_store_b128 off, v[1:4], off offset:320
	s_wait_loadcnt 0x0
	ds_store_b128 v134, v[5:8]
.LBB107_239:
	s_wait_alu 0xfffe
	s_or_b32 exec_lo, exec_lo, s0
	s_wait_storecnt_dscnt 0x0
	s_barrier_signal -1
	s_barrier_wait -1
	global_inv scope:SCOPE_SE
	s_clause 0x8
	scratch_load_b128 v[2:5], off, off offset:336
	scratch_load_b128 v[6:9], off, off offset:352
	scratch_load_b128 v[10:13], off, off offset:368
	scratch_load_b128 v[14:17], off, off offset:384
	scratch_load_b128 v[18:21], off, off offset:400
	scratch_load_b128 v[22:25], off, off offset:416
	scratch_load_b128 v[26:29], off, off offset:432
	scratch_load_b128 v[30:33], off, off offset:448
	scratch_load_b128 v[34:37], off, off offset:464
	ds_load_b128 v[38:41], v1 offset:1024
	ds_load_b128 v[42:45], v1 offset:1040
	s_clause 0x1
	scratch_load_b128 v[135:138], off, off offset:320
	scratch_load_b128 v[139:142], off, off offset:480
	s_mov_b32 s0, exec_lo
	s_wait_loadcnt_dscnt 0xa01
	v_mul_f64_e32 v[143:144], v[40:41], v[4:5]
	v_mul_f64_e32 v[4:5], v[38:39], v[4:5]
	s_wait_loadcnt_dscnt 0x900
	v_mul_f64_e32 v[147:148], v[42:43], v[8:9]
	v_mul_f64_e32 v[8:9], v[44:45], v[8:9]
	s_delay_alu instid0(VALU_DEP_4) | instskip(NEXT) | instid1(VALU_DEP_4)
	v_fma_f64 v[149:150], v[38:39], v[2:3], -v[143:144]
	v_fma_f64 v[151:152], v[40:41], v[2:3], v[4:5]
	ds_load_b128 v[2:5], v1 offset:1056
	ds_load_b128 v[143:146], v1 offset:1072
	scratch_load_b128 v[38:41], off, off offset:496
	v_fma_f64 v[44:45], v[44:45], v[6:7], v[147:148]
	v_fma_f64 v[42:43], v[42:43], v[6:7], -v[8:9]
	scratch_load_b128 v[6:9], off, off offset:512
	s_wait_loadcnt_dscnt 0xa01
	v_mul_f64_e32 v[153:154], v[2:3], v[12:13]
	v_mul_f64_e32 v[12:13], v[4:5], v[12:13]
	v_add_f64_e32 v[147:148], 0, v[149:150]
	v_add_f64_e32 v[149:150], 0, v[151:152]
	s_wait_loadcnt_dscnt 0x900
	v_mul_f64_e32 v[151:152], v[143:144], v[16:17]
	v_mul_f64_e32 v[16:17], v[145:146], v[16:17]
	v_fma_f64 v[153:154], v[4:5], v[10:11], v[153:154]
	v_fma_f64 v[155:156], v[2:3], v[10:11], -v[12:13]
	ds_load_b128 v[2:5], v1 offset:1088
	scratch_load_b128 v[10:13], off, off offset:528
	v_add_f64_e32 v[147:148], v[147:148], v[42:43]
	v_add_f64_e32 v[149:150], v[149:150], v[44:45]
	ds_load_b128 v[42:45], v1 offset:1104
	v_fma_f64 v[145:146], v[145:146], v[14:15], v[151:152]
	v_fma_f64 v[143:144], v[143:144], v[14:15], -v[16:17]
	scratch_load_b128 v[14:17], off, off offset:544
	s_wait_loadcnt_dscnt 0xa01
	v_mul_f64_e32 v[157:158], v[2:3], v[20:21]
	v_mul_f64_e32 v[20:21], v[4:5], v[20:21]
	s_wait_loadcnt_dscnt 0x900
	v_mul_f64_e32 v[151:152], v[42:43], v[24:25]
	v_mul_f64_e32 v[24:25], v[44:45], v[24:25]
	v_add_f64_e32 v[147:148], v[147:148], v[155:156]
	v_add_f64_e32 v[149:150], v[149:150], v[153:154]
	v_fma_f64 v[153:154], v[4:5], v[18:19], v[157:158]
	v_fma_f64 v[155:156], v[2:3], v[18:19], -v[20:21]
	ds_load_b128 v[2:5], v1 offset:1120
	scratch_load_b128 v[18:21], off, off offset:560
	v_fma_f64 v[44:45], v[44:45], v[22:23], v[151:152]
	v_fma_f64 v[42:43], v[42:43], v[22:23], -v[24:25]
	scratch_load_b128 v[22:25], off, off offset:576
	v_add_f64_e32 v[147:148], v[147:148], v[143:144]
	v_add_f64_e32 v[149:150], v[149:150], v[145:146]
	ds_load_b128 v[143:146], v1 offset:1136
	s_wait_loadcnt_dscnt 0xa01
	v_mul_f64_e32 v[157:158], v[2:3], v[28:29]
	v_mul_f64_e32 v[28:29], v[4:5], v[28:29]
	s_wait_loadcnt_dscnt 0x900
	v_mul_f64_e32 v[151:152], v[143:144], v[32:33]
	v_mul_f64_e32 v[32:33], v[145:146], v[32:33]
	v_add_f64_e32 v[147:148], v[147:148], v[155:156]
	v_add_f64_e32 v[149:150], v[149:150], v[153:154]
	v_fma_f64 v[153:154], v[4:5], v[26:27], v[157:158]
	v_fma_f64 v[155:156], v[2:3], v[26:27], -v[28:29]
	ds_load_b128 v[2:5], v1 offset:1152
	scratch_load_b128 v[26:29], off, off offset:592
	v_fma_f64 v[145:146], v[145:146], v[30:31], v[151:152]
	v_fma_f64 v[143:144], v[143:144], v[30:31], -v[32:33]
	scratch_load_b128 v[30:33], off, off offset:608
	v_add_f64_e32 v[147:148], v[147:148], v[42:43]
	v_add_f64_e32 v[149:150], v[149:150], v[44:45]
	ds_load_b128 v[42:45], v1 offset:1168
	s_wait_loadcnt_dscnt 0xa01
	v_mul_f64_e32 v[157:158], v[2:3], v[36:37]
	v_mul_f64_e32 v[36:37], v[4:5], v[36:37]
	s_wait_loadcnt_dscnt 0x800
	v_mul_f64_e32 v[151:152], v[42:43], v[141:142]
	v_add_f64_e32 v[147:148], v[147:148], v[155:156]
	v_add_f64_e32 v[149:150], v[149:150], v[153:154]
	v_mul_f64_e32 v[153:154], v[44:45], v[141:142]
	v_fma_f64 v[155:156], v[4:5], v[34:35], v[157:158]
	v_fma_f64 v[157:158], v[2:3], v[34:35], -v[36:37]
	ds_load_b128 v[2:5], v1 offset:1184
	scratch_load_b128 v[34:37], off, off offset:624
	v_fma_f64 v[44:45], v[44:45], v[139:140], v[151:152]
	v_add_f64_e32 v[147:148], v[147:148], v[143:144]
	v_add_f64_e32 v[145:146], v[149:150], v[145:146]
	ds_load_b128 v[141:144], v1 offset:1200
	v_fma_f64 v[139:140], v[42:43], v[139:140], -v[153:154]
	s_wait_loadcnt_dscnt 0x801
	v_mul_f64_e32 v[149:150], v[2:3], v[40:41]
	v_mul_f64_e32 v[159:160], v[4:5], v[40:41]
	scratch_load_b128 v[40:43], off, off offset:640
	s_wait_loadcnt_dscnt 0x800
	v_mul_f64_e32 v[153:154], v[141:142], v[8:9]
	v_mul_f64_e32 v[8:9], v[143:144], v[8:9]
	v_add_f64_e32 v[147:148], v[147:148], v[157:158]
	v_add_f64_e32 v[145:146], v[145:146], v[155:156]
	v_fma_f64 v[155:156], v[4:5], v[38:39], v[149:150]
	v_fma_f64 v[38:39], v[2:3], v[38:39], -v[159:160]
	ds_load_b128 v[2:5], v1 offset:1216
	ds_load_b128 v[149:152], v1 offset:1232
	v_fma_f64 v[143:144], v[143:144], v[6:7], v[153:154]
	v_fma_f64 v[141:142], v[141:142], v[6:7], -v[8:9]
	scratch_load_b128 v[6:9], off, off offset:672
	v_add_f64_e32 v[139:140], v[147:148], v[139:140]
	v_add_f64_e32 v[44:45], v[145:146], v[44:45]
	scratch_load_b128 v[145:148], off, off offset:656
	s_wait_loadcnt_dscnt 0x901
	v_mul_f64_e32 v[157:158], v[2:3], v[12:13]
	v_mul_f64_e32 v[12:13], v[4:5], v[12:13]
	s_wait_loadcnt_dscnt 0x800
	v_mul_f64_e32 v[153:154], v[149:150], v[16:17]
	v_mul_f64_e32 v[16:17], v[151:152], v[16:17]
	v_add_f64_e32 v[38:39], v[139:140], v[38:39]
	v_add_f64_e32 v[44:45], v[44:45], v[155:156]
	v_fma_f64 v[155:156], v[4:5], v[10:11], v[157:158]
	v_fma_f64 v[157:158], v[2:3], v[10:11], -v[12:13]
	ds_load_b128 v[2:5], v1 offset:1248
	scratch_load_b128 v[10:13], off, off offset:688
	v_fma_f64 v[151:152], v[151:152], v[14:15], v[153:154]
	v_fma_f64 v[149:150], v[149:150], v[14:15], -v[16:17]
	scratch_load_b128 v[14:17], off, off offset:704
	v_add_f64_e32 v[38:39], v[38:39], v[141:142]
	v_add_f64_e32 v[44:45], v[44:45], v[143:144]
	ds_load_b128 v[139:142], v1 offset:1264
	s_wait_loadcnt_dscnt 0x901
	v_mul_f64_e32 v[143:144], v[2:3], v[20:21]
	v_mul_f64_e32 v[20:21], v[4:5], v[20:21]
	s_wait_loadcnt_dscnt 0x800
	v_mul_f64_e32 v[153:154], v[139:140], v[24:25]
	v_mul_f64_e32 v[24:25], v[141:142], v[24:25]
	v_add_f64_e32 v[38:39], v[38:39], v[157:158]
	v_add_f64_e32 v[44:45], v[44:45], v[155:156]
	v_fma_f64 v[143:144], v[4:5], v[18:19], v[143:144]
	v_fma_f64 v[155:156], v[2:3], v[18:19], -v[20:21]
	ds_load_b128 v[2:5], v1 offset:1280
	ds_load_b128 v[18:21], v1 offset:1296
	v_fma_f64 v[141:142], v[141:142], v[22:23], v[153:154]
	v_fma_f64 v[22:23], v[139:140], v[22:23], -v[24:25]
	v_add_f64_e32 v[38:39], v[38:39], v[149:150]
	v_add_f64_e32 v[44:45], v[44:45], v[151:152]
	s_wait_loadcnt_dscnt 0x701
	v_mul_f64_e32 v[149:150], v[2:3], v[28:29]
	v_mul_f64_e32 v[28:29], v[4:5], v[28:29]
	s_delay_alu instid0(VALU_DEP_4) | instskip(NEXT) | instid1(VALU_DEP_4)
	v_add_f64_e32 v[24:25], v[38:39], v[155:156]
	v_add_f64_e32 v[38:39], v[44:45], v[143:144]
	s_wait_loadcnt_dscnt 0x600
	v_mul_f64_e32 v[44:45], v[18:19], v[32:33]
	v_mul_f64_e32 v[32:33], v[20:21], v[32:33]
	v_fma_f64 v[139:140], v[4:5], v[26:27], v[149:150]
	v_fma_f64 v[26:27], v[2:3], v[26:27], -v[28:29]
	v_add_f64_e32 v[28:29], v[24:25], v[22:23]
	v_add_f64_e32 v[38:39], v[38:39], v[141:142]
	ds_load_b128 v[2:5], v1 offset:1312
	ds_load_b128 v[22:25], v1 offset:1328
	v_fma_f64 v[20:21], v[20:21], v[30:31], v[44:45]
	v_fma_f64 v[18:19], v[18:19], v[30:31], -v[32:33]
	s_wait_loadcnt_dscnt 0x501
	v_mul_f64_e32 v[141:142], v[2:3], v[36:37]
	v_mul_f64_e32 v[36:37], v[4:5], v[36:37]
	s_wait_loadcnt_dscnt 0x400
	v_mul_f64_e32 v[30:31], v[22:23], v[42:43]
	v_add_f64_e32 v[26:27], v[28:29], v[26:27]
	v_add_f64_e32 v[28:29], v[38:39], v[139:140]
	v_mul_f64_e32 v[32:33], v[24:25], v[42:43]
	v_fma_f64 v[38:39], v[4:5], v[34:35], v[141:142]
	v_fma_f64 v[34:35], v[2:3], v[34:35], -v[36:37]
	v_fma_f64 v[24:25], v[24:25], v[40:41], v[30:31]
	v_add_f64_e32 v[26:27], v[26:27], v[18:19]
	v_add_f64_e32 v[28:29], v[28:29], v[20:21]
	ds_load_b128 v[2:5], v1 offset:1344
	ds_load_b128 v[18:21], v1 offset:1360
	v_fma_f64 v[22:23], v[22:23], v[40:41], -v[32:33]
	s_wait_loadcnt_dscnt 0x201
	v_mul_f64_e32 v[36:37], v[2:3], v[147:148]
	v_mul_f64_e32 v[42:43], v[4:5], v[147:148]
	s_wait_dscnt 0x0
	v_mul_f64_e32 v[30:31], v[18:19], v[8:9]
	v_mul_f64_e32 v[8:9], v[20:21], v[8:9]
	v_add_f64_e32 v[26:27], v[26:27], v[34:35]
	v_add_f64_e32 v[28:29], v[28:29], v[38:39]
	v_fma_f64 v[32:33], v[4:5], v[145:146], v[36:37]
	v_fma_f64 v[34:35], v[2:3], v[145:146], -v[42:43]
	v_fma_f64 v[20:21], v[20:21], v[6:7], v[30:31]
	v_fma_f64 v[6:7], v[18:19], v[6:7], -v[8:9]
	v_add_f64_e32 v[26:27], v[26:27], v[22:23]
	v_add_f64_e32 v[28:29], v[28:29], v[24:25]
	ds_load_b128 v[2:5], v1 offset:1376
	ds_load_b128 v[22:25], v1 offset:1392
	s_wait_loadcnt_dscnt 0x101
	v_mul_f64_e32 v[36:37], v[2:3], v[12:13]
	v_mul_f64_e32 v[12:13], v[4:5], v[12:13]
	v_add_f64_e32 v[8:9], v[26:27], v[34:35]
	v_add_f64_e32 v[18:19], v[28:29], v[32:33]
	s_wait_loadcnt_dscnt 0x0
	v_mul_f64_e32 v[26:27], v[22:23], v[16:17]
	v_mul_f64_e32 v[16:17], v[24:25], v[16:17]
	v_fma_f64 v[4:5], v[4:5], v[10:11], v[36:37]
	v_fma_f64 v[1:2], v[2:3], v[10:11], -v[12:13]
	v_add_f64_e32 v[6:7], v[8:9], v[6:7]
	v_add_f64_e32 v[8:9], v[18:19], v[20:21]
	v_fma_f64 v[10:11], v[24:25], v[14:15], v[26:27]
	v_fma_f64 v[12:13], v[22:23], v[14:15], -v[16:17]
	s_delay_alu instid0(VALU_DEP_4) | instskip(NEXT) | instid1(VALU_DEP_4)
	v_add_f64_e32 v[1:2], v[6:7], v[1:2]
	v_add_f64_e32 v[3:4], v[8:9], v[4:5]
	s_delay_alu instid0(VALU_DEP_2) | instskip(NEXT) | instid1(VALU_DEP_2)
	v_add_f64_e32 v[1:2], v[1:2], v[12:13]
	v_add_f64_e32 v[3:4], v[3:4], v[10:11]
	s_delay_alu instid0(VALU_DEP_2) | instskip(NEXT) | instid1(VALU_DEP_2)
	v_add_f64_e64 v[1:2], v[135:136], -v[1:2]
	v_add_f64_e64 v[3:4], v[137:138], -v[3:4]
	scratch_store_b128 off, v[1:4], off offset:320
	v_cmpx_lt_u32_e32 18, v0
	s_cbranch_execz .LBB107_241
; %bb.240:
	scratch_load_b128 v[1:4], off, s39
	v_mov_b32_e32 v5, 0
	s_delay_alu instid0(VALU_DEP_1)
	v_dual_mov_b32 v6, v5 :: v_dual_mov_b32 v7, v5
	v_mov_b32_e32 v8, v5
	scratch_store_b128 off, v[5:8], off offset:304
	s_wait_loadcnt 0x0
	ds_store_b128 v134, v[1:4]
.LBB107_241:
	s_wait_alu 0xfffe
	s_or_b32 exec_lo, exec_lo, s0
	s_wait_storecnt_dscnt 0x0
	s_barrier_signal -1
	s_barrier_wait -1
	global_inv scope:SCOPE_SE
	s_clause 0x7
	scratch_load_b128 v[2:5], off, off offset:320
	scratch_load_b128 v[6:9], off, off offset:336
	;; [unrolled: 1-line block ×8, first 2 shown]
	v_mov_b32_e32 v1, 0
	s_mov_b32 s0, exec_lo
	ds_load_b128 v[34:37], v1 offset:1008
	s_clause 0x1
	scratch_load_b128 v[38:41], off, off offset:448
	scratch_load_b128 v[42:45], off, off offset:304
	ds_load_b128 v[135:138], v1 offset:1024
	scratch_load_b128 v[139:142], off, off offset:464
	s_wait_loadcnt_dscnt 0xa01
	v_mul_f64_e32 v[143:144], v[36:37], v[4:5]
	v_mul_f64_e32 v[4:5], v[34:35], v[4:5]
	s_delay_alu instid0(VALU_DEP_2) | instskip(NEXT) | instid1(VALU_DEP_2)
	v_fma_f64 v[149:150], v[34:35], v[2:3], -v[143:144]
	v_fma_f64 v[151:152], v[36:37], v[2:3], v[4:5]
	ds_load_b128 v[2:5], v1 offset:1040
	s_wait_loadcnt_dscnt 0x901
	v_mul_f64_e32 v[147:148], v[135:136], v[8:9]
	v_mul_f64_e32 v[8:9], v[137:138], v[8:9]
	scratch_load_b128 v[34:37], off, off offset:480
	ds_load_b128 v[143:146], v1 offset:1056
	s_wait_loadcnt_dscnt 0x901
	v_mul_f64_e32 v[153:154], v[2:3], v[12:13]
	v_mul_f64_e32 v[12:13], v[4:5], v[12:13]
	v_fma_f64 v[137:138], v[137:138], v[6:7], v[147:148]
	v_fma_f64 v[135:136], v[135:136], v[6:7], -v[8:9]
	v_add_f64_e32 v[147:148], 0, v[149:150]
	v_add_f64_e32 v[149:150], 0, v[151:152]
	scratch_load_b128 v[6:9], off, off offset:496
	v_fma_f64 v[153:154], v[4:5], v[10:11], v[153:154]
	v_fma_f64 v[155:156], v[2:3], v[10:11], -v[12:13]
	ds_load_b128 v[2:5], v1 offset:1072
	s_wait_loadcnt_dscnt 0x901
	v_mul_f64_e32 v[151:152], v[143:144], v[16:17]
	v_mul_f64_e32 v[16:17], v[145:146], v[16:17]
	scratch_load_b128 v[10:13], off, off offset:512
	v_add_f64_e32 v[147:148], v[147:148], v[135:136]
	v_add_f64_e32 v[149:150], v[149:150], v[137:138]
	s_wait_loadcnt_dscnt 0x900
	v_mul_f64_e32 v[157:158], v[2:3], v[20:21]
	v_mul_f64_e32 v[20:21], v[4:5], v[20:21]
	ds_load_b128 v[135:138], v1 offset:1088
	v_fma_f64 v[145:146], v[145:146], v[14:15], v[151:152]
	v_fma_f64 v[143:144], v[143:144], v[14:15], -v[16:17]
	scratch_load_b128 v[14:17], off, off offset:528
	v_add_f64_e32 v[147:148], v[147:148], v[155:156]
	v_add_f64_e32 v[149:150], v[149:150], v[153:154]
	v_fma_f64 v[153:154], v[4:5], v[18:19], v[157:158]
	v_fma_f64 v[155:156], v[2:3], v[18:19], -v[20:21]
	ds_load_b128 v[2:5], v1 offset:1104
	s_wait_loadcnt_dscnt 0x901
	v_mul_f64_e32 v[151:152], v[135:136], v[24:25]
	v_mul_f64_e32 v[24:25], v[137:138], v[24:25]
	scratch_load_b128 v[18:21], off, off offset:544
	s_wait_loadcnt_dscnt 0x900
	v_mul_f64_e32 v[157:158], v[2:3], v[28:29]
	v_mul_f64_e32 v[28:29], v[4:5], v[28:29]
	v_add_f64_e32 v[147:148], v[147:148], v[143:144]
	v_add_f64_e32 v[149:150], v[149:150], v[145:146]
	ds_load_b128 v[143:146], v1 offset:1120
	v_fma_f64 v[137:138], v[137:138], v[22:23], v[151:152]
	v_fma_f64 v[135:136], v[135:136], v[22:23], -v[24:25]
	scratch_load_b128 v[22:25], off, off offset:560
	v_add_f64_e32 v[147:148], v[147:148], v[155:156]
	v_add_f64_e32 v[149:150], v[149:150], v[153:154]
	v_fma_f64 v[153:154], v[4:5], v[26:27], v[157:158]
	v_fma_f64 v[155:156], v[2:3], v[26:27], -v[28:29]
	ds_load_b128 v[2:5], v1 offset:1136
	s_wait_loadcnt_dscnt 0x901
	v_mul_f64_e32 v[151:152], v[143:144], v[32:33]
	v_mul_f64_e32 v[32:33], v[145:146], v[32:33]
	scratch_load_b128 v[26:29], off, off offset:576
	s_wait_loadcnt_dscnt 0x900
	v_mul_f64_e32 v[157:158], v[2:3], v[40:41]
	v_mul_f64_e32 v[40:41], v[4:5], v[40:41]
	v_add_f64_e32 v[147:148], v[147:148], v[135:136]
	v_add_f64_e32 v[149:150], v[149:150], v[137:138]
	ds_load_b128 v[135:138], v1 offset:1152
	v_fma_f64 v[145:146], v[145:146], v[30:31], v[151:152]
	v_fma_f64 v[143:144], v[143:144], v[30:31], -v[32:33]
	scratch_load_b128 v[30:33], off, off offset:592
	v_add_f64_e32 v[147:148], v[147:148], v[155:156]
	v_add_f64_e32 v[149:150], v[149:150], v[153:154]
	v_fma_f64 v[155:156], v[4:5], v[38:39], v[157:158]
	v_fma_f64 v[157:158], v[2:3], v[38:39], -v[40:41]
	ds_load_b128 v[2:5], v1 offset:1168
	s_wait_loadcnt_dscnt 0x801
	v_mul_f64_e32 v[151:152], v[135:136], v[141:142]
	v_mul_f64_e32 v[153:154], v[137:138], v[141:142]
	scratch_load_b128 v[38:41], off, off offset:608
	v_add_f64_e32 v[147:148], v[147:148], v[143:144]
	v_add_f64_e32 v[145:146], v[149:150], v[145:146]
	ds_load_b128 v[141:144], v1 offset:1184
	v_fma_f64 v[151:152], v[137:138], v[139:140], v[151:152]
	v_fma_f64 v[139:140], v[135:136], v[139:140], -v[153:154]
	scratch_load_b128 v[135:138], off, off offset:624
	s_wait_loadcnt_dscnt 0x901
	v_mul_f64_e32 v[149:150], v[2:3], v[36:37]
	v_mul_f64_e32 v[36:37], v[4:5], v[36:37]
	v_add_f64_e32 v[147:148], v[147:148], v[157:158]
	v_add_f64_e32 v[145:146], v[145:146], v[155:156]
	s_delay_alu instid0(VALU_DEP_4) | instskip(NEXT) | instid1(VALU_DEP_4)
	v_fma_f64 v[149:150], v[4:5], v[34:35], v[149:150]
	v_fma_f64 v[155:156], v[2:3], v[34:35], -v[36:37]
	ds_load_b128 v[2:5], v1 offset:1200
	s_wait_loadcnt_dscnt 0x801
	v_mul_f64_e32 v[153:154], v[141:142], v[8:9]
	v_mul_f64_e32 v[8:9], v[143:144], v[8:9]
	scratch_load_b128 v[34:37], off, off offset:640
	s_wait_loadcnt_dscnt 0x800
	v_mul_f64_e32 v[157:158], v[2:3], v[12:13]
	v_add_f64_e32 v[139:140], v[147:148], v[139:140]
	v_add_f64_e32 v[151:152], v[145:146], v[151:152]
	v_mul_f64_e32 v[12:13], v[4:5], v[12:13]
	ds_load_b128 v[145:148], v1 offset:1216
	v_fma_f64 v[143:144], v[143:144], v[6:7], v[153:154]
	v_fma_f64 v[141:142], v[141:142], v[6:7], -v[8:9]
	scratch_load_b128 v[6:9], off, off offset:656
	v_fma_f64 v[153:154], v[4:5], v[10:11], v[157:158]
	v_add_f64_e32 v[139:140], v[139:140], v[155:156]
	v_add_f64_e32 v[149:150], v[151:152], v[149:150]
	v_fma_f64 v[155:156], v[2:3], v[10:11], -v[12:13]
	ds_load_b128 v[2:5], v1 offset:1232
	s_wait_loadcnt_dscnt 0x801
	v_mul_f64_e32 v[151:152], v[145:146], v[16:17]
	v_mul_f64_e32 v[16:17], v[147:148], v[16:17]
	scratch_load_b128 v[10:13], off, off offset:672
	v_add_f64_e32 v[157:158], v[139:140], v[141:142]
	v_add_f64_e32 v[143:144], v[149:150], v[143:144]
	s_wait_loadcnt_dscnt 0x800
	v_mul_f64_e32 v[149:150], v[2:3], v[20:21]
	v_mul_f64_e32 v[20:21], v[4:5], v[20:21]
	v_fma_f64 v[147:148], v[147:148], v[14:15], v[151:152]
	v_fma_f64 v[145:146], v[145:146], v[14:15], -v[16:17]
	ds_load_b128 v[139:142], v1 offset:1248
	scratch_load_b128 v[14:17], off, off offset:688
	v_add_f64_e32 v[151:152], v[157:158], v[155:156]
	v_add_f64_e32 v[143:144], v[143:144], v[153:154]
	v_fma_f64 v[149:150], v[4:5], v[18:19], v[149:150]
	v_fma_f64 v[155:156], v[2:3], v[18:19], -v[20:21]
	ds_load_b128 v[2:5], v1 offset:1264
	s_wait_loadcnt_dscnt 0x801
	v_mul_f64_e32 v[153:154], v[139:140], v[24:25]
	v_mul_f64_e32 v[24:25], v[141:142], v[24:25]
	scratch_load_b128 v[18:21], off, off offset:704
	s_wait_loadcnt_dscnt 0x800
	v_mul_f64_e32 v[157:158], v[2:3], v[28:29]
	v_mul_f64_e32 v[28:29], v[4:5], v[28:29]
	v_add_f64_e32 v[151:152], v[151:152], v[145:146]
	v_add_f64_e32 v[147:148], v[143:144], v[147:148]
	ds_load_b128 v[143:146], v1 offset:1280
	v_fma_f64 v[141:142], v[141:142], v[22:23], v[153:154]
	v_fma_f64 v[22:23], v[139:140], v[22:23], -v[24:25]
	v_add_f64_e32 v[24:25], v[151:152], v[155:156]
	v_add_f64_e32 v[139:140], v[147:148], v[149:150]
	s_wait_loadcnt_dscnt 0x700
	v_mul_f64_e32 v[147:148], v[143:144], v[32:33]
	v_mul_f64_e32 v[32:33], v[145:146], v[32:33]
	v_fma_f64 v[149:150], v[4:5], v[26:27], v[157:158]
	v_fma_f64 v[26:27], v[2:3], v[26:27], -v[28:29]
	v_add_f64_e32 v[28:29], v[24:25], v[22:23]
	v_add_f64_e32 v[139:140], v[139:140], v[141:142]
	ds_load_b128 v[2:5], v1 offset:1296
	ds_load_b128 v[22:25], v1 offset:1312
	v_fma_f64 v[145:146], v[145:146], v[30:31], v[147:148]
	v_fma_f64 v[30:31], v[143:144], v[30:31], -v[32:33]
	s_wait_loadcnt_dscnt 0x601
	v_mul_f64_e32 v[141:142], v[2:3], v[40:41]
	v_mul_f64_e32 v[40:41], v[4:5], v[40:41]
	s_wait_loadcnt_dscnt 0x500
	v_mul_f64_e32 v[32:33], v[22:23], v[137:138]
	v_mul_f64_e32 v[137:138], v[24:25], v[137:138]
	v_add_f64_e32 v[26:27], v[28:29], v[26:27]
	v_add_f64_e32 v[28:29], v[139:140], v[149:150]
	v_fma_f64 v[139:140], v[4:5], v[38:39], v[141:142]
	v_fma_f64 v[38:39], v[2:3], v[38:39], -v[40:41]
	v_fma_f64 v[24:25], v[24:25], v[135:136], v[32:33]
	v_fma_f64 v[22:23], v[22:23], v[135:136], -v[137:138]
	v_add_f64_e32 v[30:31], v[26:27], v[30:31]
	v_add_f64_e32 v[40:41], v[28:29], v[145:146]
	ds_load_b128 v[2:5], v1 offset:1328
	ds_load_b128 v[26:29], v1 offset:1344
	s_wait_loadcnt_dscnt 0x401
	v_mul_f64_e32 v[141:142], v[2:3], v[36:37]
	v_mul_f64_e32 v[36:37], v[4:5], v[36:37]
	v_add_f64_e32 v[30:31], v[30:31], v[38:39]
	v_add_f64_e32 v[32:33], v[40:41], v[139:140]
	s_wait_loadcnt_dscnt 0x300
	v_mul_f64_e32 v[38:39], v[26:27], v[8:9]
	v_mul_f64_e32 v[8:9], v[28:29], v[8:9]
	v_fma_f64 v[40:41], v[4:5], v[34:35], v[141:142]
	v_fma_f64 v[34:35], v[2:3], v[34:35], -v[36:37]
	v_add_f64_e32 v[30:31], v[30:31], v[22:23]
	v_add_f64_e32 v[32:33], v[32:33], v[24:25]
	ds_load_b128 v[2:5], v1 offset:1360
	ds_load_b128 v[22:25], v1 offset:1376
	v_fma_f64 v[28:29], v[28:29], v[6:7], v[38:39]
	v_fma_f64 v[6:7], v[26:27], v[6:7], -v[8:9]
	s_wait_loadcnt_dscnt 0x201
	v_mul_f64_e32 v[36:37], v[2:3], v[12:13]
	v_mul_f64_e32 v[12:13], v[4:5], v[12:13]
	v_add_f64_e32 v[8:9], v[30:31], v[34:35]
	v_add_f64_e32 v[26:27], v[32:33], v[40:41]
	s_wait_loadcnt_dscnt 0x100
	v_mul_f64_e32 v[30:31], v[22:23], v[16:17]
	v_mul_f64_e32 v[16:17], v[24:25], v[16:17]
	v_fma_f64 v[32:33], v[4:5], v[10:11], v[36:37]
	v_fma_f64 v[10:11], v[2:3], v[10:11], -v[12:13]
	ds_load_b128 v[2:5], v1 offset:1392
	v_add_f64_e32 v[6:7], v[8:9], v[6:7]
	v_add_f64_e32 v[8:9], v[26:27], v[28:29]
	v_fma_f64 v[24:25], v[24:25], v[14:15], v[30:31]
	v_fma_f64 v[14:15], v[22:23], v[14:15], -v[16:17]
	s_wait_loadcnt_dscnt 0x0
	v_mul_f64_e32 v[12:13], v[2:3], v[20:21]
	v_mul_f64_e32 v[20:21], v[4:5], v[20:21]
	v_add_f64_e32 v[6:7], v[6:7], v[10:11]
	v_add_f64_e32 v[8:9], v[8:9], v[32:33]
	s_delay_alu instid0(VALU_DEP_4) | instskip(NEXT) | instid1(VALU_DEP_4)
	v_fma_f64 v[4:5], v[4:5], v[18:19], v[12:13]
	v_fma_f64 v[2:3], v[2:3], v[18:19], -v[20:21]
	s_delay_alu instid0(VALU_DEP_4) | instskip(NEXT) | instid1(VALU_DEP_4)
	v_add_f64_e32 v[6:7], v[6:7], v[14:15]
	v_add_f64_e32 v[8:9], v[8:9], v[24:25]
	s_delay_alu instid0(VALU_DEP_2) | instskip(NEXT) | instid1(VALU_DEP_2)
	v_add_f64_e32 v[2:3], v[6:7], v[2:3]
	v_add_f64_e32 v[4:5], v[8:9], v[4:5]
	s_delay_alu instid0(VALU_DEP_2) | instskip(NEXT) | instid1(VALU_DEP_2)
	v_add_f64_e64 v[2:3], v[42:43], -v[2:3]
	v_add_f64_e64 v[4:5], v[44:45], -v[4:5]
	scratch_store_b128 off, v[2:5], off offset:304
	v_cmpx_lt_u32_e32 17, v0
	s_cbranch_execz .LBB107_243
; %bb.242:
	scratch_load_b128 v[5:8], off, s40
	v_dual_mov_b32 v2, v1 :: v_dual_mov_b32 v3, v1
	v_mov_b32_e32 v4, v1
	scratch_store_b128 off, v[1:4], off offset:288
	s_wait_loadcnt 0x0
	ds_store_b128 v134, v[5:8]
.LBB107_243:
	s_wait_alu 0xfffe
	s_or_b32 exec_lo, exec_lo, s0
	s_wait_storecnt_dscnt 0x0
	s_barrier_signal -1
	s_barrier_wait -1
	global_inv scope:SCOPE_SE
	s_clause 0x8
	scratch_load_b128 v[2:5], off, off offset:304
	scratch_load_b128 v[6:9], off, off offset:320
	;; [unrolled: 1-line block ×9, first 2 shown]
	ds_load_b128 v[38:41], v1 offset:992
	ds_load_b128 v[42:45], v1 offset:1008
	s_clause 0x1
	scratch_load_b128 v[135:138], off, off offset:288
	scratch_load_b128 v[139:142], off, off offset:448
	s_mov_b32 s0, exec_lo
	s_wait_loadcnt_dscnt 0xa01
	v_mul_f64_e32 v[143:144], v[40:41], v[4:5]
	v_mul_f64_e32 v[4:5], v[38:39], v[4:5]
	s_wait_loadcnt_dscnt 0x900
	v_mul_f64_e32 v[147:148], v[42:43], v[8:9]
	v_mul_f64_e32 v[8:9], v[44:45], v[8:9]
	s_delay_alu instid0(VALU_DEP_4) | instskip(NEXT) | instid1(VALU_DEP_4)
	v_fma_f64 v[149:150], v[38:39], v[2:3], -v[143:144]
	v_fma_f64 v[151:152], v[40:41], v[2:3], v[4:5]
	ds_load_b128 v[2:5], v1 offset:1024
	ds_load_b128 v[143:146], v1 offset:1040
	scratch_load_b128 v[38:41], off, off offset:464
	v_fma_f64 v[44:45], v[44:45], v[6:7], v[147:148]
	v_fma_f64 v[42:43], v[42:43], v[6:7], -v[8:9]
	scratch_load_b128 v[6:9], off, off offset:480
	s_wait_loadcnt_dscnt 0xa01
	v_mul_f64_e32 v[153:154], v[2:3], v[12:13]
	v_mul_f64_e32 v[12:13], v[4:5], v[12:13]
	v_add_f64_e32 v[147:148], 0, v[149:150]
	v_add_f64_e32 v[149:150], 0, v[151:152]
	s_wait_loadcnt_dscnt 0x900
	v_mul_f64_e32 v[151:152], v[143:144], v[16:17]
	v_mul_f64_e32 v[16:17], v[145:146], v[16:17]
	v_fma_f64 v[153:154], v[4:5], v[10:11], v[153:154]
	v_fma_f64 v[155:156], v[2:3], v[10:11], -v[12:13]
	ds_load_b128 v[2:5], v1 offset:1056
	scratch_load_b128 v[10:13], off, off offset:496
	v_add_f64_e32 v[147:148], v[147:148], v[42:43]
	v_add_f64_e32 v[149:150], v[149:150], v[44:45]
	ds_load_b128 v[42:45], v1 offset:1072
	v_fma_f64 v[145:146], v[145:146], v[14:15], v[151:152]
	v_fma_f64 v[143:144], v[143:144], v[14:15], -v[16:17]
	scratch_load_b128 v[14:17], off, off offset:512
	s_wait_loadcnt_dscnt 0xa01
	v_mul_f64_e32 v[157:158], v[2:3], v[20:21]
	v_mul_f64_e32 v[20:21], v[4:5], v[20:21]
	s_wait_loadcnt_dscnt 0x900
	v_mul_f64_e32 v[151:152], v[42:43], v[24:25]
	v_mul_f64_e32 v[24:25], v[44:45], v[24:25]
	v_add_f64_e32 v[147:148], v[147:148], v[155:156]
	v_add_f64_e32 v[149:150], v[149:150], v[153:154]
	v_fma_f64 v[153:154], v[4:5], v[18:19], v[157:158]
	v_fma_f64 v[155:156], v[2:3], v[18:19], -v[20:21]
	ds_load_b128 v[2:5], v1 offset:1088
	scratch_load_b128 v[18:21], off, off offset:528
	v_fma_f64 v[44:45], v[44:45], v[22:23], v[151:152]
	v_fma_f64 v[42:43], v[42:43], v[22:23], -v[24:25]
	scratch_load_b128 v[22:25], off, off offset:544
	v_add_f64_e32 v[147:148], v[147:148], v[143:144]
	v_add_f64_e32 v[149:150], v[149:150], v[145:146]
	ds_load_b128 v[143:146], v1 offset:1104
	s_wait_loadcnt_dscnt 0xa01
	v_mul_f64_e32 v[157:158], v[2:3], v[28:29]
	v_mul_f64_e32 v[28:29], v[4:5], v[28:29]
	s_wait_loadcnt_dscnt 0x900
	v_mul_f64_e32 v[151:152], v[143:144], v[32:33]
	v_mul_f64_e32 v[32:33], v[145:146], v[32:33]
	v_add_f64_e32 v[147:148], v[147:148], v[155:156]
	v_add_f64_e32 v[149:150], v[149:150], v[153:154]
	v_fma_f64 v[153:154], v[4:5], v[26:27], v[157:158]
	v_fma_f64 v[155:156], v[2:3], v[26:27], -v[28:29]
	ds_load_b128 v[2:5], v1 offset:1120
	scratch_load_b128 v[26:29], off, off offset:560
	v_fma_f64 v[145:146], v[145:146], v[30:31], v[151:152]
	v_fma_f64 v[143:144], v[143:144], v[30:31], -v[32:33]
	scratch_load_b128 v[30:33], off, off offset:576
	v_add_f64_e32 v[147:148], v[147:148], v[42:43]
	v_add_f64_e32 v[149:150], v[149:150], v[44:45]
	ds_load_b128 v[42:45], v1 offset:1136
	s_wait_loadcnt_dscnt 0xa01
	v_mul_f64_e32 v[157:158], v[2:3], v[36:37]
	v_mul_f64_e32 v[36:37], v[4:5], v[36:37]
	s_wait_loadcnt_dscnt 0x800
	v_mul_f64_e32 v[151:152], v[42:43], v[141:142]
	v_add_f64_e32 v[147:148], v[147:148], v[155:156]
	v_add_f64_e32 v[149:150], v[149:150], v[153:154]
	v_mul_f64_e32 v[153:154], v[44:45], v[141:142]
	v_fma_f64 v[155:156], v[4:5], v[34:35], v[157:158]
	v_fma_f64 v[157:158], v[2:3], v[34:35], -v[36:37]
	ds_load_b128 v[2:5], v1 offset:1152
	scratch_load_b128 v[34:37], off, off offset:592
	v_fma_f64 v[44:45], v[44:45], v[139:140], v[151:152]
	v_add_f64_e32 v[147:148], v[147:148], v[143:144]
	v_add_f64_e32 v[145:146], v[149:150], v[145:146]
	ds_load_b128 v[141:144], v1 offset:1168
	v_fma_f64 v[139:140], v[42:43], v[139:140], -v[153:154]
	s_wait_loadcnt_dscnt 0x801
	v_mul_f64_e32 v[149:150], v[2:3], v[40:41]
	v_mul_f64_e32 v[159:160], v[4:5], v[40:41]
	scratch_load_b128 v[40:43], off, off offset:608
	s_wait_loadcnt_dscnt 0x800
	v_mul_f64_e32 v[153:154], v[141:142], v[8:9]
	v_mul_f64_e32 v[8:9], v[143:144], v[8:9]
	v_add_f64_e32 v[147:148], v[147:148], v[157:158]
	v_add_f64_e32 v[145:146], v[145:146], v[155:156]
	v_fma_f64 v[155:156], v[4:5], v[38:39], v[149:150]
	v_fma_f64 v[38:39], v[2:3], v[38:39], -v[159:160]
	ds_load_b128 v[2:5], v1 offset:1184
	ds_load_b128 v[149:152], v1 offset:1200
	v_fma_f64 v[143:144], v[143:144], v[6:7], v[153:154]
	v_fma_f64 v[141:142], v[141:142], v[6:7], -v[8:9]
	scratch_load_b128 v[6:9], off, off offset:640
	v_add_f64_e32 v[139:140], v[147:148], v[139:140]
	v_add_f64_e32 v[44:45], v[145:146], v[44:45]
	scratch_load_b128 v[145:148], off, off offset:624
	s_wait_loadcnt_dscnt 0x901
	v_mul_f64_e32 v[157:158], v[2:3], v[12:13]
	v_mul_f64_e32 v[12:13], v[4:5], v[12:13]
	s_wait_loadcnt_dscnt 0x800
	v_mul_f64_e32 v[153:154], v[149:150], v[16:17]
	v_mul_f64_e32 v[16:17], v[151:152], v[16:17]
	v_add_f64_e32 v[38:39], v[139:140], v[38:39]
	v_add_f64_e32 v[44:45], v[44:45], v[155:156]
	v_fma_f64 v[155:156], v[4:5], v[10:11], v[157:158]
	v_fma_f64 v[157:158], v[2:3], v[10:11], -v[12:13]
	ds_load_b128 v[2:5], v1 offset:1216
	scratch_load_b128 v[10:13], off, off offset:656
	v_fma_f64 v[151:152], v[151:152], v[14:15], v[153:154]
	v_fma_f64 v[149:150], v[149:150], v[14:15], -v[16:17]
	scratch_load_b128 v[14:17], off, off offset:672
	v_add_f64_e32 v[38:39], v[38:39], v[141:142]
	v_add_f64_e32 v[44:45], v[44:45], v[143:144]
	ds_load_b128 v[139:142], v1 offset:1232
	s_wait_loadcnt_dscnt 0x901
	v_mul_f64_e32 v[143:144], v[2:3], v[20:21]
	v_mul_f64_e32 v[20:21], v[4:5], v[20:21]
	s_wait_loadcnt_dscnt 0x800
	v_mul_f64_e32 v[153:154], v[139:140], v[24:25]
	v_mul_f64_e32 v[24:25], v[141:142], v[24:25]
	v_add_f64_e32 v[38:39], v[38:39], v[157:158]
	v_add_f64_e32 v[44:45], v[44:45], v[155:156]
	v_fma_f64 v[143:144], v[4:5], v[18:19], v[143:144]
	v_fma_f64 v[155:156], v[2:3], v[18:19], -v[20:21]
	ds_load_b128 v[2:5], v1 offset:1248
	scratch_load_b128 v[18:21], off, off offset:688
	v_fma_f64 v[141:142], v[141:142], v[22:23], v[153:154]
	v_fma_f64 v[139:140], v[139:140], v[22:23], -v[24:25]
	scratch_load_b128 v[22:25], off, off offset:704
	v_add_f64_e32 v[38:39], v[38:39], v[149:150]
	v_add_f64_e32 v[44:45], v[44:45], v[151:152]
	ds_load_b128 v[149:152], v1 offset:1264
	s_wait_loadcnt_dscnt 0x901
	v_mul_f64_e32 v[157:158], v[2:3], v[28:29]
	v_mul_f64_e32 v[28:29], v[4:5], v[28:29]
	v_add_f64_e32 v[38:39], v[38:39], v[155:156]
	v_add_f64_e32 v[44:45], v[44:45], v[143:144]
	s_wait_loadcnt_dscnt 0x800
	v_mul_f64_e32 v[143:144], v[149:150], v[32:33]
	v_mul_f64_e32 v[32:33], v[151:152], v[32:33]
	v_fma_f64 v[153:154], v[4:5], v[26:27], v[157:158]
	v_fma_f64 v[155:156], v[2:3], v[26:27], -v[28:29]
	ds_load_b128 v[2:5], v1 offset:1280
	ds_load_b128 v[26:29], v1 offset:1296
	v_add_f64_e32 v[38:39], v[38:39], v[139:140]
	v_add_f64_e32 v[44:45], v[44:45], v[141:142]
	s_wait_loadcnt_dscnt 0x701
	v_mul_f64_e32 v[139:140], v[2:3], v[36:37]
	v_mul_f64_e32 v[36:37], v[4:5], v[36:37]
	v_fma_f64 v[141:142], v[151:152], v[30:31], v[143:144]
	v_fma_f64 v[30:31], v[149:150], v[30:31], -v[32:33]
	v_add_f64_e32 v[32:33], v[38:39], v[155:156]
	v_add_f64_e32 v[38:39], v[44:45], v[153:154]
	s_wait_loadcnt_dscnt 0x600
	v_mul_f64_e32 v[44:45], v[26:27], v[42:43]
	v_mul_f64_e32 v[42:43], v[28:29], v[42:43]
	v_fma_f64 v[139:140], v[4:5], v[34:35], v[139:140]
	v_fma_f64 v[34:35], v[2:3], v[34:35], -v[36:37]
	v_add_f64_e32 v[36:37], v[32:33], v[30:31]
	v_add_f64_e32 v[38:39], v[38:39], v[141:142]
	ds_load_b128 v[2:5], v1 offset:1312
	ds_load_b128 v[30:33], v1 offset:1328
	v_fma_f64 v[28:29], v[28:29], v[40:41], v[44:45]
	v_fma_f64 v[26:27], v[26:27], v[40:41], -v[42:43]
	s_wait_loadcnt_dscnt 0x401
	v_mul_f64_e32 v[141:142], v[2:3], v[147:148]
	v_mul_f64_e32 v[143:144], v[4:5], v[147:148]
	v_add_f64_e32 v[34:35], v[36:37], v[34:35]
	v_add_f64_e32 v[36:37], v[38:39], v[139:140]
	s_wait_dscnt 0x0
	v_mul_f64_e32 v[38:39], v[30:31], v[8:9]
	v_mul_f64_e32 v[8:9], v[32:33], v[8:9]
	v_fma_f64 v[40:41], v[4:5], v[145:146], v[141:142]
	v_fma_f64 v[42:43], v[2:3], v[145:146], -v[143:144]
	v_add_f64_e32 v[34:35], v[34:35], v[26:27]
	v_add_f64_e32 v[36:37], v[36:37], v[28:29]
	ds_load_b128 v[2:5], v1 offset:1344
	ds_load_b128 v[26:29], v1 offset:1360
	v_fma_f64 v[32:33], v[32:33], v[6:7], v[38:39]
	v_fma_f64 v[6:7], v[30:31], v[6:7], -v[8:9]
	s_wait_loadcnt_dscnt 0x301
	v_mul_f64_e32 v[44:45], v[2:3], v[12:13]
	v_mul_f64_e32 v[12:13], v[4:5], v[12:13]
	v_add_f64_e32 v[8:9], v[34:35], v[42:43]
	v_add_f64_e32 v[30:31], v[36:37], v[40:41]
	s_wait_loadcnt_dscnt 0x200
	v_mul_f64_e32 v[34:35], v[26:27], v[16:17]
	v_mul_f64_e32 v[16:17], v[28:29], v[16:17]
	v_fma_f64 v[36:37], v[4:5], v[10:11], v[44:45]
	v_fma_f64 v[10:11], v[2:3], v[10:11], -v[12:13]
	v_add_f64_e32 v[12:13], v[8:9], v[6:7]
	v_add_f64_e32 v[30:31], v[30:31], v[32:33]
	ds_load_b128 v[2:5], v1 offset:1376
	ds_load_b128 v[6:9], v1 offset:1392
	v_fma_f64 v[28:29], v[28:29], v[14:15], v[34:35]
	v_fma_f64 v[14:15], v[26:27], v[14:15], -v[16:17]
	s_wait_loadcnt_dscnt 0x101
	v_mul_f64_e32 v[32:33], v[2:3], v[20:21]
	v_mul_f64_e32 v[20:21], v[4:5], v[20:21]
	s_wait_loadcnt_dscnt 0x0
	v_mul_f64_e32 v[16:17], v[6:7], v[24:25]
	v_mul_f64_e32 v[24:25], v[8:9], v[24:25]
	v_add_f64_e32 v[10:11], v[12:13], v[10:11]
	v_add_f64_e32 v[12:13], v[30:31], v[36:37]
	v_fma_f64 v[4:5], v[4:5], v[18:19], v[32:33]
	v_fma_f64 v[1:2], v[2:3], v[18:19], -v[20:21]
	v_fma_f64 v[8:9], v[8:9], v[22:23], v[16:17]
	v_fma_f64 v[6:7], v[6:7], v[22:23], -v[24:25]
	v_add_f64_e32 v[10:11], v[10:11], v[14:15]
	v_add_f64_e32 v[12:13], v[12:13], v[28:29]
	s_delay_alu instid0(VALU_DEP_2) | instskip(NEXT) | instid1(VALU_DEP_2)
	v_add_f64_e32 v[1:2], v[10:11], v[1:2]
	v_add_f64_e32 v[3:4], v[12:13], v[4:5]
	s_delay_alu instid0(VALU_DEP_2) | instskip(NEXT) | instid1(VALU_DEP_2)
	;; [unrolled: 3-line block ×3, first 2 shown]
	v_add_f64_e64 v[1:2], v[135:136], -v[1:2]
	v_add_f64_e64 v[3:4], v[137:138], -v[3:4]
	scratch_store_b128 off, v[1:4], off offset:288
	v_cmpx_lt_u32_e32 16, v0
	s_cbranch_execz .LBB107_245
; %bb.244:
	scratch_load_b128 v[1:4], off, s41
	v_mov_b32_e32 v5, 0
	s_delay_alu instid0(VALU_DEP_1)
	v_dual_mov_b32 v6, v5 :: v_dual_mov_b32 v7, v5
	v_mov_b32_e32 v8, v5
	scratch_store_b128 off, v[5:8], off offset:272
	s_wait_loadcnt 0x0
	ds_store_b128 v134, v[1:4]
.LBB107_245:
	s_wait_alu 0xfffe
	s_or_b32 exec_lo, exec_lo, s0
	s_wait_storecnt_dscnt 0x0
	s_barrier_signal -1
	s_barrier_wait -1
	global_inv scope:SCOPE_SE
	s_clause 0x7
	scratch_load_b128 v[2:5], off, off offset:288
	scratch_load_b128 v[6:9], off, off offset:304
	;; [unrolled: 1-line block ×8, first 2 shown]
	v_mov_b32_e32 v1, 0
	s_mov_b32 s0, exec_lo
	ds_load_b128 v[34:37], v1 offset:976
	s_clause 0x1
	scratch_load_b128 v[38:41], off, off offset:416
	scratch_load_b128 v[42:45], off, off offset:272
	ds_load_b128 v[135:138], v1 offset:992
	scratch_load_b128 v[139:142], off, off offset:432
	s_wait_loadcnt_dscnt 0xa01
	v_mul_f64_e32 v[143:144], v[36:37], v[4:5]
	v_mul_f64_e32 v[4:5], v[34:35], v[4:5]
	s_delay_alu instid0(VALU_DEP_2) | instskip(NEXT) | instid1(VALU_DEP_2)
	v_fma_f64 v[149:150], v[34:35], v[2:3], -v[143:144]
	v_fma_f64 v[151:152], v[36:37], v[2:3], v[4:5]
	ds_load_b128 v[2:5], v1 offset:1008
	s_wait_loadcnt_dscnt 0x901
	v_mul_f64_e32 v[147:148], v[135:136], v[8:9]
	v_mul_f64_e32 v[8:9], v[137:138], v[8:9]
	scratch_load_b128 v[34:37], off, off offset:448
	ds_load_b128 v[143:146], v1 offset:1024
	s_wait_loadcnt_dscnt 0x901
	v_mul_f64_e32 v[153:154], v[2:3], v[12:13]
	v_mul_f64_e32 v[12:13], v[4:5], v[12:13]
	v_fma_f64 v[137:138], v[137:138], v[6:7], v[147:148]
	v_fma_f64 v[135:136], v[135:136], v[6:7], -v[8:9]
	v_add_f64_e32 v[147:148], 0, v[149:150]
	v_add_f64_e32 v[149:150], 0, v[151:152]
	scratch_load_b128 v[6:9], off, off offset:464
	v_fma_f64 v[153:154], v[4:5], v[10:11], v[153:154]
	v_fma_f64 v[155:156], v[2:3], v[10:11], -v[12:13]
	ds_load_b128 v[2:5], v1 offset:1040
	s_wait_loadcnt_dscnt 0x901
	v_mul_f64_e32 v[151:152], v[143:144], v[16:17]
	v_mul_f64_e32 v[16:17], v[145:146], v[16:17]
	scratch_load_b128 v[10:13], off, off offset:480
	v_add_f64_e32 v[147:148], v[147:148], v[135:136]
	v_add_f64_e32 v[149:150], v[149:150], v[137:138]
	s_wait_loadcnt_dscnt 0x900
	v_mul_f64_e32 v[157:158], v[2:3], v[20:21]
	v_mul_f64_e32 v[20:21], v[4:5], v[20:21]
	ds_load_b128 v[135:138], v1 offset:1056
	v_fma_f64 v[145:146], v[145:146], v[14:15], v[151:152]
	v_fma_f64 v[143:144], v[143:144], v[14:15], -v[16:17]
	scratch_load_b128 v[14:17], off, off offset:496
	v_add_f64_e32 v[147:148], v[147:148], v[155:156]
	v_add_f64_e32 v[149:150], v[149:150], v[153:154]
	v_fma_f64 v[153:154], v[4:5], v[18:19], v[157:158]
	v_fma_f64 v[155:156], v[2:3], v[18:19], -v[20:21]
	ds_load_b128 v[2:5], v1 offset:1072
	s_wait_loadcnt_dscnt 0x901
	v_mul_f64_e32 v[151:152], v[135:136], v[24:25]
	v_mul_f64_e32 v[24:25], v[137:138], v[24:25]
	scratch_load_b128 v[18:21], off, off offset:512
	s_wait_loadcnt_dscnt 0x900
	v_mul_f64_e32 v[157:158], v[2:3], v[28:29]
	v_mul_f64_e32 v[28:29], v[4:5], v[28:29]
	v_add_f64_e32 v[147:148], v[147:148], v[143:144]
	v_add_f64_e32 v[149:150], v[149:150], v[145:146]
	ds_load_b128 v[143:146], v1 offset:1088
	v_fma_f64 v[137:138], v[137:138], v[22:23], v[151:152]
	v_fma_f64 v[135:136], v[135:136], v[22:23], -v[24:25]
	scratch_load_b128 v[22:25], off, off offset:528
	v_add_f64_e32 v[147:148], v[147:148], v[155:156]
	v_add_f64_e32 v[149:150], v[149:150], v[153:154]
	v_fma_f64 v[153:154], v[4:5], v[26:27], v[157:158]
	v_fma_f64 v[155:156], v[2:3], v[26:27], -v[28:29]
	ds_load_b128 v[2:5], v1 offset:1104
	s_wait_loadcnt_dscnt 0x901
	v_mul_f64_e32 v[151:152], v[143:144], v[32:33]
	v_mul_f64_e32 v[32:33], v[145:146], v[32:33]
	scratch_load_b128 v[26:29], off, off offset:544
	s_wait_loadcnt_dscnt 0x900
	v_mul_f64_e32 v[157:158], v[2:3], v[40:41]
	v_mul_f64_e32 v[40:41], v[4:5], v[40:41]
	v_add_f64_e32 v[147:148], v[147:148], v[135:136]
	v_add_f64_e32 v[149:150], v[149:150], v[137:138]
	ds_load_b128 v[135:138], v1 offset:1120
	v_fma_f64 v[145:146], v[145:146], v[30:31], v[151:152]
	v_fma_f64 v[143:144], v[143:144], v[30:31], -v[32:33]
	scratch_load_b128 v[30:33], off, off offset:560
	v_add_f64_e32 v[147:148], v[147:148], v[155:156]
	v_add_f64_e32 v[149:150], v[149:150], v[153:154]
	v_fma_f64 v[155:156], v[4:5], v[38:39], v[157:158]
	v_fma_f64 v[157:158], v[2:3], v[38:39], -v[40:41]
	ds_load_b128 v[2:5], v1 offset:1136
	s_wait_loadcnt_dscnt 0x801
	v_mul_f64_e32 v[151:152], v[135:136], v[141:142]
	v_mul_f64_e32 v[153:154], v[137:138], v[141:142]
	scratch_load_b128 v[38:41], off, off offset:576
	v_add_f64_e32 v[147:148], v[147:148], v[143:144]
	v_add_f64_e32 v[145:146], v[149:150], v[145:146]
	ds_load_b128 v[141:144], v1 offset:1152
	v_fma_f64 v[151:152], v[137:138], v[139:140], v[151:152]
	v_fma_f64 v[139:140], v[135:136], v[139:140], -v[153:154]
	scratch_load_b128 v[135:138], off, off offset:592
	s_wait_loadcnt_dscnt 0x901
	v_mul_f64_e32 v[149:150], v[2:3], v[36:37]
	v_mul_f64_e32 v[36:37], v[4:5], v[36:37]
	v_add_f64_e32 v[147:148], v[147:148], v[157:158]
	v_add_f64_e32 v[145:146], v[145:146], v[155:156]
	s_delay_alu instid0(VALU_DEP_4) | instskip(NEXT) | instid1(VALU_DEP_4)
	v_fma_f64 v[149:150], v[4:5], v[34:35], v[149:150]
	v_fma_f64 v[155:156], v[2:3], v[34:35], -v[36:37]
	ds_load_b128 v[2:5], v1 offset:1168
	s_wait_loadcnt_dscnt 0x801
	v_mul_f64_e32 v[153:154], v[141:142], v[8:9]
	v_mul_f64_e32 v[8:9], v[143:144], v[8:9]
	scratch_load_b128 v[34:37], off, off offset:608
	s_wait_loadcnt_dscnt 0x800
	v_mul_f64_e32 v[157:158], v[2:3], v[12:13]
	v_add_f64_e32 v[139:140], v[147:148], v[139:140]
	v_add_f64_e32 v[151:152], v[145:146], v[151:152]
	v_mul_f64_e32 v[12:13], v[4:5], v[12:13]
	ds_load_b128 v[145:148], v1 offset:1184
	v_fma_f64 v[143:144], v[143:144], v[6:7], v[153:154]
	v_fma_f64 v[141:142], v[141:142], v[6:7], -v[8:9]
	scratch_load_b128 v[6:9], off, off offset:624
	v_fma_f64 v[153:154], v[4:5], v[10:11], v[157:158]
	v_add_f64_e32 v[139:140], v[139:140], v[155:156]
	v_add_f64_e32 v[149:150], v[151:152], v[149:150]
	v_fma_f64 v[155:156], v[2:3], v[10:11], -v[12:13]
	ds_load_b128 v[2:5], v1 offset:1200
	s_wait_loadcnt_dscnt 0x801
	v_mul_f64_e32 v[151:152], v[145:146], v[16:17]
	v_mul_f64_e32 v[16:17], v[147:148], v[16:17]
	scratch_load_b128 v[10:13], off, off offset:640
	v_add_f64_e32 v[157:158], v[139:140], v[141:142]
	v_add_f64_e32 v[143:144], v[149:150], v[143:144]
	s_wait_loadcnt_dscnt 0x800
	v_mul_f64_e32 v[149:150], v[2:3], v[20:21]
	v_mul_f64_e32 v[20:21], v[4:5], v[20:21]
	v_fma_f64 v[147:148], v[147:148], v[14:15], v[151:152]
	v_fma_f64 v[145:146], v[145:146], v[14:15], -v[16:17]
	ds_load_b128 v[139:142], v1 offset:1216
	scratch_load_b128 v[14:17], off, off offset:656
	v_add_f64_e32 v[151:152], v[157:158], v[155:156]
	v_add_f64_e32 v[143:144], v[143:144], v[153:154]
	v_fma_f64 v[149:150], v[4:5], v[18:19], v[149:150]
	v_fma_f64 v[155:156], v[2:3], v[18:19], -v[20:21]
	ds_load_b128 v[2:5], v1 offset:1232
	s_wait_loadcnt_dscnt 0x801
	v_mul_f64_e32 v[153:154], v[139:140], v[24:25]
	v_mul_f64_e32 v[24:25], v[141:142], v[24:25]
	scratch_load_b128 v[18:21], off, off offset:672
	s_wait_loadcnt_dscnt 0x800
	v_mul_f64_e32 v[157:158], v[2:3], v[28:29]
	v_mul_f64_e32 v[28:29], v[4:5], v[28:29]
	v_add_f64_e32 v[151:152], v[151:152], v[145:146]
	v_add_f64_e32 v[147:148], v[143:144], v[147:148]
	ds_load_b128 v[143:146], v1 offset:1248
	v_fma_f64 v[141:142], v[141:142], v[22:23], v[153:154]
	v_fma_f64 v[139:140], v[139:140], v[22:23], -v[24:25]
	scratch_load_b128 v[22:25], off, off offset:688
	v_fma_f64 v[153:154], v[4:5], v[26:27], v[157:158]
	v_add_f64_e32 v[151:152], v[151:152], v[155:156]
	v_add_f64_e32 v[147:148], v[147:148], v[149:150]
	v_fma_f64 v[155:156], v[2:3], v[26:27], -v[28:29]
	ds_load_b128 v[2:5], v1 offset:1264
	s_wait_loadcnt_dscnt 0x801
	v_mul_f64_e32 v[149:150], v[143:144], v[32:33]
	v_mul_f64_e32 v[32:33], v[145:146], v[32:33]
	scratch_load_b128 v[26:29], off, off offset:704
	s_wait_loadcnt_dscnt 0x800
	v_mul_f64_e32 v[157:158], v[2:3], v[40:41]
	v_mul_f64_e32 v[40:41], v[4:5], v[40:41]
	v_add_f64_e32 v[151:152], v[151:152], v[139:140]
	v_add_f64_e32 v[147:148], v[147:148], v[141:142]
	ds_load_b128 v[139:142], v1 offset:1280
	v_fma_f64 v[145:146], v[145:146], v[30:31], v[149:150]
	v_fma_f64 v[30:31], v[143:144], v[30:31], -v[32:33]
	v_fma_f64 v[149:150], v[4:5], v[38:39], v[157:158]
	v_fma_f64 v[38:39], v[2:3], v[38:39], -v[40:41]
	v_add_f64_e32 v[32:33], v[151:152], v[155:156]
	v_add_f64_e32 v[143:144], v[147:148], v[153:154]
	s_wait_loadcnt_dscnt 0x700
	v_mul_f64_e32 v[147:148], v[139:140], v[137:138]
	v_mul_f64_e32 v[137:138], v[141:142], v[137:138]
	s_delay_alu instid0(VALU_DEP_4) | instskip(NEXT) | instid1(VALU_DEP_4)
	v_add_f64_e32 v[40:41], v[32:33], v[30:31]
	v_add_f64_e32 v[143:144], v[143:144], v[145:146]
	ds_load_b128 v[2:5], v1 offset:1296
	ds_load_b128 v[30:33], v1 offset:1312
	v_fma_f64 v[141:142], v[141:142], v[135:136], v[147:148]
	v_fma_f64 v[135:136], v[139:140], v[135:136], -v[137:138]
	s_wait_loadcnt_dscnt 0x601
	v_mul_f64_e32 v[145:146], v[2:3], v[36:37]
	v_mul_f64_e32 v[36:37], v[4:5], v[36:37]
	s_wait_loadcnt_dscnt 0x500
	v_mul_f64_e32 v[137:138], v[30:31], v[8:9]
	v_mul_f64_e32 v[8:9], v[32:33], v[8:9]
	v_add_f64_e32 v[38:39], v[40:41], v[38:39]
	v_add_f64_e32 v[40:41], v[143:144], v[149:150]
	v_fma_f64 v[139:140], v[4:5], v[34:35], v[145:146]
	v_fma_f64 v[143:144], v[2:3], v[34:35], -v[36:37]
	ds_load_b128 v[2:5], v1 offset:1328
	ds_load_b128 v[34:37], v1 offset:1344
	v_fma_f64 v[32:33], v[32:33], v[6:7], v[137:138]
	v_fma_f64 v[6:7], v[30:31], v[6:7], -v[8:9]
	v_add_f64_e32 v[38:39], v[38:39], v[135:136]
	v_add_f64_e32 v[40:41], v[40:41], v[141:142]
	s_wait_loadcnt_dscnt 0x401
	v_mul_f64_e32 v[135:136], v[2:3], v[12:13]
	v_mul_f64_e32 v[12:13], v[4:5], v[12:13]
	s_delay_alu instid0(VALU_DEP_4) | instskip(NEXT) | instid1(VALU_DEP_4)
	v_add_f64_e32 v[8:9], v[38:39], v[143:144]
	v_add_f64_e32 v[30:31], v[40:41], v[139:140]
	s_wait_loadcnt_dscnt 0x300
	v_mul_f64_e32 v[38:39], v[34:35], v[16:17]
	v_mul_f64_e32 v[16:17], v[36:37], v[16:17]
	v_fma_f64 v[40:41], v[4:5], v[10:11], v[135:136]
	v_fma_f64 v[10:11], v[2:3], v[10:11], -v[12:13]
	v_add_f64_e32 v[12:13], v[8:9], v[6:7]
	v_add_f64_e32 v[30:31], v[30:31], v[32:33]
	ds_load_b128 v[2:5], v1 offset:1360
	ds_load_b128 v[6:9], v1 offset:1376
	v_fma_f64 v[36:37], v[36:37], v[14:15], v[38:39]
	v_fma_f64 v[14:15], v[34:35], v[14:15], -v[16:17]
	s_wait_loadcnt_dscnt 0x201
	v_mul_f64_e32 v[32:33], v[2:3], v[20:21]
	v_mul_f64_e32 v[20:21], v[4:5], v[20:21]
	s_wait_loadcnt_dscnt 0x100
	v_mul_f64_e32 v[16:17], v[6:7], v[24:25]
	v_mul_f64_e32 v[24:25], v[8:9], v[24:25]
	v_add_f64_e32 v[10:11], v[12:13], v[10:11]
	v_add_f64_e32 v[12:13], v[30:31], v[40:41]
	v_fma_f64 v[30:31], v[4:5], v[18:19], v[32:33]
	v_fma_f64 v[18:19], v[2:3], v[18:19], -v[20:21]
	ds_load_b128 v[2:5], v1 offset:1392
	v_fma_f64 v[8:9], v[8:9], v[22:23], v[16:17]
	v_fma_f64 v[6:7], v[6:7], v[22:23], -v[24:25]
	v_add_f64_e32 v[10:11], v[10:11], v[14:15]
	v_add_f64_e32 v[12:13], v[12:13], v[36:37]
	s_wait_loadcnt_dscnt 0x0
	v_mul_f64_e32 v[14:15], v[2:3], v[28:29]
	v_mul_f64_e32 v[20:21], v[4:5], v[28:29]
	s_delay_alu instid0(VALU_DEP_4) | instskip(NEXT) | instid1(VALU_DEP_4)
	v_add_f64_e32 v[10:11], v[10:11], v[18:19]
	v_add_f64_e32 v[12:13], v[12:13], v[30:31]
	s_delay_alu instid0(VALU_DEP_4) | instskip(NEXT) | instid1(VALU_DEP_4)
	v_fma_f64 v[4:5], v[4:5], v[26:27], v[14:15]
	v_fma_f64 v[2:3], v[2:3], v[26:27], -v[20:21]
	s_delay_alu instid0(VALU_DEP_4) | instskip(NEXT) | instid1(VALU_DEP_4)
	v_add_f64_e32 v[6:7], v[10:11], v[6:7]
	v_add_f64_e32 v[8:9], v[12:13], v[8:9]
	s_delay_alu instid0(VALU_DEP_2) | instskip(NEXT) | instid1(VALU_DEP_2)
	v_add_f64_e32 v[2:3], v[6:7], v[2:3]
	v_add_f64_e32 v[4:5], v[8:9], v[4:5]
	s_delay_alu instid0(VALU_DEP_2) | instskip(NEXT) | instid1(VALU_DEP_2)
	v_add_f64_e64 v[2:3], v[42:43], -v[2:3]
	v_add_f64_e64 v[4:5], v[44:45], -v[4:5]
	scratch_store_b128 off, v[2:5], off offset:272
	v_cmpx_lt_u32_e32 15, v0
	s_cbranch_execz .LBB107_247
; %bb.246:
	scratch_load_b128 v[5:8], off, s42
	v_dual_mov_b32 v2, v1 :: v_dual_mov_b32 v3, v1
	v_mov_b32_e32 v4, v1
	scratch_store_b128 off, v[1:4], off offset:256
	s_wait_loadcnt 0x0
	ds_store_b128 v134, v[5:8]
.LBB107_247:
	s_wait_alu 0xfffe
	s_or_b32 exec_lo, exec_lo, s0
	s_wait_storecnt_dscnt 0x0
	s_barrier_signal -1
	s_barrier_wait -1
	global_inv scope:SCOPE_SE
	s_clause 0x8
	scratch_load_b128 v[2:5], off, off offset:272
	scratch_load_b128 v[6:9], off, off offset:288
	;; [unrolled: 1-line block ×9, first 2 shown]
	ds_load_b128 v[38:41], v1 offset:960
	ds_load_b128 v[42:45], v1 offset:976
	s_clause 0x1
	scratch_load_b128 v[135:138], off, off offset:256
	scratch_load_b128 v[139:142], off, off offset:416
	s_mov_b32 s0, exec_lo
	s_wait_loadcnt_dscnt 0xa01
	v_mul_f64_e32 v[143:144], v[40:41], v[4:5]
	v_mul_f64_e32 v[4:5], v[38:39], v[4:5]
	s_wait_loadcnt_dscnt 0x900
	v_mul_f64_e32 v[147:148], v[42:43], v[8:9]
	v_mul_f64_e32 v[8:9], v[44:45], v[8:9]
	s_delay_alu instid0(VALU_DEP_4) | instskip(NEXT) | instid1(VALU_DEP_4)
	v_fma_f64 v[149:150], v[38:39], v[2:3], -v[143:144]
	v_fma_f64 v[151:152], v[40:41], v[2:3], v[4:5]
	ds_load_b128 v[2:5], v1 offset:992
	ds_load_b128 v[143:146], v1 offset:1008
	scratch_load_b128 v[38:41], off, off offset:432
	v_fma_f64 v[44:45], v[44:45], v[6:7], v[147:148]
	v_fma_f64 v[42:43], v[42:43], v[6:7], -v[8:9]
	scratch_load_b128 v[6:9], off, off offset:448
	s_wait_loadcnt_dscnt 0xa01
	v_mul_f64_e32 v[153:154], v[2:3], v[12:13]
	v_mul_f64_e32 v[12:13], v[4:5], v[12:13]
	v_add_f64_e32 v[147:148], 0, v[149:150]
	v_add_f64_e32 v[149:150], 0, v[151:152]
	s_wait_loadcnt_dscnt 0x900
	v_mul_f64_e32 v[151:152], v[143:144], v[16:17]
	v_mul_f64_e32 v[16:17], v[145:146], v[16:17]
	v_fma_f64 v[153:154], v[4:5], v[10:11], v[153:154]
	v_fma_f64 v[155:156], v[2:3], v[10:11], -v[12:13]
	ds_load_b128 v[2:5], v1 offset:1024
	scratch_load_b128 v[10:13], off, off offset:464
	v_add_f64_e32 v[147:148], v[147:148], v[42:43]
	v_add_f64_e32 v[149:150], v[149:150], v[44:45]
	ds_load_b128 v[42:45], v1 offset:1040
	v_fma_f64 v[145:146], v[145:146], v[14:15], v[151:152]
	v_fma_f64 v[143:144], v[143:144], v[14:15], -v[16:17]
	scratch_load_b128 v[14:17], off, off offset:480
	s_wait_loadcnt_dscnt 0xa01
	v_mul_f64_e32 v[157:158], v[2:3], v[20:21]
	v_mul_f64_e32 v[20:21], v[4:5], v[20:21]
	s_wait_loadcnt_dscnt 0x900
	v_mul_f64_e32 v[151:152], v[42:43], v[24:25]
	v_mul_f64_e32 v[24:25], v[44:45], v[24:25]
	v_add_f64_e32 v[147:148], v[147:148], v[155:156]
	v_add_f64_e32 v[149:150], v[149:150], v[153:154]
	v_fma_f64 v[153:154], v[4:5], v[18:19], v[157:158]
	v_fma_f64 v[155:156], v[2:3], v[18:19], -v[20:21]
	ds_load_b128 v[2:5], v1 offset:1056
	scratch_load_b128 v[18:21], off, off offset:496
	v_fma_f64 v[44:45], v[44:45], v[22:23], v[151:152]
	v_fma_f64 v[42:43], v[42:43], v[22:23], -v[24:25]
	scratch_load_b128 v[22:25], off, off offset:512
	v_add_f64_e32 v[147:148], v[147:148], v[143:144]
	v_add_f64_e32 v[149:150], v[149:150], v[145:146]
	ds_load_b128 v[143:146], v1 offset:1072
	s_wait_loadcnt_dscnt 0xa01
	v_mul_f64_e32 v[157:158], v[2:3], v[28:29]
	v_mul_f64_e32 v[28:29], v[4:5], v[28:29]
	s_wait_loadcnt_dscnt 0x900
	v_mul_f64_e32 v[151:152], v[143:144], v[32:33]
	v_mul_f64_e32 v[32:33], v[145:146], v[32:33]
	v_add_f64_e32 v[147:148], v[147:148], v[155:156]
	v_add_f64_e32 v[149:150], v[149:150], v[153:154]
	v_fma_f64 v[153:154], v[4:5], v[26:27], v[157:158]
	v_fma_f64 v[155:156], v[2:3], v[26:27], -v[28:29]
	ds_load_b128 v[2:5], v1 offset:1088
	scratch_load_b128 v[26:29], off, off offset:528
	v_fma_f64 v[145:146], v[145:146], v[30:31], v[151:152]
	v_fma_f64 v[143:144], v[143:144], v[30:31], -v[32:33]
	scratch_load_b128 v[30:33], off, off offset:544
	v_add_f64_e32 v[147:148], v[147:148], v[42:43]
	v_add_f64_e32 v[149:150], v[149:150], v[44:45]
	ds_load_b128 v[42:45], v1 offset:1104
	s_wait_loadcnt_dscnt 0xa01
	v_mul_f64_e32 v[157:158], v[2:3], v[36:37]
	v_mul_f64_e32 v[36:37], v[4:5], v[36:37]
	s_wait_loadcnt_dscnt 0x800
	v_mul_f64_e32 v[151:152], v[42:43], v[141:142]
	v_add_f64_e32 v[147:148], v[147:148], v[155:156]
	v_add_f64_e32 v[149:150], v[149:150], v[153:154]
	v_mul_f64_e32 v[153:154], v[44:45], v[141:142]
	v_fma_f64 v[155:156], v[4:5], v[34:35], v[157:158]
	v_fma_f64 v[157:158], v[2:3], v[34:35], -v[36:37]
	ds_load_b128 v[2:5], v1 offset:1120
	scratch_load_b128 v[34:37], off, off offset:560
	v_fma_f64 v[44:45], v[44:45], v[139:140], v[151:152]
	v_add_f64_e32 v[147:148], v[147:148], v[143:144]
	v_add_f64_e32 v[145:146], v[149:150], v[145:146]
	ds_load_b128 v[141:144], v1 offset:1136
	v_fma_f64 v[139:140], v[42:43], v[139:140], -v[153:154]
	s_wait_loadcnt_dscnt 0x801
	v_mul_f64_e32 v[149:150], v[2:3], v[40:41]
	v_mul_f64_e32 v[159:160], v[4:5], v[40:41]
	scratch_load_b128 v[40:43], off, off offset:576
	s_wait_loadcnt_dscnt 0x800
	v_mul_f64_e32 v[153:154], v[141:142], v[8:9]
	v_mul_f64_e32 v[8:9], v[143:144], v[8:9]
	v_add_f64_e32 v[147:148], v[147:148], v[157:158]
	v_add_f64_e32 v[145:146], v[145:146], v[155:156]
	v_fma_f64 v[155:156], v[4:5], v[38:39], v[149:150]
	v_fma_f64 v[38:39], v[2:3], v[38:39], -v[159:160]
	ds_load_b128 v[2:5], v1 offset:1152
	ds_load_b128 v[149:152], v1 offset:1168
	v_fma_f64 v[143:144], v[143:144], v[6:7], v[153:154]
	v_fma_f64 v[141:142], v[141:142], v[6:7], -v[8:9]
	scratch_load_b128 v[6:9], off, off offset:608
	v_add_f64_e32 v[139:140], v[147:148], v[139:140]
	v_add_f64_e32 v[44:45], v[145:146], v[44:45]
	scratch_load_b128 v[145:148], off, off offset:592
	s_wait_loadcnt_dscnt 0x901
	v_mul_f64_e32 v[157:158], v[2:3], v[12:13]
	v_mul_f64_e32 v[12:13], v[4:5], v[12:13]
	s_wait_loadcnt_dscnt 0x800
	v_mul_f64_e32 v[153:154], v[149:150], v[16:17]
	v_mul_f64_e32 v[16:17], v[151:152], v[16:17]
	v_add_f64_e32 v[38:39], v[139:140], v[38:39]
	v_add_f64_e32 v[44:45], v[44:45], v[155:156]
	v_fma_f64 v[155:156], v[4:5], v[10:11], v[157:158]
	v_fma_f64 v[157:158], v[2:3], v[10:11], -v[12:13]
	ds_load_b128 v[2:5], v1 offset:1184
	scratch_load_b128 v[10:13], off, off offset:624
	v_fma_f64 v[151:152], v[151:152], v[14:15], v[153:154]
	v_fma_f64 v[149:150], v[149:150], v[14:15], -v[16:17]
	scratch_load_b128 v[14:17], off, off offset:640
	v_add_f64_e32 v[38:39], v[38:39], v[141:142]
	v_add_f64_e32 v[44:45], v[44:45], v[143:144]
	ds_load_b128 v[139:142], v1 offset:1200
	s_wait_loadcnt_dscnt 0x901
	v_mul_f64_e32 v[143:144], v[2:3], v[20:21]
	v_mul_f64_e32 v[20:21], v[4:5], v[20:21]
	s_wait_loadcnt_dscnt 0x800
	v_mul_f64_e32 v[153:154], v[139:140], v[24:25]
	v_mul_f64_e32 v[24:25], v[141:142], v[24:25]
	v_add_f64_e32 v[38:39], v[38:39], v[157:158]
	v_add_f64_e32 v[44:45], v[44:45], v[155:156]
	v_fma_f64 v[143:144], v[4:5], v[18:19], v[143:144]
	v_fma_f64 v[155:156], v[2:3], v[18:19], -v[20:21]
	ds_load_b128 v[2:5], v1 offset:1216
	scratch_load_b128 v[18:21], off, off offset:656
	v_fma_f64 v[141:142], v[141:142], v[22:23], v[153:154]
	v_fma_f64 v[139:140], v[139:140], v[22:23], -v[24:25]
	scratch_load_b128 v[22:25], off, off offset:672
	v_add_f64_e32 v[38:39], v[38:39], v[149:150]
	v_add_f64_e32 v[44:45], v[44:45], v[151:152]
	ds_load_b128 v[149:152], v1 offset:1232
	s_wait_loadcnt_dscnt 0x901
	v_mul_f64_e32 v[157:158], v[2:3], v[28:29]
	v_mul_f64_e32 v[28:29], v[4:5], v[28:29]
	v_add_f64_e32 v[38:39], v[38:39], v[155:156]
	v_add_f64_e32 v[44:45], v[44:45], v[143:144]
	s_wait_loadcnt_dscnt 0x800
	v_mul_f64_e32 v[143:144], v[149:150], v[32:33]
	v_mul_f64_e32 v[32:33], v[151:152], v[32:33]
	v_fma_f64 v[153:154], v[4:5], v[26:27], v[157:158]
	v_fma_f64 v[155:156], v[2:3], v[26:27], -v[28:29]
	ds_load_b128 v[2:5], v1 offset:1248
	scratch_load_b128 v[26:29], off, off offset:688
	v_add_f64_e32 v[38:39], v[38:39], v[139:140]
	v_add_f64_e32 v[44:45], v[44:45], v[141:142]
	ds_load_b128 v[139:142], v1 offset:1264
	s_wait_loadcnt_dscnt 0x801
	v_mul_f64_e32 v[157:158], v[2:3], v[36:37]
	v_mul_f64_e32 v[36:37], v[4:5], v[36:37]
	v_fma_f64 v[143:144], v[151:152], v[30:31], v[143:144]
	v_fma_f64 v[149:150], v[149:150], v[30:31], -v[32:33]
	scratch_load_b128 v[30:33], off, off offset:704
	s_wait_loadcnt_dscnt 0x800
	v_mul_f64_e32 v[151:152], v[139:140], v[42:43]
	v_add_f64_e32 v[38:39], v[38:39], v[155:156]
	v_add_f64_e32 v[44:45], v[44:45], v[153:154]
	v_mul_f64_e32 v[42:43], v[141:142], v[42:43]
	v_fma_f64 v[153:154], v[4:5], v[34:35], v[157:158]
	v_fma_f64 v[155:156], v[2:3], v[34:35], -v[36:37]
	ds_load_b128 v[2:5], v1 offset:1280
	ds_load_b128 v[34:37], v1 offset:1296
	v_fma_f64 v[141:142], v[141:142], v[40:41], v[151:152]
	v_add_f64_e32 v[38:39], v[38:39], v[149:150]
	v_add_f64_e32 v[44:45], v[44:45], v[143:144]
	v_fma_f64 v[40:41], v[139:140], v[40:41], -v[42:43]
	s_wait_loadcnt_dscnt 0x601
	v_mul_f64_e32 v[143:144], v[2:3], v[147:148]
	v_mul_f64_e32 v[147:148], v[4:5], v[147:148]
	v_add_f64_e32 v[38:39], v[38:39], v[155:156]
	v_add_f64_e32 v[42:43], v[44:45], v[153:154]
	s_wait_dscnt 0x0
	v_mul_f64_e32 v[44:45], v[34:35], v[8:9]
	v_mul_f64_e32 v[8:9], v[36:37], v[8:9]
	v_fma_f64 v[139:140], v[4:5], v[145:146], v[143:144]
	v_fma_f64 v[143:144], v[2:3], v[145:146], -v[147:148]
	v_add_f64_e32 v[145:146], v[38:39], v[40:41]
	v_add_f64_e32 v[42:43], v[42:43], v[141:142]
	ds_load_b128 v[2:5], v1 offset:1312
	ds_load_b128 v[38:41], v1 offset:1328
	v_fma_f64 v[36:37], v[36:37], v[6:7], v[44:45]
	v_fma_f64 v[6:7], v[34:35], v[6:7], -v[8:9]
	s_wait_loadcnt_dscnt 0x501
	v_mul_f64_e32 v[141:142], v[2:3], v[12:13]
	v_mul_f64_e32 v[12:13], v[4:5], v[12:13]
	v_add_f64_e32 v[8:9], v[145:146], v[143:144]
	v_add_f64_e32 v[34:35], v[42:43], v[139:140]
	s_wait_loadcnt_dscnt 0x400
	v_mul_f64_e32 v[42:43], v[38:39], v[16:17]
	v_mul_f64_e32 v[16:17], v[40:41], v[16:17]
	v_fma_f64 v[44:45], v[4:5], v[10:11], v[141:142]
	v_fma_f64 v[10:11], v[2:3], v[10:11], -v[12:13]
	v_add_f64_e32 v[12:13], v[8:9], v[6:7]
	v_add_f64_e32 v[34:35], v[34:35], v[36:37]
	ds_load_b128 v[2:5], v1 offset:1344
	ds_load_b128 v[6:9], v1 offset:1360
	v_fma_f64 v[40:41], v[40:41], v[14:15], v[42:43]
	v_fma_f64 v[14:15], v[38:39], v[14:15], -v[16:17]
	s_wait_loadcnt_dscnt 0x301
	v_mul_f64_e32 v[36:37], v[2:3], v[20:21]
	v_mul_f64_e32 v[20:21], v[4:5], v[20:21]
	s_wait_loadcnt_dscnt 0x200
	v_mul_f64_e32 v[16:17], v[6:7], v[24:25]
	v_mul_f64_e32 v[24:25], v[8:9], v[24:25]
	v_add_f64_e32 v[10:11], v[12:13], v[10:11]
	v_add_f64_e32 v[12:13], v[34:35], v[44:45]
	v_fma_f64 v[34:35], v[4:5], v[18:19], v[36:37]
	v_fma_f64 v[18:19], v[2:3], v[18:19], -v[20:21]
	v_fma_f64 v[8:9], v[8:9], v[22:23], v[16:17]
	v_fma_f64 v[6:7], v[6:7], v[22:23], -v[24:25]
	v_add_f64_e32 v[14:15], v[10:11], v[14:15]
	v_add_f64_e32 v[20:21], v[12:13], v[40:41]
	ds_load_b128 v[2:5], v1 offset:1376
	ds_load_b128 v[10:13], v1 offset:1392
	s_wait_loadcnt_dscnt 0x101
	v_mul_f64_e32 v[36:37], v[2:3], v[28:29]
	v_mul_f64_e32 v[28:29], v[4:5], v[28:29]
	v_add_f64_e32 v[14:15], v[14:15], v[18:19]
	v_add_f64_e32 v[16:17], v[20:21], v[34:35]
	s_wait_loadcnt_dscnt 0x0
	v_mul_f64_e32 v[18:19], v[10:11], v[32:33]
	v_mul_f64_e32 v[20:21], v[12:13], v[32:33]
	v_fma_f64 v[4:5], v[4:5], v[26:27], v[36:37]
	v_fma_f64 v[1:2], v[2:3], v[26:27], -v[28:29]
	v_add_f64_e32 v[6:7], v[14:15], v[6:7]
	v_add_f64_e32 v[8:9], v[16:17], v[8:9]
	v_fma_f64 v[12:13], v[12:13], v[30:31], v[18:19]
	v_fma_f64 v[10:11], v[10:11], v[30:31], -v[20:21]
	s_delay_alu instid0(VALU_DEP_4) | instskip(NEXT) | instid1(VALU_DEP_4)
	v_add_f64_e32 v[1:2], v[6:7], v[1:2]
	v_add_f64_e32 v[3:4], v[8:9], v[4:5]
	s_delay_alu instid0(VALU_DEP_2) | instskip(NEXT) | instid1(VALU_DEP_2)
	v_add_f64_e32 v[1:2], v[1:2], v[10:11]
	v_add_f64_e32 v[3:4], v[3:4], v[12:13]
	s_delay_alu instid0(VALU_DEP_2) | instskip(NEXT) | instid1(VALU_DEP_2)
	v_add_f64_e64 v[1:2], v[135:136], -v[1:2]
	v_add_f64_e64 v[3:4], v[137:138], -v[3:4]
	scratch_store_b128 off, v[1:4], off offset:256
	v_cmpx_lt_u32_e32 14, v0
	s_cbranch_execz .LBB107_249
; %bb.248:
	scratch_load_b128 v[1:4], off, s43
	v_mov_b32_e32 v5, 0
	s_delay_alu instid0(VALU_DEP_1)
	v_dual_mov_b32 v6, v5 :: v_dual_mov_b32 v7, v5
	v_mov_b32_e32 v8, v5
	scratch_store_b128 off, v[5:8], off offset:240
	s_wait_loadcnt 0x0
	ds_store_b128 v134, v[1:4]
.LBB107_249:
	s_wait_alu 0xfffe
	s_or_b32 exec_lo, exec_lo, s0
	s_wait_storecnt_dscnt 0x0
	s_barrier_signal -1
	s_barrier_wait -1
	global_inv scope:SCOPE_SE
	s_clause 0x7
	scratch_load_b128 v[2:5], off, off offset:256
	scratch_load_b128 v[6:9], off, off offset:272
	;; [unrolled: 1-line block ×8, first 2 shown]
	v_mov_b32_e32 v1, 0
	s_mov_b32 s0, exec_lo
	ds_load_b128 v[34:37], v1 offset:944
	s_clause 0x1
	scratch_load_b128 v[38:41], off, off offset:384
	scratch_load_b128 v[42:45], off, off offset:240
	ds_load_b128 v[135:138], v1 offset:960
	scratch_load_b128 v[139:142], off, off offset:400
	s_wait_loadcnt_dscnt 0xa01
	v_mul_f64_e32 v[143:144], v[36:37], v[4:5]
	v_mul_f64_e32 v[4:5], v[34:35], v[4:5]
	s_delay_alu instid0(VALU_DEP_2) | instskip(NEXT) | instid1(VALU_DEP_2)
	v_fma_f64 v[149:150], v[34:35], v[2:3], -v[143:144]
	v_fma_f64 v[151:152], v[36:37], v[2:3], v[4:5]
	ds_load_b128 v[2:5], v1 offset:976
	s_wait_loadcnt_dscnt 0x901
	v_mul_f64_e32 v[147:148], v[135:136], v[8:9]
	v_mul_f64_e32 v[8:9], v[137:138], v[8:9]
	scratch_load_b128 v[34:37], off, off offset:416
	ds_load_b128 v[143:146], v1 offset:992
	s_wait_loadcnt_dscnt 0x901
	v_mul_f64_e32 v[153:154], v[2:3], v[12:13]
	v_mul_f64_e32 v[12:13], v[4:5], v[12:13]
	v_fma_f64 v[137:138], v[137:138], v[6:7], v[147:148]
	v_fma_f64 v[135:136], v[135:136], v[6:7], -v[8:9]
	v_add_f64_e32 v[147:148], 0, v[149:150]
	v_add_f64_e32 v[149:150], 0, v[151:152]
	scratch_load_b128 v[6:9], off, off offset:432
	v_fma_f64 v[153:154], v[4:5], v[10:11], v[153:154]
	v_fma_f64 v[155:156], v[2:3], v[10:11], -v[12:13]
	ds_load_b128 v[2:5], v1 offset:1008
	s_wait_loadcnt_dscnt 0x901
	v_mul_f64_e32 v[151:152], v[143:144], v[16:17]
	v_mul_f64_e32 v[16:17], v[145:146], v[16:17]
	scratch_load_b128 v[10:13], off, off offset:448
	v_add_f64_e32 v[147:148], v[147:148], v[135:136]
	v_add_f64_e32 v[149:150], v[149:150], v[137:138]
	s_wait_loadcnt_dscnt 0x900
	v_mul_f64_e32 v[157:158], v[2:3], v[20:21]
	v_mul_f64_e32 v[20:21], v[4:5], v[20:21]
	ds_load_b128 v[135:138], v1 offset:1024
	v_fma_f64 v[145:146], v[145:146], v[14:15], v[151:152]
	v_fma_f64 v[143:144], v[143:144], v[14:15], -v[16:17]
	scratch_load_b128 v[14:17], off, off offset:464
	v_add_f64_e32 v[147:148], v[147:148], v[155:156]
	v_add_f64_e32 v[149:150], v[149:150], v[153:154]
	v_fma_f64 v[153:154], v[4:5], v[18:19], v[157:158]
	v_fma_f64 v[155:156], v[2:3], v[18:19], -v[20:21]
	ds_load_b128 v[2:5], v1 offset:1040
	s_wait_loadcnt_dscnt 0x901
	v_mul_f64_e32 v[151:152], v[135:136], v[24:25]
	v_mul_f64_e32 v[24:25], v[137:138], v[24:25]
	scratch_load_b128 v[18:21], off, off offset:480
	s_wait_loadcnt_dscnt 0x900
	v_mul_f64_e32 v[157:158], v[2:3], v[28:29]
	v_mul_f64_e32 v[28:29], v[4:5], v[28:29]
	v_add_f64_e32 v[147:148], v[147:148], v[143:144]
	v_add_f64_e32 v[149:150], v[149:150], v[145:146]
	ds_load_b128 v[143:146], v1 offset:1056
	v_fma_f64 v[137:138], v[137:138], v[22:23], v[151:152]
	v_fma_f64 v[135:136], v[135:136], v[22:23], -v[24:25]
	scratch_load_b128 v[22:25], off, off offset:496
	v_add_f64_e32 v[147:148], v[147:148], v[155:156]
	v_add_f64_e32 v[149:150], v[149:150], v[153:154]
	v_fma_f64 v[153:154], v[4:5], v[26:27], v[157:158]
	v_fma_f64 v[155:156], v[2:3], v[26:27], -v[28:29]
	ds_load_b128 v[2:5], v1 offset:1072
	s_wait_loadcnt_dscnt 0x901
	v_mul_f64_e32 v[151:152], v[143:144], v[32:33]
	v_mul_f64_e32 v[32:33], v[145:146], v[32:33]
	scratch_load_b128 v[26:29], off, off offset:512
	s_wait_loadcnt_dscnt 0x900
	v_mul_f64_e32 v[157:158], v[2:3], v[40:41]
	v_mul_f64_e32 v[40:41], v[4:5], v[40:41]
	v_add_f64_e32 v[147:148], v[147:148], v[135:136]
	v_add_f64_e32 v[149:150], v[149:150], v[137:138]
	ds_load_b128 v[135:138], v1 offset:1088
	v_fma_f64 v[145:146], v[145:146], v[30:31], v[151:152]
	v_fma_f64 v[143:144], v[143:144], v[30:31], -v[32:33]
	scratch_load_b128 v[30:33], off, off offset:528
	v_add_f64_e32 v[147:148], v[147:148], v[155:156]
	v_add_f64_e32 v[149:150], v[149:150], v[153:154]
	v_fma_f64 v[155:156], v[4:5], v[38:39], v[157:158]
	v_fma_f64 v[157:158], v[2:3], v[38:39], -v[40:41]
	ds_load_b128 v[2:5], v1 offset:1104
	s_wait_loadcnt_dscnt 0x801
	v_mul_f64_e32 v[151:152], v[135:136], v[141:142]
	v_mul_f64_e32 v[153:154], v[137:138], v[141:142]
	scratch_load_b128 v[38:41], off, off offset:544
	v_add_f64_e32 v[147:148], v[147:148], v[143:144]
	v_add_f64_e32 v[145:146], v[149:150], v[145:146]
	ds_load_b128 v[141:144], v1 offset:1120
	v_fma_f64 v[151:152], v[137:138], v[139:140], v[151:152]
	v_fma_f64 v[139:140], v[135:136], v[139:140], -v[153:154]
	scratch_load_b128 v[135:138], off, off offset:560
	s_wait_loadcnt_dscnt 0x901
	v_mul_f64_e32 v[149:150], v[2:3], v[36:37]
	v_mul_f64_e32 v[36:37], v[4:5], v[36:37]
	v_add_f64_e32 v[147:148], v[147:148], v[157:158]
	v_add_f64_e32 v[145:146], v[145:146], v[155:156]
	s_delay_alu instid0(VALU_DEP_4) | instskip(NEXT) | instid1(VALU_DEP_4)
	v_fma_f64 v[149:150], v[4:5], v[34:35], v[149:150]
	v_fma_f64 v[155:156], v[2:3], v[34:35], -v[36:37]
	ds_load_b128 v[2:5], v1 offset:1136
	s_wait_loadcnt_dscnt 0x801
	v_mul_f64_e32 v[153:154], v[141:142], v[8:9]
	v_mul_f64_e32 v[8:9], v[143:144], v[8:9]
	scratch_load_b128 v[34:37], off, off offset:576
	s_wait_loadcnt_dscnt 0x800
	v_mul_f64_e32 v[157:158], v[2:3], v[12:13]
	v_add_f64_e32 v[139:140], v[147:148], v[139:140]
	v_add_f64_e32 v[151:152], v[145:146], v[151:152]
	v_mul_f64_e32 v[12:13], v[4:5], v[12:13]
	ds_load_b128 v[145:148], v1 offset:1152
	v_fma_f64 v[143:144], v[143:144], v[6:7], v[153:154]
	v_fma_f64 v[141:142], v[141:142], v[6:7], -v[8:9]
	scratch_load_b128 v[6:9], off, off offset:592
	v_fma_f64 v[153:154], v[4:5], v[10:11], v[157:158]
	v_add_f64_e32 v[139:140], v[139:140], v[155:156]
	v_add_f64_e32 v[149:150], v[151:152], v[149:150]
	v_fma_f64 v[155:156], v[2:3], v[10:11], -v[12:13]
	ds_load_b128 v[2:5], v1 offset:1168
	s_wait_loadcnt_dscnt 0x801
	v_mul_f64_e32 v[151:152], v[145:146], v[16:17]
	v_mul_f64_e32 v[16:17], v[147:148], v[16:17]
	scratch_load_b128 v[10:13], off, off offset:608
	v_add_f64_e32 v[157:158], v[139:140], v[141:142]
	v_add_f64_e32 v[143:144], v[149:150], v[143:144]
	s_wait_loadcnt_dscnt 0x800
	v_mul_f64_e32 v[149:150], v[2:3], v[20:21]
	v_mul_f64_e32 v[20:21], v[4:5], v[20:21]
	v_fma_f64 v[147:148], v[147:148], v[14:15], v[151:152]
	v_fma_f64 v[145:146], v[145:146], v[14:15], -v[16:17]
	ds_load_b128 v[139:142], v1 offset:1184
	scratch_load_b128 v[14:17], off, off offset:624
	v_add_f64_e32 v[151:152], v[157:158], v[155:156]
	v_add_f64_e32 v[143:144], v[143:144], v[153:154]
	v_fma_f64 v[149:150], v[4:5], v[18:19], v[149:150]
	v_fma_f64 v[155:156], v[2:3], v[18:19], -v[20:21]
	ds_load_b128 v[2:5], v1 offset:1200
	s_wait_loadcnt_dscnt 0x801
	v_mul_f64_e32 v[153:154], v[139:140], v[24:25]
	v_mul_f64_e32 v[24:25], v[141:142], v[24:25]
	scratch_load_b128 v[18:21], off, off offset:640
	s_wait_loadcnt_dscnt 0x800
	v_mul_f64_e32 v[157:158], v[2:3], v[28:29]
	v_mul_f64_e32 v[28:29], v[4:5], v[28:29]
	v_add_f64_e32 v[151:152], v[151:152], v[145:146]
	v_add_f64_e32 v[147:148], v[143:144], v[147:148]
	ds_load_b128 v[143:146], v1 offset:1216
	v_fma_f64 v[141:142], v[141:142], v[22:23], v[153:154]
	v_fma_f64 v[139:140], v[139:140], v[22:23], -v[24:25]
	scratch_load_b128 v[22:25], off, off offset:656
	v_fma_f64 v[153:154], v[4:5], v[26:27], v[157:158]
	v_add_f64_e32 v[151:152], v[151:152], v[155:156]
	v_add_f64_e32 v[147:148], v[147:148], v[149:150]
	v_fma_f64 v[155:156], v[2:3], v[26:27], -v[28:29]
	ds_load_b128 v[2:5], v1 offset:1232
	s_wait_loadcnt_dscnt 0x801
	v_mul_f64_e32 v[149:150], v[143:144], v[32:33]
	v_mul_f64_e32 v[32:33], v[145:146], v[32:33]
	scratch_load_b128 v[26:29], off, off offset:672
	s_wait_loadcnt_dscnt 0x800
	v_mul_f64_e32 v[157:158], v[2:3], v[40:41]
	v_mul_f64_e32 v[40:41], v[4:5], v[40:41]
	v_add_f64_e32 v[151:152], v[151:152], v[139:140]
	v_add_f64_e32 v[147:148], v[147:148], v[141:142]
	ds_load_b128 v[139:142], v1 offset:1248
	v_fma_f64 v[145:146], v[145:146], v[30:31], v[149:150]
	v_fma_f64 v[143:144], v[143:144], v[30:31], -v[32:33]
	scratch_load_b128 v[30:33], off, off offset:688
	v_add_f64_e32 v[149:150], v[151:152], v[155:156]
	v_add_f64_e32 v[147:148], v[147:148], v[153:154]
	v_fma_f64 v[153:154], v[4:5], v[38:39], v[157:158]
	v_fma_f64 v[155:156], v[2:3], v[38:39], -v[40:41]
	ds_load_b128 v[2:5], v1 offset:1264
	s_wait_loadcnt_dscnt 0x801
	v_mul_f64_e32 v[151:152], v[139:140], v[137:138]
	v_mul_f64_e32 v[137:138], v[141:142], v[137:138]
	scratch_load_b128 v[38:41], off, off offset:704
	s_wait_loadcnt_dscnt 0x800
	v_mul_f64_e32 v[157:158], v[2:3], v[36:37]
	v_mul_f64_e32 v[36:37], v[4:5], v[36:37]
	v_add_f64_e32 v[149:150], v[149:150], v[143:144]
	v_add_f64_e32 v[147:148], v[147:148], v[145:146]
	ds_load_b128 v[143:146], v1 offset:1280
	v_fma_f64 v[141:142], v[141:142], v[135:136], v[151:152]
	v_fma_f64 v[135:136], v[139:140], v[135:136], -v[137:138]
	v_fma_f64 v[151:152], v[2:3], v[34:35], -v[36:37]
	v_add_f64_e32 v[137:138], v[149:150], v[155:156]
	v_add_f64_e32 v[139:140], v[147:148], v[153:154]
	s_wait_loadcnt_dscnt 0x700
	v_mul_f64_e32 v[147:148], v[143:144], v[8:9]
	v_mul_f64_e32 v[8:9], v[145:146], v[8:9]
	v_fma_f64 v[149:150], v[4:5], v[34:35], v[157:158]
	ds_load_b128 v[2:5], v1 offset:1296
	ds_load_b128 v[34:37], v1 offset:1312
	v_add_f64_e32 v[135:136], v[137:138], v[135:136]
	v_add_f64_e32 v[137:138], v[139:140], v[141:142]
	s_wait_loadcnt_dscnt 0x601
	v_mul_f64_e32 v[139:140], v[2:3], v[12:13]
	v_mul_f64_e32 v[12:13], v[4:5], v[12:13]
	v_fma_f64 v[141:142], v[145:146], v[6:7], v[147:148]
	v_fma_f64 v[6:7], v[143:144], v[6:7], -v[8:9]
	v_add_f64_e32 v[8:9], v[135:136], v[151:152]
	v_add_f64_e32 v[135:136], v[137:138], v[149:150]
	s_wait_loadcnt_dscnt 0x500
	v_mul_f64_e32 v[137:138], v[34:35], v[16:17]
	v_mul_f64_e32 v[16:17], v[36:37], v[16:17]
	v_fma_f64 v[139:140], v[4:5], v[10:11], v[139:140]
	v_fma_f64 v[10:11], v[2:3], v[10:11], -v[12:13]
	v_add_f64_e32 v[12:13], v[8:9], v[6:7]
	v_add_f64_e32 v[135:136], v[135:136], v[141:142]
	ds_load_b128 v[2:5], v1 offset:1328
	ds_load_b128 v[6:9], v1 offset:1344
	v_fma_f64 v[36:37], v[36:37], v[14:15], v[137:138]
	v_fma_f64 v[14:15], v[34:35], v[14:15], -v[16:17]
	s_wait_loadcnt_dscnt 0x401
	v_mul_f64_e32 v[141:142], v[2:3], v[20:21]
	v_mul_f64_e32 v[20:21], v[4:5], v[20:21]
	s_wait_loadcnt_dscnt 0x300
	v_mul_f64_e32 v[16:17], v[6:7], v[24:25]
	v_mul_f64_e32 v[24:25], v[8:9], v[24:25]
	v_add_f64_e32 v[10:11], v[12:13], v[10:11]
	v_add_f64_e32 v[12:13], v[135:136], v[139:140]
	v_fma_f64 v[34:35], v[4:5], v[18:19], v[141:142]
	v_fma_f64 v[18:19], v[2:3], v[18:19], -v[20:21]
	v_fma_f64 v[8:9], v[8:9], v[22:23], v[16:17]
	v_fma_f64 v[6:7], v[6:7], v[22:23], -v[24:25]
	v_add_f64_e32 v[14:15], v[10:11], v[14:15]
	v_add_f64_e32 v[20:21], v[12:13], v[36:37]
	ds_load_b128 v[2:5], v1 offset:1360
	ds_load_b128 v[10:13], v1 offset:1376
	s_wait_loadcnt_dscnt 0x201
	v_mul_f64_e32 v[36:37], v[2:3], v[28:29]
	v_mul_f64_e32 v[28:29], v[4:5], v[28:29]
	v_add_f64_e32 v[14:15], v[14:15], v[18:19]
	v_add_f64_e32 v[16:17], v[20:21], v[34:35]
	s_wait_loadcnt_dscnt 0x100
	v_mul_f64_e32 v[18:19], v[10:11], v[32:33]
	v_mul_f64_e32 v[20:21], v[12:13], v[32:33]
	v_fma_f64 v[22:23], v[4:5], v[26:27], v[36:37]
	v_fma_f64 v[24:25], v[2:3], v[26:27], -v[28:29]
	ds_load_b128 v[2:5], v1 offset:1392
	v_add_f64_e32 v[6:7], v[14:15], v[6:7]
	v_add_f64_e32 v[8:9], v[16:17], v[8:9]
	v_fma_f64 v[12:13], v[12:13], v[30:31], v[18:19]
	v_fma_f64 v[10:11], v[10:11], v[30:31], -v[20:21]
	s_wait_loadcnt_dscnt 0x0
	v_mul_f64_e32 v[14:15], v[2:3], v[40:41]
	v_mul_f64_e32 v[16:17], v[4:5], v[40:41]
	v_add_f64_e32 v[6:7], v[6:7], v[24:25]
	v_add_f64_e32 v[8:9], v[8:9], v[22:23]
	s_delay_alu instid0(VALU_DEP_4) | instskip(NEXT) | instid1(VALU_DEP_4)
	v_fma_f64 v[4:5], v[4:5], v[38:39], v[14:15]
	v_fma_f64 v[2:3], v[2:3], v[38:39], -v[16:17]
	s_delay_alu instid0(VALU_DEP_4) | instskip(NEXT) | instid1(VALU_DEP_4)
	v_add_f64_e32 v[6:7], v[6:7], v[10:11]
	v_add_f64_e32 v[8:9], v[8:9], v[12:13]
	s_delay_alu instid0(VALU_DEP_2) | instskip(NEXT) | instid1(VALU_DEP_2)
	v_add_f64_e32 v[2:3], v[6:7], v[2:3]
	v_add_f64_e32 v[4:5], v[8:9], v[4:5]
	s_delay_alu instid0(VALU_DEP_2) | instskip(NEXT) | instid1(VALU_DEP_2)
	v_add_f64_e64 v[2:3], v[42:43], -v[2:3]
	v_add_f64_e64 v[4:5], v[44:45], -v[4:5]
	scratch_store_b128 off, v[2:5], off offset:240
	v_cmpx_lt_u32_e32 13, v0
	s_cbranch_execz .LBB107_251
; %bb.250:
	scratch_load_b128 v[5:8], off, s44
	v_dual_mov_b32 v2, v1 :: v_dual_mov_b32 v3, v1
	v_mov_b32_e32 v4, v1
	scratch_store_b128 off, v[1:4], off offset:224
	s_wait_loadcnt 0x0
	ds_store_b128 v134, v[5:8]
.LBB107_251:
	s_wait_alu 0xfffe
	s_or_b32 exec_lo, exec_lo, s0
	s_wait_storecnt_dscnt 0x0
	s_barrier_signal -1
	s_barrier_wait -1
	global_inv scope:SCOPE_SE
	s_clause 0x8
	scratch_load_b128 v[2:5], off, off offset:240
	scratch_load_b128 v[6:9], off, off offset:256
	;; [unrolled: 1-line block ×9, first 2 shown]
	ds_load_b128 v[38:41], v1 offset:928
	ds_load_b128 v[42:45], v1 offset:944
	s_clause 0x1
	scratch_load_b128 v[135:138], off, off offset:224
	scratch_load_b128 v[139:142], off, off offset:384
	s_mov_b32 s0, exec_lo
	s_wait_loadcnt_dscnt 0xa01
	v_mul_f64_e32 v[143:144], v[40:41], v[4:5]
	v_mul_f64_e32 v[4:5], v[38:39], v[4:5]
	s_wait_loadcnt_dscnt 0x900
	v_mul_f64_e32 v[147:148], v[42:43], v[8:9]
	v_mul_f64_e32 v[8:9], v[44:45], v[8:9]
	s_delay_alu instid0(VALU_DEP_4) | instskip(NEXT) | instid1(VALU_DEP_4)
	v_fma_f64 v[149:150], v[38:39], v[2:3], -v[143:144]
	v_fma_f64 v[151:152], v[40:41], v[2:3], v[4:5]
	ds_load_b128 v[2:5], v1 offset:960
	ds_load_b128 v[143:146], v1 offset:976
	scratch_load_b128 v[38:41], off, off offset:400
	v_fma_f64 v[44:45], v[44:45], v[6:7], v[147:148]
	v_fma_f64 v[42:43], v[42:43], v[6:7], -v[8:9]
	scratch_load_b128 v[6:9], off, off offset:416
	s_wait_loadcnt_dscnt 0xa01
	v_mul_f64_e32 v[153:154], v[2:3], v[12:13]
	v_mul_f64_e32 v[12:13], v[4:5], v[12:13]
	v_add_f64_e32 v[147:148], 0, v[149:150]
	v_add_f64_e32 v[149:150], 0, v[151:152]
	s_wait_loadcnt_dscnt 0x900
	v_mul_f64_e32 v[151:152], v[143:144], v[16:17]
	v_mul_f64_e32 v[16:17], v[145:146], v[16:17]
	v_fma_f64 v[153:154], v[4:5], v[10:11], v[153:154]
	v_fma_f64 v[155:156], v[2:3], v[10:11], -v[12:13]
	ds_load_b128 v[2:5], v1 offset:992
	scratch_load_b128 v[10:13], off, off offset:432
	v_add_f64_e32 v[147:148], v[147:148], v[42:43]
	v_add_f64_e32 v[149:150], v[149:150], v[44:45]
	ds_load_b128 v[42:45], v1 offset:1008
	v_fma_f64 v[145:146], v[145:146], v[14:15], v[151:152]
	v_fma_f64 v[143:144], v[143:144], v[14:15], -v[16:17]
	scratch_load_b128 v[14:17], off, off offset:448
	s_wait_loadcnt_dscnt 0xa01
	v_mul_f64_e32 v[157:158], v[2:3], v[20:21]
	v_mul_f64_e32 v[20:21], v[4:5], v[20:21]
	s_wait_loadcnt_dscnt 0x900
	v_mul_f64_e32 v[151:152], v[42:43], v[24:25]
	v_mul_f64_e32 v[24:25], v[44:45], v[24:25]
	v_add_f64_e32 v[147:148], v[147:148], v[155:156]
	v_add_f64_e32 v[149:150], v[149:150], v[153:154]
	v_fma_f64 v[153:154], v[4:5], v[18:19], v[157:158]
	v_fma_f64 v[155:156], v[2:3], v[18:19], -v[20:21]
	ds_load_b128 v[2:5], v1 offset:1024
	scratch_load_b128 v[18:21], off, off offset:464
	v_fma_f64 v[44:45], v[44:45], v[22:23], v[151:152]
	v_fma_f64 v[42:43], v[42:43], v[22:23], -v[24:25]
	scratch_load_b128 v[22:25], off, off offset:480
	v_add_f64_e32 v[147:148], v[147:148], v[143:144]
	v_add_f64_e32 v[149:150], v[149:150], v[145:146]
	ds_load_b128 v[143:146], v1 offset:1040
	s_wait_loadcnt_dscnt 0xa01
	v_mul_f64_e32 v[157:158], v[2:3], v[28:29]
	v_mul_f64_e32 v[28:29], v[4:5], v[28:29]
	s_wait_loadcnt_dscnt 0x900
	v_mul_f64_e32 v[151:152], v[143:144], v[32:33]
	v_mul_f64_e32 v[32:33], v[145:146], v[32:33]
	v_add_f64_e32 v[147:148], v[147:148], v[155:156]
	v_add_f64_e32 v[149:150], v[149:150], v[153:154]
	v_fma_f64 v[153:154], v[4:5], v[26:27], v[157:158]
	v_fma_f64 v[155:156], v[2:3], v[26:27], -v[28:29]
	ds_load_b128 v[2:5], v1 offset:1056
	scratch_load_b128 v[26:29], off, off offset:496
	v_fma_f64 v[145:146], v[145:146], v[30:31], v[151:152]
	v_fma_f64 v[143:144], v[143:144], v[30:31], -v[32:33]
	scratch_load_b128 v[30:33], off, off offset:512
	v_add_f64_e32 v[147:148], v[147:148], v[42:43]
	v_add_f64_e32 v[149:150], v[149:150], v[44:45]
	ds_load_b128 v[42:45], v1 offset:1072
	s_wait_loadcnt_dscnt 0xa01
	v_mul_f64_e32 v[157:158], v[2:3], v[36:37]
	v_mul_f64_e32 v[36:37], v[4:5], v[36:37]
	s_wait_loadcnt_dscnt 0x800
	v_mul_f64_e32 v[151:152], v[42:43], v[141:142]
	v_add_f64_e32 v[147:148], v[147:148], v[155:156]
	v_add_f64_e32 v[149:150], v[149:150], v[153:154]
	v_mul_f64_e32 v[153:154], v[44:45], v[141:142]
	v_fma_f64 v[155:156], v[4:5], v[34:35], v[157:158]
	v_fma_f64 v[157:158], v[2:3], v[34:35], -v[36:37]
	ds_load_b128 v[2:5], v1 offset:1088
	scratch_load_b128 v[34:37], off, off offset:528
	v_fma_f64 v[44:45], v[44:45], v[139:140], v[151:152]
	v_add_f64_e32 v[147:148], v[147:148], v[143:144]
	v_add_f64_e32 v[145:146], v[149:150], v[145:146]
	ds_load_b128 v[141:144], v1 offset:1104
	v_fma_f64 v[139:140], v[42:43], v[139:140], -v[153:154]
	s_wait_loadcnt_dscnt 0x801
	v_mul_f64_e32 v[149:150], v[2:3], v[40:41]
	v_mul_f64_e32 v[159:160], v[4:5], v[40:41]
	scratch_load_b128 v[40:43], off, off offset:544
	s_wait_loadcnt_dscnt 0x800
	v_mul_f64_e32 v[153:154], v[141:142], v[8:9]
	v_mul_f64_e32 v[8:9], v[143:144], v[8:9]
	v_add_f64_e32 v[147:148], v[147:148], v[157:158]
	v_add_f64_e32 v[145:146], v[145:146], v[155:156]
	v_fma_f64 v[155:156], v[4:5], v[38:39], v[149:150]
	v_fma_f64 v[38:39], v[2:3], v[38:39], -v[159:160]
	ds_load_b128 v[2:5], v1 offset:1120
	ds_load_b128 v[149:152], v1 offset:1136
	v_fma_f64 v[143:144], v[143:144], v[6:7], v[153:154]
	v_fma_f64 v[141:142], v[141:142], v[6:7], -v[8:9]
	scratch_load_b128 v[6:9], off, off offset:576
	v_add_f64_e32 v[139:140], v[147:148], v[139:140]
	v_add_f64_e32 v[44:45], v[145:146], v[44:45]
	scratch_load_b128 v[145:148], off, off offset:560
	s_wait_loadcnt_dscnt 0x901
	v_mul_f64_e32 v[157:158], v[2:3], v[12:13]
	v_mul_f64_e32 v[12:13], v[4:5], v[12:13]
	s_wait_loadcnt_dscnt 0x800
	v_mul_f64_e32 v[153:154], v[149:150], v[16:17]
	v_mul_f64_e32 v[16:17], v[151:152], v[16:17]
	v_add_f64_e32 v[38:39], v[139:140], v[38:39]
	v_add_f64_e32 v[44:45], v[44:45], v[155:156]
	v_fma_f64 v[155:156], v[4:5], v[10:11], v[157:158]
	v_fma_f64 v[157:158], v[2:3], v[10:11], -v[12:13]
	ds_load_b128 v[2:5], v1 offset:1152
	scratch_load_b128 v[10:13], off, off offset:592
	v_fma_f64 v[151:152], v[151:152], v[14:15], v[153:154]
	v_fma_f64 v[149:150], v[149:150], v[14:15], -v[16:17]
	scratch_load_b128 v[14:17], off, off offset:608
	v_add_f64_e32 v[38:39], v[38:39], v[141:142]
	v_add_f64_e32 v[44:45], v[44:45], v[143:144]
	ds_load_b128 v[139:142], v1 offset:1168
	s_wait_loadcnt_dscnt 0x901
	v_mul_f64_e32 v[143:144], v[2:3], v[20:21]
	v_mul_f64_e32 v[20:21], v[4:5], v[20:21]
	s_wait_loadcnt_dscnt 0x800
	v_mul_f64_e32 v[153:154], v[139:140], v[24:25]
	v_mul_f64_e32 v[24:25], v[141:142], v[24:25]
	v_add_f64_e32 v[38:39], v[38:39], v[157:158]
	v_add_f64_e32 v[44:45], v[44:45], v[155:156]
	v_fma_f64 v[143:144], v[4:5], v[18:19], v[143:144]
	v_fma_f64 v[155:156], v[2:3], v[18:19], -v[20:21]
	ds_load_b128 v[2:5], v1 offset:1184
	scratch_load_b128 v[18:21], off, off offset:624
	v_fma_f64 v[141:142], v[141:142], v[22:23], v[153:154]
	v_fma_f64 v[139:140], v[139:140], v[22:23], -v[24:25]
	scratch_load_b128 v[22:25], off, off offset:640
	v_add_f64_e32 v[38:39], v[38:39], v[149:150]
	v_add_f64_e32 v[44:45], v[44:45], v[151:152]
	ds_load_b128 v[149:152], v1 offset:1200
	s_wait_loadcnt_dscnt 0x901
	v_mul_f64_e32 v[157:158], v[2:3], v[28:29]
	v_mul_f64_e32 v[28:29], v[4:5], v[28:29]
	v_add_f64_e32 v[38:39], v[38:39], v[155:156]
	v_add_f64_e32 v[44:45], v[44:45], v[143:144]
	s_wait_loadcnt_dscnt 0x800
	v_mul_f64_e32 v[143:144], v[149:150], v[32:33]
	v_mul_f64_e32 v[32:33], v[151:152], v[32:33]
	v_fma_f64 v[153:154], v[4:5], v[26:27], v[157:158]
	v_fma_f64 v[155:156], v[2:3], v[26:27], -v[28:29]
	ds_load_b128 v[2:5], v1 offset:1216
	scratch_load_b128 v[26:29], off, off offset:656
	v_add_f64_e32 v[38:39], v[38:39], v[139:140]
	v_add_f64_e32 v[44:45], v[44:45], v[141:142]
	ds_load_b128 v[139:142], v1 offset:1232
	s_wait_loadcnt_dscnt 0x801
	v_mul_f64_e32 v[157:158], v[2:3], v[36:37]
	v_mul_f64_e32 v[36:37], v[4:5], v[36:37]
	v_fma_f64 v[143:144], v[151:152], v[30:31], v[143:144]
	v_fma_f64 v[149:150], v[149:150], v[30:31], -v[32:33]
	scratch_load_b128 v[30:33], off, off offset:672
	s_wait_loadcnt_dscnt 0x800
	v_mul_f64_e32 v[151:152], v[139:140], v[42:43]
	v_add_f64_e32 v[38:39], v[38:39], v[155:156]
	v_add_f64_e32 v[44:45], v[44:45], v[153:154]
	v_mul_f64_e32 v[153:154], v[141:142], v[42:43]
	v_fma_f64 v[155:156], v[4:5], v[34:35], v[157:158]
	v_fma_f64 v[157:158], v[2:3], v[34:35], -v[36:37]
	ds_load_b128 v[2:5], v1 offset:1248
	scratch_load_b128 v[34:37], off, off offset:688
	v_fma_f64 v[141:142], v[141:142], v[40:41], v[151:152]
	v_add_f64_e32 v[38:39], v[38:39], v[149:150]
	v_add_f64_e32 v[143:144], v[44:45], v[143:144]
	ds_load_b128 v[42:45], v1 offset:1264
	v_fma_f64 v[139:140], v[139:140], v[40:41], -v[153:154]
	s_wait_loadcnt_dscnt 0x701
	v_mul_f64_e32 v[149:150], v[2:3], v[147:148]
	v_mul_f64_e32 v[147:148], v[4:5], v[147:148]
	s_wait_dscnt 0x0
	v_mul_f64_e32 v[153:154], v[42:43], v[8:9]
	v_mul_f64_e32 v[8:9], v[44:45], v[8:9]
	v_add_f64_e32 v[151:152], v[38:39], v[157:158]
	v_add_f64_e32 v[143:144], v[143:144], v[155:156]
	scratch_load_b128 v[38:41], off, off offset:704
	v_fma_f64 v[149:150], v[4:5], v[145:146], v[149:150]
	v_fma_f64 v[145:146], v[2:3], v[145:146], -v[147:148]
	v_fma_f64 v[44:45], v[44:45], v[6:7], v[153:154]
	v_fma_f64 v[6:7], v[42:43], v[6:7], -v[8:9]
	v_add_f64_e32 v[147:148], v[151:152], v[139:140]
	v_add_f64_e32 v[143:144], v[143:144], v[141:142]
	ds_load_b128 v[2:5], v1 offset:1280
	ds_load_b128 v[139:142], v1 offset:1296
	s_wait_loadcnt_dscnt 0x701
	v_mul_f64_e32 v[151:152], v[2:3], v[12:13]
	v_mul_f64_e32 v[12:13], v[4:5], v[12:13]
	v_add_f64_e32 v[8:9], v[147:148], v[145:146]
	v_add_f64_e32 v[42:43], v[143:144], v[149:150]
	s_wait_loadcnt_dscnt 0x600
	v_mul_f64_e32 v[143:144], v[139:140], v[16:17]
	v_mul_f64_e32 v[16:17], v[141:142], v[16:17]
	v_fma_f64 v[145:146], v[4:5], v[10:11], v[151:152]
	v_fma_f64 v[10:11], v[2:3], v[10:11], -v[12:13]
	v_add_f64_e32 v[12:13], v[8:9], v[6:7]
	v_add_f64_e32 v[42:43], v[42:43], v[44:45]
	ds_load_b128 v[2:5], v1 offset:1312
	ds_load_b128 v[6:9], v1 offset:1328
	v_fma_f64 v[141:142], v[141:142], v[14:15], v[143:144]
	v_fma_f64 v[14:15], v[139:140], v[14:15], -v[16:17]
	s_wait_loadcnt_dscnt 0x501
	v_mul_f64_e32 v[44:45], v[2:3], v[20:21]
	v_mul_f64_e32 v[20:21], v[4:5], v[20:21]
	s_wait_loadcnt_dscnt 0x400
	v_mul_f64_e32 v[16:17], v[6:7], v[24:25]
	v_mul_f64_e32 v[24:25], v[8:9], v[24:25]
	v_add_f64_e32 v[10:11], v[12:13], v[10:11]
	v_add_f64_e32 v[12:13], v[42:43], v[145:146]
	v_fma_f64 v[42:43], v[4:5], v[18:19], v[44:45]
	v_fma_f64 v[18:19], v[2:3], v[18:19], -v[20:21]
	v_fma_f64 v[8:9], v[8:9], v[22:23], v[16:17]
	v_fma_f64 v[6:7], v[6:7], v[22:23], -v[24:25]
	v_add_f64_e32 v[14:15], v[10:11], v[14:15]
	v_add_f64_e32 v[20:21], v[12:13], v[141:142]
	ds_load_b128 v[2:5], v1 offset:1344
	ds_load_b128 v[10:13], v1 offset:1360
	s_wait_loadcnt_dscnt 0x301
	v_mul_f64_e32 v[44:45], v[2:3], v[28:29]
	v_mul_f64_e32 v[28:29], v[4:5], v[28:29]
	v_add_f64_e32 v[14:15], v[14:15], v[18:19]
	v_add_f64_e32 v[16:17], v[20:21], v[42:43]
	s_wait_loadcnt_dscnt 0x200
	v_mul_f64_e32 v[18:19], v[10:11], v[32:33]
	v_mul_f64_e32 v[20:21], v[12:13], v[32:33]
	v_fma_f64 v[22:23], v[4:5], v[26:27], v[44:45]
	v_fma_f64 v[24:25], v[2:3], v[26:27], -v[28:29]
	v_add_f64_e32 v[14:15], v[14:15], v[6:7]
	v_add_f64_e32 v[16:17], v[16:17], v[8:9]
	ds_load_b128 v[2:5], v1 offset:1376
	ds_load_b128 v[6:9], v1 offset:1392
	v_fma_f64 v[12:13], v[12:13], v[30:31], v[18:19]
	v_fma_f64 v[10:11], v[10:11], v[30:31], -v[20:21]
	s_wait_loadcnt_dscnt 0x101
	v_mul_f64_e32 v[26:27], v[2:3], v[36:37]
	v_mul_f64_e32 v[28:29], v[4:5], v[36:37]
	v_add_f64_e32 v[14:15], v[14:15], v[24:25]
	v_add_f64_e32 v[16:17], v[16:17], v[22:23]
	s_wait_loadcnt_dscnt 0x0
	v_mul_f64_e32 v[18:19], v[6:7], v[40:41]
	v_mul_f64_e32 v[20:21], v[8:9], v[40:41]
	v_fma_f64 v[4:5], v[4:5], v[34:35], v[26:27]
	v_fma_f64 v[1:2], v[2:3], v[34:35], -v[28:29]
	v_add_f64_e32 v[10:11], v[14:15], v[10:11]
	v_add_f64_e32 v[12:13], v[16:17], v[12:13]
	v_fma_f64 v[8:9], v[8:9], v[38:39], v[18:19]
	v_fma_f64 v[6:7], v[6:7], v[38:39], -v[20:21]
	s_delay_alu instid0(VALU_DEP_4) | instskip(NEXT) | instid1(VALU_DEP_4)
	v_add_f64_e32 v[1:2], v[10:11], v[1:2]
	v_add_f64_e32 v[3:4], v[12:13], v[4:5]
	s_delay_alu instid0(VALU_DEP_2) | instskip(NEXT) | instid1(VALU_DEP_2)
	v_add_f64_e32 v[1:2], v[1:2], v[6:7]
	v_add_f64_e32 v[3:4], v[3:4], v[8:9]
	s_delay_alu instid0(VALU_DEP_2) | instskip(NEXT) | instid1(VALU_DEP_2)
	v_add_f64_e64 v[1:2], v[135:136], -v[1:2]
	v_add_f64_e64 v[3:4], v[137:138], -v[3:4]
	scratch_store_b128 off, v[1:4], off offset:224
	v_cmpx_lt_u32_e32 12, v0
	s_cbranch_execz .LBB107_253
; %bb.252:
	scratch_load_b128 v[1:4], off, s45
	v_mov_b32_e32 v5, 0
	s_delay_alu instid0(VALU_DEP_1)
	v_dual_mov_b32 v6, v5 :: v_dual_mov_b32 v7, v5
	v_mov_b32_e32 v8, v5
	scratch_store_b128 off, v[5:8], off offset:208
	s_wait_loadcnt 0x0
	ds_store_b128 v134, v[1:4]
.LBB107_253:
	s_wait_alu 0xfffe
	s_or_b32 exec_lo, exec_lo, s0
	s_wait_storecnt_dscnt 0x0
	s_barrier_signal -1
	s_barrier_wait -1
	global_inv scope:SCOPE_SE
	s_clause 0x7
	scratch_load_b128 v[2:5], off, off offset:224
	scratch_load_b128 v[6:9], off, off offset:240
	scratch_load_b128 v[10:13], off, off offset:256
	scratch_load_b128 v[14:17], off, off offset:272
	scratch_load_b128 v[18:21], off, off offset:288
	scratch_load_b128 v[22:25], off, off offset:304
	scratch_load_b128 v[26:29], off, off offset:320
	scratch_load_b128 v[30:33], off, off offset:336
	v_mov_b32_e32 v1, 0
	s_mov_b32 s0, exec_lo
	ds_load_b128 v[34:37], v1 offset:912
	s_clause 0x1
	scratch_load_b128 v[38:41], off, off offset:352
	scratch_load_b128 v[42:45], off, off offset:208
	ds_load_b128 v[135:138], v1 offset:928
	scratch_load_b128 v[139:142], off, off offset:368
	s_wait_loadcnt_dscnt 0xa01
	v_mul_f64_e32 v[143:144], v[36:37], v[4:5]
	v_mul_f64_e32 v[4:5], v[34:35], v[4:5]
	s_delay_alu instid0(VALU_DEP_2) | instskip(NEXT) | instid1(VALU_DEP_2)
	v_fma_f64 v[149:150], v[34:35], v[2:3], -v[143:144]
	v_fma_f64 v[151:152], v[36:37], v[2:3], v[4:5]
	ds_load_b128 v[2:5], v1 offset:944
	s_wait_loadcnt_dscnt 0x901
	v_mul_f64_e32 v[147:148], v[135:136], v[8:9]
	v_mul_f64_e32 v[8:9], v[137:138], v[8:9]
	scratch_load_b128 v[34:37], off, off offset:384
	ds_load_b128 v[143:146], v1 offset:960
	s_wait_loadcnt_dscnt 0x901
	v_mul_f64_e32 v[153:154], v[2:3], v[12:13]
	v_mul_f64_e32 v[12:13], v[4:5], v[12:13]
	v_fma_f64 v[137:138], v[137:138], v[6:7], v[147:148]
	v_fma_f64 v[135:136], v[135:136], v[6:7], -v[8:9]
	v_add_f64_e32 v[147:148], 0, v[149:150]
	v_add_f64_e32 v[149:150], 0, v[151:152]
	scratch_load_b128 v[6:9], off, off offset:400
	v_fma_f64 v[153:154], v[4:5], v[10:11], v[153:154]
	v_fma_f64 v[155:156], v[2:3], v[10:11], -v[12:13]
	ds_load_b128 v[2:5], v1 offset:976
	s_wait_loadcnt_dscnt 0x901
	v_mul_f64_e32 v[151:152], v[143:144], v[16:17]
	v_mul_f64_e32 v[16:17], v[145:146], v[16:17]
	scratch_load_b128 v[10:13], off, off offset:416
	v_add_f64_e32 v[147:148], v[147:148], v[135:136]
	v_add_f64_e32 v[149:150], v[149:150], v[137:138]
	s_wait_loadcnt_dscnt 0x900
	v_mul_f64_e32 v[157:158], v[2:3], v[20:21]
	v_mul_f64_e32 v[20:21], v[4:5], v[20:21]
	ds_load_b128 v[135:138], v1 offset:992
	v_fma_f64 v[145:146], v[145:146], v[14:15], v[151:152]
	v_fma_f64 v[143:144], v[143:144], v[14:15], -v[16:17]
	scratch_load_b128 v[14:17], off, off offset:432
	v_add_f64_e32 v[147:148], v[147:148], v[155:156]
	v_add_f64_e32 v[149:150], v[149:150], v[153:154]
	v_fma_f64 v[153:154], v[4:5], v[18:19], v[157:158]
	v_fma_f64 v[155:156], v[2:3], v[18:19], -v[20:21]
	ds_load_b128 v[2:5], v1 offset:1008
	s_wait_loadcnt_dscnt 0x901
	v_mul_f64_e32 v[151:152], v[135:136], v[24:25]
	v_mul_f64_e32 v[24:25], v[137:138], v[24:25]
	scratch_load_b128 v[18:21], off, off offset:448
	s_wait_loadcnt_dscnt 0x900
	v_mul_f64_e32 v[157:158], v[2:3], v[28:29]
	v_mul_f64_e32 v[28:29], v[4:5], v[28:29]
	v_add_f64_e32 v[147:148], v[147:148], v[143:144]
	v_add_f64_e32 v[149:150], v[149:150], v[145:146]
	ds_load_b128 v[143:146], v1 offset:1024
	v_fma_f64 v[137:138], v[137:138], v[22:23], v[151:152]
	v_fma_f64 v[135:136], v[135:136], v[22:23], -v[24:25]
	scratch_load_b128 v[22:25], off, off offset:464
	v_add_f64_e32 v[147:148], v[147:148], v[155:156]
	v_add_f64_e32 v[149:150], v[149:150], v[153:154]
	v_fma_f64 v[153:154], v[4:5], v[26:27], v[157:158]
	v_fma_f64 v[155:156], v[2:3], v[26:27], -v[28:29]
	ds_load_b128 v[2:5], v1 offset:1040
	s_wait_loadcnt_dscnt 0x901
	v_mul_f64_e32 v[151:152], v[143:144], v[32:33]
	v_mul_f64_e32 v[32:33], v[145:146], v[32:33]
	scratch_load_b128 v[26:29], off, off offset:480
	s_wait_loadcnt_dscnt 0x900
	v_mul_f64_e32 v[157:158], v[2:3], v[40:41]
	v_mul_f64_e32 v[40:41], v[4:5], v[40:41]
	v_add_f64_e32 v[147:148], v[147:148], v[135:136]
	v_add_f64_e32 v[149:150], v[149:150], v[137:138]
	ds_load_b128 v[135:138], v1 offset:1056
	v_fma_f64 v[145:146], v[145:146], v[30:31], v[151:152]
	v_fma_f64 v[143:144], v[143:144], v[30:31], -v[32:33]
	scratch_load_b128 v[30:33], off, off offset:496
	v_add_f64_e32 v[147:148], v[147:148], v[155:156]
	v_add_f64_e32 v[149:150], v[149:150], v[153:154]
	v_fma_f64 v[155:156], v[4:5], v[38:39], v[157:158]
	v_fma_f64 v[157:158], v[2:3], v[38:39], -v[40:41]
	ds_load_b128 v[2:5], v1 offset:1072
	s_wait_loadcnt_dscnt 0x801
	v_mul_f64_e32 v[151:152], v[135:136], v[141:142]
	v_mul_f64_e32 v[153:154], v[137:138], v[141:142]
	scratch_load_b128 v[38:41], off, off offset:512
	v_add_f64_e32 v[147:148], v[147:148], v[143:144]
	v_add_f64_e32 v[145:146], v[149:150], v[145:146]
	ds_load_b128 v[141:144], v1 offset:1088
	v_fma_f64 v[151:152], v[137:138], v[139:140], v[151:152]
	v_fma_f64 v[139:140], v[135:136], v[139:140], -v[153:154]
	scratch_load_b128 v[135:138], off, off offset:528
	s_wait_loadcnt_dscnt 0x901
	v_mul_f64_e32 v[149:150], v[2:3], v[36:37]
	v_mul_f64_e32 v[36:37], v[4:5], v[36:37]
	v_add_f64_e32 v[147:148], v[147:148], v[157:158]
	v_add_f64_e32 v[145:146], v[145:146], v[155:156]
	s_delay_alu instid0(VALU_DEP_4) | instskip(NEXT) | instid1(VALU_DEP_4)
	v_fma_f64 v[149:150], v[4:5], v[34:35], v[149:150]
	v_fma_f64 v[155:156], v[2:3], v[34:35], -v[36:37]
	ds_load_b128 v[2:5], v1 offset:1104
	s_wait_loadcnt_dscnt 0x801
	v_mul_f64_e32 v[153:154], v[141:142], v[8:9]
	v_mul_f64_e32 v[8:9], v[143:144], v[8:9]
	scratch_load_b128 v[34:37], off, off offset:544
	s_wait_loadcnt_dscnt 0x800
	v_mul_f64_e32 v[157:158], v[2:3], v[12:13]
	v_add_f64_e32 v[139:140], v[147:148], v[139:140]
	v_add_f64_e32 v[151:152], v[145:146], v[151:152]
	v_mul_f64_e32 v[12:13], v[4:5], v[12:13]
	ds_load_b128 v[145:148], v1 offset:1120
	v_fma_f64 v[143:144], v[143:144], v[6:7], v[153:154]
	v_fma_f64 v[141:142], v[141:142], v[6:7], -v[8:9]
	scratch_load_b128 v[6:9], off, off offset:560
	v_fma_f64 v[153:154], v[4:5], v[10:11], v[157:158]
	v_add_f64_e32 v[139:140], v[139:140], v[155:156]
	v_add_f64_e32 v[149:150], v[151:152], v[149:150]
	v_fma_f64 v[155:156], v[2:3], v[10:11], -v[12:13]
	ds_load_b128 v[2:5], v1 offset:1136
	s_wait_loadcnt_dscnt 0x801
	v_mul_f64_e32 v[151:152], v[145:146], v[16:17]
	v_mul_f64_e32 v[16:17], v[147:148], v[16:17]
	scratch_load_b128 v[10:13], off, off offset:576
	v_add_f64_e32 v[157:158], v[139:140], v[141:142]
	v_add_f64_e32 v[143:144], v[149:150], v[143:144]
	s_wait_loadcnt_dscnt 0x800
	v_mul_f64_e32 v[149:150], v[2:3], v[20:21]
	v_mul_f64_e32 v[20:21], v[4:5], v[20:21]
	v_fma_f64 v[147:148], v[147:148], v[14:15], v[151:152]
	v_fma_f64 v[145:146], v[145:146], v[14:15], -v[16:17]
	ds_load_b128 v[139:142], v1 offset:1152
	scratch_load_b128 v[14:17], off, off offset:592
	v_add_f64_e32 v[151:152], v[157:158], v[155:156]
	v_add_f64_e32 v[143:144], v[143:144], v[153:154]
	v_fma_f64 v[149:150], v[4:5], v[18:19], v[149:150]
	v_fma_f64 v[155:156], v[2:3], v[18:19], -v[20:21]
	ds_load_b128 v[2:5], v1 offset:1168
	s_wait_loadcnt_dscnt 0x801
	v_mul_f64_e32 v[153:154], v[139:140], v[24:25]
	v_mul_f64_e32 v[24:25], v[141:142], v[24:25]
	scratch_load_b128 v[18:21], off, off offset:608
	s_wait_loadcnt_dscnt 0x800
	v_mul_f64_e32 v[157:158], v[2:3], v[28:29]
	v_mul_f64_e32 v[28:29], v[4:5], v[28:29]
	v_add_f64_e32 v[151:152], v[151:152], v[145:146]
	v_add_f64_e32 v[147:148], v[143:144], v[147:148]
	ds_load_b128 v[143:146], v1 offset:1184
	v_fma_f64 v[141:142], v[141:142], v[22:23], v[153:154]
	v_fma_f64 v[139:140], v[139:140], v[22:23], -v[24:25]
	scratch_load_b128 v[22:25], off, off offset:624
	v_fma_f64 v[153:154], v[4:5], v[26:27], v[157:158]
	v_add_f64_e32 v[151:152], v[151:152], v[155:156]
	v_add_f64_e32 v[147:148], v[147:148], v[149:150]
	v_fma_f64 v[155:156], v[2:3], v[26:27], -v[28:29]
	ds_load_b128 v[2:5], v1 offset:1200
	s_wait_loadcnt_dscnt 0x801
	v_mul_f64_e32 v[149:150], v[143:144], v[32:33]
	v_mul_f64_e32 v[32:33], v[145:146], v[32:33]
	scratch_load_b128 v[26:29], off, off offset:640
	s_wait_loadcnt_dscnt 0x800
	v_mul_f64_e32 v[157:158], v[2:3], v[40:41]
	v_mul_f64_e32 v[40:41], v[4:5], v[40:41]
	v_add_f64_e32 v[151:152], v[151:152], v[139:140]
	v_add_f64_e32 v[147:148], v[147:148], v[141:142]
	ds_load_b128 v[139:142], v1 offset:1216
	v_fma_f64 v[145:146], v[145:146], v[30:31], v[149:150]
	v_fma_f64 v[143:144], v[143:144], v[30:31], -v[32:33]
	scratch_load_b128 v[30:33], off, off offset:656
	v_add_f64_e32 v[149:150], v[151:152], v[155:156]
	v_add_f64_e32 v[147:148], v[147:148], v[153:154]
	v_fma_f64 v[153:154], v[4:5], v[38:39], v[157:158]
	v_fma_f64 v[155:156], v[2:3], v[38:39], -v[40:41]
	ds_load_b128 v[2:5], v1 offset:1232
	s_wait_loadcnt_dscnt 0x801
	v_mul_f64_e32 v[151:152], v[139:140], v[137:138]
	v_mul_f64_e32 v[137:138], v[141:142], v[137:138]
	scratch_load_b128 v[38:41], off, off offset:672
	s_wait_loadcnt_dscnt 0x800
	v_mul_f64_e32 v[157:158], v[2:3], v[36:37]
	v_mul_f64_e32 v[36:37], v[4:5], v[36:37]
	v_add_f64_e32 v[149:150], v[149:150], v[143:144]
	v_add_f64_e32 v[147:148], v[147:148], v[145:146]
	ds_load_b128 v[143:146], v1 offset:1248
	v_fma_f64 v[141:142], v[141:142], v[135:136], v[151:152]
	v_fma_f64 v[139:140], v[139:140], v[135:136], -v[137:138]
	scratch_load_b128 v[135:138], off, off offset:688
	v_add_f64_e32 v[149:150], v[149:150], v[155:156]
	v_add_f64_e32 v[147:148], v[147:148], v[153:154]
	v_fma_f64 v[153:154], v[4:5], v[34:35], v[157:158]
	v_fma_f64 v[155:156], v[2:3], v[34:35], -v[36:37]
	ds_load_b128 v[2:5], v1 offset:1264
	s_wait_loadcnt_dscnt 0x801
	v_mul_f64_e32 v[151:152], v[143:144], v[8:9]
	v_mul_f64_e32 v[8:9], v[145:146], v[8:9]
	scratch_load_b128 v[34:37], off, off offset:704
	s_wait_loadcnt_dscnt 0x800
	v_mul_f64_e32 v[157:158], v[2:3], v[12:13]
	v_mul_f64_e32 v[12:13], v[4:5], v[12:13]
	v_add_f64_e32 v[149:150], v[149:150], v[139:140]
	v_add_f64_e32 v[147:148], v[147:148], v[141:142]
	ds_load_b128 v[139:142], v1 offset:1280
	v_fma_f64 v[145:146], v[145:146], v[6:7], v[151:152]
	v_fma_f64 v[6:7], v[143:144], v[6:7], -v[8:9]
	v_add_f64_e32 v[8:9], v[149:150], v[155:156]
	v_add_f64_e32 v[143:144], v[147:148], v[153:154]
	s_wait_loadcnt_dscnt 0x700
	v_mul_f64_e32 v[147:148], v[139:140], v[16:17]
	v_mul_f64_e32 v[16:17], v[141:142], v[16:17]
	v_fma_f64 v[149:150], v[4:5], v[10:11], v[157:158]
	v_fma_f64 v[10:11], v[2:3], v[10:11], -v[12:13]
	v_add_f64_e32 v[12:13], v[8:9], v[6:7]
	v_add_f64_e32 v[143:144], v[143:144], v[145:146]
	ds_load_b128 v[2:5], v1 offset:1296
	ds_load_b128 v[6:9], v1 offset:1312
	v_fma_f64 v[141:142], v[141:142], v[14:15], v[147:148]
	v_fma_f64 v[14:15], v[139:140], v[14:15], -v[16:17]
	s_wait_loadcnt_dscnt 0x601
	v_mul_f64_e32 v[145:146], v[2:3], v[20:21]
	v_mul_f64_e32 v[20:21], v[4:5], v[20:21]
	s_wait_loadcnt_dscnt 0x500
	v_mul_f64_e32 v[16:17], v[6:7], v[24:25]
	v_mul_f64_e32 v[24:25], v[8:9], v[24:25]
	v_add_f64_e32 v[10:11], v[12:13], v[10:11]
	v_add_f64_e32 v[12:13], v[143:144], v[149:150]
	v_fma_f64 v[139:140], v[4:5], v[18:19], v[145:146]
	v_fma_f64 v[18:19], v[2:3], v[18:19], -v[20:21]
	v_fma_f64 v[8:9], v[8:9], v[22:23], v[16:17]
	v_fma_f64 v[6:7], v[6:7], v[22:23], -v[24:25]
	v_add_f64_e32 v[14:15], v[10:11], v[14:15]
	v_add_f64_e32 v[20:21], v[12:13], v[141:142]
	ds_load_b128 v[2:5], v1 offset:1328
	ds_load_b128 v[10:13], v1 offset:1344
	s_wait_loadcnt_dscnt 0x401
	v_mul_f64_e32 v[141:142], v[2:3], v[28:29]
	v_mul_f64_e32 v[28:29], v[4:5], v[28:29]
	v_add_f64_e32 v[14:15], v[14:15], v[18:19]
	v_add_f64_e32 v[16:17], v[20:21], v[139:140]
	s_wait_loadcnt_dscnt 0x300
	v_mul_f64_e32 v[18:19], v[10:11], v[32:33]
	v_mul_f64_e32 v[20:21], v[12:13], v[32:33]
	v_fma_f64 v[22:23], v[4:5], v[26:27], v[141:142]
	v_fma_f64 v[24:25], v[2:3], v[26:27], -v[28:29]
	v_add_f64_e32 v[14:15], v[14:15], v[6:7]
	v_add_f64_e32 v[16:17], v[16:17], v[8:9]
	ds_load_b128 v[2:5], v1 offset:1360
	ds_load_b128 v[6:9], v1 offset:1376
	v_fma_f64 v[12:13], v[12:13], v[30:31], v[18:19]
	v_fma_f64 v[10:11], v[10:11], v[30:31], -v[20:21]
	s_wait_loadcnt_dscnt 0x201
	v_mul_f64_e32 v[26:27], v[2:3], v[40:41]
	v_mul_f64_e32 v[28:29], v[4:5], v[40:41]
	s_wait_loadcnt_dscnt 0x100
	v_mul_f64_e32 v[18:19], v[6:7], v[137:138]
	v_mul_f64_e32 v[20:21], v[8:9], v[137:138]
	v_add_f64_e32 v[14:15], v[14:15], v[24:25]
	v_add_f64_e32 v[16:17], v[16:17], v[22:23]
	v_fma_f64 v[22:23], v[4:5], v[38:39], v[26:27]
	v_fma_f64 v[24:25], v[2:3], v[38:39], -v[28:29]
	ds_load_b128 v[2:5], v1 offset:1392
	v_fma_f64 v[8:9], v[8:9], v[135:136], v[18:19]
	v_fma_f64 v[6:7], v[6:7], v[135:136], -v[20:21]
	v_add_f64_e32 v[10:11], v[14:15], v[10:11]
	v_add_f64_e32 v[12:13], v[16:17], v[12:13]
	s_wait_loadcnt_dscnt 0x0
	v_mul_f64_e32 v[14:15], v[2:3], v[36:37]
	v_mul_f64_e32 v[16:17], v[4:5], v[36:37]
	s_delay_alu instid0(VALU_DEP_4) | instskip(NEXT) | instid1(VALU_DEP_4)
	v_add_f64_e32 v[10:11], v[10:11], v[24:25]
	v_add_f64_e32 v[12:13], v[12:13], v[22:23]
	s_delay_alu instid0(VALU_DEP_4) | instskip(NEXT) | instid1(VALU_DEP_4)
	v_fma_f64 v[4:5], v[4:5], v[34:35], v[14:15]
	v_fma_f64 v[2:3], v[2:3], v[34:35], -v[16:17]
	s_delay_alu instid0(VALU_DEP_4) | instskip(NEXT) | instid1(VALU_DEP_4)
	v_add_f64_e32 v[6:7], v[10:11], v[6:7]
	v_add_f64_e32 v[8:9], v[12:13], v[8:9]
	s_delay_alu instid0(VALU_DEP_2) | instskip(NEXT) | instid1(VALU_DEP_2)
	v_add_f64_e32 v[2:3], v[6:7], v[2:3]
	v_add_f64_e32 v[4:5], v[8:9], v[4:5]
	s_delay_alu instid0(VALU_DEP_2) | instskip(NEXT) | instid1(VALU_DEP_2)
	v_add_f64_e64 v[2:3], v[42:43], -v[2:3]
	v_add_f64_e64 v[4:5], v[44:45], -v[4:5]
	scratch_store_b128 off, v[2:5], off offset:208
	v_cmpx_lt_u32_e32 11, v0
	s_cbranch_execz .LBB107_255
; %bb.254:
	scratch_load_b128 v[5:8], off, s46
	v_dual_mov_b32 v2, v1 :: v_dual_mov_b32 v3, v1
	v_mov_b32_e32 v4, v1
	scratch_store_b128 off, v[1:4], off offset:192
	s_wait_loadcnt 0x0
	ds_store_b128 v134, v[5:8]
.LBB107_255:
	s_wait_alu 0xfffe
	s_or_b32 exec_lo, exec_lo, s0
	s_wait_storecnt_dscnt 0x0
	s_barrier_signal -1
	s_barrier_wait -1
	global_inv scope:SCOPE_SE
	s_clause 0x8
	scratch_load_b128 v[2:5], off, off offset:208
	scratch_load_b128 v[6:9], off, off offset:224
	;; [unrolled: 1-line block ×9, first 2 shown]
	ds_load_b128 v[38:41], v1 offset:896
	ds_load_b128 v[42:45], v1 offset:912
	s_clause 0x1
	scratch_load_b128 v[135:138], off, off offset:192
	scratch_load_b128 v[139:142], off, off offset:352
	s_mov_b32 s0, exec_lo
	s_wait_loadcnt_dscnt 0xa01
	v_mul_f64_e32 v[143:144], v[40:41], v[4:5]
	v_mul_f64_e32 v[4:5], v[38:39], v[4:5]
	s_wait_loadcnt_dscnt 0x900
	v_mul_f64_e32 v[147:148], v[42:43], v[8:9]
	v_mul_f64_e32 v[8:9], v[44:45], v[8:9]
	s_delay_alu instid0(VALU_DEP_4) | instskip(NEXT) | instid1(VALU_DEP_4)
	v_fma_f64 v[149:150], v[38:39], v[2:3], -v[143:144]
	v_fma_f64 v[151:152], v[40:41], v[2:3], v[4:5]
	ds_load_b128 v[2:5], v1 offset:928
	ds_load_b128 v[143:146], v1 offset:944
	scratch_load_b128 v[38:41], off, off offset:368
	v_fma_f64 v[44:45], v[44:45], v[6:7], v[147:148]
	v_fma_f64 v[42:43], v[42:43], v[6:7], -v[8:9]
	scratch_load_b128 v[6:9], off, off offset:384
	s_wait_loadcnt_dscnt 0xa01
	v_mul_f64_e32 v[153:154], v[2:3], v[12:13]
	v_mul_f64_e32 v[12:13], v[4:5], v[12:13]
	v_add_f64_e32 v[147:148], 0, v[149:150]
	v_add_f64_e32 v[149:150], 0, v[151:152]
	s_wait_loadcnt_dscnt 0x900
	v_mul_f64_e32 v[151:152], v[143:144], v[16:17]
	v_mul_f64_e32 v[16:17], v[145:146], v[16:17]
	v_fma_f64 v[153:154], v[4:5], v[10:11], v[153:154]
	v_fma_f64 v[155:156], v[2:3], v[10:11], -v[12:13]
	ds_load_b128 v[2:5], v1 offset:960
	scratch_load_b128 v[10:13], off, off offset:400
	v_add_f64_e32 v[147:148], v[147:148], v[42:43]
	v_add_f64_e32 v[149:150], v[149:150], v[44:45]
	ds_load_b128 v[42:45], v1 offset:976
	v_fma_f64 v[145:146], v[145:146], v[14:15], v[151:152]
	v_fma_f64 v[143:144], v[143:144], v[14:15], -v[16:17]
	scratch_load_b128 v[14:17], off, off offset:416
	s_wait_loadcnt_dscnt 0xa01
	v_mul_f64_e32 v[157:158], v[2:3], v[20:21]
	v_mul_f64_e32 v[20:21], v[4:5], v[20:21]
	s_wait_loadcnt_dscnt 0x900
	v_mul_f64_e32 v[151:152], v[42:43], v[24:25]
	v_mul_f64_e32 v[24:25], v[44:45], v[24:25]
	v_add_f64_e32 v[147:148], v[147:148], v[155:156]
	v_add_f64_e32 v[149:150], v[149:150], v[153:154]
	v_fma_f64 v[153:154], v[4:5], v[18:19], v[157:158]
	v_fma_f64 v[155:156], v[2:3], v[18:19], -v[20:21]
	ds_load_b128 v[2:5], v1 offset:992
	scratch_load_b128 v[18:21], off, off offset:432
	v_fma_f64 v[44:45], v[44:45], v[22:23], v[151:152]
	v_fma_f64 v[42:43], v[42:43], v[22:23], -v[24:25]
	scratch_load_b128 v[22:25], off, off offset:448
	v_add_f64_e32 v[147:148], v[147:148], v[143:144]
	v_add_f64_e32 v[149:150], v[149:150], v[145:146]
	ds_load_b128 v[143:146], v1 offset:1008
	s_wait_loadcnt_dscnt 0xa01
	v_mul_f64_e32 v[157:158], v[2:3], v[28:29]
	v_mul_f64_e32 v[28:29], v[4:5], v[28:29]
	s_wait_loadcnt_dscnt 0x900
	v_mul_f64_e32 v[151:152], v[143:144], v[32:33]
	v_mul_f64_e32 v[32:33], v[145:146], v[32:33]
	v_add_f64_e32 v[147:148], v[147:148], v[155:156]
	v_add_f64_e32 v[149:150], v[149:150], v[153:154]
	v_fma_f64 v[153:154], v[4:5], v[26:27], v[157:158]
	v_fma_f64 v[155:156], v[2:3], v[26:27], -v[28:29]
	ds_load_b128 v[2:5], v1 offset:1024
	scratch_load_b128 v[26:29], off, off offset:464
	v_fma_f64 v[145:146], v[145:146], v[30:31], v[151:152]
	v_fma_f64 v[143:144], v[143:144], v[30:31], -v[32:33]
	scratch_load_b128 v[30:33], off, off offset:480
	v_add_f64_e32 v[147:148], v[147:148], v[42:43]
	v_add_f64_e32 v[149:150], v[149:150], v[44:45]
	ds_load_b128 v[42:45], v1 offset:1040
	s_wait_loadcnt_dscnt 0xa01
	v_mul_f64_e32 v[157:158], v[2:3], v[36:37]
	v_mul_f64_e32 v[36:37], v[4:5], v[36:37]
	s_wait_loadcnt_dscnt 0x800
	v_mul_f64_e32 v[151:152], v[42:43], v[141:142]
	v_add_f64_e32 v[147:148], v[147:148], v[155:156]
	v_add_f64_e32 v[149:150], v[149:150], v[153:154]
	v_mul_f64_e32 v[153:154], v[44:45], v[141:142]
	v_fma_f64 v[155:156], v[4:5], v[34:35], v[157:158]
	v_fma_f64 v[157:158], v[2:3], v[34:35], -v[36:37]
	ds_load_b128 v[2:5], v1 offset:1056
	scratch_load_b128 v[34:37], off, off offset:496
	v_fma_f64 v[44:45], v[44:45], v[139:140], v[151:152]
	v_add_f64_e32 v[147:148], v[147:148], v[143:144]
	v_add_f64_e32 v[145:146], v[149:150], v[145:146]
	ds_load_b128 v[141:144], v1 offset:1072
	v_fma_f64 v[139:140], v[42:43], v[139:140], -v[153:154]
	s_wait_loadcnt_dscnt 0x801
	v_mul_f64_e32 v[149:150], v[2:3], v[40:41]
	v_mul_f64_e32 v[159:160], v[4:5], v[40:41]
	scratch_load_b128 v[40:43], off, off offset:512
	s_wait_loadcnt_dscnt 0x800
	v_mul_f64_e32 v[153:154], v[141:142], v[8:9]
	v_mul_f64_e32 v[8:9], v[143:144], v[8:9]
	v_add_f64_e32 v[147:148], v[147:148], v[157:158]
	v_add_f64_e32 v[145:146], v[145:146], v[155:156]
	v_fma_f64 v[155:156], v[4:5], v[38:39], v[149:150]
	v_fma_f64 v[38:39], v[2:3], v[38:39], -v[159:160]
	ds_load_b128 v[2:5], v1 offset:1088
	ds_load_b128 v[149:152], v1 offset:1104
	v_fma_f64 v[143:144], v[143:144], v[6:7], v[153:154]
	v_fma_f64 v[141:142], v[141:142], v[6:7], -v[8:9]
	scratch_load_b128 v[6:9], off, off offset:544
	v_add_f64_e32 v[139:140], v[147:148], v[139:140]
	v_add_f64_e32 v[44:45], v[145:146], v[44:45]
	scratch_load_b128 v[145:148], off, off offset:528
	s_wait_loadcnt_dscnt 0x901
	v_mul_f64_e32 v[157:158], v[2:3], v[12:13]
	v_mul_f64_e32 v[12:13], v[4:5], v[12:13]
	s_wait_loadcnt_dscnt 0x800
	v_mul_f64_e32 v[153:154], v[149:150], v[16:17]
	v_mul_f64_e32 v[16:17], v[151:152], v[16:17]
	v_add_f64_e32 v[38:39], v[139:140], v[38:39]
	v_add_f64_e32 v[44:45], v[44:45], v[155:156]
	v_fma_f64 v[155:156], v[4:5], v[10:11], v[157:158]
	v_fma_f64 v[157:158], v[2:3], v[10:11], -v[12:13]
	ds_load_b128 v[2:5], v1 offset:1120
	scratch_load_b128 v[10:13], off, off offset:560
	v_fma_f64 v[151:152], v[151:152], v[14:15], v[153:154]
	v_fma_f64 v[149:150], v[149:150], v[14:15], -v[16:17]
	scratch_load_b128 v[14:17], off, off offset:576
	v_add_f64_e32 v[38:39], v[38:39], v[141:142]
	v_add_f64_e32 v[44:45], v[44:45], v[143:144]
	ds_load_b128 v[139:142], v1 offset:1136
	s_wait_loadcnt_dscnt 0x901
	v_mul_f64_e32 v[143:144], v[2:3], v[20:21]
	v_mul_f64_e32 v[20:21], v[4:5], v[20:21]
	s_wait_loadcnt_dscnt 0x800
	v_mul_f64_e32 v[153:154], v[139:140], v[24:25]
	v_mul_f64_e32 v[24:25], v[141:142], v[24:25]
	v_add_f64_e32 v[38:39], v[38:39], v[157:158]
	v_add_f64_e32 v[44:45], v[44:45], v[155:156]
	v_fma_f64 v[143:144], v[4:5], v[18:19], v[143:144]
	v_fma_f64 v[155:156], v[2:3], v[18:19], -v[20:21]
	ds_load_b128 v[2:5], v1 offset:1152
	scratch_load_b128 v[18:21], off, off offset:592
	v_fma_f64 v[141:142], v[141:142], v[22:23], v[153:154]
	v_fma_f64 v[139:140], v[139:140], v[22:23], -v[24:25]
	scratch_load_b128 v[22:25], off, off offset:608
	v_add_f64_e32 v[38:39], v[38:39], v[149:150]
	v_add_f64_e32 v[44:45], v[44:45], v[151:152]
	ds_load_b128 v[149:152], v1 offset:1168
	s_wait_loadcnt_dscnt 0x901
	v_mul_f64_e32 v[157:158], v[2:3], v[28:29]
	v_mul_f64_e32 v[28:29], v[4:5], v[28:29]
	v_add_f64_e32 v[38:39], v[38:39], v[155:156]
	v_add_f64_e32 v[44:45], v[44:45], v[143:144]
	s_wait_loadcnt_dscnt 0x800
	v_mul_f64_e32 v[143:144], v[149:150], v[32:33]
	v_mul_f64_e32 v[32:33], v[151:152], v[32:33]
	v_fma_f64 v[153:154], v[4:5], v[26:27], v[157:158]
	v_fma_f64 v[155:156], v[2:3], v[26:27], -v[28:29]
	ds_load_b128 v[2:5], v1 offset:1184
	scratch_load_b128 v[26:29], off, off offset:624
	v_add_f64_e32 v[38:39], v[38:39], v[139:140]
	v_add_f64_e32 v[44:45], v[44:45], v[141:142]
	ds_load_b128 v[139:142], v1 offset:1200
	s_wait_loadcnt_dscnt 0x801
	v_mul_f64_e32 v[157:158], v[2:3], v[36:37]
	v_mul_f64_e32 v[36:37], v[4:5], v[36:37]
	v_fma_f64 v[143:144], v[151:152], v[30:31], v[143:144]
	v_fma_f64 v[149:150], v[149:150], v[30:31], -v[32:33]
	scratch_load_b128 v[30:33], off, off offset:640
	s_wait_loadcnt_dscnt 0x800
	v_mul_f64_e32 v[151:152], v[139:140], v[42:43]
	v_add_f64_e32 v[38:39], v[38:39], v[155:156]
	v_add_f64_e32 v[44:45], v[44:45], v[153:154]
	v_mul_f64_e32 v[153:154], v[141:142], v[42:43]
	v_fma_f64 v[155:156], v[4:5], v[34:35], v[157:158]
	v_fma_f64 v[157:158], v[2:3], v[34:35], -v[36:37]
	ds_load_b128 v[2:5], v1 offset:1216
	scratch_load_b128 v[34:37], off, off offset:656
	v_fma_f64 v[141:142], v[141:142], v[40:41], v[151:152]
	v_add_f64_e32 v[38:39], v[38:39], v[149:150]
	v_add_f64_e32 v[143:144], v[44:45], v[143:144]
	ds_load_b128 v[42:45], v1 offset:1232
	v_fma_f64 v[139:140], v[139:140], v[40:41], -v[153:154]
	s_wait_loadcnt_dscnt 0x701
	v_mul_f64_e32 v[149:150], v[2:3], v[147:148]
	v_mul_f64_e32 v[147:148], v[4:5], v[147:148]
	s_wait_dscnt 0x0
	v_mul_f64_e32 v[153:154], v[42:43], v[8:9]
	v_mul_f64_e32 v[8:9], v[44:45], v[8:9]
	v_add_f64_e32 v[151:152], v[38:39], v[157:158]
	v_add_f64_e32 v[143:144], v[143:144], v[155:156]
	scratch_load_b128 v[38:41], off, off offset:672
	v_fma_f64 v[149:150], v[4:5], v[145:146], v[149:150]
	v_fma_f64 v[147:148], v[2:3], v[145:146], -v[147:148]
	ds_load_b128 v[2:5], v1 offset:1248
	v_fma_f64 v[44:45], v[44:45], v[6:7], v[153:154]
	v_fma_f64 v[42:43], v[42:43], v[6:7], -v[8:9]
	scratch_load_b128 v[6:9], off, off offset:704
	v_add_f64_e32 v[151:152], v[151:152], v[139:140]
	v_add_f64_e32 v[155:156], v[143:144], v[141:142]
	scratch_load_b128 v[139:142], off, off offset:688
	ds_load_b128 v[143:146], v1 offset:1264
	s_wait_loadcnt_dscnt 0x901
	v_mul_f64_e32 v[157:158], v[2:3], v[12:13]
	v_mul_f64_e32 v[12:13], v[4:5], v[12:13]
	v_add_f64_e32 v[147:148], v[151:152], v[147:148]
	v_add_f64_e32 v[149:150], v[155:156], v[149:150]
	s_wait_loadcnt_dscnt 0x800
	v_mul_f64_e32 v[151:152], v[143:144], v[16:17]
	v_mul_f64_e32 v[16:17], v[145:146], v[16:17]
	v_fma_f64 v[153:154], v[4:5], v[10:11], v[157:158]
	v_fma_f64 v[155:156], v[2:3], v[10:11], -v[12:13]
	ds_load_b128 v[2:5], v1 offset:1280
	ds_load_b128 v[10:13], v1 offset:1296
	v_add_f64_e32 v[42:43], v[147:148], v[42:43]
	v_add_f64_e32 v[44:45], v[149:150], v[44:45]
	s_wait_loadcnt_dscnt 0x701
	v_mul_f64_e32 v[147:148], v[2:3], v[20:21]
	v_mul_f64_e32 v[20:21], v[4:5], v[20:21]
	v_fma_f64 v[145:146], v[145:146], v[14:15], v[151:152]
	v_fma_f64 v[14:15], v[143:144], v[14:15], -v[16:17]
	v_add_f64_e32 v[16:17], v[42:43], v[155:156]
	v_add_f64_e32 v[42:43], v[44:45], v[153:154]
	s_wait_loadcnt_dscnt 0x600
	v_mul_f64_e32 v[44:45], v[10:11], v[24:25]
	v_mul_f64_e32 v[24:25], v[12:13], v[24:25]
	v_fma_f64 v[143:144], v[4:5], v[18:19], v[147:148]
	v_fma_f64 v[18:19], v[2:3], v[18:19], -v[20:21]
	v_add_f64_e32 v[20:21], v[16:17], v[14:15]
	v_add_f64_e32 v[42:43], v[42:43], v[145:146]
	ds_load_b128 v[2:5], v1 offset:1312
	ds_load_b128 v[14:17], v1 offset:1328
	v_fma_f64 v[12:13], v[12:13], v[22:23], v[44:45]
	v_fma_f64 v[10:11], v[10:11], v[22:23], -v[24:25]
	s_wait_loadcnt_dscnt 0x501
	v_mul_f64_e32 v[145:146], v[2:3], v[28:29]
	v_mul_f64_e32 v[28:29], v[4:5], v[28:29]
	s_wait_loadcnt_dscnt 0x400
	v_mul_f64_e32 v[22:23], v[14:15], v[32:33]
	v_mul_f64_e32 v[24:25], v[16:17], v[32:33]
	v_add_f64_e32 v[18:19], v[20:21], v[18:19]
	v_add_f64_e32 v[20:21], v[42:43], v[143:144]
	v_fma_f64 v[32:33], v[4:5], v[26:27], v[145:146]
	v_fma_f64 v[26:27], v[2:3], v[26:27], -v[28:29]
	v_fma_f64 v[16:17], v[16:17], v[30:31], v[22:23]
	v_fma_f64 v[14:15], v[14:15], v[30:31], -v[24:25]
	v_add_f64_e32 v[18:19], v[18:19], v[10:11]
	v_add_f64_e32 v[20:21], v[20:21], v[12:13]
	ds_load_b128 v[2:5], v1 offset:1344
	ds_load_b128 v[10:13], v1 offset:1360
	s_wait_loadcnt_dscnt 0x301
	v_mul_f64_e32 v[28:29], v[2:3], v[36:37]
	v_mul_f64_e32 v[36:37], v[4:5], v[36:37]
	v_add_f64_e32 v[18:19], v[18:19], v[26:27]
	v_add_f64_e32 v[20:21], v[20:21], v[32:33]
	s_wait_loadcnt_dscnt 0x200
	v_mul_f64_e32 v[22:23], v[10:11], v[40:41]
	v_mul_f64_e32 v[24:25], v[12:13], v[40:41]
	v_fma_f64 v[26:27], v[4:5], v[34:35], v[28:29]
	v_fma_f64 v[28:29], v[2:3], v[34:35], -v[36:37]
	v_add_f64_e32 v[18:19], v[18:19], v[14:15]
	v_add_f64_e32 v[20:21], v[20:21], v[16:17]
	ds_load_b128 v[2:5], v1 offset:1376
	ds_load_b128 v[14:17], v1 offset:1392
	v_fma_f64 v[12:13], v[12:13], v[38:39], v[22:23]
	v_fma_f64 v[10:11], v[10:11], v[38:39], -v[24:25]
	s_wait_loadcnt_dscnt 0x1
	v_mul_f64_e32 v[30:31], v[2:3], v[141:142]
	v_mul_f64_e32 v[32:33], v[4:5], v[141:142]
	s_wait_dscnt 0x0
	v_mul_f64_e32 v[22:23], v[14:15], v[8:9]
	v_mul_f64_e32 v[8:9], v[16:17], v[8:9]
	v_add_f64_e32 v[18:19], v[18:19], v[28:29]
	v_add_f64_e32 v[20:21], v[20:21], v[26:27]
	v_fma_f64 v[4:5], v[4:5], v[139:140], v[30:31]
	v_fma_f64 v[1:2], v[2:3], v[139:140], -v[32:33]
	v_fma_f64 v[16:17], v[16:17], v[6:7], v[22:23]
	v_fma_f64 v[6:7], v[14:15], v[6:7], -v[8:9]
	v_add_f64_e32 v[10:11], v[18:19], v[10:11]
	v_add_f64_e32 v[12:13], v[20:21], v[12:13]
	s_delay_alu instid0(VALU_DEP_2) | instskip(NEXT) | instid1(VALU_DEP_2)
	v_add_f64_e32 v[1:2], v[10:11], v[1:2]
	v_add_f64_e32 v[3:4], v[12:13], v[4:5]
	s_delay_alu instid0(VALU_DEP_2) | instskip(NEXT) | instid1(VALU_DEP_2)
	;; [unrolled: 3-line block ×3, first 2 shown]
	v_add_f64_e64 v[1:2], v[135:136], -v[1:2]
	v_add_f64_e64 v[3:4], v[137:138], -v[3:4]
	scratch_store_b128 off, v[1:4], off offset:192
	v_cmpx_lt_u32_e32 10, v0
	s_cbranch_execz .LBB107_257
; %bb.256:
	scratch_load_b128 v[1:4], off, s47
	v_mov_b32_e32 v5, 0
	s_delay_alu instid0(VALU_DEP_1)
	v_dual_mov_b32 v6, v5 :: v_dual_mov_b32 v7, v5
	v_mov_b32_e32 v8, v5
	scratch_store_b128 off, v[5:8], off offset:176
	s_wait_loadcnt 0x0
	ds_store_b128 v134, v[1:4]
.LBB107_257:
	s_wait_alu 0xfffe
	s_or_b32 exec_lo, exec_lo, s0
	s_wait_storecnt_dscnt 0x0
	s_barrier_signal -1
	s_barrier_wait -1
	global_inv scope:SCOPE_SE
	s_clause 0x7
	scratch_load_b128 v[2:5], off, off offset:192
	scratch_load_b128 v[6:9], off, off offset:208
	;; [unrolled: 1-line block ×8, first 2 shown]
	v_mov_b32_e32 v1, 0
	s_mov_b32 s0, exec_lo
	ds_load_b128 v[34:37], v1 offset:880
	s_clause 0x1
	scratch_load_b128 v[38:41], off, off offset:320
	scratch_load_b128 v[42:45], off, off offset:176
	ds_load_b128 v[135:138], v1 offset:896
	scratch_load_b128 v[139:142], off, off offset:336
	s_wait_loadcnt_dscnt 0xa01
	v_mul_f64_e32 v[143:144], v[36:37], v[4:5]
	v_mul_f64_e32 v[4:5], v[34:35], v[4:5]
	s_delay_alu instid0(VALU_DEP_2) | instskip(NEXT) | instid1(VALU_DEP_2)
	v_fma_f64 v[149:150], v[34:35], v[2:3], -v[143:144]
	v_fma_f64 v[151:152], v[36:37], v[2:3], v[4:5]
	ds_load_b128 v[2:5], v1 offset:912
	s_wait_loadcnt_dscnt 0x901
	v_mul_f64_e32 v[147:148], v[135:136], v[8:9]
	v_mul_f64_e32 v[8:9], v[137:138], v[8:9]
	scratch_load_b128 v[34:37], off, off offset:352
	ds_load_b128 v[143:146], v1 offset:928
	s_wait_loadcnt_dscnt 0x901
	v_mul_f64_e32 v[153:154], v[2:3], v[12:13]
	v_mul_f64_e32 v[12:13], v[4:5], v[12:13]
	v_fma_f64 v[137:138], v[137:138], v[6:7], v[147:148]
	v_fma_f64 v[135:136], v[135:136], v[6:7], -v[8:9]
	v_add_f64_e32 v[147:148], 0, v[149:150]
	v_add_f64_e32 v[149:150], 0, v[151:152]
	scratch_load_b128 v[6:9], off, off offset:368
	v_fma_f64 v[153:154], v[4:5], v[10:11], v[153:154]
	v_fma_f64 v[155:156], v[2:3], v[10:11], -v[12:13]
	ds_load_b128 v[2:5], v1 offset:944
	s_wait_loadcnt_dscnt 0x901
	v_mul_f64_e32 v[151:152], v[143:144], v[16:17]
	v_mul_f64_e32 v[16:17], v[145:146], v[16:17]
	scratch_load_b128 v[10:13], off, off offset:384
	v_add_f64_e32 v[147:148], v[147:148], v[135:136]
	v_add_f64_e32 v[149:150], v[149:150], v[137:138]
	s_wait_loadcnt_dscnt 0x900
	v_mul_f64_e32 v[157:158], v[2:3], v[20:21]
	v_mul_f64_e32 v[20:21], v[4:5], v[20:21]
	ds_load_b128 v[135:138], v1 offset:960
	v_fma_f64 v[145:146], v[145:146], v[14:15], v[151:152]
	v_fma_f64 v[143:144], v[143:144], v[14:15], -v[16:17]
	scratch_load_b128 v[14:17], off, off offset:400
	v_add_f64_e32 v[147:148], v[147:148], v[155:156]
	v_add_f64_e32 v[149:150], v[149:150], v[153:154]
	v_fma_f64 v[153:154], v[4:5], v[18:19], v[157:158]
	v_fma_f64 v[155:156], v[2:3], v[18:19], -v[20:21]
	ds_load_b128 v[2:5], v1 offset:976
	s_wait_loadcnt_dscnt 0x901
	v_mul_f64_e32 v[151:152], v[135:136], v[24:25]
	v_mul_f64_e32 v[24:25], v[137:138], v[24:25]
	scratch_load_b128 v[18:21], off, off offset:416
	s_wait_loadcnt_dscnt 0x900
	v_mul_f64_e32 v[157:158], v[2:3], v[28:29]
	v_mul_f64_e32 v[28:29], v[4:5], v[28:29]
	v_add_f64_e32 v[147:148], v[147:148], v[143:144]
	v_add_f64_e32 v[149:150], v[149:150], v[145:146]
	ds_load_b128 v[143:146], v1 offset:992
	v_fma_f64 v[137:138], v[137:138], v[22:23], v[151:152]
	v_fma_f64 v[135:136], v[135:136], v[22:23], -v[24:25]
	scratch_load_b128 v[22:25], off, off offset:432
	v_add_f64_e32 v[147:148], v[147:148], v[155:156]
	v_add_f64_e32 v[149:150], v[149:150], v[153:154]
	v_fma_f64 v[153:154], v[4:5], v[26:27], v[157:158]
	v_fma_f64 v[155:156], v[2:3], v[26:27], -v[28:29]
	ds_load_b128 v[2:5], v1 offset:1008
	s_wait_loadcnt_dscnt 0x901
	v_mul_f64_e32 v[151:152], v[143:144], v[32:33]
	v_mul_f64_e32 v[32:33], v[145:146], v[32:33]
	scratch_load_b128 v[26:29], off, off offset:448
	s_wait_loadcnt_dscnt 0x900
	v_mul_f64_e32 v[157:158], v[2:3], v[40:41]
	v_mul_f64_e32 v[40:41], v[4:5], v[40:41]
	v_add_f64_e32 v[147:148], v[147:148], v[135:136]
	v_add_f64_e32 v[149:150], v[149:150], v[137:138]
	ds_load_b128 v[135:138], v1 offset:1024
	v_fma_f64 v[145:146], v[145:146], v[30:31], v[151:152]
	v_fma_f64 v[143:144], v[143:144], v[30:31], -v[32:33]
	scratch_load_b128 v[30:33], off, off offset:464
	v_add_f64_e32 v[147:148], v[147:148], v[155:156]
	v_add_f64_e32 v[149:150], v[149:150], v[153:154]
	v_fma_f64 v[155:156], v[4:5], v[38:39], v[157:158]
	v_fma_f64 v[157:158], v[2:3], v[38:39], -v[40:41]
	ds_load_b128 v[2:5], v1 offset:1040
	s_wait_loadcnt_dscnt 0x801
	v_mul_f64_e32 v[151:152], v[135:136], v[141:142]
	v_mul_f64_e32 v[153:154], v[137:138], v[141:142]
	scratch_load_b128 v[38:41], off, off offset:480
	v_add_f64_e32 v[147:148], v[147:148], v[143:144]
	v_add_f64_e32 v[145:146], v[149:150], v[145:146]
	ds_load_b128 v[141:144], v1 offset:1056
	v_fma_f64 v[151:152], v[137:138], v[139:140], v[151:152]
	v_fma_f64 v[139:140], v[135:136], v[139:140], -v[153:154]
	scratch_load_b128 v[135:138], off, off offset:496
	s_wait_loadcnt_dscnt 0x901
	v_mul_f64_e32 v[149:150], v[2:3], v[36:37]
	v_mul_f64_e32 v[36:37], v[4:5], v[36:37]
	v_add_f64_e32 v[147:148], v[147:148], v[157:158]
	v_add_f64_e32 v[145:146], v[145:146], v[155:156]
	s_delay_alu instid0(VALU_DEP_4) | instskip(NEXT) | instid1(VALU_DEP_4)
	v_fma_f64 v[149:150], v[4:5], v[34:35], v[149:150]
	v_fma_f64 v[155:156], v[2:3], v[34:35], -v[36:37]
	ds_load_b128 v[2:5], v1 offset:1072
	s_wait_loadcnt_dscnt 0x801
	v_mul_f64_e32 v[153:154], v[141:142], v[8:9]
	v_mul_f64_e32 v[8:9], v[143:144], v[8:9]
	scratch_load_b128 v[34:37], off, off offset:512
	s_wait_loadcnt_dscnt 0x800
	v_mul_f64_e32 v[157:158], v[2:3], v[12:13]
	v_add_f64_e32 v[139:140], v[147:148], v[139:140]
	v_add_f64_e32 v[151:152], v[145:146], v[151:152]
	v_mul_f64_e32 v[12:13], v[4:5], v[12:13]
	ds_load_b128 v[145:148], v1 offset:1088
	v_fma_f64 v[143:144], v[143:144], v[6:7], v[153:154]
	v_fma_f64 v[141:142], v[141:142], v[6:7], -v[8:9]
	scratch_load_b128 v[6:9], off, off offset:528
	v_fma_f64 v[153:154], v[4:5], v[10:11], v[157:158]
	v_add_f64_e32 v[139:140], v[139:140], v[155:156]
	v_add_f64_e32 v[149:150], v[151:152], v[149:150]
	v_fma_f64 v[155:156], v[2:3], v[10:11], -v[12:13]
	ds_load_b128 v[2:5], v1 offset:1104
	s_wait_loadcnt_dscnt 0x801
	v_mul_f64_e32 v[151:152], v[145:146], v[16:17]
	v_mul_f64_e32 v[16:17], v[147:148], v[16:17]
	scratch_load_b128 v[10:13], off, off offset:544
	v_add_f64_e32 v[157:158], v[139:140], v[141:142]
	v_add_f64_e32 v[143:144], v[149:150], v[143:144]
	s_wait_loadcnt_dscnt 0x800
	v_mul_f64_e32 v[149:150], v[2:3], v[20:21]
	v_mul_f64_e32 v[20:21], v[4:5], v[20:21]
	v_fma_f64 v[147:148], v[147:148], v[14:15], v[151:152]
	v_fma_f64 v[145:146], v[145:146], v[14:15], -v[16:17]
	ds_load_b128 v[139:142], v1 offset:1120
	scratch_load_b128 v[14:17], off, off offset:560
	v_add_f64_e32 v[151:152], v[157:158], v[155:156]
	v_add_f64_e32 v[143:144], v[143:144], v[153:154]
	v_fma_f64 v[149:150], v[4:5], v[18:19], v[149:150]
	v_fma_f64 v[155:156], v[2:3], v[18:19], -v[20:21]
	ds_load_b128 v[2:5], v1 offset:1136
	s_wait_loadcnt_dscnt 0x801
	v_mul_f64_e32 v[153:154], v[139:140], v[24:25]
	v_mul_f64_e32 v[24:25], v[141:142], v[24:25]
	scratch_load_b128 v[18:21], off, off offset:576
	s_wait_loadcnt_dscnt 0x800
	v_mul_f64_e32 v[157:158], v[2:3], v[28:29]
	v_mul_f64_e32 v[28:29], v[4:5], v[28:29]
	v_add_f64_e32 v[151:152], v[151:152], v[145:146]
	v_add_f64_e32 v[147:148], v[143:144], v[147:148]
	ds_load_b128 v[143:146], v1 offset:1152
	v_fma_f64 v[141:142], v[141:142], v[22:23], v[153:154]
	v_fma_f64 v[139:140], v[139:140], v[22:23], -v[24:25]
	scratch_load_b128 v[22:25], off, off offset:592
	v_fma_f64 v[153:154], v[4:5], v[26:27], v[157:158]
	v_add_f64_e32 v[151:152], v[151:152], v[155:156]
	v_add_f64_e32 v[147:148], v[147:148], v[149:150]
	v_fma_f64 v[155:156], v[2:3], v[26:27], -v[28:29]
	ds_load_b128 v[2:5], v1 offset:1168
	s_wait_loadcnt_dscnt 0x801
	v_mul_f64_e32 v[149:150], v[143:144], v[32:33]
	v_mul_f64_e32 v[32:33], v[145:146], v[32:33]
	scratch_load_b128 v[26:29], off, off offset:608
	s_wait_loadcnt_dscnt 0x800
	v_mul_f64_e32 v[157:158], v[2:3], v[40:41]
	v_mul_f64_e32 v[40:41], v[4:5], v[40:41]
	v_add_f64_e32 v[151:152], v[151:152], v[139:140]
	v_add_f64_e32 v[147:148], v[147:148], v[141:142]
	ds_load_b128 v[139:142], v1 offset:1184
	v_fma_f64 v[145:146], v[145:146], v[30:31], v[149:150]
	v_fma_f64 v[143:144], v[143:144], v[30:31], -v[32:33]
	scratch_load_b128 v[30:33], off, off offset:624
	v_add_f64_e32 v[149:150], v[151:152], v[155:156]
	v_add_f64_e32 v[147:148], v[147:148], v[153:154]
	v_fma_f64 v[153:154], v[4:5], v[38:39], v[157:158]
	v_fma_f64 v[155:156], v[2:3], v[38:39], -v[40:41]
	ds_load_b128 v[2:5], v1 offset:1200
	s_wait_loadcnt_dscnt 0x801
	v_mul_f64_e32 v[151:152], v[139:140], v[137:138]
	v_mul_f64_e32 v[137:138], v[141:142], v[137:138]
	scratch_load_b128 v[38:41], off, off offset:640
	s_wait_loadcnt_dscnt 0x800
	v_mul_f64_e32 v[157:158], v[2:3], v[36:37]
	v_mul_f64_e32 v[36:37], v[4:5], v[36:37]
	v_add_f64_e32 v[149:150], v[149:150], v[143:144]
	v_add_f64_e32 v[147:148], v[147:148], v[145:146]
	ds_load_b128 v[143:146], v1 offset:1216
	v_fma_f64 v[141:142], v[141:142], v[135:136], v[151:152]
	v_fma_f64 v[139:140], v[139:140], v[135:136], -v[137:138]
	scratch_load_b128 v[135:138], off, off offset:656
	v_add_f64_e32 v[149:150], v[149:150], v[155:156]
	v_add_f64_e32 v[147:148], v[147:148], v[153:154]
	v_fma_f64 v[153:154], v[4:5], v[34:35], v[157:158]
	;; [unrolled: 18-line block ×3, first 2 shown]
	v_fma_f64 v[155:156], v[2:3], v[10:11], -v[12:13]
	ds_load_b128 v[2:5], v1 offset:1264
	s_wait_loadcnt_dscnt 0x801
	v_mul_f64_e32 v[151:152], v[139:140], v[16:17]
	v_mul_f64_e32 v[16:17], v[141:142], v[16:17]
	scratch_load_b128 v[10:13], off, off offset:704
	s_wait_loadcnt_dscnt 0x800
	v_mul_f64_e32 v[157:158], v[2:3], v[20:21]
	v_mul_f64_e32 v[20:21], v[4:5], v[20:21]
	v_add_f64_e32 v[149:150], v[149:150], v[143:144]
	v_add_f64_e32 v[147:148], v[147:148], v[145:146]
	ds_load_b128 v[143:146], v1 offset:1280
	v_fma_f64 v[141:142], v[141:142], v[14:15], v[151:152]
	v_fma_f64 v[14:15], v[139:140], v[14:15], -v[16:17]
	v_add_f64_e32 v[16:17], v[149:150], v[155:156]
	v_add_f64_e32 v[139:140], v[147:148], v[153:154]
	s_wait_loadcnt_dscnt 0x700
	v_mul_f64_e32 v[147:148], v[143:144], v[24:25]
	v_mul_f64_e32 v[24:25], v[145:146], v[24:25]
	v_fma_f64 v[149:150], v[4:5], v[18:19], v[157:158]
	v_fma_f64 v[18:19], v[2:3], v[18:19], -v[20:21]
	v_add_f64_e32 v[20:21], v[16:17], v[14:15]
	v_add_f64_e32 v[139:140], v[139:140], v[141:142]
	ds_load_b128 v[2:5], v1 offset:1296
	ds_load_b128 v[14:17], v1 offset:1312
	v_fma_f64 v[145:146], v[145:146], v[22:23], v[147:148]
	v_fma_f64 v[22:23], v[143:144], v[22:23], -v[24:25]
	s_wait_loadcnt_dscnt 0x601
	v_mul_f64_e32 v[141:142], v[2:3], v[28:29]
	v_mul_f64_e32 v[28:29], v[4:5], v[28:29]
	s_wait_loadcnt_dscnt 0x500
	v_mul_f64_e32 v[24:25], v[14:15], v[32:33]
	v_mul_f64_e32 v[32:33], v[16:17], v[32:33]
	v_add_f64_e32 v[18:19], v[20:21], v[18:19]
	v_add_f64_e32 v[20:21], v[139:140], v[149:150]
	v_fma_f64 v[139:140], v[4:5], v[26:27], v[141:142]
	v_fma_f64 v[26:27], v[2:3], v[26:27], -v[28:29]
	v_fma_f64 v[16:17], v[16:17], v[30:31], v[24:25]
	v_fma_f64 v[14:15], v[14:15], v[30:31], -v[32:33]
	v_add_f64_e32 v[22:23], v[18:19], v[22:23]
	v_add_f64_e32 v[28:29], v[20:21], v[145:146]
	ds_load_b128 v[2:5], v1 offset:1328
	ds_load_b128 v[18:21], v1 offset:1344
	s_wait_loadcnt_dscnt 0x401
	v_mul_f64_e32 v[141:142], v[2:3], v[40:41]
	v_mul_f64_e32 v[40:41], v[4:5], v[40:41]
	v_add_f64_e32 v[22:23], v[22:23], v[26:27]
	v_add_f64_e32 v[24:25], v[28:29], v[139:140]
	s_wait_loadcnt_dscnt 0x300
	v_mul_f64_e32 v[26:27], v[18:19], v[137:138]
	v_mul_f64_e32 v[28:29], v[20:21], v[137:138]
	v_fma_f64 v[30:31], v[4:5], v[38:39], v[141:142]
	v_fma_f64 v[32:33], v[2:3], v[38:39], -v[40:41]
	v_add_f64_e32 v[22:23], v[22:23], v[14:15]
	v_add_f64_e32 v[24:25], v[24:25], v[16:17]
	ds_load_b128 v[2:5], v1 offset:1360
	ds_load_b128 v[14:17], v1 offset:1376
	v_fma_f64 v[20:21], v[20:21], v[135:136], v[26:27]
	v_fma_f64 v[18:19], v[18:19], v[135:136], -v[28:29]
	s_wait_loadcnt_dscnt 0x201
	v_mul_f64_e32 v[38:39], v[2:3], v[36:37]
	v_mul_f64_e32 v[36:37], v[4:5], v[36:37]
	s_wait_loadcnt_dscnt 0x100
	v_mul_f64_e32 v[26:27], v[14:15], v[8:9]
	v_mul_f64_e32 v[8:9], v[16:17], v[8:9]
	v_add_f64_e32 v[22:23], v[22:23], v[32:33]
	v_add_f64_e32 v[24:25], v[24:25], v[30:31]
	v_fma_f64 v[28:29], v[4:5], v[34:35], v[38:39]
	v_fma_f64 v[30:31], v[2:3], v[34:35], -v[36:37]
	ds_load_b128 v[2:5], v1 offset:1392
	v_fma_f64 v[16:17], v[16:17], v[6:7], v[26:27]
	v_fma_f64 v[6:7], v[14:15], v[6:7], -v[8:9]
	v_add_f64_e32 v[18:19], v[22:23], v[18:19]
	v_add_f64_e32 v[20:21], v[24:25], v[20:21]
	s_wait_loadcnt_dscnt 0x0
	v_mul_f64_e32 v[22:23], v[2:3], v[12:13]
	v_mul_f64_e32 v[12:13], v[4:5], v[12:13]
	s_delay_alu instid0(VALU_DEP_4) | instskip(NEXT) | instid1(VALU_DEP_4)
	v_add_f64_e32 v[8:9], v[18:19], v[30:31]
	v_add_f64_e32 v[14:15], v[20:21], v[28:29]
	s_delay_alu instid0(VALU_DEP_4) | instskip(NEXT) | instid1(VALU_DEP_4)
	v_fma_f64 v[4:5], v[4:5], v[10:11], v[22:23]
	v_fma_f64 v[2:3], v[2:3], v[10:11], -v[12:13]
	s_delay_alu instid0(VALU_DEP_4) | instskip(NEXT) | instid1(VALU_DEP_4)
	v_add_f64_e32 v[6:7], v[8:9], v[6:7]
	v_add_f64_e32 v[8:9], v[14:15], v[16:17]
	s_delay_alu instid0(VALU_DEP_2) | instskip(NEXT) | instid1(VALU_DEP_2)
	v_add_f64_e32 v[2:3], v[6:7], v[2:3]
	v_add_f64_e32 v[4:5], v[8:9], v[4:5]
	s_delay_alu instid0(VALU_DEP_2) | instskip(NEXT) | instid1(VALU_DEP_2)
	v_add_f64_e64 v[2:3], v[42:43], -v[2:3]
	v_add_f64_e64 v[4:5], v[44:45], -v[4:5]
	scratch_store_b128 off, v[2:5], off offset:176
	v_cmpx_lt_u32_e32 9, v0
	s_cbranch_execz .LBB107_259
; %bb.258:
	scratch_load_b128 v[5:8], off, s48
	v_dual_mov_b32 v2, v1 :: v_dual_mov_b32 v3, v1
	v_mov_b32_e32 v4, v1
	scratch_store_b128 off, v[1:4], off offset:160
	s_wait_loadcnt 0x0
	ds_store_b128 v134, v[5:8]
.LBB107_259:
	s_wait_alu 0xfffe
	s_or_b32 exec_lo, exec_lo, s0
	s_wait_storecnt_dscnt 0x0
	s_barrier_signal -1
	s_barrier_wait -1
	global_inv scope:SCOPE_SE
	s_clause 0x8
	scratch_load_b128 v[2:5], off, off offset:176
	scratch_load_b128 v[6:9], off, off offset:192
	scratch_load_b128 v[10:13], off, off offset:208
	scratch_load_b128 v[14:17], off, off offset:224
	scratch_load_b128 v[18:21], off, off offset:240
	scratch_load_b128 v[22:25], off, off offset:256
	scratch_load_b128 v[26:29], off, off offset:272
	scratch_load_b128 v[30:33], off, off offset:288
	scratch_load_b128 v[34:37], off, off offset:304
	ds_load_b128 v[38:41], v1 offset:864
	ds_load_b128 v[42:45], v1 offset:880
	s_clause 0x1
	scratch_load_b128 v[135:138], off, off offset:160
	scratch_load_b128 v[139:142], off, off offset:320
	s_mov_b32 s0, exec_lo
	s_wait_loadcnt_dscnt 0xa01
	v_mul_f64_e32 v[143:144], v[40:41], v[4:5]
	v_mul_f64_e32 v[4:5], v[38:39], v[4:5]
	s_wait_loadcnt_dscnt 0x900
	v_mul_f64_e32 v[147:148], v[42:43], v[8:9]
	v_mul_f64_e32 v[8:9], v[44:45], v[8:9]
	s_delay_alu instid0(VALU_DEP_4) | instskip(NEXT) | instid1(VALU_DEP_4)
	v_fma_f64 v[149:150], v[38:39], v[2:3], -v[143:144]
	v_fma_f64 v[151:152], v[40:41], v[2:3], v[4:5]
	ds_load_b128 v[2:5], v1 offset:896
	ds_load_b128 v[143:146], v1 offset:912
	scratch_load_b128 v[38:41], off, off offset:336
	v_fma_f64 v[44:45], v[44:45], v[6:7], v[147:148]
	v_fma_f64 v[42:43], v[42:43], v[6:7], -v[8:9]
	scratch_load_b128 v[6:9], off, off offset:352
	s_wait_loadcnt_dscnt 0xa01
	v_mul_f64_e32 v[153:154], v[2:3], v[12:13]
	v_mul_f64_e32 v[12:13], v[4:5], v[12:13]
	v_add_f64_e32 v[147:148], 0, v[149:150]
	v_add_f64_e32 v[149:150], 0, v[151:152]
	s_wait_loadcnt_dscnt 0x900
	v_mul_f64_e32 v[151:152], v[143:144], v[16:17]
	v_mul_f64_e32 v[16:17], v[145:146], v[16:17]
	v_fma_f64 v[153:154], v[4:5], v[10:11], v[153:154]
	v_fma_f64 v[155:156], v[2:3], v[10:11], -v[12:13]
	ds_load_b128 v[2:5], v1 offset:928
	scratch_load_b128 v[10:13], off, off offset:368
	v_add_f64_e32 v[147:148], v[147:148], v[42:43]
	v_add_f64_e32 v[149:150], v[149:150], v[44:45]
	ds_load_b128 v[42:45], v1 offset:944
	v_fma_f64 v[145:146], v[145:146], v[14:15], v[151:152]
	v_fma_f64 v[143:144], v[143:144], v[14:15], -v[16:17]
	scratch_load_b128 v[14:17], off, off offset:384
	s_wait_loadcnt_dscnt 0xa01
	v_mul_f64_e32 v[157:158], v[2:3], v[20:21]
	v_mul_f64_e32 v[20:21], v[4:5], v[20:21]
	s_wait_loadcnt_dscnt 0x900
	v_mul_f64_e32 v[151:152], v[42:43], v[24:25]
	v_mul_f64_e32 v[24:25], v[44:45], v[24:25]
	v_add_f64_e32 v[147:148], v[147:148], v[155:156]
	v_add_f64_e32 v[149:150], v[149:150], v[153:154]
	v_fma_f64 v[153:154], v[4:5], v[18:19], v[157:158]
	v_fma_f64 v[155:156], v[2:3], v[18:19], -v[20:21]
	ds_load_b128 v[2:5], v1 offset:960
	scratch_load_b128 v[18:21], off, off offset:400
	v_fma_f64 v[44:45], v[44:45], v[22:23], v[151:152]
	v_fma_f64 v[42:43], v[42:43], v[22:23], -v[24:25]
	scratch_load_b128 v[22:25], off, off offset:416
	v_add_f64_e32 v[147:148], v[147:148], v[143:144]
	v_add_f64_e32 v[149:150], v[149:150], v[145:146]
	ds_load_b128 v[143:146], v1 offset:976
	s_wait_loadcnt_dscnt 0xa01
	v_mul_f64_e32 v[157:158], v[2:3], v[28:29]
	v_mul_f64_e32 v[28:29], v[4:5], v[28:29]
	s_wait_loadcnt_dscnt 0x900
	v_mul_f64_e32 v[151:152], v[143:144], v[32:33]
	v_mul_f64_e32 v[32:33], v[145:146], v[32:33]
	v_add_f64_e32 v[147:148], v[147:148], v[155:156]
	v_add_f64_e32 v[149:150], v[149:150], v[153:154]
	v_fma_f64 v[153:154], v[4:5], v[26:27], v[157:158]
	v_fma_f64 v[155:156], v[2:3], v[26:27], -v[28:29]
	ds_load_b128 v[2:5], v1 offset:992
	scratch_load_b128 v[26:29], off, off offset:432
	v_fma_f64 v[145:146], v[145:146], v[30:31], v[151:152]
	v_fma_f64 v[143:144], v[143:144], v[30:31], -v[32:33]
	scratch_load_b128 v[30:33], off, off offset:448
	v_add_f64_e32 v[147:148], v[147:148], v[42:43]
	v_add_f64_e32 v[149:150], v[149:150], v[44:45]
	ds_load_b128 v[42:45], v1 offset:1008
	s_wait_loadcnt_dscnt 0xa01
	v_mul_f64_e32 v[157:158], v[2:3], v[36:37]
	v_mul_f64_e32 v[36:37], v[4:5], v[36:37]
	s_wait_loadcnt_dscnt 0x800
	v_mul_f64_e32 v[151:152], v[42:43], v[141:142]
	v_add_f64_e32 v[147:148], v[147:148], v[155:156]
	v_add_f64_e32 v[149:150], v[149:150], v[153:154]
	v_mul_f64_e32 v[153:154], v[44:45], v[141:142]
	v_fma_f64 v[155:156], v[4:5], v[34:35], v[157:158]
	v_fma_f64 v[157:158], v[2:3], v[34:35], -v[36:37]
	ds_load_b128 v[2:5], v1 offset:1024
	scratch_load_b128 v[34:37], off, off offset:464
	v_fma_f64 v[44:45], v[44:45], v[139:140], v[151:152]
	v_add_f64_e32 v[147:148], v[147:148], v[143:144]
	v_add_f64_e32 v[145:146], v[149:150], v[145:146]
	ds_load_b128 v[141:144], v1 offset:1040
	v_fma_f64 v[139:140], v[42:43], v[139:140], -v[153:154]
	s_wait_loadcnt_dscnt 0x801
	v_mul_f64_e32 v[149:150], v[2:3], v[40:41]
	v_mul_f64_e32 v[159:160], v[4:5], v[40:41]
	scratch_load_b128 v[40:43], off, off offset:480
	s_wait_loadcnt_dscnt 0x800
	v_mul_f64_e32 v[153:154], v[141:142], v[8:9]
	v_mul_f64_e32 v[8:9], v[143:144], v[8:9]
	v_add_f64_e32 v[147:148], v[147:148], v[157:158]
	v_add_f64_e32 v[145:146], v[145:146], v[155:156]
	v_fma_f64 v[155:156], v[4:5], v[38:39], v[149:150]
	v_fma_f64 v[38:39], v[2:3], v[38:39], -v[159:160]
	ds_load_b128 v[2:5], v1 offset:1056
	ds_load_b128 v[149:152], v1 offset:1072
	v_fma_f64 v[143:144], v[143:144], v[6:7], v[153:154]
	v_fma_f64 v[141:142], v[141:142], v[6:7], -v[8:9]
	scratch_load_b128 v[6:9], off, off offset:512
	v_add_f64_e32 v[139:140], v[147:148], v[139:140]
	v_add_f64_e32 v[44:45], v[145:146], v[44:45]
	scratch_load_b128 v[145:148], off, off offset:496
	s_wait_loadcnt_dscnt 0x901
	v_mul_f64_e32 v[157:158], v[2:3], v[12:13]
	v_mul_f64_e32 v[12:13], v[4:5], v[12:13]
	s_wait_loadcnt_dscnt 0x800
	v_mul_f64_e32 v[153:154], v[149:150], v[16:17]
	v_mul_f64_e32 v[16:17], v[151:152], v[16:17]
	v_add_f64_e32 v[38:39], v[139:140], v[38:39]
	v_add_f64_e32 v[44:45], v[44:45], v[155:156]
	v_fma_f64 v[155:156], v[4:5], v[10:11], v[157:158]
	v_fma_f64 v[157:158], v[2:3], v[10:11], -v[12:13]
	ds_load_b128 v[2:5], v1 offset:1088
	scratch_load_b128 v[10:13], off, off offset:528
	v_fma_f64 v[151:152], v[151:152], v[14:15], v[153:154]
	v_fma_f64 v[149:150], v[149:150], v[14:15], -v[16:17]
	scratch_load_b128 v[14:17], off, off offset:544
	v_add_f64_e32 v[38:39], v[38:39], v[141:142]
	v_add_f64_e32 v[44:45], v[44:45], v[143:144]
	ds_load_b128 v[139:142], v1 offset:1104
	s_wait_loadcnt_dscnt 0x901
	v_mul_f64_e32 v[143:144], v[2:3], v[20:21]
	v_mul_f64_e32 v[20:21], v[4:5], v[20:21]
	s_wait_loadcnt_dscnt 0x800
	v_mul_f64_e32 v[153:154], v[139:140], v[24:25]
	v_mul_f64_e32 v[24:25], v[141:142], v[24:25]
	v_add_f64_e32 v[38:39], v[38:39], v[157:158]
	v_add_f64_e32 v[44:45], v[44:45], v[155:156]
	v_fma_f64 v[143:144], v[4:5], v[18:19], v[143:144]
	v_fma_f64 v[155:156], v[2:3], v[18:19], -v[20:21]
	ds_load_b128 v[2:5], v1 offset:1120
	scratch_load_b128 v[18:21], off, off offset:560
	v_fma_f64 v[141:142], v[141:142], v[22:23], v[153:154]
	v_fma_f64 v[139:140], v[139:140], v[22:23], -v[24:25]
	scratch_load_b128 v[22:25], off, off offset:576
	v_add_f64_e32 v[38:39], v[38:39], v[149:150]
	v_add_f64_e32 v[44:45], v[44:45], v[151:152]
	ds_load_b128 v[149:152], v1 offset:1136
	s_wait_loadcnt_dscnt 0x901
	v_mul_f64_e32 v[157:158], v[2:3], v[28:29]
	v_mul_f64_e32 v[28:29], v[4:5], v[28:29]
	v_add_f64_e32 v[38:39], v[38:39], v[155:156]
	v_add_f64_e32 v[44:45], v[44:45], v[143:144]
	s_wait_loadcnt_dscnt 0x800
	v_mul_f64_e32 v[143:144], v[149:150], v[32:33]
	v_mul_f64_e32 v[32:33], v[151:152], v[32:33]
	v_fma_f64 v[153:154], v[4:5], v[26:27], v[157:158]
	v_fma_f64 v[155:156], v[2:3], v[26:27], -v[28:29]
	ds_load_b128 v[2:5], v1 offset:1152
	scratch_load_b128 v[26:29], off, off offset:592
	v_add_f64_e32 v[38:39], v[38:39], v[139:140]
	v_add_f64_e32 v[44:45], v[44:45], v[141:142]
	ds_load_b128 v[139:142], v1 offset:1168
	s_wait_loadcnt_dscnt 0x801
	v_mul_f64_e32 v[157:158], v[2:3], v[36:37]
	v_mul_f64_e32 v[36:37], v[4:5], v[36:37]
	v_fma_f64 v[143:144], v[151:152], v[30:31], v[143:144]
	v_fma_f64 v[149:150], v[149:150], v[30:31], -v[32:33]
	scratch_load_b128 v[30:33], off, off offset:608
	s_wait_loadcnt_dscnt 0x800
	v_mul_f64_e32 v[151:152], v[139:140], v[42:43]
	v_add_f64_e32 v[38:39], v[38:39], v[155:156]
	v_add_f64_e32 v[44:45], v[44:45], v[153:154]
	v_mul_f64_e32 v[153:154], v[141:142], v[42:43]
	v_fma_f64 v[155:156], v[4:5], v[34:35], v[157:158]
	v_fma_f64 v[157:158], v[2:3], v[34:35], -v[36:37]
	ds_load_b128 v[2:5], v1 offset:1184
	scratch_load_b128 v[34:37], off, off offset:624
	v_fma_f64 v[141:142], v[141:142], v[40:41], v[151:152]
	v_add_f64_e32 v[38:39], v[38:39], v[149:150]
	v_add_f64_e32 v[143:144], v[44:45], v[143:144]
	ds_load_b128 v[42:45], v1 offset:1200
	v_fma_f64 v[139:140], v[139:140], v[40:41], -v[153:154]
	s_wait_loadcnt_dscnt 0x701
	v_mul_f64_e32 v[149:150], v[2:3], v[147:148]
	v_mul_f64_e32 v[147:148], v[4:5], v[147:148]
	s_wait_dscnt 0x0
	v_mul_f64_e32 v[153:154], v[42:43], v[8:9]
	v_mul_f64_e32 v[8:9], v[44:45], v[8:9]
	v_add_f64_e32 v[151:152], v[38:39], v[157:158]
	v_add_f64_e32 v[143:144], v[143:144], v[155:156]
	scratch_load_b128 v[38:41], off, off offset:640
	v_fma_f64 v[149:150], v[4:5], v[145:146], v[149:150]
	v_fma_f64 v[147:148], v[2:3], v[145:146], -v[147:148]
	ds_load_b128 v[2:5], v1 offset:1216
	v_fma_f64 v[44:45], v[44:45], v[6:7], v[153:154]
	v_fma_f64 v[42:43], v[42:43], v[6:7], -v[8:9]
	scratch_load_b128 v[6:9], off, off offset:672
	v_add_f64_e32 v[151:152], v[151:152], v[139:140]
	v_add_f64_e32 v[155:156], v[143:144], v[141:142]
	scratch_load_b128 v[139:142], off, off offset:656
	ds_load_b128 v[143:146], v1 offset:1232
	s_wait_loadcnt_dscnt 0x901
	v_mul_f64_e32 v[157:158], v[2:3], v[12:13]
	v_mul_f64_e32 v[12:13], v[4:5], v[12:13]
	v_add_f64_e32 v[147:148], v[151:152], v[147:148]
	v_add_f64_e32 v[149:150], v[155:156], v[149:150]
	s_wait_loadcnt_dscnt 0x800
	v_mul_f64_e32 v[151:152], v[143:144], v[16:17]
	v_mul_f64_e32 v[16:17], v[145:146], v[16:17]
	v_fma_f64 v[153:154], v[4:5], v[10:11], v[157:158]
	v_fma_f64 v[155:156], v[2:3], v[10:11], -v[12:13]
	ds_load_b128 v[2:5], v1 offset:1248
	scratch_load_b128 v[10:13], off, off offset:688
	v_add_f64_e32 v[147:148], v[147:148], v[42:43]
	v_add_f64_e32 v[149:150], v[149:150], v[44:45]
	ds_load_b128 v[42:45], v1 offset:1264
	s_wait_loadcnt_dscnt 0x801
	v_mul_f64_e32 v[157:158], v[2:3], v[20:21]
	v_mul_f64_e32 v[20:21], v[4:5], v[20:21]
	v_fma_f64 v[145:146], v[145:146], v[14:15], v[151:152]
	v_fma_f64 v[143:144], v[143:144], v[14:15], -v[16:17]
	scratch_load_b128 v[14:17], off, off offset:704
	s_wait_loadcnt_dscnt 0x800
	v_mul_f64_e32 v[151:152], v[42:43], v[24:25]
	v_mul_f64_e32 v[24:25], v[44:45], v[24:25]
	v_add_f64_e32 v[147:148], v[147:148], v[155:156]
	v_add_f64_e32 v[149:150], v[149:150], v[153:154]
	v_fma_f64 v[153:154], v[4:5], v[18:19], v[157:158]
	v_fma_f64 v[155:156], v[2:3], v[18:19], -v[20:21]
	ds_load_b128 v[2:5], v1 offset:1280
	ds_load_b128 v[18:21], v1 offset:1296
	v_fma_f64 v[44:45], v[44:45], v[22:23], v[151:152]
	v_fma_f64 v[22:23], v[42:43], v[22:23], -v[24:25]
	v_add_f64_e32 v[143:144], v[147:148], v[143:144]
	v_add_f64_e32 v[145:146], v[149:150], v[145:146]
	s_wait_loadcnt_dscnt 0x701
	v_mul_f64_e32 v[147:148], v[2:3], v[28:29]
	v_mul_f64_e32 v[28:29], v[4:5], v[28:29]
	s_delay_alu instid0(VALU_DEP_4) | instskip(NEXT) | instid1(VALU_DEP_4)
	v_add_f64_e32 v[24:25], v[143:144], v[155:156]
	v_add_f64_e32 v[42:43], v[145:146], v[153:154]
	s_wait_loadcnt_dscnt 0x600
	v_mul_f64_e32 v[143:144], v[18:19], v[32:33]
	v_mul_f64_e32 v[32:33], v[20:21], v[32:33]
	v_fma_f64 v[145:146], v[4:5], v[26:27], v[147:148]
	v_fma_f64 v[26:27], v[2:3], v[26:27], -v[28:29]
	v_add_f64_e32 v[28:29], v[24:25], v[22:23]
	v_add_f64_e32 v[42:43], v[42:43], v[44:45]
	ds_load_b128 v[2:5], v1 offset:1312
	ds_load_b128 v[22:25], v1 offset:1328
	v_fma_f64 v[20:21], v[20:21], v[30:31], v[143:144]
	v_fma_f64 v[18:19], v[18:19], v[30:31], -v[32:33]
	s_wait_loadcnt_dscnt 0x501
	v_mul_f64_e32 v[44:45], v[2:3], v[36:37]
	v_mul_f64_e32 v[36:37], v[4:5], v[36:37]
	v_add_f64_e32 v[26:27], v[28:29], v[26:27]
	v_add_f64_e32 v[28:29], v[42:43], v[145:146]
	s_wait_loadcnt_dscnt 0x400
	v_mul_f64_e32 v[30:31], v[22:23], v[40:41]
	v_mul_f64_e32 v[32:33], v[24:25], v[40:41]
	v_fma_f64 v[40:41], v[4:5], v[34:35], v[44:45]
	v_fma_f64 v[34:35], v[2:3], v[34:35], -v[36:37]
	v_add_f64_e32 v[26:27], v[26:27], v[18:19]
	v_add_f64_e32 v[28:29], v[28:29], v[20:21]
	ds_load_b128 v[2:5], v1 offset:1344
	ds_load_b128 v[18:21], v1 offset:1360
	v_fma_f64 v[24:25], v[24:25], v[38:39], v[30:31]
	v_fma_f64 v[22:23], v[22:23], v[38:39], -v[32:33]
	s_wait_loadcnt_dscnt 0x201
	v_mul_f64_e32 v[36:37], v[2:3], v[141:142]
	v_mul_f64_e32 v[42:43], v[4:5], v[141:142]
	s_wait_dscnt 0x0
	v_mul_f64_e32 v[30:31], v[18:19], v[8:9]
	v_mul_f64_e32 v[8:9], v[20:21], v[8:9]
	v_add_f64_e32 v[26:27], v[26:27], v[34:35]
	v_add_f64_e32 v[28:29], v[28:29], v[40:41]
	v_fma_f64 v[32:33], v[4:5], v[139:140], v[36:37]
	v_fma_f64 v[34:35], v[2:3], v[139:140], -v[42:43]
	v_fma_f64 v[20:21], v[20:21], v[6:7], v[30:31]
	v_fma_f64 v[6:7], v[18:19], v[6:7], -v[8:9]
	v_add_f64_e32 v[26:27], v[26:27], v[22:23]
	v_add_f64_e32 v[28:29], v[28:29], v[24:25]
	ds_load_b128 v[2:5], v1 offset:1376
	ds_load_b128 v[22:25], v1 offset:1392
	s_wait_loadcnt_dscnt 0x101
	v_mul_f64_e32 v[36:37], v[2:3], v[12:13]
	v_mul_f64_e32 v[12:13], v[4:5], v[12:13]
	v_add_f64_e32 v[8:9], v[26:27], v[34:35]
	v_add_f64_e32 v[18:19], v[28:29], v[32:33]
	s_wait_loadcnt_dscnt 0x0
	v_mul_f64_e32 v[26:27], v[22:23], v[16:17]
	v_mul_f64_e32 v[16:17], v[24:25], v[16:17]
	v_fma_f64 v[4:5], v[4:5], v[10:11], v[36:37]
	v_fma_f64 v[1:2], v[2:3], v[10:11], -v[12:13]
	v_add_f64_e32 v[6:7], v[8:9], v[6:7]
	v_add_f64_e32 v[8:9], v[18:19], v[20:21]
	v_fma_f64 v[10:11], v[24:25], v[14:15], v[26:27]
	v_fma_f64 v[12:13], v[22:23], v[14:15], -v[16:17]
	s_delay_alu instid0(VALU_DEP_4) | instskip(NEXT) | instid1(VALU_DEP_4)
	v_add_f64_e32 v[1:2], v[6:7], v[1:2]
	v_add_f64_e32 v[3:4], v[8:9], v[4:5]
	s_delay_alu instid0(VALU_DEP_2) | instskip(NEXT) | instid1(VALU_DEP_2)
	v_add_f64_e32 v[1:2], v[1:2], v[12:13]
	v_add_f64_e32 v[3:4], v[3:4], v[10:11]
	s_delay_alu instid0(VALU_DEP_2) | instskip(NEXT) | instid1(VALU_DEP_2)
	v_add_f64_e64 v[1:2], v[135:136], -v[1:2]
	v_add_f64_e64 v[3:4], v[137:138], -v[3:4]
	scratch_store_b128 off, v[1:4], off offset:160
	v_cmpx_lt_u32_e32 8, v0
	s_cbranch_execz .LBB107_261
; %bb.260:
	scratch_load_b128 v[1:4], off, s49
	v_mov_b32_e32 v5, 0
	s_delay_alu instid0(VALU_DEP_1)
	v_dual_mov_b32 v6, v5 :: v_dual_mov_b32 v7, v5
	v_mov_b32_e32 v8, v5
	scratch_store_b128 off, v[5:8], off offset:144
	s_wait_loadcnt 0x0
	ds_store_b128 v134, v[1:4]
.LBB107_261:
	s_wait_alu 0xfffe
	s_or_b32 exec_lo, exec_lo, s0
	s_wait_storecnt_dscnt 0x0
	s_barrier_signal -1
	s_barrier_wait -1
	global_inv scope:SCOPE_SE
	s_clause 0x7
	scratch_load_b128 v[2:5], off, off offset:160
	scratch_load_b128 v[6:9], off, off offset:176
	;; [unrolled: 1-line block ×8, first 2 shown]
	v_mov_b32_e32 v1, 0
	s_mov_b32 s0, exec_lo
	ds_load_b128 v[38:41], v1 offset:848
	s_clause 0x1
	scratch_load_b128 v[34:37], off, off offset:288
	scratch_load_b128 v[42:45], off, off offset:144
	ds_load_b128 v[135:138], v1 offset:864
	scratch_load_b128 v[139:142], off, off offset:304
	s_wait_loadcnt_dscnt 0xa01
	v_mul_f64_e32 v[143:144], v[40:41], v[4:5]
	v_mul_f64_e32 v[4:5], v[38:39], v[4:5]
	s_delay_alu instid0(VALU_DEP_2) | instskip(NEXT) | instid1(VALU_DEP_2)
	v_fma_f64 v[149:150], v[38:39], v[2:3], -v[143:144]
	v_fma_f64 v[151:152], v[40:41], v[2:3], v[4:5]
	ds_load_b128 v[2:5], v1 offset:880
	s_wait_loadcnt_dscnt 0x901
	v_mul_f64_e32 v[147:148], v[135:136], v[8:9]
	v_mul_f64_e32 v[8:9], v[137:138], v[8:9]
	scratch_load_b128 v[38:41], off, off offset:320
	ds_load_b128 v[143:146], v1 offset:896
	s_wait_loadcnt_dscnt 0x901
	v_mul_f64_e32 v[153:154], v[2:3], v[12:13]
	v_mul_f64_e32 v[12:13], v[4:5], v[12:13]
	v_fma_f64 v[137:138], v[137:138], v[6:7], v[147:148]
	v_fma_f64 v[135:136], v[135:136], v[6:7], -v[8:9]
	v_add_f64_e32 v[147:148], 0, v[149:150]
	v_add_f64_e32 v[149:150], 0, v[151:152]
	scratch_load_b128 v[6:9], off, off offset:336
	v_fma_f64 v[153:154], v[4:5], v[10:11], v[153:154]
	v_fma_f64 v[155:156], v[2:3], v[10:11], -v[12:13]
	ds_load_b128 v[2:5], v1 offset:912
	s_wait_loadcnt_dscnt 0x901
	v_mul_f64_e32 v[151:152], v[143:144], v[16:17]
	v_mul_f64_e32 v[16:17], v[145:146], v[16:17]
	scratch_load_b128 v[10:13], off, off offset:352
	v_add_f64_e32 v[147:148], v[147:148], v[135:136]
	v_add_f64_e32 v[149:150], v[149:150], v[137:138]
	s_wait_loadcnt_dscnt 0x900
	v_mul_f64_e32 v[157:158], v[2:3], v[20:21]
	v_mul_f64_e32 v[20:21], v[4:5], v[20:21]
	ds_load_b128 v[135:138], v1 offset:928
	v_fma_f64 v[145:146], v[145:146], v[14:15], v[151:152]
	v_fma_f64 v[143:144], v[143:144], v[14:15], -v[16:17]
	scratch_load_b128 v[14:17], off, off offset:368
	v_add_f64_e32 v[147:148], v[147:148], v[155:156]
	v_add_f64_e32 v[149:150], v[149:150], v[153:154]
	v_fma_f64 v[153:154], v[4:5], v[18:19], v[157:158]
	v_fma_f64 v[155:156], v[2:3], v[18:19], -v[20:21]
	ds_load_b128 v[2:5], v1 offset:944
	s_wait_loadcnt_dscnt 0x901
	v_mul_f64_e32 v[151:152], v[135:136], v[24:25]
	v_mul_f64_e32 v[24:25], v[137:138], v[24:25]
	scratch_load_b128 v[18:21], off, off offset:384
	s_wait_loadcnt_dscnt 0x900
	v_mul_f64_e32 v[157:158], v[2:3], v[28:29]
	v_mul_f64_e32 v[28:29], v[4:5], v[28:29]
	v_add_f64_e32 v[147:148], v[147:148], v[143:144]
	v_add_f64_e32 v[149:150], v[149:150], v[145:146]
	ds_load_b128 v[143:146], v1 offset:960
	v_fma_f64 v[137:138], v[137:138], v[22:23], v[151:152]
	v_fma_f64 v[135:136], v[135:136], v[22:23], -v[24:25]
	scratch_load_b128 v[22:25], off, off offset:400
	v_add_f64_e32 v[147:148], v[147:148], v[155:156]
	v_add_f64_e32 v[149:150], v[149:150], v[153:154]
	v_fma_f64 v[153:154], v[4:5], v[26:27], v[157:158]
	v_fma_f64 v[155:156], v[2:3], v[26:27], -v[28:29]
	ds_load_b128 v[2:5], v1 offset:976
	s_wait_loadcnt_dscnt 0x901
	v_mul_f64_e32 v[151:152], v[143:144], v[32:33]
	v_mul_f64_e32 v[32:33], v[145:146], v[32:33]
	scratch_load_b128 v[26:29], off, off offset:416
	s_wait_loadcnt_dscnt 0x900
	v_mul_f64_e32 v[157:158], v[2:3], v[36:37]
	v_mul_f64_e32 v[36:37], v[4:5], v[36:37]
	v_add_f64_e32 v[147:148], v[147:148], v[135:136]
	v_add_f64_e32 v[149:150], v[149:150], v[137:138]
	ds_load_b128 v[135:138], v1 offset:992
	v_fma_f64 v[145:146], v[145:146], v[30:31], v[151:152]
	v_fma_f64 v[143:144], v[143:144], v[30:31], -v[32:33]
	scratch_load_b128 v[30:33], off, off offset:432
	v_add_f64_e32 v[147:148], v[147:148], v[155:156]
	v_add_f64_e32 v[149:150], v[149:150], v[153:154]
	v_fma_f64 v[155:156], v[4:5], v[34:35], v[157:158]
	v_fma_f64 v[157:158], v[2:3], v[34:35], -v[36:37]
	ds_load_b128 v[2:5], v1 offset:1008
	s_wait_loadcnt_dscnt 0x801
	v_mul_f64_e32 v[151:152], v[135:136], v[141:142]
	v_mul_f64_e32 v[153:154], v[137:138], v[141:142]
	scratch_load_b128 v[34:37], off, off offset:448
	v_add_f64_e32 v[147:148], v[147:148], v[143:144]
	v_add_f64_e32 v[145:146], v[149:150], v[145:146]
	ds_load_b128 v[141:144], v1 offset:1024
	v_fma_f64 v[151:152], v[137:138], v[139:140], v[151:152]
	v_fma_f64 v[139:140], v[135:136], v[139:140], -v[153:154]
	scratch_load_b128 v[135:138], off, off offset:464
	s_wait_loadcnt_dscnt 0x901
	v_mul_f64_e32 v[149:150], v[2:3], v[40:41]
	v_mul_f64_e32 v[40:41], v[4:5], v[40:41]
	v_add_f64_e32 v[147:148], v[147:148], v[157:158]
	v_add_f64_e32 v[145:146], v[145:146], v[155:156]
	s_delay_alu instid0(VALU_DEP_4) | instskip(NEXT) | instid1(VALU_DEP_4)
	v_fma_f64 v[149:150], v[4:5], v[38:39], v[149:150]
	v_fma_f64 v[155:156], v[2:3], v[38:39], -v[40:41]
	ds_load_b128 v[2:5], v1 offset:1040
	s_wait_loadcnt_dscnt 0x801
	v_mul_f64_e32 v[153:154], v[141:142], v[8:9]
	v_mul_f64_e32 v[8:9], v[143:144], v[8:9]
	scratch_load_b128 v[38:41], off, off offset:480
	s_wait_loadcnt_dscnt 0x800
	v_mul_f64_e32 v[157:158], v[2:3], v[12:13]
	v_add_f64_e32 v[139:140], v[147:148], v[139:140]
	v_add_f64_e32 v[151:152], v[145:146], v[151:152]
	v_mul_f64_e32 v[12:13], v[4:5], v[12:13]
	ds_load_b128 v[145:148], v1 offset:1056
	v_fma_f64 v[143:144], v[143:144], v[6:7], v[153:154]
	v_fma_f64 v[141:142], v[141:142], v[6:7], -v[8:9]
	scratch_load_b128 v[6:9], off, off offset:496
	v_fma_f64 v[153:154], v[4:5], v[10:11], v[157:158]
	v_add_f64_e32 v[139:140], v[139:140], v[155:156]
	v_add_f64_e32 v[149:150], v[151:152], v[149:150]
	v_fma_f64 v[155:156], v[2:3], v[10:11], -v[12:13]
	ds_load_b128 v[2:5], v1 offset:1072
	s_wait_loadcnt_dscnt 0x801
	v_mul_f64_e32 v[151:152], v[145:146], v[16:17]
	v_mul_f64_e32 v[16:17], v[147:148], v[16:17]
	scratch_load_b128 v[10:13], off, off offset:512
	v_add_f64_e32 v[157:158], v[139:140], v[141:142]
	v_add_f64_e32 v[143:144], v[149:150], v[143:144]
	s_wait_loadcnt_dscnt 0x800
	v_mul_f64_e32 v[149:150], v[2:3], v[20:21]
	v_mul_f64_e32 v[20:21], v[4:5], v[20:21]
	v_fma_f64 v[147:148], v[147:148], v[14:15], v[151:152]
	v_fma_f64 v[145:146], v[145:146], v[14:15], -v[16:17]
	ds_load_b128 v[139:142], v1 offset:1088
	scratch_load_b128 v[14:17], off, off offset:528
	v_add_f64_e32 v[151:152], v[157:158], v[155:156]
	v_add_f64_e32 v[143:144], v[143:144], v[153:154]
	v_fma_f64 v[149:150], v[4:5], v[18:19], v[149:150]
	v_fma_f64 v[155:156], v[2:3], v[18:19], -v[20:21]
	ds_load_b128 v[2:5], v1 offset:1104
	s_wait_loadcnt_dscnt 0x801
	v_mul_f64_e32 v[153:154], v[139:140], v[24:25]
	v_mul_f64_e32 v[24:25], v[141:142], v[24:25]
	scratch_load_b128 v[18:21], off, off offset:544
	s_wait_loadcnt_dscnt 0x800
	v_mul_f64_e32 v[157:158], v[2:3], v[28:29]
	v_mul_f64_e32 v[28:29], v[4:5], v[28:29]
	v_add_f64_e32 v[151:152], v[151:152], v[145:146]
	v_add_f64_e32 v[147:148], v[143:144], v[147:148]
	ds_load_b128 v[143:146], v1 offset:1120
	v_fma_f64 v[141:142], v[141:142], v[22:23], v[153:154]
	v_fma_f64 v[139:140], v[139:140], v[22:23], -v[24:25]
	scratch_load_b128 v[22:25], off, off offset:560
	v_fma_f64 v[153:154], v[4:5], v[26:27], v[157:158]
	v_add_f64_e32 v[151:152], v[151:152], v[155:156]
	v_add_f64_e32 v[147:148], v[147:148], v[149:150]
	v_fma_f64 v[155:156], v[2:3], v[26:27], -v[28:29]
	ds_load_b128 v[2:5], v1 offset:1136
	s_wait_loadcnt_dscnt 0x801
	v_mul_f64_e32 v[149:150], v[143:144], v[32:33]
	v_mul_f64_e32 v[32:33], v[145:146], v[32:33]
	scratch_load_b128 v[26:29], off, off offset:576
	s_wait_loadcnt_dscnt 0x800
	v_mul_f64_e32 v[157:158], v[2:3], v[36:37]
	v_mul_f64_e32 v[36:37], v[4:5], v[36:37]
	v_add_f64_e32 v[151:152], v[151:152], v[139:140]
	v_add_f64_e32 v[147:148], v[147:148], v[141:142]
	ds_load_b128 v[139:142], v1 offset:1152
	v_fma_f64 v[145:146], v[145:146], v[30:31], v[149:150]
	v_fma_f64 v[143:144], v[143:144], v[30:31], -v[32:33]
	scratch_load_b128 v[30:33], off, off offset:592
	v_add_f64_e32 v[149:150], v[151:152], v[155:156]
	v_add_f64_e32 v[147:148], v[147:148], v[153:154]
	v_fma_f64 v[153:154], v[4:5], v[34:35], v[157:158]
	v_fma_f64 v[155:156], v[2:3], v[34:35], -v[36:37]
	ds_load_b128 v[2:5], v1 offset:1168
	s_wait_loadcnt_dscnt 0x801
	v_mul_f64_e32 v[151:152], v[139:140], v[137:138]
	v_mul_f64_e32 v[137:138], v[141:142], v[137:138]
	scratch_load_b128 v[34:37], off, off offset:608
	s_wait_loadcnt_dscnt 0x800
	v_mul_f64_e32 v[157:158], v[2:3], v[40:41]
	v_mul_f64_e32 v[40:41], v[4:5], v[40:41]
	v_add_f64_e32 v[149:150], v[149:150], v[143:144]
	v_add_f64_e32 v[147:148], v[147:148], v[145:146]
	ds_load_b128 v[143:146], v1 offset:1184
	v_fma_f64 v[141:142], v[141:142], v[135:136], v[151:152]
	v_fma_f64 v[139:140], v[139:140], v[135:136], -v[137:138]
	scratch_load_b128 v[135:138], off, off offset:624
	v_add_f64_e32 v[149:150], v[149:150], v[155:156]
	v_add_f64_e32 v[147:148], v[147:148], v[153:154]
	v_fma_f64 v[153:154], v[4:5], v[38:39], v[157:158]
	;; [unrolled: 18-line block ×4, first 2 shown]
	v_fma_f64 v[155:156], v[2:3], v[18:19], -v[20:21]
	ds_load_b128 v[2:5], v1 offset:1264
	s_wait_loadcnt_dscnt 0x801
	v_mul_f64_e32 v[151:152], v[143:144], v[24:25]
	v_mul_f64_e32 v[24:25], v[145:146], v[24:25]
	scratch_load_b128 v[18:21], off, off offset:704
	s_wait_loadcnt_dscnt 0x800
	v_mul_f64_e32 v[157:158], v[2:3], v[28:29]
	v_mul_f64_e32 v[28:29], v[4:5], v[28:29]
	v_add_f64_e32 v[149:150], v[149:150], v[139:140]
	v_add_f64_e32 v[147:148], v[147:148], v[141:142]
	ds_load_b128 v[139:142], v1 offset:1280
	v_fma_f64 v[145:146], v[145:146], v[22:23], v[151:152]
	v_fma_f64 v[22:23], v[143:144], v[22:23], -v[24:25]
	v_add_f64_e32 v[24:25], v[149:150], v[155:156]
	v_add_f64_e32 v[143:144], v[147:148], v[153:154]
	s_wait_loadcnt_dscnt 0x700
	v_mul_f64_e32 v[147:148], v[139:140], v[32:33]
	v_mul_f64_e32 v[32:33], v[141:142], v[32:33]
	v_fma_f64 v[149:150], v[4:5], v[26:27], v[157:158]
	v_fma_f64 v[26:27], v[2:3], v[26:27], -v[28:29]
	v_add_f64_e32 v[28:29], v[24:25], v[22:23]
	v_add_f64_e32 v[143:144], v[143:144], v[145:146]
	ds_load_b128 v[2:5], v1 offset:1296
	ds_load_b128 v[22:25], v1 offset:1312
	v_fma_f64 v[141:142], v[141:142], v[30:31], v[147:148]
	v_fma_f64 v[30:31], v[139:140], v[30:31], -v[32:33]
	s_wait_loadcnt_dscnt 0x601
	v_mul_f64_e32 v[145:146], v[2:3], v[36:37]
	v_mul_f64_e32 v[36:37], v[4:5], v[36:37]
	s_wait_loadcnt_dscnt 0x500
	v_mul_f64_e32 v[32:33], v[22:23], v[137:138]
	v_mul_f64_e32 v[137:138], v[24:25], v[137:138]
	v_add_f64_e32 v[26:27], v[28:29], v[26:27]
	v_add_f64_e32 v[28:29], v[143:144], v[149:150]
	v_fma_f64 v[139:140], v[4:5], v[34:35], v[145:146]
	v_fma_f64 v[34:35], v[2:3], v[34:35], -v[36:37]
	v_fma_f64 v[24:25], v[24:25], v[135:136], v[32:33]
	v_fma_f64 v[22:23], v[22:23], v[135:136], -v[137:138]
	v_add_f64_e32 v[30:31], v[26:27], v[30:31]
	v_add_f64_e32 v[36:37], v[28:29], v[141:142]
	ds_load_b128 v[2:5], v1 offset:1328
	ds_load_b128 v[26:29], v1 offset:1344
	s_wait_loadcnt_dscnt 0x401
	v_mul_f64_e32 v[141:142], v[2:3], v[40:41]
	v_mul_f64_e32 v[40:41], v[4:5], v[40:41]
	v_add_f64_e32 v[30:31], v[30:31], v[34:35]
	v_add_f64_e32 v[32:33], v[36:37], v[139:140]
	s_wait_loadcnt_dscnt 0x300
	v_mul_f64_e32 v[34:35], v[26:27], v[8:9]
	v_mul_f64_e32 v[8:9], v[28:29], v[8:9]
	v_fma_f64 v[36:37], v[4:5], v[38:39], v[141:142]
	v_fma_f64 v[38:39], v[2:3], v[38:39], -v[40:41]
	v_add_f64_e32 v[30:31], v[30:31], v[22:23]
	v_add_f64_e32 v[32:33], v[32:33], v[24:25]
	ds_load_b128 v[2:5], v1 offset:1360
	ds_load_b128 v[22:25], v1 offset:1376
	v_fma_f64 v[28:29], v[28:29], v[6:7], v[34:35]
	v_fma_f64 v[6:7], v[26:27], v[6:7], -v[8:9]
	s_wait_loadcnt_dscnt 0x201
	v_mul_f64_e32 v[40:41], v[2:3], v[12:13]
	v_mul_f64_e32 v[12:13], v[4:5], v[12:13]
	v_add_f64_e32 v[8:9], v[30:31], v[38:39]
	v_add_f64_e32 v[26:27], v[32:33], v[36:37]
	s_wait_loadcnt_dscnt 0x100
	v_mul_f64_e32 v[30:31], v[22:23], v[16:17]
	v_mul_f64_e32 v[16:17], v[24:25], v[16:17]
	v_fma_f64 v[32:33], v[4:5], v[10:11], v[40:41]
	v_fma_f64 v[10:11], v[2:3], v[10:11], -v[12:13]
	ds_load_b128 v[2:5], v1 offset:1392
	v_add_f64_e32 v[6:7], v[8:9], v[6:7]
	v_add_f64_e32 v[8:9], v[26:27], v[28:29]
	v_fma_f64 v[24:25], v[24:25], v[14:15], v[30:31]
	v_fma_f64 v[14:15], v[22:23], v[14:15], -v[16:17]
	s_wait_loadcnt_dscnt 0x0
	v_mul_f64_e32 v[12:13], v[2:3], v[20:21]
	v_mul_f64_e32 v[20:21], v[4:5], v[20:21]
	v_add_f64_e32 v[6:7], v[6:7], v[10:11]
	v_add_f64_e32 v[8:9], v[8:9], v[32:33]
	s_delay_alu instid0(VALU_DEP_4) | instskip(NEXT) | instid1(VALU_DEP_4)
	v_fma_f64 v[4:5], v[4:5], v[18:19], v[12:13]
	v_fma_f64 v[2:3], v[2:3], v[18:19], -v[20:21]
	s_delay_alu instid0(VALU_DEP_4) | instskip(NEXT) | instid1(VALU_DEP_4)
	v_add_f64_e32 v[6:7], v[6:7], v[14:15]
	v_add_f64_e32 v[8:9], v[8:9], v[24:25]
	s_delay_alu instid0(VALU_DEP_2) | instskip(NEXT) | instid1(VALU_DEP_2)
	v_add_f64_e32 v[2:3], v[6:7], v[2:3]
	v_add_f64_e32 v[4:5], v[8:9], v[4:5]
	s_delay_alu instid0(VALU_DEP_2) | instskip(NEXT) | instid1(VALU_DEP_2)
	v_add_f64_e64 v[2:3], v[42:43], -v[2:3]
	v_add_f64_e64 v[4:5], v[44:45], -v[4:5]
	scratch_store_b128 off, v[2:5], off offset:144
	v_cmpx_lt_u32_e32 7, v0
	s_cbranch_execz .LBB107_263
; %bb.262:
	scratch_load_b128 v[5:8], off, s50
	v_dual_mov_b32 v2, v1 :: v_dual_mov_b32 v3, v1
	v_mov_b32_e32 v4, v1
	scratch_store_b128 off, v[1:4], off offset:128
	s_wait_loadcnt 0x0
	ds_store_b128 v134, v[5:8]
.LBB107_263:
	s_wait_alu 0xfffe
	s_or_b32 exec_lo, exec_lo, s0
	s_wait_storecnt_dscnt 0x0
	s_barrier_signal -1
	s_barrier_wait -1
	global_inv scope:SCOPE_SE
	s_clause 0x8
	scratch_load_b128 v[2:5], off, off offset:144
	scratch_load_b128 v[6:9], off, off offset:160
	;; [unrolled: 1-line block ×9, first 2 shown]
	ds_load_b128 v[38:41], v1 offset:832
	ds_load_b128 v[42:45], v1 offset:848
	s_clause 0x1
	scratch_load_b128 v[135:138], off, off offset:128
	scratch_load_b128 v[139:142], off, off offset:288
	s_mov_b32 s0, exec_lo
	s_wait_loadcnt_dscnt 0xa01
	v_mul_f64_e32 v[143:144], v[40:41], v[4:5]
	v_mul_f64_e32 v[4:5], v[38:39], v[4:5]
	s_wait_loadcnt_dscnt 0x900
	v_mul_f64_e32 v[147:148], v[42:43], v[8:9]
	v_mul_f64_e32 v[8:9], v[44:45], v[8:9]
	s_delay_alu instid0(VALU_DEP_4) | instskip(NEXT) | instid1(VALU_DEP_4)
	v_fma_f64 v[149:150], v[38:39], v[2:3], -v[143:144]
	v_fma_f64 v[151:152], v[40:41], v[2:3], v[4:5]
	ds_load_b128 v[2:5], v1 offset:864
	ds_load_b128 v[143:146], v1 offset:880
	scratch_load_b128 v[38:41], off, off offset:304
	v_fma_f64 v[44:45], v[44:45], v[6:7], v[147:148]
	v_fma_f64 v[42:43], v[42:43], v[6:7], -v[8:9]
	scratch_load_b128 v[6:9], off, off offset:320
	s_wait_loadcnt_dscnt 0xa01
	v_mul_f64_e32 v[153:154], v[2:3], v[12:13]
	v_mul_f64_e32 v[12:13], v[4:5], v[12:13]
	v_add_f64_e32 v[147:148], 0, v[149:150]
	v_add_f64_e32 v[149:150], 0, v[151:152]
	s_wait_loadcnt_dscnt 0x900
	v_mul_f64_e32 v[151:152], v[143:144], v[16:17]
	v_mul_f64_e32 v[16:17], v[145:146], v[16:17]
	v_fma_f64 v[153:154], v[4:5], v[10:11], v[153:154]
	v_fma_f64 v[155:156], v[2:3], v[10:11], -v[12:13]
	ds_load_b128 v[2:5], v1 offset:896
	scratch_load_b128 v[10:13], off, off offset:336
	v_add_f64_e32 v[147:148], v[147:148], v[42:43]
	v_add_f64_e32 v[149:150], v[149:150], v[44:45]
	ds_load_b128 v[42:45], v1 offset:912
	v_fma_f64 v[145:146], v[145:146], v[14:15], v[151:152]
	v_fma_f64 v[143:144], v[143:144], v[14:15], -v[16:17]
	scratch_load_b128 v[14:17], off, off offset:352
	s_wait_loadcnt_dscnt 0xa01
	v_mul_f64_e32 v[157:158], v[2:3], v[20:21]
	v_mul_f64_e32 v[20:21], v[4:5], v[20:21]
	s_wait_loadcnt_dscnt 0x900
	v_mul_f64_e32 v[151:152], v[42:43], v[24:25]
	v_mul_f64_e32 v[24:25], v[44:45], v[24:25]
	v_add_f64_e32 v[147:148], v[147:148], v[155:156]
	v_add_f64_e32 v[149:150], v[149:150], v[153:154]
	v_fma_f64 v[153:154], v[4:5], v[18:19], v[157:158]
	v_fma_f64 v[155:156], v[2:3], v[18:19], -v[20:21]
	ds_load_b128 v[2:5], v1 offset:928
	scratch_load_b128 v[18:21], off, off offset:368
	v_fma_f64 v[44:45], v[44:45], v[22:23], v[151:152]
	v_fma_f64 v[42:43], v[42:43], v[22:23], -v[24:25]
	scratch_load_b128 v[22:25], off, off offset:384
	v_add_f64_e32 v[147:148], v[147:148], v[143:144]
	v_add_f64_e32 v[149:150], v[149:150], v[145:146]
	ds_load_b128 v[143:146], v1 offset:944
	s_wait_loadcnt_dscnt 0xa01
	v_mul_f64_e32 v[157:158], v[2:3], v[28:29]
	v_mul_f64_e32 v[28:29], v[4:5], v[28:29]
	s_wait_loadcnt_dscnt 0x900
	v_mul_f64_e32 v[151:152], v[143:144], v[32:33]
	v_mul_f64_e32 v[32:33], v[145:146], v[32:33]
	v_add_f64_e32 v[147:148], v[147:148], v[155:156]
	v_add_f64_e32 v[149:150], v[149:150], v[153:154]
	v_fma_f64 v[153:154], v[4:5], v[26:27], v[157:158]
	v_fma_f64 v[155:156], v[2:3], v[26:27], -v[28:29]
	ds_load_b128 v[2:5], v1 offset:960
	scratch_load_b128 v[26:29], off, off offset:400
	v_fma_f64 v[145:146], v[145:146], v[30:31], v[151:152]
	v_fma_f64 v[143:144], v[143:144], v[30:31], -v[32:33]
	scratch_load_b128 v[30:33], off, off offset:416
	v_add_f64_e32 v[147:148], v[147:148], v[42:43]
	v_add_f64_e32 v[149:150], v[149:150], v[44:45]
	ds_load_b128 v[42:45], v1 offset:976
	s_wait_loadcnt_dscnt 0xa01
	v_mul_f64_e32 v[157:158], v[2:3], v[36:37]
	v_mul_f64_e32 v[36:37], v[4:5], v[36:37]
	s_wait_loadcnt_dscnt 0x800
	v_mul_f64_e32 v[151:152], v[42:43], v[141:142]
	v_add_f64_e32 v[147:148], v[147:148], v[155:156]
	v_add_f64_e32 v[149:150], v[149:150], v[153:154]
	v_mul_f64_e32 v[153:154], v[44:45], v[141:142]
	v_fma_f64 v[155:156], v[4:5], v[34:35], v[157:158]
	v_fma_f64 v[157:158], v[2:3], v[34:35], -v[36:37]
	ds_load_b128 v[2:5], v1 offset:992
	scratch_load_b128 v[34:37], off, off offset:432
	v_fma_f64 v[44:45], v[44:45], v[139:140], v[151:152]
	v_add_f64_e32 v[147:148], v[147:148], v[143:144]
	v_add_f64_e32 v[145:146], v[149:150], v[145:146]
	ds_load_b128 v[141:144], v1 offset:1008
	v_fma_f64 v[139:140], v[42:43], v[139:140], -v[153:154]
	s_wait_loadcnt_dscnt 0x801
	v_mul_f64_e32 v[149:150], v[2:3], v[40:41]
	v_mul_f64_e32 v[159:160], v[4:5], v[40:41]
	scratch_load_b128 v[40:43], off, off offset:448
	s_wait_loadcnt_dscnt 0x800
	v_mul_f64_e32 v[153:154], v[141:142], v[8:9]
	v_mul_f64_e32 v[8:9], v[143:144], v[8:9]
	v_add_f64_e32 v[147:148], v[147:148], v[157:158]
	v_add_f64_e32 v[145:146], v[145:146], v[155:156]
	v_fma_f64 v[155:156], v[4:5], v[38:39], v[149:150]
	v_fma_f64 v[38:39], v[2:3], v[38:39], -v[159:160]
	ds_load_b128 v[2:5], v1 offset:1024
	ds_load_b128 v[149:152], v1 offset:1040
	v_fma_f64 v[143:144], v[143:144], v[6:7], v[153:154]
	v_fma_f64 v[141:142], v[141:142], v[6:7], -v[8:9]
	scratch_load_b128 v[6:9], off, off offset:480
	v_add_f64_e32 v[139:140], v[147:148], v[139:140]
	v_add_f64_e32 v[44:45], v[145:146], v[44:45]
	scratch_load_b128 v[145:148], off, off offset:464
	s_wait_loadcnt_dscnt 0x901
	v_mul_f64_e32 v[157:158], v[2:3], v[12:13]
	v_mul_f64_e32 v[12:13], v[4:5], v[12:13]
	s_wait_loadcnt_dscnt 0x800
	v_mul_f64_e32 v[153:154], v[149:150], v[16:17]
	v_mul_f64_e32 v[16:17], v[151:152], v[16:17]
	v_add_f64_e32 v[38:39], v[139:140], v[38:39]
	v_add_f64_e32 v[44:45], v[44:45], v[155:156]
	v_fma_f64 v[155:156], v[4:5], v[10:11], v[157:158]
	v_fma_f64 v[157:158], v[2:3], v[10:11], -v[12:13]
	ds_load_b128 v[2:5], v1 offset:1056
	scratch_load_b128 v[10:13], off, off offset:496
	v_fma_f64 v[151:152], v[151:152], v[14:15], v[153:154]
	v_fma_f64 v[149:150], v[149:150], v[14:15], -v[16:17]
	scratch_load_b128 v[14:17], off, off offset:512
	v_add_f64_e32 v[38:39], v[38:39], v[141:142]
	v_add_f64_e32 v[44:45], v[44:45], v[143:144]
	ds_load_b128 v[139:142], v1 offset:1072
	s_wait_loadcnt_dscnt 0x901
	v_mul_f64_e32 v[143:144], v[2:3], v[20:21]
	v_mul_f64_e32 v[20:21], v[4:5], v[20:21]
	s_wait_loadcnt_dscnt 0x800
	v_mul_f64_e32 v[153:154], v[139:140], v[24:25]
	v_mul_f64_e32 v[24:25], v[141:142], v[24:25]
	v_add_f64_e32 v[38:39], v[38:39], v[157:158]
	v_add_f64_e32 v[44:45], v[44:45], v[155:156]
	v_fma_f64 v[143:144], v[4:5], v[18:19], v[143:144]
	v_fma_f64 v[155:156], v[2:3], v[18:19], -v[20:21]
	ds_load_b128 v[2:5], v1 offset:1088
	scratch_load_b128 v[18:21], off, off offset:528
	v_fma_f64 v[141:142], v[141:142], v[22:23], v[153:154]
	v_fma_f64 v[139:140], v[139:140], v[22:23], -v[24:25]
	scratch_load_b128 v[22:25], off, off offset:544
	v_add_f64_e32 v[38:39], v[38:39], v[149:150]
	v_add_f64_e32 v[44:45], v[44:45], v[151:152]
	ds_load_b128 v[149:152], v1 offset:1104
	s_wait_loadcnt_dscnt 0x901
	v_mul_f64_e32 v[157:158], v[2:3], v[28:29]
	v_mul_f64_e32 v[28:29], v[4:5], v[28:29]
	v_add_f64_e32 v[38:39], v[38:39], v[155:156]
	v_add_f64_e32 v[44:45], v[44:45], v[143:144]
	s_wait_loadcnt_dscnt 0x800
	v_mul_f64_e32 v[143:144], v[149:150], v[32:33]
	v_mul_f64_e32 v[32:33], v[151:152], v[32:33]
	v_fma_f64 v[153:154], v[4:5], v[26:27], v[157:158]
	v_fma_f64 v[155:156], v[2:3], v[26:27], -v[28:29]
	ds_load_b128 v[2:5], v1 offset:1120
	scratch_load_b128 v[26:29], off, off offset:560
	v_add_f64_e32 v[38:39], v[38:39], v[139:140]
	v_add_f64_e32 v[44:45], v[44:45], v[141:142]
	ds_load_b128 v[139:142], v1 offset:1136
	s_wait_loadcnt_dscnt 0x801
	v_mul_f64_e32 v[157:158], v[2:3], v[36:37]
	v_mul_f64_e32 v[36:37], v[4:5], v[36:37]
	v_fma_f64 v[143:144], v[151:152], v[30:31], v[143:144]
	v_fma_f64 v[149:150], v[149:150], v[30:31], -v[32:33]
	scratch_load_b128 v[30:33], off, off offset:576
	s_wait_loadcnt_dscnt 0x800
	v_mul_f64_e32 v[151:152], v[139:140], v[42:43]
	v_add_f64_e32 v[38:39], v[38:39], v[155:156]
	v_add_f64_e32 v[44:45], v[44:45], v[153:154]
	v_mul_f64_e32 v[153:154], v[141:142], v[42:43]
	v_fma_f64 v[155:156], v[4:5], v[34:35], v[157:158]
	v_fma_f64 v[157:158], v[2:3], v[34:35], -v[36:37]
	ds_load_b128 v[2:5], v1 offset:1152
	scratch_load_b128 v[34:37], off, off offset:592
	v_fma_f64 v[141:142], v[141:142], v[40:41], v[151:152]
	v_add_f64_e32 v[38:39], v[38:39], v[149:150]
	v_add_f64_e32 v[143:144], v[44:45], v[143:144]
	ds_load_b128 v[42:45], v1 offset:1168
	v_fma_f64 v[139:140], v[139:140], v[40:41], -v[153:154]
	s_wait_loadcnt_dscnt 0x701
	v_mul_f64_e32 v[149:150], v[2:3], v[147:148]
	v_mul_f64_e32 v[147:148], v[4:5], v[147:148]
	s_wait_dscnt 0x0
	v_mul_f64_e32 v[153:154], v[42:43], v[8:9]
	v_mul_f64_e32 v[8:9], v[44:45], v[8:9]
	v_add_f64_e32 v[151:152], v[38:39], v[157:158]
	v_add_f64_e32 v[143:144], v[143:144], v[155:156]
	scratch_load_b128 v[38:41], off, off offset:608
	v_fma_f64 v[149:150], v[4:5], v[145:146], v[149:150]
	v_fma_f64 v[147:148], v[2:3], v[145:146], -v[147:148]
	ds_load_b128 v[2:5], v1 offset:1184
	v_fma_f64 v[44:45], v[44:45], v[6:7], v[153:154]
	v_fma_f64 v[42:43], v[42:43], v[6:7], -v[8:9]
	scratch_load_b128 v[6:9], off, off offset:640
	v_add_f64_e32 v[151:152], v[151:152], v[139:140]
	v_add_f64_e32 v[155:156], v[143:144], v[141:142]
	scratch_load_b128 v[139:142], off, off offset:624
	ds_load_b128 v[143:146], v1 offset:1200
	s_wait_loadcnt_dscnt 0x901
	v_mul_f64_e32 v[157:158], v[2:3], v[12:13]
	v_mul_f64_e32 v[12:13], v[4:5], v[12:13]
	v_add_f64_e32 v[147:148], v[151:152], v[147:148]
	v_add_f64_e32 v[149:150], v[155:156], v[149:150]
	s_wait_loadcnt_dscnt 0x800
	v_mul_f64_e32 v[151:152], v[143:144], v[16:17]
	v_mul_f64_e32 v[16:17], v[145:146], v[16:17]
	v_fma_f64 v[153:154], v[4:5], v[10:11], v[157:158]
	v_fma_f64 v[155:156], v[2:3], v[10:11], -v[12:13]
	ds_load_b128 v[2:5], v1 offset:1216
	scratch_load_b128 v[10:13], off, off offset:656
	v_add_f64_e32 v[147:148], v[147:148], v[42:43]
	v_add_f64_e32 v[149:150], v[149:150], v[44:45]
	ds_load_b128 v[42:45], v1 offset:1232
	s_wait_loadcnt_dscnt 0x801
	v_mul_f64_e32 v[157:158], v[2:3], v[20:21]
	v_mul_f64_e32 v[20:21], v[4:5], v[20:21]
	v_fma_f64 v[145:146], v[145:146], v[14:15], v[151:152]
	v_fma_f64 v[143:144], v[143:144], v[14:15], -v[16:17]
	scratch_load_b128 v[14:17], off, off offset:672
	s_wait_loadcnt_dscnt 0x800
	v_mul_f64_e32 v[151:152], v[42:43], v[24:25]
	v_mul_f64_e32 v[24:25], v[44:45], v[24:25]
	v_add_f64_e32 v[147:148], v[147:148], v[155:156]
	v_add_f64_e32 v[149:150], v[149:150], v[153:154]
	v_fma_f64 v[153:154], v[4:5], v[18:19], v[157:158]
	v_fma_f64 v[155:156], v[2:3], v[18:19], -v[20:21]
	ds_load_b128 v[2:5], v1 offset:1248
	scratch_load_b128 v[18:21], off, off offset:688
	v_fma_f64 v[44:45], v[44:45], v[22:23], v[151:152]
	v_fma_f64 v[42:43], v[42:43], v[22:23], -v[24:25]
	scratch_load_b128 v[22:25], off, off offset:704
	v_add_f64_e32 v[147:148], v[147:148], v[143:144]
	v_add_f64_e32 v[149:150], v[149:150], v[145:146]
	ds_load_b128 v[143:146], v1 offset:1264
	s_wait_loadcnt_dscnt 0x901
	v_mul_f64_e32 v[157:158], v[2:3], v[28:29]
	v_mul_f64_e32 v[28:29], v[4:5], v[28:29]
	s_wait_loadcnt_dscnt 0x800
	v_mul_f64_e32 v[151:152], v[143:144], v[32:33]
	v_mul_f64_e32 v[32:33], v[145:146], v[32:33]
	v_add_f64_e32 v[147:148], v[147:148], v[155:156]
	v_add_f64_e32 v[149:150], v[149:150], v[153:154]
	v_fma_f64 v[153:154], v[4:5], v[26:27], v[157:158]
	v_fma_f64 v[155:156], v[2:3], v[26:27], -v[28:29]
	ds_load_b128 v[2:5], v1 offset:1280
	ds_load_b128 v[26:29], v1 offset:1296
	v_fma_f64 v[145:146], v[145:146], v[30:31], v[151:152]
	v_fma_f64 v[30:31], v[143:144], v[30:31], -v[32:33]
	v_add_f64_e32 v[42:43], v[147:148], v[42:43]
	v_add_f64_e32 v[44:45], v[149:150], v[44:45]
	s_wait_loadcnt_dscnt 0x701
	v_mul_f64_e32 v[147:148], v[2:3], v[36:37]
	v_mul_f64_e32 v[36:37], v[4:5], v[36:37]
	s_delay_alu instid0(VALU_DEP_4) | instskip(NEXT) | instid1(VALU_DEP_4)
	v_add_f64_e32 v[32:33], v[42:43], v[155:156]
	v_add_f64_e32 v[42:43], v[44:45], v[153:154]
	s_delay_alu instid0(VALU_DEP_4) | instskip(NEXT) | instid1(VALU_DEP_4)
	v_fma_f64 v[143:144], v[4:5], v[34:35], v[147:148]
	v_fma_f64 v[34:35], v[2:3], v[34:35], -v[36:37]
	s_wait_loadcnt_dscnt 0x600
	v_mul_f64_e32 v[44:45], v[26:27], v[40:41]
	v_mul_f64_e32 v[40:41], v[28:29], v[40:41]
	v_add_f64_e32 v[36:37], v[32:33], v[30:31]
	v_add_f64_e32 v[42:43], v[42:43], v[145:146]
	ds_load_b128 v[2:5], v1 offset:1312
	ds_load_b128 v[30:33], v1 offset:1328
	v_fma_f64 v[28:29], v[28:29], v[38:39], v[44:45]
	v_fma_f64 v[26:27], v[26:27], v[38:39], -v[40:41]
	s_wait_loadcnt_dscnt 0x401
	v_mul_f64_e32 v[145:146], v[2:3], v[141:142]
	v_mul_f64_e32 v[141:142], v[4:5], v[141:142]
	s_wait_dscnt 0x0
	v_mul_f64_e32 v[38:39], v[30:31], v[8:9]
	v_mul_f64_e32 v[8:9], v[32:33], v[8:9]
	v_add_f64_e32 v[34:35], v[36:37], v[34:35]
	v_add_f64_e32 v[36:37], v[42:43], v[143:144]
	v_fma_f64 v[40:41], v[4:5], v[139:140], v[145:146]
	v_fma_f64 v[42:43], v[2:3], v[139:140], -v[141:142]
	v_fma_f64 v[32:33], v[32:33], v[6:7], v[38:39]
	v_fma_f64 v[6:7], v[30:31], v[6:7], -v[8:9]
	v_add_f64_e32 v[34:35], v[34:35], v[26:27]
	v_add_f64_e32 v[36:37], v[36:37], v[28:29]
	ds_load_b128 v[2:5], v1 offset:1344
	ds_load_b128 v[26:29], v1 offset:1360
	s_wait_loadcnt_dscnt 0x301
	v_mul_f64_e32 v[44:45], v[2:3], v[12:13]
	v_mul_f64_e32 v[12:13], v[4:5], v[12:13]
	v_add_f64_e32 v[8:9], v[34:35], v[42:43]
	v_add_f64_e32 v[30:31], v[36:37], v[40:41]
	s_wait_loadcnt_dscnt 0x200
	v_mul_f64_e32 v[34:35], v[26:27], v[16:17]
	v_mul_f64_e32 v[16:17], v[28:29], v[16:17]
	v_fma_f64 v[36:37], v[4:5], v[10:11], v[44:45]
	v_fma_f64 v[10:11], v[2:3], v[10:11], -v[12:13]
	v_add_f64_e32 v[12:13], v[8:9], v[6:7]
	v_add_f64_e32 v[30:31], v[30:31], v[32:33]
	ds_load_b128 v[2:5], v1 offset:1376
	ds_load_b128 v[6:9], v1 offset:1392
	v_fma_f64 v[28:29], v[28:29], v[14:15], v[34:35]
	v_fma_f64 v[14:15], v[26:27], v[14:15], -v[16:17]
	s_wait_loadcnt_dscnt 0x101
	v_mul_f64_e32 v[32:33], v[2:3], v[20:21]
	v_mul_f64_e32 v[20:21], v[4:5], v[20:21]
	s_wait_loadcnt_dscnt 0x0
	v_mul_f64_e32 v[16:17], v[6:7], v[24:25]
	v_mul_f64_e32 v[24:25], v[8:9], v[24:25]
	v_add_f64_e32 v[10:11], v[12:13], v[10:11]
	v_add_f64_e32 v[12:13], v[30:31], v[36:37]
	v_fma_f64 v[4:5], v[4:5], v[18:19], v[32:33]
	v_fma_f64 v[1:2], v[2:3], v[18:19], -v[20:21]
	v_fma_f64 v[8:9], v[8:9], v[22:23], v[16:17]
	v_fma_f64 v[6:7], v[6:7], v[22:23], -v[24:25]
	v_add_f64_e32 v[10:11], v[10:11], v[14:15]
	v_add_f64_e32 v[12:13], v[12:13], v[28:29]
	s_delay_alu instid0(VALU_DEP_2) | instskip(NEXT) | instid1(VALU_DEP_2)
	v_add_f64_e32 v[1:2], v[10:11], v[1:2]
	v_add_f64_e32 v[3:4], v[12:13], v[4:5]
	s_delay_alu instid0(VALU_DEP_2) | instskip(NEXT) | instid1(VALU_DEP_2)
	;; [unrolled: 3-line block ×3, first 2 shown]
	v_add_f64_e64 v[1:2], v[135:136], -v[1:2]
	v_add_f64_e64 v[3:4], v[137:138], -v[3:4]
	scratch_store_b128 off, v[1:4], off offset:128
	v_cmpx_lt_u32_e32 6, v0
	s_cbranch_execz .LBB107_265
; %bb.264:
	scratch_load_b128 v[1:4], off, s51
	v_mov_b32_e32 v5, 0
	s_delay_alu instid0(VALU_DEP_1)
	v_dual_mov_b32 v6, v5 :: v_dual_mov_b32 v7, v5
	v_mov_b32_e32 v8, v5
	scratch_store_b128 off, v[5:8], off offset:112
	s_wait_loadcnt 0x0
	ds_store_b128 v134, v[1:4]
.LBB107_265:
	s_wait_alu 0xfffe
	s_or_b32 exec_lo, exec_lo, s0
	s_wait_storecnt_dscnt 0x0
	s_barrier_signal -1
	s_barrier_wait -1
	global_inv scope:SCOPE_SE
	s_clause 0x7
	scratch_load_b128 v[2:5], off, off offset:128
	scratch_load_b128 v[6:9], off, off offset:144
	;; [unrolled: 1-line block ×8, first 2 shown]
	v_mov_b32_e32 v1, 0
	s_mov_b32 s0, exec_lo
	ds_load_b128 v[38:41], v1 offset:816
	s_clause 0x1
	scratch_load_b128 v[34:37], off, off offset:256
	scratch_load_b128 v[42:45], off, off offset:112
	ds_load_b128 v[135:138], v1 offset:832
	scratch_load_b128 v[139:142], off, off offset:272
	s_wait_loadcnt_dscnt 0xa01
	v_mul_f64_e32 v[143:144], v[40:41], v[4:5]
	v_mul_f64_e32 v[4:5], v[38:39], v[4:5]
	s_delay_alu instid0(VALU_DEP_2) | instskip(NEXT) | instid1(VALU_DEP_2)
	v_fma_f64 v[149:150], v[38:39], v[2:3], -v[143:144]
	v_fma_f64 v[151:152], v[40:41], v[2:3], v[4:5]
	ds_load_b128 v[2:5], v1 offset:848
	s_wait_loadcnt_dscnt 0x901
	v_mul_f64_e32 v[147:148], v[135:136], v[8:9]
	v_mul_f64_e32 v[8:9], v[137:138], v[8:9]
	scratch_load_b128 v[38:41], off, off offset:288
	ds_load_b128 v[143:146], v1 offset:864
	s_wait_loadcnt_dscnt 0x901
	v_mul_f64_e32 v[153:154], v[2:3], v[12:13]
	v_mul_f64_e32 v[12:13], v[4:5], v[12:13]
	v_fma_f64 v[137:138], v[137:138], v[6:7], v[147:148]
	v_fma_f64 v[135:136], v[135:136], v[6:7], -v[8:9]
	v_add_f64_e32 v[147:148], 0, v[149:150]
	v_add_f64_e32 v[149:150], 0, v[151:152]
	scratch_load_b128 v[6:9], off, off offset:304
	v_fma_f64 v[153:154], v[4:5], v[10:11], v[153:154]
	v_fma_f64 v[155:156], v[2:3], v[10:11], -v[12:13]
	ds_load_b128 v[2:5], v1 offset:880
	s_wait_loadcnt_dscnt 0x901
	v_mul_f64_e32 v[151:152], v[143:144], v[16:17]
	v_mul_f64_e32 v[16:17], v[145:146], v[16:17]
	scratch_load_b128 v[10:13], off, off offset:320
	v_add_f64_e32 v[147:148], v[147:148], v[135:136]
	v_add_f64_e32 v[149:150], v[149:150], v[137:138]
	s_wait_loadcnt_dscnt 0x900
	v_mul_f64_e32 v[157:158], v[2:3], v[20:21]
	v_mul_f64_e32 v[20:21], v[4:5], v[20:21]
	ds_load_b128 v[135:138], v1 offset:896
	v_fma_f64 v[145:146], v[145:146], v[14:15], v[151:152]
	v_fma_f64 v[143:144], v[143:144], v[14:15], -v[16:17]
	scratch_load_b128 v[14:17], off, off offset:336
	v_add_f64_e32 v[147:148], v[147:148], v[155:156]
	v_add_f64_e32 v[149:150], v[149:150], v[153:154]
	v_fma_f64 v[153:154], v[4:5], v[18:19], v[157:158]
	v_fma_f64 v[155:156], v[2:3], v[18:19], -v[20:21]
	ds_load_b128 v[2:5], v1 offset:912
	s_wait_loadcnt_dscnt 0x901
	v_mul_f64_e32 v[151:152], v[135:136], v[24:25]
	v_mul_f64_e32 v[24:25], v[137:138], v[24:25]
	scratch_load_b128 v[18:21], off, off offset:352
	s_wait_loadcnt_dscnt 0x900
	v_mul_f64_e32 v[157:158], v[2:3], v[28:29]
	v_mul_f64_e32 v[28:29], v[4:5], v[28:29]
	v_add_f64_e32 v[147:148], v[147:148], v[143:144]
	v_add_f64_e32 v[149:150], v[149:150], v[145:146]
	ds_load_b128 v[143:146], v1 offset:928
	v_fma_f64 v[137:138], v[137:138], v[22:23], v[151:152]
	v_fma_f64 v[135:136], v[135:136], v[22:23], -v[24:25]
	scratch_load_b128 v[22:25], off, off offset:368
	v_add_f64_e32 v[147:148], v[147:148], v[155:156]
	v_add_f64_e32 v[149:150], v[149:150], v[153:154]
	v_fma_f64 v[153:154], v[4:5], v[26:27], v[157:158]
	v_fma_f64 v[155:156], v[2:3], v[26:27], -v[28:29]
	ds_load_b128 v[2:5], v1 offset:944
	s_wait_loadcnt_dscnt 0x901
	v_mul_f64_e32 v[151:152], v[143:144], v[32:33]
	v_mul_f64_e32 v[32:33], v[145:146], v[32:33]
	scratch_load_b128 v[26:29], off, off offset:384
	s_wait_loadcnt_dscnt 0x900
	v_mul_f64_e32 v[157:158], v[2:3], v[36:37]
	v_mul_f64_e32 v[36:37], v[4:5], v[36:37]
	v_add_f64_e32 v[147:148], v[147:148], v[135:136]
	v_add_f64_e32 v[149:150], v[149:150], v[137:138]
	ds_load_b128 v[135:138], v1 offset:960
	v_fma_f64 v[145:146], v[145:146], v[30:31], v[151:152]
	v_fma_f64 v[143:144], v[143:144], v[30:31], -v[32:33]
	scratch_load_b128 v[30:33], off, off offset:400
	v_add_f64_e32 v[147:148], v[147:148], v[155:156]
	v_add_f64_e32 v[149:150], v[149:150], v[153:154]
	v_fma_f64 v[155:156], v[4:5], v[34:35], v[157:158]
	v_fma_f64 v[157:158], v[2:3], v[34:35], -v[36:37]
	ds_load_b128 v[2:5], v1 offset:976
	s_wait_loadcnt_dscnt 0x801
	v_mul_f64_e32 v[151:152], v[135:136], v[141:142]
	v_mul_f64_e32 v[153:154], v[137:138], v[141:142]
	scratch_load_b128 v[34:37], off, off offset:416
	v_add_f64_e32 v[147:148], v[147:148], v[143:144]
	v_add_f64_e32 v[145:146], v[149:150], v[145:146]
	ds_load_b128 v[141:144], v1 offset:992
	v_fma_f64 v[151:152], v[137:138], v[139:140], v[151:152]
	v_fma_f64 v[139:140], v[135:136], v[139:140], -v[153:154]
	scratch_load_b128 v[135:138], off, off offset:432
	s_wait_loadcnt_dscnt 0x901
	v_mul_f64_e32 v[149:150], v[2:3], v[40:41]
	v_mul_f64_e32 v[40:41], v[4:5], v[40:41]
	v_add_f64_e32 v[147:148], v[147:148], v[157:158]
	v_add_f64_e32 v[145:146], v[145:146], v[155:156]
	s_delay_alu instid0(VALU_DEP_4) | instskip(NEXT) | instid1(VALU_DEP_4)
	v_fma_f64 v[149:150], v[4:5], v[38:39], v[149:150]
	v_fma_f64 v[155:156], v[2:3], v[38:39], -v[40:41]
	ds_load_b128 v[2:5], v1 offset:1008
	s_wait_loadcnt_dscnt 0x801
	v_mul_f64_e32 v[153:154], v[141:142], v[8:9]
	v_mul_f64_e32 v[8:9], v[143:144], v[8:9]
	scratch_load_b128 v[38:41], off, off offset:448
	s_wait_loadcnt_dscnt 0x800
	v_mul_f64_e32 v[157:158], v[2:3], v[12:13]
	v_add_f64_e32 v[139:140], v[147:148], v[139:140]
	v_add_f64_e32 v[151:152], v[145:146], v[151:152]
	v_mul_f64_e32 v[12:13], v[4:5], v[12:13]
	ds_load_b128 v[145:148], v1 offset:1024
	v_fma_f64 v[143:144], v[143:144], v[6:7], v[153:154]
	v_fma_f64 v[141:142], v[141:142], v[6:7], -v[8:9]
	scratch_load_b128 v[6:9], off, off offset:464
	v_fma_f64 v[153:154], v[4:5], v[10:11], v[157:158]
	v_add_f64_e32 v[139:140], v[139:140], v[155:156]
	v_add_f64_e32 v[149:150], v[151:152], v[149:150]
	v_fma_f64 v[155:156], v[2:3], v[10:11], -v[12:13]
	ds_load_b128 v[2:5], v1 offset:1040
	s_wait_loadcnt_dscnt 0x801
	v_mul_f64_e32 v[151:152], v[145:146], v[16:17]
	v_mul_f64_e32 v[16:17], v[147:148], v[16:17]
	scratch_load_b128 v[10:13], off, off offset:480
	v_add_f64_e32 v[157:158], v[139:140], v[141:142]
	v_add_f64_e32 v[143:144], v[149:150], v[143:144]
	s_wait_loadcnt_dscnt 0x800
	v_mul_f64_e32 v[149:150], v[2:3], v[20:21]
	v_mul_f64_e32 v[20:21], v[4:5], v[20:21]
	v_fma_f64 v[147:148], v[147:148], v[14:15], v[151:152]
	v_fma_f64 v[145:146], v[145:146], v[14:15], -v[16:17]
	ds_load_b128 v[139:142], v1 offset:1056
	scratch_load_b128 v[14:17], off, off offset:496
	v_add_f64_e32 v[151:152], v[157:158], v[155:156]
	v_add_f64_e32 v[143:144], v[143:144], v[153:154]
	v_fma_f64 v[149:150], v[4:5], v[18:19], v[149:150]
	v_fma_f64 v[155:156], v[2:3], v[18:19], -v[20:21]
	ds_load_b128 v[2:5], v1 offset:1072
	s_wait_loadcnt_dscnt 0x801
	v_mul_f64_e32 v[153:154], v[139:140], v[24:25]
	v_mul_f64_e32 v[24:25], v[141:142], v[24:25]
	scratch_load_b128 v[18:21], off, off offset:512
	s_wait_loadcnt_dscnt 0x800
	v_mul_f64_e32 v[157:158], v[2:3], v[28:29]
	v_mul_f64_e32 v[28:29], v[4:5], v[28:29]
	v_add_f64_e32 v[151:152], v[151:152], v[145:146]
	v_add_f64_e32 v[147:148], v[143:144], v[147:148]
	ds_load_b128 v[143:146], v1 offset:1088
	v_fma_f64 v[141:142], v[141:142], v[22:23], v[153:154]
	v_fma_f64 v[139:140], v[139:140], v[22:23], -v[24:25]
	scratch_load_b128 v[22:25], off, off offset:528
	v_fma_f64 v[153:154], v[4:5], v[26:27], v[157:158]
	v_add_f64_e32 v[151:152], v[151:152], v[155:156]
	v_add_f64_e32 v[147:148], v[147:148], v[149:150]
	v_fma_f64 v[155:156], v[2:3], v[26:27], -v[28:29]
	ds_load_b128 v[2:5], v1 offset:1104
	s_wait_loadcnt_dscnt 0x801
	v_mul_f64_e32 v[149:150], v[143:144], v[32:33]
	v_mul_f64_e32 v[32:33], v[145:146], v[32:33]
	scratch_load_b128 v[26:29], off, off offset:544
	s_wait_loadcnt_dscnt 0x800
	v_mul_f64_e32 v[157:158], v[2:3], v[36:37]
	v_mul_f64_e32 v[36:37], v[4:5], v[36:37]
	v_add_f64_e32 v[151:152], v[151:152], v[139:140]
	v_add_f64_e32 v[147:148], v[147:148], v[141:142]
	ds_load_b128 v[139:142], v1 offset:1120
	v_fma_f64 v[145:146], v[145:146], v[30:31], v[149:150]
	v_fma_f64 v[143:144], v[143:144], v[30:31], -v[32:33]
	scratch_load_b128 v[30:33], off, off offset:560
	v_add_f64_e32 v[149:150], v[151:152], v[155:156]
	v_add_f64_e32 v[147:148], v[147:148], v[153:154]
	v_fma_f64 v[153:154], v[4:5], v[34:35], v[157:158]
	v_fma_f64 v[155:156], v[2:3], v[34:35], -v[36:37]
	ds_load_b128 v[2:5], v1 offset:1136
	s_wait_loadcnt_dscnt 0x801
	v_mul_f64_e32 v[151:152], v[139:140], v[137:138]
	v_mul_f64_e32 v[137:138], v[141:142], v[137:138]
	scratch_load_b128 v[34:37], off, off offset:576
	s_wait_loadcnt_dscnt 0x800
	v_mul_f64_e32 v[157:158], v[2:3], v[40:41]
	v_mul_f64_e32 v[40:41], v[4:5], v[40:41]
	v_add_f64_e32 v[149:150], v[149:150], v[143:144]
	v_add_f64_e32 v[147:148], v[147:148], v[145:146]
	ds_load_b128 v[143:146], v1 offset:1152
	v_fma_f64 v[141:142], v[141:142], v[135:136], v[151:152]
	v_fma_f64 v[139:140], v[139:140], v[135:136], -v[137:138]
	scratch_load_b128 v[135:138], off, off offset:592
	v_add_f64_e32 v[149:150], v[149:150], v[155:156]
	v_add_f64_e32 v[147:148], v[147:148], v[153:154]
	v_fma_f64 v[153:154], v[4:5], v[38:39], v[157:158]
	;; [unrolled: 18-line block ×5, first 2 shown]
	v_fma_f64 v[155:156], v[2:3], v[26:27], -v[28:29]
	ds_load_b128 v[2:5], v1 offset:1264
	s_wait_loadcnt_dscnt 0x801
	v_mul_f64_e32 v[151:152], v[139:140], v[32:33]
	v_mul_f64_e32 v[32:33], v[141:142], v[32:33]
	scratch_load_b128 v[26:29], off, off offset:704
	s_wait_loadcnt_dscnt 0x800
	v_mul_f64_e32 v[157:158], v[2:3], v[36:37]
	v_mul_f64_e32 v[36:37], v[4:5], v[36:37]
	v_add_f64_e32 v[149:150], v[149:150], v[143:144]
	v_add_f64_e32 v[147:148], v[147:148], v[145:146]
	ds_load_b128 v[143:146], v1 offset:1280
	v_fma_f64 v[141:142], v[141:142], v[30:31], v[151:152]
	v_fma_f64 v[30:31], v[139:140], v[30:31], -v[32:33]
	v_add_f64_e32 v[32:33], v[149:150], v[155:156]
	v_add_f64_e32 v[139:140], v[147:148], v[153:154]
	s_wait_loadcnt_dscnt 0x700
	v_mul_f64_e32 v[147:148], v[143:144], v[137:138]
	v_mul_f64_e32 v[137:138], v[145:146], v[137:138]
	v_fma_f64 v[149:150], v[4:5], v[34:35], v[157:158]
	v_fma_f64 v[34:35], v[2:3], v[34:35], -v[36:37]
	v_add_f64_e32 v[36:37], v[32:33], v[30:31]
	v_add_f64_e32 v[139:140], v[139:140], v[141:142]
	ds_load_b128 v[2:5], v1 offset:1296
	ds_load_b128 v[30:33], v1 offset:1312
	v_fma_f64 v[145:146], v[145:146], v[135:136], v[147:148]
	v_fma_f64 v[135:136], v[143:144], v[135:136], -v[137:138]
	s_wait_loadcnt_dscnt 0x601
	v_mul_f64_e32 v[141:142], v[2:3], v[40:41]
	v_mul_f64_e32 v[40:41], v[4:5], v[40:41]
	s_wait_loadcnt_dscnt 0x500
	v_mul_f64_e32 v[137:138], v[30:31], v[8:9]
	v_mul_f64_e32 v[8:9], v[32:33], v[8:9]
	v_add_f64_e32 v[34:35], v[36:37], v[34:35]
	v_add_f64_e32 v[36:37], v[139:140], v[149:150]
	v_fma_f64 v[139:140], v[4:5], v[38:39], v[141:142]
	v_fma_f64 v[38:39], v[2:3], v[38:39], -v[40:41]
	v_fma_f64 v[32:33], v[32:33], v[6:7], v[137:138]
	v_fma_f64 v[6:7], v[30:31], v[6:7], -v[8:9]
	v_add_f64_e32 v[40:41], v[34:35], v[135:136]
	v_add_f64_e32 v[135:136], v[36:37], v[145:146]
	ds_load_b128 v[2:5], v1 offset:1328
	ds_load_b128 v[34:37], v1 offset:1344
	s_wait_loadcnt_dscnt 0x401
	v_mul_f64_e32 v[141:142], v[2:3], v[12:13]
	v_mul_f64_e32 v[12:13], v[4:5], v[12:13]
	v_add_f64_e32 v[8:9], v[40:41], v[38:39]
	v_add_f64_e32 v[30:31], v[135:136], v[139:140]
	s_wait_loadcnt_dscnt 0x300
	v_mul_f64_e32 v[38:39], v[34:35], v[16:17]
	v_mul_f64_e32 v[16:17], v[36:37], v[16:17]
	v_fma_f64 v[40:41], v[4:5], v[10:11], v[141:142]
	v_fma_f64 v[10:11], v[2:3], v[10:11], -v[12:13]
	v_add_f64_e32 v[12:13], v[8:9], v[6:7]
	v_add_f64_e32 v[30:31], v[30:31], v[32:33]
	ds_load_b128 v[2:5], v1 offset:1360
	ds_load_b128 v[6:9], v1 offset:1376
	v_fma_f64 v[36:37], v[36:37], v[14:15], v[38:39]
	v_fma_f64 v[14:15], v[34:35], v[14:15], -v[16:17]
	s_wait_loadcnt_dscnt 0x201
	v_mul_f64_e32 v[32:33], v[2:3], v[20:21]
	v_mul_f64_e32 v[20:21], v[4:5], v[20:21]
	s_wait_loadcnt_dscnt 0x100
	v_mul_f64_e32 v[16:17], v[6:7], v[24:25]
	v_mul_f64_e32 v[24:25], v[8:9], v[24:25]
	v_add_f64_e32 v[10:11], v[12:13], v[10:11]
	v_add_f64_e32 v[12:13], v[30:31], v[40:41]
	v_fma_f64 v[30:31], v[4:5], v[18:19], v[32:33]
	v_fma_f64 v[18:19], v[2:3], v[18:19], -v[20:21]
	ds_load_b128 v[2:5], v1 offset:1392
	v_fma_f64 v[8:9], v[8:9], v[22:23], v[16:17]
	v_fma_f64 v[6:7], v[6:7], v[22:23], -v[24:25]
	v_add_f64_e32 v[10:11], v[10:11], v[14:15]
	v_add_f64_e32 v[12:13], v[12:13], v[36:37]
	s_wait_loadcnt_dscnt 0x0
	v_mul_f64_e32 v[14:15], v[2:3], v[28:29]
	v_mul_f64_e32 v[20:21], v[4:5], v[28:29]
	s_delay_alu instid0(VALU_DEP_4) | instskip(NEXT) | instid1(VALU_DEP_4)
	v_add_f64_e32 v[10:11], v[10:11], v[18:19]
	v_add_f64_e32 v[12:13], v[12:13], v[30:31]
	s_delay_alu instid0(VALU_DEP_4) | instskip(NEXT) | instid1(VALU_DEP_4)
	v_fma_f64 v[4:5], v[4:5], v[26:27], v[14:15]
	v_fma_f64 v[2:3], v[2:3], v[26:27], -v[20:21]
	s_delay_alu instid0(VALU_DEP_4) | instskip(NEXT) | instid1(VALU_DEP_4)
	v_add_f64_e32 v[6:7], v[10:11], v[6:7]
	v_add_f64_e32 v[8:9], v[12:13], v[8:9]
	s_delay_alu instid0(VALU_DEP_2) | instskip(NEXT) | instid1(VALU_DEP_2)
	v_add_f64_e32 v[2:3], v[6:7], v[2:3]
	v_add_f64_e32 v[4:5], v[8:9], v[4:5]
	s_delay_alu instid0(VALU_DEP_2) | instskip(NEXT) | instid1(VALU_DEP_2)
	v_add_f64_e64 v[2:3], v[42:43], -v[2:3]
	v_add_f64_e64 v[4:5], v[44:45], -v[4:5]
	scratch_store_b128 off, v[2:5], off offset:112
	v_cmpx_lt_u32_e32 5, v0
	s_cbranch_execz .LBB107_267
; %bb.266:
	scratch_load_b128 v[5:8], off, s52
	v_dual_mov_b32 v2, v1 :: v_dual_mov_b32 v3, v1
	v_mov_b32_e32 v4, v1
	scratch_store_b128 off, v[1:4], off offset:96
	s_wait_loadcnt 0x0
	ds_store_b128 v134, v[5:8]
.LBB107_267:
	s_wait_alu 0xfffe
	s_or_b32 exec_lo, exec_lo, s0
	s_wait_storecnt_dscnt 0x0
	s_barrier_signal -1
	s_barrier_wait -1
	global_inv scope:SCOPE_SE
	s_clause 0x8
	scratch_load_b128 v[2:5], off, off offset:112
	scratch_load_b128 v[6:9], off, off offset:128
	;; [unrolled: 1-line block ×9, first 2 shown]
	ds_load_b128 v[42:45], v1 offset:800
	ds_load_b128 v[38:41], v1 offset:816
	s_clause 0x1
	scratch_load_b128 v[135:138], off, off offset:96
	scratch_load_b128 v[139:142], off, off offset:256
	s_mov_b32 s0, exec_lo
	s_wait_loadcnt_dscnt 0xa01
	v_mul_f64_e32 v[143:144], v[44:45], v[4:5]
	v_mul_f64_e32 v[4:5], v[42:43], v[4:5]
	s_wait_loadcnt_dscnt 0x900
	v_mul_f64_e32 v[147:148], v[38:39], v[8:9]
	v_mul_f64_e32 v[8:9], v[40:41], v[8:9]
	s_delay_alu instid0(VALU_DEP_4) | instskip(NEXT) | instid1(VALU_DEP_4)
	v_fma_f64 v[149:150], v[42:43], v[2:3], -v[143:144]
	v_fma_f64 v[151:152], v[44:45], v[2:3], v[4:5]
	ds_load_b128 v[2:5], v1 offset:832
	ds_load_b128 v[143:146], v1 offset:848
	scratch_load_b128 v[42:45], off, off offset:272
	v_fma_f64 v[40:41], v[40:41], v[6:7], v[147:148]
	v_fma_f64 v[38:39], v[38:39], v[6:7], -v[8:9]
	scratch_load_b128 v[6:9], off, off offset:288
	s_wait_loadcnt_dscnt 0xa01
	v_mul_f64_e32 v[153:154], v[2:3], v[12:13]
	v_mul_f64_e32 v[12:13], v[4:5], v[12:13]
	v_add_f64_e32 v[147:148], 0, v[149:150]
	v_add_f64_e32 v[149:150], 0, v[151:152]
	s_wait_loadcnt_dscnt 0x900
	v_mul_f64_e32 v[151:152], v[143:144], v[16:17]
	v_mul_f64_e32 v[16:17], v[145:146], v[16:17]
	v_fma_f64 v[153:154], v[4:5], v[10:11], v[153:154]
	v_fma_f64 v[155:156], v[2:3], v[10:11], -v[12:13]
	ds_load_b128 v[2:5], v1 offset:864
	scratch_load_b128 v[10:13], off, off offset:304
	v_add_f64_e32 v[147:148], v[147:148], v[38:39]
	v_add_f64_e32 v[149:150], v[149:150], v[40:41]
	ds_load_b128 v[38:41], v1 offset:880
	v_fma_f64 v[145:146], v[145:146], v[14:15], v[151:152]
	v_fma_f64 v[143:144], v[143:144], v[14:15], -v[16:17]
	scratch_load_b128 v[14:17], off, off offset:320
	s_wait_loadcnt_dscnt 0xa01
	v_mul_f64_e32 v[157:158], v[2:3], v[20:21]
	v_mul_f64_e32 v[20:21], v[4:5], v[20:21]
	s_wait_loadcnt_dscnt 0x900
	v_mul_f64_e32 v[151:152], v[38:39], v[24:25]
	v_mul_f64_e32 v[24:25], v[40:41], v[24:25]
	v_add_f64_e32 v[147:148], v[147:148], v[155:156]
	v_add_f64_e32 v[149:150], v[149:150], v[153:154]
	v_fma_f64 v[153:154], v[4:5], v[18:19], v[157:158]
	v_fma_f64 v[155:156], v[2:3], v[18:19], -v[20:21]
	ds_load_b128 v[2:5], v1 offset:896
	scratch_load_b128 v[18:21], off, off offset:336
	v_fma_f64 v[40:41], v[40:41], v[22:23], v[151:152]
	v_fma_f64 v[38:39], v[38:39], v[22:23], -v[24:25]
	scratch_load_b128 v[22:25], off, off offset:352
	v_add_f64_e32 v[147:148], v[147:148], v[143:144]
	v_add_f64_e32 v[149:150], v[149:150], v[145:146]
	ds_load_b128 v[143:146], v1 offset:912
	s_wait_loadcnt_dscnt 0xa01
	v_mul_f64_e32 v[157:158], v[2:3], v[28:29]
	v_mul_f64_e32 v[28:29], v[4:5], v[28:29]
	s_wait_loadcnt_dscnt 0x900
	v_mul_f64_e32 v[151:152], v[143:144], v[32:33]
	v_mul_f64_e32 v[32:33], v[145:146], v[32:33]
	v_add_f64_e32 v[147:148], v[147:148], v[155:156]
	v_add_f64_e32 v[149:150], v[149:150], v[153:154]
	v_fma_f64 v[153:154], v[4:5], v[26:27], v[157:158]
	v_fma_f64 v[155:156], v[2:3], v[26:27], -v[28:29]
	ds_load_b128 v[2:5], v1 offset:928
	scratch_load_b128 v[26:29], off, off offset:368
	v_fma_f64 v[145:146], v[145:146], v[30:31], v[151:152]
	v_fma_f64 v[143:144], v[143:144], v[30:31], -v[32:33]
	scratch_load_b128 v[30:33], off, off offset:384
	v_add_f64_e32 v[147:148], v[147:148], v[38:39]
	v_add_f64_e32 v[149:150], v[149:150], v[40:41]
	ds_load_b128 v[38:41], v1 offset:944
	s_wait_loadcnt_dscnt 0xa01
	v_mul_f64_e32 v[157:158], v[2:3], v[36:37]
	v_mul_f64_e32 v[36:37], v[4:5], v[36:37]
	s_wait_loadcnt_dscnt 0x800
	v_mul_f64_e32 v[151:152], v[38:39], v[141:142]
	v_add_f64_e32 v[147:148], v[147:148], v[155:156]
	v_add_f64_e32 v[149:150], v[149:150], v[153:154]
	v_mul_f64_e32 v[153:154], v[40:41], v[141:142]
	v_fma_f64 v[155:156], v[4:5], v[34:35], v[157:158]
	v_fma_f64 v[157:158], v[2:3], v[34:35], -v[36:37]
	ds_load_b128 v[2:5], v1 offset:960
	scratch_load_b128 v[34:37], off, off offset:400
	v_fma_f64 v[151:152], v[40:41], v[139:140], v[151:152]
	v_add_f64_e32 v[147:148], v[147:148], v[143:144]
	v_add_f64_e32 v[145:146], v[149:150], v[145:146]
	ds_load_b128 v[141:144], v1 offset:976
	v_fma_f64 v[139:140], v[38:39], v[139:140], -v[153:154]
	scratch_load_b128 v[38:41], off, off offset:416
	s_wait_loadcnt_dscnt 0x901
	v_mul_f64_e32 v[149:150], v[2:3], v[44:45]
	v_mul_f64_e32 v[44:45], v[4:5], v[44:45]
	s_wait_loadcnt_dscnt 0x800
	v_mul_f64_e32 v[153:154], v[141:142], v[8:9]
	v_mul_f64_e32 v[8:9], v[143:144], v[8:9]
	v_add_f64_e32 v[147:148], v[147:148], v[157:158]
	v_add_f64_e32 v[145:146], v[145:146], v[155:156]
	v_fma_f64 v[149:150], v[4:5], v[42:43], v[149:150]
	v_fma_f64 v[155:156], v[2:3], v[42:43], -v[44:45]
	ds_load_b128 v[2:5], v1 offset:992
	scratch_load_b128 v[42:45], off, off offset:432
	v_fma_f64 v[143:144], v[143:144], v[6:7], v[153:154]
	v_fma_f64 v[141:142], v[141:142], v[6:7], -v[8:9]
	scratch_load_b128 v[6:9], off, off offset:448
	v_add_f64_e32 v[139:140], v[147:148], v[139:140]
	v_add_f64_e32 v[151:152], v[145:146], v[151:152]
	ds_load_b128 v[145:148], v1 offset:1008
	s_wait_loadcnt_dscnt 0x901
	v_mul_f64_e32 v[157:158], v[2:3], v[12:13]
	v_mul_f64_e32 v[12:13], v[4:5], v[12:13]
	v_add_f64_e32 v[139:140], v[139:140], v[155:156]
	v_add_f64_e32 v[149:150], v[151:152], v[149:150]
	s_wait_loadcnt_dscnt 0x800
	v_mul_f64_e32 v[151:152], v[145:146], v[16:17]
	v_mul_f64_e32 v[16:17], v[147:148], v[16:17]
	v_fma_f64 v[153:154], v[4:5], v[10:11], v[157:158]
	v_fma_f64 v[155:156], v[2:3], v[10:11], -v[12:13]
	ds_load_b128 v[2:5], v1 offset:1024
	scratch_load_b128 v[10:13], off, off offset:464
	v_add_f64_e32 v[157:158], v[139:140], v[141:142]
	v_add_f64_e32 v[143:144], v[149:150], v[143:144]
	ds_load_b128 v[139:142], v1 offset:1040
	s_wait_loadcnt_dscnt 0x801
	v_mul_f64_e32 v[149:150], v[2:3], v[20:21]
	v_mul_f64_e32 v[20:21], v[4:5], v[20:21]
	v_fma_f64 v[147:148], v[147:148], v[14:15], v[151:152]
	v_fma_f64 v[145:146], v[145:146], v[14:15], -v[16:17]
	scratch_load_b128 v[14:17], off, off offset:480
	v_add_f64_e32 v[151:152], v[157:158], v[155:156]
	v_add_f64_e32 v[143:144], v[143:144], v[153:154]
	s_wait_loadcnt_dscnt 0x800
	v_mul_f64_e32 v[153:154], v[139:140], v[24:25]
	v_mul_f64_e32 v[24:25], v[141:142], v[24:25]
	v_fma_f64 v[149:150], v[4:5], v[18:19], v[149:150]
	v_fma_f64 v[155:156], v[2:3], v[18:19], -v[20:21]
	ds_load_b128 v[2:5], v1 offset:1056
	scratch_load_b128 v[18:21], off, off offset:496
	v_add_f64_e32 v[151:152], v[151:152], v[145:146]
	v_add_f64_e32 v[147:148], v[143:144], v[147:148]
	ds_load_b128 v[143:146], v1 offset:1072
	s_wait_loadcnt_dscnt 0x801
	v_mul_f64_e32 v[157:158], v[2:3], v[28:29]
	v_mul_f64_e32 v[28:29], v[4:5], v[28:29]
	v_fma_f64 v[141:142], v[141:142], v[22:23], v[153:154]
	v_fma_f64 v[139:140], v[139:140], v[22:23], -v[24:25]
	scratch_load_b128 v[22:25], off, off offset:512
	;; [unrolled: 18-line block ×4, first 2 shown]
	s_wait_loadcnt_dscnt 0x800
	v_mul_f64_e32 v[151:152], v[143:144], v[8:9]
	v_mul_f64_e32 v[8:9], v[145:146], v[8:9]
	v_add_f64_e32 v[149:150], v[149:150], v[155:156]
	v_add_f64_e32 v[147:148], v[147:148], v[153:154]
	v_fma_f64 v[153:154], v[4:5], v[42:43], v[157:158]
	v_fma_f64 v[155:156], v[2:3], v[42:43], -v[44:45]
	ds_load_b128 v[2:5], v1 offset:1152
	scratch_load_b128 v[42:45], off, off offset:592
	v_fma_f64 v[145:146], v[145:146], v[6:7], v[151:152]
	v_fma_f64 v[143:144], v[143:144], v[6:7], -v[8:9]
	scratch_load_b128 v[6:9], off, off offset:608
	v_add_f64_e32 v[149:150], v[149:150], v[139:140]
	v_add_f64_e32 v[147:148], v[147:148], v[141:142]
	ds_load_b128 v[139:142], v1 offset:1168
	s_wait_loadcnt_dscnt 0x901
	v_mul_f64_e32 v[157:158], v[2:3], v[12:13]
	v_mul_f64_e32 v[12:13], v[4:5], v[12:13]
	s_wait_loadcnt_dscnt 0x800
	v_mul_f64_e32 v[151:152], v[139:140], v[16:17]
	v_mul_f64_e32 v[16:17], v[141:142], v[16:17]
	v_add_f64_e32 v[149:150], v[149:150], v[155:156]
	v_add_f64_e32 v[147:148], v[147:148], v[153:154]
	v_fma_f64 v[153:154], v[4:5], v[10:11], v[157:158]
	v_fma_f64 v[155:156], v[2:3], v[10:11], -v[12:13]
	ds_load_b128 v[2:5], v1 offset:1184
	scratch_load_b128 v[10:13], off, off offset:624
	v_fma_f64 v[141:142], v[141:142], v[14:15], v[151:152]
	v_fma_f64 v[139:140], v[139:140], v[14:15], -v[16:17]
	scratch_load_b128 v[14:17], off, off offset:640
	v_add_f64_e32 v[149:150], v[149:150], v[143:144]
	v_add_f64_e32 v[147:148], v[147:148], v[145:146]
	ds_load_b128 v[143:146], v1 offset:1200
	s_wait_loadcnt_dscnt 0x901
	v_mul_f64_e32 v[157:158], v[2:3], v[20:21]
	v_mul_f64_e32 v[20:21], v[4:5], v[20:21]
	;; [unrolled: 18-line block ×4, first 2 shown]
	s_wait_loadcnt_dscnt 0x800
	v_mul_f64_e32 v[151:152], v[143:144], v[40:41]
	v_mul_f64_e32 v[40:41], v[145:146], v[40:41]
	v_add_f64_e32 v[149:150], v[149:150], v[155:156]
	v_add_f64_e32 v[147:148], v[147:148], v[153:154]
	v_fma_f64 v[153:154], v[4:5], v[34:35], v[157:158]
	v_fma_f64 v[155:156], v[2:3], v[34:35], -v[36:37]
	ds_load_b128 v[2:5], v1 offset:1280
	ds_load_b128 v[34:37], v1 offset:1296
	v_fma_f64 v[145:146], v[145:146], v[38:39], v[151:152]
	v_fma_f64 v[38:39], v[143:144], v[38:39], -v[40:41]
	v_add_f64_e32 v[139:140], v[149:150], v[139:140]
	v_add_f64_e32 v[141:142], v[147:148], v[141:142]
	s_wait_loadcnt_dscnt 0x701
	v_mul_f64_e32 v[147:148], v[2:3], v[44:45]
	v_mul_f64_e32 v[44:45], v[4:5], v[44:45]
	s_delay_alu instid0(VALU_DEP_4) | instskip(NEXT) | instid1(VALU_DEP_4)
	v_add_f64_e32 v[40:41], v[139:140], v[155:156]
	v_add_f64_e32 v[139:140], v[141:142], v[153:154]
	s_wait_loadcnt_dscnt 0x600
	v_mul_f64_e32 v[141:142], v[34:35], v[8:9]
	v_mul_f64_e32 v[8:9], v[36:37], v[8:9]
	v_fma_f64 v[143:144], v[4:5], v[42:43], v[147:148]
	v_fma_f64 v[42:43], v[2:3], v[42:43], -v[44:45]
	v_add_f64_e32 v[44:45], v[40:41], v[38:39]
	v_add_f64_e32 v[139:140], v[139:140], v[145:146]
	ds_load_b128 v[2:5], v1 offset:1312
	ds_load_b128 v[38:41], v1 offset:1328
	v_fma_f64 v[36:37], v[36:37], v[6:7], v[141:142]
	v_fma_f64 v[6:7], v[34:35], v[6:7], -v[8:9]
	s_wait_loadcnt_dscnt 0x501
	v_mul_f64_e32 v[145:146], v[2:3], v[12:13]
	v_mul_f64_e32 v[12:13], v[4:5], v[12:13]
	v_add_f64_e32 v[8:9], v[44:45], v[42:43]
	v_add_f64_e32 v[34:35], v[139:140], v[143:144]
	s_wait_loadcnt_dscnt 0x400
	v_mul_f64_e32 v[42:43], v[38:39], v[16:17]
	v_mul_f64_e32 v[16:17], v[40:41], v[16:17]
	v_fma_f64 v[44:45], v[4:5], v[10:11], v[145:146]
	v_fma_f64 v[10:11], v[2:3], v[10:11], -v[12:13]
	v_add_f64_e32 v[12:13], v[8:9], v[6:7]
	v_add_f64_e32 v[34:35], v[34:35], v[36:37]
	ds_load_b128 v[2:5], v1 offset:1344
	ds_load_b128 v[6:9], v1 offset:1360
	v_fma_f64 v[40:41], v[40:41], v[14:15], v[42:43]
	v_fma_f64 v[14:15], v[38:39], v[14:15], -v[16:17]
	s_wait_loadcnt_dscnt 0x301
	v_mul_f64_e32 v[36:37], v[2:3], v[20:21]
	v_mul_f64_e32 v[20:21], v[4:5], v[20:21]
	s_wait_loadcnt_dscnt 0x200
	v_mul_f64_e32 v[16:17], v[6:7], v[24:25]
	v_mul_f64_e32 v[24:25], v[8:9], v[24:25]
	v_add_f64_e32 v[10:11], v[12:13], v[10:11]
	v_add_f64_e32 v[12:13], v[34:35], v[44:45]
	v_fma_f64 v[34:35], v[4:5], v[18:19], v[36:37]
	v_fma_f64 v[18:19], v[2:3], v[18:19], -v[20:21]
	v_fma_f64 v[8:9], v[8:9], v[22:23], v[16:17]
	v_fma_f64 v[6:7], v[6:7], v[22:23], -v[24:25]
	v_add_f64_e32 v[14:15], v[10:11], v[14:15]
	v_add_f64_e32 v[20:21], v[12:13], v[40:41]
	ds_load_b128 v[2:5], v1 offset:1376
	ds_load_b128 v[10:13], v1 offset:1392
	s_wait_loadcnt_dscnt 0x101
	v_mul_f64_e32 v[36:37], v[2:3], v[28:29]
	v_mul_f64_e32 v[28:29], v[4:5], v[28:29]
	v_add_f64_e32 v[14:15], v[14:15], v[18:19]
	v_add_f64_e32 v[16:17], v[20:21], v[34:35]
	s_wait_loadcnt_dscnt 0x0
	v_mul_f64_e32 v[18:19], v[10:11], v[32:33]
	v_mul_f64_e32 v[20:21], v[12:13], v[32:33]
	v_fma_f64 v[4:5], v[4:5], v[26:27], v[36:37]
	v_fma_f64 v[1:2], v[2:3], v[26:27], -v[28:29]
	v_add_f64_e32 v[6:7], v[14:15], v[6:7]
	v_add_f64_e32 v[8:9], v[16:17], v[8:9]
	v_fma_f64 v[12:13], v[12:13], v[30:31], v[18:19]
	v_fma_f64 v[10:11], v[10:11], v[30:31], -v[20:21]
	s_delay_alu instid0(VALU_DEP_4) | instskip(NEXT) | instid1(VALU_DEP_4)
	v_add_f64_e32 v[1:2], v[6:7], v[1:2]
	v_add_f64_e32 v[3:4], v[8:9], v[4:5]
	s_delay_alu instid0(VALU_DEP_2) | instskip(NEXT) | instid1(VALU_DEP_2)
	v_add_f64_e32 v[1:2], v[1:2], v[10:11]
	v_add_f64_e32 v[3:4], v[3:4], v[12:13]
	s_delay_alu instid0(VALU_DEP_2) | instskip(NEXT) | instid1(VALU_DEP_2)
	v_add_f64_e64 v[1:2], v[135:136], -v[1:2]
	v_add_f64_e64 v[3:4], v[137:138], -v[3:4]
	scratch_store_b128 off, v[1:4], off offset:96
	v_cmpx_lt_u32_e32 4, v0
	s_cbranch_execz .LBB107_269
; %bb.268:
	scratch_load_b128 v[1:4], off, s4
	v_mov_b32_e32 v5, 0
	s_delay_alu instid0(VALU_DEP_1)
	v_dual_mov_b32 v6, v5 :: v_dual_mov_b32 v7, v5
	v_mov_b32_e32 v8, v5
	scratch_store_b128 off, v[5:8], off offset:80
	s_wait_loadcnt 0x0
	ds_store_b128 v134, v[1:4]
.LBB107_269:
	s_wait_alu 0xfffe
	s_or_b32 exec_lo, exec_lo, s0
	s_wait_storecnt_dscnt 0x0
	s_barrier_signal -1
	s_barrier_wait -1
	global_inv scope:SCOPE_SE
	s_clause 0x7
	scratch_load_b128 v[2:5], off, off offset:96
	scratch_load_b128 v[6:9], off, off offset:112
	;; [unrolled: 1-line block ×8, first 2 shown]
	v_mov_b32_e32 v1, 0
	s_mov_b32 s0, exec_lo
	ds_load_b128 v[38:41], v1 offset:784
	s_clause 0x1
	scratch_load_b128 v[34:37], off, off offset:224
	scratch_load_b128 v[42:45], off, off offset:80
	ds_load_b128 v[135:138], v1 offset:800
	scratch_load_b128 v[139:142], off, off offset:240
	s_wait_loadcnt_dscnt 0xa01
	v_mul_f64_e32 v[143:144], v[40:41], v[4:5]
	v_mul_f64_e32 v[4:5], v[38:39], v[4:5]
	s_delay_alu instid0(VALU_DEP_2) | instskip(NEXT) | instid1(VALU_DEP_2)
	v_fma_f64 v[149:150], v[38:39], v[2:3], -v[143:144]
	v_fma_f64 v[151:152], v[40:41], v[2:3], v[4:5]
	ds_load_b128 v[2:5], v1 offset:816
	s_wait_loadcnt_dscnt 0x901
	v_mul_f64_e32 v[147:148], v[135:136], v[8:9]
	v_mul_f64_e32 v[8:9], v[137:138], v[8:9]
	scratch_load_b128 v[38:41], off, off offset:256
	ds_load_b128 v[143:146], v1 offset:832
	s_wait_loadcnt_dscnt 0x901
	v_mul_f64_e32 v[153:154], v[2:3], v[12:13]
	v_mul_f64_e32 v[12:13], v[4:5], v[12:13]
	v_fma_f64 v[137:138], v[137:138], v[6:7], v[147:148]
	v_fma_f64 v[135:136], v[135:136], v[6:7], -v[8:9]
	v_add_f64_e32 v[147:148], 0, v[149:150]
	v_add_f64_e32 v[149:150], 0, v[151:152]
	scratch_load_b128 v[6:9], off, off offset:272
	v_fma_f64 v[153:154], v[4:5], v[10:11], v[153:154]
	v_fma_f64 v[155:156], v[2:3], v[10:11], -v[12:13]
	ds_load_b128 v[2:5], v1 offset:848
	s_wait_loadcnt_dscnt 0x901
	v_mul_f64_e32 v[151:152], v[143:144], v[16:17]
	v_mul_f64_e32 v[16:17], v[145:146], v[16:17]
	scratch_load_b128 v[10:13], off, off offset:288
	v_add_f64_e32 v[147:148], v[147:148], v[135:136]
	v_add_f64_e32 v[149:150], v[149:150], v[137:138]
	s_wait_loadcnt_dscnt 0x900
	v_mul_f64_e32 v[157:158], v[2:3], v[20:21]
	v_mul_f64_e32 v[20:21], v[4:5], v[20:21]
	ds_load_b128 v[135:138], v1 offset:864
	v_fma_f64 v[145:146], v[145:146], v[14:15], v[151:152]
	v_fma_f64 v[143:144], v[143:144], v[14:15], -v[16:17]
	scratch_load_b128 v[14:17], off, off offset:304
	v_add_f64_e32 v[147:148], v[147:148], v[155:156]
	v_add_f64_e32 v[149:150], v[149:150], v[153:154]
	v_fma_f64 v[153:154], v[4:5], v[18:19], v[157:158]
	v_fma_f64 v[155:156], v[2:3], v[18:19], -v[20:21]
	ds_load_b128 v[2:5], v1 offset:880
	s_wait_loadcnt_dscnt 0x901
	v_mul_f64_e32 v[151:152], v[135:136], v[24:25]
	v_mul_f64_e32 v[24:25], v[137:138], v[24:25]
	scratch_load_b128 v[18:21], off, off offset:320
	s_wait_loadcnt_dscnt 0x900
	v_mul_f64_e32 v[157:158], v[2:3], v[28:29]
	v_mul_f64_e32 v[28:29], v[4:5], v[28:29]
	v_add_f64_e32 v[147:148], v[147:148], v[143:144]
	v_add_f64_e32 v[149:150], v[149:150], v[145:146]
	ds_load_b128 v[143:146], v1 offset:896
	v_fma_f64 v[137:138], v[137:138], v[22:23], v[151:152]
	v_fma_f64 v[135:136], v[135:136], v[22:23], -v[24:25]
	scratch_load_b128 v[22:25], off, off offset:336
	v_add_f64_e32 v[147:148], v[147:148], v[155:156]
	v_add_f64_e32 v[149:150], v[149:150], v[153:154]
	v_fma_f64 v[153:154], v[4:5], v[26:27], v[157:158]
	v_fma_f64 v[155:156], v[2:3], v[26:27], -v[28:29]
	ds_load_b128 v[2:5], v1 offset:912
	s_wait_loadcnt_dscnt 0x901
	v_mul_f64_e32 v[151:152], v[143:144], v[32:33]
	v_mul_f64_e32 v[32:33], v[145:146], v[32:33]
	scratch_load_b128 v[26:29], off, off offset:352
	s_wait_loadcnt_dscnt 0x900
	v_mul_f64_e32 v[157:158], v[2:3], v[36:37]
	v_mul_f64_e32 v[36:37], v[4:5], v[36:37]
	v_add_f64_e32 v[147:148], v[147:148], v[135:136]
	v_add_f64_e32 v[149:150], v[149:150], v[137:138]
	ds_load_b128 v[135:138], v1 offset:928
	v_fma_f64 v[145:146], v[145:146], v[30:31], v[151:152]
	v_fma_f64 v[143:144], v[143:144], v[30:31], -v[32:33]
	scratch_load_b128 v[30:33], off, off offset:368
	v_add_f64_e32 v[147:148], v[147:148], v[155:156]
	v_add_f64_e32 v[149:150], v[149:150], v[153:154]
	v_fma_f64 v[155:156], v[4:5], v[34:35], v[157:158]
	v_fma_f64 v[157:158], v[2:3], v[34:35], -v[36:37]
	ds_load_b128 v[2:5], v1 offset:944
	s_wait_loadcnt_dscnt 0x801
	v_mul_f64_e32 v[151:152], v[135:136], v[141:142]
	v_mul_f64_e32 v[153:154], v[137:138], v[141:142]
	scratch_load_b128 v[34:37], off, off offset:384
	v_add_f64_e32 v[147:148], v[147:148], v[143:144]
	v_add_f64_e32 v[145:146], v[149:150], v[145:146]
	ds_load_b128 v[141:144], v1 offset:960
	v_fma_f64 v[151:152], v[137:138], v[139:140], v[151:152]
	v_fma_f64 v[139:140], v[135:136], v[139:140], -v[153:154]
	scratch_load_b128 v[135:138], off, off offset:400
	s_wait_loadcnt_dscnt 0x901
	v_mul_f64_e32 v[149:150], v[2:3], v[40:41]
	v_mul_f64_e32 v[40:41], v[4:5], v[40:41]
	v_add_f64_e32 v[147:148], v[147:148], v[157:158]
	v_add_f64_e32 v[145:146], v[145:146], v[155:156]
	s_delay_alu instid0(VALU_DEP_4) | instskip(NEXT) | instid1(VALU_DEP_4)
	v_fma_f64 v[149:150], v[4:5], v[38:39], v[149:150]
	v_fma_f64 v[155:156], v[2:3], v[38:39], -v[40:41]
	ds_load_b128 v[2:5], v1 offset:976
	s_wait_loadcnt_dscnt 0x801
	v_mul_f64_e32 v[153:154], v[141:142], v[8:9]
	v_mul_f64_e32 v[8:9], v[143:144], v[8:9]
	scratch_load_b128 v[38:41], off, off offset:416
	s_wait_loadcnt_dscnt 0x800
	v_mul_f64_e32 v[157:158], v[2:3], v[12:13]
	v_add_f64_e32 v[139:140], v[147:148], v[139:140]
	v_add_f64_e32 v[151:152], v[145:146], v[151:152]
	v_mul_f64_e32 v[12:13], v[4:5], v[12:13]
	ds_load_b128 v[145:148], v1 offset:992
	v_fma_f64 v[143:144], v[143:144], v[6:7], v[153:154]
	v_fma_f64 v[141:142], v[141:142], v[6:7], -v[8:9]
	scratch_load_b128 v[6:9], off, off offset:432
	v_fma_f64 v[153:154], v[4:5], v[10:11], v[157:158]
	v_add_f64_e32 v[139:140], v[139:140], v[155:156]
	v_add_f64_e32 v[149:150], v[151:152], v[149:150]
	v_fma_f64 v[155:156], v[2:3], v[10:11], -v[12:13]
	ds_load_b128 v[2:5], v1 offset:1008
	s_wait_loadcnt_dscnt 0x801
	v_mul_f64_e32 v[151:152], v[145:146], v[16:17]
	v_mul_f64_e32 v[16:17], v[147:148], v[16:17]
	scratch_load_b128 v[10:13], off, off offset:448
	v_add_f64_e32 v[157:158], v[139:140], v[141:142]
	v_add_f64_e32 v[143:144], v[149:150], v[143:144]
	s_wait_loadcnt_dscnt 0x800
	v_mul_f64_e32 v[149:150], v[2:3], v[20:21]
	v_mul_f64_e32 v[20:21], v[4:5], v[20:21]
	v_fma_f64 v[147:148], v[147:148], v[14:15], v[151:152]
	v_fma_f64 v[145:146], v[145:146], v[14:15], -v[16:17]
	ds_load_b128 v[139:142], v1 offset:1024
	scratch_load_b128 v[14:17], off, off offset:464
	v_add_f64_e32 v[151:152], v[157:158], v[155:156]
	v_add_f64_e32 v[143:144], v[143:144], v[153:154]
	v_fma_f64 v[149:150], v[4:5], v[18:19], v[149:150]
	v_fma_f64 v[155:156], v[2:3], v[18:19], -v[20:21]
	ds_load_b128 v[2:5], v1 offset:1040
	s_wait_loadcnt_dscnt 0x801
	v_mul_f64_e32 v[153:154], v[139:140], v[24:25]
	v_mul_f64_e32 v[24:25], v[141:142], v[24:25]
	scratch_load_b128 v[18:21], off, off offset:480
	s_wait_loadcnt_dscnt 0x800
	v_mul_f64_e32 v[157:158], v[2:3], v[28:29]
	v_mul_f64_e32 v[28:29], v[4:5], v[28:29]
	v_add_f64_e32 v[151:152], v[151:152], v[145:146]
	v_add_f64_e32 v[147:148], v[143:144], v[147:148]
	ds_load_b128 v[143:146], v1 offset:1056
	v_fma_f64 v[141:142], v[141:142], v[22:23], v[153:154]
	v_fma_f64 v[139:140], v[139:140], v[22:23], -v[24:25]
	scratch_load_b128 v[22:25], off, off offset:496
	v_fma_f64 v[153:154], v[4:5], v[26:27], v[157:158]
	v_add_f64_e32 v[151:152], v[151:152], v[155:156]
	v_add_f64_e32 v[147:148], v[147:148], v[149:150]
	v_fma_f64 v[155:156], v[2:3], v[26:27], -v[28:29]
	ds_load_b128 v[2:5], v1 offset:1072
	s_wait_loadcnt_dscnt 0x801
	v_mul_f64_e32 v[149:150], v[143:144], v[32:33]
	v_mul_f64_e32 v[32:33], v[145:146], v[32:33]
	scratch_load_b128 v[26:29], off, off offset:512
	s_wait_loadcnt_dscnt 0x800
	v_mul_f64_e32 v[157:158], v[2:3], v[36:37]
	v_mul_f64_e32 v[36:37], v[4:5], v[36:37]
	v_add_f64_e32 v[151:152], v[151:152], v[139:140]
	v_add_f64_e32 v[147:148], v[147:148], v[141:142]
	ds_load_b128 v[139:142], v1 offset:1088
	v_fma_f64 v[145:146], v[145:146], v[30:31], v[149:150]
	v_fma_f64 v[143:144], v[143:144], v[30:31], -v[32:33]
	scratch_load_b128 v[30:33], off, off offset:528
	v_add_f64_e32 v[149:150], v[151:152], v[155:156]
	v_add_f64_e32 v[147:148], v[147:148], v[153:154]
	v_fma_f64 v[153:154], v[4:5], v[34:35], v[157:158]
	v_fma_f64 v[155:156], v[2:3], v[34:35], -v[36:37]
	ds_load_b128 v[2:5], v1 offset:1104
	s_wait_loadcnt_dscnt 0x801
	v_mul_f64_e32 v[151:152], v[139:140], v[137:138]
	v_mul_f64_e32 v[137:138], v[141:142], v[137:138]
	scratch_load_b128 v[34:37], off, off offset:544
	s_wait_loadcnt_dscnt 0x800
	v_mul_f64_e32 v[157:158], v[2:3], v[40:41]
	v_mul_f64_e32 v[40:41], v[4:5], v[40:41]
	v_add_f64_e32 v[149:150], v[149:150], v[143:144]
	v_add_f64_e32 v[147:148], v[147:148], v[145:146]
	ds_load_b128 v[143:146], v1 offset:1120
	v_fma_f64 v[141:142], v[141:142], v[135:136], v[151:152]
	v_fma_f64 v[139:140], v[139:140], v[135:136], -v[137:138]
	scratch_load_b128 v[135:138], off, off offset:560
	v_add_f64_e32 v[149:150], v[149:150], v[155:156]
	v_add_f64_e32 v[147:148], v[147:148], v[153:154]
	v_fma_f64 v[153:154], v[4:5], v[38:39], v[157:158]
	;; [unrolled: 18-line block ×6, first 2 shown]
	v_fma_f64 v[157:158], v[2:3], v[34:35], -v[36:37]
	ds_load_b128 v[2:5], v1 offset:1264
	s_wait_loadcnt_dscnt 0x801
	v_mul_f64_e32 v[151:152], v[143:144], v[137:138]
	v_mul_f64_e32 v[153:154], v[145:146], v[137:138]
	scratch_load_b128 v[34:37], off, off offset:704
	v_add_f64_e32 v[149:150], v[149:150], v[139:140]
	v_add_f64_e32 v[141:142], v[147:148], v[141:142]
	s_wait_loadcnt_dscnt 0x800
	v_mul_f64_e32 v[147:148], v[2:3], v[40:41]
	v_mul_f64_e32 v[40:41], v[4:5], v[40:41]
	ds_load_b128 v[137:140], v1 offset:1280
	v_fma_f64 v[145:146], v[145:146], v[135:136], v[151:152]
	v_fma_f64 v[135:136], v[143:144], v[135:136], -v[153:154]
	v_add_f64_e32 v[143:144], v[149:150], v[157:158]
	v_add_f64_e32 v[141:142], v[141:142], v[155:156]
	s_wait_loadcnt_dscnt 0x700
	v_mul_f64_e32 v[149:150], v[137:138], v[8:9]
	v_mul_f64_e32 v[8:9], v[139:140], v[8:9]
	v_fma_f64 v[147:148], v[4:5], v[38:39], v[147:148]
	v_fma_f64 v[151:152], v[2:3], v[38:39], -v[40:41]
	ds_load_b128 v[2:5], v1 offset:1296
	ds_load_b128 v[38:41], v1 offset:1312
	v_add_f64_e32 v[135:136], v[143:144], v[135:136]
	v_add_f64_e32 v[141:142], v[141:142], v[145:146]
	s_wait_loadcnt_dscnt 0x601
	v_mul_f64_e32 v[143:144], v[2:3], v[12:13]
	v_mul_f64_e32 v[12:13], v[4:5], v[12:13]
	v_fma_f64 v[139:140], v[139:140], v[6:7], v[149:150]
	v_fma_f64 v[6:7], v[137:138], v[6:7], -v[8:9]
	s_wait_loadcnt_dscnt 0x500
	v_mul_f64_e32 v[137:138], v[38:39], v[16:17]
	v_mul_f64_e32 v[16:17], v[40:41], v[16:17]
	v_add_f64_e32 v[8:9], v[135:136], v[151:152]
	v_add_f64_e32 v[135:136], v[141:142], v[147:148]
	v_fma_f64 v[141:142], v[4:5], v[10:11], v[143:144]
	v_fma_f64 v[10:11], v[2:3], v[10:11], -v[12:13]
	v_fma_f64 v[40:41], v[40:41], v[14:15], v[137:138]
	v_fma_f64 v[14:15], v[38:39], v[14:15], -v[16:17]
	v_add_f64_e32 v[12:13], v[8:9], v[6:7]
	v_add_f64_e32 v[135:136], v[135:136], v[139:140]
	ds_load_b128 v[2:5], v1 offset:1328
	ds_load_b128 v[6:9], v1 offset:1344
	s_wait_loadcnt_dscnt 0x401
	v_mul_f64_e32 v[139:140], v[2:3], v[20:21]
	v_mul_f64_e32 v[20:21], v[4:5], v[20:21]
	s_wait_loadcnt_dscnt 0x300
	v_mul_f64_e32 v[16:17], v[6:7], v[24:25]
	v_mul_f64_e32 v[24:25], v[8:9], v[24:25]
	v_add_f64_e32 v[10:11], v[12:13], v[10:11]
	v_add_f64_e32 v[12:13], v[135:136], v[141:142]
	v_fma_f64 v[38:39], v[4:5], v[18:19], v[139:140]
	v_fma_f64 v[18:19], v[2:3], v[18:19], -v[20:21]
	v_fma_f64 v[8:9], v[8:9], v[22:23], v[16:17]
	v_fma_f64 v[6:7], v[6:7], v[22:23], -v[24:25]
	v_add_f64_e32 v[14:15], v[10:11], v[14:15]
	v_add_f64_e32 v[20:21], v[12:13], v[40:41]
	ds_load_b128 v[2:5], v1 offset:1360
	ds_load_b128 v[10:13], v1 offset:1376
	s_wait_loadcnt_dscnt 0x201
	v_mul_f64_e32 v[40:41], v[2:3], v[28:29]
	v_mul_f64_e32 v[28:29], v[4:5], v[28:29]
	v_add_f64_e32 v[14:15], v[14:15], v[18:19]
	v_add_f64_e32 v[16:17], v[20:21], v[38:39]
	s_wait_loadcnt_dscnt 0x100
	v_mul_f64_e32 v[18:19], v[10:11], v[32:33]
	v_mul_f64_e32 v[20:21], v[12:13], v[32:33]
	v_fma_f64 v[22:23], v[4:5], v[26:27], v[40:41]
	v_fma_f64 v[24:25], v[2:3], v[26:27], -v[28:29]
	ds_load_b128 v[2:5], v1 offset:1392
	v_add_f64_e32 v[6:7], v[14:15], v[6:7]
	v_add_f64_e32 v[8:9], v[16:17], v[8:9]
	v_fma_f64 v[12:13], v[12:13], v[30:31], v[18:19]
	v_fma_f64 v[10:11], v[10:11], v[30:31], -v[20:21]
	s_wait_loadcnt_dscnt 0x0
	v_mul_f64_e32 v[14:15], v[2:3], v[36:37]
	v_mul_f64_e32 v[16:17], v[4:5], v[36:37]
	v_add_f64_e32 v[6:7], v[6:7], v[24:25]
	v_add_f64_e32 v[8:9], v[8:9], v[22:23]
	s_delay_alu instid0(VALU_DEP_4) | instskip(NEXT) | instid1(VALU_DEP_4)
	v_fma_f64 v[4:5], v[4:5], v[34:35], v[14:15]
	v_fma_f64 v[2:3], v[2:3], v[34:35], -v[16:17]
	s_delay_alu instid0(VALU_DEP_4) | instskip(NEXT) | instid1(VALU_DEP_4)
	v_add_f64_e32 v[6:7], v[6:7], v[10:11]
	v_add_f64_e32 v[8:9], v[8:9], v[12:13]
	s_delay_alu instid0(VALU_DEP_2) | instskip(NEXT) | instid1(VALU_DEP_2)
	v_add_f64_e32 v[2:3], v[6:7], v[2:3]
	v_add_f64_e32 v[4:5], v[8:9], v[4:5]
	s_delay_alu instid0(VALU_DEP_2) | instskip(NEXT) | instid1(VALU_DEP_2)
	v_add_f64_e64 v[2:3], v[42:43], -v[2:3]
	v_add_f64_e64 v[4:5], v[44:45], -v[4:5]
	scratch_store_b128 off, v[2:5], off offset:80
	v_cmpx_lt_u32_e32 3, v0
	s_cbranch_execz .LBB107_271
; %bb.270:
	scratch_load_b128 v[5:8], off, s10
	v_dual_mov_b32 v2, v1 :: v_dual_mov_b32 v3, v1
	v_mov_b32_e32 v4, v1
	scratch_store_b128 off, v[1:4], off offset:64
	s_wait_loadcnt 0x0
	ds_store_b128 v134, v[5:8]
.LBB107_271:
	s_wait_alu 0xfffe
	s_or_b32 exec_lo, exec_lo, s0
	s_wait_storecnt_dscnt 0x0
	s_barrier_signal -1
	s_barrier_wait -1
	global_inv scope:SCOPE_SE
	s_clause 0x8
	scratch_load_b128 v[2:5], off, off offset:80
	scratch_load_b128 v[6:9], off, off offset:96
	;; [unrolled: 1-line block ×9, first 2 shown]
	ds_load_b128 v[42:45], v1 offset:768
	ds_load_b128 v[38:41], v1 offset:784
	s_clause 0x1
	scratch_load_b128 v[135:138], off, off offset:64
	scratch_load_b128 v[139:142], off, off offset:224
	s_mov_b32 s0, exec_lo
	s_wait_loadcnt_dscnt 0xa01
	v_mul_f64_e32 v[143:144], v[44:45], v[4:5]
	v_mul_f64_e32 v[4:5], v[42:43], v[4:5]
	s_wait_loadcnt_dscnt 0x900
	v_mul_f64_e32 v[147:148], v[38:39], v[8:9]
	v_mul_f64_e32 v[8:9], v[40:41], v[8:9]
	s_delay_alu instid0(VALU_DEP_4) | instskip(NEXT) | instid1(VALU_DEP_4)
	v_fma_f64 v[149:150], v[42:43], v[2:3], -v[143:144]
	v_fma_f64 v[151:152], v[44:45], v[2:3], v[4:5]
	ds_load_b128 v[2:5], v1 offset:800
	ds_load_b128 v[143:146], v1 offset:816
	scratch_load_b128 v[42:45], off, off offset:240
	v_fma_f64 v[40:41], v[40:41], v[6:7], v[147:148]
	v_fma_f64 v[38:39], v[38:39], v[6:7], -v[8:9]
	scratch_load_b128 v[6:9], off, off offset:256
	s_wait_loadcnt_dscnt 0xa01
	v_mul_f64_e32 v[153:154], v[2:3], v[12:13]
	v_mul_f64_e32 v[12:13], v[4:5], v[12:13]
	v_add_f64_e32 v[147:148], 0, v[149:150]
	v_add_f64_e32 v[149:150], 0, v[151:152]
	s_wait_loadcnt_dscnt 0x900
	v_mul_f64_e32 v[151:152], v[143:144], v[16:17]
	v_mul_f64_e32 v[16:17], v[145:146], v[16:17]
	v_fma_f64 v[153:154], v[4:5], v[10:11], v[153:154]
	v_fma_f64 v[155:156], v[2:3], v[10:11], -v[12:13]
	ds_load_b128 v[2:5], v1 offset:832
	scratch_load_b128 v[10:13], off, off offset:272
	v_add_f64_e32 v[147:148], v[147:148], v[38:39]
	v_add_f64_e32 v[149:150], v[149:150], v[40:41]
	ds_load_b128 v[38:41], v1 offset:848
	v_fma_f64 v[145:146], v[145:146], v[14:15], v[151:152]
	v_fma_f64 v[143:144], v[143:144], v[14:15], -v[16:17]
	scratch_load_b128 v[14:17], off, off offset:288
	s_wait_loadcnt_dscnt 0xa01
	v_mul_f64_e32 v[157:158], v[2:3], v[20:21]
	v_mul_f64_e32 v[20:21], v[4:5], v[20:21]
	s_wait_loadcnt_dscnt 0x900
	v_mul_f64_e32 v[151:152], v[38:39], v[24:25]
	v_mul_f64_e32 v[24:25], v[40:41], v[24:25]
	v_add_f64_e32 v[147:148], v[147:148], v[155:156]
	v_add_f64_e32 v[149:150], v[149:150], v[153:154]
	v_fma_f64 v[153:154], v[4:5], v[18:19], v[157:158]
	v_fma_f64 v[155:156], v[2:3], v[18:19], -v[20:21]
	ds_load_b128 v[2:5], v1 offset:864
	scratch_load_b128 v[18:21], off, off offset:304
	v_fma_f64 v[40:41], v[40:41], v[22:23], v[151:152]
	v_fma_f64 v[38:39], v[38:39], v[22:23], -v[24:25]
	scratch_load_b128 v[22:25], off, off offset:320
	v_add_f64_e32 v[147:148], v[147:148], v[143:144]
	v_add_f64_e32 v[149:150], v[149:150], v[145:146]
	ds_load_b128 v[143:146], v1 offset:880
	s_wait_loadcnt_dscnt 0xa01
	v_mul_f64_e32 v[157:158], v[2:3], v[28:29]
	v_mul_f64_e32 v[28:29], v[4:5], v[28:29]
	s_wait_loadcnt_dscnt 0x900
	v_mul_f64_e32 v[151:152], v[143:144], v[32:33]
	v_mul_f64_e32 v[32:33], v[145:146], v[32:33]
	v_add_f64_e32 v[147:148], v[147:148], v[155:156]
	v_add_f64_e32 v[149:150], v[149:150], v[153:154]
	v_fma_f64 v[153:154], v[4:5], v[26:27], v[157:158]
	v_fma_f64 v[155:156], v[2:3], v[26:27], -v[28:29]
	ds_load_b128 v[2:5], v1 offset:896
	scratch_load_b128 v[26:29], off, off offset:336
	v_fma_f64 v[145:146], v[145:146], v[30:31], v[151:152]
	v_fma_f64 v[143:144], v[143:144], v[30:31], -v[32:33]
	scratch_load_b128 v[30:33], off, off offset:352
	v_add_f64_e32 v[147:148], v[147:148], v[38:39]
	v_add_f64_e32 v[149:150], v[149:150], v[40:41]
	ds_load_b128 v[38:41], v1 offset:912
	s_wait_loadcnt_dscnt 0xa01
	v_mul_f64_e32 v[157:158], v[2:3], v[36:37]
	v_mul_f64_e32 v[36:37], v[4:5], v[36:37]
	s_wait_loadcnt_dscnt 0x800
	v_mul_f64_e32 v[151:152], v[38:39], v[141:142]
	v_add_f64_e32 v[147:148], v[147:148], v[155:156]
	v_add_f64_e32 v[149:150], v[149:150], v[153:154]
	v_mul_f64_e32 v[153:154], v[40:41], v[141:142]
	v_fma_f64 v[155:156], v[4:5], v[34:35], v[157:158]
	v_fma_f64 v[157:158], v[2:3], v[34:35], -v[36:37]
	ds_load_b128 v[2:5], v1 offset:928
	scratch_load_b128 v[34:37], off, off offset:368
	v_fma_f64 v[151:152], v[40:41], v[139:140], v[151:152]
	v_add_f64_e32 v[147:148], v[147:148], v[143:144]
	v_add_f64_e32 v[145:146], v[149:150], v[145:146]
	ds_load_b128 v[141:144], v1 offset:944
	v_fma_f64 v[139:140], v[38:39], v[139:140], -v[153:154]
	scratch_load_b128 v[38:41], off, off offset:384
	s_wait_loadcnt_dscnt 0x901
	v_mul_f64_e32 v[149:150], v[2:3], v[44:45]
	v_mul_f64_e32 v[44:45], v[4:5], v[44:45]
	s_wait_loadcnt_dscnt 0x800
	v_mul_f64_e32 v[153:154], v[141:142], v[8:9]
	v_mul_f64_e32 v[8:9], v[143:144], v[8:9]
	v_add_f64_e32 v[147:148], v[147:148], v[157:158]
	v_add_f64_e32 v[145:146], v[145:146], v[155:156]
	v_fma_f64 v[149:150], v[4:5], v[42:43], v[149:150]
	v_fma_f64 v[155:156], v[2:3], v[42:43], -v[44:45]
	ds_load_b128 v[2:5], v1 offset:960
	scratch_load_b128 v[42:45], off, off offset:400
	v_fma_f64 v[143:144], v[143:144], v[6:7], v[153:154]
	v_fma_f64 v[141:142], v[141:142], v[6:7], -v[8:9]
	scratch_load_b128 v[6:9], off, off offset:416
	v_add_f64_e32 v[139:140], v[147:148], v[139:140]
	v_add_f64_e32 v[151:152], v[145:146], v[151:152]
	ds_load_b128 v[145:148], v1 offset:976
	s_wait_loadcnt_dscnt 0x901
	v_mul_f64_e32 v[157:158], v[2:3], v[12:13]
	v_mul_f64_e32 v[12:13], v[4:5], v[12:13]
	v_add_f64_e32 v[139:140], v[139:140], v[155:156]
	v_add_f64_e32 v[149:150], v[151:152], v[149:150]
	s_wait_loadcnt_dscnt 0x800
	v_mul_f64_e32 v[151:152], v[145:146], v[16:17]
	v_mul_f64_e32 v[16:17], v[147:148], v[16:17]
	v_fma_f64 v[153:154], v[4:5], v[10:11], v[157:158]
	v_fma_f64 v[155:156], v[2:3], v[10:11], -v[12:13]
	ds_load_b128 v[2:5], v1 offset:992
	scratch_load_b128 v[10:13], off, off offset:432
	v_add_f64_e32 v[157:158], v[139:140], v[141:142]
	v_add_f64_e32 v[143:144], v[149:150], v[143:144]
	ds_load_b128 v[139:142], v1 offset:1008
	s_wait_loadcnt_dscnt 0x801
	v_mul_f64_e32 v[149:150], v[2:3], v[20:21]
	v_mul_f64_e32 v[20:21], v[4:5], v[20:21]
	v_fma_f64 v[147:148], v[147:148], v[14:15], v[151:152]
	v_fma_f64 v[145:146], v[145:146], v[14:15], -v[16:17]
	scratch_load_b128 v[14:17], off, off offset:448
	v_add_f64_e32 v[151:152], v[157:158], v[155:156]
	v_add_f64_e32 v[143:144], v[143:144], v[153:154]
	s_wait_loadcnt_dscnt 0x800
	v_mul_f64_e32 v[153:154], v[139:140], v[24:25]
	v_mul_f64_e32 v[24:25], v[141:142], v[24:25]
	v_fma_f64 v[149:150], v[4:5], v[18:19], v[149:150]
	v_fma_f64 v[155:156], v[2:3], v[18:19], -v[20:21]
	ds_load_b128 v[2:5], v1 offset:1024
	scratch_load_b128 v[18:21], off, off offset:464
	v_add_f64_e32 v[151:152], v[151:152], v[145:146]
	v_add_f64_e32 v[147:148], v[143:144], v[147:148]
	ds_load_b128 v[143:146], v1 offset:1040
	s_wait_loadcnt_dscnt 0x801
	v_mul_f64_e32 v[157:158], v[2:3], v[28:29]
	v_mul_f64_e32 v[28:29], v[4:5], v[28:29]
	v_fma_f64 v[141:142], v[141:142], v[22:23], v[153:154]
	v_fma_f64 v[139:140], v[139:140], v[22:23], -v[24:25]
	scratch_load_b128 v[22:25], off, off offset:480
	v_add_f64_e32 v[151:152], v[151:152], v[155:156]
	v_add_f64_e32 v[147:148], v[147:148], v[149:150]
	s_wait_loadcnt_dscnt 0x800
	v_mul_f64_e32 v[149:150], v[143:144], v[32:33]
	v_mul_f64_e32 v[32:33], v[145:146], v[32:33]
	v_fma_f64 v[153:154], v[4:5], v[26:27], v[157:158]
	v_fma_f64 v[155:156], v[2:3], v[26:27], -v[28:29]
	ds_load_b128 v[2:5], v1 offset:1056
	scratch_load_b128 v[26:29], off, off offset:496
	v_add_f64_e32 v[151:152], v[151:152], v[139:140]
	v_add_f64_e32 v[147:148], v[147:148], v[141:142]
	ds_load_b128 v[139:142], v1 offset:1072
	s_wait_loadcnt_dscnt 0x801
	v_mul_f64_e32 v[157:158], v[2:3], v[36:37]
	v_mul_f64_e32 v[36:37], v[4:5], v[36:37]
	v_fma_f64 v[145:146], v[145:146], v[30:31], v[149:150]
	v_fma_f64 v[143:144], v[143:144], v[30:31], -v[32:33]
	scratch_load_b128 v[30:33], off, off offset:512
	v_add_f64_e32 v[149:150], v[151:152], v[155:156]
	v_add_f64_e32 v[147:148], v[147:148], v[153:154]
	s_wait_loadcnt_dscnt 0x800
	v_mul_f64_e32 v[151:152], v[139:140], v[40:41]
	v_mul_f64_e32 v[40:41], v[141:142], v[40:41]
	v_fma_f64 v[153:154], v[4:5], v[34:35], v[157:158]
	v_fma_f64 v[155:156], v[2:3], v[34:35], -v[36:37]
	ds_load_b128 v[2:5], v1 offset:1088
	scratch_load_b128 v[34:37], off, off offset:528
	v_add_f64_e32 v[149:150], v[149:150], v[143:144]
	v_add_f64_e32 v[147:148], v[147:148], v[145:146]
	ds_load_b128 v[143:146], v1 offset:1104
	s_wait_loadcnt_dscnt 0x801
	v_mul_f64_e32 v[157:158], v[2:3], v[44:45]
	v_mul_f64_e32 v[44:45], v[4:5], v[44:45]
	v_fma_f64 v[141:142], v[141:142], v[38:39], v[151:152]
	v_fma_f64 v[139:140], v[139:140], v[38:39], -v[40:41]
	scratch_load_b128 v[38:41], off, off offset:544
	s_wait_loadcnt_dscnt 0x800
	v_mul_f64_e32 v[151:152], v[143:144], v[8:9]
	v_mul_f64_e32 v[8:9], v[145:146], v[8:9]
	v_add_f64_e32 v[149:150], v[149:150], v[155:156]
	v_add_f64_e32 v[147:148], v[147:148], v[153:154]
	v_fma_f64 v[153:154], v[4:5], v[42:43], v[157:158]
	v_fma_f64 v[155:156], v[2:3], v[42:43], -v[44:45]
	ds_load_b128 v[2:5], v1 offset:1120
	scratch_load_b128 v[42:45], off, off offset:560
	v_fma_f64 v[145:146], v[145:146], v[6:7], v[151:152]
	v_fma_f64 v[143:144], v[143:144], v[6:7], -v[8:9]
	scratch_load_b128 v[6:9], off, off offset:576
	v_add_f64_e32 v[149:150], v[149:150], v[139:140]
	v_add_f64_e32 v[147:148], v[147:148], v[141:142]
	ds_load_b128 v[139:142], v1 offset:1136
	s_wait_loadcnt_dscnt 0x901
	v_mul_f64_e32 v[157:158], v[2:3], v[12:13]
	v_mul_f64_e32 v[12:13], v[4:5], v[12:13]
	s_wait_loadcnt_dscnt 0x800
	v_mul_f64_e32 v[151:152], v[139:140], v[16:17]
	v_mul_f64_e32 v[16:17], v[141:142], v[16:17]
	v_add_f64_e32 v[149:150], v[149:150], v[155:156]
	v_add_f64_e32 v[147:148], v[147:148], v[153:154]
	v_fma_f64 v[153:154], v[4:5], v[10:11], v[157:158]
	v_fma_f64 v[155:156], v[2:3], v[10:11], -v[12:13]
	ds_load_b128 v[2:5], v1 offset:1152
	scratch_load_b128 v[10:13], off, off offset:592
	v_fma_f64 v[141:142], v[141:142], v[14:15], v[151:152]
	v_fma_f64 v[139:140], v[139:140], v[14:15], -v[16:17]
	scratch_load_b128 v[14:17], off, off offset:608
	v_add_f64_e32 v[149:150], v[149:150], v[143:144]
	v_add_f64_e32 v[147:148], v[147:148], v[145:146]
	ds_load_b128 v[143:146], v1 offset:1168
	s_wait_loadcnt_dscnt 0x901
	v_mul_f64_e32 v[157:158], v[2:3], v[20:21]
	v_mul_f64_e32 v[20:21], v[4:5], v[20:21]
	;; [unrolled: 18-line block ×5, first 2 shown]
	s_wait_loadcnt_dscnt 0x800
	v_mul_f64_e32 v[151:152], v[139:140], v[8:9]
	v_mul_f64_e32 v[8:9], v[141:142], v[8:9]
	v_add_f64_e32 v[149:150], v[149:150], v[155:156]
	v_add_f64_e32 v[147:148], v[147:148], v[153:154]
	v_fma_f64 v[153:154], v[4:5], v[42:43], v[157:158]
	v_fma_f64 v[155:156], v[2:3], v[42:43], -v[44:45]
	ds_load_b128 v[2:5], v1 offset:1280
	ds_load_b128 v[42:45], v1 offset:1296
	v_fma_f64 v[141:142], v[141:142], v[6:7], v[151:152]
	v_fma_f64 v[6:7], v[139:140], v[6:7], -v[8:9]
	v_add_f64_e32 v[143:144], v[149:150], v[143:144]
	v_add_f64_e32 v[145:146], v[147:148], v[145:146]
	s_wait_loadcnt_dscnt 0x701
	v_mul_f64_e32 v[147:148], v[2:3], v[12:13]
	v_mul_f64_e32 v[12:13], v[4:5], v[12:13]
	s_delay_alu instid0(VALU_DEP_4) | instskip(NEXT) | instid1(VALU_DEP_4)
	v_add_f64_e32 v[8:9], v[143:144], v[155:156]
	v_add_f64_e32 v[139:140], v[145:146], v[153:154]
	s_wait_loadcnt_dscnt 0x600
	v_mul_f64_e32 v[143:144], v[42:43], v[16:17]
	v_mul_f64_e32 v[16:17], v[44:45], v[16:17]
	v_fma_f64 v[145:146], v[4:5], v[10:11], v[147:148]
	v_fma_f64 v[10:11], v[2:3], v[10:11], -v[12:13]
	v_add_f64_e32 v[12:13], v[8:9], v[6:7]
	v_add_f64_e32 v[139:140], v[139:140], v[141:142]
	ds_load_b128 v[2:5], v1 offset:1312
	ds_load_b128 v[6:9], v1 offset:1328
	v_fma_f64 v[44:45], v[44:45], v[14:15], v[143:144]
	v_fma_f64 v[14:15], v[42:43], v[14:15], -v[16:17]
	s_wait_loadcnt_dscnt 0x501
	v_mul_f64_e32 v[141:142], v[2:3], v[20:21]
	v_mul_f64_e32 v[20:21], v[4:5], v[20:21]
	s_wait_loadcnt_dscnt 0x400
	v_mul_f64_e32 v[16:17], v[6:7], v[24:25]
	v_mul_f64_e32 v[24:25], v[8:9], v[24:25]
	v_add_f64_e32 v[10:11], v[12:13], v[10:11]
	v_add_f64_e32 v[12:13], v[139:140], v[145:146]
	v_fma_f64 v[42:43], v[4:5], v[18:19], v[141:142]
	v_fma_f64 v[18:19], v[2:3], v[18:19], -v[20:21]
	v_fma_f64 v[8:9], v[8:9], v[22:23], v[16:17]
	v_fma_f64 v[6:7], v[6:7], v[22:23], -v[24:25]
	v_add_f64_e32 v[14:15], v[10:11], v[14:15]
	v_add_f64_e32 v[20:21], v[12:13], v[44:45]
	ds_load_b128 v[2:5], v1 offset:1344
	ds_load_b128 v[10:13], v1 offset:1360
	s_wait_loadcnt_dscnt 0x301
	v_mul_f64_e32 v[44:45], v[2:3], v[28:29]
	v_mul_f64_e32 v[28:29], v[4:5], v[28:29]
	v_add_f64_e32 v[14:15], v[14:15], v[18:19]
	v_add_f64_e32 v[16:17], v[20:21], v[42:43]
	s_wait_loadcnt_dscnt 0x200
	v_mul_f64_e32 v[18:19], v[10:11], v[32:33]
	v_mul_f64_e32 v[20:21], v[12:13], v[32:33]
	v_fma_f64 v[22:23], v[4:5], v[26:27], v[44:45]
	v_fma_f64 v[24:25], v[2:3], v[26:27], -v[28:29]
	v_add_f64_e32 v[14:15], v[14:15], v[6:7]
	v_add_f64_e32 v[16:17], v[16:17], v[8:9]
	ds_load_b128 v[2:5], v1 offset:1376
	ds_load_b128 v[6:9], v1 offset:1392
	v_fma_f64 v[12:13], v[12:13], v[30:31], v[18:19]
	v_fma_f64 v[10:11], v[10:11], v[30:31], -v[20:21]
	s_wait_loadcnt_dscnt 0x101
	v_mul_f64_e32 v[26:27], v[2:3], v[36:37]
	v_mul_f64_e32 v[28:29], v[4:5], v[36:37]
	s_wait_loadcnt_dscnt 0x0
	v_mul_f64_e32 v[18:19], v[6:7], v[40:41]
	v_mul_f64_e32 v[20:21], v[8:9], v[40:41]
	v_add_f64_e32 v[14:15], v[14:15], v[24:25]
	v_add_f64_e32 v[16:17], v[16:17], v[22:23]
	v_fma_f64 v[4:5], v[4:5], v[34:35], v[26:27]
	v_fma_f64 v[1:2], v[2:3], v[34:35], -v[28:29]
	v_fma_f64 v[8:9], v[8:9], v[38:39], v[18:19]
	v_fma_f64 v[6:7], v[6:7], v[38:39], -v[20:21]
	v_add_f64_e32 v[10:11], v[14:15], v[10:11]
	v_add_f64_e32 v[12:13], v[16:17], v[12:13]
	s_delay_alu instid0(VALU_DEP_2) | instskip(NEXT) | instid1(VALU_DEP_2)
	v_add_f64_e32 v[1:2], v[10:11], v[1:2]
	v_add_f64_e32 v[3:4], v[12:13], v[4:5]
	s_delay_alu instid0(VALU_DEP_2) | instskip(NEXT) | instid1(VALU_DEP_2)
	;; [unrolled: 3-line block ×3, first 2 shown]
	v_add_f64_e64 v[1:2], v[135:136], -v[1:2]
	v_add_f64_e64 v[3:4], v[137:138], -v[3:4]
	scratch_store_b128 off, v[1:4], off offset:64
	v_cmpx_lt_u32_e32 2, v0
	s_cbranch_execz .LBB107_273
; %bb.272:
	scratch_load_b128 v[1:4], off, s13
	v_mov_b32_e32 v5, 0
	s_delay_alu instid0(VALU_DEP_1)
	v_dual_mov_b32 v6, v5 :: v_dual_mov_b32 v7, v5
	v_mov_b32_e32 v8, v5
	scratch_store_b128 off, v[5:8], off offset:48
	s_wait_loadcnt 0x0
	ds_store_b128 v134, v[1:4]
.LBB107_273:
	s_wait_alu 0xfffe
	s_or_b32 exec_lo, exec_lo, s0
	s_wait_storecnt_dscnt 0x0
	s_barrier_signal -1
	s_barrier_wait -1
	global_inv scope:SCOPE_SE
	s_clause 0x7
	scratch_load_b128 v[2:5], off, off offset:64
	scratch_load_b128 v[6:9], off, off offset:80
	;; [unrolled: 1-line block ×8, first 2 shown]
	v_mov_b32_e32 v1, 0
	s_mov_b32 s0, exec_lo
	ds_load_b128 v[38:41], v1 offset:752
	s_clause 0x1
	scratch_load_b128 v[34:37], off, off offset:192
	scratch_load_b128 v[42:45], off, off offset:48
	ds_load_b128 v[135:138], v1 offset:768
	scratch_load_b128 v[139:142], off, off offset:208
	s_wait_loadcnt_dscnt 0xa01
	v_mul_f64_e32 v[143:144], v[40:41], v[4:5]
	v_mul_f64_e32 v[4:5], v[38:39], v[4:5]
	s_delay_alu instid0(VALU_DEP_2) | instskip(NEXT) | instid1(VALU_DEP_2)
	v_fma_f64 v[149:150], v[38:39], v[2:3], -v[143:144]
	v_fma_f64 v[151:152], v[40:41], v[2:3], v[4:5]
	ds_load_b128 v[2:5], v1 offset:784
	s_wait_loadcnt_dscnt 0x901
	v_mul_f64_e32 v[147:148], v[135:136], v[8:9]
	v_mul_f64_e32 v[8:9], v[137:138], v[8:9]
	scratch_load_b128 v[38:41], off, off offset:224
	ds_load_b128 v[143:146], v1 offset:800
	s_wait_loadcnt_dscnt 0x901
	v_mul_f64_e32 v[153:154], v[2:3], v[12:13]
	v_mul_f64_e32 v[12:13], v[4:5], v[12:13]
	v_fma_f64 v[137:138], v[137:138], v[6:7], v[147:148]
	v_fma_f64 v[135:136], v[135:136], v[6:7], -v[8:9]
	v_add_f64_e32 v[147:148], 0, v[149:150]
	v_add_f64_e32 v[149:150], 0, v[151:152]
	scratch_load_b128 v[6:9], off, off offset:240
	v_fma_f64 v[153:154], v[4:5], v[10:11], v[153:154]
	v_fma_f64 v[155:156], v[2:3], v[10:11], -v[12:13]
	ds_load_b128 v[2:5], v1 offset:816
	s_wait_loadcnt_dscnt 0x901
	v_mul_f64_e32 v[151:152], v[143:144], v[16:17]
	v_mul_f64_e32 v[16:17], v[145:146], v[16:17]
	scratch_load_b128 v[10:13], off, off offset:256
	v_add_f64_e32 v[147:148], v[147:148], v[135:136]
	v_add_f64_e32 v[149:150], v[149:150], v[137:138]
	s_wait_loadcnt_dscnt 0x900
	v_mul_f64_e32 v[157:158], v[2:3], v[20:21]
	v_mul_f64_e32 v[20:21], v[4:5], v[20:21]
	ds_load_b128 v[135:138], v1 offset:832
	v_fma_f64 v[145:146], v[145:146], v[14:15], v[151:152]
	v_fma_f64 v[143:144], v[143:144], v[14:15], -v[16:17]
	scratch_load_b128 v[14:17], off, off offset:272
	v_add_f64_e32 v[147:148], v[147:148], v[155:156]
	v_add_f64_e32 v[149:150], v[149:150], v[153:154]
	v_fma_f64 v[153:154], v[4:5], v[18:19], v[157:158]
	v_fma_f64 v[155:156], v[2:3], v[18:19], -v[20:21]
	ds_load_b128 v[2:5], v1 offset:848
	s_wait_loadcnt_dscnt 0x901
	v_mul_f64_e32 v[151:152], v[135:136], v[24:25]
	v_mul_f64_e32 v[24:25], v[137:138], v[24:25]
	scratch_load_b128 v[18:21], off, off offset:288
	s_wait_loadcnt_dscnt 0x900
	v_mul_f64_e32 v[157:158], v[2:3], v[28:29]
	v_mul_f64_e32 v[28:29], v[4:5], v[28:29]
	v_add_f64_e32 v[147:148], v[147:148], v[143:144]
	v_add_f64_e32 v[149:150], v[149:150], v[145:146]
	ds_load_b128 v[143:146], v1 offset:864
	v_fma_f64 v[137:138], v[137:138], v[22:23], v[151:152]
	v_fma_f64 v[135:136], v[135:136], v[22:23], -v[24:25]
	scratch_load_b128 v[22:25], off, off offset:304
	v_add_f64_e32 v[147:148], v[147:148], v[155:156]
	v_add_f64_e32 v[149:150], v[149:150], v[153:154]
	v_fma_f64 v[153:154], v[4:5], v[26:27], v[157:158]
	v_fma_f64 v[155:156], v[2:3], v[26:27], -v[28:29]
	ds_load_b128 v[2:5], v1 offset:880
	s_wait_loadcnt_dscnt 0x901
	v_mul_f64_e32 v[151:152], v[143:144], v[32:33]
	v_mul_f64_e32 v[32:33], v[145:146], v[32:33]
	scratch_load_b128 v[26:29], off, off offset:320
	s_wait_loadcnt_dscnt 0x900
	v_mul_f64_e32 v[157:158], v[2:3], v[36:37]
	v_mul_f64_e32 v[36:37], v[4:5], v[36:37]
	v_add_f64_e32 v[147:148], v[147:148], v[135:136]
	v_add_f64_e32 v[149:150], v[149:150], v[137:138]
	ds_load_b128 v[135:138], v1 offset:896
	v_fma_f64 v[145:146], v[145:146], v[30:31], v[151:152]
	v_fma_f64 v[143:144], v[143:144], v[30:31], -v[32:33]
	scratch_load_b128 v[30:33], off, off offset:336
	v_add_f64_e32 v[147:148], v[147:148], v[155:156]
	v_add_f64_e32 v[149:150], v[149:150], v[153:154]
	v_fma_f64 v[155:156], v[4:5], v[34:35], v[157:158]
	v_fma_f64 v[157:158], v[2:3], v[34:35], -v[36:37]
	ds_load_b128 v[2:5], v1 offset:912
	s_wait_loadcnt_dscnt 0x801
	v_mul_f64_e32 v[151:152], v[135:136], v[141:142]
	v_mul_f64_e32 v[153:154], v[137:138], v[141:142]
	scratch_load_b128 v[34:37], off, off offset:352
	v_add_f64_e32 v[147:148], v[147:148], v[143:144]
	v_add_f64_e32 v[145:146], v[149:150], v[145:146]
	ds_load_b128 v[141:144], v1 offset:928
	v_fma_f64 v[151:152], v[137:138], v[139:140], v[151:152]
	v_fma_f64 v[139:140], v[135:136], v[139:140], -v[153:154]
	scratch_load_b128 v[135:138], off, off offset:368
	s_wait_loadcnt_dscnt 0x901
	v_mul_f64_e32 v[149:150], v[2:3], v[40:41]
	v_mul_f64_e32 v[40:41], v[4:5], v[40:41]
	v_add_f64_e32 v[147:148], v[147:148], v[157:158]
	v_add_f64_e32 v[145:146], v[145:146], v[155:156]
	s_delay_alu instid0(VALU_DEP_4) | instskip(NEXT) | instid1(VALU_DEP_4)
	v_fma_f64 v[149:150], v[4:5], v[38:39], v[149:150]
	v_fma_f64 v[155:156], v[2:3], v[38:39], -v[40:41]
	ds_load_b128 v[2:5], v1 offset:944
	s_wait_loadcnt_dscnt 0x801
	v_mul_f64_e32 v[153:154], v[141:142], v[8:9]
	v_mul_f64_e32 v[8:9], v[143:144], v[8:9]
	scratch_load_b128 v[38:41], off, off offset:384
	s_wait_loadcnt_dscnt 0x800
	v_mul_f64_e32 v[157:158], v[2:3], v[12:13]
	v_add_f64_e32 v[139:140], v[147:148], v[139:140]
	v_add_f64_e32 v[151:152], v[145:146], v[151:152]
	v_mul_f64_e32 v[12:13], v[4:5], v[12:13]
	ds_load_b128 v[145:148], v1 offset:960
	v_fma_f64 v[143:144], v[143:144], v[6:7], v[153:154]
	v_fma_f64 v[141:142], v[141:142], v[6:7], -v[8:9]
	scratch_load_b128 v[6:9], off, off offset:400
	v_fma_f64 v[153:154], v[4:5], v[10:11], v[157:158]
	v_add_f64_e32 v[139:140], v[139:140], v[155:156]
	v_add_f64_e32 v[149:150], v[151:152], v[149:150]
	v_fma_f64 v[155:156], v[2:3], v[10:11], -v[12:13]
	ds_load_b128 v[2:5], v1 offset:976
	s_wait_loadcnt_dscnt 0x801
	v_mul_f64_e32 v[151:152], v[145:146], v[16:17]
	v_mul_f64_e32 v[16:17], v[147:148], v[16:17]
	scratch_load_b128 v[10:13], off, off offset:416
	v_add_f64_e32 v[157:158], v[139:140], v[141:142]
	v_add_f64_e32 v[143:144], v[149:150], v[143:144]
	s_wait_loadcnt_dscnt 0x800
	v_mul_f64_e32 v[149:150], v[2:3], v[20:21]
	v_mul_f64_e32 v[20:21], v[4:5], v[20:21]
	v_fma_f64 v[147:148], v[147:148], v[14:15], v[151:152]
	v_fma_f64 v[145:146], v[145:146], v[14:15], -v[16:17]
	ds_load_b128 v[139:142], v1 offset:992
	scratch_load_b128 v[14:17], off, off offset:432
	v_add_f64_e32 v[151:152], v[157:158], v[155:156]
	v_add_f64_e32 v[143:144], v[143:144], v[153:154]
	v_fma_f64 v[149:150], v[4:5], v[18:19], v[149:150]
	v_fma_f64 v[155:156], v[2:3], v[18:19], -v[20:21]
	ds_load_b128 v[2:5], v1 offset:1008
	s_wait_loadcnt_dscnt 0x801
	v_mul_f64_e32 v[153:154], v[139:140], v[24:25]
	v_mul_f64_e32 v[24:25], v[141:142], v[24:25]
	scratch_load_b128 v[18:21], off, off offset:448
	s_wait_loadcnt_dscnt 0x800
	v_mul_f64_e32 v[157:158], v[2:3], v[28:29]
	v_mul_f64_e32 v[28:29], v[4:5], v[28:29]
	v_add_f64_e32 v[151:152], v[151:152], v[145:146]
	v_add_f64_e32 v[147:148], v[143:144], v[147:148]
	ds_load_b128 v[143:146], v1 offset:1024
	v_fma_f64 v[141:142], v[141:142], v[22:23], v[153:154]
	v_fma_f64 v[139:140], v[139:140], v[22:23], -v[24:25]
	scratch_load_b128 v[22:25], off, off offset:464
	v_fma_f64 v[153:154], v[4:5], v[26:27], v[157:158]
	v_add_f64_e32 v[151:152], v[151:152], v[155:156]
	v_add_f64_e32 v[147:148], v[147:148], v[149:150]
	v_fma_f64 v[155:156], v[2:3], v[26:27], -v[28:29]
	ds_load_b128 v[2:5], v1 offset:1040
	s_wait_loadcnt_dscnt 0x801
	v_mul_f64_e32 v[149:150], v[143:144], v[32:33]
	v_mul_f64_e32 v[32:33], v[145:146], v[32:33]
	scratch_load_b128 v[26:29], off, off offset:480
	s_wait_loadcnt_dscnt 0x800
	v_mul_f64_e32 v[157:158], v[2:3], v[36:37]
	v_mul_f64_e32 v[36:37], v[4:5], v[36:37]
	v_add_f64_e32 v[151:152], v[151:152], v[139:140]
	v_add_f64_e32 v[147:148], v[147:148], v[141:142]
	ds_load_b128 v[139:142], v1 offset:1056
	v_fma_f64 v[145:146], v[145:146], v[30:31], v[149:150]
	v_fma_f64 v[143:144], v[143:144], v[30:31], -v[32:33]
	scratch_load_b128 v[30:33], off, off offset:496
	v_add_f64_e32 v[149:150], v[151:152], v[155:156]
	v_add_f64_e32 v[147:148], v[147:148], v[153:154]
	v_fma_f64 v[153:154], v[4:5], v[34:35], v[157:158]
	v_fma_f64 v[155:156], v[2:3], v[34:35], -v[36:37]
	ds_load_b128 v[2:5], v1 offset:1072
	s_wait_loadcnt_dscnt 0x801
	v_mul_f64_e32 v[151:152], v[139:140], v[137:138]
	v_mul_f64_e32 v[137:138], v[141:142], v[137:138]
	scratch_load_b128 v[34:37], off, off offset:512
	s_wait_loadcnt_dscnt 0x800
	v_mul_f64_e32 v[157:158], v[2:3], v[40:41]
	v_mul_f64_e32 v[40:41], v[4:5], v[40:41]
	v_add_f64_e32 v[149:150], v[149:150], v[143:144]
	v_add_f64_e32 v[147:148], v[147:148], v[145:146]
	ds_load_b128 v[143:146], v1 offset:1088
	v_fma_f64 v[141:142], v[141:142], v[135:136], v[151:152]
	v_fma_f64 v[139:140], v[139:140], v[135:136], -v[137:138]
	scratch_load_b128 v[135:138], off, off offset:528
	v_add_f64_e32 v[149:150], v[149:150], v[155:156]
	v_add_f64_e32 v[147:148], v[147:148], v[153:154]
	v_fma_f64 v[153:154], v[4:5], v[38:39], v[157:158]
	;; [unrolled: 18-line block ×6, first 2 shown]
	v_fma_f64 v[157:158], v[2:3], v[34:35], -v[36:37]
	ds_load_b128 v[2:5], v1 offset:1232
	s_wait_loadcnt_dscnt 0x801
	v_mul_f64_e32 v[151:152], v[143:144], v[137:138]
	v_mul_f64_e32 v[153:154], v[145:146], v[137:138]
	scratch_load_b128 v[34:37], off, off offset:672
	v_add_f64_e32 v[149:150], v[149:150], v[139:140]
	v_add_f64_e32 v[141:142], v[147:148], v[141:142]
	s_wait_loadcnt_dscnt 0x800
	v_mul_f64_e32 v[147:148], v[2:3], v[40:41]
	v_mul_f64_e32 v[40:41], v[4:5], v[40:41]
	ds_load_b128 v[137:140], v1 offset:1248
	v_fma_f64 v[145:146], v[145:146], v[135:136], v[151:152]
	v_fma_f64 v[135:136], v[143:144], v[135:136], -v[153:154]
	v_add_f64_e32 v[149:150], v[149:150], v[157:158]
	v_add_f64_e32 v[151:152], v[141:142], v[155:156]
	scratch_load_b128 v[141:144], off, off offset:688
	v_fma_f64 v[155:156], v[4:5], v[38:39], v[147:148]
	v_fma_f64 v[157:158], v[2:3], v[38:39], -v[40:41]
	ds_load_b128 v[2:5], v1 offset:1264
	s_wait_loadcnt_dscnt 0x801
	v_mul_f64_e32 v[153:154], v[137:138], v[8:9]
	v_mul_f64_e32 v[8:9], v[139:140], v[8:9]
	scratch_load_b128 v[38:41], off, off offset:704
	v_add_f64_e32 v[135:136], v[149:150], v[135:136]
	v_add_f64_e32 v[149:150], v[151:152], v[145:146]
	s_wait_loadcnt_dscnt 0x800
	v_mul_f64_e32 v[151:152], v[2:3], v[12:13]
	v_mul_f64_e32 v[12:13], v[4:5], v[12:13]
	ds_load_b128 v[145:148], v1 offset:1280
	v_fma_f64 v[139:140], v[139:140], v[6:7], v[153:154]
	v_fma_f64 v[6:7], v[137:138], v[6:7], -v[8:9]
	s_wait_loadcnt_dscnt 0x700
	v_mul_f64_e32 v[137:138], v[145:146], v[16:17]
	v_mul_f64_e32 v[16:17], v[147:148], v[16:17]
	v_add_f64_e32 v[8:9], v[135:136], v[157:158]
	v_add_f64_e32 v[135:136], v[149:150], v[155:156]
	v_fma_f64 v[149:150], v[4:5], v[10:11], v[151:152]
	v_fma_f64 v[10:11], v[2:3], v[10:11], -v[12:13]
	v_fma_f64 v[137:138], v[147:148], v[14:15], v[137:138]
	v_fma_f64 v[14:15], v[145:146], v[14:15], -v[16:17]
	v_add_f64_e32 v[12:13], v[8:9], v[6:7]
	v_add_f64_e32 v[135:136], v[135:136], v[139:140]
	ds_load_b128 v[2:5], v1 offset:1296
	ds_load_b128 v[6:9], v1 offset:1312
	s_wait_loadcnt_dscnt 0x601
	v_mul_f64_e32 v[139:140], v[2:3], v[20:21]
	v_mul_f64_e32 v[20:21], v[4:5], v[20:21]
	s_wait_loadcnt_dscnt 0x500
	v_mul_f64_e32 v[16:17], v[6:7], v[24:25]
	v_mul_f64_e32 v[24:25], v[8:9], v[24:25]
	v_add_f64_e32 v[10:11], v[12:13], v[10:11]
	v_add_f64_e32 v[12:13], v[135:136], v[149:150]
	v_fma_f64 v[135:136], v[4:5], v[18:19], v[139:140]
	v_fma_f64 v[18:19], v[2:3], v[18:19], -v[20:21]
	v_fma_f64 v[8:9], v[8:9], v[22:23], v[16:17]
	v_fma_f64 v[6:7], v[6:7], v[22:23], -v[24:25]
	v_add_f64_e32 v[14:15], v[10:11], v[14:15]
	v_add_f64_e32 v[20:21], v[12:13], v[137:138]
	ds_load_b128 v[2:5], v1 offset:1328
	ds_load_b128 v[10:13], v1 offset:1344
	s_wait_loadcnt_dscnt 0x401
	v_mul_f64_e32 v[137:138], v[2:3], v[28:29]
	v_mul_f64_e32 v[28:29], v[4:5], v[28:29]
	v_add_f64_e32 v[14:15], v[14:15], v[18:19]
	v_add_f64_e32 v[16:17], v[20:21], v[135:136]
	s_wait_loadcnt_dscnt 0x300
	v_mul_f64_e32 v[18:19], v[10:11], v[32:33]
	v_mul_f64_e32 v[20:21], v[12:13], v[32:33]
	v_fma_f64 v[22:23], v[4:5], v[26:27], v[137:138]
	v_fma_f64 v[24:25], v[2:3], v[26:27], -v[28:29]
	v_add_f64_e32 v[14:15], v[14:15], v[6:7]
	v_add_f64_e32 v[16:17], v[16:17], v[8:9]
	ds_load_b128 v[2:5], v1 offset:1360
	ds_load_b128 v[6:9], v1 offset:1376
	v_fma_f64 v[12:13], v[12:13], v[30:31], v[18:19]
	v_fma_f64 v[10:11], v[10:11], v[30:31], -v[20:21]
	s_wait_loadcnt_dscnt 0x201
	v_mul_f64_e32 v[26:27], v[2:3], v[36:37]
	v_mul_f64_e32 v[28:29], v[4:5], v[36:37]
	v_add_f64_e32 v[14:15], v[14:15], v[24:25]
	v_add_f64_e32 v[16:17], v[16:17], v[22:23]
	s_wait_loadcnt_dscnt 0x100
	v_mul_f64_e32 v[18:19], v[6:7], v[143:144]
	v_mul_f64_e32 v[20:21], v[8:9], v[143:144]
	v_fma_f64 v[22:23], v[4:5], v[34:35], v[26:27]
	v_fma_f64 v[24:25], v[2:3], v[34:35], -v[28:29]
	ds_load_b128 v[2:5], v1 offset:1392
	v_add_f64_e32 v[10:11], v[14:15], v[10:11]
	v_add_f64_e32 v[12:13], v[16:17], v[12:13]
	s_wait_loadcnt_dscnt 0x0
	v_mul_f64_e32 v[14:15], v[2:3], v[40:41]
	v_mul_f64_e32 v[16:17], v[4:5], v[40:41]
	v_fma_f64 v[8:9], v[8:9], v[141:142], v[18:19]
	v_fma_f64 v[6:7], v[6:7], v[141:142], -v[20:21]
	v_add_f64_e32 v[10:11], v[10:11], v[24:25]
	v_add_f64_e32 v[12:13], v[12:13], v[22:23]
	v_fma_f64 v[4:5], v[4:5], v[38:39], v[14:15]
	v_fma_f64 v[2:3], v[2:3], v[38:39], -v[16:17]
	s_delay_alu instid0(VALU_DEP_4) | instskip(NEXT) | instid1(VALU_DEP_4)
	v_add_f64_e32 v[6:7], v[10:11], v[6:7]
	v_add_f64_e32 v[8:9], v[12:13], v[8:9]
	s_delay_alu instid0(VALU_DEP_2) | instskip(NEXT) | instid1(VALU_DEP_2)
	v_add_f64_e32 v[2:3], v[6:7], v[2:3]
	v_add_f64_e32 v[4:5], v[8:9], v[4:5]
	s_delay_alu instid0(VALU_DEP_2) | instskip(NEXT) | instid1(VALU_DEP_2)
	v_add_f64_e64 v[2:3], v[42:43], -v[2:3]
	v_add_f64_e64 v[4:5], v[44:45], -v[4:5]
	scratch_store_b128 off, v[2:5], off offset:48
	v_cmpx_lt_u32_e32 1, v0
	s_cbranch_execz .LBB107_275
; %bb.274:
	scratch_load_b128 v[5:8], off, s15
	v_dual_mov_b32 v2, v1 :: v_dual_mov_b32 v3, v1
	v_mov_b32_e32 v4, v1
	scratch_store_b128 off, v[1:4], off offset:32
	s_wait_loadcnt 0x0
	ds_store_b128 v134, v[5:8]
.LBB107_275:
	s_wait_alu 0xfffe
	s_or_b32 exec_lo, exec_lo, s0
	s_wait_storecnt_dscnt 0x0
	s_barrier_signal -1
	s_barrier_wait -1
	global_inv scope:SCOPE_SE
	s_clause 0x8
	scratch_load_b128 v[2:5], off, off offset:48
	scratch_load_b128 v[6:9], off, off offset:64
	;; [unrolled: 1-line block ×9, first 2 shown]
	ds_load_b128 v[42:45], v1 offset:736
	ds_load_b128 v[38:41], v1 offset:752
	s_clause 0x1
	scratch_load_b128 v[135:138], off, off offset:32
	scratch_load_b128 v[139:142], off, off offset:192
	s_mov_b32 s0, exec_lo
	s_wait_loadcnt_dscnt 0xa01
	v_mul_f64_e32 v[143:144], v[44:45], v[4:5]
	v_mul_f64_e32 v[4:5], v[42:43], v[4:5]
	s_wait_loadcnt_dscnt 0x900
	v_mul_f64_e32 v[147:148], v[38:39], v[8:9]
	v_mul_f64_e32 v[8:9], v[40:41], v[8:9]
	s_delay_alu instid0(VALU_DEP_4) | instskip(NEXT) | instid1(VALU_DEP_4)
	v_fma_f64 v[149:150], v[42:43], v[2:3], -v[143:144]
	v_fma_f64 v[151:152], v[44:45], v[2:3], v[4:5]
	ds_load_b128 v[2:5], v1 offset:768
	ds_load_b128 v[143:146], v1 offset:784
	scratch_load_b128 v[42:45], off, off offset:208
	v_fma_f64 v[40:41], v[40:41], v[6:7], v[147:148]
	v_fma_f64 v[38:39], v[38:39], v[6:7], -v[8:9]
	scratch_load_b128 v[6:9], off, off offset:224
	s_wait_loadcnt_dscnt 0xa01
	v_mul_f64_e32 v[153:154], v[2:3], v[12:13]
	v_mul_f64_e32 v[12:13], v[4:5], v[12:13]
	v_add_f64_e32 v[147:148], 0, v[149:150]
	v_add_f64_e32 v[149:150], 0, v[151:152]
	s_wait_loadcnt_dscnt 0x900
	v_mul_f64_e32 v[151:152], v[143:144], v[16:17]
	v_mul_f64_e32 v[16:17], v[145:146], v[16:17]
	v_fma_f64 v[153:154], v[4:5], v[10:11], v[153:154]
	v_fma_f64 v[155:156], v[2:3], v[10:11], -v[12:13]
	ds_load_b128 v[2:5], v1 offset:800
	scratch_load_b128 v[10:13], off, off offset:240
	v_add_f64_e32 v[147:148], v[147:148], v[38:39]
	v_add_f64_e32 v[149:150], v[149:150], v[40:41]
	ds_load_b128 v[38:41], v1 offset:816
	v_fma_f64 v[145:146], v[145:146], v[14:15], v[151:152]
	v_fma_f64 v[143:144], v[143:144], v[14:15], -v[16:17]
	scratch_load_b128 v[14:17], off, off offset:256
	s_wait_loadcnt_dscnt 0xa01
	v_mul_f64_e32 v[157:158], v[2:3], v[20:21]
	v_mul_f64_e32 v[20:21], v[4:5], v[20:21]
	s_wait_loadcnt_dscnt 0x900
	v_mul_f64_e32 v[151:152], v[38:39], v[24:25]
	v_mul_f64_e32 v[24:25], v[40:41], v[24:25]
	v_add_f64_e32 v[147:148], v[147:148], v[155:156]
	v_add_f64_e32 v[149:150], v[149:150], v[153:154]
	v_fma_f64 v[153:154], v[4:5], v[18:19], v[157:158]
	v_fma_f64 v[155:156], v[2:3], v[18:19], -v[20:21]
	ds_load_b128 v[2:5], v1 offset:832
	scratch_load_b128 v[18:21], off, off offset:272
	v_fma_f64 v[40:41], v[40:41], v[22:23], v[151:152]
	v_fma_f64 v[38:39], v[38:39], v[22:23], -v[24:25]
	scratch_load_b128 v[22:25], off, off offset:288
	v_add_f64_e32 v[147:148], v[147:148], v[143:144]
	v_add_f64_e32 v[149:150], v[149:150], v[145:146]
	ds_load_b128 v[143:146], v1 offset:848
	s_wait_loadcnt_dscnt 0xa01
	v_mul_f64_e32 v[157:158], v[2:3], v[28:29]
	v_mul_f64_e32 v[28:29], v[4:5], v[28:29]
	s_wait_loadcnt_dscnt 0x900
	v_mul_f64_e32 v[151:152], v[143:144], v[32:33]
	v_mul_f64_e32 v[32:33], v[145:146], v[32:33]
	v_add_f64_e32 v[147:148], v[147:148], v[155:156]
	v_add_f64_e32 v[149:150], v[149:150], v[153:154]
	v_fma_f64 v[153:154], v[4:5], v[26:27], v[157:158]
	v_fma_f64 v[155:156], v[2:3], v[26:27], -v[28:29]
	ds_load_b128 v[2:5], v1 offset:864
	scratch_load_b128 v[26:29], off, off offset:304
	v_fma_f64 v[145:146], v[145:146], v[30:31], v[151:152]
	v_fma_f64 v[143:144], v[143:144], v[30:31], -v[32:33]
	scratch_load_b128 v[30:33], off, off offset:320
	v_add_f64_e32 v[147:148], v[147:148], v[38:39]
	v_add_f64_e32 v[149:150], v[149:150], v[40:41]
	ds_load_b128 v[38:41], v1 offset:880
	s_wait_loadcnt_dscnt 0xa01
	v_mul_f64_e32 v[157:158], v[2:3], v[36:37]
	v_mul_f64_e32 v[36:37], v[4:5], v[36:37]
	s_wait_loadcnt_dscnt 0x800
	v_mul_f64_e32 v[151:152], v[38:39], v[141:142]
	v_add_f64_e32 v[147:148], v[147:148], v[155:156]
	v_add_f64_e32 v[149:150], v[149:150], v[153:154]
	v_mul_f64_e32 v[153:154], v[40:41], v[141:142]
	v_fma_f64 v[155:156], v[4:5], v[34:35], v[157:158]
	v_fma_f64 v[157:158], v[2:3], v[34:35], -v[36:37]
	ds_load_b128 v[2:5], v1 offset:896
	scratch_load_b128 v[34:37], off, off offset:336
	v_fma_f64 v[151:152], v[40:41], v[139:140], v[151:152]
	v_add_f64_e32 v[147:148], v[147:148], v[143:144]
	v_add_f64_e32 v[145:146], v[149:150], v[145:146]
	ds_load_b128 v[141:144], v1 offset:912
	v_fma_f64 v[139:140], v[38:39], v[139:140], -v[153:154]
	scratch_load_b128 v[38:41], off, off offset:352
	s_wait_loadcnt_dscnt 0x901
	v_mul_f64_e32 v[149:150], v[2:3], v[44:45]
	v_mul_f64_e32 v[44:45], v[4:5], v[44:45]
	s_wait_loadcnt_dscnt 0x800
	v_mul_f64_e32 v[153:154], v[141:142], v[8:9]
	v_mul_f64_e32 v[8:9], v[143:144], v[8:9]
	v_add_f64_e32 v[147:148], v[147:148], v[157:158]
	v_add_f64_e32 v[145:146], v[145:146], v[155:156]
	v_fma_f64 v[149:150], v[4:5], v[42:43], v[149:150]
	v_fma_f64 v[155:156], v[2:3], v[42:43], -v[44:45]
	ds_load_b128 v[2:5], v1 offset:928
	scratch_load_b128 v[42:45], off, off offset:368
	v_fma_f64 v[143:144], v[143:144], v[6:7], v[153:154]
	v_fma_f64 v[141:142], v[141:142], v[6:7], -v[8:9]
	scratch_load_b128 v[6:9], off, off offset:384
	v_add_f64_e32 v[139:140], v[147:148], v[139:140]
	v_add_f64_e32 v[151:152], v[145:146], v[151:152]
	ds_load_b128 v[145:148], v1 offset:944
	s_wait_loadcnt_dscnt 0x901
	v_mul_f64_e32 v[157:158], v[2:3], v[12:13]
	v_mul_f64_e32 v[12:13], v[4:5], v[12:13]
	v_add_f64_e32 v[139:140], v[139:140], v[155:156]
	v_add_f64_e32 v[149:150], v[151:152], v[149:150]
	s_wait_loadcnt_dscnt 0x800
	v_mul_f64_e32 v[151:152], v[145:146], v[16:17]
	v_mul_f64_e32 v[16:17], v[147:148], v[16:17]
	v_fma_f64 v[153:154], v[4:5], v[10:11], v[157:158]
	v_fma_f64 v[155:156], v[2:3], v[10:11], -v[12:13]
	ds_load_b128 v[2:5], v1 offset:960
	scratch_load_b128 v[10:13], off, off offset:400
	v_add_f64_e32 v[157:158], v[139:140], v[141:142]
	v_add_f64_e32 v[143:144], v[149:150], v[143:144]
	ds_load_b128 v[139:142], v1 offset:976
	s_wait_loadcnt_dscnt 0x801
	v_mul_f64_e32 v[149:150], v[2:3], v[20:21]
	v_mul_f64_e32 v[20:21], v[4:5], v[20:21]
	v_fma_f64 v[147:148], v[147:148], v[14:15], v[151:152]
	v_fma_f64 v[145:146], v[145:146], v[14:15], -v[16:17]
	scratch_load_b128 v[14:17], off, off offset:416
	v_add_f64_e32 v[151:152], v[157:158], v[155:156]
	v_add_f64_e32 v[143:144], v[143:144], v[153:154]
	s_wait_loadcnt_dscnt 0x800
	v_mul_f64_e32 v[153:154], v[139:140], v[24:25]
	v_mul_f64_e32 v[24:25], v[141:142], v[24:25]
	v_fma_f64 v[149:150], v[4:5], v[18:19], v[149:150]
	v_fma_f64 v[155:156], v[2:3], v[18:19], -v[20:21]
	ds_load_b128 v[2:5], v1 offset:992
	scratch_load_b128 v[18:21], off, off offset:432
	v_add_f64_e32 v[151:152], v[151:152], v[145:146]
	v_add_f64_e32 v[147:148], v[143:144], v[147:148]
	ds_load_b128 v[143:146], v1 offset:1008
	s_wait_loadcnt_dscnt 0x801
	v_mul_f64_e32 v[157:158], v[2:3], v[28:29]
	v_mul_f64_e32 v[28:29], v[4:5], v[28:29]
	v_fma_f64 v[141:142], v[141:142], v[22:23], v[153:154]
	v_fma_f64 v[139:140], v[139:140], v[22:23], -v[24:25]
	scratch_load_b128 v[22:25], off, off offset:448
	;; [unrolled: 18-line block ×4, first 2 shown]
	s_wait_loadcnt_dscnt 0x800
	v_mul_f64_e32 v[151:152], v[143:144], v[8:9]
	v_mul_f64_e32 v[8:9], v[145:146], v[8:9]
	v_add_f64_e32 v[149:150], v[149:150], v[155:156]
	v_add_f64_e32 v[147:148], v[147:148], v[153:154]
	v_fma_f64 v[153:154], v[4:5], v[42:43], v[157:158]
	v_fma_f64 v[155:156], v[2:3], v[42:43], -v[44:45]
	ds_load_b128 v[2:5], v1 offset:1088
	scratch_load_b128 v[42:45], off, off offset:528
	v_fma_f64 v[145:146], v[145:146], v[6:7], v[151:152]
	v_fma_f64 v[143:144], v[143:144], v[6:7], -v[8:9]
	scratch_load_b128 v[6:9], off, off offset:544
	v_add_f64_e32 v[149:150], v[149:150], v[139:140]
	v_add_f64_e32 v[147:148], v[147:148], v[141:142]
	ds_load_b128 v[139:142], v1 offset:1104
	s_wait_loadcnt_dscnt 0x901
	v_mul_f64_e32 v[157:158], v[2:3], v[12:13]
	v_mul_f64_e32 v[12:13], v[4:5], v[12:13]
	s_wait_loadcnt_dscnt 0x800
	v_mul_f64_e32 v[151:152], v[139:140], v[16:17]
	v_mul_f64_e32 v[16:17], v[141:142], v[16:17]
	v_add_f64_e32 v[149:150], v[149:150], v[155:156]
	v_add_f64_e32 v[147:148], v[147:148], v[153:154]
	v_fma_f64 v[153:154], v[4:5], v[10:11], v[157:158]
	v_fma_f64 v[155:156], v[2:3], v[10:11], -v[12:13]
	ds_load_b128 v[2:5], v1 offset:1120
	scratch_load_b128 v[10:13], off, off offset:560
	v_fma_f64 v[141:142], v[141:142], v[14:15], v[151:152]
	v_fma_f64 v[139:140], v[139:140], v[14:15], -v[16:17]
	scratch_load_b128 v[14:17], off, off offset:576
	v_add_f64_e32 v[149:150], v[149:150], v[143:144]
	v_add_f64_e32 v[147:148], v[147:148], v[145:146]
	ds_load_b128 v[143:146], v1 offset:1136
	s_wait_loadcnt_dscnt 0x901
	v_mul_f64_e32 v[157:158], v[2:3], v[20:21]
	v_mul_f64_e32 v[20:21], v[4:5], v[20:21]
	;; [unrolled: 18-line block ×6, first 2 shown]
	s_wait_loadcnt_dscnt 0x800
	v_mul_f64_e32 v[151:152], v[143:144], v[16:17]
	v_mul_f64_e32 v[16:17], v[145:146], v[16:17]
	v_add_f64_e32 v[149:150], v[149:150], v[155:156]
	v_add_f64_e32 v[147:148], v[147:148], v[153:154]
	v_fma_f64 v[153:154], v[4:5], v[10:11], v[157:158]
	v_fma_f64 v[155:156], v[2:3], v[10:11], -v[12:13]
	ds_load_b128 v[2:5], v1 offset:1280
	ds_load_b128 v[10:13], v1 offset:1296
	v_fma_f64 v[145:146], v[145:146], v[14:15], v[151:152]
	v_fma_f64 v[14:15], v[143:144], v[14:15], -v[16:17]
	v_add_f64_e32 v[139:140], v[149:150], v[139:140]
	v_add_f64_e32 v[141:142], v[147:148], v[141:142]
	s_wait_loadcnt_dscnt 0x701
	v_mul_f64_e32 v[147:148], v[2:3], v[20:21]
	v_mul_f64_e32 v[20:21], v[4:5], v[20:21]
	s_delay_alu instid0(VALU_DEP_4) | instskip(NEXT) | instid1(VALU_DEP_4)
	v_add_f64_e32 v[16:17], v[139:140], v[155:156]
	v_add_f64_e32 v[139:140], v[141:142], v[153:154]
	s_wait_loadcnt_dscnt 0x600
	v_mul_f64_e32 v[141:142], v[10:11], v[24:25]
	v_mul_f64_e32 v[24:25], v[12:13], v[24:25]
	v_fma_f64 v[143:144], v[4:5], v[18:19], v[147:148]
	v_fma_f64 v[18:19], v[2:3], v[18:19], -v[20:21]
	v_add_f64_e32 v[20:21], v[16:17], v[14:15]
	v_add_f64_e32 v[139:140], v[139:140], v[145:146]
	ds_load_b128 v[2:5], v1 offset:1312
	ds_load_b128 v[14:17], v1 offset:1328
	v_fma_f64 v[12:13], v[12:13], v[22:23], v[141:142]
	v_fma_f64 v[10:11], v[10:11], v[22:23], -v[24:25]
	s_wait_loadcnt_dscnt 0x501
	v_mul_f64_e32 v[145:146], v[2:3], v[28:29]
	v_mul_f64_e32 v[28:29], v[4:5], v[28:29]
	s_wait_loadcnt_dscnt 0x400
	v_mul_f64_e32 v[22:23], v[14:15], v[32:33]
	v_mul_f64_e32 v[24:25], v[16:17], v[32:33]
	v_add_f64_e32 v[18:19], v[20:21], v[18:19]
	v_add_f64_e32 v[20:21], v[139:140], v[143:144]
	v_fma_f64 v[32:33], v[4:5], v[26:27], v[145:146]
	v_fma_f64 v[26:27], v[2:3], v[26:27], -v[28:29]
	v_fma_f64 v[16:17], v[16:17], v[30:31], v[22:23]
	v_fma_f64 v[14:15], v[14:15], v[30:31], -v[24:25]
	v_add_f64_e32 v[18:19], v[18:19], v[10:11]
	v_add_f64_e32 v[20:21], v[20:21], v[12:13]
	ds_load_b128 v[2:5], v1 offset:1344
	ds_load_b128 v[10:13], v1 offset:1360
	s_wait_loadcnt_dscnt 0x301
	v_mul_f64_e32 v[28:29], v[2:3], v[36:37]
	v_mul_f64_e32 v[36:37], v[4:5], v[36:37]
	s_wait_loadcnt_dscnt 0x200
	v_mul_f64_e32 v[22:23], v[10:11], v[40:41]
	v_mul_f64_e32 v[24:25], v[12:13], v[40:41]
	v_add_f64_e32 v[18:19], v[18:19], v[26:27]
	v_add_f64_e32 v[20:21], v[20:21], v[32:33]
	v_fma_f64 v[26:27], v[4:5], v[34:35], v[28:29]
	v_fma_f64 v[28:29], v[2:3], v[34:35], -v[36:37]
	v_fma_f64 v[12:13], v[12:13], v[38:39], v[22:23]
	v_fma_f64 v[10:11], v[10:11], v[38:39], -v[24:25]
	v_add_f64_e32 v[18:19], v[18:19], v[14:15]
	v_add_f64_e32 v[20:21], v[20:21], v[16:17]
	ds_load_b128 v[2:5], v1 offset:1376
	ds_load_b128 v[14:17], v1 offset:1392
	s_wait_loadcnt_dscnt 0x101
	v_mul_f64_e32 v[30:31], v[2:3], v[44:45]
	v_mul_f64_e32 v[32:33], v[4:5], v[44:45]
	s_wait_loadcnt_dscnt 0x0
	v_mul_f64_e32 v[22:23], v[14:15], v[8:9]
	v_mul_f64_e32 v[8:9], v[16:17], v[8:9]
	v_add_f64_e32 v[18:19], v[18:19], v[28:29]
	v_add_f64_e32 v[20:21], v[20:21], v[26:27]
	v_fma_f64 v[4:5], v[4:5], v[42:43], v[30:31]
	v_fma_f64 v[1:2], v[2:3], v[42:43], -v[32:33]
	v_fma_f64 v[16:17], v[16:17], v[6:7], v[22:23]
	v_fma_f64 v[6:7], v[14:15], v[6:7], -v[8:9]
	v_add_f64_e32 v[10:11], v[18:19], v[10:11]
	v_add_f64_e32 v[12:13], v[20:21], v[12:13]
	s_delay_alu instid0(VALU_DEP_2) | instskip(NEXT) | instid1(VALU_DEP_2)
	v_add_f64_e32 v[1:2], v[10:11], v[1:2]
	v_add_f64_e32 v[3:4], v[12:13], v[4:5]
	s_delay_alu instid0(VALU_DEP_2) | instskip(NEXT) | instid1(VALU_DEP_2)
	;; [unrolled: 3-line block ×3, first 2 shown]
	v_add_f64_e64 v[1:2], v[135:136], -v[1:2]
	v_add_f64_e64 v[3:4], v[137:138], -v[3:4]
	scratch_store_b128 off, v[1:4], off offset:32
	v_cmpx_ne_u32_e32 0, v0
	s_cbranch_execz .LBB107_277
; %bb.276:
	scratch_load_b128 v[0:3], off, off offset:16
	v_mov_b32_e32 v4, 0
	s_delay_alu instid0(VALU_DEP_1)
	v_dual_mov_b32 v5, v4 :: v_dual_mov_b32 v6, v4
	v_mov_b32_e32 v7, v4
	scratch_store_b128 off, v[4:7], off offset:16
	s_wait_loadcnt 0x0
	ds_store_b128 v134, v[0:3]
.LBB107_277:
	s_wait_alu 0xfffe
	s_or_b32 exec_lo, exec_lo, s0
	s_wait_storecnt_dscnt 0x0
	s_barrier_signal -1
	s_barrier_wait -1
	global_inv scope:SCOPE_SE
	s_clause 0x7
	scratch_load_b128 v[0:3], off, off offset:32
	scratch_load_b128 v[4:7], off, off offset:48
	;; [unrolled: 1-line block ×8, first 2 shown]
	v_mov_b32_e32 v40, 0
	s_and_b32 vcc_lo, exec_lo, s12
	ds_load_b128 v[36:39], v40 offset:720
	s_clause 0x1
	scratch_load_b128 v[32:35], off, off offset:160
	scratch_load_b128 v[41:44], off, off offset:16
	ds_load_b128 v[134:137], v40 offset:736
	scratch_load_b128 v[138:141], off, off offset:176
	s_wait_loadcnt_dscnt 0xa01
	v_mul_f64_e32 v[142:143], v[38:39], v[2:3]
	v_mul_f64_e32 v[2:3], v[36:37], v[2:3]
	s_delay_alu instid0(VALU_DEP_2) | instskip(NEXT) | instid1(VALU_DEP_2)
	v_fma_f64 v[148:149], v[36:37], v[0:1], -v[142:143]
	v_fma_f64 v[150:151], v[38:39], v[0:1], v[2:3]
	ds_load_b128 v[0:3], v40 offset:752
	s_wait_loadcnt_dscnt 0x901
	v_mul_f64_e32 v[146:147], v[134:135], v[6:7]
	v_mul_f64_e32 v[6:7], v[136:137], v[6:7]
	scratch_load_b128 v[36:39], off, off offset:192
	ds_load_b128 v[142:145], v40 offset:768
	s_wait_loadcnt_dscnt 0x901
	v_mul_f64_e32 v[152:153], v[0:1], v[10:11]
	v_mul_f64_e32 v[10:11], v[2:3], v[10:11]
	v_fma_f64 v[136:137], v[136:137], v[4:5], v[146:147]
	v_fma_f64 v[134:135], v[134:135], v[4:5], -v[6:7]
	v_add_f64_e32 v[146:147], 0, v[148:149]
	v_add_f64_e32 v[148:149], 0, v[150:151]
	scratch_load_b128 v[4:7], off, off offset:208
	v_fma_f64 v[152:153], v[2:3], v[8:9], v[152:153]
	v_fma_f64 v[154:155], v[0:1], v[8:9], -v[10:11]
	ds_load_b128 v[0:3], v40 offset:784
	s_wait_loadcnt_dscnt 0x901
	v_mul_f64_e32 v[150:151], v[142:143], v[14:15]
	v_mul_f64_e32 v[14:15], v[144:145], v[14:15]
	scratch_load_b128 v[8:11], off, off offset:224
	v_add_f64_e32 v[146:147], v[146:147], v[134:135]
	v_add_f64_e32 v[148:149], v[148:149], v[136:137]
	s_wait_loadcnt_dscnt 0x900
	v_mul_f64_e32 v[156:157], v[0:1], v[18:19]
	v_mul_f64_e32 v[18:19], v[2:3], v[18:19]
	ds_load_b128 v[134:137], v40 offset:800
	v_fma_f64 v[144:145], v[144:145], v[12:13], v[150:151]
	v_fma_f64 v[142:143], v[142:143], v[12:13], -v[14:15]
	scratch_load_b128 v[12:15], off, off offset:240
	v_add_f64_e32 v[146:147], v[146:147], v[154:155]
	v_add_f64_e32 v[148:149], v[148:149], v[152:153]
	v_fma_f64 v[152:153], v[2:3], v[16:17], v[156:157]
	v_fma_f64 v[154:155], v[0:1], v[16:17], -v[18:19]
	ds_load_b128 v[0:3], v40 offset:816
	s_wait_loadcnt_dscnt 0x901
	v_mul_f64_e32 v[150:151], v[134:135], v[22:23]
	v_mul_f64_e32 v[22:23], v[136:137], v[22:23]
	scratch_load_b128 v[16:19], off, off offset:256
	s_wait_loadcnt_dscnt 0x900
	v_mul_f64_e32 v[156:157], v[0:1], v[26:27]
	v_mul_f64_e32 v[26:27], v[2:3], v[26:27]
	v_add_f64_e32 v[146:147], v[146:147], v[142:143]
	v_add_f64_e32 v[148:149], v[148:149], v[144:145]
	ds_load_b128 v[142:145], v40 offset:832
	v_fma_f64 v[136:137], v[136:137], v[20:21], v[150:151]
	v_fma_f64 v[134:135], v[134:135], v[20:21], -v[22:23]
	scratch_load_b128 v[20:23], off, off offset:272
	v_add_f64_e32 v[146:147], v[146:147], v[154:155]
	v_add_f64_e32 v[148:149], v[148:149], v[152:153]
	v_fma_f64 v[152:153], v[2:3], v[24:25], v[156:157]
	v_fma_f64 v[154:155], v[0:1], v[24:25], -v[26:27]
	ds_load_b128 v[0:3], v40 offset:848
	s_wait_loadcnt_dscnt 0x901
	v_mul_f64_e32 v[150:151], v[142:143], v[30:31]
	v_mul_f64_e32 v[30:31], v[144:145], v[30:31]
	scratch_load_b128 v[24:27], off, off offset:288
	s_wait_loadcnt_dscnt 0x900
	v_mul_f64_e32 v[156:157], v[0:1], v[34:35]
	v_mul_f64_e32 v[34:35], v[2:3], v[34:35]
	v_add_f64_e32 v[146:147], v[146:147], v[134:135]
	v_add_f64_e32 v[148:149], v[148:149], v[136:137]
	ds_load_b128 v[134:137], v40 offset:864
	v_fma_f64 v[144:145], v[144:145], v[28:29], v[150:151]
	v_fma_f64 v[142:143], v[142:143], v[28:29], -v[30:31]
	scratch_load_b128 v[28:31], off, off offset:304
	v_add_f64_e32 v[146:147], v[146:147], v[154:155]
	v_add_f64_e32 v[148:149], v[148:149], v[152:153]
	v_fma_f64 v[154:155], v[2:3], v[32:33], v[156:157]
	v_fma_f64 v[156:157], v[0:1], v[32:33], -v[34:35]
	ds_load_b128 v[0:3], v40 offset:880
	s_wait_loadcnt_dscnt 0x801
	v_mul_f64_e32 v[150:151], v[134:135], v[140:141]
	v_mul_f64_e32 v[152:153], v[136:137], v[140:141]
	scratch_load_b128 v[32:35], off, off offset:320
	v_add_f64_e32 v[146:147], v[146:147], v[142:143]
	v_add_f64_e32 v[144:145], v[148:149], v[144:145]
	ds_load_b128 v[140:143], v40 offset:896
	v_fma_f64 v[150:151], v[136:137], v[138:139], v[150:151]
	v_fma_f64 v[138:139], v[134:135], v[138:139], -v[152:153]
	scratch_load_b128 v[134:137], off, off offset:336
	s_wait_loadcnt_dscnt 0x901
	v_mul_f64_e32 v[148:149], v[0:1], v[38:39]
	v_mul_f64_e32 v[38:39], v[2:3], v[38:39]
	v_add_f64_e32 v[146:147], v[146:147], v[156:157]
	v_add_f64_e32 v[144:145], v[144:145], v[154:155]
	s_delay_alu instid0(VALU_DEP_4) | instskip(NEXT) | instid1(VALU_DEP_4)
	v_fma_f64 v[148:149], v[2:3], v[36:37], v[148:149]
	v_fma_f64 v[154:155], v[0:1], v[36:37], -v[38:39]
	ds_load_b128 v[0:3], v40 offset:912
	s_wait_loadcnt_dscnt 0x801
	v_mul_f64_e32 v[152:153], v[140:141], v[6:7]
	v_mul_f64_e32 v[6:7], v[142:143], v[6:7]
	scratch_load_b128 v[36:39], off, off offset:352
	s_wait_loadcnt_dscnt 0x800
	v_mul_f64_e32 v[156:157], v[0:1], v[10:11]
	v_add_f64_e32 v[138:139], v[146:147], v[138:139]
	v_add_f64_e32 v[150:151], v[144:145], v[150:151]
	v_mul_f64_e32 v[10:11], v[2:3], v[10:11]
	ds_load_b128 v[144:147], v40 offset:928
	v_fma_f64 v[142:143], v[142:143], v[4:5], v[152:153]
	v_fma_f64 v[140:141], v[140:141], v[4:5], -v[6:7]
	scratch_load_b128 v[4:7], off, off offset:368
	v_fma_f64 v[152:153], v[2:3], v[8:9], v[156:157]
	v_add_f64_e32 v[138:139], v[138:139], v[154:155]
	v_add_f64_e32 v[148:149], v[150:151], v[148:149]
	v_fma_f64 v[154:155], v[0:1], v[8:9], -v[10:11]
	ds_load_b128 v[0:3], v40 offset:944
	s_wait_loadcnt_dscnt 0x801
	v_mul_f64_e32 v[150:151], v[144:145], v[14:15]
	v_mul_f64_e32 v[14:15], v[146:147], v[14:15]
	scratch_load_b128 v[8:11], off, off offset:384
	v_add_f64_e32 v[156:157], v[138:139], v[140:141]
	v_add_f64_e32 v[142:143], v[148:149], v[142:143]
	s_wait_loadcnt_dscnt 0x800
	v_mul_f64_e32 v[148:149], v[0:1], v[18:19]
	v_mul_f64_e32 v[18:19], v[2:3], v[18:19]
	v_fma_f64 v[146:147], v[146:147], v[12:13], v[150:151]
	v_fma_f64 v[144:145], v[144:145], v[12:13], -v[14:15]
	ds_load_b128 v[138:141], v40 offset:960
	scratch_load_b128 v[12:15], off, off offset:400
	v_add_f64_e32 v[150:151], v[156:157], v[154:155]
	v_add_f64_e32 v[142:143], v[142:143], v[152:153]
	v_fma_f64 v[148:149], v[2:3], v[16:17], v[148:149]
	v_fma_f64 v[154:155], v[0:1], v[16:17], -v[18:19]
	ds_load_b128 v[0:3], v40 offset:976
	s_wait_loadcnt_dscnt 0x801
	v_mul_f64_e32 v[152:153], v[138:139], v[22:23]
	v_mul_f64_e32 v[22:23], v[140:141], v[22:23]
	scratch_load_b128 v[16:19], off, off offset:416
	s_wait_loadcnt_dscnt 0x800
	v_mul_f64_e32 v[156:157], v[0:1], v[26:27]
	v_mul_f64_e32 v[26:27], v[2:3], v[26:27]
	v_add_f64_e32 v[150:151], v[150:151], v[144:145]
	v_add_f64_e32 v[146:147], v[142:143], v[146:147]
	ds_load_b128 v[142:145], v40 offset:992
	v_fma_f64 v[140:141], v[140:141], v[20:21], v[152:153]
	v_fma_f64 v[138:139], v[138:139], v[20:21], -v[22:23]
	scratch_load_b128 v[20:23], off, off offset:432
	v_fma_f64 v[152:153], v[2:3], v[24:25], v[156:157]
	v_add_f64_e32 v[150:151], v[150:151], v[154:155]
	v_add_f64_e32 v[146:147], v[146:147], v[148:149]
	v_fma_f64 v[154:155], v[0:1], v[24:25], -v[26:27]
	ds_load_b128 v[0:3], v40 offset:1008
	s_wait_loadcnt_dscnt 0x801
	v_mul_f64_e32 v[148:149], v[142:143], v[30:31]
	v_mul_f64_e32 v[30:31], v[144:145], v[30:31]
	scratch_load_b128 v[24:27], off, off offset:448
	s_wait_loadcnt_dscnt 0x800
	v_mul_f64_e32 v[156:157], v[0:1], v[34:35]
	v_mul_f64_e32 v[34:35], v[2:3], v[34:35]
	v_add_f64_e32 v[150:151], v[150:151], v[138:139]
	v_add_f64_e32 v[146:147], v[146:147], v[140:141]
	ds_load_b128 v[138:141], v40 offset:1024
	v_fma_f64 v[144:145], v[144:145], v[28:29], v[148:149]
	v_fma_f64 v[142:143], v[142:143], v[28:29], -v[30:31]
	scratch_load_b128 v[28:31], off, off offset:464
	v_add_f64_e32 v[148:149], v[150:151], v[154:155]
	v_add_f64_e32 v[146:147], v[146:147], v[152:153]
	v_fma_f64 v[152:153], v[2:3], v[32:33], v[156:157]
	v_fma_f64 v[154:155], v[0:1], v[32:33], -v[34:35]
	ds_load_b128 v[0:3], v40 offset:1040
	s_wait_loadcnt_dscnt 0x801
	v_mul_f64_e32 v[150:151], v[138:139], v[136:137]
	v_mul_f64_e32 v[136:137], v[140:141], v[136:137]
	scratch_load_b128 v[32:35], off, off offset:480
	s_wait_loadcnt_dscnt 0x800
	v_mul_f64_e32 v[156:157], v[0:1], v[38:39]
	v_mul_f64_e32 v[38:39], v[2:3], v[38:39]
	v_add_f64_e32 v[148:149], v[148:149], v[142:143]
	v_add_f64_e32 v[146:147], v[146:147], v[144:145]
	ds_load_b128 v[142:145], v40 offset:1056
	v_fma_f64 v[140:141], v[140:141], v[134:135], v[150:151]
	v_fma_f64 v[138:139], v[138:139], v[134:135], -v[136:137]
	scratch_load_b128 v[134:137], off, off offset:496
	v_add_f64_e32 v[148:149], v[148:149], v[154:155]
	v_add_f64_e32 v[146:147], v[146:147], v[152:153]
	v_fma_f64 v[152:153], v[2:3], v[36:37], v[156:157]
	;; [unrolled: 18-line block ×6, first 2 shown]
	v_fma_f64 v[156:157], v[0:1], v[32:33], -v[34:35]
	ds_load_b128 v[0:3], v40 offset:1200
	s_wait_loadcnt_dscnt 0x801
	v_mul_f64_e32 v[150:151], v[142:143], v[136:137]
	v_mul_f64_e32 v[152:153], v[144:145], v[136:137]
	scratch_load_b128 v[32:35], off, off offset:640
	v_add_f64_e32 v[148:149], v[148:149], v[138:139]
	v_add_f64_e32 v[140:141], v[146:147], v[140:141]
	s_wait_loadcnt_dscnt 0x800
	v_mul_f64_e32 v[146:147], v[0:1], v[38:39]
	v_mul_f64_e32 v[38:39], v[2:3], v[38:39]
	ds_load_b128 v[136:139], v40 offset:1216
	v_fma_f64 v[144:145], v[144:145], v[134:135], v[150:151]
	v_fma_f64 v[134:135], v[142:143], v[134:135], -v[152:153]
	v_add_f64_e32 v[148:149], v[148:149], v[156:157]
	v_add_f64_e32 v[150:151], v[140:141], v[154:155]
	scratch_load_b128 v[140:143], off, off offset:656
	v_fma_f64 v[154:155], v[2:3], v[36:37], v[146:147]
	v_fma_f64 v[156:157], v[0:1], v[36:37], -v[38:39]
	ds_load_b128 v[0:3], v40 offset:1232
	s_wait_loadcnt_dscnt 0x801
	v_mul_f64_e32 v[152:153], v[136:137], v[6:7]
	v_mul_f64_e32 v[6:7], v[138:139], v[6:7]
	scratch_load_b128 v[36:39], off, off offset:672
	v_add_f64_e32 v[134:135], v[148:149], v[134:135]
	v_add_f64_e32 v[148:149], v[150:151], v[144:145]
	s_wait_loadcnt_dscnt 0x800
	v_mul_f64_e32 v[150:151], v[0:1], v[10:11]
	v_mul_f64_e32 v[10:11], v[2:3], v[10:11]
	ds_load_b128 v[144:147], v40 offset:1248
	v_fma_f64 v[138:139], v[138:139], v[4:5], v[152:153]
	v_fma_f64 v[136:137], v[136:137], v[4:5], -v[6:7]
	scratch_load_b128 v[4:7], off, off offset:688
	v_add_f64_e32 v[134:135], v[134:135], v[156:157]
	v_add_f64_e32 v[148:149], v[148:149], v[154:155]
	v_fma_f64 v[150:151], v[2:3], v[8:9], v[150:151]
	v_fma_f64 v[154:155], v[0:1], v[8:9], -v[10:11]
	ds_load_b128 v[0:3], v40 offset:1264
	s_wait_loadcnt_dscnt 0x801
	v_mul_f64_e32 v[152:153], v[144:145], v[14:15]
	v_mul_f64_e32 v[14:15], v[146:147], v[14:15]
	scratch_load_b128 v[8:11], off, off offset:704
	v_add_f64_e32 v[156:157], v[134:135], v[136:137]
	v_add_f64_e32 v[138:139], v[148:149], v[138:139]
	s_wait_loadcnt_dscnt 0x800
	v_mul_f64_e32 v[148:149], v[0:1], v[18:19]
	v_mul_f64_e32 v[18:19], v[2:3], v[18:19]
	ds_load_b128 v[134:137], v40 offset:1280
	v_fma_f64 v[146:147], v[146:147], v[12:13], v[152:153]
	v_fma_f64 v[12:13], v[144:145], v[12:13], -v[14:15]
	s_wait_loadcnt_dscnt 0x700
	v_mul_f64_e32 v[144:145], v[134:135], v[22:23]
	v_mul_f64_e32 v[22:23], v[136:137], v[22:23]
	v_add_f64_e32 v[14:15], v[156:157], v[154:155]
	v_add_f64_e32 v[138:139], v[138:139], v[150:151]
	v_fma_f64 v[148:149], v[2:3], v[16:17], v[148:149]
	v_fma_f64 v[16:17], v[0:1], v[16:17], -v[18:19]
	v_fma_f64 v[136:137], v[136:137], v[20:21], v[144:145]
	v_fma_f64 v[20:21], v[134:135], v[20:21], -v[22:23]
	v_add_f64_e32 v[18:19], v[14:15], v[12:13]
	v_add_f64_e32 v[138:139], v[138:139], v[146:147]
	ds_load_b128 v[0:3], v40 offset:1296
	ds_load_b128 v[12:15], v40 offset:1312
	s_wait_loadcnt_dscnt 0x601
	v_mul_f64_e32 v[146:147], v[0:1], v[26:27]
	v_mul_f64_e32 v[26:27], v[2:3], v[26:27]
	s_wait_loadcnt_dscnt 0x500
	v_mul_f64_e32 v[22:23], v[12:13], v[30:31]
	v_mul_f64_e32 v[30:31], v[14:15], v[30:31]
	v_add_f64_e32 v[16:17], v[18:19], v[16:17]
	v_add_f64_e32 v[18:19], v[138:139], v[148:149]
	v_fma_f64 v[134:135], v[2:3], v[24:25], v[146:147]
	v_fma_f64 v[24:25], v[0:1], v[24:25], -v[26:27]
	v_fma_f64 v[14:15], v[14:15], v[28:29], v[22:23]
	v_fma_f64 v[12:13], v[12:13], v[28:29], -v[30:31]
	v_add_f64_e32 v[20:21], v[16:17], v[20:21]
	v_add_f64_e32 v[26:27], v[18:19], v[136:137]
	ds_load_b128 v[0:3], v40 offset:1328
	ds_load_b128 v[16:19], v40 offset:1344
	s_wait_loadcnt_dscnt 0x401
	v_mul_f64_e32 v[136:137], v[0:1], v[34:35]
	v_mul_f64_e32 v[34:35], v[2:3], v[34:35]
	v_add_f64_e32 v[20:21], v[20:21], v[24:25]
	v_add_f64_e32 v[22:23], v[26:27], v[134:135]
	s_wait_loadcnt_dscnt 0x300
	v_mul_f64_e32 v[24:25], v[16:17], v[142:143]
	v_mul_f64_e32 v[26:27], v[18:19], v[142:143]
	v_fma_f64 v[28:29], v[2:3], v[32:33], v[136:137]
	v_fma_f64 v[30:31], v[0:1], v[32:33], -v[34:35]
	v_add_f64_e32 v[20:21], v[20:21], v[12:13]
	v_add_f64_e32 v[22:23], v[22:23], v[14:15]
	ds_load_b128 v[0:3], v40 offset:1360
	ds_load_b128 v[12:15], v40 offset:1376
	v_fma_f64 v[18:19], v[18:19], v[140:141], v[24:25]
	v_fma_f64 v[16:17], v[16:17], v[140:141], -v[26:27]
	s_wait_loadcnt_dscnt 0x201
	v_mul_f64_e32 v[32:33], v[0:1], v[38:39]
	v_mul_f64_e32 v[34:35], v[2:3], v[38:39]
	s_wait_loadcnt_dscnt 0x100
	v_mul_f64_e32 v[24:25], v[12:13], v[6:7]
	v_mul_f64_e32 v[6:7], v[14:15], v[6:7]
	v_add_f64_e32 v[20:21], v[20:21], v[30:31]
	v_add_f64_e32 v[22:23], v[22:23], v[28:29]
	v_fma_f64 v[26:27], v[2:3], v[36:37], v[32:33]
	v_fma_f64 v[28:29], v[0:1], v[36:37], -v[34:35]
	ds_load_b128 v[0:3], v40 offset:1392
	v_fma_f64 v[14:15], v[14:15], v[4:5], v[24:25]
	v_fma_f64 v[4:5], v[12:13], v[4:5], -v[6:7]
	v_add_f64_e32 v[16:17], v[20:21], v[16:17]
	v_add_f64_e32 v[18:19], v[22:23], v[18:19]
	s_wait_loadcnt_dscnt 0x0
	v_mul_f64_e32 v[20:21], v[0:1], v[10:11]
	v_mul_f64_e32 v[10:11], v[2:3], v[10:11]
	s_delay_alu instid0(VALU_DEP_4) | instskip(NEXT) | instid1(VALU_DEP_4)
	v_add_f64_e32 v[6:7], v[16:17], v[28:29]
	v_add_f64_e32 v[12:13], v[18:19], v[26:27]
	s_delay_alu instid0(VALU_DEP_4) | instskip(NEXT) | instid1(VALU_DEP_4)
	v_fma_f64 v[2:3], v[2:3], v[8:9], v[20:21]
	v_fma_f64 v[0:1], v[0:1], v[8:9], -v[10:11]
	s_delay_alu instid0(VALU_DEP_4) | instskip(NEXT) | instid1(VALU_DEP_4)
	v_add_f64_e32 v[4:5], v[6:7], v[4:5]
	v_add_f64_e32 v[6:7], v[12:13], v[14:15]
	s_delay_alu instid0(VALU_DEP_2) | instskip(NEXT) | instid1(VALU_DEP_2)
	v_add_f64_e32 v[0:1], v[4:5], v[0:1]
	v_add_f64_e32 v[2:3], v[6:7], v[2:3]
	s_delay_alu instid0(VALU_DEP_2) | instskip(NEXT) | instid1(VALU_DEP_2)
	v_add_f64_e64 v[0:1], v[41:42], -v[0:1]
	v_add_f64_e64 v[2:3], v[43:44], -v[2:3]
	scratch_store_b128 off, v[0:3], off offset:16
	s_wait_alu 0xfffe
	s_cbranch_vccz .LBB107_364
; %bb.278:
	global_load_b32 v0, v40, s[2:3] offset:168
	s_wait_loadcnt 0x0
	v_cmp_ne_u32_e32 vcc_lo, 43, v0
	s_cbranch_vccz .LBB107_280
; %bb.279:
	v_lshlrev_b32_e32 v0, 4, v0
	s_delay_alu instid0(VALU_DEP_1)
	v_add_nc_u32_e32 v8, 16, v0
	s_clause 0x1
	scratch_load_b128 v[0:3], v8, off offset:-16
	scratch_load_b128 v[4:7], off, s11
	s_wait_loadcnt 0x1
	scratch_store_b128 off, v[0:3], s11
	s_wait_loadcnt 0x0
	scratch_store_b128 v8, v[4:7], off offset:-16
.LBB107_280:
	v_mov_b32_e32 v0, 0
	global_load_b32 v1, v0, s[2:3] offset:164
	s_wait_loadcnt 0x0
	v_cmp_eq_u32_e32 vcc_lo, 42, v1
	s_cbranch_vccnz .LBB107_282
; %bb.281:
	v_lshlrev_b32_e32 v1, 4, v1
	s_delay_alu instid0(VALU_DEP_1)
	v_add_nc_u32_e32 v9, 16, v1
	s_clause 0x1
	scratch_load_b128 v[1:4], v9, off offset:-16
	scratch_load_b128 v[5:8], off, s14
	s_wait_loadcnt 0x1
	scratch_store_b128 off, v[1:4], s14
	s_wait_loadcnt 0x0
	scratch_store_b128 v9, v[5:8], off offset:-16
.LBB107_282:
	global_load_b32 v0, v0, s[2:3] offset:160
	s_wait_loadcnt 0x0
	v_cmp_eq_u32_e32 vcc_lo, 41, v0
	s_cbranch_vccnz .LBB107_284
; %bb.283:
	v_lshlrev_b32_e32 v0, 4, v0
	s_delay_alu instid0(VALU_DEP_1)
	v_add_nc_u32_e32 v8, 16, v0
	s_clause 0x1
	scratch_load_b128 v[0:3], v8, off offset:-16
	scratch_load_b128 v[4:7], off, s16
	s_wait_loadcnt 0x1
	scratch_store_b128 off, v[0:3], s16
	s_wait_loadcnt 0x0
	scratch_store_b128 v8, v[4:7], off offset:-16
.LBB107_284:
	v_mov_b32_e32 v0, 0
	global_load_b32 v1, v0, s[2:3] offset:156
	s_wait_loadcnt 0x0
	v_cmp_eq_u32_e32 vcc_lo, 40, v1
	s_cbranch_vccnz .LBB107_286
; %bb.285:
	v_lshlrev_b32_e32 v1, 4, v1
	s_delay_alu instid0(VALU_DEP_1)
	v_add_nc_u32_e32 v9, 16, v1
	s_clause 0x1
	scratch_load_b128 v[1:4], v9, off offset:-16
	scratch_load_b128 v[5:8], off, s17
	s_wait_loadcnt 0x1
	scratch_store_b128 off, v[1:4], s17
	s_wait_loadcnt 0x0
	scratch_store_b128 v9, v[5:8], off offset:-16
.LBB107_286:
	global_load_b32 v0, v0, s[2:3] offset:152
	s_wait_loadcnt 0x0
	v_cmp_eq_u32_e32 vcc_lo, 39, v0
	s_cbranch_vccnz .LBB107_288
; %bb.287:
	v_lshlrev_b32_e32 v0, 4, v0
	s_delay_alu instid0(VALU_DEP_1)
	v_add_nc_u32_e32 v8, 16, v0
	s_clause 0x1
	scratch_load_b128 v[0:3], v8, off offset:-16
	scratch_load_b128 v[4:7], off, s18
	s_wait_loadcnt 0x1
	scratch_store_b128 off, v[0:3], s18
	s_wait_loadcnt 0x0
	scratch_store_b128 v8, v[4:7], off offset:-16
.LBB107_288:
	;; [unrolled: 33-line block ×20, first 2 shown]
	v_mov_b32_e32 v0, 0
	global_load_b32 v1, v0, s[2:3] offset:4
	s_wait_loadcnt 0x0
	v_cmp_eq_u32_e32 vcc_lo, 2, v1
	s_cbranch_vccnz .LBB107_362
; %bb.361:
	v_lshlrev_b32_e32 v1, 4, v1
	s_delay_alu instid0(VALU_DEP_1)
	v_add_nc_u32_e32 v9, 16, v1
	s_clause 0x1
	scratch_load_b128 v[1:4], v9, off offset:-16
	scratch_load_b128 v[5:8], off, s15
	s_wait_loadcnt 0x1
	scratch_store_b128 off, v[1:4], s15
	s_wait_loadcnt 0x0
	scratch_store_b128 v9, v[5:8], off offset:-16
.LBB107_362:
	global_load_b32 v0, v0, s[2:3]
	s_wait_loadcnt 0x0
	v_cmp_eq_u32_e32 vcc_lo, 1, v0
	s_cbranch_vccnz .LBB107_364
; %bb.363:
	v_lshlrev_b32_e32 v0, 4, v0
	s_delay_alu instid0(VALU_DEP_1)
	v_add_nc_u32_e32 v8, 16, v0
	scratch_load_b128 v[0:3], v8, off offset:-16
	scratch_load_b128 v[4:7], off, off offset:16
	s_wait_loadcnt 0x1
	scratch_store_b128 off, v[0:3], off offset:16
	s_wait_loadcnt 0x0
	scratch_store_b128 v8, v[4:7], off offset:-16
.LBB107_364:
	scratch_load_b128 v[0:3], off, off offset:16
	s_wait_loadcnt 0x0
	flat_store_b128 v[46:47], v[0:3]
	scratch_load_b128 v[0:3], off, s15
	s_wait_loadcnt 0x0
	flat_store_b128 v[48:49], v[0:3]
	scratch_load_b128 v[0:3], off, s13
	;; [unrolled: 3-line block ×43, first 2 shown]
	s_wait_loadcnt 0x0
	flat_store_b128 v[132:133], v[0:3]
	s_nop 0
	s_sendmsg sendmsg(MSG_DEALLOC_VGPRS)
	s_endpgm
	.section	.rodata,"a",@progbits
	.p2align	6, 0x0
	.amdhsa_kernel _ZN9rocsolver6v33100L18getri_kernel_smallILi44E19rocblas_complex_numIdEPKPS3_EEvT1_iilPiilS8_bb
		.amdhsa_group_segment_fixed_size 1416
		.amdhsa_private_segment_fixed_size 736
		.amdhsa_kernarg_size 60
		.amdhsa_user_sgpr_count 2
		.amdhsa_user_sgpr_dispatch_ptr 0
		.amdhsa_user_sgpr_queue_ptr 0
		.amdhsa_user_sgpr_kernarg_segment_ptr 1
		.amdhsa_user_sgpr_dispatch_id 0
		.amdhsa_user_sgpr_private_segment_size 0
		.amdhsa_wavefront_size32 1
		.amdhsa_uses_dynamic_stack 0
		.amdhsa_enable_private_segment 1
		.amdhsa_system_sgpr_workgroup_id_x 1
		.amdhsa_system_sgpr_workgroup_id_y 0
		.amdhsa_system_sgpr_workgroup_id_z 0
		.amdhsa_system_sgpr_workgroup_info 0
		.amdhsa_system_vgpr_workitem_id 0
		.amdhsa_next_free_vgpr 161
		.amdhsa_next_free_sgpr 72
		.amdhsa_reserve_vcc 1
		.amdhsa_float_round_mode_32 0
		.amdhsa_float_round_mode_16_64 0
		.amdhsa_float_denorm_mode_32 3
		.amdhsa_float_denorm_mode_16_64 3
		.amdhsa_fp16_overflow 0
		.amdhsa_workgroup_processor_mode 1
		.amdhsa_memory_ordered 1
		.amdhsa_forward_progress 1
		.amdhsa_inst_pref_size 255
		.amdhsa_round_robin_scheduling 0
		.amdhsa_exception_fp_ieee_invalid_op 0
		.amdhsa_exception_fp_denorm_src 0
		.amdhsa_exception_fp_ieee_div_zero 0
		.amdhsa_exception_fp_ieee_overflow 0
		.amdhsa_exception_fp_ieee_underflow 0
		.amdhsa_exception_fp_ieee_inexact 0
		.amdhsa_exception_int_div_zero 0
	.end_amdhsa_kernel
	.section	.text._ZN9rocsolver6v33100L18getri_kernel_smallILi44E19rocblas_complex_numIdEPKPS3_EEvT1_iilPiilS8_bb,"axG",@progbits,_ZN9rocsolver6v33100L18getri_kernel_smallILi44E19rocblas_complex_numIdEPKPS3_EEvT1_iilPiilS8_bb,comdat
.Lfunc_end107:
	.size	_ZN9rocsolver6v33100L18getri_kernel_smallILi44E19rocblas_complex_numIdEPKPS3_EEvT1_iilPiilS8_bb, .Lfunc_end107-_ZN9rocsolver6v33100L18getri_kernel_smallILi44E19rocblas_complex_numIdEPKPS3_EEvT1_iilPiilS8_bb
                                        ; -- End function
	.set _ZN9rocsolver6v33100L18getri_kernel_smallILi44E19rocblas_complex_numIdEPKPS3_EEvT1_iilPiilS8_bb.num_vgpr, 161
	.set _ZN9rocsolver6v33100L18getri_kernel_smallILi44E19rocblas_complex_numIdEPKPS3_EEvT1_iilPiilS8_bb.num_agpr, 0
	.set _ZN9rocsolver6v33100L18getri_kernel_smallILi44E19rocblas_complex_numIdEPKPS3_EEvT1_iilPiilS8_bb.numbered_sgpr, 72
	.set _ZN9rocsolver6v33100L18getri_kernel_smallILi44E19rocblas_complex_numIdEPKPS3_EEvT1_iilPiilS8_bb.num_named_barrier, 0
	.set _ZN9rocsolver6v33100L18getri_kernel_smallILi44E19rocblas_complex_numIdEPKPS3_EEvT1_iilPiilS8_bb.private_seg_size, 736
	.set _ZN9rocsolver6v33100L18getri_kernel_smallILi44E19rocblas_complex_numIdEPKPS3_EEvT1_iilPiilS8_bb.uses_vcc, 1
	.set _ZN9rocsolver6v33100L18getri_kernel_smallILi44E19rocblas_complex_numIdEPKPS3_EEvT1_iilPiilS8_bb.uses_flat_scratch, 1
	.set _ZN9rocsolver6v33100L18getri_kernel_smallILi44E19rocblas_complex_numIdEPKPS3_EEvT1_iilPiilS8_bb.has_dyn_sized_stack, 0
	.set _ZN9rocsolver6v33100L18getri_kernel_smallILi44E19rocblas_complex_numIdEPKPS3_EEvT1_iilPiilS8_bb.has_recursion, 0
	.set _ZN9rocsolver6v33100L18getri_kernel_smallILi44E19rocblas_complex_numIdEPKPS3_EEvT1_iilPiilS8_bb.has_indirect_call, 0
	.section	.AMDGPU.csdata,"",@progbits
; Kernel info:
; codeLenInByte = 82704
; TotalNumSgprs: 74
; NumVgprs: 161
; ScratchSize: 736
; MemoryBound: 0
; FloatMode: 240
; IeeeMode: 1
; LDSByteSize: 1416 bytes/workgroup (compile time only)
; SGPRBlocks: 0
; VGPRBlocks: 20
; NumSGPRsForWavesPerEU: 74
; NumVGPRsForWavesPerEU: 161
; Occupancy: 9
; WaveLimiterHint : 1
; COMPUTE_PGM_RSRC2:SCRATCH_EN: 1
; COMPUTE_PGM_RSRC2:USER_SGPR: 2
; COMPUTE_PGM_RSRC2:TRAP_HANDLER: 0
; COMPUTE_PGM_RSRC2:TGID_X_EN: 1
; COMPUTE_PGM_RSRC2:TGID_Y_EN: 0
; COMPUTE_PGM_RSRC2:TGID_Z_EN: 0
; COMPUTE_PGM_RSRC2:TIDIG_COMP_CNT: 0
	.section	.text._ZN9rocsolver6v33100L18getri_kernel_smallILi45E19rocblas_complex_numIdEPKPS3_EEvT1_iilPiilS8_bb,"axG",@progbits,_ZN9rocsolver6v33100L18getri_kernel_smallILi45E19rocblas_complex_numIdEPKPS3_EEvT1_iilPiilS8_bb,comdat
	.globl	_ZN9rocsolver6v33100L18getri_kernel_smallILi45E19rocblas_complex_numIdEPKPS3_EEvT1_iilPiilS8_bb ; -- Begin function _ZN9rocsolver6v33100L18getri_kernel_smallILi45E19rocblas_complex_numIdEPKPS3_EEvT1_iilPiilS8_bb
	.p2align	8
	.type	_ZN9rocsolver6v33100L18getri_kernel_smallILi45E19rocblas_complex_numIdEPKPS3_EEvT1_iilPiilS8_bb,@function
_ZN9rocsolver6v33100L18getri_kernel_smallILi45E19rocblas_complex_numIdEPKPS3_EEvT1_iilPiilS8_bb: ; @_ZN9rocsolver6v33100L18getri_kernel_smallILi45E19rocblas_complex_numIdEPKPS3_EEvT1_iilPiilS8_bb
; %bb.0:
	s_mov_b32 s2, exec_lo
	v_cmpx_gt_u32_e32 45, v0
	s_cbranch_execz .LBB108_194
; %bb.1:
	s_clause 0x1
	s_load_b32 s13, s[0:1], 0x38
	s_load_b64 s[2:3], s[0:1], 0x0
	s_mov_b32 s8, ttmp9
	s_load_b128 s[4:7], s[0:1], 0x28
	s_wait_kmcnt 0x0
	s_bitcmp1_b32 s13, 8
	s_cselect_b32 s12, -1, 0
	s_ashr_i32 s9, ttmp9, 31
	s_delay_alu instid0(SALU_CYCLE_1) | instskip(NEXT) | instid1(SALU_CYCLE_1)
	s_lshl_b64 s[10:11], s[8:9], 3
	s_add_nc_u64 s[2:3], s[2:3], s[10:11]
	s_load_b64 s[10:11], s[2:3], 0x0
	s_bfe_u32 s2, s13, 0x10008
	s_delay_alu instid0(SALU_CYCLE_1)
	s_cmp_eq_u32 s2, 0
                                        ; implicit-def: $sgpr2_sgpr3
	s_cbranch_scc1 .LBB108_3
; %bb.2:
	s_load_b96 s[16:18], s[0:1], 0x18
	s_mul_u64 s[2:3], s[4:5], s[8:9]
	s_delay_alu instid0(SALU_CYCLE_1)
	s_lshl_b64 s[2:3], s[2:3], 2
	s_wait_kmcnt 0x0
	s_ashr_i32 s5, s18, 31
	s_mov_b32 s4, s18
	s_add_nc_u64 s[2:3], s[16:17], s[2:3]
	s_lshl_b64 s[4:5], s[4:5], 2
	s_delay_alu instid0(SALU_CYCLE_1)
	s_add_nc_u64 s[2:3], s[2:3], s[4:5]
.LBB108_3:
	s_clause 0x1
	s_load_b64 s[4:5], s[0:1], 0x8
	s_load_b32 s54, s[0:1], 0x38
	v_lshlrev_b32_e32 v13, 4, v0
	s_movk_i32 s14, 0x90
	s_movk_i32 s16, 0xa0
	;; [unrolled: 1-line block ×17, first 2 shown]
	s_wait_kmcnt 0x0
	s_ashr_i32 s1, s4, 31
	s_mov_b32 s0, s4
	v_add3_u32 v5, s5, s5, v0
	s_lshl_b64 s[0:1], s[0:1], 4
	s_movk_i32 s55, 0x1a0
	s_add_nc_u64 s[0:1], s[10:11], s[0:1]
	s_ashr_i32 s11, s5, 31
	v_add_co_u32 v46, s4, s0, v13
	s_wait_alu 0xf1ff
	v_add_co_ci_u32_e64 v47, null, s1, 0, s4
	s_mov_b32 s10, s5
	v_ashrrev_i32_e32 v6, 31, v5
	s_lshl_b64 s[10:11], s[10:11], 4
	flat_load_b128 v[1:4], v[46:47]
	v_add_co_u32 v48, vcc_lo, v46, s10
	s_delay_alu instid0(VALU_DEP_1)
	v_add_co_ci_u32_e64 v49, null, s11, v47, vcc_lo
	v_lshlrev_b64_e32 v[6:7], 4, v[5:6]
	v_add_nc_u32_e32 v5, s5, v5
	s_movk_i32 s11, 0x80
	s_movk_i32 s56, 0x1b0
	;; [unrolled: 1-line block ×4, first 2 shown]
	v_add_co_u32 v50, vcc_lo, s0, v6
	s_wait_alu 0xfffd
	v_add_co_ci_u32_e64 v51, null, s1, v7, vcc_lo
	v_ashrrev_i32_e32 v6, 31, v5
	s_movk_i32 s59, 0x1e0
	s_movk_i32 s60, 0x1f0
	s_movk_i32 s61, 0x200
	s_movk_i32 s62, 0x210
	v_lshlrev_b64_e32 v[6:7], 4, v[5:6]
	v_add_nc_u32_e32 v5, s5, v5
	s_movk_i32 s63, 0x220
	s_movk_i32 s64, 0x230
	;; [unrolled: 1-line block ×4, first 2 shown]
	v_add_co_u32 v52, vcc_lo, s0, v6
	s_wait_alu 0xfffd
	v_add_co_ci_u32_e64 v53, null, s1, v7, vcc_lo
	v_ashrrev_i32_e32 v6, 31, v5
	s_movk_i32 s67, 0x260
	s_movk_i32 s68, 0x270
	;; [unrolled: 1-line block ×4, first 2 shown]
	v_lshlrev_b64_e32 v[6:7], 4, v[5:6]
	v_add_nc_u32_e32 v5, s5, v5
	s_movk_i32 s71, 0x2a0
	s_movk_i32 s72, 0x2b0
	;; [unrolled: 1-line block ×3, first 2 shown]
	s_wait_alu 0xfffe
	s_add_co_i32 s50, s11, 16
	v_add_co_u32 v54, vcc_lo, s0, v6
	s_wait_alu 0xfffd
	v_add_co_ci_u32_e64 v55, null, s1, v7, vcc_lo
	v_ashrrev_i32_e32 v6, 31, v5
	s_add_co_i32 s49, s14, 16
	s_add_co_i32 s48, s16, 16
	s_add_co_i32 s47, s17, 16
	s_add_co_i32 s46, s18, 16
	v_lshlrev_b64_e32 v[6:7], 4, v[5:6]
	v_add_nc_u32_e32 v5, s5, v5
	s_add_co_i32 s45, s19, 16
	s_add_co_i32 s44, s20, 16
	s_add_co_i32 s43, s21, 16
	s_add_co_i32 s42, s22, 16
	v_add_co_u32 v56, vcc_lo, s0, v6
	s_wait_alu 0xfffd
	v_add_co_ci_u32_e64 v57, null, s1, v7, vcc_lo
	v_ashrrev_i32_e32 v6, 31, v5
	s_add_co_i32 s41, s23, 16
	s_add_co_i32 s40, s24, 16
	s_add_co_i32 s39, s25, 16
	s_add_co_i32 s38, s26, 16
	v_lshlrev_b64_e32 v[6:7], 4, v[5:6]
	v_add_nc_u32_e32 v5, s5, v5
	s_add_co_i32 s37, s27, 16
	s_add_co_i32 s36, s28, 16
	s_add_co_i32 s35, s29, 16
	;; [unrolled: 14-line block ×4, first 2 shown]
	s_add_co_i32 s17, s69, 16
	v_add_co_u32 v62, vcc_lo, s0, v6
	s_wait_alu 0xfffd
	v_add_co_ci_u32_e64 v63, null, s1, v7, vcc_lo
	v_ashrrev_i32_e32 v6, 31, v5
	s_add_co_i32 s16, s70, 16
	s_add_co_i32 s14, s71, 16
	;; [unrolled: 1-line block ×3, first 2 shown]
	s_mov_b32 s15, 32
	v_lshlrev_b64_e32 v[6:7], 4, v[5:6]
	v_add_nc_u32_e32 v5, s5, v5
	s_mov_b32 s13, 48
	s_mov_b32 s10, 64
	s_movk_i32 s4, 0x50
	s_delay_alu instid0(VALU_DEP_2) | instskip(SKIP_3) | instid1(VALU_DEP_1)
	v_add_co_u32 v64, vcc_lo, s0, v6
	s_wait_alu 0xfffd
	v_add_co_ci_u32_e64 v65, null, s1, v7, vcc_lo
	v_ashrrev_i32_e32 v6, 31, v5
	v_lshlrev_b64_e32 v[6:7], 4, v[5:6]
	v_add_nc_u32_e32 v5, s5, v5
	s_delay_alu instid0(VALU_DEP_2) | instskip(SKIP_1) | instid1(VALU_DEP_3)
	v_add_co_u32 v66, vcc_lo, s0, v6
	s_wait_alu 0xfffd
	v_add_co_ci_u32_e64 v67, null, s1, v7, vcc_lo
	s_delay_alu instid0(VALU_DEP_3) | instskip(NEXT) | instid1(VALU_DEP_1)
	v_ashrrev_i32_e32 v6, 31, v5
	v_lshlrev_b64_e32 v[6:7], 4, v[5:6]
	v_add_nc_u32_e32 v5, s5, v5
	s_delay_alu instid0(VALU_DEP_2) | instskip(SKIP_1) | instid1(VALU_DEP_3)
	v_add_co_u32 v68, vcc_lo, s0, v6
	s_wait_alu 0xfffd
	v_add_co_ci_u32_e64 v69, null, s1, v7, vcc_lo
	s_delay_alu instid0(VALU_DEP_3) | instskip(NEXT) | instid1(VALU_DEP_1)
	;; [unrolled: 8-line block ×13, first 2 shown]
	v_ashrrev_i32_e32 v6, 31, v5
	v_lshlrev_b64_e32 v[6:7], 4, v[5:6]
	s_wait_loadcnt_dscnt 0x0
	scratch_store_b128 off, v[1:4], off offset:16
	flat_load_b128 v[1:4], v[48:49]
	v_add_nc_u32_e32 v5, s5, v5
	v_add_co_u32 v92, vcc_lo, s0, v6
	s_wait_alu 0xfffd
	v_add_co_ci_u32_e64 v93, null, s1, v7, vcc_lo
	s_delay_alu instid0(VALU_DEP_3) | instskip(NEXT) | instid1(VALU_DEP_1)
	v_ashrrev_i32_e32 v6, 31, v5
	v_lshlrev_b64_e32 v[6:7], 4, v[5:6]
	v_add_nc_u32_e32 v5, s5, v5
	s_delay_alu instid0(VALU_DEP_2) | instskip(SKIP_1) | instid1(VALU_DEP_3)
	v_add_co_u32 v94, vcc_lo, s0, v6
	s_wait_alu 0xfffd
	v_add_co_ci_u32_e64 v95, null, s1, v7, vcc_lo
	s_delay_alu instid0(VALU_DEP_3) | instskip(NEXT) | instid1(VALU_DEP_1)
	v_ashrrev_i32_e32 v6, 31, v5
	v_lshlrev_b64_e32 v[6:7], 4, v[5:6]
	v_add_nc_u32_e32 v5, s5, v5
	s_delay_alu instid0(VALU_DEP_2) | instskip(SKIP_1) | instid1(VALU_DEP_3)
	;; [unrolled: 8-line block ×19, first 2 shown]
	v_add_co_u32 v130, vcc_lo, s0, v6
	s_wait_alu 0xfffd
	v_add_co_ci_u32_e64 v131, null, s1, v7, vcc_lo
	s_delay_alu instid0(VALU_DEP_3) | instskip(NEXT) | instid1(VALU_DEP_1)
	v_ashrrev_i32_e32 v6, 31, v5
	v_lshlrev_b64_e32 v[6:7], 4, v[5:6]
	v_add_nc_u32_e32 v5, s5, v5
	s_movk_i32 s5, 0x70
	s_wait_alu 0xfffe
	s_add_co_i32 s51, s5, 16
	s_add_co_i32 s5, s73, 16
	v_add_co_u32 v132, vcc_lo, s0, v6
	s_wait_alu 0xfffd
	v_add_co_ci_u32_e64 v133, null, s1, v7, vcc_lo
	v_ashrrev_i32_e32 v6, 31, v5
	s_delay_alu instid0(VALU_DEP_1) | instskip(NEXT) | instid1(VALU_DEP_1)
	v_lshlrev_b64_e32 v[5:6], 4, v[5:6]
	v_add_co_u32 v134, vcc_lo, s0, v5
	s_wait_loadcnt_dscnt 0x0
	scratch_store_b128 off, v[1:4], off offset:32
	flat_load_b128 v[1:4], v[50:51]
	s_wait_alu 0xfffd
	v_add_co_ci_u32_e64 v135, null, s1, v6, vcc_lo
	s_movk_i32 s0, 0x50
	s_movk_i32 s1, 0x60
	s_wait_alu 0xfffe
	s_add_co_i32 s53, s0, 16
	s_add_co_i32 s52, s1, 16
	s_bitcmp0_b32 s54, 0
	s_mov_b32 s1, -1
	s_wait_loadcnt_dscnt 0x0
	scratch_store_b128 off, v[1:4], off offset:48
	flat_load_b128 v[1:4], v[52:53]
	s_wait_loadcnt_dscnt 0x0
	scratch_store_b128 off, v[1:4], off offset:64
	flat_load_b128 v[1:4], v[54:55]
	;; [unrolled: 3-line block ×42, first 2 shown]
	s_wait_loadcnt_dscnt 0x0
	scratch_store_b128 off, v[1:4], off offset:720
	s_cbranch_scc1 .LBB108_192
; %bb.4:
	v_cmp_eq_u32_e64 s0, 0, v0
	s_and_saveexec_b32 s1, s0
; %bb.5:
	v_mov_b32_e32 v1, 0
	ds_store_b32 v1, v1 offset:1440
; %bb.6:
	s_wait_alu 0xfffe
	s_or_b32 exec_lo, exec_lo, s1
	s_wait_storecnt_dscnt 0x0
	s_barrier_signal -1
	s_barrier_wait -1
	global_inv scope:SCOPE_SE
	scratch_load_b128 v[1:4], v13, off offset:16
	s_wait_loadcnt 0x0
	v_cmp_eq_f64_e32 vcc_lo, 0, v[1:2]
	v_cmp_eq_f64_e64 s1, 0, v[3:4]
	s_and_b32 s1, vcc_lo, s1
	s_wait_alu 0xfffe
	s_and_saveexec_b32 s54, s1
	s_cbranch_execz .LBB108_10
; %bb.7:
	v_mov_b32_e32 v1, 0
	s_mov_b32 s55, 0
	ds_load_b32 v2, v1 offset:1440
	s_wait_dscnt 0x0
	v_readfirstlane_b32 s1, v2
	v_add_nc_u32_e32 v2, 1, v0
	s_cmp_eq_u32 s1, 0
	s_delay_alu instid0(VALU_DEP_1) | instskip(SKIP_1) | instid1(SALU_CYCLE_1)
	v_cmp_gt_i32_e32 vcc_lo, s1, v2
	s_cselect_b32 s56, -1, 0
	s_or_b32 s56, s56, vcc_lo
	s_delay_alu instid0(SALU_CYCLE_1)
	s_and_b32 exec_lo, exec_lo, s56
	s_cbranch_execz .LBB108_10
; %bb.8:
	v_mov_b32_e32 v3, s1
.LBB108_9:                              ; =>This Inner Loop Header: Depth=1
	ds_cmpstore_rtn_b32 v3, v1, v2, v3 offset:1440
	s_wait_dscnt 0x0
	v_cmp_ne_u32_e32 vcc_lo, 0, v3
	v_cmp_le_i32_e64 s1, v3, v2
	s_and_b32 s1, vcc_lo, s1
	s_wait_alu 0xfffe
	s_and_b32 s1, exec_lo, s1
	s_wait_alu 0xfffe
	s_or_b32 s55, s1, s55
	s_delay_alu instid0(SALU_CYCLE_1)
	s_and_not1_b32 exec_lo, exec_lo, s55
	s_cbranch_execnz .LBB108_9
.LBB108_10:
	s_or_b32 exec_lo, exec_lo, s54
	v_mov_b32_e32 v1, 0
	s_barrier_signal -1
	s_barrier_wait -1
	global_inv scope:SCOPE_SE
	ds_load_b32 v2, v1 offset:1440
	s_and_saveexec_b32 s1, s0
	s_cbranch_execz .LBB108_12
; %bb.11:
	s_lshl_b64 s[54:55], s[8:9], 2
	s_delay_alu instid0(SALU_CYCLE_1)
	s_add_nc_u64 s[54:55], s[6:7], s[54:55]
	s_wait_dscnt 0x0
	global_store_b32 v1, v2, s[54:55]
.LBB108_12:
	s_wait_alu 0xfffe
	s_or_b32 exec_lo, exec_lo, s1
	s_wait_dscnt 0x0
	v_cmp_ne_u32_e32 vcc_lo, 0, v2
	s_mov_b32 s1, 0
	s_cbranch_vccnz .LBB108_192
; %bb.13:
	v_add_nc_u32_e32 v14, 16, v13
                                        ; implicit-def: $vgpr1_vgpr2
                                        ; implicit-def: $vgpr9_vgpr10
	scratch_load_b128 v[5:8], v14, off
	s_wait_loadcnt 0x0
	v_cmp_ngt_f64_e64 s1, |v[5:6]|, |v[7:8]|
	s_wait_alu 0xfffe
	s_and_saveexec_b32 s54, s1
	s_delay_alu instid0(SALU_CYCLE_1)
	s_xor_b32 s1, exec_lo, s54
	s_cbranch_execz .LBB108_15
; %bb.14:
	v_div_scale_f64 v[1:2], null, v[7:8], v[7:8], v[5:6]
	v_div_scale_f64 v[11:12], vcc_lo, v[5:6], v[7:8], v[5:6]
	s_delay_alu instid0(VALU_DEP_2) | instskip(NEXT) | instid1(TRANS32_DEP_1)
	v_rcp_f64_e32 v[3:4], v[1:2]
	v_fma_f64 v[9:10], -v[1:2], v[3:4], 1.0
	s_delay_alu instid0(VALU_DEP_1) | instskip(NEXT) | instid1(VALU_DEP_1)
	v_fma_f64 v[3:4], v[3:4], v[9:10], v[3:4]
	v_fma_f64 v[9:10], -v[1:2], v[3:4], 1.0
	s_delay_alu instid0(VALU_DEP_1) | instskip(NEXT) | instid1(VALU_DEP_1)
	v_fma_f64 v[3:4], v[3:4], v[9:10], v[3:4]
	v_mul_f64_e32 v[9:10], v[11:12], v[3:4]
	s_delay_alu instid0(VALU_DEP_1) | instskip(SKIP_1) | instid1(VALU_DEP_1)
	v_fma_f64 v[1:2], -v[1:2], v[9:10], v[11:12]
	s_wait_alu 0xfffd
	v_div_fmas_f64 v[1:2], v[1:2], v[3:4], v[9:10]
	s_delay_alu instid0(VALU_DEP_1) | instskip(NEXT) | instid1(VALU_DEP_1)
	v_div_fixup_f64 v[1:2], v[1:2], v[7:8], v[5:6]
	v_fma_f64 v[3:4], v[5:6], v[1:2], v[7:8]
	s_delay_alu instid0(VALU_DEP_1) | instskip(SKIP_1) | instid1(VALU_DEP_2)
	v_div_scale_f64 v[5:6], null, v[3:4], v[3:4], 1.0
	v_div_scale_f64 v[11:12], vcc_lo, 1.0, v[3:4], 1.0
	v_rcp_f64_e32 v[7:8], v[5:6]
	s_delay_alu instid0(TRANS32_DEP_1) | instskip(NEXT) | instid1(VALU_DEP_1)
	v_fma_f64 v[9:10], -v[5:6], v[7:8], 1.0
	v_fma_f64 v[7:8], v[7:8], v[9:10], v[7:8]
	s_delay_alu instid0(VALU_DEP_1) | instskip(NEXT) | instid1(VALU_DEP_1)
	v_fma_f64 v[9:10], -v[5:6], v[7:8], 1.0
	v_fma_f64 v[7:8], v[7:8], v[9:10], v[7:8]
	s_delay_alu instid0(VALU_DEP_1) | instskip(NEXT) | instid1(VALU_DEP_1)
	v_mul_f64_e32 v[9:10], v[11:12], v[7:8]
	v_fma_f64 v[5:6], -v[5:6], v[9:10], v[11:12]
	s_wait_alu 0xfffd
	s_delay_alu instid0(VALU_DEP_1) | instskip(NEXT) | instid1(VALU_DEP_1)
	v_div_fmas_f64 v[5:6], v[5:6], v[7:8], v[9:10]
	v_div_fixup_f64 v[3:4], v[5:6], v[3:4], 1.0
                                        ; implicit-def: $vgpr5_vgpr6
	s_delay_alu instid0(VALU_DEP_1) | instskip(SKIP_1) | instid1(VALU_DEP_2)
	v_mul_f64_e32 v[1:2], v[1:2], v[3:4]
	v_xor_b32_e32 v4, 0x80000000, v4
	v_xor_b32_e32 v10, 0x80000000, v2
	s_delay_alu instid0(VALU_DEP_3)
	v_mov_b32_e32 v9, v1
.LBB108_15:
	s_wait_alu 0xfffe
	s_and_not1_saveexec_b32 s1, s1
	s_cbranch_execz .LBB108_17
; %bb.16:
	v_div_scale_f64 v[1:2], null, v[5:6], v[5:6], v[7:8]
	v_div_scale_f64 v[11:12], vcc_lo, v[7:8], v[5:6], v[7:8]
	s_delay_alu instid0(VALU_DEP_2) | instskip(NEXT) | instid1(TRANS32_DEP_1)
	v_rcp_f64_e32 v[3:4], v[1:2]
	v_fma_f64 v[9:10], -v[1:2], v[3:4], 1.0
	s_delay_alu instid0(VALU_DEP_1) | instskip(NEXT) | instid1(VALU_DEP_1)
	v_fma_f64 v[3:4], v[3:4], v[9:10], v[3:4]
	v_fma_f64 v[9:10], -v[1:2], v[3:4], 1.0
	s_delay_alu instid0(VALU_DEP_1) | instskip(NEXT) | instid1(VALU_DEP_1)
	v_fma_f64 v[3:4], v[3:4], v[9:10], v[3:4]
	v_mul_f64_e32 v[9:10], v[11:12], v[3:4]
	s_delay_alu instid0(VALU_DEP_1) | instskip(SKIP_1) | instid1(VALU_DEP_1)
	v_fma_f64 v[1:2], -v[1:2], v[9:10], v[11:12]
	s_wait_alu 0xfffd
	v_div_fmas_f64 v[1:2], v[1:2], v[3:4], v[9:10]
	s_delay_alu instid0(VALU_DEP_1) | instskip(NEXT) | instid1(VALU_DEP_1)
	v_div_fixup_f64 v[3:4], v[1:2], v[5:6], v[7:8]
	v_fma_f64 v[1:2], v[7:8], v[3:4], v[5:6]
	s_delay_alu instid0(VALU_DEP_1) | instskip(NEXT) | instid1(VALU_DEP_1)
	v_div_scale_f64 v[5:6], null, v[1:2], v[1:2], 1.0
	v_rcp_f64_e32 v[7:8], v[5:6]
	s_delay_alu instid0(TRANS32_DEP_1) | instskip(NEXT) | instid1(VALU_DEP_1)
	v_fma_f64 v[9:10], -v[5:6], v[7:8], 1.0
	v_fma_f64 v[7:8], v[7:8], v[9:10], v[7:8]
	s_delay_alu instid0(VALU_DEP_1) | instskip(NEXT) | instid1(VALU_DEP_1)
	v_fma_f64 v[9:10], -v[5:6], v[7:8], 1.0
	v_fma_f64 v[7:8], v[7:8], v[9:10], v[7:8]
	v_div_scale_f64 v[9:10], vcc_lo, 1.0, v[1:2], 1.0
	s_delay_alu instid0(VALU_DEP_1) | instskip(NEXT) | instid1(VALU_DEP_1)
	v_mul_f64_e32 v[11:12], v[9:10], v[7:8]
	v_fma_f64 v[5:6], -v[5:6], v[11:12], v[9:10]
	s_wait_alu 0xfffd
	s_delay_alu instid0(VALU_DEP_1) | instskip(NEXT) | instid1(VALU_DEP_1)
	v_div_fmas_f64 v[5:6], v[5:6], v[7:8], v[11:12]
	v_div_fixup_f64 v[1:2], v[5:6], v[1:2], 1.0
	s_delay_alu instid0(VALU_DEP_1)
	v_mul_f64_e64 v[3:4], v[3:4], -v[1:2]
	v_xor_b32_e32 v10, 0x80000000, v2
	v_mov_b32_e32 v9, v1
.LBB108_17:
	s_wait_alu 0xfffe
	s_or_b32 exec_lo, exec_lo, s1
	scratch_store_b128 v14, v[1:4], off
	scratch_load_b128 v[15:18], off, s15
	v_xor_b32_e32 v12, 0x80000000, v4
	v_mov_b32_e32 v11, v3
	v_add_nc_u32_e32 v5, 0x2d0, v13
	ds_store_b128 v13, v[9:12]
	s_wait_loadcnt 0x0
	ds_store_b128 v13, v[15:18] offset:720
	s_wait_storecnt_dscnt 0x0
	s_barrier_signal -1
	s_barrier_wait -1
	global_inv scope:SCOPE_SE
	s_and_saveexec_b32 s1, s0
	s_cbranch_execz .LBB108_19
; %bb.18:
	scratch_load_b128 v[1:4], v14, off
	ds_load_b128 v[6:9], v5
	v_mov_b32_e32 v10, 0
	ds_load_b128 v[15:18], v10 offset:16
	s_wait_loadcnt_dscnt 0x1
	v_mul_f64_e32 v[10:11], v[6:7], v[3:4]
	v_mul_f64_e32 v[3:4], v[8:9], v[3:4]
	s_delay_alu instid0(VALU_DEP_2) | instskip(NEXT) | instid1(VALU_DEP_2)
	v_fma_f64 v[8:9], v[8:9], v[1:2], v[10:11]
	v_fma_f64 v[1:2], v[6:7], v[1:2], -v[3:4]
	s_delay_alu instid0(VALU_DEP_2) | instskip(NEXT) | instid1(VALU_DEP_2)
	v_add_f64_e32 v[3:4], 0, v[8:9]
	v_add_f64_e32 v[1:2], 0, v[1:2]
	s_wait_dscnt 0x0
	s_delay_alu instid0(VALU_DEP_2) | instskip(NEXT) | instid1(VALU_DEP_2)
	v_mul_f64_e32 v[6:7], v[3:4], v[17:18]
	v_mul_f64_e32 v[8:9], v[1:2], v[17:18]
	s_delay_alu instid0(VALU_DEP_2) | instskip(NEXT) | instid1(VALU_DEP_2)
	v_fma_f64 v[1:2], v[1:2], v[15:16], -v[6:7]
	v_fma_f64 v[3:4], v[3:4], v[15:16], v[8:9]
	scratch_store_b128 off, v[1:4], off offset:32
.LBB108_19:
	s_wait_alu 0xfffe
	s_or_b32 exec_lo, exec_lo, s1
	s_wait_loadcnt 0x0
	s_wait_storecnt 0x0
	s_barrier_signal -1
	s_barrier_wait -1
	global_inv scope:SCOPE_SE
	scratch_load_b128 v[1:4], off, s13
	s_mov_b32 s1, exec_lo
	s_wait_loadcnt 0x0
	ds_store_b128 v5, v[1:4]
	s_wait_dscnt 0x0
	s_barrier_signal -1
	s_barrier_wait -1
	global_inv scope:SCOPE_SE
	v_cmpx_gt_u32_e32 2, v0
	s_cbranch_execz .LBB108_23
; %bb.20:
	scratch_load_b128 v[1:4], v14, off
	ds_load_b128 v[6:9], v5
	s_wait_loadcnt_dscnt 0x0
	v_mul_f64_e32 v[10:11], v[8:9], v[3:4]
	v_mul_f64_e32 v[3:4], v[6:7], v[3:4]
	s_delay_alu instid0(VALU_DEP_2) | instskip(NEXT) | instid1(VALU_DEP_2)
	v_fma_f64 v[6:7], v[6:7], v[1:2], -v[10:11]
	v_fma_f64 v[3:4], v[8:9], v[1:2], v[3:4]
	s_delay_alu instid0(VALU_DEP_2) | instskip(NEXT) | instid1(VALU_DEP_2)
	v_add_f64_e32 v[1:2], 0, v[6:7]
	v_add_f64_e32 v[3:4], 0, v[3:4]
	s_and_saveexec_b32 s54, s0
	s_cbranch_execz .LBB108_22
; %bb.21:
	scratch_load_b128 v[6:9], off, off offset:32
	v_mov_b32_e32 v10, 0
	ds_load_b128 v[15:18], v10 offset:736
	s_wait_loadcnt_dscnt 0x0
	v_mul_f64_e32 v[10:11], v[15:16], v[8:9]
	v_mul_f64_e32 v[8:9], v[17:18], v[8:9]
	s_delay_alu instid0(VALU_DEP_2) | instskip(NEXT) | instid1(VALU_DEP_2)
	v_fma_f64 v[10:11], v[17:18], v[6:7], v[10:11]
	v_fma_f64 v[6:7], v[15:16], v[6:7], -v[8:9]
	s_delay_alu instid0(VALU_DEP_2) | instskip(NEXT) | instid1(VALU_DEP_2)
	v_add_f64_e32 v[3:4], v[3:4], v[10:11]
	v_add_f64_e32 v[1:2], v[1:2], v[6:7]
.LBB108_22:
	s_or_b32 exec_lo, exec_lo, s54
	v_mov_b32_e32 v6, 0
	ds_load_b128 v[6:9], v6 offset:32
	s_wait_dscnt 0x0
	v_mul_f64_e32 v[10:11], v[3:4], v[8:9]
	v_mul_f64_e32 v[8:9], v[1:2], v[8:9]
	s_delay_alu instid0(VALU_DEP_2) | instskip(NEXT) | instid1(VALU_DEP_2)
	v_fma_f64 v[1:2], v[1:2], v[6:7], -v[10:11]
	v_fma_f64 v[3:4], v[3:4], v[6:7], v[8:9]
	scratch_store_b128 off, v[1:4], off offset:48
.LBB108_23:
	s_wait_alu 0xfffe
	s_or_b32 exec_lo, exec_lo, s1
	s_wait_loadcnt 0x0
	s_wait_storecnt 0x0
	s_barrier_signal -1
	s_barrier_wait -1
	global_inv scope:SCOPE_SE
	scratch_load_b128 v[1:4], off, s10
	v_add_nc_u32_e32 v6, -1, v0
	s_mov_b32 s0, exec_lo
	s_wait_loadcnt 0x0
	ds_store_b128 v5, v[1:4]
	s_wait_dscnt 0x0
	s_barrier_signal -1
	s_barrier_wait -1
	global_inv scope:SCOPE_SE
	v_cmpx_gt_u32_e32 3, v0
	s_cbranch_execz .LBB108_27
; %bb.24:
	v_dual_mov_b32 v1, 0 :: v_dual_add_nc_u32 v8, 0x2d0, v13
	v_mov_b32_e32 v3, 0
	v_dual_mov_b32 v2, 0 :: v_dual_add_nc_u32 v7, -1, v0
	v_mov_b32_e32 v4, 0
	v_or_b32_e32 v9, 8, v14
	s_mov_b32 s1, 0
.LBB108_25:                             ; =>This Inner Loop Header: Depth=1
	scratch_load_b128 v[15:18], v9, off offset:-8
	ds_load_b128 v[19:22], v8
	v_add_nc_u32_e32 v7, 1, v7
	v_add_nc_u32_e32 v8, 16, v8
	v_add_nc_u32_e32 v9, 16, v9
	s_delay_alu instid0(VALU_DEP_3)
	v_cmp_lt_u32_e32 vcc_lo, 1, v7
	s_wait_alu 0xfffe
	s_or_b32 s1, vcc_lo, s1
	s_wait_loadcnt_dscnt 0x0
	v_mul_f64_e32 v[10:11], v[21:22], v[17:18]
	v_mul_f64_e32 v[17:18], v[19:20], v[17:18]
	s_delay_alu instid0(VALU_DEP_2) | instskip(NEXT) | instid1(VALU_DEP_2)
	v_fma_f64 v[10:11], v[19:20], v[15:16], -v[10:11]
	v_fma_f64 v[15:16], v[21:22], v[15:16], v[17:18]
	s_delay_alu instid0(VALU_DEP_2) | instskip(NEXT) | instid1(VALU_DEP_2)
	v_add_f64_e32 v[3:4], v[3:4], v[10:11]
	v_add_f64_e32 v[1:2], v[1:2], v[15:16]
	s_wait_alu 0xfffe
	s_and_not1_b32 exec_lo, exec_lo, s1
	s_cbranch_execnz .LBB108_25
; %bb.26:
	s_or_b32 exec_lo, exec_lo, s1
	v_mov_b32_e32 v7, 0
	ds_load_b128 v[7:10], v7 offset:48
	s_wait_dscnt 0x0
	v_mul_f64_e32 v[11:12], v[1:2], v[9:10]
	v_mul_f64_e32 v[15:16], v[3:4], v[9:10]
	s_delay_alu instid0(VALU_DEP_2) | instskip(NEXT) | instid1(VALU_DEP_2)
	v_fma_f64 v[9:10], v[3:4], v[7:8], -v[11:12]
	v_fma_f64 v[11:12], v[1:2], v[7:8], v[15:16]
	scratch_store_b128 off, v[9:12], off offset:64
.LBB108_27:
	s_wait_alu 0xfffe
	s_or_b32 exec_lo, exec_lo, s0
	s_wait_loadcnt 0x0
	s_wait_storecnt 0x0
	s_barrier_signal -1
	s_barrier_wait -1
	global_inv scope:SCOPE_SE
	scratch_load_b128 v[1:4], off, s4
	s_mov_b32 s0, exec_lo
	s_wait_loadcnt 0x0
	ds_store_b128 v5, v[1:4]
	s_wait_dscnt 0x0
	s_barrier_signal -1
	s_barrier_wait -1
	global_inv scope:SCOPE_SE
	v_cmpx_gt_u32_e32 4, v0
	s_cbranch_execz .LBB108_31
; %bb.28:
	v_dual_mov_b32 v1, 0 :: v_dual_add_nc_u32 v8, 0x2d0, v13
	v_mov_b32_e32 v3, 0
	v_dual_mov_b32 v2, 0 :: v_dual_add_nc_u32 v7, -1, v0
	v_mov_b32_e32 v4, 0
	v_or_b32_e32 v9, 8, v14
	s_mov_b32 s1, 0
.LBB108_29:                             ; =>This Inner Loop Header: Depth=1
	scratch_load_b128 v[15:18], v9, off offset:-8
	ds_load_b128 v[19:22], v8
	v_add_nc_u32_e32 v7, 1, v7
	v_add_nc_u32_e32 v8, 16, v8
	v_add_nc_u32_e32 v9, 16, v9
	s_delay_alu instid0(VALU_DEP_3)
	v_cmp_lt_u32_e32 vcc_lo, 2, v7
	s_wait_alu 0xfffe
	s_or_b32 s1, vcc_lo, s1
	s_wait_loadcnt_dscnt 0x0
	v_mul_f64_e32 v[10:11], v[21:22], v[17:18]
	v_mul_f64_e32 v[17:18], v[19:20], v[17:18]
	s_delay_alu instid0(VALU_DEP_2) | instskip(NEXT) | instid1(VALU_DEP_2)
	v_fma_f64 v[10:11], v[19:20], v[15:16], -v[10:11]
	v_fma_f64 v[15:16], v[21:22], v[15:16], v[17:18]
	s_delay_alu instid0(VALU_DEP_2) | instskip(NEXT) | instid1(VALU_DEP_2)
	v_add_f64_e32 v[3:4], v[3:4], v[10:11]
	v_add_f64_e32 v[1:2], v[1:2], v[15:16]
	s_wait_alu 0xfffe
	s_and_not1_b32 exec_lo, exec_lo, s1
	s_cbranch_execnz .LBB108_29
; %bb.30:
	s_or_b32 exec_lo, exec_lo, s1
	v_mov_b32_e32 v7, 0
	ds_load_b128 v[7:10], v7 offset:64
	s_wait_dscnt 0x0
	v_mul_f64_e32 v[11:12], v[1:2], v[9:10]
	v_mul_f64_e32 v[15:16], v[3:4], v[9:10]
	s_delay_alu instid0(VALU_DEP_2) | instskip(NEXT) | instid1(VALU_DEP_2)
	v_fma_f64 v[9:10], v[3:4], v[7:8], -v[11:12]
	v_fma_f64 v[11:12], v[1:2], v[7:8], v[15:16]
	scratch_store_b128 off, v[9:12], off offset:80
.LBB108_31:
	s_wait_alu 0xfffe
	s_or_b32 exec_lo, exec_lo, s0
	s_wait_loadcnt 0x0
	s_wait_storecnt 0x0
	s_barrier_signal -1
	s_barrier_wait -1
	global_inv scope:SCOPE_SE
	scratch_load_b128 v[1:4], off, s53
	;; [unrolled: 58-line block ×19, first 2 shown]
	s_mov_b32 s0, exec_lo
	s_wait_loadcnt 0x0
	ds_store_b128 v5, v[1:4]
	s_wait_dscnt 0x0
	s_barrier_signal -1
	s_barrier_wait -1
	global_inv scope:SCOPE_SE
	v_cmpx_gt_u32_e32 22, v0
	s_cbranch_execz .LBB108_103
; %bb.100:
	v_dual_mov_b32 v1, 0 :: v_dual_add_nc_u32 v8, 0x2d0, v13
	v_mov_b32_e32 v3, 0
	v_dual_mov_b32 v2, 0 :: v_dual_add_nc_u32 v7, -1, v0
	v_mov_b32_e32 v4, 0
	v_or_b32_e32 v9, 8, v14
	s_mov_b32 s1, 0
.LBB108_101:                            ; =>This Inner Loop Header: Depth=1
	scratch_load_b128 v[15:18], v9, off offset:-8
	ds_load_b128 v[19:22], v8
	v_add_nc_u32_e32 v7, 1, v7
	v_add_nc_u32_e32 v8, 16, v8
	v_add_nc_u32_e32 v9, 16, v9
	s_delay_alu instid0(VALU_DEP_3)
	v_cmp_lt_u32_e32 vcc_lo, 20, v7
	s_wait_alu 0xfffe
	s_or_b32 s1, vcc_lo, s1
	s_wait_loadcnt_dscnt 0x0
	v_mul_f64_e32 v[10:11], v[21:22], v[17:18]
	v_mul_f64_e32 v[17:18], v[19:20], v[17:18]
	s_delay_alu instid0(VALU_DEP_2) | instskip(NEXT) | instid1(VALU_DEP_2)
	v_fma_f64 v[10:11], v[19:20], v[15:16], -v[10:11]
	v_fma_f64 v[15:16], v[21:22], v[15:16], v[17:18]
	s_delay_alu instid0(VALU_DEP_2) | instskip(NEXT) | instid1(VALU_DEP_2)
	v_add_f64_e32 v[3:4], v[3:4], v[10:11]
	v_add_f64_e32 v[1:2], v[1:2], v[15:16]
	s_wait_alu 0xfffe
	s_and_not1_b32 exec_lo, exec_lo, s1
	s_cbranch_execnz .LBB108_101
; %bb.102:
	s_or_b32 exec_lo, exec_lo, s1
	v_mov_b32_e32 v7, 0
	ds_load_b128 v[7:10], v7 offset:352
	s_wait_dscnt 0x0
	v_mul_f64_e32 v[11:12], v[1:2], v[9:10]
	v_mul_f64_e32 v[15:16], v[3:4], v[9:10]
	s_delay_alu instid0(VALU_DEP_2) | instskip(NEXT) | instid1(VALU_DEP_2)
	v_fma_f64 v[9:10], v[3:4], v[7:8], -v[11:12]
	v_fma_f64 v[11:12], v[1:2], v[7:8], v[15:16]
	scratch_store_b128 off, v[9:12], off offset:368
.LBB108_103:
	s_wait_alu 0xfffe
	s_or_b32 exec_lo, exec_lo, s0
	s_wait_loadcnt 0x0
	s_wait_storecnt 0x0
	s_barrier_signal -1
	s_barrier_wait -1
	global_inv scope:SCOPE_SE
	scratch_load_b128 v[1:4], off, s35
	s_mov_b32 s0, exec_lo
	s_wait_loadcnt 0x0
	ds_store_b128 v5, v[1:4]
	s_wait_dscnt 0x0
	s_barrier_signal -1
	s_barrier_wait -1
	global_inv scope:SCOPE_SE
	v_cmpx_gt_u32_e32 23, v0
	s_cbranch_execz .LBB108_107
; %bb.104:
	v_dual_mov_b32 v1, 0 :: v_dual_add_nc_u32 v8, 0x2d0, v13
	v_mov_b32_e32 v3, 0
	v_dual_mov_b32 v2, 0 :: v_dual_add_nc_u32 v7, -1, v0
	v_mov_b32_e32 v4, 0
	v_or_b32_e32 v9, 8, v14
	s_mov_b32 s1, 0
.LBB108_105:                            ; =>This Inner Loop Header: Depth=1
	scratch_load_b128 v[15:18], v9, off offset:-8
	ds_load_b128 v[19:22], v8
	v_add_nc_u32_e32 v7, 1, v7
	v_add_nc_u32_e32 v8, 16, v8
	v_add_nc_u32_e32 v9, 16, v9
	s_delay_alu instid0(VALU_DEP_3)
	v_cmp_lt_u32_e32 vcc_lo, 21, v7
	s_wait_alu 0xfffe
	s_or_b32 s1, vcc_lo, s1
	s_wait_loadcnt_dscnt 0x0
	v_mul_f64_e32 v[10:11], v[21:22], v[17:18]
	v_mul_f64_e32 v[17:18], v[19:20], v[17:18]
	s_delay_alu instid0(VALU_DEP_2) | instskip(NEXT) | instid1(VALU_DEP_2)
	v_fma_f64 v[10:11], v[19:20], v[15:16], -v[10:11]
	v_fma_f64 v[15:16], v[21:22], v[15:16], v[17:18]
	s_delay_alu instid0(VALU_DEP_2) | instskip(NEXT) | instid1(VALU_DEP_2)
	v_add_f64_e32 v[3:4], v[3:4], v[10:11]
	v_add_f64_e32 v[1:2], v[1:2], v[15:16]
	s_wait_alu 0xfffe
	s_and_not1_b32 exec_lo, exec_lo, s1
	s_cbranch_execnz .LBB108_105
; %bb.106:
	s_or_b32 exec_lo, exec_lo, s1
	v_mov_b32_e32 v7, 0
	ds_load_b128 v[7:10], v7 offset:368
	s_wait_dscnt 0x0
	v_mul_f64_e32 v[11:12], v[1:2], v[9:10]
	v_mul_f64_e32 v[15:16], v[3:4], v[9:10]
	s_delay_alu instid0(VALU_DEP_2) | instskip(NEXT) | instid1(VALU_DEP_2)
	v_fma_f64 v[9:10], v[3:4], v[7:8], -v[11:12]
	v_fma_f64 v[11:12], v[1:2], v[7:8], v[15:16]
	scratch_store_b128 off, v[9:12], off offset:384
.LBB108_107:
	s_wait_alu 0xfffe
	s_or_b32 exec_lo, exec_lo, s0
	s_wait_loadcnt 0x0
	s_wait_storecnt 0x0
	s_barrier_signal -1
	s_barrier_wait -1
	global_inv scope:SCOPE_SE
	scratch_load_b128 v[1:4], off, s34
	;; [unrolled: 58-line block ×22, first 2 shown]
	s_mov_b32 s0, exec_lo
	s_wait_loadcnt 0x0
	ds_store_b128 v5, v[1:4]
	s_wait_dscnt 0x0
	s_barrier_signal -1
	s_barrier_wait -1
	global_inv scope:SCOPE_SE
	v_cmpx_ne_u32_e32 44, v0
	s_cbranch_execz .LBB108_191
; %bb.188:
	v_mov_b32_e32 v1, 0
	v_dual_mov_b32 v2, 0 :: v_dual_mov_b32 v3, 0
	v_mov_b32_e32 v4, 0
	v_or_b32_e32 v7, 8, v14
	s_mov_b32 s1, 0
.LBB108_189:                            ; =>This Inner Loop Header: Depth=1
	scratch_load_b128 v[8:11], v7, off offset:-8
	ds_load_b128 v[12:15], v5
	v_add_nc_u32_e32 v6, 1, v6
	v_add_nc_u32_e32 v5, 16, v5
	;; [unrolled: 1-line block ×3, first 2 shown]
	s_delay_alu instid0(VALU_DEP_3)
	v_cmp_lt_u32_e32 vcc_lo, 42, v6
	s_wait_alu 0xfffe
	s_or_b32 s1, vcc_lo, s1
	s_wait_loadcnt_dscnt 0x0
	v_mul_f64_e32 v[16:17], v[14:15], v[10:11]
	v_mul_f64_e32 v[10:11], v[12:13], v[10:11]
	s_delay_alu instid0(VALU_DEP_2) | instskip(NEXT) | instid1(VALU_DEP_2)
	v_fma_f64 v[12:13], v[12:13], v[8:9], -v[16:17]
	v_fma_f64 v[8:9], v[14:15], v[8:9], v[10:11]
	s_delay_alu instid0(VALU_DEP_2) | instskip(NEXT) | instid1(VALU_DEP_2)
	v_add_f64_e32 v[3:4], v[3:4], v[12:13]
	v_add_f64_e32 v[1:2], v[1:2], v[8:9]
	s_wait_alu 0xfffe
	s_and_not1_b32 exec_lo, exec_lo, s1
	s_cbranch_execnz .LBB108_189
; %bb.190:
	s_or_b32 exec_lo, exec_lo, s1
	v_mov_b32_e32 v5, 0
	ds_load_b128 v[5:8], v5 offset:704
	s_wait_dscnt 0x0
	v_mul_f64_e32 v[9:10], v[1:2], v[7:8]
	v_mul_f64_e32 v[7:8], v[3:4], v[7:8]
	s_delay_alu instid0(VALU_DEP_2) | instskip(NEXT) | instid1(VALU_DEP_2)
	v_fma_f64 v[3:4], v[3:4], v[5:6], -v[9:10]
	v_fma_f64 v[5:6], v[1:2], v[5:6], v[7:8]
	scratch_store_b128 off, v[3:6], off offset:720
.LBB108_191:
	s_wait_alu 0xfffe
	s_or_b32 exec_lo, exec_lo, s0
	s_mov_b32 s1, -1
	s_wait_loadcnt 0x0
	s_wait_storecnt 0x0
	s_barrier_signal -1
	s_barrier_wait -1
	global_inv scope:SCOPE_SE
.LBB108_192:
	s_wait_alu 0xfffe
	s_and_b32 vcc_lo, exec_lo, s1
	s_wait_alu 0xfffe
	s_cbranch_vccz .LBB108_194
; %bb.193:
	v_mov_b32_e32 v1, 0
	s_lshl_b64 s[0:1], s[8:9], 2
	s_wait_alu 0xfffe
	s_add_nc_u64 s[0:1], s[6:7], s[0:1]
	global_load_b32 v1, v1, s[0:1]
	s_wait_loadcnt 0x0
	v_cmp_ne_u32_e32 vcc_lo, 0, v1
	s_cbranch_vccz .LBB108_195
.LBB108_194:
	s_nop 0
	s_sendmsg sendmsg(MSG_DEALLOC_VGPRS)
	s_endpgm
.LBB108_195:
	v_lshl_add_u32 v136, v0, 4, 0x2d0
	s_mov_b32 s0, exec_lo
	v_cmpx_eq_u32_e32 44, v0
	s_cbranch_execz .LBB108_197
; %bb.196:
	scratch_load_b128 v[1:4], off, s11
	v_mov_b32_e32 v5, 0
	s_delay_alu instid0(VALU_DEP_1)
	v_dual_mov_b32 v6, v5 :: v_dual_mov_b32 v7, v5
	v_mov_b32_e32 v8, v5
	scratch_store_b128 off, v[5:8], off offset:704
	s_wait_loadcnt 0x0
	ds_store_b128 v136, v[1:4]
.LBB108_197:
	s_wait_alu 0xfffe
	s_or_b32 exec_lo, exec_lo, s0
	s_wait_storecnt_dscnt 0x0
	s_barrier_signal -1
	s_barrier_wait -1
	global_inv scope:SCOPE_SE
	s_clause 0x1
	scratch_load_b128 v[2:5], off, off offset:720
	scratch_load_b128 v[6:9], off, off offset:704
	v_mov_b32_e32 v1, 0
	s_mov_b32 s0, exec_lo
	ds_load_b128 v[10:13], v1 offset:1424
	s_wait_loadcnt_dscnt 0x100
	v_mul_f64_e32 v[14:15], v[12:13], v[4:5]
	v_mul_f64_e32 v[4:5], v[10:11], v[4:5]
	s_delay_alu instid0(VALU_DEP_2) | instskip(NEXT) | instid1(VALU_DEP_2)
	v_fma_f64 v[10:11], v[10:11], v[2:3], -v[14:15]
	v_fma_f64 v[2:3], v[12:13], v[2:3], v[4:5]
	s_delay_alu instid0(VALU_DEP_2) | instskip(NEXT) | instid1(VALU_DEP_2)
	v_add_f64_e32 v[4:5], 0, v[10:11]
	v_add_f64_e32 v[10:11], 0, v[2:3]
	s_wait_loadcnt 0x0
	s_delay_alu instid0(VALU_DEP_2) | instskip(NEXT) | instid1(VALU_DEP_2)
	v_add_f64_e64 v[2:3], v[6:7], -v[4:5]
	v_add_f64_e64 v[4:5], v[8:9], -v[10:11]
	scratch_store_b128 off, v[2:5], off offset:704
	v_cmpx_lt_u32_e32 42, v0
	s_cbranch_execz .LBB108_199
; %bb.198:
	scratch_load_b128 v[5:8], off, s14
	v_dual_mov_b32 v2, v1 :: v_dual_mov_b32 v3, v1
	v_mov_b32_e32 v4, v1
	scratch_store_b128 off, v[1:4], off offset:688
	s_wait_loadcnt 0x0
	ds_store_b128 v136, v[5:8]
.LBB108_199:
	s_wait_alu 0xfffe
	s_or_b32 exec_lo, exec_lo, s0
	s_wait_storecnt_dscnt 0x0
	s_barrier_signal -1
	s_barrier_wait -1
	global_inv scope:SCOPE_SE
	s_clause 0x2
	scratch_load_b128 v[2:5], off, off offset:704
	scratch_load_b128 v[6:9], off, off offset:720
	;; [unrolled: 1-line block ×3, first 2 shown]
	ds_load_b128 v[14:17], v1 offset:1408
	ds_load_b128 v[18:21], v1 offset:1424
	s_mov_b32 s0, exec_lo
	s_wait_loadcnt_dscnt 0x201
	v_mul_f64_e32 v[22:23], v[16:17], v[4:5]
	v_mul_f64_e32 v[4:5], v[14:15], v[4:5]
	s_wait_loadcnt_dscnt 0x100
	v_mul_f64_e32 v[24:25], v[18:19], v[8:9]
	v_mul_f64_e32 v[8:9], v[20:21], v[8:9]
	s_delay_alu instid0(VALU_DEP_4) | instskip(NEXT) | instid1(VALU_DEP_4)
	v_fma_f64 v[14:15], v[14:15], v[2:3], -v[22:23]
	v_fma_f64 v[1:2], v[16:17], v[2:3], v[4:5]
	s_delay_alu instid0(VALU_DEP_4) | instskip(NEXT) | instid1(VALU_DEP_4)
	v_fma_f64 v[3:4], v[20:21], v[6:7], v[24:25]
	v_fma_f64 v[5:6], v[18:19], v[6:7], -v[8:9]
	s_delay_alu instid0(VALU_DEP_4) | instskip(NEXT) | instid1(VALU_DEP_4)
	v_add_f64_e32 v[7:8], 0, v[14:15]
	v_add_f64_e32 v[1:2], 0, v[1:2]
	s_delay_alu instid0(VALU_DEP_2) | instskip(NEXT) | instid1(VALU_DEP_2)
	v_add_f64_e32 v[5:6], v[7:8], v[5:6]
	v_add_f64_e32 v[3:4], v[1:2], v[3:4]
	s_wait_loadcnt 0x0
	s_delay_alu instid0(VALU_DEP_2) | instskip(NEXT) | instid1(VALU_DEP_2)
	v_add_f64_e64 v[1:2], v[10:11], -v[5:6]
	v_add_f64_e64 v[3:4], v[12:13], -v[3:4]
	scratch_store_b128 off, v[1:4], off offset:688
	v_cmpx_lt_u32_e32 41, v0
	s_cbranch_execz .LBB108_201
; %bb.200:
	scratch_load_b128 v[1:4], off, s16
	v_mov_b32_e32 v5, 0
	s_delay_alu instid0(VALU_DEP_1)
	v_dual_mov_b32 v6, v5 :: v_dual_mov_b32 v7, v5
	v_mov_b32_e32 v8, v5
	scratch_store_b128 off, v[5:8], off offset:672
	s_wait_loadcnt 0x0
	ds_store_b128 v136, v[1:4]
.LBB108_201:
	s_wait_alu 0xfffe
	s_or_b32 exec_lo, exec_lo, s0
	s_wait_storecnt_dscnt 0x0
	s_barrier_signal -1
	s_barrier_wait -1
	global_inv scope:SCOPE_SE
	s_clause 0x3
	scratch_load_b128 v[2:5], off, off offset:688
	scratch_load_b128 v[6:9], off, off offset:704
	;; [unrolled: 1-line block ×4, first 2 shown]
	v_mov_b32_e32 v1, 0
	ds_load_b128 v[18:21], v1 offset:1392
	ds_load_b128 v[22:25], v1 offset:1408
	s_mov_b32 s0, exec_lo
	s_wait_loadcnt_dscnt 0x301
	v_mul_f64_e32 v[26:27], v[20:21], v[4:5]
	v_mul_f64_e32 v[4:5], v[18:19], v[4:5]
	s_wait_loadcnt_dscnt 0x200
	v_mul_f64_e32 v[28:29], v[22:23], v[8:9]
	v_mul_f64_e32 v[8:9], v[24:25], v[8:9]
	s_delay_alu instid0(VALU_DEP_4) | instskip(NEXT) | instid1(VALU_DEP_4)
	v_fma_f64 v[18:19], v[18:19], v[2:3], -v[26:27]
	v_fma_f64 v[20:21], v[20:21], v[2:3], v[4:5]
	ds_load_b128 v[2:5], v1 offset:1424
	v_fma_f64 v[24:25], v[24:25], v[6:7], v[28:29]
	v_fma_f64 v[6:7], v[22:23], v[6:7], -v[8:9]
	s_wait_loadcnt_dscnt 0x100
	v_mul_f64_e32 v[26:27], v[2:3], v[12:13]
	v_mul_f64_e32 v[12:13], v[4:5], v[12:13]
	v_add_f64_e32 v[8:9], 0, v[18:19]
	v_add_f64_e32 v[18:19], 0, v[20:21]
	s_delay_alu instid0(VALU_DEP_4) | instskip(NEXT) | instid1(VALU_DEP_4)
	v_fma_f64 v[4:5], v[4:5], v[10:11], v[26:27]
	v_fma_f64 v[2:3], v[2:3], v[10:11], -v[12:13]
	s_delay_alu instid0(VALU_DEP_4) | instskip(NEXT) | instid1(VALU_DEP_4)
	v_add_f64_e32 v[6:7], v[8:9], v[6:7]
	v_add_f64_e32 v[8:9], v[18:19], v[24:25]
	s_delay_alu instid0(VALU_DEP_2) | instskip(NEXT) | instid1(VALU_DEP_2)
	v_add_f64_e32 v[2:3], v[6:7], v[2:3]
	v_add_f64_e32 v[4:5], v[8:9], v[4:5]
	s_wait_loadcnt 0x0
	s_delay_alu instid0(VALU_DEP_2) | instskip(NEXT) | instid1(VALU_DEP_2)
	v_add_f64_e64 v[2:3], v[14:15], -v[2:3]
	v_add_f64_e64 v[4:5], v[16:17], -v[4:5]
	scratch_store_b128 off, v[2:5], off offset:672
	v_cmpx_lt_u32_e32 40, v0
	s_cbranch_execz .LBB108_203
; %bb.202:
	scratch_load_b128 v[5:8], off, s17
	v_dual_mov_b32 v2, v1 :: v_dual_mov_b32 v3, v1
	v_mov_b32_e32 v4, v1
	scratch_store_b128 off, v[1:4], off offset:656
	s_wait_loadcnt 0x0
	ds_store_b128 v136, v[5:8]
.LBB108_203:
	s_wait_alu 0xfffe
	s_or_b32 exec_lo, exec_lo, s0
	s_wait_storecnt_dscnt 0x0
	s_barrier_signal -1
	s_barrier_wait -1
	global_inv scope:SCOPE_SE
	s_clause 0x4
	scratch_load_b128 v[2:5], off, off offset:672
	scratch_load_b128 v[6:9], off, off offset:688
	scratch_load_b128 v[10:13], off, off offset:704
	scratch_load_b128 v[14:17], off, off offset:720
	scratch_load_b128 v[18:21], off, off offset:656
	ds_load_b128 v[22:25], v1 offset:1376
	ds_load_b128 v[26:29], v1 offset:1392
	s_mov_b32 s0, exec_lo
	s_wait_loadcnt_dscnt 0x401
	v_mul_f64_e32 v[30:31], v[24:25], v[4:5]
	v_mul_f64_e32 v[4:5], v[22:23], v[4:5]
	s_wait_loadcnt_dscnt 0x300
	v_mul_f64_e32 v[32:33], v[26:27], v[8:9]
	v_mul_f64_e32 v[8:9], v[28:29], v[8:9]
	s_delay_alu instid0(VALU_DEP_4) | instskip(NEXT) | instid1(VALU_DEP_4)
	v_fma_f64 v[30:31], v[22:23], v[2:3], -v[30:31]
	v_fma_f64 v[34:35], v[24:25], v[2:3], v[4:5]
	ds_load_b128 v[2:5], v1 offset:1408
	ds_load_b128 v[22:25], v1 offset:1424
	v_fma_f64 v[28:29], v[28:29], v[6:7], v[32:33]
	v_fma_f64 v[6:7], v[26:27], v[6:7], -v[8:9]
	s_wait_loadcnt_dscnt 0x201
	v_mul_f64_e32 v[36:37], v[2:3], v[12:13]
	v_mul_f64_e32 v[12:13], v[4:5], v[12:13]
	v_add_f64_e32 v[8:9], 0, v[30:31]
	v_add_f64_e32 v[26:27], 0, v[34:35]
	s_wait_loadcnt_dscnt 0x100
	v_mul_f64_e32 v[30:31], v[22:23], v[16:17]
	v_mul_f64_e32 v[16:17], v[24:25], v[16:17]
	v_fma_f64 v[4:5], v[4:5], v[10:11], v[36:37]
	v_fma_f64 v[1:2], v[2:3], v[10:11], -v[12:13]
	v_add_f64_e32 v[6:7], v[8:9], v[6:7]
	v_add_f64_e32 v[8:9], v[26:27], v[28:29]
	v_fma_f64 v[10:11], v[24:25], v[14:15], v[30:31]
	v_fma_f64 v[12:13], v[22:23], v[14:15], -v[16:17]
	s_delay_alu instid0(VALU_DEP_4) | instskip(NEXT) | instid1(VALU_DEP_4)
	v_add_f64_e32 v[1:2], v[6:7], v[1:2]
	v_add_f64_e32 v[3:4], v[8:9], v[4:5]
	s_delay_alu instid0(VALU_DEP_2) | instskip(NEXT) | instid1(VALU_DEP_2)
	v_add_f64_e32 v[1:2], v[1:2], v[12:13]
	v_add_f64_e32 v[3:4], v[3:4], v[10:11]
	s_wait_loadcnt 0x0
	s_delay_alu instid0(VALU_DEP_2) | instskip(NEXT) | instid1(VALU_DEP_2)
	v_add_f64_e64 v[1:2], v[18:19], -v[1:2]
	v_add_f64_e64 v[3:4], v[20:21], -v[3:4]
	scratch_store_b128 off, v[1:4], off offset:656
	v_cmpx_lt_u32_e32 39, v0
	s_cbranch_execz .LBB108_205
; %bb.204:
	scratch_load_b128 v[1:4], off, s18
	v_mov_b32_e32 v5, 0
	s_delay_alu instid0(VALU_DEP_1)
	v_dual_mov_b32 v6, v5 :: v_dual_mov_b32 v7, v5
	v_mov_b32_e32 v8, v5
	scratch_store_b128 off, v[5:8], off offset:640
	s_wait_loadcnt 0x0
	ds_store_b128 v136, v[1:4]
.LBB108_205:
	s_wait_alu 0xfffe
	s_or_b32 exec_lo, exec_lo, s0
	s_wait_storecnt_dscnt 0x0
	s_barrier_signal -1
	s_barrier_wait -1
	global_inv scope:SCOPE_SE
	s_clause 0x5
	scratch_load_b128 v[2:5], off, off offset:656
	scratch_load_b128 v[6:9], off, off offset:672
	;; [unrolled: 1-line block ×6, first 2 shown]
	v_mov_b32_e32 v1, 0
	ds_load_b128 v[26:29], v1 offset:1360
	ds_load_b128 v[30:33], v1 offset:1376
	s_mov_b32 s0, exec_lo
	s_wait_loadcnt_dscnt 0x501
	v_mul_f64_e32 v[34:35], v[28:29], v[4:5]
	v_mul_f64_e32 v[4:5], v[26:27], v[4:5]
	s_wait_loadcnt_dscnt 0x400
	v_mul_f64_e32 v[36:37], v[30:31], v[8:9]
	v_mul_f64_e32 v[8:9], v[32:33], v[8:9]
	s_delay_alu instid0(VALU_DEP_4) | instskip(NEXT) | instid1(VALU_DEP_4)
	v_fma_f64 v[34:35], v[26:27], v[2:3], -v[34:35]
	v_fma_f64 v[38:39], v[28:29], v[2:3], v[4:5]
	ds_load_b128 v[2:5], v1 offset:1392
	ds_load_b128 v[26:29], v1 offset:1408
	v_fma_f64 v[32:33], v[32:33], v[6:7], v[36:37]
	v_fma_f64 v[6:7], v[30:31], v[6:7], -v[8:9]
	s_wait_loadcnt_dscnt 0x301
	v_mul_f64_e32 v[40:41], v[2:3], v[12:13]
	v_mul_f64_e32 v[12:13], v[4:5], v[12:13]
	v_add_f64_e32 v[8:9], 0, v[34:35]
	v_add_f64_e32 v[30:31], 0, v[38:39]
	s_wait_loadcnt_dscnt 0x200
	v_mul_f64_e32 v[34:35], v[26:27], v[16:17]
	v_mul_f64_e32 v[16:17], v[28:29], v[16:17]
	v_fma_f64 v[36:37], v[4:5], v[10:11], v[40:41]
	v_fma_f64 v[10:11], v[2:3], v[10:11], -v[12:13]
	ds_load_b128 v[2:5], v1 offset:1424
	v_add_f64_e32 v[6:7], v[8:9], v[6:7]
	v_add_f64_e32 v[8:9], v[30:31], v[32:33]
	v_fma_f64 v[28:29], v[28:29], v[14:15], v[34:35]
	v_fma_f64 v[14:15], v[26:27], v[14:15], -v[16:17]
	s_wait_loadcnt_dscnt 0x100
	v_mul_f64_e32 v[12:13], v[2:3], v[20:21]
	v_mul_f64_e32 v[20:21], v[4:5], v[20:21]
	v_add_f64_e32 v[6:7], v[6:7], v[10:11]
	v_add_f64_e32 v[8:9], v[8:9], v[36:37]
	s_delay_alu instid0(VALU_DEP_4) | instskip(NEXT) | instid1(VALU_DEP_4)
	v_fma_f64 v[4:5], v[4:5], v[18:19], v[12:13]
	v_fma_f64 v[2:3], v[2:3], v[18:19], -v[20:21]
	s_delay_alu instid0(VALU_DEP_4) | instskip(NEXT) | instid1(VALU_DEP_4)
	v_add_f64_e32 v[6:7], v[6:7], v[14:15]
	v_add_f64_e32 v[8:9], v[8:9], v[28:29]
	s_delay_alu instid0(VALU_DEP_2) | instskip(NEXT) | instid1(VALU_DEP_2)
	v_add_f64_e32 v[2:3], v[6:7], v[2:3]
	v_add_f64_e32 v[4:5], v[8:9], v[4:5]
	s_wait_loadcnt 0x0
	s_delay_alu instid0(VALU_DEP_2) | instskip(NEXT) | instid1(VALU_DEP_2)
	v_add_f64_e64 v[2:3], v[22:23], -v[2:3]
	v_add_f64_e64 v[4:5], v[24:25], -v[4:5]
	scratch_store_b128 off, v[2:5], off offset:640
	v_cmpx_lt_u32_e32 38, v0
	s_cbranch_execz .LBB108_207
; %bb.206:
	scratch_load_b128 v[5:8], off, s19
	v_dual_mov_b32 v2, v1 :: v_dual_mov_b32 v3, v1
	v_mov_b32_e32 v4, v1
	scratch_store_b128 off, v[1:4], off offset:624
	s_wait_loadcnt 0x0
	ds_store_b128 v136, v[5:8]
.LBB108_207:
	s_wait_alu 0xfffe
	s_or_b32 exec_lo, exec_lo, s0
	s_wait_storecnt_dscnt 0x0
	s_barrier_signal -1
	s_barrier_wait -1
	global_inv scope:SCOPE_SE
	s_clause 0x5
	scratch_load_b128 v[2:5], off, off offset:640
	scratch_load_b128 v[6:9], off, off offset:656
	;; [unrolled: 1-line block ×6, first 2 shown]
	ds_load_b128 v[26:29], v1 offset:1344
	ds_load_b128 v[34:37], v1 offset:1360
	scratch_load_b128 v[30:33], off, off offset:624
	s_mov_b32 s0, exec_lo
	s_wait_loadcnt_dscnt 0x601
	v_mul_f64_e32 v[38:39], v[28:29], v[4:5]
	v_mul_f64_e32 v[4:5], v[26:27], v[4:5]
	s_wait_loadcnt_dscnt 0x500
	v_mul_f64_e32 v[40:41], v[34:35], v[8:9]
	v_mul_f64_e32 v[8:9], v[36:37], v[8:9]
	s_delay_alu instid0(VALU_DEP_4) | instskip(NEXT) | instid1(VALU_DEP_4)
	v_fma_f64 v[38:39], v[26:27], v[2:3], -v[38:39]
	v_fma_f64 v[42:43], v[28:29], v[2:3], v[4:5]
	ds_load_b128 v[2:5], v1 offset:1376
	ds_load_b128 v[26:29], v1 offset:1392
	v_fma_f64 v[36:37], v[36:37], v[6:7], v[40:41]
	v_fma_f64 v[6:7], v[34:35], v[6:7], -v[8:9]
	s_wait_loadcnt_dscnt 0x401
	v_mul_f64_e32 v[44:45], v[2:3], v[12:13]
	v_mul_f64_e32 v[12:13], v[4:5], v[12:13]
	v_add_f64_e32 v[8:9], 0, v[38:39]
	v_add_f64_e32 v[34:35], 0, v[42:43]
	s_wait_loadcnt_dscnt 0x300
	v_mul_f64_e32 v[38:39], v[26:27], v[16:17]
	v_mul_f64_e32 v[16:17], v[28:29], v[16:17]
	v_fma_f64 v[40:41], v[4:5], v[10:11], v[44:45]
	v_fma_f64 v[10:11], v[2:3], v[10:11], -v[12:13]
	v_add_f64_e32 v[12:13], v[8:9], v[6:7]
	v_add_f64_e32 v[34:35], v[34:35], v[36:37]
	ds_load_b128 v[2:5], v1 offset:1408
	ds_load_b128 v[6:9], v1 offset:1424
	v_fma_f64 v[28:29], v[28:29], v[14:15], v[38:39]
	v_fma_f64 v[14:15], v[26:27], v[14:15], -v[16:17]
	s_wait_loadcnt_dscnt 0x201
	v_mul_f64_e32 v[36:37], v[2:3], v[20:21]
	v_mul_f64_e32 v[20:21], v[4:5], v[20:21]
	s_wait_loadcnt_dscnt 0x100
	v_mul_f64_e32 v[16:17], v[6:7], v[24:25]
	v_mul_f64_e32 v[24:25], v[8:9], v[24:25]
	v_add_f64_e32 v[10:11], v[12:13], v[10:11]
	v_add_f64_e32 v[12:13], v[34:35], v[40:41]
	v_fma_f64 v[4:5], v[4:5], v[18:19], v[36:37]
	v_fma_f64 v[1:2], v[2:3], v[18:19], -v[20:21]
	v_fma_f64 v[8:9], v[8:9], v[22:23], v[16:17]
	v_fma_f64 v[6:7], v[6:7], v[22:23], -v[24:25]
	v_add_f64_e32 v[10:11], v[10:11], v[14:15]
	v_add_f64_e32 v[12:13], v[12:13], v[28:29]
	s_delay_alu instid0(VALU_DEP_2) | instskip(NEXT) | instid1(VALU_DEP_2)
	v_add_f64_e32 v[1:2], v[10:11], v[1:2]
	v_add_f64_e32 v[3:4], v[12:13], v[4:5]
	s_delay_alu instid0(VALU_DEP_2) | instskip(NEXT) | instid1(VALU_DEP_2)
	v_add_f64_e32 v[1:2], v[1:2], v[6:7]
	v_add_f64_e32 v[3:4], v[3:4], v[8:9]
	s_wait_loadcnt 0x0
	s_delay_alu instid0(VALU_DEP_2) | instskip(NEXT) | instid1(VALU_DEP_2)
	v_add_f64_e64 v[1:2], v[30:31], -v[1:2]
	v_add_f64_e64 v[3:4], v[32:33], -v[3:4]
	scratch_store_b128 off, v[1:4], off offset:624
	v_cmpx_lt_u32_e32 37, v0
	s_cbranch_execz .LBB108_209
; %bb.208:
	scratch_load_b128 v[1:4], off, s20
	v_mov_b32_e32 v5, 0
	s_delay_alu instid0(VALU_DEP_1)
	v_dual_mov_b32 v6, v5 :: v_dual_mov_b32 v7, v5
	v_mov_b32_e32 v8, v5
	scratch_store_b128 off, v[5:8], off offset:608
	s_wait_loadcnt 0x0
	ds_store_b128 v136, v[1:4]
.LBB108_209:
	s_wait_alu 0xfffe
	s_or_b32 exec_lo, exec_lo, s0
	s_wait_storecnt_dscnt 0x0
	s_barrier_signal -1
	s_barrier_wait -1
	global_inv scope:SCOPE_SE
	s_clause 0x6
	scratch_load_b128 v[2:5], off, off offset:624
	scratch_load_b128 v[6:9], off, off offset:640
	;; [unrolled: 1-line block ×7, first 2 shown]
	v_mov_b32_e32 v1, 0
	scratch_load_b128 v[34:37], off, off offset:608
	s_mov_b32 s0, exec_lo
	ds_load_b128 v[30:33], v1 offset:1328
	ds_load_b128 v[38:41], v1 offset:1344
	s_wait_loadcnt_dscnt 0x701
	v_mul_f64_e32 v[42:43], v[32:33], v[4:5]
	v_mul_f64_e32 v[4:5], v[30:31], v[4:5]
	s_wait_loadcnt_dscnt 0x600
	v_mul_f64_e32 v[44:45], v[38:39], v[8:9]
	v_mul_f64_e32 v[8:9], v[40:41], v[8:9]
	s_delay_alu instid0(VALU_DEP_4) | instskip(NEXT) | instid1(VALU_DEP_4)
	v_fma_f64 v[42:43], v[30:31], v[2:3], -v[42:43]
	v_fma_f64 v[137:138], v[32:33], v[2:3], v[4:5]
	ds_load_b128 v[2:5], v1 offset:1360
	ds_load_b128 v[30:33], v1 offset:1376
	v_fma_f64 v[40:41], v[40:41], v[6:7], v[44:45]
	v_fma_f64 v[6:7], v[38:39], v[6:7], -v[8:9]
	s_wait_loadcnt_dscnt 0x501
	v_mul_f64_e32 v[139:140], v[2:3], v[12:13]
	v_mul_f64_e32 v[12:13], v[4:5], v[12:13]
	v_add_f64_e32 v[8:9], 0, v[42:43]
	v_add_f64_e32 v[38:39], 0, v[137:138]
	s_wait_loadcnt_dscnt 0x400
	v_mul_f64_e32 v[42:43], v[30:31], v[16:17]
	v_mul_f64_e32 v[16:17], v[32:33], v[16:17]
	v_fma_f64 v[44:45], v[4:5], v[10:11], v[139:140]
	v_fma_f64 v[10:11], v[2:3], v[10:11], -v[12:13]
	v_add_f64_e32 v[12:13], v[8:9], v[6:7]
	v_add_f64_e32 v[38:39], v[38:39], v[40:41]
	ds_load_b128 v[2:5], v1 offset:1392
	ds_load_b128 v[6:9], v1 offset:1408
	v_fma_f64 v[32:33], v[32:33], v[14:15], v[42:43]
	v_fma_f64 v[14:15], v[30:31], v[14:15], -v[16:17]
	s_wait_loadcnt_dscnt 0x301
	v_mul_f64_e32 v[40:41], v[2:3], v[20:21]
	v_mul_f64_e32 v[20:21], v[4:5], v[20:21]
	s_wait_loadcnt_dscnt 0x200
	v_mul_f64_e32 v[16:17], v[6:7], v[24:25]
	v_mul_f64_e32 v[24:25], v[8:9], v[24:25]
	v_add_f64_e32 v[10:11], v[12:13], v[10:11]
	v_add_f64_e32 v[12:13], v[38:39], v[44:45]
	v_fma_f64 v[30:31], v[4:5], v[18:19], v[40:41]
	v_fma_f64 v[18:19], v[2:3], v[18:19], -v[20:21]
	ds_load_b128 v[2:5], v1 offset:1424
	v_fma_f64 v[8:9], v[8:9], v[22:23], v[16:17]
	v_fma_f64 v[6:7], v[6:7], v[22:23], -v[24:25]
	v_add_f64_e32 v[10:11], v[10:11], v[14:15]
	v_add_f64_e32 v[12:13], v[12:13], v[32:33]
	s_wait_loadcnt_dscnt 0x100
	v_mul_f64_e32 v[14:15], v[2:3], v[28:29]
	v_mul_f64_e32 v[20:21], v[4:5], v[28:29]
	s_delay_alu instid0(VALU_DEP_4) | instskip(NEXT) | instid1(VALU_DEP_4)
	v_add_f64_e32 v[10:11], v[10:11], v[18:19]
	v_add_f64_e32 v[12:13], v[12:13], v[30:31]
	s_delay_alu instid0(VALU_DEP_4) | instskip(NEXT) | instid1(VALU_DEP_4)
	v_fma_f64 v[4:5], v[4:5], v[26:27], v[14:15]
	v_fma_f64 v[2:3], v[2:3], v[26:27], -v[20:21]
	s_delay_alu instid0(VALU_DEP_4) | instskip(NEXT) | instid1(VALU_DEP_4)
	v_add_f64_e32 v[6:7], v[10:11], v[6:7]
	v_add_f64_e32 v[8:9], v[12:13], v[8:9]
	s_delay_alu instid0(VALU_DEP_2) | instskip(NEXT) | instid1(VALU_DEP_2)
	v_add_f64_e32 v[2:3], v[6:7], v[2:3]
	v_add_f64_e32 v[4:5], v[8:9], v[4:5]
	s_wait_loadcnt 0x0
	s_delay_alu instid0(VALU_DEP_2) | instskip(NEXT) | instid1(VALU_DEP_2)
	v_add_f64_e64 v[2:3], v[34:35], -v[2:3]
	v_add_f64_e64 v[4:5], v[36:37], -v[4:5]
	scratch_store_b128 off, v[2:5], off offset:608
	v_cmpx_lt_u32_e32 36, v0
	s_cbranch_execz .LBB108_211
; %bb.210:
	scratch_load_b128 v[5:8], off, s21
	v_dual_mov_b32 v2, v1 :: v_dual_mov_b32 v3, v1
	v_mov_b32_e32 v4, v1
	scratch_store_b128 off, v[1:4], off offset:592
	s_wait_loadcnt 0x0
	ds_store_b128 v136, v[5:8]
.LBB108_211:
	s_wait_alu 0xfffe
	s_or_b32 exec_lo, exec_lo, s0
	s_wait_storecnt_dscnt 0x0
	s_barrier_signal -1
	s_barrier_wait -1
	global_inv scope:SCOPE_SE
	s_clause 0x7
	scratch_load_b128 v[2:5], off, off offset:608
	scratch_load_b128 v[6:9], off, off offset:624
	;; [unrolled: 1-line block ×8, first 2 shown]
	ds_load_b128 v[34:37], v1 offset:1312
	ds_load_b128 v[38:41], v1 offset:1328
	s_mov_b32 s0, exec_lo
	s_wait_loadcnt_dscnt 0x701
	v_mul_f64_e32 v[42:43], v[36:37], v[4:5]
	v_mul_f64_e32 v[4:5], v[34:35], v[4:5]
	s_wait_loadcnt_dscnt 0x600
	v_mul_f64_e32 v[44:45], v[38:39], v[8:9]
	v_mul_f64_e32 v[8:9], v[40:41], v[8:9]
	s_delay_alu instid0(VALU_DEP_4) | instskip(NEXT) | instid1(VALU_DEP_4)
	v_fma_f64 v[42:43], v[34:35], v[2:3], -v[42:43]
	v_fma_f64 v[137:138], v[36:37], v[2:3], v[4:5]
	ds_load_b128 v[2:5], v1 offset:1344
	scratch_load_b128 v[34:37], off, off offset:592
	v_fma_f64 v[40:41], v[40:41], v[6:7], v[44:45]
	v_fma_f64 v[38:39], v[38:39], v[6:7], -v[8:9]
	ds_load_b128 v[6:9], v1 offset:1360
	s_wait_loadcnt_dscnt 0x601
	v_mul_f64_e32 v[139:140], v[2:3], v[12:13]
	v_mul_f64_e32 v[12:13], v[4:5], v[12:13]
	v_add_f64_e32 v[42:43], 0, v[42:43]
	v_add_f64_e32 v[44:45], 0, v[137:138]
	s_wait_loadcnt_dscnt 0x500
	v_mul_f64_e32 v[137:138], v[6:7], v[16:17]
	v_mul_f64_e32 v[16:17], v[8:9], v[16:17]
	v_fma_f64 v[139:140], v[4:5], v[10:11], v[139:140]
	v_fma_f64 v[10:11], v[2:3], v[10:11], -v[12:13]
	ds_load_b128 v[2:5], v1 offset:1376
	v_add_f64_e32 v[12:13], v[42:43], v[38:39]
	v_add_f64_e32 v[38:39], v[44:45], v[40:41]
	v_fma_f64 v[42:43], v[8:9], v[14:15], v[137:138]
	v_fma_f64 v[14:15], v[6:7], v[14:15], -v[16:17]
	ds_load_b128 v[6:9], v1 offset:1392
	s_wait_loadcnt_dscnt 0x401
	v_mul_f64_e32 v[40:41], v[2:3], v[20:21]
	v_mul_f64_e32 v[20:21], v[4:5], v[20:21]
	s_wait_loadcnt_dscnt 0x300
	v_mul_f64_e32 v[16:17], v[6:7], v[24:25]
	v_mul_f64_e32 v[24:25], v[8:9], v[24:25]
	v_add_f64_e32 v[10:11], v[12:13], v[10:11]
	v_add_f64_e32 v[12:13], v[38:39], v[139:140]
	v_fma_f64 v[38:39], v[4:5], v[18:19], v[40:41]
	v_fma_f64 v[18:19], v[2:3], v[18:19], -v[20:21]
	ds_load_b128 v[2:5], v1 offset:1408
	v_fma_f64 v[16:17], v[8:9], v[22:23], v[16:17]
	v_fma_f64 v[22:23], v[6:7], v[22:23], -v[24:25]
	ds_load_b128 v[6:9], v1 offset:1424
	s_wait_loadcnt_dscnt 0x201
	v_mul_f64_e32 v[20:21], v[4:5], v[28:29]
	v_add_f64_e32 v[10:11], v[10:11], v[14:15]
	v_add_f64_e32 v[12:13], v[12:13], v[42:43]
	v_mul_f64_e32 v[14:15], v[2:3], v[28:29]
	s_wait_loadcnt_dscnt 0x100
	v_mul_f64_e32 v[24:25], v[8:9], v[32:33]
	v_fma_f64 v[1:2], v[2:3], v[26:27], -v[20:21]
	v_add_f64_e32 v[10:11], v[10:11], v[18:19]
	v_add_f64_e32 v[12:13], v[12:13], v[38:39]
	v_mul_f64_e32 v[18:19], v[6:7], v[32:33]
	v_fma_f64 v[4:5], v[4:5], v[26:27], v[14:15]
	v_fma_f64 v[6:7], v[6:7], v[30:31], -v[24:25]
	v_add_f64_e32 v[10:11], v[10:11], v[22:23]
	v_add_f64_e32 v[12:13], v[12:13], v[16:17]
	v_fma_f64 v[8:9], v[8:9], v[30:31], v[18:19]
	s_delay_alu instid0(VALU_DEP_3) | instskip(NEXT) | instid1(VALU_DEP_3)
	v_add_f64_e32 v[1:2], v[10:11], v[1:2]
	v_add_f64_e32 v[3:4], v[12:13], v[4:5]
	s_delay_alu instid0(VALU_DEP_2) | instskip(NEXT) | instid1(VALU_DEP_2)
	v_add_f64_e32 v[1:2], v[1:2], v[6:7]
	v_add_f64_e32 v[3:4], v[3:4], v[8:9]
	s_wait_loadcnt 0x0
	s_delay_alu instid0(VALU_DEP_2) | instskip(NEXT) | instid1(VALU_DEP_2)
	v_add_f64_e64 v[1:2], v[34:35], -v[1:2]
	v_add_f64_e64 v[3:4], v[36:37], -v[3:4]
	scratch_store_b128 off, v[1:4], off offset:592
	v_cmpx_lt_u32_e32 35, v0
	s_cbranch_execz .LBB108_213
; %bb.212:
	scratch_load_b128 v[1:4], off, s22
	v_mov_b32_e32 v5, 0
	s_delay_alu instid0(VALU_DEP_1)
	v_dual_mov_b32 v6, v5 :: v_dual_mov_b32 v7, v5
	v_mov_b32_e32 v8, v5
	scratch_store_b128 off, v[5:8], off offset:576
	s_wait_loadcnt 0x0
	ds_store_b128 v136, v[1:4]
.LBB108_213:
	s_wait_alu 0xfffe
	s_or_b32 exec_lo, exec_lo, s0
	s_wait_storecnt_dscnt 0x0
	s_barrier_signal -1
	s_barrier_wait -1
	global_inv scope:SCOPE_SE
	s_clause 0x7
	scratch_load_b128 v[2:5], off, off offset:592
	scratch_load_b128 v[6:9], off, off offset:608
	;; [unrolled: 1-line block ×8, first 2 shown]
	v_mov_b32_e32 v1, 0
	scratch_load_b128 v[38:41], off, off offset:720
	s_mov_b32 s0, exec_lo
	ds_load_b128 v[34:37], v1 offset:1296
	ds_load_b128 v[42:45], v1 offset:1312
	s_wait_loadcnt_dscnt 0x801
	v_mul_f64_e32 v[137:138], v[36:37], v[4:5]
	v_mul_f64_e32 v[4:5], v[34:35], v[4:5]
	s_wait_loadcnt_dscnt 0x700
	v_mul_f64_e32 v[139:140], v[42:43], v[8:9]
	v_mul_f64_e32 v[8:9], v[44:45], v[8:9]
	s_delay_alu instid0(VALU_DEP_4) | instskip(NEXT) | instid1(VALU_DEP_4)
	v_fma_f64 v[34:35], v[34:35], v[2:3], -v[137:138]
	v_fma_f64 v[36:37], v[36:37], v[2:3], v[4:5]
	ds_load_b128 v[2:5], v1 offset:1328
	v_fma_f64 v[44:45], v[44:45], v[6:7], v[139:140]
	v_fma_f64 v[42:43], v[42:43], v[6:7], -v[8:9]
	ds_load_b128 v[6:9], v1 offset:1344
	s_wait_loadcnt_dscnt 0x601
	v_mul_f64_e32 v[137:138], v[2:3], v[12:13]
	v_mul_f64_e32 v[12:13], v[4:5], v[12:13]
	s_wait_loadcnt_dscnt 0x500
	v_mul_f64_e32 v[143:144], v[6:7], v[16:17]
	v_mul_f64_e32 v[16:17], v[8:9], v[16:17]
	v_add_f64_e32 v[139:140], 0, v[34:35]
	v_add_f64_e32 v[141:142], 0, v[36:37]
	scratch_load_b128 v[34:37], off, off offset:576
	v_fma_f64 v[137:138], v[4:5], v[10:11], v[137:138]
	v_fma_f64 v[10:11], v[2:3], v[10:11], -v[12:13]
	ds_load_b128 v[2:5], v1 offset:1360
	v_add_f64_e32 v[12:13], v[139:140], v[42:43]
	v_add_f64_e32 v[42:43], v[141:142], v[44:45]
	v_fma_f64 v[139:140], v[8:9], v[14:15], v[143:144]
	v_fma_f64 v[14:15], v[6:7], v[14:15], -v[16:17]
	ds_load_b128 v[6:9], v1 offset:1376
	s_wait_loadcnt_dscnt 0x501
	v_mul_f64_e32 v[44:45], v[2:3], v[20:21]
	v_mul_f64_e32 v[20:21], v[4:5], v[20:21]
	s_wait_loadcnt_dscnt 0x400
	v_mul_f64_e32 v[16:17], v[6:7], v[24:25]
	v_mul_f64_e32 v[24:25], v[8:9], v[24:25]
	v_add_f64_e32 v[10:11], v[12:13], v[10:11]
	v_add_f64_e32 v[12:13], v[42:43], v[137:138]
	v_fma_f64 v[42:43], v[4:5], v[18:19], v[44:45]
	v_fma_f64 v[18:19], v[2:3], v[18:19], -v[20:21]
	ds_load_b128 v[2:5], v1 offset:1392
	v_fma_f64 v[16:17], v[8:9], v[22:23], v[16:17]
	v_fma_f64 v[22:23], v[6:7], v[22:23], -v[24:25]
	ds_load_b128 v[6:9], v1 offset:1408
	s_wait_loadcnt_dscnt 0x301
	v_mul_f64_e32 v[20:21], v[4:5], v[28:29]
	v_add_f64_e32 v[10:11], v[10:11], v[14:15]
	v_add_f64_e32 v[12:13], v[12:13], v[139:140]
	v_mul_f64_e32 v[14:15], v[2:3], v[28:29]
	s_wait_loadcnt_dscnt 0x200
	v_mul_f64_e32 v[24:25], v[8:9], v[32:33]
	v_fma_f64 v[20:21], v[2:3], v[26:27], -v[20:21]
	v_add_f64_e32 v[10:11], v[10:11], v[18:19]
	v_add_f64_e32 v[12:13], v[12:13], v[42:43]
	v_mul_f64_e32 v[18:19], v[6:7], v[32:33]
	v_fma_f64 v[14:15], v[4:5], v[26:27], v[14:15]
	ds_load_b128 v[2:5], v1 offset:1424
	v_fma_f64 v[6:7], v[6:7], v[30:31], -v[24:25]
	v_add_f64_e32 v[10:11], v[10:11], v[22:23]
	v_add_f64_e32 v[12:13], v[12:13], v[16:17]
	s_wait_loadcnt_dscnt 0x100
	v_mul_f64_e32 v[16:17], v[2:3], v[40:41]
	v_mul_f64_e32 v[22:23], v[4:5], v[40:41]
	v_fma_f64 v[8:9], v[8:9], v[30:31], v[18:19]
	v_add_f64_e32 v[10:11], v[10:11], v[20:21]
	v_add_f64_e32 v[12:13], v[12:13], v[14:15]
	v_fma_f64 v[4:5], v[4:5], v[38:39], v[16:17]
	v_fma_f64 v[2:3], v[2:3], v[38:39], -v[22:23]
	s_delay_alu instid0(VALU_DEP_4) | instskip(NEXT) | instid1(VALU_DEP_4)
	v_add_f64_e32 v[6:7], v[10:11], v[6:7]
	v_add_f64_e32 v[8:9], v[12:13], v[8:9]
	s_delay_alu instid0(VALU_DEP_2) | instskip(NEXT) | instid1(VALU_DEP_2)
	v_add_f64_e32 v[2:3], v[6:7], v[2:3]
	v_add_f64_e32 v[4:5], v[8:9], v[4:5]
	s_wait_loadcnt 0x0
	s_delay_alu instid0(VALU_DEP_2) | instskip(NEXT) | instid1(VALU_DEP_2)
	v_add_f64_e64 v[2:3], v[34:35], -v[2:3]
	v_add_f64_e64 v[4:5], v[36:37], -v[4:5]
	scratch_store_b128 off, v[2:5], off offset:576
	v_cmpx_lt_u32_e32 34, v0
	s_cbranch_execz .LBB108_215
; %bb.214:
	scratch_load_b128 v[5:8], off, s23
	v_dual_mov_b32 v2, v1 :: v_dual_mov_b32 v3, v1
	v_mov_b32_e32 v4, v1
	scratch_store_b128 off, v[1:4], off offset:560
	s_wait_loadcnt 0x0
	ds_store_b128 v136, v[5:8]
.LBB108_215:
	s_wait_alu 0xfffe
	s_or_b32 exec_lo, exec_lo, s0
	s_wait_storecnt_dscnt 0x0
	s_barrier_signal -1
	s_barrier_wait -1
	global_inv scope:SCOPE_SE
	s_clause 0x8
	scratch_load_b128 v[2:5], off, off offset:576
	scratch_load_b128 v[6:9], off, off offset:592
	;; [unrolled: 1-line block ×9, first 2 shown]
	ds_load_b128 v[38:41], v1 offset:1280
	ds_load_b128 v[42:45], v1 offset:1296
	s_clause 0x1
	scratch_load_b128 v[137:140], off, off offset:560
	scratch_load_b128 v[141:144], off, off offset:720
	s_mov_b32 s0, exec_lo
	s_wait_loadcnt_dscnt 0xa01
	v_mul_f64_e32 v[145:146], v[40:41], v[4:5]
	v_mul_f64_e32 v[4:5], v[38:39], v[4:5]
	s_wait_loadcnt_dscnt 0x900
	v_mul_f64_e32 v[147:148], v[42:43], v[8:9]
	v_mul_f64_e32 v[8:9], v[44:45], v[8:9]
	s_delay_alu instid0(VALU_DEP_4) | instskip(NEXT) | instid1(VALU_DEP_4)
	v_fma_f64 v[145:146], v[38:39], v[2:3], -v[145:146]
	v_fma_f64 v[149:150], v[40:41], v[2:3], v[4:5]
	ds_load_b128 v[2:5], v1 offset:1312
	ds_load_b128 v[38:41], v1 offset:1328
	v_fma_f64 v[44:45], v[44:45], v[6:7], v[147:148]
	v_fma_f64 v[6:7], v[42:43], v[6:7], -v[8:9]
	s_wait_loadcnt_dscnt 0x801
	v_mul_f64_e32 v[151:152], v[2:3], v[12:13]
	v_mul_f64_e32 v[12:13], v[4:5], v[12:13]
	v_add_f64_e32 v[8:9], 0, v[145:146]
	v_add_f64_e32 v[42:43], 0, v[149:150]
	s_wait_loadcnt_dscnt 0x700
	v_mul_f64_e32 v[145:146], v[38:39], v[16:17]
	v_mul_f64_e32 v[16:17], v[40:41], v[16:17]
	v_fma_f64 v[147:148], v[4:5], v[10:11], v[151:152]
	v_fma_f64 v[10:11], v[2:3], v[10:11], -v[12:13]
	v_add_f64_e32 v[12:13], v[8:9], v[6:7]
	v_add_f64_e32 v[42:43], v[42:43], v[44:45]
	ds_load_b128 v[2:5], v1 offset:1344
	ds_load_b128 v[6:9], v1 offset:1360
	v_fma_f64 v[40:41], v[40:41], v[14:15], v[145:146]
	v_fma_f64 v[14:15], v[38:39], v[14:15], -v[16:17]
	s_wait_loadcnt_dscnt 0x601
	v_mul_f64_e32 v[44:45], v[2:3], v[20:21]
	v_mul_f64_e32 v[20:21], v[4:5], v[20:21]
	s_wait_loadcnt_dscnt 0x500
	v_mul_f64_e32 v[16:17], v[6:7], v[24:25]
	v_mul_f64_e32 v[24:25], v[8:9], v[24:25]
	v_add_f64_e32 v[10:11], v[12:13], v[10:11]
	v_add_f64_e32 v[12:13], v[42:43], v[147:148]
	v_fma_f64 v[38:39], v[4:5], v[18:19], v[44:45]
	v_fma_f64 v[18:19], v[2:3], v[18:19], -v[20:21]
	v_fma_f64 v[8:9], v[8:9], v[22:23], v[16:17]
	v_fma_f64 v[6:7], v[6:7], v[22:23], -v[24:25]
	v_add_f64_e32 v[14:15], v[10:11], v[14:15]
	v_add_f64_e32 v[20:21], v[12:13], v[40:41]
	ds_load_b128 v[2:5], v1 offset:1376
	ds_load_b128 v[10:13], v1 offset:1392
	s_wait_loadcnt_dscnt 0x401
	v_mul_f64_e32 v[40:41], v[2:3], v[28:29]
	v_mul_f64_e32 v[28:29], v[4:5], v[28:29]
	v_add_f64_e32 v[14:15], v[14:15], v[18:19]
	v_add_f64_e32 v[16:17], v[20:21], v[38:39]
	s_wait_loadcnt_dscnt 0x300
	v_mul_f64_e32 v[18:19], v[10:11], v[32:33]
	v_mul_f64_e32 v[20:21], v[12:13], v[32:33]
	v_fma_f64 v[22:23], v[4:5], v[26:27], v[40:41]
	v_fma_f64 v[24:25], v[2:3], v[26:27], -v[28:29]
	v_add_f64_e32 v[14:15], v[14:15], v[6:7]
	v_add_f64_e32 v[16:17], v[16:17], v[8:9]
	ds_load_b128 v[2:5], v1 offset:1408
	ds_load_b128 v[6:9], v1 offset:1424
	v_fma_f64 v[12:13], v[12:13], v[30:31], v[18:19]
	v_fma_f64 v[10:11], v[10:11], v[30:31], -v[20:21]
	s_wait_loadcnt_dscnt 0x201
	v_mul_f64_e32 v[26:27], v[2:3], v[36:37]
	v_mul_f64_e32 v[28:29], v[4:5], v[36:37]
	s_wait_loadcnt_dscnt 0x0
	v_mul_f64_e32 v[18:19], v[6:7], v[143:144]
	v_mul_f64_e32 v[20:21], v[8:9], v[143:144]
	v_add_f64_e32 v[14:15], v[14:15], v[24:25]
	v_add_f64_e32 v[16:17], v[16:17], v[22:23]
	v_fma_f64 v[4:5], v[4:5], v[34:35], v[26:27]
	v_fma_f64 v[1:2], v[2:3], v[34:35], -v[28:29]
	v_fma_f64 v[8:9], v[8:9], v[141:142], v[18:19]
	v_fma_f64 v[6:7], v[6:7], v[141:142], -v[20:21]
	v_add_f64_e32 v[10:11], v[14:15], v[10:11]
	v_add_f64_e32 v[12:13], v[16:17], v[12:13]
	s_delay_alu instid0(VALU_DEP_2) | instskip(NEXT) | instid1(VALU_DEP_2)
	v_add_f64_e32 v[1:2], v[10:11], v[1:2]
	v_add_f64_e32 v[3:4], v[12:13], v[4:5]
	s_delay_alu instid0(VALU_DEP_2) | instskip(NEXT) | instid1(VALU_DEP_2)
	;; [unrolled: 3-line block ×3, first 2 shown]
	v_add_f64_e64 v[1:2], v[137:138], -v[1:2]
	v_add_f64_e64 v[3:4], v[139:140], -v[3:4]
	scratch_store_b128 off, v[1:4], off offset:560
	v_cmpx_lt_u32_e32 33, v0
	s_cbranch_execz .LBB108_217
; %bb.216:
	scratch_load_b128 v[1:4], off, s24
	v_mov_b32_e32 v5, 0
	s_delay_alu instid0(VALU_DEP_1)
	v_dual_mov_b32 v6, v5 :: v_dual_mov_b32 v7, v5
	v_mov_b32_e32 v8, v5
	scratch_store_b128 off, v[5:8], off offset:544
	s_wait_loadcnt 0x0
	ds_store_b128 v136, v[1:4]
.LBB108_217:
	s_wait_alu 0xfffe
	s_or_b32 exec_lo, exec_lo, s0
	s_wait_storecnt_dscnt 0x0
	s_barrier_signal -1
	s_barrier_wait -1
	global_inv scope:SCOPE_SE
	s_clause 0x7
	scratch_load_b128 v[2:5], off, off offset:560
	scratch_load_b128 v[6:9], off, off offset:576
	;; [unrolled: 1-line block ×8, first 2 shown]
	v_mov_b32_e32 v1, 0
	s_mov_b32 s0, exec_lo
	ds_load_b128 v[34:37], v1 offset:1264
	s_clause 0x1
	scratch_load_b128 v[38:41], off, off offset:688
	scratch_load_b128 v[42:45], off, off offset:544
	ds_load_b128 v[137:140], v1 offset:1280
	scratch_load_b128 v[141:144], off, off offset:704
	s_wait_loadcnt_dscnt 0xa01
	v_mul_f64_e32 v[145:146], v[36:37], v[4:5]
	v_mul_f64_e32 v[4:5], v[34:35], v[4:5]
	s_delay_alu instid0(VALU_DEP_2) | instskip(NEXT) | instid1(VALU_DEP_2)
	v_fma_f64 v[151:152], v[34:35], v[2:3], -v[145:146]
	v_fma_f64 v[153:154], v[36:37], v[2:3], v[4:5]
	ds_load_b128 v[2:5], v1 offset:1296
	s_wait_loadcnt_dscnt 0x901
	v_mul_f64_e32 v[149:150], v[137:138], v[8:9]
	v_mul_f64_e32 v[8:9], v[139:140], v[8:9]
	scratch_load_b128 v[34:37], off, off offset:720
	ds_load_b128 v[145:148], v1 offset:1312
	s_wait_loadcnt_dscnt 0x901
	v_mul_f64_e32 v[155:156], v[2:3], v[12:13]
	v_mul_f64_e32 v[12:13], v[4:5], v[12:13]
	v_fma_f64 v[139:140], v[139:140], v[6:7], v[149:150]
	v_fma_f64 v[6:7], v[137:138], v[6:7], -v[8:9]
	v_add_f64_e32 v[8:9], 0, v[151:152]
	v_add_f64_e32 v[137:138], 0, v[153:154]
	s_wait_loadcnt_dscnt 0x800
	v_mul_f64_e32 v[149:150], v[145:146], v[16:17]
	v_mul_f64_e32 v[16:17], v[147:148], v[16:17]
	v_fma_f64 v[151:152], v[4:5], v[10:11], v[155:156]
	v_fma_f64 v[10:11], v[2:3], v[10:11], -v[12:13]
	v_add_f64_e32 v[12:13], v[8:9], v[6:7]
	v_add_f64_e32 v[137:138], v[137:138], v[139:140]
	ds_load_b128 v[2:5], v1 offset:1328
	ds_load_b128 v[6:9], v1 offset:1344
	v_fma_f64 v[147:148], v[147:148], v[14:15], v[149:150]
	v_fma_f64 v[14:15], v[145:146], v[14:15], -v[16:17]
	s_wait_loadcnt_dscnt 0x701
	v_mul_f64_e32 v[139:140], v[2:3], v[20:21]
	v_mul_f64_e32 v[20:21], v[4:5], v[20:21]
	s_wait_loadcnt_dscnt 0x600
	v_mul_f64_e32 v[16:17], v[6:7], v[24:25]
	v_mul_f64_e32 v[24:25], v[8:9], v[24:25]
	v_add_f64_e32 v[10:11], v[12:13], v[10:11]
	v_add_f64_e32 v[12:13], v[137:138], v[151:152]
	v_fma_f64 v[137:138], v[4:5], v[18:19], v[139:140]
	v_fma_f64 v[18:19], v[2:3], v[18:19], -v[20:21]
	v_fma_f64 v[8:9], v[8:9], v[22:23], v[16:17]
	v_fma_f64 v[6:7], v[6:7], v[22:23], -v[24:25]
	v_add_f64_e32 v[14:15], v[10:11], v[14:15]
	v_add_f64_e32 v[20:21], v[12:13], v[147:148]
	ds_load_b128 v[2:5], v1 offset:1360
	ds_load_b128 v[10:13], v1 offset:1376
	s_wait_loadcnt_dscnt 0x501
	v_mul_f64_e32 v[139:140], v[2:3], v[28:29]
	v_mul_f64_e32 v[28:29], v[4:5], v[28:29]
	v_add_f64_e32 v[14:15], v[14:15], v[18:19]
	v_add_f64_e32 v[16:17], v[20:21], v[137:138]
	s_wait_loadcnt_dscnt 0x400
	v_mul_f64_e32 v[18:19], v[10:11], v[32:33]
	v_mul_f64_e32 v[20:21], v[12:13], v[32:33]
	v_fma_f64 v[22:23], v[4:5], v[26:27], v[139:140]
	v_fma_f64 v[24:25], v[2:3], v[26:27], -v[28:29]
	v_add_f64_e32 v[14:15], v[14:15], v[6:7]
	v_add_f64_e32 v[16:17], v[16:17], v[8:9]
	ds_load_b128 v[2:5], v1 offset:1392
	ds_load_b128 v[6:9], v1 offset:1408
	v_fma_f64 v[12:13], v[12:13], v[30:31], v[18:19]
	v_fma_f64 v[10:11], v[10:11], v[30:31], -v[20:21]
	s_wait_loadcnt_dscnt 0x301
	v_mul_f64_e32 v[26:27], v[2:3], v[40:41]
	v_mul_f64_e32 v[28:29], v[4:5], v[40:41]
	s_wait_loadcnt_dscnt 0x100
	v_mul_f64_e32 v[18:19], v[6:7], v[143:144]
	v_mul_f64_e32 v[20:21], v[8:9], v[143:144]
	v_add_f64_e32 v[14:15], v[14:15], v[24:25]
	v_add_f64_e32 v[16:17], v[16:17], v[22:23]
	v_fma_f64 v[22:23], v[4:5], v[38:39], v[26:27]
	v_fma_f64 v[24:25], v[2:3], v[38:39], -v[28:29]
	ds_load_b128 v[2:5], v1 offset:1424
	v_fma_f64 v[8:9], v[8:9], v[141:142], v[18:19]
	v_fma_f64 v[6:7], v[6:7], v[141:142], -v[20:21]
	v_add_f64_e32 v[10:11], v[14:15], v[10:11]
	v_add_f64_e32 v[12:13], v[16:17], v[12:13]
	s_wait_loadcnt_dscnt 0x0
	v_mul_f64_e32 v[14:15], v[2:3], v[36:37]
	v_mul_f64_e32 v[16:17], v[4:5], v[36:37]
	s_delay_alu instid0(VALU_DEP_4) | instskip(NEXT) | instid1(VALU_DEP_4)
	v_add_f64_e32 v[10:11], v[10:11], v[24:25]
	v_add_f64_e32 v[12:13], v[12:13], v[22:23]
	s_delay_alu instid0(VALU_DEP_4) | instskip(NEXT) | instid1(VALU_DEP_4)
	v_fma_f64 v[4:5], v[4:5], v[34:35], v[14:15]
	v_fma_f64 v[2:3], v[2:3], v[34:35], -v[16:17]
	s_delay_alu instid0(VALU_DEP_4) | instskip(NEXT) | instid1(VALU_DEP_4)
	v_add_f64_e32 v[6:7], v[10:11], v[6:7]
	v_add_f64_e32 v[8:9], v[12:13], v[8:9]
	s_delay_alu instid0(VALU_DEP_2) | instskip(NEXT) | instid1(VALU_DEP_2)
	v_add_f64_e32 v[2:3], v[6:7], v[2:3]
	v_add_f64_e32 v[4:5], v[8:9], v[4:5]
	s_delay_alu instid0(VALU_DEP_2) | instskip(NEXT) | instid1(VALU_DEP_2)
	v_add_f64_e64 v[2:3], v[42:43], -v[2:3]
	v_add_f64_e64 v[4:5], v[44:45], -v[4:5]
	scratch_store_b128 off, v[2:5], off offset:544
	v_cmpx_lt_u32_e32 32, v0
	s_cbranch_execz .LBB108_219
; %bb.218:
	scratch_load_b128 v[5:8], off, s25
	v_dual_mov_b32 v2, v1 :: v_dual_mov_b32 v3, v1
	v_mov_b32_e32 v4, v1
	scratch_store_b128 off, v[1:4], off offset:528
	s_wait_loadcnt 0x0
	ds_store_b128 v136, v[5:8]
.LBB108_219:
	s_wait_alu 0xfffe
	s_or_b32 exec_lo, exec_lo, s0
	s_wait_storecnt_dscnt 0x0
	s_barrier_signal -1
	s_barrier_wait -1
	global_inv scope:SCOPE_SE
	s_clause 0x8
	scratch_load_b128 v[2:5], off, off offset:544
	scratch_load_b128 v[6:9], off, off offset:560
	;; [unrolled: 1-line block ×9, first 2 shown]
	ds_load_b128 v[38:41], v1 offset:1248
	ds_load_b128 v[42:45], v1 offset:1264
	s_clause 0x1
	scratch_load_b128 v[137:140], off, off offset:528
	scratch_load_b128 v[141:144], off, off offset:688
	s_mov_b32 s0, exec_lo
	s_wait_loadcnt_dscnt 0xa01
	v_mul_f64_e32 v[145:146], v[40:41], v[4:5]
	v_mul_f64_e32 v[4:5], v[38:39], v[4:5]
	s_wait_loadcnt_dscnt 0x900
	v_mul_f64_e32 v[149:150], v[42:43], v[8:9]
	v_mul_f64_e32 v[8:9], v[44:45], v[8:9]
	s_delay_alu instid0(VALU_DEP_4) | instskip(NEXT) | instid1(VALU_DEP_4)
	v_fma_f64 v[151:152], v[38:39], v[2:3], -v[145:146]
	v_fma_f64 v[153:154], v[40:41], v[2:3], v[4:5]
	ds_load_b128 v[2:5], v1 offset:1280
	ds_load_b128 v[145:148], v1 offset:1296
	scratch_load_b128 v[38:41], off, off offset:704
	v_fma_f64 v[44:45], v[44:45], v[6:7], v[149:150]
	v_fma_f64 v[42:43], v[42:43], v[6:7], -v[8:9]
	scratch_load_b128 v[6:9], off, off offset:720
	s_wait_loadcnt_dscnt 0xa01
	v_mul_f64_e32 v[155:156], v[2:3], v[12:13]
	v_mul_f64_e32 v[12:13], v[4:5], v[12:13]
	v_add_f64_e32 v[149:150], 0, v[151:152]
	v_add_f64_e32 v[151:152], 0, v[153:154]
	s_wait_loadcnt_dscnt 0x900
	v_mul_f64_e32 v[153:154], v[145:146], v[16:17]
	v_mul_f64_e32 v[16:17], v[147:148], v[16:17]
	v_fma_f64 v[155:156], v[4:5], v[10:11], v[155:156]
	v_fma_f64 v[157:158], v[2:3], v[10:11], -v[12:13]
	ds_load_b128 v[2:5], v1 offset:1312
	ds_load_b128 v[10:13], v1 offset:1328
	v_add_f64_e32 v[42:43], v[149:150], v[42:43]
	v_add_f64_e32 v[44:45], v[151:152], v[44:45]
	v_fma_f64 v[147:148], v[147:148], v[14:15], v[153:154]
	v_fma_f64 v[14:15], v[145:146], v[14:15], -v[16:17]
	s_wait_loadcnt_dscnt 0x801
	v_mul_f64_e32 v[149:150], v[2:3], v[20:21]
	v_mul_f64_e32 v[20:21], v[4:5], v[20:21]
	v_add_f64_e32 v[16:17], v[42:43], v[157:158]
	v_add_f64_e32 v[42:43], v[44:45], v[155:156]
	s_wait_loadcnt_dscnt 0x700
	v_mul_f64_e32 v[44:45], v[10:11], v[24:25]
	v_mul_f64_e32 v[24:25], v[12:13], v[24:25]
	v_fma_f64 v[145:146], v[4:5], v[18:19], v[149:150]
	v_fma_f64 v[18:19], v[2:3], v[18:19], -v[20:21]
	v_add_f64_e32 v[20:21], v[16:17], v[14:15]
	v_add_f64_e32 v[42:43], v[42:43], v[147:148]
	ds_load_b128 v[2:5], v1 offset:1344
	ds_load_b128 v[14:17], v1 offset:1360
	v_fma_f64 v[12:13], v[12:13], v[22:23], v[44:45]
	v_fma_f64 v[10:11], v[10:11], v[22:23], -v[24:25]
	s_wait_loadcnt_dscnt 0x601
	v_mul_f64_e32 v[147:148], v[2:3], v[28:29]
	v_mul_f64_e32 v[28:29], v[4:5], v[28:29]
	s_wait_loadcnt_dscnt 0x500
	v_mul_f64_e32 v[22:23], v[14:15], v[32:33]
	v_mul_f64_e32 v[24:25], v[16:17], v[32:33]
	v_add_f64_e32 v[18:19], v[20:21], v[18:19]
	v_add_f64_e32 v[20:21], v[42:43], v[145:146]
	v_fma_f64 v[32:33], v[4:5], v[26:27], v[147:148]
	v_fma_f64 v[26:27], v[2:3], v[26:27], -v[28:29]
	v_fma_f64 v[16:17], v[16:17], v[30:31], v[22:23]
	v_fma_f64 v[14:15], v[14:15], v[30:31], -v[24:25]
	v_add_f64_e32 v[18:19], v[18:19], v[10:11]
	v_add_f64_e32 v[20:21], v[20:21], v[12:13]
	ds_load_b128 v[2:5], v1 offset:1376
	ds_load_b128 v[10:13], v1 offset:1392
	s_wait_loadcnt_dscnt 0x401
	v_mul_f64_e32 v[28:29], v[2:3], v[36:37]
	v_mul_f64_e32 v[36:37], v[4:5], v[36:37]
	s_wait_loadcnt_dscnt 0x200
	v_mul_f64_e32 v[22:23], v[10:11], v[143:144]
	v_mul_f64_e32 v[24:25], v[12:13], v[143:144]
	v_add_f64_e32 v[18:19], v[18:19], v[26:27]
	v_add_f64_e32 v[20:21], v[20:21], v[32:33]
	v_fma_f64 v[26:27], v[4:5], v[34:35], v[28:29]
	v_fma_f64 v[28:29], v[2:3], v[34:35], -v[36:37]
	v_fma_f64 v[12:13], v[12:13], v[141:142], v[22:23]
	v_fma_f64 v[10:11], v[10:11], v[141:142], -v[24:25]
	v_add_f64_e32 v[18:19], v[18:19], v[14:15]
	v_add_f64_e32 v[20:21], v[20:21], v[16:17]
	ds_load_b128 v[2:5], v1 offset:1408
	ds_load_b128 v[14:17], v1 offset:1424
	s_wait_loadcnt_dscnt 0x101
	v_mul_f64_e32 v[30:31], v[2:3], v[40:41]
	v_mul_f64_e32 v[32:33], v[4:5], v[40:41]
	s_wait_loadcnt_dscnt 0x0
	v_mul_f64_e32 v[22:23], v[14:15], v[8:9]
	v_mul_f64_e32 v[8:9], v[16:17], v[8:9]
	v_add_f64_e32 v[18:19], v[18:19], v[28:29]
	v_add_f64_e32 v[20:21], v[20:21], v[26:27]
	v_fma_f64 v[4:5], v[4:5], v[38:39], v[30:31]
	v_fma_f64 v[1:2], v[2:3], v[38:39], -v[32:33]
	v_fma_f64 v[16:17], v[16:17], v[6:7], v[22:23]
	v_fma_f64 v[6:7], v[14:15], v[6:7], -v[8:9]
	v_add_f64_e32 v[10:11], v[18:19], v[10:11]
	v_add_f64_e32 v[12:13], v[20:21], v[12:13]
	s_delay_alu instid0(VALU_DEP_2) | instskip(NEXT) | instid1(VALU_DEP_2)
	v_add_f64_e32 v[1:2], v[10:11], v[1:2]
	v_add_f64_e32 v[3:4], v[12:13], v[4:5]
	s_delay_alu instid0(VALU_DEP_2) | instskip(NEXT) | instid1(VALU_DEP_2)
	;; [unrolled: 3-line block ×3, first 2 shown]
	v_add_f64_e64 v[1:2], v[137:138], -v[1:2]
	v_add_f64_e64 v[3:4], v[139:140], -v[3:4]
	scratch_store_b128 off, v[1:4], off offset:528
	v_cmpx_lt_u32_e32 31, v0
	s_cbranch_execz .LBB108_221
; %bb.220:
	scratch_load_b128 v[1:4], off, s26
	v_mov_b32_e32 v5, 0
	s_delay_alu instid0(VALU_DEP_1)
	v_dual_mov_b32 v6, v5 :: v_dual_mov_b32 v7, v5
	v_mov_b32_e32 v8, v5
	scratch_store_b128 off, v[5:8], off offset:512
	s_wait_loadcnt 0x0
	ds_store_b128 v136, v[1:4]
.LBB108_221:
	s_wait_alu 0xfffe
	s_or_b32 exec_lo, exec_lo, s0
	s_wait_storecnt_dscnt 0x0
	s_barrier_signal -1
	s_barrier_wait -1
	global_inv scope:SCOPE_SE
	s_clause 0x7
	scratch_load_b128 v[2:5], off, off offset:528
	scratch_load_b128 v[6:9], off, off offset:544
	;; [unrolled: 1-line block ×8, first 2 shown]
	v_mov_b32_e32 v1, 0
	s_mov_b32 s0, exec_lo
	ds_load_b128 v[34:37], v1 offset:1232
	s_clause 0x1
	scratch_load_b128 v[38:41], off, off offset:656
	scratch_load_b128 v[42:45], off, off offset:512
	ds_load_b128 v[137:140], v1 offset:1248
	scratch_load_b128 v[141:144], off, off offset:672
	s_wait_loadcnt_dscnt 0xa01
	v_mul_f64_e32 v[145:146], v[36:37], v[4:5]
	v_mul_f64_e32 v[4:5], v[34:35], v[4:5]
	s_delay_alu instid0(VALU_DEP_2) | instskip(NEXT) | instid1(VALU_DEP_2)
	v_fma_f64 v[151:152], v[34:35], v[2:3], -v[145:146]
	v_fma_f64 v[153:154], v[36:37], v[2:3], v[4:5]
	ds_load_b128 v[2:5], v1 offset:1264
	s_wait_loadcnt_dscnt 0x901
	v_mul_f64_e32 v[149:150], v[137:138], v[8:9]
	v_mul_f64_e32 v[8:9], v[139:140], v[8:9]
	scratch_load_b128 v[34:37], off, off offset:688
	ds_load_b128 v[145:148], v1 offset:1280
	s_wait_loadcnt_dscnt 0x901
	v_mul_f64_e32 v[155:156], v[2:3], v[12:13]
	v_mul_f64_e32 v[12:13], v[4:5], v[12:13]
	v_fma_f64 v[139:140], v[139:140], v[6:7], v[149:150]
	v_fma_f64 v[137:138], v[137:138], v[6:7], -v[8:9]
	v_add_f64_e32 v[149:150], 0, v[151:152]
	v_add_f64_e32 v[151:152], 0, v[153:154]
	scratch_load_b128 v[6:9], off, off offset:704
	v_fma_f64 v[155:156], v[4:5], v[10:11], v[155:156]
	v_fma_f64 v[157:158], v[2:3], v[10:11], -v[12:13]
	ds_load_b128 v[2:5], v1 offset:1296
	s_wait_loadcnt_dscnt 0x901
	v_mul_f64_e32 v[153:154], v[145:146], v[16:17]
	v_mul_f64_e32 v[16:17], v[147:148], v[16:17]
	scratch_load_b128 v[10:13], off, off offset:720
	v_add_f64_e32 v[149:150], v[149:150], v[137:138]
	v_add_f64_e32 v[151:152], v[151:152], v[139:140]
	s_wait_loadcnt_dscnt 0x900
	v_mul_f64_e32 v[159:160], v[2:3], v[20:21]
	v_mul_f64_e32 v[20:21], v[4:5], v[20:21]
	ds_load_b128 v[137:140], v1 offset:1312
	v_fma_f64 v[147:148], v[147:148], v[14:15], v[153:154]
	v_fma_f64 v[14:15], v[145:146], v[14:15], -v[16:17]
	v_add_f64_e32 v[16:17], v[149:150], v[157:158]
	v_add_f64_e32 v[145:146], v[151:152], v[155:156]
	s_wait_loadcnt_dscnt 0x800
	v_mul_f64_e32 v[149:150], v[137:138], v[24:25]
	v_mul_f64_e32 v[24:25], v[139:140], v[24:25]
	v_fma_f64 v[151:152], v[4:5], v[18:19], v[159:160]
	v_fma_f64 v[18:19], v[2:3], v[18:19], -v[20:21]
	v_add_f64_e32 v[20:21], v[16:17], v[14:15]
	v_add_f64_e32 v[145:146], v[145:146], v[147:148]
	ds_load_b128 v[2:5], v1 offset:1328
	ds_load_b128 v[14:17], v1 offset:1344
	v_fma_f64 v[139:140], v[139:140], v[22:23], v[149:150]
	v_fma_f64 v[22:23], v[137:138], v[22:23], -v[24:25]
	s_wait_loadcnt_dscnt 0x701
	v_mul_f64_e32 v[147:148], v[2:3], v[28:29]
	v_mul_f64_e32 v[28:29], v[4:5], v[28:29]
	s_wait_loadcnt_dscnt 0x600
	v_mul_f64_e32 v[24:25], v[14:15], v[32:33]
	v_mul_f64_e32 v[32:33], v[16:17], v[32:33]
	v_add_f64_e32 v[18:19], v[20:21], v[18:19]
	v_add_f64_e32 v[20:21], v[145:146], v[151:152]
	v_fma_f64 v[137:138], v[4:5], v[26:27], v[147:148]
	v_fma_f64 v[26:27], v[2:3], v[26:27], -v[28:29]
	v_fma_f64 v[16:17], v[16:17], v[30:31], v[24:25]
	v_fma_f64 v[14:15], v[14:15], v[30:31], -v[32:33]
	v_add_f64_e32 v[22:23], v[18:19], v[22:23]
	v_add_f64_e32 v[28:29], v[20:21], v[139:140]
	ds_load_b128 v[2:5], v1 offset:1360
	ds_load_b128 v[18:21], v1 offset:1376
	s_wait_loadcnt_dscnt 0x501
	v_mul_f64_e32 v[139:140], v[2:3], v[40:41]
	v_mul_f64_e32 v[40:41], v[4:5], v[40:41]
	v_add_f64_e32 v[22:23], v[22:23], v[26:27]
	v_add_f64_e32 v[24:25], v[28:29], v[137:138]
	s_wait_loadcnt_dscnt 0x300
	v_mul_f64_e32 v[26:27], v[18:19], v[143:144]
	v_mul_f64_e32 v[28:29], v[20:21], v[143:144]
	v_fma_f64 v[30:31], v[4:5], v[38:39], v[139:140]
	v_fma_f64 v[32:33], v[2:3], v[38:39], -v[40:41]
	v_add_f64_e32 v[22:23], v[22:23], v[14:15]
	v_add_f64_e32 v[24:25], v[24:25], v[16:17]
	ds_load_b128 v[2:5], v1 offset:1392
	ds_load_b128 v[14:17], v1 offset:1408
	v_fma_f64 v[20:21], v[20:21], v[141:142], v[26:27]
	v_fma_f64 v[18:19], v[18:19], v[141:142], -v[28:29]
	s_wait_loadcnt_dscnt 0x201
	v_mul_f64_e32 v[38:39], v[2:3], v[36:37]
	v_mul_f64_e32 v[36:37], v[4:5], v[36:37]
	v_add_f64_e32 v[22:23], v[22:23], v[32:33]
	v_add_f64_e32 v[24:25], v[24:25], v[30:31]
	s_wait_loadcnt_dscnt 0x100
	v_mul_f64_e32 v[26:27], v[14:15], v[8:9]
	v_mul_f64_e32 v[8:9], v[16:17], v[8:9]
	v_fma_f64 v[28:29], v[4:5], v[34:35], v[38:39]
	v_fma_f64 v[30:31], v[2:3], v[34:35], -v[36:37]
	ds_load_b128 v[2:5], v1 offset:1424
	v_add_f64_e32 v[18:19], v[22:23], v[18:19]
	v_add_f64_e32 v[20:21], v[24:25], v[20:21]
	s_wait_loadcnt_dscnt 0x0
	v_mul_f64_e32 v[22:23], v[2:3], v[12:13]
	v_mul_f64_e32 v[12:13], v[4:5], v[12:13]
	v_fma_f64 v[16:17], v[16:17], v[6:7], v[26:27]
	v_fma_f64 v[6:7], v[14:15], v[6:7], -v[8:9]
	v_add_f64_e32 v[8:9], v[18:19], v[30:31]
	v_add_f64_e32 v[14:15], v[20:21], v[28:29]
	v_fma_f64 v[4:5], v[4:5], v[10:11], v[22:23]
	v_fma_f64 v[2:3], v[2:3], v[10:11], -v[12:13]
	s_delay_alu instid0(VALU_DEP_4) | instskip(NEXT) | instid1(VALU_DEP_4)
	v_add_f64_e32 v[6:7], v[8:9], v[6:7]
	v_add_f64_e32 v[8:9], v[14:15], v[16:17]
	s_delay_alu instid0(VALU_DEP_2) | instskip(NEXT) | instid1(VALU_DEP_2)
	v_add_f64_e32 v[2:3], v[6:7], v[2:3]
	v_add_f64_e32 v[4:5], v[8:9], v[4:5]
	s_delay_alu instid0(VALU_DEP_2) | instskip(NEXT) | instid1(VALU_DEP_2)
	v_add_f64_e64 v[2:3], v[42:43], -v[2:3]
	v_add_f64_e64 v[4:5], v[44:45], -v[4:5]
	scratch_store_b128 off, v[2:5], off offset:512
	v_cmpx_lt_u32_e32 30, v0
	s_cbranch_execz .LBB108_223
; %bb.222:
	scratch_load_b128 v[5:8], off, s27
	v_dual_mov_b32 v2, v1 :: v_dual_mov_b32 v3, v1
	v_mov_b32_e32 v4, v1
	scratch_store_b128 off, v[1:4], off offset:496
	s_wait_loadcnt 0x0
	ds_store_b128 v136, v[5:8]
.LBB108_223:
	s_wait_alu 0xfffe
	s_or_b32 exec_lo, exec_lo, s0
	s_wait_storecnt_dscnt 0x0
	s_barrier_signal -1
	s_barrier_wait -1
	global_inv scope:SCOPE_SE
	s_clause 0x8
	scratch_load_b128 v[2:5], off, off offset:512
	scratch_load_b128 v[6:9], off, off offset:528
	;; [unrolled: 1-line block ×9, first 2 shown]
	ds_load_b128 v[38:41], v1 offset:1216
	ds_load_b128 v[42:45], v1 offset:1232
	s_clause 0x1
	scratch_load_b128 v[137:140], off, off offset:496
	scratch_load_b128 v[141:144], off, off offset:656
	s_mov_b32 s0, exec_lo
	s_wait_loadcnt_dscnt 0xa01
	v_mul_f64_e32 v[145:146], v[40:41], v[4:5]
	v_mul_f64_e32 v[4:5], v[38:39], v[4:5]
	s_wait_loadcnt_dscnt 0x900
	v_mul_f64_e32 v[149:150], v[42:43], v[8:9]
	v_mul_f64_e32 v[8:9], v[44:45], v[8:9]
	s_delay_alu instid0(VALU_DEP_4) | instskip(NEXT) | instid1(VALU_DEP_4)
	v_fma_f64 v[151:152], v[38:39], v[2:3], -v[145:146]
	v_fma_f64 v[153:154], v[40:41], v[2:3], v[4:5]
	ds_load_b128 v[2:5], v1 offset:1248
	ds_load_b128 v[145:148], v1 offset:1264
	scratch_load_b128 v[38:41], off, off offset:672
	v_fma_f64 v[44:45], v[44:45], v[6:7], v[149:150]
	v_fma_f64 v[42:43], v[42:43], v[6:7], -v[8:9]
	scratch_load_b128 v[6:9], off, off offset:688
	s_wait_loadcnt_dscnt 0xa01
	v_mul_f64_e32 v[155:156], v[2:3], v[12:13]
	v_mul_f64_e32 v[12:13], v[4:5], v[12:13]
	v_add_f64_e32 v[149:150], 0, v[151:152]
	v_add_f64_e32 v[151:152], 0, v[153:154]
	s_wait_loadcnt_dscnt 0x900
	v_mul_f64_e32 v[153:154], v[145:146], v[16:17]
	v_mul_f64_e32 v[16:17], v[147:148], v[16:17]
	v_fma_f64 v[155:156], v[4:5], v[10:11], v[155:156]
	v_fma_f64 v[157:158], v[2:3], v[10:11], -v[12:13]
	ds_load_b128 v[2:5], v1 offset:1280
	scratch_load_b128 v[10:13], off, off offset:704
	v_add_f64_e32 v[149:150], v[149:150], v[42:43]
	v_add_f64_e32 v[151:152], v[151:152], v[44:45]
	ds_load_b128 v[42:45], v1 offset:1296
	v_fma_f64 v[147:148], v[147:148], v[14:15], v[153:154]
	v_fma_f64 v[145:146], v[145:146], v[14:15], -v[16:17]
	scratch_load_b128 v[14:17], off, off offset:720
	s_wait_loadcnt_dscnt 0xa01
	v_mul_f64_e32 v[159:160], v[2:3], v[20:21]
	v_mul_f64_e32 v[20:21], v[4:5], v[20:21]
	s_wait_loadcnt_dscnt 0x900
	v_mul_f64_e32 v[153:154], v[42:43], v[24:25]
	v_mul_f64_e32 v[24:25], v[44:45], v[24:25]
	v_add_f64_e32 v[149:150], v[149:150], v[157:158]
	v_add_f64_e32 v[151:152], v[151:152], v[155:156]
	v_fma_f64 v[155:156], v[4:5], v[18:19], v[159:160]
	v_fma_f64 v[157:158], v[2:3], v[18:19], -v[20:21]
	ds_load_b128 v[2:5], v1 offset:1312
	ds_load_b128 v[18:21], v1 offset:1328
	v_fma_f64 v[44:45], v[44:45], v[22:23], v[153:154]
	v_fma_f64 v[22:23], v[42:43], v[22:23], -v[24:25]
	v_add_f64_e32 v[145:146], v[149:150], v[145:146]
	v_add_f64_e32 v[147:148], v[151:152], v[147:148]
	s_wait_loadcnt_dscnt 0x801
	v_mul_f64_e32 v[149:150], v[2:3], v[28:29]
	v_mul_f64_e32 v[28:29], v[4:5], v[28:29]
	s_delay_alu instid0(VALU_DEP_4) | instskip(NEXT) | instid1(VALU_DEP_4)
	v_add_f64_e32 v[24:25], v[145:146], v[157:158]
	v_add_f64_e32 v[42:43], v[147:148], v[155:156]
	s_wait_loadcnt_dscnt 0x700
	v_mul_f64_e32 v[145:146], v[18:19], v[32:33]
	v_mul_f64_e32 v[32:33], v[20:21], v[32:33]
	v_fma_f64 v[147:148], v[4:5], v[26:27], v[149:150]
	v_fma_f64 v[26:27], v[2:3], v[26:27], -v[28:29]
	v_add_f64_e32 v[28:29], v[24:25], v[22:23]
	v_add_f64_e32 v[42:43], v[42:43], v[44:45]
	ds_load_b128 v[2:5], v1 offset:1344
	ds_load_b128 v[22:25], v1 offset:1360
	v_fma_f64 v[20:21], v[20:21], v[30:31], v[145:146]
	v_fma_f64 v[18:19], v[18:19], v[30:31], -v[32:33]
	s_wait_loadcnt_dscnt 0x601
	v_mul_f64_e32 v[44:45], v[2:3], v[36:37]
	v_mul_f64_e32 v[36:37], v[4:5], v[36:37]
	s_wait_loadcnt_dscnt 0x400
	v_mul_f64_e32 v[30:31], v[22:23], v[143:144]
	v_mul_f64_e32 v[32:33], v[24:25], v[143:144]
	v_add_f64_e32 v[26:27], v[28:29], v[26:27]
	v_add_f64_e32 v[28:29], v[42:43], v[147:148]
	v_fma_f64 v[42:43], v[4:5], v[34:35], v[44:45]
	v_fma_f64 v[34:35], v[2:3], v[34:35], -v[36:37]
	v_fma_f64 v[24:25], v[24:25], v[141:142], v[30:31]
	v_fma_f64 v[22:23], v[22:23], v[141:142], -v[32:33]
	v_add_f64_e32 v[26:27], v[26:27], v[18:19]
	v_add_f64_e32 v[28:29], v[28:29], v[20:21]
	ds_load_b128 v[2:5], v1 offset:1376
	ds_load_b128 v[18:21], v1 offset:1392
	s_wait_loadcnt_dscnt 0x301
	v_mul_f64_e32 v[36:37], v[2:3], v[40:41]
	v_mul_f64_e32 v[40:41], v[4:5], v[40:41]
	s_wait_loadcnt_dscnt 0x200
	v_mul_f64_e32 v[30:31], v[18:19], v[8:9]
	v_mul_f64_e32 v[8:9], v[20:21], v[8:9]
	v_add_f64_e32 v[26:27], v[26:27], v[34:35]
	v_add_f64_e32 v[28:29], v[28:29], v[42:43]
	v_fma_f64 v[32:33], v[4:5], v[38:39], v[36:37]
	v_fma_f64 v[34:35], v[2:3], v[38:39], -v[40:41]
	v_fma_f64 v[20:21], v[20:21], v[6:7], v[30:31]
	v_fma_f64 v[6:7], v[18:19], v[6:7], -v[8:9]
	v_add_f64_e32 v[26:27], v[26:27], v[22:23]
	v_add_f64_e32 v[28:29], v[28:29], v[24:25]
	ds_load_b128 v[2:5], v1 offset:1408
	ds_load_b128 v[22:25], v1 offset:1424
	s_wait_loadcnt_dscnt 0x101
	v_mul_f64_e32 v[36:37], v[2:3], v[12:13]
	v_mul_f64_e32 v[12:13], v[4:5], v[12:13]
	v_add_f64_e32 v[8:9], v[26:27], v[34:35]
	v_add_f64_e32 v[18:19], v[28:29], v[32:33]
	s_wait_loadcnt_dscnt 0x0
	v_mul_f64_e32 v[26:27], v[22:23], v[16:17]
	v_mul_f64_e32 v[16:17], v[24:25], v[16:17]
	v_fma_f64 v[4:5], v[4:5], v[10:11], v[36:37]
	v_fma_f64 v[1:2], v[2:3], v[10:11], -v[12:13]
	v_add_f64_e32 v[6:7], v[8:9], v[6:7]
	v_add_f64_e32 v[8:9], v[18:19], v[20:21]
	v_fma_f64 v[10:11], v[24:25], v[14:15], v[26:27]
	v_fma_f64 v[12:13], v[22:23], v[14:15], -v[16:17]
	s_delay_alu instid0(VALU_DEP_4) | instskip(NEXT) | instid1(VALU_DEP_4)
	v_add_f64_e32 v[1:2], v[6:7], v[1:2]
	v_add_f64_e32 v[3:4], v[8:9], v[4:5]
	s_delay_alu instid0(VALU_DEP_2) | instskip(NEXT) | instid1(VALU_DEP_2)
	v_add_f64_e32 v[1:2], v[1:2], v[12:13]
	v_add_f64_e32 v[3:4], v[3:4], v[10:11]
	s_delay_alu instid0(VALU_DEP_2) | instskip(NEXT) | instid1(VALU_DEP_2)
	v_add_f64_e64 v[1:2], v[137:138], -v[1:2]
	v_add_f64_e64 v[3:4], v[139:140], -v[3:4]
	scratch_store_b128 off, v[1:4], off offset:496
	v_cmpx_lt_u32_e32 29, v0
	s_cbranch_execz .LBB108_225
; %bb.224:
	scratch_load_b128 v[1:4], off, s28
	v_mov_b32_e32 v5, 0
	s_delay_alu instid0(VALU_DEP_1)
	v_dual_mov_b32 v6, v5 :: v_dual_mov_b32 v7, v5
	v_mov_b32_e32 v8, v5
	scratch_store_b128 off, v[5:8], off offset:480
	s_wait_loadcnt 0x0
	ds_store_b128 v136, v[1:4]
.LBB108_225:
	s_wait_alu 0xfffe
	s_or_b32 exec_lo, exec_lo, s0
	s_wait_storecnt_dscnt 0x0
	s_barrier_signal -1
	s_barrier_wait -1
	global_inv scope:SCOPE_SE
	s_clause 0x7
	scratch_load_b128 v[2:5], off, off offset:496
	scratch_load_b128 v[6:9], off, off offset:512
	;; [unrolled: 1-line block ×8, first 2 shown]
	v_mov_b32_e32 v1, 0
	s_mov_b32 s0, exec_lo
	ds_load_b128 v[34:37], v1 offset:1200
	s_clause 0x1
	scratch_load_b128 v[38:41], off, off offset:624
	scratch_load_b128 v[42:45], off, off offset:480
	ds_load_b128 v[137:140], v1 offset:1216
	scratch_load_b128 v[141:144], off, off offset:640
	s_wait_loadcnt_dscnt 0xa01
	v_mul_f64_e32 v[145:146], v[36:37], v[4:5]
	v_mul_f64_e32 v[4:5], v[34:35], v[4:5]
	s_delay_alu instid0(VALU_DEP_2) | instskip(NEXT) | instid1(VALU_DEP_2)
	v_fma_f64 v[151:152], v[34:35], v[2:3], -v[145:146]
	v_fma_f64 v[153:154], v[36:37], v[2:3], v[4:5]
	ds_load_b128 v[2:5], v1 offset:1232
	s_wait_loadcnt_dscnt 0x901
	v_mul_f64_e32 v[149:150], v[137:138], v[8:9]
	v_mul_f64_e32 v[8:9], v[139:140], v[8:9]
	scratch_load_b128 v[34:37], off, off offset:656
	ds_load_b128 v[145:148], v1 offset:1248
	s_wait_loadcnt_dscnt 0x901
	v_mul_f64_e32 v[155:156], v[2:3], v[12:13]
	v_mul_f64_e32 v[12:13], v[4:5], v[12:13]
	v_fma_f64 v[139:140], v[139:140], v[6:7], v[149:150]
	v_fma_f64 v[137:138], v[137:138], v[6:7], -v[8:9]
	v_add_f64_e32 v[149:150], 0, v[151:152]
	v_add_f64_e32 v[151:152], 0, v[153:154]
	scratch_load_b128 v[6:9], off, off offset:672
	v_fma_f64 v[155:156], v[4:5], v[10:11], v[155:156]
	v_fma_f64 v[157:158], v[2:3], v[10:11], -v[12:13]
	ds_load_b128 v[2:5], v1 offset:1264
	s_wait_loadcnt_dscnt 0x901
	v_mul_f64_e32 v[153:154], v[145:146], v[16:17]
	v_mul_f64_e32 v[16:17], v[147:148], v[16:17]
	scratch_load_b128 v[10:13], off, off offset:688
	v_add_f64_e32 v[149:150], v[149:150], v[137:138]
	v_add_f64_e32 v[151:152], v[151:152], v[139:140]
	s_wait_loadcnt_dscnt 0x900
	v_mul_f64_e32 v[159:160], v[2:3], v[20:21]
	v_mul_f64_e32 v[20:21], v[4:5], v[20:21]
	ds_load_b128 v[137:140], v1 offset:1280
	v_fma_f64 v[147:148], v[147:148], v[14:15], v[153:154]
	v_fma_f64 v[145:146], v[145:146], v[14:15], -v[16:17]
	scratch_load_b128 v[14:17], off, off offset:704
	v_add_f64_e32 v[149:150], v[149:150], v[157:158]
	v_add_f64_e32 v[151:152], v[151:152], v[155:156]
	v_fma_f64 v[155:156], v[4:5], v[18:19], v[159:160]
	v_fma_f64 v[157:158], v[2:3], v[18:19], -v[20:21]
	ds_load_b128 v[2:5], v1 offset:1296
	s_wait_loadcnt_dscnt 0x901
	v_mul_f64_e32 v[153:154], v[137:138], v[24:25]
	v_mul_f64_e32 v[24:25], v[139:140], v[24:25]
	scratch_load_b128 v[18:21], off, off offset:720
	s_wait_loadcnt_dscnt 0x900
	v_mul_f64_e32 v[159:160], v[2:3], v[28:29]
	v_mul_f64_e32 v[28:29], v[4:5], v[28:29]
	v_add_f64_e32 v[149:150], v[149:150], v[145:146]
	v_add_f64_e32 v[151:152], v[151:152], v[147:148]
	ds_load_b128 v[145:148], v1 offset:1312
	v_fma_f64 v[139:140], v[139:140], v[22:23], v[153:154]
	v_fma_f64 v[22:23], v[137:138], v[22:23], -v[24:25]
	v_add_f64_e32 v[24:25], v[149:150], v[157:158]
	v_add_f64_e32 v[137:138], v[151:152], v[155:156]
	s_wait_loadcnt_dscnt 0x800
	v_mul_f64_e32 v[149:150], v[145:146], v[32:33]
	v_mul_f64_e32 v[32:33], v[147:148], v[32:33]
	v_fma_f64 v[151:152], v[4:5], v[26:27], v[159:160]
	v_fma_f64 v[26:27], v[2:3], v[26:27], -v[28:29]
	v_add_f64_e32 v[28:29], v[24:25], v[22:23]
	v_add_f64_e32 v[137:138], v[137:138], v[139:140]
	ds_load_b128 v[2:5], v1 offset:1328
	ds_load_b128 v[22:25], v1 offset:1344
	v_fma_f64 v[147:148], v[147:148], v[30:31], v[149:150]
	v_fma_f64 v[30:31], v[145:146], v[30:31], -v[32:33]
	s_wait_loadcnt_dscnt 0x701
	v_mul_f64_e32 v[139:140], v[2:3], v[40:41]
	v_mul_f64_e32 v[40:41], v[4:5], v[40:41]
	s_wait_loadcnt_dscnt 0x500
	v_mul_f64_e32 v[32:33], v[22:23], v[143:144]
	v_add_f64_e32 v[26:27], v[28:29], v[26:27]
	v_add_f64_e32 v[28:29], v[137:138], v[151:152]
	v_mul_f64_e32 v[137:138], v[24:25], v[143:144]
	v_fma_f64 v[139:140], v[4:5], v[38:39], v[139:140]
	v_fma_f64 v[38:39], v[2:3], v[38:39], -v[40:41]
	v_fma_f64 v[24:25], v[24:25], v[141:142], v[32:33]
	v_add_f64_e32 v[30:31], v[26:27], v[30:31]
	v_add_f64_e32 v[40:41], v[28:29], v[147:148]
	ds_load_b128 v[2:5], v1 offset:1360
	ds_load_b128 v[26:29], v1 offset:1376
	v_fma_f64 v[22:23], v[22:23], v[141:142], -v[137:138]
	s_wait_loadcnt_dscnt 0x401
	v_mul_f64_e32 v[143:144], v[2:3], v[36:37]
	v_mul_f64_e32 v[36:37], v[4:5], v[36:37]
	v_add_f64_e32 v[30:31], v[30:31], v[38:39]
	v_add_f64_e32 v[32:33], v[40:41], v[139:140]
	s_wait_loadcnt_dscnt 0x300
	v_mul_f64_e32 v[38:39], v[26:27], v[8:9]
	v_mul_f64_e32 v[8:9], v[28:29], v[8:9]
	v_fma_f64 v[40:41], v[4:5], v[34:35], v[143:144]
	v_fma_f64 v[34:35], v[2:3], v[34:35], -v[36:37]
	v_add_f64_e32 v[30:31], v[30:31], v[22:23]
	v_add_f64_e32 v[32:33], v[32:33], v[24:25]
	ds_load_b128 v[2:5], v1 offset:1392
	ds_load_b128 v[22:25], v1 offset:1408
	v_fma_f64 v[28:29], v[28:29], v[6:7], v[38:39]
	v_fma_f64 v[6:7], v[26:27], v[6:7], -v[8:9]
	s_wait_loadcnt_dscnt 0x201
	v_mul_f64_e32 v[36:37], v[2:3], v[12:13]
	v_mul_f64_e32 v[12:13], v[4:5], v[12:13]
	v_add_f64_e32 v[8:9], v[30:31], v[34:35]
	v_add_f64_e32 v[26:27], v[32:33], v[40:41]
	s_wait_loadcnt_dscnt 0x100
	v_mul_f64_e32 v[30:31], v[22:23], v[16:17]
	v_mul_f64_e32 v[16:17], v[24:25], v[16:17]
	v_fma_f64 v[32:33], v[4:5], v[10:11], v[36:37]
	v_fma_f64 v[10:11], v[2:3], v[10:11], -v[12:13]
	ds_load_b128 v[2:5], v1 offset:1424
	v_add_f64_e32 v[6:7], v[8:9], v[6:7]
	v_add_f64_e32 v[8:9], v[26:27], v[28:29]
	v_fma_f64 v[24:25], v[24:25], v[14:15], v[30:31]
	v_fma_f64 v[14:15], v[22:23], v[14:15], -v[16:17]
	s_wait_loadcnt_dscnt 0x0
	v_mul_f64_e32 v[12:13], v[2:3], v[20:21]
	v_mul_f64_e32 v[20:21], v[4:5], v[20:21]
	v_add_f64_e32 v[6:7], v[6:7], v[10:11]
	v_add_f64_e32 v[8:9], v[8:9], v[32:33]
	s_delay_alu instid0(VALU_DEP_4) | instskip(NEXT) | instid1(VALU_DEP_4)
	v_fma_f64 v[4:5], v[4:5], v[18:19], v[12:13]
	v_fma_f64 v[2:3], v[2:3], v[18:19], -v[20:21]
	s_delay_alu instid0(VALU_DEP_4) | instskip(NEXT) | instid1(VALU_DEP_4)
	v_add_f64_e32 v[6:7], v[6:7], v[14:15]
	v_add_f64_e32 v[8:9], v[8:9], v[24:25]
	s_delay_alu instid0(VALU_DEP_2) | instskip(NEXT) | instid1(VALU_DEP_2)
	v_add_f64_e32 v[2:3], v[6:7], v[2:3]
	v_add_f64_e32 v[4:5], v[8:9], v[4:5]
	s_delay_alu instid0(VALU_DEP_2) | instskip(NEXT) | instid1(VALU_DEP_2)
	v_add_f64_e64 v[2:3], v[42:43], -v[2:3]
	v_add_f64_e64 v[4:5], v[44:45], -v[4:5]
	scratch_store_b128 off, v[2:5], off offset:480
	v_cmpx_lt_u32_e32 28, v0
	s_cbranch_execz .LBB108_227
; %bb.226:
	scratch_load_b128 v[5:8], off, s29
	v_dual_mov_b32 v2, v1 :: v_dual_mov_b32 v3, v1
	v_mov_b32_e32 v4, v1
	scratch_store_b128 off, v[1:4], off offset:464
	s_wait_loadcnt 0x0
	ds_store_b128 v136, v[5:8]
.LBB108_227:
	s_wait_alu 0xfffe
	s_or_b32 exec_lo, exec_lo, s0
	s_wait_storecnt_dscnt 0x0
	s_barrier_signal -1
	s_barrier_wait -1
	global_inv scope:SCOPE_SE
	s_clause 0x8
	scratch_load_b128 v[2:5], off, off offset:480
	scratch_load_b128 v[6:9], off, off offset:496
	;; [unrolled: 1-line block ×9, first 2 shown]
	ds_load_b128 v[38:41], v1 offset:1184
	ds_load_b128 v[42:45], v1 offset:1200
	s_clause 0x1
	scratch_load_b128 v[137:140], off, off offset:464
	scratch_load_b128 v[141:144], off, off offset:624
	s_mov_b32 s0, exec_lo
	s_wait_loadcnt_dscnt 0xa01
	v_mul_f64_e32 v[145:146], v[40:41], v[4:5]
	v_mul_f64_e32 v[4:5], v[38:39], v[4:5]
	s_wait_loadcnt_dscnt 0x900
	v_mul_f64_e32 v[149:150], v[42:43], v[8:9]
	v_mul_f64_e32 v[8:9], v[44:45], v[8:9]
	s_delay_alu instid0(VALU_DEP_4) | instskip(NEXT) | instid1(VALU_DEP_4)
	v_fma_f64 v[151:152], v[38:39], v[2:3], -v[145:146]
	v_fma_f64 v[153:154], v[40:41], v[2:3], v[4:5]
	ds_load_b128 v[2:5], v1 offset:1216
	ds_load_b128 v[145:148], v1 offset:1232
	scratch_load_b128 v[38:41], off, off offset:640
	v_fma_f64 v[44:45], v[44:45], v[6:7], v[149:150]
	v_fma_f64 v[42:43], v[42:43], v[6:7], -v[8:9]
	scratch_load_b128 v[6:9], off, off offset:656
	s_wait_loadcnt_dscnt 0xa01
	v_mul_f64_e32 v[155:156], v[2:3], v[12:13]
	v_mul_f64_e32 v[12:13], v[4:5], v[12:13]
	v_add_f64_e32 v[149:150], 0, v[151:152]
	v_add_f64_e32 v[151:152], 0, v[153:154]
	s_wait_loadcnt_dscnt 0x900
	v_mul_f64_e32 v[153:154], v[145:146], v[16:17]
	v_mul_f64_e32 v[16:17], v[147:148], v[16:17]
	v_fma_f64 v[155:156], v[4:5], v[10:11], v[155:156]
	v_fma_f64 v[157:158], v[2:3], v[10:11], -v[12:13]
	ds_load_b128 v[2:5], v1 offset:1248
	scratch_load_b128 v[10:13], off, off offset:672
	v_add_f64_e32 v[149:150], v[149:150], v[42:43]
	v_add_f64_e32 v[151:152], v[151:152], v[44:45]
	ds_load_b128 v[42:45], v1 offset:1264
	v_fma_f64 v[147:148], v[147:148], v[14:15], v[153:154]
	v_fma_f64 v[145:146], v[145:146], v[14:15], -v[16:17]
	scratch_load_b128 v[14:17], off, off offset:688
	s_wait_loadcnt_dscnt 0xa01
	v_mul_f64_e32 v[159:160], v[2:3], v[20:21]
	v_mul_f64_e32 v[20:21], v[4:5], v[20:21]
	s_wait_loadcnt_dscnt 0x900
	v_mul_f64_e32 v[153:154], v[42:43], v[24:25]
	v_mul_f64_e32 v[24:25], v[44:45], v[24:25]
	v_add_f64_e32 v[149:150], v[149:150], v[157:158]
	v_add_f64_e32 v[151:152], v[151:152], v[155:156]
	v_fma_f64 v[155:156], v[4:5], v[18:19], v[159:160]
	v_fma_f64 v[157:158], v[2:3], v[18:19], -v[20:21]
	ds_load_b128 v[2:5], v1 offset:1280
	scratch_load_b128 v[18:21], off, off offset:704
	v_fma_f64 v[44:45], v[44:45], v[22:23], v[153:154]
	v_fma_f64 v[42:43], v[42:43], v[22:23], -v[24:25]
	scratch_load_b128 v[22:25], off, off offset:720
	v_add_f64_e32 v[149:150], v[149:150], v[145:146]
	v_add_f64_e32 v[151:152], v[151:152], v[147:148]
	ds_load_b128 v[145:148], v1 offset:1296
	s_wait_loadcnt_dscnt 0xa01
	v_mul_f64_e32 v[159:160], v[2:3], v[28:29]
	v_mul_f64_e32 v[28:29], v[4:5], v[28:29]
	s_wait_loadcnt_dscnt 0x900
	v_mul_f64_e32 v[153:154], v[145:146], v[32:33]
	v_mul_f64_e32 v[32:33], v[147:148], v[32:33]
	v_add_f64_e32 v[149:150], v[149:150], v[157:158]
	v_add_f64_e32 v[151:152], v[151:152], v[155:156]
	v_fma_f64 v[155:156], v[4:5], v[26:27], v[159:160]
	v_fma_f64 v[157:158], v[2:3], v[26:27], -v[28:29]
	ds_load_b128 v[2:5], v1 offset:1312
	ds_load_b128 v[26:29], v1 offset:1328
	v_fma_f64 v[147:148], v[147:148], v[30:31], v[153:154]
	v_fma_f64 v[30:31], v[145:146], v[30:31], -v[32:33]
	v_add_f64_e32 v[42:43], v[149:150], v[42:43]
	v_add_f64_e32 v[44:45], v[151:152], v[44:45]
	s_wait_loadcnt_dscnt 0x801
	v_mul_f64_e32 v[149:150], v[2:3], v[36:37]
	v_mul_f64_e32 v[36:37], v[4:5], v[36:37]
	s_delay_alu instid0(VALU_DEP_4) | instskip(NEXT) | instid1(VALU_DEP_4)
	v_add_f64_e32 v[32:33], v[42:43], v[157:158]
	v_add_f64_e32 v[42:43], v[44:45], v[155:156]
	s_wait_loadcnt_dscnt 0x600
	v_mul_f64_e32 v[44:45], v[26:27], v[143:144]
	v_mul_f64_e32 v[143:144], v[28:29], v[143:144]
	v_fma_f64 v[145:146], v[4:5], v[34:35], v[149:150]
	v_fma_f64 v[34:35], v[2:3], v[34:35], -v[36:37]
	v_add_f64_e32 v[36:37], v[32:33], v[30:31]
	v_add_f64_e32 v[42:43], v[42:43], v[147:148]
	ds_load_b128 v[2:5], v1 offset:1344
	ds_load_b128 v[30:33], v1 offset:1360
	v_fma_f64 v[28:29], v[28:29], v[141:142], v[44:45]
	v_fma_f64 v[26:27], v[26:27], v[141:142], -v[143:144]
	s_wait_loadcnt_dscnt 0x501
	v_mul_f64_e32 v[147:148], v[2:3], v[40:41]
	v_mul_f64_e32 v[40:41], v[4:5], v[40:41]
	v_add_f64_e32 v[34:35], v[36:37], v[34:35]
	v_add_f64_e32 v[36:37], v[42:43], v[145:146]
	s_wait_loadcnt_dscnt 0x400
	v_mul_f64_e32 v[42:43], v[30:31], v[8:9]
	v_mul_f64_e32 v[8:9], v[32:33], v[8:9]
	v_fma_f64 v[44:45], v[4:5], v[38:39], v[147:148]
	v_fma_f64 v[38:39], v[2:3], v[38:39], -v[40:41]
	v_add_f64_e32 v[34:35], v[34:35], v[26:27]
	v_add_f64_e32 v[36:37], v[36:37], v[28:29]
	ds_load_b128 v[2:5], v1 offset:1376
	ds_load_b128 v[26:29], v1 offset:1392
	v_fma_f64 v[32:33], v[32:33], v[6:7], v[42:43]
	v_fma_f64 v[6:7], v[30:31], v[6:7], -v[8:9]
	s_wait_loadcnt_dscnt 0x301
	v_mul_f64_e32 v[40:41], v[2:3], v[12:13]
	v_mul_f64_e32 v[12:13], v[4:5], v[12:13]
	;; [unrolled: 16-line block ×3, first 2 shown]
	s_wait_loadcnt_dscnt 0x0
	v_mul_f64_e32 v[16:17], v[6:7], v[24:25]
	v_mul_f64_e32 v[24:25], v[8:9], v[24:25]
	v_add_f64_e32 v[10:11], v[12:13], v[10:11]
	v_add_f64_e32 v[12:13], v[30:31], v[36:37]
	v_fma_f64 v[4:5], v[4:5], v[18:19], v[32:33]
	v_fma_f64 v[1:2], v[2:3], v[18:19], -v[20:21]
	v_fma_f64 v[8:9], v[8:9], v[22:23], v[16:17]
	v_fma_f64 v[6:7], v[6:7], v[22:23], -v[24:25]
	v_add_f64_e32 v[10:11], v[10:11], v[14:15]
	v_add_f64_e32 v[12:13], v[12:13], v[28:29]
	s_delay_alu instid0(VALU_DEP_2) | instskip(NEXT) | instid1(VALU_DEP_2)
	v_add_f64_e32 v[1:2], v[10:11], v[1:2]
	v_add_f64_e32 v[3:4], v[12:13], v[4:5]
	s_delay_alu instid0(VALU_DEP_2) | instskip(NEXT) | instid1(VALU_DEP_2)
	;; [unrolled: 3-line block ×3, first 2 shown]
	v_add_f64_e64 v[1:2], v[137:138], -v[1:2]
	v_add_f64_e64 v[3:4], v[139:140], -v[3:4]
	scratch_store_b128 off, v[1:4], off offset:464
	v_cmpx_lt_u32_e32 27, v0
	s_cbranch_execz .LBB108_229
; %bb.228:
	scratch_load_b128 v[1:4], off, s30
	v_mov_b32_e32 v5, 0
	s_delay_alu instid0(VALU_DEP_1)
	v_dual_mov_b32 v6, v5 :: v_dual_mov_b32 v7, v5
	v_mov_b32_e32 v8, v5
	scratch_store_b128 off, v[5:8], off offset:448
	s_wait_loadcnt 0x0
	ds_store_b128 v136, v[1:4]
.LBB108_229:
	s_wait_alu 0xfffe
	s_or_b32 exec_lo, exec_lo, s0
	s_wait_storecnt_dscnt 0x0
	s_barrier_signal -1
	s_barrier_wait -1
	global_inv scope:SCOPE_SE
	s_clause 0x7
	scratch_load_b128 v[2:5], off, off offset:464
	scratch_load_b128 v[6:9], off, off offset:480
	;; [unrolled: 1-line block ×8, first 2 shown]
	v_mov_b32_e32 v1, 0
	s_mov_b32 s0, exec_lo
	ds_load_b128 v[34:37], v1 offset:1168
	s_clause 0x1
	scratch_load_b128 v[38:41], off, off offset:592
	scratch_load_b128 v[42:45], off, off offset:448
	ds_load_b128 v[137:140], v1 offset:1184
	scratch_load_b128 v[141:144], off, off offset:608
	s_wait_loadcnt_dscnt 0xa01
	v_mul_f64_e32 v[145:146], v[36:37], v[4:5]
	v_mul_f64_e32 v[4:5], v[34:35], v[4:5]
	s_delay_alu instid0(VALU_DEP_2) | instskip(NEXT) | instid1(VALU_DEP_2)
	v_fma_f64 v[151:152], v[34:35], v[2:3], -v[145:146]
	v_fma_f64 v[153:154], v[36:37], v[2:3], v[4:5]
	ds_load_b128 v[2:5], v1 offset:1200
	s_wait_loadcnt_dscnt 0x901
	v_mul_f64_e32 v[149:150], v[137:138], v[8:9]
	v_mul_f64_e32 v[8:9], v[139:140], v[8:9]
	scratch_load_b128 v[34:37], off, off offset:624
	ds_load_b128 v[145:148], v1 offset:1216
	s_wait_loadcnt_dscnt 0x901
	v_mul_f64_e32 v[155:156], v[2:3], v[12:13]
	v_mul_f64_e32 v[12:13], v[4:5], v[12:13]
	v_fma_f64 v[139:140], v[139:140], v[6:7], v[149:150]
	v_fma_f64 v[137:138], v[137:138], v[6:7], -v[8:9]
	v_add_f64_e32 v[149:150], 0, v[151:152]
	v_add_f64_e32 v[151:152], 0, v[153:154]
	scratch_load_b128 v[6:9], off, off offset:640
	v_fma_f64 v[155:156], v[4:5], v[10:11], v[155:156]
	v_fma_f64 v[157:158], v[2:3], v[10:11], -v[12:13]
	ds_load_b128 v[2:5], v1 offset:1232
	s_wait_loadcnt_dscnt 0x901
	v_mul_f64_e32 v[153:154], v[145:146], v[16:17]
	v_mul_f64_e32 v[16:17], v[147:148], v[16:17]
	scratch_load_b128 v[10:13], off, off offset:656
	v_add_f64_e32 v[149:150], v[149:150], v[137:138]
	v_add_f64_e32 v[151:152], v[151:152], v[139:140]
	s_wait_loadcnt_dscnt 0x900
	v_mul_f64_e32 v[159:160], v[2:3], v[20:21]
	v_mul_f64_e32 v[20:21], v[4:5], v[20:21]
	ds_load_b128 v[137:140], v1 offset:1248
	v_fma_f64 v[147:148], v[147:148], v[14:15], v[153:154]
	v_fma_f64 v[145:146], v[145:146], v[14:15], -v[16:17]
	scratch_load_b128 v[14:17], off, off offset:672
	v_add_f64_e32 v[149:150], v[149:150], v[157:158]
	v_add_f64_e32 v[151:152], v[151:152], v[155:156]
	v_fma_f64 v[155:156], v[4:5], v[18:19], v[159:160]
	v_fma_f64 v[157:158], v[2:3], v[18:19], -v[20:21]
	ds_load_b128 v[2:5], v1 offset:1264
	s_wait_loadcnt_dscnt 0x901
	v_mul_f64_e32 v[153:154], v[137:138], v[24:25]
	v_mul_f64_e32 v[24:25], v[139:140], v[24:25]
	scratch_load_b128 v[18:21], off, off offset:688
	s_wait_loadcnt_dscnt 0x900
	v_mul_f64_e32 v[159:160], v[2:3], v[28:29]
	v_mul_f64_e32 v[28:29], v[4:5], v[28:29]
	v_add_f64_e32 v[149:150], v[149:150], v[145:146]
	v_add_f64_e32 v[151:152], v[151:152], v[147:148]
	ds_load_b128 v[145:148], v1 offset:1280
	v_fma_f64 v[139:140], v[139:140], v[22:23], v[153:154]
	v_fma_f64 v[137:138], v[137:138], v[22:23], -v[24:25]
	scratch_load_b128 v[22:25], off, off offset:704
	v_add_f64_e32 v[149:150], v[149:150], v[157:158]
	v_add_f64_e32 v[151:152], v[151:152], v[155:156]
	v_fma_f64 v[155:156], v[4:5], v[26:27], v[159:160]
	v_fma_f64 v[157:158], v[2:3], v[26:27], -v[28:29]
	ds_load_b128 v[2:5], v1 offset:1296
	s_wait_loadcnt_dscnt 0x901
	v_mul_f64_e32 v[153:154], v[145:146], v[32:33]
	v_mul_f64_e32 v[32:33], v[147:148], v[32:33]
	scratch_load_b128 v[26:29], off, off offset:720
	s_wait_loadcnt_dscnt 0x900
	v_mul_f64_e32 v[159:160], v[2:3], v[40:41]
	v_mul_f64_e32 v[40:41], v[4:5], v[40:41]
	v_add_f64_e32 v[149:150], v[149:150], v[137:138]
	v_add_f64_e32 v[151:152], v[151:152], v[139:140]
	ds_load_b128 v[137:140], v1 offset:1312
	v_fma_f64 v[147:148], v[147:148], v[30:31], v[153:154]
	v_fma_f64 v[30:31], v[145:146], v[30:31], -v[32:33]
	v_add_f64_e32 v[32:33], v[149:150], v[157:158]
	v_add_f64_e32 v[145:146], v[151:152], v[155:156]
	s_wait_loadcnt_dscnt 0x700
	v_mul_f64_e32 v[149:150], v[137:138], v[143:144]
	v_mul_f64_e32 v[143:144], v[139:140], v[143:144]
	v_fma_f64 v[151:152], v[4:5], v[38:39], v[159:160]
	v_fma_f64 v[38:39], v[2:3], v[38:39], -v[40:41]
	v_add_f64_e32 v[40:41], v[32:33], v[30:31]
	v_add_f64_e32 v[145:146], v[145:146], v[147:148]
	ds_load_b128 v[2:5], v1 offset:1328
	ds_load_b128 v[30:33], v1 offset:1344
	v_fma_f64 v[139:140], v[139:140], v[141:142], v[149:150]
	v_fma_f64 v[137:138], v[137:138], v[141:142], -v[143:144]
	s_wait_loadcnt_dscnt 0x601
	v_mul_f64_e32 v[147:148], v[2:3], v[36:37]
	v_mul_f64_e32 v[36:37], v[4:5], v[36:37]
	v_add_f64_e32 v[38:39], v[40:41], v[38:39]
	v_add_f64_e32 v[40:41], v[145:146], v[151:152]
	s_wait_loadcnt_dscnt 0x500
	v_mul_f64_e32 v[141:142], v[30:31], v[8:9]
	v_mul_f64_e32 v[8:9], v[32:33], v[8:9]
	v_fma_f64 v[143:144], v[4:5], v[34:35], v[147:148]
	v_fma_f64 v[145:146], v[2:3], v[34:35], -v[36:37]
	ds_load_b128 v[2:5], v1 offset:1360
	ds_load_b128 v[34:37], v1 offset:1376
	v_add_f64_e32 v[38:39], v[38:39], v[137:138]
	v_add_f64_e32 v[40:41], v[40:41], v[139:140]
	s_wait_loadcnt_dscnt 0x401
	v_mul_f64_e32 v[137:138], v[2:3], v[12:13]
	v_mul_f64_e32 v[12:13], v[4:5], v[12:13]
	v_fma_f64 v[32:33], v[32:33], v[6:7], v[141:142]
	v_fma_f64 v[6:7], v[30:31], v[6:7], -v[8:9]
	v_add_f64_e32 v[8:9], v[38:39], v[145:146]
	v_add_f64_e32 v[30:31], v[40:41], v[143:144]
	s_wait_loadcnt_dscnt 0x300
	v_mul_f64_e32 v[38:39], v[34:35], v[16:17]
	v_mul_f64_e32 v[16:17], v[36:37], v[16:17]
	v_fma_f64 v[40:41], v[4:5], v[10:11], v[137:138]
	v_fma_f64 v[10:11], v[2:3], v[10:11], -v[12:13]
	v_add_f64_e32 v[12:13], v[8:9], v[6:7]
	v_add_f64_e32 v[30:31], v[30:31], v[32:33]
	ds_load_b128 v[2:5], v1 offset:1392
	ds_load_b128 v[6:9], v1 offset:1408
	v_fma_f64 v[36:37], v[36:37], v[14:15], v[38:39]
	v_fma_f64 v[14:15], v[34:35], v[14:15], -v[16:17]
	s_wait_loadcnt_dscnt 0x201
	v_mul_f64_e32 v[32:33], v[2:3], v[20:21]
	v_mul_f64_e32 v[20:21], v[4:5], v[20:21]
	s_wait_loadcnt_dscnt 0x100
	v_mul_f64_e32 v[16:17], v[6:7], v[24:25]
	v_mul_f64_e32 v[24:25], v[8:9], v[24:25]
	v_add_f64_e32 v[10:11], v[12:13], v[10:11]
	v_add_f64_e32 v[12:13], v[30:31], v[40:41]
	v_fma_f64 v[30:31], v[4:5], v[18:19], v[32:33]
	v_fma_f64 v[18:19], v[2:3], v[18:19], -v[20:21]
	ds_load_b128 v[2:5], v1 offset:1424
	v_fma_f64 v[8:9], v[8:9], v[22:23], v[16:17]
	v_fma_f64 v[6:7], v[6:7], v[22:23], -v[24:25]
	v_add_f64_e32 v[10:11], v[10:11], v[14:15]
	v_add_f64_e32 v[12:13], v[12:13], v[36:37]
	s_wait_loadcnt_dscnt 0x0
	v_mul_f64_e32 v[14:15], v[2:3], v[28:29]
	v_mul_f64_e32 v[20:21], v[4:5], v[28:29]
	s_delay_alu instid0(VALU_DEP_4) | instskip(NEXT) | instid1(VALU_DEP_4)
	v_add_f64_e32 v[10:11], v[10:11], v[18:19]
	v_add_f64_e32 v[12:13], v[12:13], v[30:31]
	s_delay_alu instid0(VALU_DEP_4) | instskip(NEXT) | instid1(VALU_DEP_4)
	v_fma_f64 v[4:5], v[4:5], v[26:27], v[14:15]
	v_fma_f64 v[2:3], v[2:3], v[26:27], -v[20:21]
	s_delay_alu instid0(VALU_DEP_4) | instskip(NEXT) | instid1(VALU_DEP_4)
	v_add_f64_e32 v[6:7], v[10:11], v[6:7]
	v_add_f64_e32 v[8:9], v[12:13], v[8:9]
	s_delay_alu instid0(VALU_DEP_2) | instskip(NEXT) | instid1(VALU_DEP_2)
	v_add_f64_e32 v[2:3], v[6:7], v[2:3]
	v_add_f64_e32 v[4:5], v[8:9], v[4:5]
	s_delay_alu instid0(VALU_DEP_2) | instskip(NEXT) | instid1(VALU_DEP_2)
	v_add_f64_e64 v[2:3], v[42:43], -v[2:3]
	v_add_f64_e64 v[4:5], v[44:45], -v[4:5]
	scratch_store_b128 off, v[2:5], off offset:448
	v_cmpx_lt_u32_e32 26, v0
	s_cbranch_execz .LBB108_231
; %bb.230:
	scratch_load_b128 v[5:8], off, s31
	v_dual_mov_b32 v2, v1 :: v_dual_mov_b32 v3, v1
	v_mov_b32_e32 v4, v1
	scratch_store_b128 off, v[1:4], off offset:432
	s_wait_loadcnt 0x0
	ds_store_b128 v136, v[5:8]
.LBB108_231:
	s_wait_alu 0xfffe
	s_or_b32 exec_lo, exec_lo, s0
	s_wait_storecnt_dscnt 0x0
	s_barrier_signal -1
	s_barrier_wait -1
	global_inv scope:SCOPE_SE
	s_clause 0x8
	scratch_load_b128 v[2:5], off, off offset:448
	scratch_load_b128 v[6:9], off, off offset:464
	scratch_load_b128 v[10:13], off, off offset:480
	scratch_load_b128 v[14:17], off, off offset:496
	scratch_load_b128 v[18:21], off, off offset:512
	scratch_load_b128 v[22:25], off, off offset:528
	scratch_load_b128 v[26:29], off, off offset:544
	scratch_load_b128 v[30:33], off, off offset:560
	scratch_load_b128 v[34:37], off, off offset:576
	ds_load_b128 v[38:41], v1 offset:1152
	ds_load_b128 v[42:45], v1 offset:1168
	s_clause 0x1
	scratch_load_b128 v[137:140], off, off offset:432
	scratch_load_b128 v[141:144], off, off offset:592
	s_mov_b32 s0, exec_lo
	s_wait_loadcnt_dscnt 0xa01
	v_mul_f64_e32 v[145:146], v[40:41], v[4:5]
	v_mul_f64_e32 v[4:5], v[38:39], v[4:5]
	s_wait_loadcnt_dscnt 0x900
	v_mul_f64_e32 v[149:150], v[42:43], v[8:9]
	v_mul_f64_e32 v[8:9], v[44:45], v[8:9]
	s_delay_alu instid0(VALU_DEP_4) | instskip(NEXT) | instid1(VALU_DEP_4)
	v_fma_f64 v[151:152], v[38:39], v[2:3], -v[145:146]
	v_fma_f64 v[153:154], v[40:41], v[2:3], v[4:5]
	ds_load_b128 v[2:5], v1 offset:1184
	ds_load_b128 v[145:148], v1 offset:1200
	scratch_load_b128 v[38:41], off, off offset:608
	v_fma_f64 v[44:45], v[44:45], v[6:7], v[149:150]
	v_fma_f64 v[42:43], v[42:43], v[6:7], -v[8:9]
	scratch_load_b128 v[6:9], off, off offset:624
	s_wait_loadcnt_dscnt 0xa01
	v_mul_f64_e32 v[155:156], v[2:3], v[12:13]
	v_mul_f64_e32 v[12:13], v[4:5], v[12:13]
	v_add_f64_e32 v[149:150], 0, v[151:152]
	v_add_f64_e32 v[151:152], 0, v[153:154]
	s_wait_loadcnt_dscnt 0x900
	v_mul_f64_e32 v[153:154], v[145:146], v[16:17]
	v_mul_f64_e32 v[16:17], v[147:148], v[16:17]
	v_fma_f64 v[155:156], v[4:5], v[10:11], v[155:156]
	v_fma_f64 v[157:158], v[2:3], v[10:11], -v[12:13]
	ds_load_b128 v[2:5], v1 offset:1216
	scratch_load_b128 v[10:13], off, off offset:640
	v_add_f64_e32 v[149:150], v[149:150], v[42:43]
	v_add_f64_e32 v[151:152], v[151:152], v[44:45]
	ds_load_b128 v[42:45], v1 offset:1232
	v_fma_f64 v[147:148], v[147:148], v[14:15], v[153:154]
	v_fma_f64 v[145:146], v[145:146], v[14:15], -v[16:17]
	scratch_load_b128 v[14:17], off, off offset:656
	s_wait_loadcnt_dscnt 0xa01
	v_mul_f64_e32 v[159:160], v[2:3], v[20:21]
	v_mul_f64_e32 v[20:21], v[4:5], v[20:21]
	s_wait_loadcnt_dscnt 0x900
	v_mul_f64_e32 v[153:154], v[42:43], v[24:25]
	v_mul_f64_e32 v[24:25], v[44:45], v[24:25]
	v_add_f64_e32 v[149:150], v[149:150], v[157:158]
	v_add_f64_e32 v[151:152], v[151:152], v[155:156]
	v_fma_f64 v[155:156], v[4:5], v[18:19], v[159:160]
	v_fma_f64 v[157:158], v[2:3], v[18:19], -v[20:21]
	ds_load_b128 v[2:5], v1 offset:1248
	scratch_load_b128 v[18:21], off, off offset:672
	v_fma_f64 v[44:45], v[44:45], v[22:23], v[153:154]
	v_fma_f64 v[42:43], v[42:43], v[22:23], -v[24:25]
	scratch_load_b128 v[22:25], off, off offset:688
	v_add_f64_e32 v[149:150], v[149:150], v[145:146]
	v_add_f64_e32 v[151:152], v[151:152], v[147:148]
	ds_load_b128 v[145:148], v1 offset:1264
	s_wait_loadcnt_dscnt 0xa01
	v_mul_f64_e32 v[159:160], v[2:3], v[28:29]
	v_mul_f64_e32 v[28:29], v[4:5], v[28:29]
	s_wait_loadcnt_dscnt 0x900
	v_mul_f64_e32 v[153:154], v[145:146], v[32:33]
	v_mul_f64_e32 v[32:33], v[147:148], v[32:33]
	v_add_f64_e32 v[149:150], v[149:150], v[157:158]
	v_add_f64_e32 v[151:152], v[151:152], v[155:156]
	v_fma_f64 v[155:156], v[4:5], v[26:27], v[159:160]
	v_fma_f64 v[157:158], v[2:3], v[26:27], -v[28:29]
	ds_load_b128 v[2:5], v1 offset:1280
	scratch_load_b128 v[26:29], off, off offset:704
	v_fma_f64 v[147:148], v[147:148], v[30:31], v[153:154]
	v_fma_f64 v[145:146], v[145:146], v[30:31], -v[32:33]
	scratch_load_b128 v[30:33], off, off offset:720
	v_add_f64_e32 v[149:150], v[149:150], v[42:43]
	v_add_f64_e32 v[151:152], v[151:152], v[44:45]
	ds_load_b128 v[42:45], v1 offset:1296
	s_wait_loadcnt_dscnt 0xa01
	v_mul_f64_e32 v[159:160], v[2:3], v[36:37]
	v_mul_f64_e32 v[36:37], v[4:5], v[36:37]
	s_wait_loadcnt_dscnt 0x800
	v_mul_f64_e32 v[153:154], v[42:43], v[143:144]
	v_mul_f64_e32 v[143:144], v[44:45], v[143:144]
	v_add_f64_e32 v[149:150], v[149:150], v[157:158]
	v_add_f64_e32 v[151:152], v[151:152], v[155:156]
	v_fma_f64 v[155:156], v[4:5], v[34:35], v[159:160]
	v_fma_f64 v[157:158], v[2:3], v[34:35], -v[36:37]
	ds_load_b128 v[2:5], v1 offset:1312
	ds_load_b128 v[34:37], v1 offset:1328
	v_fma_f64 v[44:45], v[44:45], v[141:142], v[153:154]
	v_fma_f64 v[42:43], v[42:43], v[141:142], -v[143:144]
	v_add_f64_e32 v[145:146], v[149:150], v[145:146]
	v_add_f64_e32 v[147:148], v[151:152], v[147:148]
	s_wait_loadcnt_dscnt 0x701
	v_mul_f64_e32 v[149:150], v[2:3], v[40:41]
	v_mul_f64_e32 v[40:41], v[4:5], v[40:41]
	s_delay_alu instid0(VALU_DEP_4) | instskip(NEXT) | instid1(VALU_DEP_4)
	v_add_f64_e32 v[141:142], v[145:146], v[157:158]
	v_add_f64_e32 v[143:144], v[147:148], v[155:156]
	s_wait_loadcnt_dscnt 0x600
	v_mul_f64_e32 v[145:146], v[34:35], v[8:9]
	v_mul_f64_e32 v[8:9], v[36:37], v[8:9]
	v_fma_f64 v[147:148], v[4:5], v[38:39], v[149:150]
	v_fma_f64 v[149:150], v[2:3], v[38:39], -v[40:41]
	ds_load_b128 v[2:5], v1 offset:1344
	ds_load_b128 v[38:41], v1 offset:1360
	v_add_f64_e32 v[42:43], v[141:142], v[42:43]
	v_add_f64_e32 v[44:45], v[143:144], v[44:45]
	v_fma_f64 v[36:37], v[36:37], v[6:7], v[145:146]
	s_wait_loadcnt_dscnt 0x501
	v_mul_f64_e32 v[141:142], v[2:3], v[12:13]
	v_mul_f64_e32 v[12:13], v[4:5], v[12:13]
	v_fma_f64 v[6:7], v[34:35], v[6:7], -v[8:9]
	v_add_f64_e32 v[8:9], v[42:43], v[149:150]
	v_add_f64_e32 v[34:35], v[44:45], v[147:148]
	s_wait_loadcnt_dscnt 0x400
	v_mul_f64_e32 v[42:43], v[38:39], v[16:17]
	v_mul_f64_e32 v[16:17], v[40:41], v[16:17]
	v_fma_f64 v[44:45], v[4:5], v[10:11], v[141:142]
	v_fma_f64 v[10:11], v[2:3], v[10:11], -v[12:13]
	v_add_f64_e32 v[12:13], v[8:9], v[6:7]
	v_add_f64_e32 v[34:35], v[34:35], v[36:37]
	ds_load_b128 v[2:5], v1 offset:1376
	ds_load_b128 v[6:9], v1 offset:1392
	v_fma_f64 v[40:41], v[40:41], v[14:15], v[42:43]
	v_fma_f64 v[14:15], v[38:39], v[14:15], -v[16:17]
	s_wait_loadcnt_dscnt 0x301
	v_mul_f64_e32 v[36:37], v[2:3], v[20:21]
	v_mul_f64_e32 v[20:21], v[4:5], v[20:21]
	s_wait_loadcnt_dscnt 0x200
	v_mul_f64_e32 v[16:17], v[6:7], v[24:25]
	v_mul_f64_e32 v[24:25], v[8:9], v[24:25]
	v_add_f64_e32 v[10:11], v[12:13], v[10:11]
	v_add_f64_e32 v[12:13], v[34:35], v[44:45]
	v_fma_f64 v[34:35], v[4:5], v[18:19], v[36:37]
	v_fma_f64 v[18:19], v[2:3], v[18:19], -v[20:21]
	v_fma_f64 v[8:9], v[8:9], v[22:23], v[16:17]
	v_fma_f64 v[6:7], v[6:7], v[22:23], -v[24:25]
	v_add_f64_e32 v[14:15], v[10:11], v[14:15]
	v_add_f64_e32 v[20:21], v[12:13], v[40:41]
	ds_load_b128 v[2:5], v1 offset:1408
	ds_load_b128 v[10:13], v1 offset:1424
	s_wait_loadcnt_dscnt 0x101
	v_mul_f64_e32 v[36:37], v[2:3], v[28:29]
	v_mul_f64_e32 v[28:29], v[4:5], v[28:29]
	v_add_f64_e32 v[14:15], v[14:15], v[18:19]
	v_add_f64_e32 v[16:17], v[20:21], v[34:35]
	s_wait_loadcnt_dscnt 0x0
	v_mul_f64_e32 v[18:19], v[10:11], v[32:33]
	v_mul_f64_e32 v[20:21], v[12:13], v[32:33]
	v_fma_f64 v[4:5], v[4:5], v[26:27], v[36:37]
	v_fma_f64 v[1:2], v[2:3], v[26:27], -v[28:29]
	v_add_f64_e32 v[6:7], v[14:15], v[6:7]
	v_add_f64_e32 v[8:9], v[16:17], v[8:9]
	v_fma_f64 v[12:13], v[12:13], v[30:31], v[18:19]
	v_fma_f64 v[10:11], v[10:11], v[30:31], -v[20:21]
	s_delay_alu instid0(VALU_DEP_4) | instskip(NEXT) | instid1(VALU_DEP_4)
	v_add_f64_e32 v[1:2], v[6:7], v[1:2]
	v_add_f64_e32 v[3:4], v[8:9], v[4:5]
	s_delay_alu instid0(VALU_DEP_2) | instskip(NEXT) | instid1(VALU_DEP_2)
	v_add_f64_e32 v[1:2], v[1:2], v[10:11]
	v_add_f64_e32 v[3:4], v[3:4], v[12:13]
	s_delay_alu instid0(VALU_DEP_2) | instskip(NEXT) | instid1(VALU_DEP_2)
	v_add_f64_e64 v[1:2], v[137:138], -v[1:2]
	v_add_f64_e64 v[3:4], v[139:140], -v[3:4]
	scratch_store_b128 off, v[1:4], off offset:432
	v_cmpx_lt_u32_e32 25, v0
	s_cbranch_execz .LBB108_233
; %bb.232:
	scratch_load_b128 v[1:4], off, s33
	v_mov_b32_e32 v5, 0
	s_delay_alu instid0(VALU_DEP_1)
	v_dual_mov_b32 v6, v5 :: v_dual_mov_b32 v7, v5
	v_mov_b32_e32 v8, v5
	scratch_store_b128 off, v[5:8], off offset:416
	s_wait_loadcnt 0x0
	ds_store_b128 v136, v[1:4]
.LBB108_233:
	s_wait_alu 0xfffe
	s_or_b32 exec_lo, exec_lo, s0
	s_wait_storecnt_dscnt 0x0
	s_barrier_signal -1
	s_barrier_wait -1
	global_inv scope:SCOPE_SE
	s_clause 0x7
	scratch_load_b128 v[2:5], off, off offset:432
	scratch_load_b128 v[6:9], off, off offset:448
	;; [unrolled: 1-line block ×8, first 2 shown]
	v_mov_b32_e32 v1, 0
	s_mov_b32 s0, exec_lo
	ds_load_b128 v[34:37], v1 offset:1136
	s_clause 0x1
	scratch_load_b128 v[38:41], off, off offset:560
	scratch_load_b128 v[42:45], off, off offset:416
	ds_load_b128 v[137:140], v1 offset:1152
	scratch_load_b128 v[141:144], off, off offset:576
	s_wait_loadcnt_dscnt 0xa01
	v_mul_f64_e32 v[145:146], v[36:37], v[4:5]
	v_mul_f64_e32 v[4:5], v[34:35], v[4:5]
	s_delay_alu instid0(VALU_DEP_2) | instskip(NEXT) | instid1(VALU_DEP_2)
	v_fma_f64 v[151:152], v[34:35], v[2:3], -v[145:146]
	v_fma_f64 v[153:154], v[36:37], v[2:3], v[4:5]
	ds_load_b128 v[2:5], v1 offset:1168
	s_wait_loadcnt_dscnt 0x901
	v_mul_f64_e32 v[149:150], v[137:138], v[8:9]
	v_mul_f64_e32 v[8:9], v[139:140], v[8:9]
	scratch_load_b128 v[34:37], off, off offset:592
	ds_load_b128 v[145:148], v1 offset:1184
	s_wait_loadcnt_dscnt 0x901
	v_mul_f64_e32 v[155:156], v[2:3], v[12:13]
	v_mul_f64_e32 v[12:13], v[4:5], v[12:13]
	v_fma_f64 v[139:140], v[139:140], v[6:7], v[149:150]
	v_fma_f64 v[137:138], v[137:138], v[6:7], -v[8:9]
	v_add_f64_e32 v[149:150], 0, v[151:152]
	v_add_f64_e32 v[151:152], 0, v[153:154]
	scratch_load_b128 v[6:9], off, off offset:608
	v_fma_f64 v[155:156], v[4:5], v[10:11], v[155:156]
	v_fma_f64 v[157:158], v[2:3], v[10:11], -v[12:13]
	ds_load_b128 v[2:5], v1 offset:1200
	s_wait_loadcnt_dscnt 0x901
	v_mul_f64_e32 v[153:154], v[145:146], v[16:17]
	v_mul_f64_e32 v[16:17], v[147:148], v[16:17]
	scratch_load_b128 v[10:13], off, off offset:624
	v_add_f64_e32 v[149:150], v[149:150], v[137:138]
	v_add_f64_e32 v[151:152], v[151:152], v[139:140]
	s_wait_loadcnt_dscnt 0x900
	v_mul_f64_e32 v[159:160], v[2:3], v[20:21]
	v_mul_f64_e32 v[20:21], v[4:5], v[20:21]
	ds_load_b128 v[137:140], v1 offset:1216
	v_fma_f64 v[147:148], v[147:148], v[14:15], v[153:154]
	v_fma_f64 v[145:146], v[145:146], v[14:15], -v[16:17]
	scratch_load_b128 v[14:17], off, off offset:640
	v_add_f64_e32 v[149:150], v[149:150], v[157:158]
	v_add_f64_e32 v[151:152], v[151:152], v[155:156]
	v_fma_f64 v[155:156], v[4:5], v[18:19], v[159:160]
	v_fma_f64 v[157:158], v[2:3], v[18:19], -v[20:21]
	ds_load_b128 v[2:5], v1 offset:1232
	s_wait_loadcnt_dscnt 0x901
	v_mul_f64_e32 v[153:154], v[137:138], v[24:25]
	v_mul_f64_e32 v[24:25], v[139:140], v[24:25]
	scratch_load_b128 v[18:21], off, off offset:656
	s_wait_loadcnt_dscnt 0x900
	v_mul_f64_e32 v[159:160], v[2:3], v[28:29]
	v_mul_f64_e32 v[28:29], v[4:5], v[28:29]
	v_add_f64_e32 v[149:150], v[149:150], v[145:146]
	v_add_f64_e32 v[151:152], v[151:152], v[147:148]
	ds_load_b128 v[145:148], v1 offset:1248
	v_fma_f64 v[139:140], v[139:140], v[22:23], v[153:154]
	v_fma_f64 v[137:138], v[137:138], v[22:23], -v[24:25]
	scratch_load_b128 v[22:25], off, off offset:672
	v_add_f64_e32 v[149:150], v[149:150], v[157:158]
	v_add_f64_e32 v[151:152], v[151:152], v[155:156]
	v_fma_f64 v[155:156], v[4:5], v[26:27], v[159:160]
	v_fma_f64 v[157:158], v[2:3], v[26:27], -v[28:29]
	ds_load_b128 v[2:5], v1 offset:1264
	s_wait_loadcnt_dscnt 0x901
	v_mul_f64_e32 v[153:154], v[145:146], v[32:33]
	v_mul_f64_e32 v[32:33], v[147:148], v[32:33]
	scratch_load_b128 v[26:29], off, off offset:688
	s_wait_loadcnt_dscnt 0x900
	v_mul_f64_e32 v[159:160], v[2:3], v[40:41]
	v_mul_f64_e32 v[40:41], v[4:5], v[40:41]
	v_add_f64_e32 v[149:150], v[149:150], v[137:138]
	v_add_f64_e32 v[151:152], v[151:152], v[139:140]
	ds_load_b128 v[137:140], v1 offset:1280
	v_fma_f64 v[147:148], v[147:148], v[30:31], v[153:154]
	v_fma_f64 v[145:146], v[145:146], v[30:31], -v[32:33]
	scratch_load_b128 v[30:33], off, off offset:704
	v_add_f64_e32 v[149:150], v[149:150], v[157:158]
	v_add_f64_e32 v[151:152], v[151:152], v[155:156]
	v_fma_f64 v[157:158], v[4:5], v[38:39], v[159:160]
	v_fma_f64 v[159:160], v[2:3], v[38:39], -v[40:41]
	ds_load_b128 v[2:5], v1 offset:1296
	s_wait_loadcnt_dscnt 0x801
	v_mul_f64_e32 v[153:154], v[137:138], v[143:144]
	v_mul_f64_e32 v[155:156], v[139:140], v[143:144]
	scratch_load_b128 v[38:41], off, off offset:720
	v_add_f64_e32 v[149:150], v[149:150], v[145:146]
	v_add_f64_e32 v[147:148], v[151:152], v[147:148]
	ds_load_b128 v[143:146], v1 offset:1312
	v_fma_f64 v[139:140], v[139:140], v[141:142], v[153:154]
	v_fma_f64 v[137:138], v[137:138], v[141:142], -v[155:156]
	s_wait_loadcnt_dscnt 0x801
	v_mul_f64_e32 v[151:152], v[2:3], v[36:37]
	v_mul_f64_e32 v[36:37], v[4:5], v[36:37]
	v_add_f64_e32 v[141:142], v[149:150], v[159:160]
	v_add_f64_e32 v[147:148], v[147:148], v[157:158]
	s_delay_alu instid0(VALU_DEP_4) | instskip(NEXT) | instid1(VALU_DEP_4)
	v_fma_f64 v[151:152], v[4:5], v[34:35], v[151:152]
	v_fma_f64 v[153:154], v[2:3], v[34:35], -v[36:37]
	s_wait_loadcnt_dscnt 0x700
	v_mul_f64_e32 v[149:150], v[143:144], v[8:9]
	v_mul_f64_e32 v[8:9], v[145:146], v[8:9]
	ds_load_b128 v[2:5], v1 offset:1328
	ds_load_b128 v[34:37], v1 offset:1344
	v_add_f64_e32 v[137:138], v[141:142], v[137:138]
	v_add_f64_e32 v[139:140], v[147:148], v[139:140]
	s_wait_loadcnt_dscnt 0x601
	v_mul_f64_e32 v[141:142], v[2:3], v[12:13]
	v_mul_f64_e32 v[12:13], v[4:5], v[12:13]
	v_fma_f64 v[145:146], v[145:146], v[6:7], v[149:150]
	v_fma_f64 v[6:7], v[143:144], v[6:7], -v[8:9]
	v_add_f64_e32 v[8:9], v[137:138], v[153:154]
	v_add_f64_e32 v[137:138], v[139:140], v[151:152]
	s_wait_loadcnt_dscnt 0x500
	v_mul_f64_e32 v[139:140], v[34:35], v[16:17]
	v_mul_f64_e32 v[16:17], v[36:37], v[16:17]
	v_fma_f64 v[141:142], v[4:5], v[10:11], v[141:142]
	v_fma_f64 v[10:11], v[2:3], v[10:11], -v[12:13]
	v_add_f64_e32 v[12:13], v[8:9], v[6:7]
	v_add_f64_e32 v[137:138], v[137:138], v[145:146]
	ds_load_b128 v[2:5], v1 offset:1360
	ds_load_b128 v[6:9], v1 offset:1376
	v_fma_f64 v[36:37], v[36:37], v[14:15], v[139:140]
	v_fma_f64 v[14:15], v[34:35], v[14:15], -v[16:17]
	s_wait_loadcnt_dscnt 0x401
	v_mul_f64_e32 v[143:144], v[2:3], v[20:21]
	v_mul_f64_e32 v[20:21], v[4:5], v[20:21]
	s_wait_loadcnt_dscnt 0x300
	v_mul_f64_e32 v[16:17], v[6:7], v[24:25]
	v_mul_f64_e32 v[24:25], v[8:9], v[24:25]
	v_add_f64_e32 v[10:11], v[12:13], v[10:11]
	v_add_f64_e32 v[12:13], v[137:138], v[141:142]
	v_fma_f64 v[34:35], v[4:5], v[18:19], v[143:144]
	v_fma_f64 v[18:19], v[2:3], v[18:19], -v[20:21]
	v_fma_f64 v[8:9], v[8:9], v[22:23], v[16:17]
	v_fma_f64 v[6:7], v[6:7], v[22:23], -v[24:25]
	v_add_f64_e32 v[14:15], v[10:11], v[14:15]
	v_add_f64_e32 v[20:21], v[12:13], v[36:37]
	ds_load_b128 v[2:5], v1 offset:1392
	ds_load_b128 v[10:13], v1 offset:1408
	s_wait_loadcnt_dscnt 0x201
	v_mul_f64_e32 v[36:37], v[2:3], v[28:29]
	v_mul_f64_e32 v[28:29], v[4:5], v[28:29]
	v_add_f64_e32 v[14:15], v[14:15], v[18:19]
	v_add_f64_e32 v[16:17], v[20:21], v[34:35]
	s_wait_loadcnt_dscnt 0x100
	v_mul_f64_e32 v[18:19], v[10:11], v[32:33]
	v_mul_f64_e32 v[20:21], v[12:13], v[32:33]
	v_fma_f64 v[22:23], v[4:5], v[26:27], v[36:37]
	v_fma_f64 v[24:25], v[2:3], v[26:27], -v[28:29]
	ds_load_b128 v[2:5], v1 offset:1424
	v_add_f64_e32 v[6:7], v[14:15], v[6:7]
	v_add_f64_e32 v[8:9], v[16:17], v[8:9]
	v_fma_f64 v[12:13], v[12:13], v[30:31], v[18:19]
	v_fma_f64 v[10:11], v[10:11], v[30:31], -v[20:21]
	s_wait_loadcnt_dscnt 0x0
	v_mul_f64_e32 v[14:15], v[2:3], v[40:41]
	v_mul_f64_e32 v[16:17], v[4:5], v[40:41]
	v_add_f64_e32 v[6:7], v[6:7], v[24:25]
	v_add_f64_e32 v[8:9], v[8:9], v[22:23]
	s_delay_alu instid0(VALU_DEP_4) | instskip(NEXT) | instid1(VALU_DEP_4)
	v_fma_f64 v[4:5], v[4:5], v[38:39], v[14:15]
	v_fma_f64 v[2:3], v[2:3], v[38:39], -v[16:17]
	s_delay_alu instid0(VALU_DEP_4) | instskip(NEXT) | instid1(VALU_DEP_4)
	v_add_f64_e32 v[6:7], v[6:7], v[10:11]
	v_add_f64_e32 v[8:9], v[8:9], v[12:13]
	s_delay_alu instid0(VALU_DEP_2) | instskip(NEXT) | instid1(VALU_DEP_2)
	v_add_f64_e32 v[2:3], v[6:7], v[2:3]
	v_add_f64_e32 v[4:5], v[8:9], v[4:5]
	s_delay_alu instid0(VALU_DEP_2) | instskip(NEXT) | instid1(VALU_DEP_2)
	v_add_f64_e64 v[2:3], v[42:43], -v[2:3]
	v_add_f64_e64 v[4:5], v[44:45], -v[4:5]
	scratch_store_b128 off, v[2:5], off offset:416
	v_cmpx_lt_u32_e32 24, v0
	s_cbranch_execz .LBB108_235
; %bb.234:
	scratch_load_b128 v[5:8], off, s34
	v_dual_mov_b32 v2, v1 :: v_dual_mov_b32 v3, v1
	v_mov_b32_e32 v4, v1
	scratch_store_b128 off, v[1:4], off offset:400
	s_wait_loadcnt 0x0
	ds_store_b128 v136, v[5:8]
.LBB108_235:
	s_wait_alu 0xfffe
	s_or_b32 exec_lo, exec_lo, s0
	s_wait_storecnt_dscnt 0x0
	s_barrier_signal -1
	s_barrier_wait -1
	global_inv scope:SCOPE_SE
	s_clause 0x8
	scratch_load_b128 v[2:5], off, off offset:416
	scratch_load_b128 v[6:9], off, off offset:432
	;; [unrolled: 1-line block ×9, first 2 shown]
	ds_load_b128 v[38:41], v1 offset:1120
	ds_load_b128 v[42:45], v1 offset:1136
	s_clause 0x1
	scratch_load_b128 v[137:140], off, off offset:400
	scratch_load_b128 v[141:144], off, off offset:560
	s_mov_b32 s0, exec_lo
	s_wait_loadcnt_dscnt 0xa01
	v_mul_f64_e32 v[145:146], v[40:41], v[4:5]
	v_mul_f64_e32 v[4:5], v[38:39], v[4:5]
	s_wait_loadcnt_dscnt 0x900
	v_mul_f64_e32 v[149:150], v[42:43], v[8:9]
	v_mul_f64_e32 v[8:9], v[44:45], v[8:9]
	s_delay_alu instid0(VALU_DEP_4) | instskip(NEXT) | instid1(VALU_DEP_4)
	v_fma_f64 v[151:152], v[38:39], v[2:3], -v[145:146]
	v_fma_f64 v[153:154], v[40:41], v[2:3], v[4:5]
	ds_load_b128 v[2:5], v1 offset:1152
	ds_load_b128 v[145:148], v1 offset:1168
	scratch_load_b128 v[38:41], off, off offset:576
	v_fma_f64 v[44:45], v[44:45], v[6:7], v[149:150]
	v_fma_f64 v[42:43], v[42:43], v[6:7], -v[8:9]
	scratch_load_b128 v[6:9], off, off offset:592
	s_wait_loadcnt_dscnt 0xa01
	v_mul_f64_e32 v[155:156], v[2:3], v[12:13]
	v_mul_f64_e32 v[12:13], v[4:5], v[12:13]
	v_add_f64_e32 v[149:150], 0, v[151:152]
	v_add_f64_e32 v[151:152], 0, v[153:154]
	s_wait_loadcnt_dscnt 0x900
	v_mul_f64_e32 v[153:154], v[145:146], v[16:17]
	v_mul_f64_e32 v[16:17], v[147:148], v[16:17]
	v_fma_f64 v[155:156], v[4:5], v[10:11], v[155:156]
	v_fma_f64 v[157:158], v[2:3], v[10:11], -v[12:13]
	ds_load_b128 v[2:5], v1 offset:1184
	scratch_load_b128 v[10:13], off, off offset:608
	v_add_f64_e32 v[149:150], v[149:150], v[42:43]
	v_add_f64_e32 v[151:152], v[151:152], v[44:45]
	ds_load_b128 v[42:45], v1 offset:1200
	v_fma_f64 v[147:148], v[147:148], v[14:15], v[153:154]
	v_fma_f64 v[145:146], v[145:146], v[14:15], -v[16:17]
	scratch_load_b128 v[14:17], off, off offset:624
	s_wait_loadcnt_dscnt 0xa01
	v_mul_f64_e32 v[159:160], v[2:3], v[20:21]
	v_mul_f64_e32 v[20:21], v[4:5], v[20:21]
	s_wait_loadcnt_dscnt 0x900
	v_mul_f64_e32 v[153:154], v[42:43], v[24:25]
	v_mul_f64_e32 v[24:25], v[44:45], v[24:25]
	v_add_f64_e32 v[149:150], v[149:150], v[157:158]
	v_add_f64_e32 v[151:152], v[151:152], v[155:156]
	v_fma_f64 v[155:156], v[4:5], v[18:19], v[159:160]
	v_fma_f64 v[157:158], v[2:3], v[18:19], -v[20:21]
	ds_load_b128 v[2:5], v1 offset:1216
	scratch_load_b128 v[18:21], off, off offset:640
	v_fma_f64 v[44:45], v[44:45], v[22:23], v[153:154]
	v_fma_f64 v[42:43], v[42:43], v[22:23], -v[24:25]
	scratch_load_b128 v[22:25], off, off offset:656
	v_add_f64_e32 v[149:150], v[149:150], v[145:146]
	v_add_f64_e32 v[151:152], v[151:152], v[147:148]
	ds_load_b128 v[145:148], v1 offset:1232
	s_wait_loadcnt_dscnt 0xa01
	v_mul_f64_e32 v[159:160], v[2:3], v[28:29]
	v_mul_f64_e32 v[28:29], v[4:5], v[28:29]
	s_wait_loadcnt_dscnt 0x900
	v_mul_f64_e32 v[153:154], v[145:146], v[32:33]
	v_mul_f64_e32 v[32:33], v[147:148], v[32:33]
	v_add_f64_e32 v[149:150], v[149:150], v[157:158]
	v_add_f64_e32 v[151:152], v[151:152], v[155:156]
	v_fma_f64 v[155:156], v[4:5], v[26:27], v[159:160]
	v_fma_f64 v[157:158], v[2:3], v[26:27], -v[28:29]
	ds_load_b128 v[2:5], v1 offset:1248
	scratch_load_b128 v[26:29], off, off offset:672
	v_fma_f64 v[147:148], v[147:148], v[30:31], v[153:154]
	v_fma_f64 v[145:146], v[145:146], v[30:31], -v[32:33]
	scratch_load_b128 v[30:33], off, off offset:688
	v_add_f64_e32 v[149:150], v[149:150], v[42:43]
	v_add_f64_e32 v[151:152], v[151:152], v[44:45]
	ds_load_b128 v[42:45], v1 offset:1264
	s_wait_loadcnt_dscnt 0xa01
	v_mul_f64_e32 v[159:160], v[2:3], v[36:37]
	v_mul_f64_e32 v[36:37], v[4:5], v[36:37]
	s_wait_loadcnt_dscnt 0x800
	v_mul_f64_e32 v[153:154], v[42:43], v[143:144]
	v_add_f64_e32 v[149:150], v[149:150], v[157:158]
	v_add_f64_e32 v[151:152], v[151:152], v[155:156]
	v_mul_f64_e32 v[155:156], v[44:45], v[143:144]
	v_fma_f64 v[157:158], v[4:5], v[34:35], v[159:160]
	v_fma_f64 v[159:160], v[2:3], v[34:35], -v[36:37]
	ds_load_b128 v[2:5], v1 offset:1280
	scratch_load_b128 v[34:37], off, off offset:704
	v_fma_f64 v[44:45], v[44:45], v[141:142], v[153:154]
	v_add_f64_e32 v[149:150], v[149:150], v[145:146]
	v_add_f64_e32 v[147:148], v[151:152], v[147:148]
	ds_load_b128 v[143:146], v1 offset:1296
	v_fma_f64 v[141:142], v[42:43], v[141:142], -v[155:156]
	s_wait_loadcnt_dscnt 0x801
	v_mul_f64_e32 v[151:152], v[2:3], v[40:41]
	v_mul_f64_e32 v[161:162], v[4:5], v[40:41]
	scratch_load_b128 v[40:43], off, off offset:720
	s_wait_loadcnt_dscnt 0x800
	v_mul_f64_e32 v[153:154], v[143:144], v[8:9]
	v_mul_f64_e32 v[8:9], v[145:146], v[8:9]
	v_add_f64_e32 v[149:150], v[149:150], v[159:160]
	v_add_f64_e32 v[147:148], v[147:148], v[157:158]
	v_fma_f64 v[151:152], v[4:5], v[38:39], v[151:152]
	v_fma_f64 v[38:39], v[2:3], v[38:39], -v[161:162]
	v_fma_f64 v[145:146], v[145:146], v[6:7], v[153:154]
	v_fma_f64 v[6:7], v[143:144], v[6:7], -v[8:9]
	v_add_f64_e32 v[141:142], v[149:150], v[141:142]
	v_add_f64_e32 v[44:45], v[147:148], v[44:45]
	ds_load_b128 v[2:5], v1 offset:1312
	ds_load_b128 v[147:150], v1 offset:1328
	s_wait_loadcnt_dscnt 0x701
	v_mul_f64_e32 v[155:156], v[2:3], v[12:13]
	v_mul_f64_e32 v[12:13], v[4:5], v[12:13]
	v_add_f64_e32 v[8:9], v[141:142], v[38:39]
	v_add_f64_e32 v[38:39], v[44:45], v[151:152]
	s_wait_loadcnt_dscnt 0x600
	v_mul_f64_e32 v[44:45], v[147:148], v[16:17]
	v_mul_f64_e32 v[16:17], v[149:150], v[16:17]
	v_fma_f64 v[141:142], v[4:5], v[10:11], v[155:156]
	v_fma_f64 v[10:11], v[2:3], v[10:11], -v[12:13]
	v_add_f64_e32 v[12:13], v[8:9], v[6:7]
	v_add_f64_e32 v[38:39], v[38:39], v[145:146]
	ds_load_b128 v[2:5], v1 offset:1344
	ds_load_b128 v[6:9], v1 offset:1360
	v_fma_f64 v[44:45], v[149:150], v[14:15], v[44:45]
	v_fma_f64 v[14:15], v[147:148], v[14:15], -v[16:17]
	s_wait_loadcnt_dscnt 0x501
	v_mul_f64_e32 v[143:144], v[2:3], v[20:21]
	v_mul_f64_e32 v[20:21], v[4:5], v[20:21]
	s_wait_loadcnt_dscnt 0x400
	v_mul_f64_e32 v[16:17], v[6:7], v[24:25]
	v_mul_f64_e32 v[24:25], v[8:9], v[24:25]
	v_add_f64_e32 v[10:11], v[12:13], v[10:11]
	v_add_f64_e32 v[12:13], v[38:39], v[141:142]
	v_fma_f64 v[38:39], v[4:5], v[18:19], v[143:144]
	v_fma_f64 v[18:19], v[2:3], v[18:19], -v[20:21]
	v_fma_f64 v[8:9], v[8:9], v[22:23], v[16:17]
	v_fma_f64 v[6:7], v[6:7], v[22:23], -v[24:25]
	v_add_f64_e32 v[14:15], v[10:11], v[14:15]
	v_add_f64_e32 v[20:21], v[12:13], v[44:45]
	ds_load_b128 v[2:5], v1 offset:1376
	ds_load_b128 v[10:13], v1 offset:1392
	s_wait_loadcnt_dscnt 0x301
	v_mul_f64_e32 v[44:45], v[2:3], v[28:29]
	v_mul_f64_e32 v[28:29], v[4:5], v[28:29]
	v_add_f64_e32 v[14:15], v[14:15], v[18:19]
	v_add_f64_e32 v[16:17], v[20:21], v[38:39]
	s_wait_loadcnt_dscnt 0x200
	v_mul_f64_e32 v[18:19], v[10:11], v[32:33]
	v_mul_f64_e32 v[20:21], v[12:13], v[32:33]
	v_fma_f64 v[22:23], v[4:5], v[26:27], v[44:45]
	v_fma_f64 v[24:25], v[2:3], v[26:27], -v[28:29]
	v_add_f64_e32 v[14:15], v[14:15], v[6:7]
	v_add_f64_e32 v[16:17], v[16:17], v[8:9]
	ds_load_b128 v[2:5], v1 offset:1408
	ds_load_b128 v[6:9], v1 offset:1424
	v_fma_f64 v[12:13], v[12:13], v[30:31], v[18:19]
	v_fma_f64 v[10:11], v[10:11], v[30:31], -v[20:21]
	s_wait_loadcnt_dscnt 0x101
	v_mul_f64_e32 v[26:27], v[2:3], v[36:37]
	v_mul_f64_e32 v[28:29], v[4:5], v[36:37]
	s_wait_loadcnt_dscnt 0x0
	v_mul_f64_e32 v[18:19], v[6:7], v[42:43]
	v_add_f64_e32 v[14:15], v[14:15], v[24:25]
	v_add_f64_e32 v[16:17], v[16:17], v[22:23]
	v_mul_f64_e32 v[20:21], v[8:9], v[42:43]
	v_fma_f64 v[4:5], v[4:5], v[34:35], v[26:27]
	v_fma_f64 v[1:2], v[2:3], v[34:35], -v[28:29]
	v_fma_f64 v[8:9], v[8:9], v[40:41], v[18:19]
	v_add_f64_e32 v[10:11], v[14:15], v[10:11]
	v_add_f64_e32 v[12:13], v[16:17], v[12:13]
	v_fma_f64 v[6:7], v[6:7], v[40:41], -v[20:21]
	s_delay_alu instid0(VALU_DEP_3) | instskip(NEXT) | instid1(VALU_DEP_3)
	v_add_f64_e32 v[1:2], v[10:11], v[1:2]
	v_add_f64_e32 v[3:4], v[12:13], v[4:5]
	s_delay_alu instid0(VALU_DEP_2) | instskip(NEXT) | instid1(VALU_DEP_2)
	v_add_f64_e32 v[1:2], v[1:2], v[6:7]
	v_add_f64_e32 v[3:4], v[3:4], v[8:9]
	s_delay_alu instid0(VALU_DEP_2) | instskip(NEXT) | instid1(VALU_DEP_2)
	v_add_f64_e64 v[1:2], v[137:138], -v[1:2]
	v_add_f64_e64 v[3:4], v[139:140], -v[3:4]
	scratch_store_b128 off, v[1:4], off offset:400
	v_cmpx_lt_u32_e32 23, v0
	s_cbranch_execz .LBB108_237
; %bb.236:
	scratch_load_b128 v[1:4], off, s35
	v_mov_b32_e32 v5, 0
	s_delay_alu instid0(VALU_DEP_1)
	v_dual_mov_b32 v6, v5 :: v_dual_mov_b32 v7, v5
	v_mov_b32_e32 v8, v5
	scratch_store_b128 off, v[5:8], off offset:384
	s_wait_loadcnt 0x0
	ds_store_b128 v136, v[1:4]
.LBB108_237:
	s_wait_alu 0xfffe
	s_or_b32 exec_lo, exec_lo, s0
	s_wait_storecnt_dscnt 0x0
	s_barrier_signal -1
	s_barrier_wait -1
	global_inv scope:SCOPE_SE
	s_clause 0x7
	scratch_load_b128 v[2:5], off, off offset:400
	scratch_load_b128 v[6:9], off, off offset:416
	;; [unrolled: 1-line block ×8, first 2 shown]
	v_mov_b32_e32 v1, 0
	s_mov_b32 s0, exec_lo
	ds_load_b128 v[34:37], v1 offset:1104
	s_clause 0x1
	scratch_load_b128 v[38:41], off, off offset:528
	scratch_load_b128 v[42:45], off, off offset:384
	ds_load_b128 v[137:140], v1 offset:1120
	scratch_load_b128 v[141:144], off, off offset:544
	s_wait_loadcnt_dscnt 0xa01
	v_mul_f64_e32 v[145:146], v[36:37], v[4:5]
	v_mul_f64_e32 v[4:5], v[34:35], v[4:5]
	s_delay_alu instid0(VALU_DEP_2) | instskip(NEXT) | instid1(VALU_DEP_2)
	v_fma_f64 v[151:152], v[34:35], v[2:3], -v[145:146]
	v_fma_f64 v[153:154], v[36:37], v[2:3], v[4:5]
	ds_load_b128 v[2:5], v1 offset:1136
	s_wait_loadcnt_dscnt 0x901
	v_mul_f64_e32 v[149:150], v[137:138], v[8:9]
	v_mul_f64_e32 v[8:9], v[139:140], v[8:9]
	scratch_load_b128 v[34:37], off, off offset:560
	ds_load_b128 v[145:148], v1 offset:1152
	s_wait_loadcnt_dscnt 0x901
	v_mul_f64_e32 v[155:156], v[2:3], v[12:13]
	v_mul_f64_e32 v[12:13], v[4:5], v[12:13]
	v_fma_f64 v[139:140], v[139:140], v[6:7], v[149:150]
	v_fma_f64 v[137:138], v[137:138], v[6:7], -v[8:9]
	v_add_f64_e32 v[149:150], 0, v[151:152]
	v_add_f64_e32 v[151:152], 0, v[153:154]
	scratch_load_b128 v[6:9], off, off offset:576
	v_fma_f64 v[155:156], v[4:5], v[10:11], v[155:156]
	v_fma_f64 v[157:158], v[2:3], v[10:11], -v[12:13]
	ds_load_b128 v[2:5], v1 offset:1168
	s_wait_loadcnt_dscnt 0x901
	v_mul_f64_e32 v[153:154], v[145:146], v[16:17]
	v_mul_f64_e32 v[16:17], v[147:148], v[16:17]
	scratch_load_b128 v[10:13], off, off offset:592
	v_add_f64_e32 v[149:150], v[149:150], v[137:138]
	v_add_f64_e32 v[151:152], v[151:152], v[139:140]
	s_wait_loadcnt_dscnt 0x900
	v_mul_f64_e32 v[159:160], v[2:3], v[20:21]
	v_mul_f64_e32 v[20:21], v[4:5], v[20:21]
	ds_load_b128 v[137:140], v1 offset:1184
	v_fma_f64 v[147:148], v[147:148], v[14:15], v[153:154]
	v_fma_f64 v[145:146], v[145:146], v[14:15], -v[16:17]
	scratch_load_b128 v[14:17], off, off offset:608
	v_add_f64_e32 v[149:150], v[149:150], v[157:158]
	v_add_f64_e32 v[151:152], v[151:152], v[155:156]
	v_fma_f64 v[155:156], v[4:5], v[18:19], v[159:160]
	v_fma_f64 v[157:158], v[2:3], v[18:19], -v[20:21]
	ds_load_b128 v[2:5], v1 offset:1200
	s_wait_loadcnt_dscnt 0x901
	v_mul_f64_e32 v[153:154], v[137:138], v[24:25]
	v_mul_f64_e32 v[24:25], v[139:140], v[24:25]
	scratch_load_b128 v[18:21], off, off offset:624
	s_wait_loadcnt_dscnt 0x900
	v_mul_f64_e32 v[159:160], v[2:3], v[28:29]
	v_mul_f64_e32 v[28:29], v[4:5], v[28:29]
	v_add_f64_e32 v[149:150], v[149:150], v[145:146]
	v_add_f64_e32 v[151:152], v[151:152], v[147:148]
	ds_load_b128 v[145:148], v1 offset:1216
	v_fma_f64 v[139:140], v[139:140], v[22:23], v[153:154]
	v_fma_f64 v[137:138], v[137:138], v[22:23], -v[24:25]
	scratch_load_b128 v[22:25], off, off offset:640
	v_add_f64_e32 v[149:150], v[149:150], v[157:158]
	v_add_f64_e32 v[151:152], v[151:152], v[155:156]
	v_fma_f64 v[155:156], v[4:5], v[26:27], v[159:160]
	v_fma_f64 v[157:158], v[2:3], v[26:27], -v[28:29]
	ds_load_b128 v[2:5], v1 offset:1232
	s_wait_loadcnt_dscnt 0x901
	v_mul_f64_e32 v[153:154], v[145:146], v[32:33]
	v_mul_f64_e32 v[32:33], v[147:148], v[32:33]
	scratch_load_b128 v[26:29], off, off offset:656
	s_wait_loadcnt_dscnt 0x900
	v_mul_f64_e32 v[159:160], v[2:3], v[40:41]
	v_mul_f64_e32 v[40:41], v[4:5], v[40:41]
	v_add_f64_e32 v[149:150], v[149:150], v[137:138]
	v_add_f64_e32 v[151:152], v[151:152], v[139:140]
	ds_load_b128 v[137:140], v1 offset:1248
	v_fma_f64 v[147:148], v[147:148], v[30:31], v[153:154]
	v_fma_f64 v[145:146], v[145:146], v[30:31], -v[32:33]
	scratch_load_b128 v[30:33], off, off offset:672
	v_add_f64_e32 v[149:150], v[149:150], v[157:158]
	v_add_f64_e32 v[151:152], v[151:152], v[155:156]
	v_fma_f64 v[157:158], v[4:5], v[38:39], v[159:160]
	v_fma_f64 v[159:160], v[2:3], v[38:39], -v[40:41]
	ds_load_b128 v[2:5], v1 offset:1264
	s_wait_loadcnt_dscnt 0x801
	v_mul_f64_e32 v[153:154], v[137:138], v[143:144]
	v_mul_f64_e32 v[155:156], v[139:140], v[143:144]
	scratch_load_b128 v[38:41], off, off offset:688
	v_add_f64_e32 v[149:150], v[149:150], v[145:146]
	v_add_f64_e32 v[147:148], v[151:152], v[147:148]
	ds_load_b128 v[143:146], v1 offset:1280
	v_fma_f64 v[153:154], v[139:140], v[141:142], v[153:154]
	v_fma_f64 v[141:142], v[137:138], v[141:142], -v[155:156]
	scratch_load_b128 v[137:140], off, off offset:704
	s_wait_loadcnt_dscnt 0x901
	v_mul_f64_e32 v[151:152], v[2:3], v[36:37]
	v_mul_f64_e32 v[36:37], v[4:5], v[36:37]
	v_add_f64_e32 v[149:150], v[149:150], v[159:160]
	v_add_f64_e32 v[147:148], v[147:148], v[157:158]
	s_delay_alu instid0(VALU_DEP_4) | instskip(NEXT) | instid1(VALU_DEP_4)
	v_fma_f64 v[151:152], v[4:5], v[34:35], v[151:152]
	v_fma_f64 v[157:158], v[2:3], v[34:35], -v[36:37]
	ds_load_b128 v[2:5], v1 offset:1296
	s_wait_loadcnt_dscnt 0x801
	v_mul_f64_e32 v[155:156], v[143:144], v[8:9]
	v_mul_f64_e32 v[8:9], v[145:146], v[8:9]
	scratch_load_b128 v[34:37], off, off offset:720
	s_wait_loadcnt_dscnt 0x800
	v_mul_f64_e32 v[159:160], v[2:3], v[12:13]
	v_add_f64_e32 v[141:142], v[149:150], v[141:142]
	v_add_f64_e32 v[153:154], v[147:148], v[153:154]
	v_mul_f64_e32 v[12:13], v[4:5], v[12:13]
	ds_load_b128 v[147:150], v1 offset:1312
	v_fma_f64 v[145:146], v[145:146], v[6:7], v[155:156]
	v_fma_f64 v[6:7], v[143:144], v[6:7], -v[8:9]
	s_wait_loadcnt_dscnt 0x700
	v_mul_f64_e32 v[143:144], v[147:148], v[16:17]
	v_add_f64_e32 v[8:9], v[141:142], v[157:158]
	v_add_f64_e32 v[141:142], v[153:154], v[151:152]
	v_mul_f64_e32 v[16:17], v[149:150], v[16:17]
	v_fma_f64 v[151:152], v[4:5], v[10:11], v[159:160]
	v_fma_f64 v[10:11], v[2:3], v[10:11], -v[12:13]
	v_fma_f64 v[143:144], v[149:150], v[14:15], v[143:144]
	v_add_f64_e32 v[12:13], v[8:9], v[6:7]
	v_add_f64_e32 v[141:142], v[141:142], v[145:146]
	ds_load_b128 v[2:5], v1 offset:1328
	ds_load_b128 v[6:9], v1 offset:1344
	v_fma_f64 v[14:15], v[147:148], v[14:15], -v[16:17]
	s_wait_loadcnt_dscnt 0x601
	v_mul_f64_e32 v[145:146], v[2:3], v[20:21]
	v_mul_f64_e32 v[20:21], v[4:5], v[20:21]
	s_wait_loadcnt_dscnt 0x500
	v_mul_f64_e32 v[16:17], v[6:7], v[24:25]
	v_mul_f64_e32 v[24:25], v[8:9], v[24:25]
	v_add_f64_e32 v[10:11], v[12:13], v[10:11]
	v_add_f64_e32 v[12:13], v[141:142], v[151:152]
	v_fma_f64 v[141:142], v[4:5], v[18:19], v[145:146]
	v_fma_f64 v[18:19], v[2:3], v[18:19], -v[20:21]
	v_fma_f64 v[8:9], v[8:9], v[22:23], v[16:17]
	v_fma_f64 v[6:7], v[6:7], v[22:23], -v[24:25]
	v_add_f64_e32 v[14:15], v[10:11], v[14:15]
	v_add_f64_e32 v[20:21], v[12:13], v[143:144]
	ds_load_b128 v[2:5], v1 offset:1360
	ds_load_b128 v[10:13], v1 offset:1376
	s_wait_loadcnt_dscnt 0x401
	v_mul_f64_e32 v[143:144], v[2:3], v[28:29]
	v_mul_f64_e32 v[28:29], v[4:5], v[28:29]
	v_add_f64_e32 v[14:15], v[14:15], v[18:19]
	v_add_f64_e32 v[16:17], v[20:21], v[141:142]
	s_wait_loadcnt_dscnt 0x300
	v_mul_f64_e32 v[18:19], v[10:11], v[32:33]
	v_mul_f64_e32 v[20:21], v[12:13], v[32:33]
	v_fma_f64 v[22:23], v[4:5], v[26:27], v[143:144]
	v_fma_f64 v[24:25], v[2:3], v[26:27], -v[28:29]
	v_add_f64_e32 v[14:15], v[14:15], v[6:7]
	v_add_f64_e32 v[16:17], v[16:17], v[8:9]
	ds_load_b128 v[2:5], v1 offset:1392
	ds_load_b128 v[6:9], v1 offset:1408
	v_fma_f64 v[12:13], v[12:13], v[30:31], v[18:19]
	v_fma_f64 v[10:11], v[10:11], v[30:31], -v[20:21]
	s_wait_loadcnt_dscnt 0x201
	v_mul_f64_e32 v[26:27], v[2:3], v[40:41]
	v_mul_f64_e32 v[28:29], v[4:5], v[40:41]
	s_wait_loadcnt_dscnt 0x100
	v_mul_f64_e32 v[18:19], v[6:7], v[139:140]
	v_mul_f64_e32 v[20:21], v[8:9], v[139:140]
	v_add_f64_e32 v[14:15], v[14:15], v[24:25]
	v_add_f64_e32 v[16:17], v[16:17], v[22:23]
	v_fma_f64 v[22:23], v[4:5], v[38:39], v[26:27]
	v_fma_f64 v[24:25], v[2:3], v[38:39], -v[28:29]
	ds_load_b128 v[2:5], v1 offset:1424
	v_fma_f64 v[8:9], v[8:9], v[137:138], v[18:19]
	v_fma_f64 v[6:7], v[6:7], v[137:138], -v[20:21]
	v_add_f64_e32 v[10:11], v[14:15], v[10:11]
	v_add_f64_e32 v[12:13], v[16:17], v[12:13]
	s_wait_loadcnt_dscnt 0x0
	v_mul_f64_e32 v[14:15], v[2:3], v[36:37]
	v_mul_f64_e32 v[16:17], v[4:5], v[36:37]
	s_delay_alu instid0(VALU_DEP_4) | instskip(NEXT) | instid1(VALU_DEP_4)
	v_add_f64_e32 v[10:11], v[10:11], v[24:25]
	v_add_f64_e32 v[12:13], v[12:13], v[22:23]
	s_delay_alu instid0(VALU_DEP_4) | instskip(NEXT) | instid1(VALU_DEP_4)
	v_fma_f64 v[4:5], v[4:5], v[34:35], v[14:15]
	v_fma_f64 v[2:3], v[2:3], v[34:35], -v[16:17]
	s_delay_alu instid0(VALU_DEP_4) | instskip(NEXT) | instid1(VALU_DEP_4)
	v_add_f64_e32 v[6:7], v[10:11], v[6:7]
	v_add_f64_e32 v[8:9], v[12:13], v[8:9]
	s_delay_alu instid0(VALU_DEP_2) | instskip(NEXT) | instid1(VALU_DEP_2)
	v_add_f64_e32 v[2:3], v[6:7], v[2:3]
	v_add_f64_e32 v[4:5], v[8:9], v[4:5]
	s_delay_alu instid0(VALU_DEP_2) | instskip(NEXT) | instid1(VALU_DEP_2)
	v_add_f64_e64 v[2:3], v[42:43], -v[2:3]
	v_add_f64_e64 v[4:5], v[44:45], -v[4:5]
	scratch_store_b128 off, v[2:5], off offset:384
	v_cmpx_lt_u32_e32 22, v0
	s_cbranch_execz .LBB108_239
; %bb.238:
	scratch_load_b128 v[5:8], off, s36
	v_dual_mov_b32 v2, v1 :: v_dual_mov_b32 v3, v1
	v_mov_b32_e32 v4, v1
	scratch_store_b128 off, v[1:4], off offset:368
	s_wait_loadcnt 0x0
	ds_store_b128 v136, v[5:8]
.LBB108_239:
	s_wait_alu 0xfffe
	s_or_b32 exec_lo, exec_lo, s0
	s_wait_storecnt_dscnt 0x0
	s_barrier_signal -1
	s_barrier_wait -1
	global_inv scope:SCOPE_SE
	s_clause 0x8
	scratch_load_b128 v[2:5], off, off offset:384
	scratch_load_b128 v[6:9], off, off offset:400
	;; [unrolled: 1-line block ×9, first 2 shown]
	ds_load_b128 v[38:41], v1 offset:1088
	ds_load_b128 v[42:45], v1 offset:1104
	s_clause 0x1
	scratch_load_b128 v[137:140], off, off offset:368
	scratch_load_b128 v[141:144], off, off offset:528
	s_mov_b32 s0, exec_lo
	s_wait_loadcnt_dscnt 0xa01
	v_mul_f64_e32 v[145:146], v[40:41], v[4:5]
	v_mul_f64_e32 v[4:5], v[38:39], v[4:5]
	s_wait_loadcnt_dscnt 0x900
	v_mul_f64_e32 v[149:150], v[42:43], v[8:9]
	v_mul_f64_e32 v[8:9], v[44:45], v[8:9]
	s_delay_alu instid0(VALU_DEP_4) | instskip(NEXT) | instid1(VALU_DEP_4)
	v_fma_f64 v[151:152], v[38:39], v[2:3], -v[145:146]
	v_fma_f64 v[153:154], v[40:41], v[2:3], v[4:5]
	ds_load_b128 v[2:5], v1 offset:1120
	ds_load_b128 v[145:148], v1 offset:1136
	scratch_load_b128 v[38:41], off, off offset:544
	v_fma_f64 v[44:45], v[44:45], v[6:7], v[149:150]
	v_fma_f64 v[42:43], v[42:43], v[6:7], -v[8:9]
	scratch_load_b128 v[6:9], off, off offset:560
	s_wait_loadcnt_dscnt 0xa01
	v_mul_f64_e32 v[155:156], v[2:3], v[12:13]
	v_mul_f64_e32 v[12:13], v[4:5], v[12:13]
	v_add_f64_e32 v[149:150], 0, v[151:152]
	v_add_f64_e32 v[151:152], 0, v[153:154]
	s_wait_loadcnt_dscnt 0x900
	v_mul_f64_e32 v[153:154], v[145:146], v[16:17]
	v_mul_f64_e32 v[16:17], v[147:148], v[16:17]
	v_fma_f64 v[155:156], v[4:5], v[10:11], v[155:156]
	v_fma_f64 v[157:158], v[2:3], v[10:11], -v[12:13]
	ds_load_b128 v[2:5], v1 offset:1152
	scratch_load_b128 v[10:13], off, off offset:576
	v_add_f64_e32 v[149:150], v[149:150], v[42:43]
	v_add_f64_e32 v[151:152], v[151:152], v[44:45]
	ds_load_b128 v[42:45], v1 offset:1168
	v_fma_f64 v[147:148], v[147:148], v[14:15], v[153:154]
	v_fma_f64 v[145:146], v[145:146], v[14:15], -v[16:17]
	scratch_load_b128 v[14:17], off, off offset:592
	s_wait_loadcnt_dscnt 0xa01
	v_mul_f64_e32 v[159:160], v[2:3], v[20:21]
	v_mul_f64_e32 v[20:21], v[4:5], v[20:21]
	s_wait_loadcnt_dscnt 0x900
	v_mul_f64_e32 v[153:154], v[42:43], v[24:25]
	v_mul_f64_e32 v[24:25], v[44:45], v[24:25]
	v_add_f64_e32 v[149:150], v[149:150], v[157:158]
	v_add_f64_e32 v[151:152], v[151:152], v[155:156]
	v_fma_f64 v[155:156], v[4:5], v[18:19], v[159:160]
	v_fma_f64 v[157:158], v[2:3], v[18:19], -v[20:21]
	ds_load_b128 v[2:5], v1 offset:1184
	scratch_load_b128 v[18:21], off, off offset:608
	v_fma_f64 v[44:45], v[44:45], v[22:23], v[153:154]
	v_fma_f64 v[42:43], v[42:43], v[22:23], -v[24:25]
	scratch_load_b128 v[22:25], off, off offset:624
	v_add_f64_e32 v[149:150], v[149:150], v[145:146]
	v_add_f64_e32 v[151:152], v[151:152], v[147:148]
	ds_load_b128 v[145:148], v1 offset:1200
	s_wait_loadcnt_dscnt 0xa01
	v_mul_f64_e32 v[159:160], v[2:3], v[28:29]
	v_mul_f64_e32 v[28:29], v[4:5], v[28:29]
	s_wait_loadcnt_dscnt 0x900
	v_mul_f64_e32 v[153:154], v[145:146], v[32:33]
	v_mul_f64_e32 v[32:33], v[147:148], v[32:33]
	v_add_f64_e32 v[149:150], v[149:150], v[157:158]
	v_add_f64_e32 v[151:152], v[151:152], v[155:156]
	v_fma_f64 v[155:156], v[4:5], v[26:27], v[159:160]
	v_fma_f64 v[157:158], v[2:3], v[26:27], -v[28:29]
	ds_load_b128 v[2:5], v1 offset:1216
	scratch_load_b128 v[26:29], off, off offset:640
	v_fma_f64 v[147:148], v[147:148], v[30:31], v[153:154]
	v_fma_f64 v[145:146], v[145:146], v[30:31], -v[32:33]
	scratch_load_b128 v[30:33], off, off offset:656
	v_add_f64_e32 v[149:150], v[149:150], v[42:43]
	v_add_f64_e32 v[151:152], v[151:152], v[44:45]
	ds_load_b128 v[42:45], v1 offset:1232
	s_wait_loadcnt_dscnt 0xa01
	v_mul_f64_e32 v[159:160], v[2:3], v[36:37]
	v_mul_f64_e32 v[36:37], v[4:5], v[36:37]
	s_wait_loadcnt_dscnt 0x800
	v_mul_f64_e32 v[153:154], v[42:43], v[143:144]
	v_add_f64_e32 v[149:150], v[149:150], v[157:158]
	v_add_f64_e32 v[151:152], v[151:152], v[155:156]
	v_mul_f64_e32 v[155:156], v[44:45], v[143:144]
	v_fma_f64 v[157:158], v[4:5], v[34:35], v[159:160]
	v_fma_f64 v[159:160], v[2:3], v[34:35], -v[36:37]
	ds_load_b128 v[2:5], v1 offset:1248
	scratch_load_b128 v[34:37], off, off offset:672
	v_fma_f64 v[44:45], v[44:45], v[141:142], v[153:154]
	v_add_f64_e32 v[149:150], v[149:150], v[145:146]
	v_add_f64_e32 v[147:148], v[151:152], v[147:148]
	ds_load_b128 v[143:146], v1 offset:1264
	v_fma_f64 v[141:142], v[42:43], v[141:142], -v[155:156]
	s_wait_loadcnt_dscnt 0x801
	v_mul_f64_e32 v[151:152], v[2:3], v[40:41]
	v_mul_f64_e32 v[161:162], v[4:5], v[40:41]
	scratch_load_b128 v[40:43], off, off offset:688
	s_wait_loadcnt_dscnt 0x800
	v_mul_f64_e32 v[155:156], v[143:144], v[8:9]
	v_mul_f64_e32 v[8:9], v[145:146], v[8:9]
	v_add_f64_e32 v[149:150], v[149:150], v[159:160]
	v_add_f64_e32 v[147:148], v[147:148], v[157:158]
	v_fma_f64 v[157:158], v[4:5], v[38:39], v[151:152]
	v_fma_f64 v[38:39], v[2:3], v[38:39], -v[161:162]
	ds_load_b128 v[2:5], v1 offset:1280
	ds_load_b128 v[151:154], v1 offset:1296
	v_fma_f64 v[145:146], v[145:146], v[6:7], v[155:156]
	v_fma_f64 v[143:144], v[143:144], v[6:7], -v[8:9]
	scratch_load_b128 v[6:9], off, off offset:720
	v_add_f64_e32 v[141:142], v[149:150], v[141:142]
	v_add_f64_e32 v[44:45], v[147:148], v[44:45]
	scratch_load_b128 v[147:150], off, off offset:704
	s_wait_loadcnt_dscnt 0x901
	v_mul_f64_e32 v[159:160], v[2:3], v[12:13]
	v_mul_f64_e32 v[12:13], v[4:5], v[12:13]
	v_add_f64_e32 v[38:39], v[141:142], v[38:39]
	v_add_f64_e32 v[44:45], v[44:45], v[157:158]
	s_wait_loadcnt_dscnt 0x800
	v_mul_f64_e32 v[141:142], v[151:152], v[16:17]
	v_mul_f64_e32 v[16:17], v[153:154], v[16:17]
	v_fma_f64 v[155:156], v[4:5], v[10:11], v[159:160]
	v_fma_f64 v[157:158], v[2:3], v[10:11], -v[12:13]
	ds_load_b128 v[2:5], v1 offset:1312
	ds_load_b128 v[10:13], v1 offset:1328
	v_add_f64_e32 v[38:39], v[38:39], v[143:144]
	v_add_f64_e32 v[44:45], v[44:45], v[145:146]
	s_wait_loadcnt_dscnt 0x701
	v_mul_f64_e32 v[143:144], v[2:3], v[20:21]
	v_mul_f64_e32 v[20:21], v[4:5], v[20:21]
	v_fma_f64 v[141:142], v[153:154], v[14:15], v[141:142]
	v_fma_f64 v[14:15], v[151:152], v[14:15], -v[16:17]
	v_add_f64_e32 v[16:17], v[38:39], v[157:158]
	v_add_f64_e32 v[38:39], v[44:45], v[155:156]
	s_wait_loadcnt_dscnt 0x600
	v_mul_f64_e32 v[44:45], v[10:11], v[24:25]
	v_mul_f64_e32 v[24:25], v[12:13], v[24:25]
	v_fma_f64 v[143:144], v[4:5], v[18:19], v[143:144]
	v_fma_f64 v[18:19], v[2:3], v[18:19], -v[20:21]
	v_add_f64_e32 v[20:21], v[16:17], v[14:15]
	v_add_f64_e32 v[38:39], v[38:39], v[141:142]
	ds_load_b128 v[2:5], v1 offset:1344
	ds_load_b128 v[14:17], v1 offset:1360
	v_fma_f64 v[12:13], v[12:13], v[22:23], v[44:45]
	v_fma_f64 v[10:11], v[10:11], v[22:23], -v[24:25]
	s_wait_loadcnt_dscnt 0x501
	v_mul_f64_e32 v[141:142], v[2:3], v[28:29]
	v_mul_f64_e32 v[28:29], v[4:5], v[28:29]
	s_wait_loadcnt_dscnt 0x400
	v_mul_f64_e32 v[22:23], v[14:15], v[32:33]
	v_mul_f64_e32 v[24:25], v[16:17], v[32:33]
	v_add_f64_e32 v[18:19], v[20:21], v[18:19]
	v_add_f64_e32 v[20:21], v[38:39], v[143:144]
	v_fma_f64 v[32:33], v[4:5], v[26:27], v[141:142]
	v_fma_f64 v[26:27], v[2:3], v[26:27], -v[28:29]
	v_fma_f64 v[16:17], v[16:17], v[30:31], v[22:23]
	v_fma_f64 v[14:15], v[14:15], v[30:31], -v[24:25]
	v_add_f64_e32 v[18:19], v[18:19], v[10:11]
	v_add_f64_e32 v[20:21], v[20:21], v[12:13]
	ds_load_b128 v[2:5], v1 offset:1376
	ds_load_b128 v[10:13], v1 offset:1392
	s_wait_loadcnt_dscnt 0x301
	v_mul_f64_e32 v[28:29], v[2:3], v[36:37]
	v_mul_f64_e32 v[36:37], v[4:5], v[36:37]
	s_wait_loadcnt_dscnt 0x200
	v_mul_f64_e32 v[22:23], v[10:11], v[42:43]
	v_add_f64_e32 v[18:19], v[18:19], v[26:27]
	v_add_f64_e32 v[20:21], v[20:21], v[32:33]
	v_mul_f64_e32 v[24:25], v[12:13], v[42:43]
	v_fma_f64 v[26:27], v[4:5], v[34:35], v[28:29]
	v_fma_f64 v[28:29], v[2:3], v[34:35], -v[36:37]
	v_fma_f64 v[12:13], v[12:13], v[40:41], v[22:23]
	v_add_f64_e32 v[18:19], v[18:19], v[14:15]
	v_add_f64_e32 v[20:21], v[20:21], v[16:17]
	ds_load_b128 v[2:5], v1 offset:1408
	ds_load_b128 v[14:17], v1 offset:1424
	v_fma_f64 v[10:11], v[10:11], v[40:41], -v[24:25]
	s_wait_loadcnt_dscnt 0x1
	v_mul_f64_e32 v[30:31], v[2:3], v[149:150]
	v_mul_f64_e32 v[32:33], v[4:5], v[149:150]
	s_wait_dscnt 0x0
	v_mul_f64_e32 v[22:23], v[14:15], v[8:9]
	v_mul_f64_e32 v[8:9], v[16:17], v[8:9]
	v_add_f64_e32 v[18:19], v[18:19], v[28:29]
	v_add_f64_e32 v[20:21], v[20:21], v[26:27]
	v_fma_f64 v[4:5], v[4:5], v[147:148], v[30:31]
	v_fma_f64 v[1:2], v[2:3], v[147:148], -v[32:33]
	v_fma_f64 v[16:17], v[16:17], v[6:7], v[22:23]
	v_fma_f64 v[6:7], v[14:15], v[6:7], -v[8:9]
	v_add_f64_e32 v[10:11], v[18:19], v[10:11]
	v_add_f64_e32 v[12:13], v[20:21], v[12:13]
	s_delay_alu instid0(VALU_DEP_2) | instskip(NEXT) | instid1(VALU_DEP_2)
	v_add_f64_e32 v[1:2], v[10:11], v[1:2]
	v_add_f64_e32 v[3:4], v[12:13], v[4:5]
	s_delay_alu instid0(VALU_DEP_2) | instskip(NEXT) | instid1(VALU_DEP_2)
	;; [unrolled: 3-line block ×3, first 2 shown]
	v_add_f64_e64 v[1:2], v[137:138], -v[1:2]
	v_add_f64_e64 v[3:4], v[139:140], -v[3:4]
	scratch_store_b128 off, v[1:4], off offset:368
	v_cmpx_lt_u32_e32 21, v0
	s_cbranch_execz .LBB108_241
; %bb.240:
	scratch_load_b128 v[1:4], off, s37
	v_mov_b32_e32 v5, 0
	s_delay_alu instid0(VALU_DEP_1)
	v_dual_mov_b32 v6, v5 :: v_dual_mov_b32 v7, v5
	v_mov_b32_e32 v8, v5
	scratch_store_b128 off, v[5:8], off offset:352
	s_wait_loadcnt 0x0
	ds_store_b128 v136, v[1:4]
.LBB108_241:
	s_wait_alu 0xfffe
	s_or_b32 exec_lo, exec_lo, s0
	s_wait_storecnt_dscnt 0x0
	s_barrier_signal -1
	s_barrier_wait -1
	global_inv scope:SCOPE_SE
	s_clause 0x7
	scratch_load_b128 v[2:5], off, off offset:368
	scratch_load_b128 v[6:9], off, off offset:384
	;; [unrolled: 1-line block ×8, first 2 shown]
	v_mov_b32_e32 v1, 0
	s_mov_b32 s0, exec_lo
	ds_load_b128 v[34:37], v1 offset:1072
	s_clause 0x1
	scratch_load_b128 v[38:41], off, off offset:496
	scratch_load_b128 v[42:45], off, off offset:352
	ds_load_b128 v[137:140], v1 offset:1088
	scratch_load_b128 v[141:144], off, off offset:512
	s_wait_loadcnt_dscnt 0xa01
	v_mul_f64_e32 v[145:146], v[36:37], v[4:5]
	v_mul_f64_e32 v[4:5], v[34:35], v[4:5]
	s_delay_alu instid0(VALU_DEP_2) | instskip(NEXT) | instid1(VALU_DEP_2)
	v_fma_f64 v[151:152], v[34:35], v[2:3], -v[145:146]
	v_fma_f64 v[153:154], v[36:37], v[2:3], v[4:5]
	ds_load_b128 v[2:5], v1 offset:1104
	s_wait_loadcnt_dscnt 0x901
	v_mul_f64_e32 v[149:150], v[137:138], v[8:9]
	v_mul_f64_e32 v[8:9], v[139:140], v[8:9]
	scratch_load_b128 v[34:37], off, off offset:528
	ds_load_b128 v[145:148], v1 offset:1120
	s_wait_loadcnt_dscnt 0x901
	v_mul_f64_e32 v[155:156], v[2:3], v[12:13]
	v_mul_f64_e32 v[12:13], v[4:5], v[12:13]
	v_fma_f64 v[139:140], v[139:140], v[6:7], v[149:150]
	v_fma_f64 v[137:138], v[137:138], v[6:7], -v[8:9]
	v_add_f64_e32 v[149:150], 0, v[151:152]
	v_add_f64_e32 v[151:152], 0, v[153:154]
	scratch_load_b128 v[6:9], off, off offset:544
	v_fma_f64 v[155:156], v[4:5], v[10:11], v[155:156]
	v_fma_f64 v[157:158], v[2:3], v[10:11], -v[12:13]
	ds_load_b128 v[2:5], v1 offset:1136
	s_wait_loadcnt_dscnt 0x901
	v_mul_f64_e32 v[153:154], v[145:146], v[16:17]
	v_mul_f64_e32 v[16:17], v[147:148], v[16:17]
	scratch_load_b128 v[10:13], off, off offset:560
	v_add_f64_e32 v[149:150], v[149:150], v[137:138]
	v_add_f64_e32 v[151:152], v[151:152], v[139:140]
	s_wait_loadcnt_dscnt 0x900
	v_mul_f64_e32 v[159:160], v[2:3], v[20:21]
	v_mul_f64_e32 v[20:21], v[4:5], v[20:21]
	ds_load_b128 v[137:140], v1 offset:1152
	v_fma_f64 v[147:148], v[147:148], v[14:15], v[153:154]
	v_fma_f64 v[145:146], v[145:146], v[14:15], -v[16:17]
	scratch_load_b128 v[14:17], off, off offset:576
	v_add_f64_e32 v[149:150], v[149:150], v[157:158]
	v_add_f64_e32 v[151:152], v[151:152], v[155:156]
	v_fma_f64 v[155:156], v[4:5], v[18:19], v[159:160]
	v_fma_f64 v[157:158], v[2:3], v[18:19], -v[20:21]
	ds_load_b128 v[2:5], v1 offset:1168
	s_wait_loadcnt_dscnt 0x901
	v_mul_f64_e32 v[153:154], v[137:138], v[24:25]
	v_mul_f64_e32 v[24:25], v[139:140], v[24:25]
	scratch_load_b128 v[18:21], off, off offset:592
	s_wait_loadcnt_dscnt 0x900
	v_mul_f64_e32 v[159:160], v[2:3], v[28:29]
	v_mul_f64_e32 v[28:29], v[4:5], v[28:29]
	v_add_f64_e32 v[149:150], v[149:150], v[145:146]
	v_add_f64_e32 v[151:152], v[151:152], v[147:148]
	ds_load_b128 v[145:148], v1 offset:1184
	v_fma_f64 v[139:140], v[139:140], v[22:23], v[153:154]
	v_fma_f64 v[137:138], v[137:138], v[22:23], -v[24:25]
	scratch_load_b128 v[22:25], off, off offset:608
	v_add_f64_e32 v[149:150], v[149:150], v[157:158]
	v_add_f64_e32 v[151:152], v[151:152], v[155:156]
	v_fma_f64 v[155:156], v[4:5], v[26:27], v[159:160]
	v_fma_f64 v[157:158], v[2:3], v[26:27], -v[28:29]
	ds_load_b128 v[2:5], v1 offset:1200
	s_wait_loadcnt_dscnt 0x901
	v_mul_f64_e32 v[153:154], v[145:146], v[32:33]
	v_mul_f64_e32 v[32:33], v[147:148], v[32:33]
	scratch_load_b128 v[26:29], off, off offset:624
	s_wait_loadcnt_dscnt 0x900
	v_mul_f64_e32 v[159:160], v[2:3], v[40:41]
	v_mul_f64_e32 v[40:41], v[4:5], v[40:41]
	v_add_f64_e32 v[149:150], v[149:150], v[137:138]
	v_add_f64_e32 v[151:152], v[151:152], v[139:140]
	ds_load_b128 v[137:140], v1 offset:1216
	v_fma_f64 v[147:148], v[147:148], v[30:31], v[153:154]
	v_fma_f64 v[145:146], v[145:146], v[30:31], -v[32:33]
	scratch_load_b128 v[30:33], off, off offset:640
	v_add_f64_e32 v[149:150], v[149:150], v[157:158]
	v_add_f64_e32 v[151:152], v[151:152], v[155:156]
	v_fma_f64 v[157:158], v[4:5], v[38:39], v[159:160]
	v_fma_f64 v[159:160], v[2:3], v[38:39], -v[40:41]
	ds_load_b128 v[2:5], v1 offset:1232
	s_wait_loadcnt_dscnt 0x801
	v_mul_f64_e32 v[153:154], v[137:138], v[143:144]
	v_mul_f64_e32 v[155:156], v[139:140], v[143:144]
	scratch_load_b128 v[38:41], off, off offset:656
	v_add_f64_e32 v[149:150], v[149:150], v[145:146]
	v_add_f64_e32 v[147:148], v[151:152], v[147:148]
	ds_load_b128 v[143:146], v1 offset:1248
	v_fma_f64 v[153:154], v[139:140], v[141:142], v[153:154]
	v_fma_f64 v[141:142], v[137:138], v[141:142], -v[155:156]
	scratch_load_b128 v[137:140], off, off offset:672
	s_wait_loadcnt_dscnt 0x901
	v_mul_f64_e32 v[151:152], v[2:3], v[36:37]
	v_mul_f64_e32 v[36:37], v[4:5], v[36:37]
	v_add_f64_e32 v[149:150], v[149:150], v[159:160]
	v_add_f64_e32 v[147:148], v[147:148], v[157:158]
	s_delay_alu instid0(VALU_DEP_4) | instskip(NEXT) | instid1(VALU_DEP_4)
	v_fma_f64 v[151:152], v[4:5], v[34:35], v[151:152]
	v_fma_f64 v[157:158], v[2:3], v[34:35], -v[36:37]
	ds_load_b128 v[2:5], v1 offset:1264
	s_wait_loadcnt_dscnt 0x801
	v_mul_f64_e32 v[155:156], v[143:144], v[8:9]
	v_mul_f64_e32 v[8:9], v[145:146], v[8:9]
	scratch_load_b128 v[34:37], off, off offset:688
	s_wait_loadcnt_dscnt 0x800
	v_mul_f64_e32 v[159:160], v[2:3], v[12:13]
	v_add_f64_e32 v[141:142], v[149:150], v[141:142]
	v_add_f64_e32 v[153:154], v[147:148], v[153:154]
	v_mul_f64_e32 v[12:13], v[4:5], v[12:13]
	ds_load_b128 v[147:150], v1 offset:1280
	v_fma_f64 v[145:146], v[145:146], v[6:7], v[155:156]
	v_fma_f64 v[143:144], v[143:144], v[6:7], -v[8:9]
	scratch_load_b128 v[6:9], off, off offset:704
	v_fma_f64 v[155:156], v[4:5], v[10:11], v[159:160]
	v_add_f64_e32 v[141:142], v[141:142], v[157:158]
	v_add_f64_e32 v[151:152], v[153:154], v[151:152]
	v_fma_f64 v[157:158], v[2:3], v[10:11], -v[12:13]
	ds_load_b128 v[2:5], v1 offset:1296
	s_wait_loadcnt_dscnt 0x801
	v_mul_f64_e32 v[153:154], v[147:148], v[16:17]
	v_mul_f64_e32 v[16:17], v[149:150], v[16:17]
	scratch_load_b128 v[10:13], off, off offset:720
	v_add_f64_e32 v[159:160], v[141:142], v[143:144]
	v_add_f64_e32 v[145:146], v[151:152], v[145:146]
	s_wait_loadcnt_dscnt 0x800
	v_mul_f64_e32 v[151:152], v[2:3], v[20:21]
	v_mul_f64_e32 v[20:21], v[4:5], v[20:21]
	v_fma_f64 v[149:150], v[149:150], v[14:15], v[153:154]
	v_fma_f64 v[14:15], v[147:148], v[14:15], -v[16:17]
	ds_load_b128 v[141:144], v1 offset:1312
	s_wait_loadcnt_dscnt 0x700
	v_mul_f64_e32 v[147:148], v[141:142], v[24:25]
	v_mul_f64_e32 v[24:25], v[143:144], v[24:25]
	v_add_f64_e32 v[16:17], v[159:160], v[157:158]
	v_add_f64_e32 v[145:146], v[145:146], v[155:156]
	v_fma_f64 v[151:152], v[4:5], v[18:19], v[151:152]
	v_fma_f64 v[18:19], v[2:3], v[18:19], -v[20:21]
	v_fma_f64 v[143:144], v[143:144], v[22:23], v[147:148]
	v_fma_f64 v[22:23], v[141:142], v[22:23], -v[24:25]
	v_add_f64_e32 v[20:21], v[16:17], v[14:15]
	v_add_f64_e32 v[145:146], v[145:146], v[149:150]
	ds_load_b128 v[2:5], v1 offset:1328
	ds_load_b128 v[14:17], v1 offset:1344
	s_wait_loadcnt_dscnt 0x601
	v_mul_f64_e32 v[149:150], v[2:3], v[28:29]
	v_mul_f64_e32 v[28:29], v[4:5], v[28:29]
	s_wait_loadcnt_dscnt 0x500
	v_mul_f64_e32 v[24:25], v[14:15], v[32:33]
	v_mul_f64_e32 v[32:33], v[16:17], v[32:33]
	v_add_f64_e32 v[18:19], v[20:21], v[18:19]
	v_add_f64_e32 v[20:21], v[145:146], v[151:152]
	v_fma_f64 v[141:142], v[4:5], v[26:27], v[149:150]
	v_fma_f64 v[26:27], v[2:3], v[26:27], -v[28:29]
	v_fma_f64 v[16:17], v[16:17], v[30:31], v[24:25]
	v_fma_f64 v[14:15], v[14:15], v[30:31], -v[32:33]
	v_add_f64_e32 v[22:23], v[18:19], v[22:23]
	v_add_f64_e32 v[28:29], v[20:21], v[143:144]
	ds_load_b128 v[2:5], v1 offset:1360
	ds_load_b128 v[18:21], v1 offset:1376
	s_wait_loadcnt_dscnt 0x401
	v_mul_f64_e32 v[143:144], v[2:3], v[40:41]
	v_mul_f64_e32 v[40:41], v[4:5], v[40:41]
	v_add_f64_e32 v[22:23], v[22:23], v[26:27]
	v_add_f64_e32 v[24:25], v[28:29], v[141:142]
	s_wait_loadcnt_dscnt 0x300
	v_mul_f64_e32 v[26:27], v[18:19], v[139:140]
	v_mul_f64_e32 v[28:29], v[20:21], v[139:140]
	v_fma_f64 v[30:31], v[4:5], v[38:39], v[143:144]
	v_fma_f64 v[32:33], v[2:3], v[38:39], -v[40:41]
	v_add_f64_e32 v[22:23], v[22:23], v[14:15]
	v_add_f64_e32 v[24:25], v[24:25], v[16:17]
	ds_load_b128 v[2:5], v1 offset:1392
	ds_load_b128 v[14:17], v1 offset:1408
	v_fma_f64 v[20:21], v[20:21], v[137:138], v[26:27]
	v_fma_f64 v[18:19], v[18:19], v[137:138], -v[28:29]
	s_wait_loadcnt_dscnt 0x201
	v_mul_f64_e32 v[38:39], v[2:3], v[36:37]
	v_mul_f64_e32 v[36:37], v[4:5], v[36:37]
	s_wait_loadcnt_dscnt 0x100
	v_mul_f64_e32 v[26:27], v[14:15], v[8:9]
	v_mul_f64_e32 v[8:9], v[16:17], v[8:9]
	v_add_f64_e32 v[22:23], v[22:23], v[32:33]
	v_add_f64_e32 v[24:25], v[24:25], v[30:31]
	v_fma_f64 v[28:29], v[4:5], v[34:35], v[38:39]
	v_fma_f64 v[30:31], v[2:3], v[34:35], -v[36:37]
	ds_load_b128 v[2:5], v1 offset:1424
	v_fma_f64 v[16:17], v[16:17], v[6:7], v[26:27]
	v_fma_f64 v[6:7], v[14:15], v[6:7], -v[8:9]
	v_add_f64_e32 v[18:19], v[22:23], v[18:19]
	v_add_f64_e32 v[20:21], v[24:25], v[20:21]
	s_wait_loadcnt_dscnt 0x0
	v_mul_f64_e32 v[22:23], v[2:3], v[12:13]
	v_mul_f64_e32 v[12:13], v[4:5], v[12:13]
	s_delay_alu instid0(VALU_DEP_4) | instskip(NEXT) | instid1(VALU_DEP_4)
	v_add_f64_e32 v[8:9], v[18:19], v[30:31]
	v_add_f64_e32 v[14:15], v[20:21], v[28:29]
	s_delay_alu instid0(VALU_DEP_4) | instskip(NEXT) | instid1(VALU_DEP_4)
	v_fma_f64 v[4:5], v[4:5], v[10:11], v[22:23]
	v_fma_f64 v[2:3], v[2:3], v[10:11], -v[12:13]
	s_delay_alu instid0(VALU_DEP_4) | instskip(NEXT) | instid1(VALU_DEP_4)
	v_add_f64_e32 v[6:7], v[8:9], v[6:7]
	v_add_f64_e32 v[8:9], v[14:15], v[16:17]
	s_delay_alu instid0(VALU_DEP_2) | instskip(NEXT) | instid1(VALU_DEP_2)
	v_add_f64_e32 v[2:3], v[6:7], v[2:3]
	v_add_f64_e32 v[4:5], v[8:9], v[4:5]
	s_delay_alu instid0(VALU_DEP_2) | instskip(NEXT) | instid1(VALU_DEP_2)
	v_add_f64_e64 v[2:3], v[42:43], -v[2:3]
	v_add_f64_e64 v[4:5], v[44:45], -v[4:5]
	scratch_store_b128 off, v[2:5], off offset:352
	v_cmpx_lt_u32_e32 20, v0
	s_cbranch_execz .LBB108_243
; %bb.242:
	scratch_load_b128 v[5:8], off, s38
	v_dual_mov_b32 v2, v1 :: v_dual_mov_b32 v3, v1
	v_mov_b32_e32 v4, v1
	scratch_store_b128 off, v[1:4], off offset:336
	s_wait_loadcnt 0x0
	ds_store_b128 v136, v[5:8]
.LBB108_243:
	s_wait_alu 0xfffe
	s_or_b32 exec_lo, exec_lo, s0
	s_wait_storecnt_dscnt 0x0
	s_barrier_signal -1
	s_barrier_wait -1
	global_inv scope:SCOPE_SE
	s_clause 0x8
	scratch_load_b128 v[2:5], off, off offset:352
	scratch_load_b128 v[6:9], off, off offset:368
	;; [unrolled: 1-line block ×9, first 2 shown]
	ds_load_b128 v[38:41], v1 offset:1056
	ds_load_b128 v[42:45], v1 offset:1072
	s_clause 0x1
	scratch_load_b128 v[137:140], off, off offset:336
	scratch_load_b128 v[141:144], off, off offset:496
	s_mov_b32 s0, exec_lo
	s_wait_loadcnt_dscnt 0xa01
	v_mul_f64_e32 v[145:146], v[40:41], v[4:5]
	v_mul_f64_e32 v[4:5], v[38:39], v[4:5]
	s_wait_loadcnt_dscnt 0x900
	v_mul_f64_e32 v[149:150], v[42:43], v[8:9]
	v_mul_f64_e32 v[8:9], v[44:45], v[8:9]
	s_delay_alu instid0(VALU_DEP_4) | instskip(NEXT) | instid1(VALU_DEP_4)
	v_fma_f64 v[151:152], v[38:39], v[2:3], -v[145:146]
	v_fma_f64 v[153:154], v[40:41], v[2:3], v[4:5]
	ds_load_b128 v[2:5], v1 offset:1088
	ds_load_b128 v[145:148], v1 offset:1104
	scratch_load_b128 v[38:41], off, off offset:512
	v_fma_f64 v[44:45], v[44:45], v[6:7], v[149:150]
	v_fma_f64 v[42:43], v[42:43], v[6:7], -v[8:9]
	scratch_load_b128 v[6:9], off, off offset:528
	s_wait_loadcnt_dscnt 0xa01
	v_mul_f64_e32 v[155:156], v[2:3], v[12:13]
	v_mul_f64_e32 v[12:13], v[4:5], v[12:13]
	v_add_f64_e32 v[149:150], 0, v[151:152]
	v_add_f64_e32 v[151:152], 0, v[153:154]
	s_wait_loadcnt_dscnt 0x900
	v_mul_f64_e32 v[153:154], v[145:146], v[16:17]
	v_mul_f64_e32 v[16:17], v[147:148], v[16:17]
	v_fma_f64 v[155:156], v[4:5], v[10:11], v[155:156]
	v_fma_f64 v[157:158], v[2:3], v[10:11], -v[12:13]
	ds_load_b128 v[2:5], v1 offset:1120
	scratch_load_b128 v[10:13], off, off offset:544
	v_add_f64_e32 v[149:150], v[149:150], v[42:43]
	v_add_f64_e32 v[151:152], v[151:152], v[44:45]
	ds_load_b128 v[42:45], v1 offset:1136
	v_fma_f64 v[147:148], v[147:148], v[14:15], v[153:154]
	v_fma_f64 v[145:146], v[145:146], v[14:15], -v[16:17]
	scratch_load_b128 v[14:17], off, off offset:560
	s_wait_loadcnt_dscnt 0xa01
	v_mul_f64_e32 v[159:160], v[2:3], v[20:21]
	v_mul_f64_e32 v[20:21], v[4:5], v[20:21]
	s_wait_loadcnt_dscnt 0x900
	v_mul_f64_e32 v[153:154], v[42:43], v[24:25]
	v_mul_f64_e32 v[24:25], v[44:45], v[24:25]
	v_add_f64_e32 v[149:150], v[149:150], v[157:158]
	v_add_f64_e32 v[151:152], v[151:152], v[155:156]
	v_fma_f64 v[155:156], v[4:5], v[18:19], v[159:160]
	v_fma_f64 v[157:158], v[2:3], v[18:19], -v[20:21]
	ds_load_b128 v[2:5], v1 offset:1152
	scratch_load_b128 v[18:21], off, off offset:576
	v_fma_f64 v[44:45], v[44:45], v[22:23], v[153:154]
	v_fma_f64 v[42:43], v[42:43], v[22:23], -v[24:25]
	scratch_load_b128 v[22:25], off, off offset:592
	v_add_f64_e32 v[149:150], v[149:150], v[145:146]
	v_add_f64_e32 v[151:152], v[151:152], v[147:148]
	ds_load_b128 v[145:148], v1 offset:1168
	s_wait_loadcnt_dscnt 0xa01
	v_mul_f64_e32 v[159:160], v[2:3], v[28:29]
	v_mul_f64_e32 v[28:29], v[4:5], v[28:29]
	s_wait_loadcnt_dscnt 0x900
	v_mul_f64_e32 v[153:154], v[145:146], v[32:33]
	v_mul_f64_e32 v[32:33], v[147:148], v[32:33]
	v_add_f64_e32 v[149:150], v[149:150], v[157:158]
	v_add_f64_e32 v[151:152], v[151:152], v[155:156]
	v_fma_f64 v[155:156], v[4:5], v[26:27], v[159:160]
	v_fma_f64 v[157:158], v[2:3], v[26:27], -v[28:29]
	ds_load_b128 v[2:5], v1 offset:1184
	scratch_load_b128 v[26:29], off, off offset:608
	v_fma_f64 v[147:148], v[147:148], v[30:31], v[153:154]
	v_fma_f64 v[145:146], v[145:146], v[30:31], -v[32:33]
	scratch_load_b128 v[30:33], off, off offset:624
	v_add_f64_e32 v[149:150], v[149:150], v[42:43]
	v_add_f64_e32 v[151:152], v[151:152], v[44:45]
	ds_load_b128 v[42:45], v1 offset:1200
	s_wait_loadcnt_dscnt 0xa01
	v_mul_f64_e32 v[159:160], v[2:3], v[36:37]
	v_mul_f64_e32 v[36:37], v[4:5], v[36:37]
	s_wait_loadcnt_dscnt 0x800
	v_mul_f64_e32 v[153:154], v[42:43], v[143:144]
	v_add_f64_e32 v[149:150], v[149:150], v[157:158]
	v_add_f64_e32 v[151:152], v[151:152], v[155:156]
	v_mul_f64_e32 v[155:156], v[44:45], v[143:144]
	v_fma_f64 v[157:158], v[4:5], v[34:35], v[159:160]
	v_fma_f64 v[159:160], v[2:3], v[34:35], -v[36:37]
	ds_load_b128 v[2:5], v1 offset:1216
	scratch_load_b128 v[34:37], off, off offset:640
	v_fma_f64 v[44:45], v[44:45], v[141:142], v[153:154]
	v_add_f64_e32 v[149:150], v[149:150], v[145:146]
	v_add_f64_e32 v[147:148], v[151:152], v[147:148]
	ds_load_b128 v[143:146], v1 offset:1232
	v_fma_f64 v[141:142], v[42:43], v[141:142], -v[155:156]
	s_wait_loadcnt_dscnt 0x801
	v_mul_f64_e32 v[151:152], v[2:3], v[40:41]
	v_mul_f64_e32 v[161:162], v[4:5], v[40:41]
	scratch_load_b128 v[40:43], off, off offset:656
	s_wait_loadcnt_dscnt 0x800
	v_mul_f64_e32 v[155:156], v[143:144], v[8:9]
	v_mul_f64_e32 v[8:9], v[145:146], v[8:9]
	v_add_f64_e32 v[149:150], v[149:150], v[159:160]
	v_add_f64_e32 v[147:148], v[147:148], v[157:158]
	v_fma_f64 v[157:158], v[4:5], v[38:39], v[151:152]
	v_fma_f64 v[38:39], v[2:3], v[38:39], -v[161:162]
	ds_load_b128 v[2:5], v1 offset:1248
	ds_load_b128 v[151:154], v1 offset:1264
	v_fma_f64 v[145:146], v[145:146], v[6:7], v[155:156]
	v_fma_f64 v[143:144], v[143:144], v[6:7], -v[8:9]
	scratch_load_b128 v[6:9], off, off offset:688
	v_add_f64_e32 v[141:142], v[149:150], v[141:142]
	v_add_f64_e32 v[44:45], v[147:148], v[44:45]
	scratch_load_b128 v[147:150], off, off offset:672
	s_wait_loadcnt_dscnt 0x901
	v_mul_f64_e32 v[159:160], v[2:3], v[12:13]
	v_mul_f64_e32 v[12:13], v[4:5], v[12:13]
	s_wait_loadcnt_dscnt 0x800
	v_mul_f64_e32 v[155:156], v[151:152], v[16:17]
	v_mul_f64_e32 v[16:17], v[153:154], v[16:17]
	v_add_f64_e32 v[38:39], v[141:142], v[38:39]
	v_add_f64_e32 v[44:45], v[44:45], v[157:158]
	v_fma_f64 v[157:158], v[4:5], v[10:11], v[159:160]
	v_fma_f64 v[159:160], v[2:3], v[10:11], -v[12:13]
	ds_load_b128 v[2:5], v1 offset:1280
	scratch_load_b128 v[10:13], off, off offset:704
	v_fma_f64 v[153:154], v[153:154], v[14:15], v[155:156]
	v_fma_f64 v[151:152], v[151:152], v[14:15], -v[16:17]
	scratch_load_b128 v[14:17], off, off offset:720
	v_add_f64_e32 v[38:39], v[38:39], v[143:144]
	v_add_f64_e32 v[44:45], v[44:45], v[145:146]
	ds_load_b128 v[141:144], v1 offset:1296
	s_wait_loadcnt_dscnt 0x901
	v_mul_f64_e32 v[145:146], v[2:3], v[20:21]
	v_mul_f64_e32 v[20:21], v[4:5], v[20:21]
	s_wait_loadcnt_dscnt 0x800
	v_mul_f64_e32 v[155:156], v[141:142], v[24:25]
	v_mul_f64_e32 v[24:25], v[143:144], v[24:25]
	v_add_f64_e32 v[38:39], v[38:39], v[159:160]
	v_add_f64_e32 v[44:45], v[44:45], v[157:158]
	v_fma_f64 v[145:146], v[4:5], v[18:19], v[145:146]
	v_fma_f64 v[157:158], v[2:3], v[18:19], -v[20:21]
	ds_load_b128 v[2:5], v1 offset:1312
	ds_load_b128 v[18:21], v1 offset:1328
	v_fma_f64 v[143:144], v[143:144], v[22:23], v[155:156]
	v_fma_f64 v[22:23], v[141:142], v[22:23], -v[24:25]
	v_add_f64_e32 v[38:39], v[38:39], v[151:152]
	v_add_f64_e32 v[44:45], v[44:45], v[153:154]
	s_wait_loadcnt_dscnt 0x701
	v_mul_f64_e32 v[151:152], v[2:3], v[28:29]
	v_mul_f64_e32 v[28:29], v[4:5], v[28:29]
	s_delay_alu instid0(VALU_DEP_4) | instskip(NEXT) | instid1(VALU_DEP_4)
	v_add_f64_e32 v[24:25], v[38:39], v[157:158]
	v_add_f64_e32 v[38:39], v[44:45], v[145:146]
	s_wait_loadcnt_dscnt 0x600
	v_mul_f64_e32 v[44:45], v[18:19], v[32:33]
	v_mul_f64_e32 v[32:33], v[20:21], v[32:33]
	v_fma_f64 v[141:142], v[4:5], v[26:27], v[151:152]
	v_fma_f64 v[26:27], v[2:3], v[26:27], -v[28:29]
	v_add_f64_e32 v[28:29], v[24:25], v[22:23]
	v_add_f64_e32 v[38:39], v[38:39], v[143:144]
	ds_load_b128 v[2:5], v1 offset:1344
	ds_load_b128 v[22:25], v1 offset:1360
	v_fma_f64 v[20:21], v[20:21], v[30:31], v[44:45]
	v_fma_f64 v[18:19], v[18:19], v[30:31], -v[32:33]
	s_wait_loadcnt_dscnt 0x501
	v_mul_f64_e32 v[143:144], v[2:3], v[36:37]
	v_mul_f64_e32 v[36:37], v[4:5], v[36:37]
	s_wait_loadcnt_dscnt 0x400
	v_mul_f64_e32 v[30:31], v[22:23], v[42:43]
	v_add_f64_e32 v[26:27], v[28:29], v[26:27]
	v_add_f64_e32 v[28:29], v[38:39], v[141:142]
	v_mul_f64_e32 v[32:33], v[24:25], v[42:43]
	v_fma_f64 v[38:39], v[4:5], v[34:35], v[143:144]
	v_fma_f64 v[34:35], v[2:3], v[34:35], -v[36:37]
	v_fma_f64 v[24:25], v[24:25], v[40:41], v[30:31]
	v_add_f64_e32 v[26:27], v[26:27], v[18:19]
	v_add_f64_e32 v[28:29], v[28:29], v[20:21]
	ds_load_b128 v[2:5], v1 offset:1376
	ds_load_b128 v[18:21], v1 offset:1392
	v_fma_f64 v[22:23], v[22:23], v[40:41], -v[32:33]
	s_wait_loadcnt_dscnt 0x201
	v_mul_f64_e32 v[36:37], v[2:3], v[149:150]
	v_mul_f64_e32 v[42:43], v[4:5], v[149:150]
	s_wait_dscnt 0x0
	v_mul_f64_e32 v[30:31], v[18:19], v[8:9]
	v_mul_f64_e32 v[8:9], v[20:21], v[8:9]
	v_add_f64_e32 v[26:27], v[26:27], v[34:35]
	v_add_f64_e32 v[28:29], v[28:29], v[38:39]
	v_fma_f64 v[32:33], v[4:5], v[147:148], v[36:37]
	v_fma_f64 v[34:35], v[2:3], v[147:148], -v[42:43]
	v_fma_f64 v[20:21], v[20:21], v[6:7], v[30:31]
	v_fma_f64 v[6:7], v[18:19], v[6:7], -v[8:9]
	v_add_f64_e32 v[26:27], v[26:27], v[22:23]
	v_add_f64_e32 v[28:29], v[28:29], v[24:25]
	ds_load_b128 v[2:5], v1 offset:1408
	ds_load_b128 v[22:25], v1 offset:1424
	s_wait_loadcnt_dscnt 0x101
	v_mul_f64_e32 v[36:37], v[2:3], v[12:13]
	v_mul_f64_e32 v[12:13], v[4:5], v[12:13]
	v_add_f64_e32 v[8:9], v[26:27], v[34:35]
	v_add_f64_e32 v[18:19], v[28:29], v[32:33]
	s_wait_loadcnt_dscnt 0x0
	v_mul_f64_e32 v[26:27], v[22:23], v[16:17]
	v_mul_f64_e32 v[16:17], v[24:25], v[16:17]
	v_fma_f64 v[4:5], v[4:5], v[10:11], v[36:37]
	v_fma_f64 v[1:2], v[2:3], v[10:11], -v[12:13]
	v_add_f64_e32 v[6:7], v[8:9], v[6:7]
	v_add_f64_e32 v[8:9], v[18:19], v[20:21]
	v_fma_f64 v[10:11], v[24:25], v[14:15], v[26:27]
	v_fma_f64 v[12:13], v[22:23], v[14:15], -v[16:17]
	s_delay_alu instid0(VALU_DEP_4) | instskip(NEXT) | instid1(VALU_DEP_4)
	v_add_f64_e32 v[1:2], v[6:7], v[1:2]
	v_add_f64_e32 v[3:4], v[8:9], v[4:5]
	s_delay_alu instid0(VALU_DEP_2) | instskip(NEXT) | instid1(VALU_DEP_2)
	v_add_f64_e32 v[1:2], v[1:2], v[12:13]
	v_add_f64_e32 v[3:4], v[3:4], v[10:11]
	s_delay_alu instid0(VALU_DEP_2) | instskip(NEXT) | instid1(VALU_DEP_2)
	v_add_f64_e64 v[1:2], v[137:138], -v[1:2]
	v_add_f64_e64 v[3:4], v[139:140], -v[3:4]
	scratch_store_b128 off, v[1:4], off offset:336
	v_cmpx_lt_u32_e32 19, v0
	s_cbranch_execz .LBB108_245
; %bb.244:
	scratch_load_b128 v[1:4], off, s39
	v_mov_b32_e32 v5, 0
	s_delay_alu instid0(VALU_DEP_1)
	v_dual_mov_b32 v6, v5 :: v_dual_mov_b32 v7, v5
	v_mov_b32_e32 v8, v5
	scratch_store_b128 off, v[5:8], off offset:320
	s_wait_loadcnt 0x0
	ds_store_b128 v136, v[1:4]
.LBB108_245:
	s_wait_alu 0xfffe
	s_or_b32 exec_lo, exec_lo, s0
	s_wait_storecnt_dscnt 0x0
	s_barrier_signal -1
	s_barrier_wait -1
	global_inv scope:SCOPE_SE
	s_clause 0x7
	scratch_load_b128 v[2:5], off, off offset:336
	scratch_load_b128 v[6:9], off, off offset:352
	;; [unrolled: 1-line block ×8, first 2 shown]
	v_mov_b32_e32 v1, 0
	s_mov_b32 s0, exec_lo
	ds_load_b128 v[34:37], v1 offset:1040
	s_clause 0x1
	scratch_load_b128 v[38:41], off, off offset:464
	scratch_load_b128 v[42:45], off, off offset:320
	ds_load_b128 v[137:140], v1 offset:1056
	scratch_load_b128 v[141:144], off, off offset:480
	s_wait_loadcnt_dscnt 0xa01
	v_mul_f64_e32 v[145:146], v[36:37], v[4:5]
	v_mul_f64_e32 v[4:5], v[34:35], v[4:5]
	s_delay_alu instid0(VALU_DEP_2) | instskip(NEXT) | instid1(VALU_DEP_2)
	v_fma_f64 v[151:152], v[34:35], v[2:3], -v[145:146]
	v_fma_f64 v[153:154], v[36:37], v[2:3], v[4:5]
	ds_load_b128 v[2:5], v1 offset:1072
	s_wait_loadcnt_dscnt 0x901
	v_mul_f64_e32 v[149:150], v[137:138], v[8:9]
	v_mul_f64_e32 v[8:9], v[139:140], v[8:9]
	scratch_load_b128 v[34:37], off, off offset:496
	ds_load_b128 v[145:148], v1 offset:1088
	s_wait_loadcnt_dscnt 0x901
	v_mul_f64_e32 v[155:156], v[2:3], v[12:13]
	v_mul_f64_e32 v[12:13], v[4:5], v[12:13]
	v_fma_f64 v[139:140], v[139:140], v[6:7], v[149:150]
	v_fma_f64 v[137:138], v[137:138], v[6:7], -v[8:9]
	v_add_f64_e32 v[149:150], 0, v[151:152]
	v_add_f64_e32 v[151:152], 0, v[153:154]
	scratch_load_b128 v[6:9], off, off offset:512
	v_fma_f64 v[155:156], v[4:5], v[10:11], v[155:156]
	v_fma_f64 v[157:158], v[2:3], v[10:11], -v[12:13]
	ds_load_b128 v[2:5], v1 offset:1104
	s_wait_loadcnt_dscnt 0x901
	v_mul_f64_e32 v[153:154], v[145:146], v[16:17]
	v_mul_f64_e32 v[16:17], v[147:148], v[16:17]
	scratch_load_b128 v[10:13], off, off offset:528
	v_add_f64_e32 v[149:150], v[149:150], v[137:138]
	v_add_f64_e32 v[151:152], v[151:152], v[139:140]
	s_wait_loadcnt_dscnt 0x900
	v_mul_f64_e32 v[159:160], v[2:3], v[20:21]
	v_mul_f64_e32 v[20:21], v[4:5], v[20:21]
	ds_load_b128 v[137:140], v1 offset:1120
	v_fma_f64 v[147:148], v[147:148], v[14:15], v[153:154]
	v_fma_f64 v[145:146], v[145:146], v[14:15], -v[16:17]
	scratch_load_b128 v[14:17], off, off offset:544
	v_add_f64_e32 v[149:150], v[149:150], v[157:158]
	v_add_f64_e32 v[151:152], v[151:152], v[155:156]
	v_fma_f64 v[155:156], v[4:5], v[18:19], v[159:160]
	v_fma_f64 v[157:158], v[2:3], v[18:19], -v[20:21]
	ds_load_b128 v[2:5], v1 offset:1136
	s_wait_loadcnt_dscnt 0x901
	v_mul_f64_e32 v[153:154], v[137:138], v[24:25]
	v_mul_f64_e32 v[24:25], v[139:140], v[24:25]
	scratch_load_b128 v[18:21], off, off offset:560
	s_wait_loadcnt_dscnt 0x900
	v_mul_f64_e32 v[159:160], v[2:3], v[28:29]
	v_mul_f64_e32 v[28:29], v[4:5], v[28:29]
	v_add_f64_e32 v[149:150], v[149:150], v[145:146]
	v_add_f64_e32 v[151:152], v[151:152], v[147:148]
	ds_load_b128 v[145:148], v1 offset:1152
	v_fma_f64 v[139:140], v[139:140], v[22:23], v[153:154]
	v_fma_f64 v[137:138], v[137:138], v[22:23], -v[24:25]
	scratch_load_b128 v[22:25], off, off offset:576
	v_add_f64_e32 v[149:150], v[149:150], v[157:158]
	v_add_f64_e32 v[151:152], v[151:152], v[155:156]
	v_fma_f64 v[155:156], v[4:5], v[26:27], v[159:160]
	v_fma_f64 v[157:158], v[2:3], v[26:27], -v[28:29]
	ds_load_b128 v[2:5], v1 offset:1168
	s_wait_loadcnt_dscnt 0x901
	v_mul_f64_e32 v[153:154], v[145:146], v[32:33]
	v_mul_f64_e32 v[32:33], v[147:148], v[32:33]
	scratch_load_b128 v[26:29], off, off offset:592
	s_wait_loadcnt_dscnt 0x900
	v_mul_f64_e32 v[159:160], v[2:3], v[40:41]
	v_mul_f64_e32 v[40:41], v[4:5], v[40:41]
	v_add_f64_e32 v[149:150], v[149:150], v[137:138]
	v_add_f64_e32 v[151:152], v[151:152], v[139:140]
	ds_load_b128 v[137:140], v1 offset:1184
	v_fma_f64 v[147:148], v[147:148], v[30:31], v[153:154]
	v_fma_f64 v[145:146], v[145:146], v[30:31], -v[32:33]
	scratch_load_b128 v[30:33], off, off offset:608
	v_add_f64_e32 v[149:150], v[149:150], v[157:158]
	v_add_f64_e32 v[151:152], v[151:152], v[155:156]
	v_fma_f64 v[157:158], v[4:5], v[38:39], v[159:160]
	v_fma_f64 v[159:160], v[2:3], v[38:39], -v[40:41]
	ds_load_b128 v[2:5], v1 offset:1200
	s_wait_loadcnt_dscnt 0x801
	v_mul_f64_e32 v[153:154], v[137:138], v[143:144]
	v_mul_f64_e32 v[155:156], v[139:140], v[143:144]
	scratch_load_b128 v[38:41], off, off offset:624
	v_add_f64_e32 v[149:150], v[149:150], v[145:146]
	v_add_f64_e32 v[147:148], v[151:152], v[147:148]
	ds_load_b128 v[143:146], v1 offset:1216
	v_fma_f64 v[153:154], v[139:140], v[141:142], v[153:154]
	v_fma_f64 v[141:142], v[137:138], v[141:142], -v[155:156]
	scratch_load_b128 v[137:140], off, off offset:640
	s_wait_loadcnt_dscnt 0x901
	v_mul_f64_e32 v[151:152], v[2:3], v[36:37]
	v_mul_f64_e32 v[36:37], v[4:5], v[36:37]
	v_add_f64_e32 v[149:150], v[149:150], v[159:160]
	v_add_f64_e32 v[147:148], v[147:148], v[157:158]
	s_delay_alu instid0(VALU_DEP_4) | instskip(NEXT) | instid1(VALU_DEP_4)
	v_fma_f64 v[151:152], v[4:5], v[34:35], v[151:152]
	v_fma_f64 v[157:158], v[2:3], v[34:35], -v[36:37]
	ds_load_b128 v[2:5], v1 offset:1232
	s_wait_loadcnt_dscnt 0x801
	v_mul_f64_e32 v[155:156], v[143:144], v[8:9]
	v_mul_f64_e32 v[8:9], v[145:146], v[8:9]
	scratch_load_b128 v[34:37], off, off offset:656
	s_wait_loadcnt_dscnt 0x800
	v_mul_f64_e32 v[159:160], v[2:3], v[12:13]
	v_add_f64_e32 v[141:142], v[149:150], v[141:142]
	v_add_f64_e32 v[153:154], v[147:148], v[153:154]
	v_mul_f64_e32 v[12:13], v[4:5], v[12:13]
	ds_load_b128 v[147:150], v1 offset:1248
	v_fma_f64 v[145:146], v[145:146], v[6:7], v[155:156]
	v_fma_f64 v[143:144], v[143:144], v[6:7], -v[8:9]
	scratch_load_b128 v[6:9], off, off offset:672
	v_fma_f64 v[155:156], v[4:5], v[10:11], v[159:160]
	v_add_f64_e32 v[141:142], v[141:142], v[157:158]
	v_add_f64_e32 v[151:152], v[153:154], v[151:152]
	v_fma_f64 v[157:158], v[2:3], v[10:11], -v[12:13]
	ds_load_b128 v[2:5], v1 offset:1264
	s_wait_loadcnt_dscnt 0x801
	v_mul_f64_e32 v[153:154], v[147:148], v[16:17]
	v_mul_f64_e32 v[16:17], v[149:150], v[16:17]
	scratch_load_b128 v[10:13], off, off offset:688
	v_add_f64_e32 v[159:160], v[141:142], v[143:144]
	v_add_f64_e32 v[145:146], v[151:152], v[145:146]
	s_wait_loadcnt_dscnt 0x800
	v_mul_f64_e32 v[151:152], v[2:3], v[20:21]
	v_mul_f64_e32 v[20:21], v[4:5], v[20:21]
	v_fma_f64 v[149:150], v[149:150], v[14:15], v[153:154]
	v_fma_f64 v[147:148], v[147:148], v[14:15], -v[16:17]
	ds_load_b128 v[141:144], v1 offset:1280
	scratch_load_b128 v[14:17], off, off offset:704
	v_add_f64_e32 v[153:154], v[159:160], v[157:158]
	v_add_f64_e32 v[145:146], v[145:146], v[155:156]
	v_fma_f64 v[151:152], v[4:5], v[18:19], v[151:152]
	v_fma_f64 v[157:158], v[2:3], v[18:19], -v[20:21]
	ds_load_b128 v[2:5], v1 offset:1296
	s_wait_loadcnt_dscnt 0x801
	v_mul_f64_e32 v[155:156], v[141:142], v[24:25]
	v_mul_f64_e32 v[24:25], v[143:144], v[24:25]
	scratch_load_b128 v[18:21], off, off offset:720
	s_wait_loadcnt_dscnt 0x800
	v_mul_f64_e32 v[159:160], v[2:3], v[28:29]
	v_mul_f64_e32 v[28:29], v[4:5], v[28:29]
	v_add_f64_e32 v[153:154], v[153:154], v[147:148]
	v_add_f64_e32 v[149:150], v[145:146], v[149:150]
	ds_load_b128 v[145:148], v1 offset:1312
	v_fma_f64 v[143:144], v[143:144], v[22:23], v[155:156]
	v_fma_f64 v[22:23], v[141:142], v[22:23], -v[24:25]
	v_add_f64_e32 v[24:25], v[153:154], v[157:158]
	v_add_f64_e32 v[141:142], v[149:150], v[151:152]
	s_wait_loadcnt_dscnt 0x700
	v_mul_f64_e32 v[149:150], v[145:146], v[32:33]
	v_mul_f64_e32 v[32:33], v[147:148], v[32:33]
	v_fma_f64 v[151:152], v[4:5], v[26:27], v[159:160]
	v_fma_f64 v[26:27], v[2:3], v[26:27], -v[28:29]
	v_add_f64_e32 v[28:29], v[24:25], v[22:23]
	v_add_f64_e32 v[141:142], v[141:142], v[143:144]
	ds_load_b128 v[2:5], v1 offset:1328
	ds_load_b128 v[22:25], v1 offset:1344
	v_fma_f64 v[147:148], v[147:148], v[30:31], v[149:150]
	v_fma_f64 v[30:31], v[145:146], v[30:31], -v[32:33]
	s_wait_loadcnt_dscnt 0x601
	v_mul_f64_e32 v[143:144], v[2:3], v[40:41]
	v_mul_f64_e32 v[40:41], v[4:5], v[40:41]
	s_wait_loadcnt_dscnt 0x500
	v_mul_f64_e32 v[32:33], v[22:23], v[139:140]
	v_mul_f64_e32 v[139:140], v[24:25], v[139:140]
	v_add_f64_e32 v[26:27], v[28:29], v[26:27]
	v_add_f64_e32 v[28:29], v[141:142], v[151:152]
	v_fma_f64 v[141:142], v[4:5], v[38:39], v[143:144]
	v_fma_f64 v[38:39], v[2:3], v[38:39], -v[40:41]
	v_fma_f64 v[24:25], v[24:25], v[137:138], v[32:33]
	v_fma_f64 v[22:23], v[22:23], v[137:138], -v[139:140]
	v_add_f64_e32 v[30:31], v[26:27], v[30:31]
	v_add_f64_e32 v[40:41], v[28:29], v[147:148]
	ds_load_b128 v[2:5], v1 offset:1360
	ds_load_b128 v[26:29], v1 offset:1376
	s_wait_loadcnt_dscnt 0x401
	v_mul_f64_e32 v[143:144], v[2:3], v[36:37]
	v_mul_f64_e32 v[36:37], v[4:5], v[36:37]
	v_add_f64_e32 v[30:31], v[30:31], v[38:39]
	v_add_f64_e32 v[32:33], v[40:41], v[141:142]
	s_wait_loadcnt_dscnt 0x300
	v_mul_f64_e32 v[38:39], v[26:27], v[8:9]
	v_mul_f64_e32 v[8:9], v[28:29], v[8:9]
	v_fma_f64 v[40:41], v[4:5], v[34:35], v[143:144]
	v_fma_f64 v[34:35], v[2:3], v[34:35], -v[36:37]
	v_add_f64_e32 v[30:31], v[30:31], v[22:23]
	v_add_f64_e32 v[32:33], v[32:33], v[24:25]
	ds_load_b128 v[2:5], v1 offset:1392
	ds_load_b128 v[22:25], v1 offset:1408
	v_fma_f64 v[28:29], v[28:29], v[6:7], v[38:39]
	v_fma_f64 v[6:7], v[26:27], v[6:7], -v[8:9]
	s_wait_loadcnt_dscnt 0x201
	v_mul_f64_e32 v[36:37], v[2:3], v[12:13]
	v_mul_f64_e32 v[12:13], v[4:5], v[12:13]
	v_add_f64_e32 v[8:9], v[30:31], v[34:35]
	v_add_f64_e32 v[26:27], v[32:33], v[40:41]
	s_wait_loadcnt_dscnt 0x100
	v_mul_f64_e32 v[30:31], v[22:23], v[16:17]
	v_mul_f64_e32 v[16:17], v[24:25], v[16:17]
	v_fma_f64 v[32:33], v[4:5], v[10:11], v[36:37]
	v_fma_f64 v[10:11], v[2:3], v[10:11], -v[12:13]
	ds_load_b128 v[2:5], v1 offset:1424
	v_add_f64_e32 v[6:7], v[8:9], v[6:7]
	v_add_f64_e32 v[8:9], v[26:27], v[28:29]
	v_fma_f64 v[24:25], v[24:25], v[14:15], v[30:31]
	v_fma_f64 v[14:15], v[22:23], v[14:15], -v[16:17]
	s_wait_loadcnt_dscnt 0x0
	v_mul_f64_e32 v[12:13], v[2:3], v[20:21]
	v_mul_f64_e32 v[20:21], v[4:5], v[20:21]
	v_add_f64_e32 v[6:7], v[6:7], v[10:11]
	v_add_f64_e32 v[8:9], v[8:9], v[32:33]
	s_delay_alu instid0(VALU_DEP_4) | instskip(NEXT) | instid1(VALU_DEP_4)
	v_fma_f64 v[4:5], v[4:5], v[18:19], v[12:13]
	v_fma_f64 v[2:3], v[2:3], v[18:19], -v[20:21]
	s_delay_alu instid0(VALU_DEP_4) | instskip(NEXT) | instid1(VALU_DEP_4)
	v_add_f64_e32 v[6:7], v[6:7], v[14:15]
	v_add_f64_e32 v[8:9], v[8:9], v[24:25]
	s_delay_alu instid0(VALU_DEP_2) | instskip(NEXT) | instid1(VALU_DEP_2)
	v_add_f64_e32 v[2:3], v[6:7], v[2:3]
	v_add_f64_e32 v[4:5], v[8:9], v[4:5]
	s_delay_alu instid0(VALU_DEP_2) | instskip(NEXT) | instid1(VALU_DEP_2)
	v_add_f64_e64 v[2:3], v[42:43], -v[2:3]
	v_add_f64_e64 v[4:5], v[44:45], -v[4:5]
	scratch_store_b128 off, v[2:5], off offset:320
	v_cmpx_lt_u32_e32 18, v0
	s_cbranch_execz .LBB108_247
; %bb.246:
	scratch_load_b128 v[5:8], off, s40
	v_dual_mov_b32 v2, v1 :: v_dual_mov_b32 v3, v1
	v_mov_b32_e32 v4, v1
	scratch_store_b128 off, v[1:4], off offset:304
	s_wait_loadcnt 0x0
	ds_store_b128 v136, v[5:8]
.LBB108_247:
	s_wait_alu 0xfffe
	s_or_b32 exec_lo, exec_lo, s0
	s_wait_storecnt_dscnt 0x0
	s_barrier_signal -1
	s_barrier_wait -1
	global_inv scope:SCOPE_SE
	s_clause 0x8
	scratch_load_b128 v[2:5], off, off offset:320
	scratch_load_b128 v[6:9], off, off offset:336
	;; [unrolled: 1-line block ×9, first 2 shown]
	ds_load_b128 v[38:41], v1 offset:1024
	ds_load_b128 v[42:45], v1 offset:1040
	s_clause 0x1
	scratch_load_b128 v[137:140], off, off offset:304
	scratch_load_b128 v[141:144], off, off offset:464
	s_mov_b32 s0, exec_lo
	s_wait_loadcnt_dscnt 0xa01
	v_mul_f64_e32 v[145:146], v[40:41], v[4:5]
	v_mul_f64_e32 v[4:5], v[38:39], v[4:5]
	s_wait_loadcnt_dscnt 0x900
	v_mul_f64_e32 v[149:150], v[42:43], v[8:9]
	v_mul_f64_e32 v[8:9], v[44:45], v[8:9]
	s_delay_alu instid0(VALU_DEP_4) | instskip(NEXT) | instid1(VALU_DEP_4)
	v_fma_f64 v[151:152], v[38:39], v[2:3], -v[145:146]
	v_fma_f64 v[153:154], v[40:41], v[2:3], v[4:5]
	ds_load_b128 v[2:5], v1 offset:1056
	ds_load_b128 v[145:148], v1 offset:1072
	scratch_load_b128 v[38:41], off, off offset:480
	v_fma_f64 v[44:45], v[44:45], v[6:7], v[149:150]
	v_fma_f64 v[42:43], v[42:43], v[6:7], -v[8:9]
	scratch_load_b128 v[6:9], off, off offset:496
	s_wait_loadcnt_dscnt 0xa01
	v_mul_f64_e32 v[155:156], v[2:3], v[12:13]
	v_mul_f64_e32 v[12:13], v[4:5], v[12:13]
	v_add_f64_e32 v[149:150], 0, v[151:152]
	v_add_f64_e32 v[151:152], 0, v[153:154]
	s_wait_loadcnt_dscnt 0x900
	v_mul_f64_e32 v[153:154], v[145:146], v[16:17]
	v_mul_f64_e32 v[16:17], v[147:148], v[16:17]
	v_fma_f64 v[155:156], v[4:5], v[10:11], v[155:156]
	v_fma_f64 v[157:158], v[2:3], v[10:11], -v[12:13]
	ds_load_b128 v[2:5], v1 offset:1088
	scratch_load_b128 v[10:13], off, off offset:512
	v_add_f64_e32 v[149:150], v[149:150], v[42:43]
	v_add_f64_e32 v[151:152], v[151:152], v[44:45]
	ds_load_b128 v[42:45], v1 offset:1104
	v_fma_f64 v[147:148], v[147:148], v[14:15], v[153:154]
	v_fma_f64 v[145:146], v[145:146], v[14:15], -v[16:17]
	scratch_load_b128 v[14:17], off, off offset:528
	s_wait_loadcnt_dscnt 0xa01
	v_mul_f64_e32 v[159:160], v[2:3], v[20:21]
	v_mul_f64_e32 v[20:21], v[4:5], v[20:21]
	s_wait_loadcnt_dscnt 0x900
	v_mul_f64_e32 v[153:154], v[42:43], v[24:25]
	v_mul_f64_e32 v[24:25], v[44:45], v[24:25]
	v_add_f64_e32 v[149:150], v[149:150], v[157:158]
	v_add_f64_e32 v[151:152], v[151:152], v[155:156]
	v_fma_f64 v[155:156], v[4:5], v[18:19], v[159:160]
	v_fma_f64 v[157:158], v[2:3], v[18:19], -v[20:21]
	ds_load_b128 v[2:5], v1 offset:1120
	scratch_load_b128 v[18:21], off, off offset:544
	v_fma_f64 v[44:45], v[44:45], v[22:23], v[153:154]
	v_fma_f64 v[42:43], v[42:43], v[22:23], -v[24:25]
	scratch_load_b128 v[22:25], off, off offset:560
	v_add_f64_e32 v[149:150], v[149:150], v[145:146]
	v_add_f64_e32 v[151:152], v[151:152], v[147:148]
	ds_load_b128 v[145:148], v1 offset:1136
	s_wait_loadcnt_dscnt 0xa01
	v_mul_f64_e32 v[159:160], v[2:3], v[28:29]
	v_mul_f64_e32 v[28:29], v[4:5], v[28:29]
	s_wait_loadcnt_dscnt 0x900
	v_mul_f64_e32 v[153:154], v[145:146], v[32:33]
	v_mul_f64_e32 v[32:33], v[147:148], v[32:33]
	v_add_f64_e32 v[149:150], v[149:150], v[157:158]
	v_add_f64_e32 v[151:152], v[151:152], v[155:156]
	v_fma_f64 v[155:156], v[4:5], v[26:27], v[159:160]
	v_fma_f64 v[157:158], v[2:3], v[26:27], -v[28:29]
	ds_load_b128 v[2:5], v1 offset:1152
	scratch_load_b128 v[26:29], off, off offset:576
	v_fma_f64 v[147:148], v[147:148], v[30:31], v[153:154]
	v_fma_f64 v[145:146], v[145:146], v[30:31], -v[32:33]
	scratch_load_b128 v[30:33], off, off offset:592
	v_add_f64_e32 v[149:150], v[149:150], v[42:43]
	v_add_f64_e32 v[151:152], v[151:152], v[44:45]
	ds_load_b128 v[42:45], v1 offset:1168
	s_wait_loadcnt_dscnt 0xa01
	v_mul_f64_e32 v[159:160], v[2:3], v[36:37]
	v_mul_f64_e32 v[36:37], v[4:5], v[36:37]
	s_wait_loadcnt_dscnt 0x800
	v_mul_f64_e32 v[153:154], v[42:43], v[143:144]
	v_add_f64_e32 v[149:150], v[149:150], v[157:158]
	v_add_f64_e32 v[151:152], v[151:152], v[155:156]
	v_mul_f64_e32 v[155:156], v[44:45], v[143:144]
	v_fma_f64 v[157:158], v[4:5], v[34:35], v[159:160]
	v_fma_f64 v[159:160], v[2:3], v[34:35], -v[36:37]
	ds_load_b128 v[2:5], v1 offset:1184
	scratch_load_b128 v[34:37], off, off offset:608
	v_fma_f64 v[44:45], v[44:45], v[141:142], v[153:154]
	v_add_f64_e32 v[149:150], v[149:150], v[145:146]
	v_add_f64_e32 v[147:148], v[151:152], v[147:148]
	ds_load_b128 v[143:146], v1 offset:1200
	v_fma_f64 v[141:142], v[42:43], v[141:142], -v[155:156]
	s_wait_loadcnt_dscnt 0x801
	v_mul_f64_e32 v[151:152], v[2:3], v[40:41]
	v_mul_f64_e32 v[161:162], v[4:5], v[40:41]
	scratch_load_b128 v[40:43], off, off offset:624
	s_wait_loadcnt_dscnt 0x800
	v_mul_f64_e32 v[155:156], v[143:144], v[8:9]
	v_mul_f64_e32 v[8:9], v[145:146], v[8:9]
	v_add_f64_e32 v[149:150], v[149:150], v[159:160]
	v_add_f64_e32 v[147:148], v[147:148], v[157:158]
	v_fma_f64 v[157:158], v[4:5], v[38:39], v[151:152]
	v_fma_f64 v[38:39], v[2:3], v[38:39], -v[161:162]
	ds_load_b128 v[2:5], v1 offset:1216
	ds_load_b128 v[151:154], v1 offset:1232
	v_fma_f64 v[145:146], v[145:146], v[6:7], v[155:156]
	v_fma_f64 v[143:144], v[143:144], v[6:7], -v[8:9]
	scratch_load_b128 v[6:9], off, off offset:656
	v_add_f64_e32 v[141:142], v[149:150], v[141:142]
	v_add_f64_e32 v[44:45], v[147:148], v[44:45]
	scratch_load_b128 v[147:150], off, off offset:640
	s_wait_loadcnt_dscnt 0x901
	v_mul_f64_e32 v[159:160], v[2:3], v[12:13]
	v_mul_f64_e32 v[12:13], v[4:5], v[12:13]
	s_wait_loadcnt_dscnt 0x800
	v_mul_f64_e32 v[155:156], v[151:152], v[16:17]
	v_mul_f64_e32 v[16:17], v[153:154], v[16:17]
	v_add_f64_e32 v[38:39], v[141:142], v[38:39]
	v_add_f64_e32 v[44:45], v[44:45], v[157:158]
	v_fma_f64 v[157:158], v[4:5], v[10:11], v[159:160]
	v_fma_f64 v[159:160], v[2:3], v[10:11], -v[12:13]
	ds_load_b128 v[2:5], v1 offset:1248
	scratch_load_b128 v[10:13], off, off offset:672
	v_fma_f64 v[153:154], v[153:154], v[14:15], v[155:156]
	v_fma_f64 v[151:152], v[151:152], v[14:15], -v[16:17]
	scratch_load_b128 v[14:17], off, off offset:688
	v_add_f64_e32 v[38:39], v[38:39], v[143:144]
	v_add_f64_e32 v[44:45], v[44:45], v[145:146]
	ds_load_b128 v[141:144], v1 offset:1264
	s_wait_loadcnt_dscnt 0x901
	v_mul_f64_e32 v[145:146], v[2:3], v[20:21]
	v_mul_f64_e32 v[20:21], v[4:5], v[20:21]
	s_wait_loadcnt_dscnt 0x800
	v_mul_f64_e32 v[155:156], v[141:142], v[24:25]
	v_mul_f64_e32 v[24:25], v[143:144], v[24:25]
	v_add_f64_e32 v[38:39], v[38:39], v[159:160]
	v_add_f64_e32 v[44:45], v[44:45], v[157:158]
	v_fma_f64 v[145:146], v[4:5], v[18:19], v[145:146]
	v_fma_f64 v[157:158], v[2:3], v[18:19], -v[20:21]
	ds_load_b128 v[2:5], v1 offset:1280
	scratch_load_b128 v[18:21], off, off offset:704
	v_fma_f64 v[143:144], v[143:144], v[22:23], v[155:156]
	v_fma_f64 v[141:142], v[141:142], v[22:23], -v[24:25]
	scratch_load_b128 v[22:25], off, off offset:720
	v_add_f64_e32 v[38:39], v[38:39], v[151:152]
	v_add_f64_e32 v[44:45], v[44:45], v[153:154]
	ds_load_b128 v[151:154], v1 offset:1296
	s_wait_loadcnt_dscnt 0x901
	v_mul_f64_e32 v[159:160], v[2:3], v[28:29]
	v_mul_f64_e32 v[28:29], v[4:5], v[28:29]
	v_add_f64_e32 v[38:39], v[38:39], v[157:158]
	v_add_f64_e32 v[44:45], v[44:45], v[145:146]
	s_wait_loadcnt_dscnt 0x800
	v_mul_f64_e32 v[145:146], v[151:152], v[32:33]
	v_mul_f64_e32 v[32:33], v[153:154], v[32:33]
	v_fma_f64 v[155:156], v[4:5], v[26:27], v[159:160]
	v_fma_f64 v[157:158], v[2:3], v[26:27], -v[28:29]
	ds_load_b128 v[2:5], v1 offset:1312
	ds_load_b128 v[26:29], v1 offset:1328
	v_add_f64_e32 v[38:39], v[38:39], v[141:142]
	v_add_f64_e32 v[44:45], v[44:45], v[143:144]
	s_wait_loadcnt_dscnt 0x701
	v_mul_f64_e32 v[141:142], v[2:3], v[36:37]
	v_mul_f64_e32 v[36:37], v[4:5], v[36:37]
	v_fma_f64 v[143:144], v[153:154], v[30:31], v[145:146]
	v_fma_f64 v[30:31], v[151:152], v[30:31], -v[32:33]
	v_add_f64_e32 v[32:33], v[38:39], v[157:158]
	v_add_f64_e32 v[38:39], v[44:45], v[155:156]
	s_wait_loadcnt_dscnt 0x600
	v_mul_f64_e32 v[44:45], v[26:27], v[42:43]
	v_mul_f64_e32 v[42:43], v[28:29], v[42:43]
	v_fma_f64 v[141:142], v[4:5], v[34:35], v[141:142]
	v_fma_f64 v[34:35], v[2:3], v[34:35], -v[36:37]
	v_add_f64_e32 v[36:37], v[32:33], v[30:31]
	v_add_f64_e32 v[38:39], v[38:39], v[143:144]
	ds_load_b128 v[2:5], v1 offset:1344
	ds_load_b128 v[30:33], v1 offset:1360
	v_fma_f64 v[28:29], v[28:29], v[40:41], v[44:45]
	v_fma_f64 v[26:27], v[26:27], v[40:41], -v[42:43]
	s_wait_loadcnt_dscnt 0x401
	v_mul_f64_e32 v[143:144], v[2:3], v[149:150]
	v_mul_f64_e32 v[145:146], v[4:5], v[149:150]
	v_add_f64_e32 v[34:35], v[36:37], v[34:35]
	v_add_f64_e32 v[36:37], v[38:39], v[141:142]
	s_wait_dscnt 0x0
	v_mul_f64_e32 v[38:39], v[30:31], v[8:9]
	v_mul_f64_e32 v[8:9], v[32:33], v[8:9]
	v_fma_f64 v[40:41], v[4:5], v[147:148], v[143:144]
	v_fma_f64 v[42:43], v[2:3], v[147:148], -v[145:146]
	v_add_f64_e32 v[34:35], v[34:35], v[26:27]
	v_add_f64_e32 v[36:37], v[36:37], v[28:29]
	ds_load_b128 v[2:5], v1 offset:1376
	ds_load_b128 v[26:29], v1 offset:1392
	v_fma_f64 v[32:33], v[32:33], v[6:7], v[38:39]
	v_fma_f64 v[6:7], v[30:31], v[6:7], -v[8:9]
	s_wait_loadcnt_dscnt 0x301
	v_mul_f64_e32 v[44:45], v[2:3], v[12:13]
	v_mul_f64_e32 v[12:13], v[4:5], v[12:13]
	v_add_f64_e32 v[8:9], v[34:35], v[42:43]
	v_add_f64_e32 v[30:31], v[36:37], v[40:41]
	s_wait_loadcnt_dscnt 0x200
	v_mul_f64_e32 v[34:35], v[26:27], v[16:17]
	v_mul_f64_e32 v[16:17], v[28:29], v[16:17]
	v_fma_f64 v[36:37], v[4:5], v[10:11], v[44:45]
	v_fma_f64 v[10:11], v[2:3], v[10:11], -v[12:13]
	v_add_f64_e32 v[12:13], v[8:9], v[6:7]
	v_add_f64_e32 v[30:31], v[30:31], v[32:33]
	ds_load_b128 v[2:5], v1 offset:1408
	ds_load_b128 v[6:9], v1 offset:1424
	v_fma_f64 v[28:29], v[28:29], v[14:15], v[34:35]
	v_fma_f64 v[14:15], v[26:27], v[14:15], -v[16:17]
	s_wait_loadcnt_dscnt 0x101
	v_mul_f64_e32 v[32:33], v[2:3], v[20:21]
	v_mul_f64_e32 v[20:21], v[4:5], v[20:21]
	s_wait_loadcnt_dscnt 0x0
	v_mul_f64_e32 v[16:17], v[6:7], v[24:25]
	v_mul_f64_e32 v[24:25], v[8:9], v[24:25]
	v_add_f64_e32 v[10:11], v[12:13], v[10:11]
	v_add_f64_e32 v[12:13], v[30:31], v[36:37]
	v_fma_f64 v[4:5], v[4:5], v[18:19], v[32:33]
	v_fma_f64 v[1:2], v[2:3], v[18:19], -v[20:21]
	v_fma_f64 v[8:9], v[8:9], v[22:23], v[16:17]
	v_fma_f64 v[6:7], v[6:7], v[22:23], -v[24:25]
	v_add_f64_e32 v[10:11], v[10:11], v[14:15]
	v_add_f64_e32 v[12:13], v[12:13], v[28:29]
	s_delay_alu instid0(VALU_DEP_2) | instskip(NEXT) | instid1(VALU_DEP_2)
	v_add_f64_e32 v[1:2], v[10:11], v[1:2]
	v_add_f64_e32 v[3:4], v[12:13], v[4:5]
	s_delay_alu instid0(VALU_DEP_2) | instskip(NEXT) | instid1(VALU_DEP_2)
	;; [unrolled: 3-line block ×3, first 2 shown]
	v_add_f64_e64 v[1:2], v[137:138], -v[1:2]
	v_add_f64_e64 v[3:4], v[139:140], -v[3:4]
	scratch_store_b128 off, v[1:4], off offset:304
	v_cmpx_lt_u32_e32 17, v0
	s_cbranch_execz .LBB108_249
; %bb.248:
	scratch_load_b128 v[1:4], off, s41
	v_mov_b32_e32 v5, 0
	s_delay_alu instid0(VALU_DEP_1)
	v_dual_mov_b32 v6, v5 :: v_dual_mov_b32 v7, v5
	v_mov_b32_e32 v8, v5
	scratch_store_b128 off, v[5:8], off offset:288
	s_wait_loadcnt 0x0
	ds_store_b128 v136, v[1:4]
.LBB108_249:
	s_wait_alu 0xfffe
	s_or_b32 exec_lo, exec_lo, s0
	s_wait_storecnt_dscnt 0x0
	s_barrier_signal -1
	s_barrier_wait -1
	global_inv scope:SCOPE_SE
	s_clause 0x7
	scratch_load_b128 v[2:5], off, off offset:304
	scratch_load_b128 v[6:9], off, off offset:320
	;; [unrolled: 1-line block ×8, first 2 shown]
	v_mov_b32_e32 v1, 0
	s_mov_b32 s0, exec_lo
	ds_load_b128 v[34:37], v1 offset:1008
	s_clause 0x1
	scratch_load_b128 v[38:41], off, off offset:432
	scratch_load_b128 v[42:45], off, off offset:288
	ds_load_b128 v[137:140], v1 offset:1024
	scratch_load_b128 v[141:144], off, off offset:448
	s_wait_loadcnt_dscnt 0xa01
	v_mul_f64_e32 v[145:146], v[36:37], v[4:5]
	v_mul_f64_e32 v[4:5], v[34:35], v[4:5]
	s_delay_alu instid0(VALU_DEP_2) | instskip(NEXT) | instid1(VALU_DEP_2)
	v_fma_f64 v[151:152], v[34:35], v[2:3], -v[145:146]
	v_fma_f64 v[153:154], v[36:37], v[2:3], v[4:5]
	ds_load_b128 v[2:5], v1 offset:1040
	s_wait_loadcnt_dscnt 0x901
	v_mul_f64_e32 v[149:150], v[137:138], v[8:9]
	v_mul_f64_e32 v[8:9], v[139:140], v[8:9]
	scratch_load_b128 v[34:37], off, off offset:464
	ds_load_b128 v[145:148], v1 offset:1056
	s_wait_loadcnt_dscnt 0x901
	v_mul_f64_e32 v[155:156], v[2:3], v[12:13]
	v_mul_f64_e32 v[12:13], v[4:5], v[12:13]
	v_fma_f64 v[139:140], v[139:140], v[6:7], v[149:150]
	v_fma_f64 v[137:138], v[137:138], v[6:7], -v[8:9]
	v_add_f64_e32 v[149:150], 0, v[151:152]
	v_add_f64_e32 v[151:152], 0, v[153:154]
	scratch_load_b128 v[6:9], off, off offset:480
	v_fma_f64 v[155:156], v[4:5], v[10:11], v[155:156]
	v_fma_f64 v[157:158], v[2:3], v[10:11], -v[12:13]
	ds_load_b128 v[2:5], v1 offset:1072
	s_wait_loadcnt_dscnt 0x901
	v_mul_f64_e32 v[153:154], v[145:146], v[16:17]
	v_mul_f64_e32 v[16:17], v[147:148], v[16:17]
	scratch_load_b128 v[10:13], off, off offset:496
	v_add_f64_e32 v[149:150], v[149:150], v[137:138]
	v_add_f64_e32 v[151:152], v[151:152], v[139:140]
	s_wait_loadcnt_dscnt 0x900
	v_mul_f64_e32 v[159:160], v[2:3], v[20:21]
	v_mul_f64_e32 v[20:21], v[4:5], v[20:21]
	ds_load_b128 v[137:140], v1 offset:1088
	v_fma_f64 v[147:148], v[147:148], v[14:15], v[153:154]
	v_fma_f64 v[145:146], v[145:146], v[14:15], -v[16:17]
	scratch_load_b128 v[14:17], off, off offset:512
	v_add_f64_e32 v[149:150], v[149:150], v[157:158]
	v_add_f64_e32 v[151:152], v[151:152], v[155:156]
	v_fma_f64 v[155:156], v[4:5], v[18:19], v[159:160]
	v_fma_f64 v[157:158], v[2:3], v[18:19], -v[20:21]
	ds_load_b128 v[2:5], v1 offset:1104
	s_wait_loadcnt_dscnt 0x901
	v_mul_f64_e32 v[153:154], v[137:138], v[24:25]
	v_mul_f64_e32 v[24:25], v[139:140], v[24:25]
	scratch_load_b128 v[18:21], off, off offset:528
	s_wait_loadcnt_dscnt 0x900
	v_mul_f64_e32 v[159:160], v[2:3], v[28:29]
	v_mul_f64_e32 v[28:29], v[4:5], v[28:29]
	v_add_f64_e32 v[149:150], v[149:150], v[145:146]
	v_add_f64_e32 v[151:152], v[151:152], v[147:148]
	ds_load_b128 v[145:148], v1 offset:1120
	v_fma_f64 v[139:140], v[139:140], v[22:23], v[153:154]
	v_fma_f64 v[137:138], v[137:138], v[22:23], -v[24:25]
	scratch_load_b128 v[22:25], off, off offset:544
	v_add_f64_e32 v[149:150], v[149:150], v[157:158]
	v_add_f64_e32 v[151:152], v[151:152], v[155:156]
	v_fma_f64 v[155:156], v[4:5], v[26:27], v[159:160]
	v_fma_f64 v[157:158], v[2:3], v[26:27], -v[28:29]
	ds_load_b128 v[2:5], v1 offset:1136
	s_wait_loadcnt_dscnt 0x901
	v_mul_f64_e32 v[153:154], v[145:146], v[32:33]
	v_mul_f64_e32 v[32:33], v[147:148], v[32:33]
	scratch_load_b128 v[26:29], off, off offset:560
	s_wait_loadcnt_dscnt 0x900
	v_mul_f64_e32 v[159:160], v[2:3], v[40:41]
	v_mul_f64_e32 v[40:41], v[4:5], v[40:41]
	v_add_f64_e32 v[149:150], v[149:150], v[137:138]
	v_add_f64_e32 v[151:152], v[151:152], v[139:140]
	ds_load_b128 v[137:140], v1 offset:1152
	v_fma_f64 v[147:148], v[147:148], v[30:31], v[153:154]
	v_fma_f64 v[145:146], v[145:146], v[30:31], -v[32:33]
	scratch_load_b128 v[30:33], off, off offset:576
	v_add_f64_e32 v[149:150], v[149:150], v[157:158]
	v_add_f64_e32 v[151:152], v[151:152], v[155:156]
	v_fma_f64 v[157:158], v[4:5], v[38:39], v[159:160]
	v_fma_f64 v[159:160], v[2:3], v[38:39], -v[40:41]
	ds_load_b128 v[2:5], v1 offset:1168
	s_wait_loadcnt_dscnt 0x801
	v_mul_f64_e32 v[153:154], v[137:138], v[143:144]
	v_mul_f64_e32 v[155:156], v[139:140], v[143:144]
	scratch_load_b128 v[38:41], off, off offset:592
	v_add_f64_e32 v[149:150], v[149:150], v[145:146]
	v_add_f64_e32 v[147:148], v[151:152], v[147:148]
	ds_load_b128 v[143:146], v1 offset:1184
	v_fma_f64 v[153:154], v[139:140], v[141:142], v[153:154]
	v_fma_f64 v[141:142], v[137:138], v[141:142], -v[155:156]
	scratch_load_b128 v[137:140], off, off offset:608
	s_wait_loadcnt_dscnt 0x901
	v_mul_f64_e32 v[151:152], v[2:3], v[36:37]
	v_mul_f64_e32 v[36:37], v[4:5], v[36:37]
	v_add_f64_e32 v[149:150], v[149:150], v[159:160]
	v_add_f64_e32 v[147:148], v[147:148], v[157:158]
	s_delay_alu instid0(VALU_DEP_4) | instskip(NEXT) | instid1(VALU_DEP_4)
	v_fma_f64 v[151:152], v[4:5], v[34:35], v[151:152]
	v_fma_f64 v[157:158], v[2:3], v[34:35], -v[36:37]
	ds_load_b128 v[2:5], v1 offset:1200
	s_wait_loadcnt_dscnt 0x801
	v_mul_f64_e32 v[155:156], v[143:144], v[8:9]
	v_mul_f64_e32 v[8:9], v[145:146], v[8:9]
	scratch_load_b128 v[34:37], off, off offset:624
	s_wait_loadcnt_dscnt 0x800
	v_mul_f64_e32 v[159:160], v[2:3], v[12:13]
	v_add_f64_e32 v[141:142], v[149:150], v[141:142]
	v_add_f64_e32 v[153:154], v[147:148], v[153:154]
	v_mul_f64_e32 v[12:13], v[4:5], v[12:13]
	ds_load_b128 v[147:150], v1 offset:1216
	v_fma_f64 v[145:146], v[145:146], v[6:7], v[155:156]
	v_fma_f64 v[143:144], v[143:144], v[6:7], -v[8:9]
	scratch_load_b128 v[6:9], off, off offset:640
	v_fma_f64 v[155:156], v[4:5], v[10:11], v[159:160]
	v_add_f64_e32 v[141:142], v[141:142], v[157:158]
	v_add_f64_e32 v[151:152], v[153:154], v[151:152]
	v_fma_f64 v[157:158], v[2:3], v[10:11], -v[12:13]
	ds_load_b128 v[2:5], v1 offset:1232
	s_wait_loadcnt_dscnt 0x801
	v_mul_f64_e32 v[153:154], v[147:148], v[16:17]
	v_mul_f64_e32 v[16:17], v[149:150], v[16:17]
	scratch_load_b128 v[10:13], off, off offset:656
	v_add_f64_e32 v[159:160], v[141:142], v[143:144]
	v_add_f64_e32 v[145:146], v[151:152], v[145:146]
	s_wait_loadcnt_dscnt 0x800
	v_mul_f64_e32 v[151:152], v[2:3], v[20:21]
	v_mul_f64_e32 v[20:21], v[4:5], v[20:21]
	v_fma_f64 v[149:150], v[149:150], v[14:15], v[153:154]
	v_fma_f64 v[147:148], v[147:148], v[14:15], -v[16:17]
	ds_load_b128 v[141:144], v1 offset:1248
	scratch_load_b128 v[14:17], off, off offset:672
	v_add_f64_e32 v[153:154], v[159:160], v[157:158]
	v_add_f64_e32 v[145:146], v[145:146], v[155:156]
	v_fma_f64 v[151:152], v[4:5], v[18:19], v[151:152]
	v_fma_f64 v[157:158], v[2:3], v[18:19], -v[20:21]
	ds_load_b128 v[2:5], v1 offset:1264
	s_wait_loadcnt_dscnt 0x801
	v_mul_f64_e32 v[155:156], v[141:142], v[24:25]
	v_mul_f64_e32 v[24:25], v[143:144], v[24:25]
	scratch_load_b128 v[18:21], off, off offset:688
	s_wait_loadcnt_dscnt 0x800
	v_mul_f64_e32 v[159:160], v[2:3], v[28:29]
	v_mul_f64_e32 v[28:29], v[4:5], v[28:29]
	v_add_f64_e32 v[153:154], v[153:154], v[147:148]
	v_add_f64_e32 v[149:150], v[145:146], v[149:150]
	ds_load_b128 v[145:148], v1 offset:1280
	v_fma_f64 v[143:144], v[143:144], v[22:23], v[155:156]
	v_fma_f64 v[141:142], v[141:142], v[22:23], -v[24:25]
	scratch_load_b128 v[22:25], off, off offset:704
	v_fma_f64 v[155:156], v[4:5], v[26:27], v[159:160]
	v_add_f64_e32 v[153:154], v[153:154], v[157:158]
	v_add_f64_e32 v[149:150], v[149:150], v[151:152]
	v_fma_f64 v[157:158], v[2:3], v[26:27], -v[28:29]
	ds_load_b128 v[2:5], v1 offset:1296
	s_wait_loadcnt_dscnt 0x801
	v_mul_f64_e32 v[151:152], v[145:146], v[32:33]
	v_mul_f64_e32 v[32:33], v[147:148], v[32:33]
	scratch_load_b128 v[26:29], off, off offset:720
	s_wait_loadcnt_dscnt 0x800
	v_mul_f64_e32 v[159:160], v[2:3], v[40:41]
	v_mul_f64_e32 v[40:41], v[4:5], v[40:41]
	v_add_f64_e32 v[153:154], v[153:154], v[141:142]
	v_add_f64_e32 v[149:150], v[149:150], v[143:144]
	ds_load_b128 v[141:144], v1 offset:1312
	v_fma_f64 v[147:148], v[147:148], v[30:31], v[151:152]
	v_fma_f64 v[30:31], v[145:146], v[30:31], -v[32:33]
	v_fma_f64 v[151:152], v[4:5], v[38:39], v[159:160]
	v_fma_f64 v[38:39], v[2:3], v[38:39], -v[40:41]
	v_add_f64_e32 v[32:33], v[153:154], v[157:158]
	v_add_f64_e32 v[145:146], v[149:150], v[155:156]
	s_wait_loadcnt_dscnt 0x700
	v_mul_f64_e32 v[149:150], v[141:142], v[139:140]
	v_mul_f64_e32 v[139:140], v[143:144], v[139:140]
	s_delay_alu instid0(VALU_DEP_4) | instskip(NEXT) | instid1(VALU_DEP_4)
	v_add_f64_e32 v[40:41], v[32:33], v[30:31]
	v_add_f64_e32 v[145:146], v[145:146], v[147:148]
	ds_load_b128 v[2:5], v1 offset:1328
	ds_load_b128 v[30:33], v1 offset:1344
	v_fma_f64 v[143:144], v[143:144], v[137:138], v[149:150]
	v_fma_f64 v[137:138], v[141:142], v[137:138], -v[139:140]
	s_wait_loadcnt_dscnt 0x601
	v_mul_f64_e32 v[147:148], v[2:3], v[36:37]
	v_mul_f64_e32 v[36:37], v[4:5], v[36:37]
	s_wait_loadcnt_dscnt 0x500
	v_mul_f64_e32 v[139:140], v[30:31], v[8:9]
	v_mul_f64_e32 v[8:9], v[32:33], v[8:9]
	v_add_f64_e32 v[38:39], v[40:41], v[38:39]
	v_add_f64_e32 v[40:41], v[145:146], v[151:152]
	v_fma_f64 v[141:142], v[4:5], v[34:35], v[147:148]
	v_fma_f64 v[145:146], v[2:3], v[34:35], -v[36:37]
	ds_load_b128 v[2:5], v1 offset:1360
	ds_load_b128 v[34:37], v1 offset:1376
	v_fma_f64 v[32:33], v[32:33], v[6:7], v[139:140]
	v_fma_f64 v[6:7], v[30:31], v[6:7], -v[8:9]
	v_add_f64_e32 v[38:39], v[38:39], v[137:138]
	v_add_f64_e32 v[40:41], v[40:41], v[143:144]
	s_wait_loadcnt_dscnt 0x401
	v_mul_f64_e32 v[137:138], v[2:3], v[12:13]
	v_mul_f64_e32 v[12:13], v[4:5], v[12:13]
	s_delay_alu instid0(VALU_DEP_4) | instskip(NEXT) | instid1(VALU_DEP_4)
	v_add_f64_e32 v[8:9], v[38:39], v[145:146]
	v_add_f64_e32 v[30:31], v[40:41], v[141:142]
	s_wait_loadcnt_dscnt 0x300
	v_mul_f64_e32 v[38:39], v[34:35], v[16:17]
	v_mul_f64_e32 v[16:17], v[36:37], v[16:17]
	v_fma_f64 v[40:41], v[4:5], v[10:11], v[137:138]
	v_fma_f64 v[10:11], v[2:3], v[10:11], -v[12:13]
	v_add_f64_e32 v[12:13], v[8:9], v[6:7]
	v_add_f64_e32 v[30:31], v[30:31], v[32:33]
	ds_load_b128 v[2:5], v1 offset:1392
	ds_load_b128 v[6:9], v1 offset:1408
	v_fma_f64 v[36:37], v[36:37], v[14:15], v[38:39]
	v_fma_f64 v[14:15], v[34:35], v[14:15], -v[16:17]
	s_wait_loadcnt_dscnt 0x201
	v_mul_f64_e32 v[32:33], v[2:3], v[20:21]
	v_mul_f64_e32 v[20:21], v[4:5], v[20:21]
	s_wait_loadcnt_dscnt 0x100
	v_mul_f64_e32 v[16:17], v[6:7], v[24:25]
	v_mul_f64_e32 v[24:25], v[8:9], v[24:25]
	v_add_f64_e32 v[10:11], v[12:13], v[10:11]
	v_add_f64_e32 v[12:13], v[30:31], v[40:41]
	v_fma_f64 v[30:31], v[4:5], v[18:19], v[32:33]
	v_fma_f64 v[18:19], v[2:3], v[18:19], -v[20:21]
	ds_load_b128 v[2:5], v1 offset:1424
	v_fma_f64 v[8:9], v[8:9], v[22:23], v[16:17]
	v_fma_f64 v[6:7], v[6:7], v[22:23], -v[24:25]
	v_add_f64_e32 v[10:11], v[10:11], v[14:15]
	v_add_f64_e32 v[12:13], v[12:13], v[36:37]
	s_wait_loadcnt_dscnt 0x0
	v_mul_f64_e32 v[14:15], v[2:3], v[28:29]
	v_mul_f64_e32 v[20:21], v[4:5], v[28:29]
	s_delay_alu instid0(VALU_DEP_4) | instskip(NEXT) | instid1(VALU_DEP_4)
	v_add_f64_e32 v[10:11], v[10:11], v[18:19]
	v_add_f64_e32 v[12:13], v[12:13], v[30:31]
	s_delay_alu instid0(VALU_DEP_4) | instskip(NEXT) | instid1(VALU_DEP_4)
	v_fma_f64 v[4:5], v[4:5], v[26:27], v[14:15]
	v_fma_f64 v[2:3], v[2:3], v[26:27], -v[20:21]
	s_delay_alu instid0(VALU_DEP_4) | instskip(NEXT) | instid1(VALU_DEP_4)
	v_add_f64_e32 v[6:7], v[10:11], v[6:7]
	v_add_f64_e32 v[8:9], v[12:13], v[8:9]
	s_delay_alu instid0(VALU_DEP_2) | instskip(NEXT) | instid1(VALU_DEP_2)
	v_add_f64_e32 v[2:3], v[6:7], v[2:3]
	v_add_f64_e32 v[4:5], v[8:9], v[4:5]
	s_delay_alu instid0(VALU_DEP_2) | instskip(NEXT) | instid1(VALU_DEP_2)
	v_add_f64_e64 v[2:3], v[42:43], -v[2:3]
	v_add_f64_e64 v[4:5], v[44:45], -v[4:5]
	scratch_store_b128 off, v[2:5], off offset:288
	v_cmpx_lt_u32_e32 16, v0
	s_cbranch_execz .LBB108_251
; %bb.250:
	scratch_load_b128 v[5:8], off, s42
	v_dual_mov_b32 v2, v1 :: v_dual_mov_b32 v3, v1
	v_mov_b32_e32 v4, v1
	scratch_store_b128 off, v[1:4], off offset:272
	s_wait_loadcnt 0x0
	ds_store_b128 v136, v[5:8]
.LBB108_251:
	s_wait_alu 0xfffe
	s_or_b32 exec_lo, exec_lo, s0
	s_wait_storecnt_dscnt 0x0
	s_barrier_signal -1
	s_barrier_wait -1
	global_inv scope:SCOPE_SE
	s_clause 0x8
	scratch_load_b128 v[2:5], off, off offset:288
	scratch_load_b128 v[6:9], off, off offset:304
	;; [unrolled: 1-line block ×9, first 2 shown]
	ds_load_b128 v[38:41], v1 offset:992
	ds_load_b128 v[42:45], v1 offset:1008
	s_clause 0x1
	scratch_load_b128 v[137:140], off, off offset:272
	scratch_load_b128 v[141:144], off, off offset:432
	s_mov_b32 s0, exec_lo
	s_wait_loadcnt_dscnt 0xa01
	v_mul_f64_e32 v[145:146], v[40:41], v[4:5]
	v_mul_f64_e32 v[4:5], v[38:39], v[4:5]
	s_wait_loadcnt_dscnt 0x900
	v_mul_f64_e32 v[149:150], v[42:43], v[8:9]
	v_mul_f64_e32 v[8:9], v[44:45], v[8:9]
	s_delay_alu instid0(VALU_DEP_4) | instskip(NEXT) | instid1(VALU_DEP_4)
	v_fma_f64 v[151:152], v[38:39], v[2:3], -v[145:146]
	v_fma_f64 v[153:154], v[40:41], v[2:3], v[4:5]
	ds_load_b128 v[2:5], v1 offset:1024
	ds_load_b128 v[145:148], v1 offset:1040
	scratch_load_b128 v[38:41], off, off offset:448
	v_fma_f64 v[44:45], v[44:45], v[6:7], v[149:150]
	v_fma_f64 v[42:43], v[42:43], v[6:7], -v[8:9]
	scratch_load_b128 v[6:9], off, off offset:464
	s_wait_loadcnt_dscnt 0xa01
	v_mul_f64_e32 v[155:156], v[2:3], v[12:13]
	v_mul_f64_e32 v[12:13], v[4:5], v[12:13]
	v_add_f64_e32 v[149:150], 0, v[151:152]
	v_add_f64_e32 v[151:152], 0, v[153:154]
	s_wait_loadcnt_dscnt 0x900
	v_mul_f64_e32 v[153:154], v[145:146], v[16:17]
	v_mul_f64_e32 v[16:17], v[147:148], v[16:17]
	v_fma_f64 v[155:156], v[4:5], v[10:11], v[155:156]
	v_fma_f64 v[157:158], v[2:3], v[10:11], -v[12:13]
	ds_load_b128 v[2:5], v1 offset:1056
	scratch_load_b128 v[10:13], off, off offset:480
	v_add_f64_e32 v[149:150], v[149:150], v[42:43]
	v_add_f64_e32 v[151:152], v[151:152], v[44:45]
	ds_load_b128 v[42:45], v1 offset:1072
	v_fma_f64 v[147:148], v[147:148], v[14:15], v[153:154]
	v_fma_f64 v[145:146], v[145:146], v[14:15], -v[16:17]
	scratch_load_b128 v[14:17], off, off offset:496
	s_wait_loadcnt_dscnt 0xa01
	v_mul_f64_e32 v[159:160], v[2:3], v[20:21]
	v_mul_f64_e32 v[20:21], v[4:5], v[20:21]
	s_wait_loadcnt_dscnt 0x900
	v_mul_f64_e32 v[153:154], v[42:43], v[24:25]
	v_mul_f64_e32 v[24:25], v[44:45], v[24:25]
	v_add_f64_e32 v[149:150], v[149:150], v[157:158]
	v_add_f64_e32 v[151:152], v[151:152], v[155:156]
	v_fma_f64 v[155:156], v[4:5], v[18:19], v[159:160]
	v_fma_f64 v[157:158], v[2:3], v[18:19], -v[20:21]
	ds_load_b128 v[2:5], v1 offset:1088
	scratch_load_b128 v[18:21], off, off offset:512
	v_fma_f64 v[44:45], v[44:45], v[22:23], v[153:154]
	v_fma_f64 v[42:43], v[42:43], v[22:23], -v[24:25]
	scratch_load_b128 v[22:25], off, off offset:528
	v_add_f64_e32 v[149:150], v[149:150], v[145:146]
	v_add_f64_e32 v[151:152], v[151:152], v[147:148]
	ds_load_b128 v[145:148], v1 offset:1104
	s_wait_loadcnt_dscnt 0xa01
	v_mul_f64_e32 v[159:160], v[2:3], v[28:29]
	v_mul_f64_e32 v[28:29], v[4:5], v[28:29]
	s_wait_loadcnt_dscnt 0x900
	v_mul_f64_e32 v[153:154], v[145:146], v[32:33]
	v_mul_f64_e32 v[32:33], v[147:148], v[32:33]
	v_add_f64_e32 v[149:150], v[149:150], v[157:158]
	v_add_f64_e32 v[151:152], v[151:152], v[155:156]
	v_fma_f64 v[155:156], v[4:5], v[26:27], v[159:160]
	v_fma_f64 v[157:158], v[2:3], v[26:27], -v[28:29]
	ds_load_b128 v[2:5], v1 offset:1120
	scratch_load_b128 v[26:29], off, off offset:544
	v_fma_f64 v[147:148], v[147:148], v[30:31], v[153:154]
	v_fma_f64 v[145:146], v[145:146], v[30:31], -v[32:33]
	scratch_load_b128 v[30:33], off, off offset:560
	v_add_f64_e32 v[149:150], v[149:150], v[42:43]
	v_add_f64_e32 v[151:152], v[151:152], v[44:45]
	ds_load_b128 v[42:45], v1 offset:1136
	s_wait_loadcnt_dscnt 0xa01
	v_mul_f64_e32 v[159:160], v[2:3], v[36:37]
	v_mul_f64_e32 v[36:37], v[4:5], v[36:37]
	s_wait_loadcnt_dscnt 0x800
	v_mul_f64_e32 v[153:154], v[42:43], v[143:144]
	v_add_f64_e32 v[149:150], v[149:150], v[157:158]
	v_add_f64_e32 v[151:152], v[151:152], v[155:156]
	v_mul_f64_e32 v[155:156], v[44:45], v[143:144]
	v_fma_f64 v[157:158], v[4:5], v[34:35], v[159:160]
	v_fma_f64 v[159:160], v[2:3], v[34:35], -v[36:37]
	ds_load_b128 v[2:5], v1 offset:1152
	scratch_load_b128 v[34:37], off, off offset:576
	v_fma_f64 v[44:45], v[44:45], v[141:142], v[153:154]
	v_add_f64_e32 v[149:150], v[149:150], v[145:146]
	v_add_f64_e32 v[147:148], v[151:152], v[147:148]
	ds_load_b128 v[143:146], v1 offset:1168
	v_fma_f64 v[141:142], v[42:43], v[141:142], -v[155:156]
	s_wait_loadcnt_dscnt 0x801
	v_mul_f64_e32 v[151:152], v[2:3], v[40:41]
	v_mul_f64_e32 v[161:162], v[4:5], v[40:41]
	scratch_load_b128 v[40:43], off, off offset:592
	s_wait_loadcnt_dscnt 0x800
	v_mul_f64_e32 v[155:156], v[143:144], v[8:9]
	v_mul_f64_e32 v[8:9], v[145:146], v[8:9]
	v_add_f64_e32 v[149:150], v[149:150], v[159:160]
	v_add_f64_e32 v[147:148], v[147:148], v[157:158]
	v_fma_f64 v[157:158], v[4:5], v[38:39], v[151:152]
	v_fma_f64 v[38:39], v[2:3], v[38:39], -v[161:162]
	ds_load_b128 v[2:5], v1 offset:1184
	ds_load_b128 v[151:154], v1 offset:1200
	v_fma_f64 v[145:146], v[145:146], v[6:7], v[155:156]
	v_fma_f64 v[143:144], v[143:144], v[6:7], -v[8:9]
	scratch_load_b128 v[6:9], off, off offset:624
	v_add_f64_e32 v[141:142], v[149:150], v[141:142]
	v_add_f64_e32 v[44:45], v[147:148], v[44:45]
	scratch_load_b128 v[147:150], off, off offset:608
	s_wait_loadcnt_dscnt 0x901
	v_mul_f64_e32 v[159:160], v[2:3], v[12:13]
	v_mul_f64_e32 v[12:13], v[4:5], v[12:13]
	s_wait_loadcnt_dscnt 0x800
	v_mul_f64_e32 v[155:156], v[151:152], v[16:17]
	v_mul_f64_e32 v[16:17], v[153:154], v[16:17]
	v_add_f64_e32 v[38:39], v[141:142], v[38:39]
	v_add_f64_e32 v[44:45], v[44:45], v[157:158]
	v_fma_f64 v[157:158], v[4:5], v[10:11], v[159:160]
	v_fma_f64 v[159:160], v[2:3], v[10:11], -v[12:13]
	ds_load_b128 v[2:5], v1 offset:1216
	scratch_load_b128 v[10:13], off, off offset:640
	v_fma_f64 v[153:154], v[153:154], v[14:15], v[155:156]
	v_fma_f64 v[151:152], v[151:152], v[14:15], -v[16:17]
	scratch_load_b128 v[14:17], off, off offset:656
	v_add_f64_e32 v[38:39], v[38:39], v[143:144]
	v_add_f64_e32 v[44:45], v[44:45], v[145:146]
	ds_load_b128 v[141:144], v1 offset:1232
	s_wait_loadcnt_dscnt 0x901
	v_mul_f64_e32 v[145:146], v[2:3], v[20:21]
	v_mul_f64_e32 v[20:21], v[4:5], v[20:21]
	s_wait_loadcnt_dscnt 0x800
	v_mul_f64_e32 v[155:156], v[141:142], v[24:25]
	v_mul_f64_e32 v[24:25], v[143:144], v[24:25]
	v_add_f64_e32 v[38:39], v[38:39], v[159:160]
	v_add_f64_e32 v[44:45], v[44:45], v[157:158]
	v_fma_f64 v[145:146], v[4:5], v[18:19], v[145:146]
	v_fma_f64 v[157:158], v[2:3], v[18:19], -v[20:21]
	ds_load_b128 v[2:5], v1 offset:1248
	scratch_load_b128 v[18:21], off, off offset:672
	v_fma_f64 v[143:144], v[143:144], v[22:23], v[155:156]
	v_fma_f64 v[141:142], v[141:142], v[22:23], -v[24:25]
	scratch_load_b128 v[22:25], off, off offset:688
	v_add_f64_e32 v[38:39], v[38:39], v[151:152]
	v_add_f64_e32 v[44:45], v[44:45], v[153:154]
	ds_load_b128 v[151:154], v1 offset:1264
	s_wait_loadcnt_dscnt 0x901
	v_mul_f64_e32 v[159:160], v[2:3], v[28:29]
	v_mul_f64_e32 v[28:29], v[4:5], v[28:29]
	v_add_f64_e32 v[38:39], v[38:39], v[157:158]
	v_add_f64_e32 v[44:45], v[44:45], v[145:146]
	s_wait_loadcnt_dscnt 0x800
	v_mul_f64_e32 v[145:146], v[151:152], v[32:33]
	v_mul_f64_e32 v[32:33], v[153:154], v[32:33]
	v_fma_f64 v[155:156], v[4:5], v[26:27], v[159:160]
	v_fma_f64 v[157:158], v[2:3], v[26:27], -v[28:29]
	ds_load_b128 v[2:5], v1 offset:1280
	scratch_load_b128 v[26:29], off, off offset:704
	v_add_f64_e32 v[38:39], v[38:39], v[141:142]
	v_add_f64_e32 v[44:45], v[44:45], v[143:144]
	ds_load_b128 v[141:144], v1 offset:1296
	s_wait_loadcnt_dscnt 0x801
	v_mul_f64_e32 v[159:160], v[2:3], v[36:37]
	v_mul_f64_e32 v[36:37], v[4:5], v[36:37]
	v_fma_f64 v[145:146], v[153:154], v[30:31], v[145:146]
	v_fma_f64 v[151:152], v[151:152], v[30:31], -v[32:33]
	scratch_load_b128 v[30:33], off, off offset:720
	s_wait_loadcnt_dscnt 0x800
	v_mul_f64_e32 v[153:154], v[141:142], v[42:43]
	v_add_f64_e32 v[38:39], v[38:39], v[157:158]
	v_add_f64_e32 v[44:45], v[44:45], v[155:156]
	v_mul_f64_e32 v[42:43], v[143:144], v[42:43]
	v_fma_f64 v[155:156], v[4:5], v[34:35], v[159:160]
	v_fma_f64 v[157:158], v[2:3], v[34:35], -v[36:37]
	ds_load_b128 v[2:5], v1 offset:1312
	ds_load_b128 v[34:37], v1 offset:1328
	v_fma_f64 v[143:144], v[143:144], v[40:41], v[153:154]
	v_add_f64_e32 v[38:39], v[38:39], v[151:152]
	v_add_f64_e32 v[44:45], v[44:45], v[145:146]
	v_fma_f64 v[40:41], v[141:142], v[40:41], -v[42:43]
	s_wait_loadcnt_dscnt 0x601
	v_mul_f64_e32 v[145:146], v[2:3], v[149:150]
	v_mul_f64_e32 v[149:150], v[4:5], v[149:150]
	v_add_f64_e32 v[38:39], v[38:39], v[157:158]
	v_add_f64_e32 v[42:43], v[44:45], v[155:156]
	s_wait_dscnt 0x0
	v_mul_f64_e32 v[44:45], v[34:35], v[8:9]
	v_mul_f64_e32 v[8:9], v[36:37], v[8:9]
	v_fma_f64 v[141:142], v[4:5], v[147:148], v[145:146]
	v_fma_f64 v[145:146], v[2:3], v[147:148], -v[149:150]
	v_add_f64_e32 v[147:148], v[38:39], v[40:41]
	v_add_f64_e32 v[42:43], v[42:43], v[143:144]
	ds_load_b128 v[2:5], v1 offset:1344
	ds_load_b128 v[38:41], v1 offset:1360
	v_fma_f64 v[36:37], v[36:37], v[6:7], v[44:45]
	v_fma_f64 v[6:7], v[34:35], v[6:7], -v[8:9]
	s_wait_loadcnt_dscnt 0x501
	v_mul_f64_e32 v[143:144], v[2:3], v[12:13]
	v_mul_f64_e32 v[12:13], v[4:5], v[12:13]
	v_add_f64_e32 v[8:9], v[147:148], v[145:146]
	v_add_f64_e32 v[34:35], v[42:43], v[141:142]
	s_wait_loadcnt_dscnt 0x400
	v_mul_f64_e32 v[42:43], v[38:39], v[16:17]
	v_mul_f64_e32 v[16:17], v[40:41], v[16:17]
	v_fma_f64 v[44:45], v[4:5], v[10:11], v[143:144]
	v_fma_f64 v[10:11], v[2:3], v[10:11], -v[12:13]
	v_add_f64_e32 v[12:13], v[8:9], v[6:7]
	v_add_f64_e32 v[34:35], v[34:35], v[36:37]
	ds_load_b128 v[2:5], v1 offset:1376
	ds_load_b128 v[6:9], v1 offset:1392
	v_fma_f64 v[40:41], v[40:41], v[14:15], v[42:43]
	v_fma_f64 v[14:15], v[38:39], v[14:15], -v[16:17]
	s_wait_loadcnt_dscnt 0x301
	v_mul_f64_e32 v[36:37], v[2:3], v[20:21]
	v_mul_f64_e32 v[20:21], v[4:5], v[20:21]
	s_wait_loadcnt_dscnt 0x200
	v_mul_f64_e32 v[16:17], v[6:7], v[24:25]
	v_mul_f64_e32 v[24:25], v[8:9], v[24:25]
	v_add_f64_e32 v[10:11], v[12:13], v[10:11]
	v_add_f64_e32 v[12:13], v[34:35], v[44:45]
	v_fma_f64 v[34:35], v[4:5], v[18:19], v[36:37]
	v_fma_f64 v[18:19], v[2:3], v[18:19], -v[20:21]
	v_fma_f64 v[8:9], v[8:9], v[22:23], v[16:17]
	v_fma_f64 v[6:7], v[6:7], v[22:23], -v[24:25]
	v_add_f64_e32 v[14:15], v[10:11], v[14:15]
	v_add_f64_e32 v[20:21], v[12:13], v[40:41]
	ds_load_b128 v[2:5], v1 offset:1408
	ds_load_b128 v[10:13], v1 offset:1424
	s_wait_loadcnt_dscnt 0x101
	v_mul_f64_e32 v[36:37], v[2:3], v[28:29]
	v_mul_f64_e32 v[28:29], v[4:5], v[28:29]
	v_add_f64_e32 v[14:15], v[14:15], v[18:19]
	v_add_f64_e32 v[16:17], v[20:21], v[34:35]
	s_wait_loadcnt_dscnt 0x0
	v_mul_f64_e32 v[18:19], v[10:11], v[32:33]
	v_mul_f64_e32 v[20:21], v[12:13], v[32:33]
	v_fma_f64 v[4:5], v[4:5], v[26:27], v[36:37]
	v_fma_f64 v[1:2], v[2:3], v[26:27], -v[28:29]
	v_add_f64_e32 v[6:7], v[14:15], v[6:7]
	v_add_f64_e32 v[8:9], v[16:17], v[8:9]
	v_fma_f64 v[12:13], v[12:13], v[30:31], v[18:19]
	v_fma_f64 v[10:11], v[10:11], v[30:31], -v[20:21]
	s_delay_alu instid0(VALU_DEP_4) | instskip(NEXT) | instid1(VALU_DEP_4)
	v_add_f64_e32 v[1:2], v[6:7], v[1:2]
	v_add_f64_e32 v[3:4], v[8:9], v[4:5]
	s_delay_alu instid0(VALU_DEP_2) | instskip(NEXT) | instid1(VALU_DEP_2)
	v_add_f64_e32 v[1:2], v[1:2], v[10:11]
	v_add_f64_e32 v[3:4], v[3:4], v[12:13]
	s_delay_alu instid0(VALU_DEP_2) | instskip(NEXT) | instid1(VALU_DEP_2)
	v_add_f64_e64 v[1:2], v[137:138], -v[1:2]
	v_add_f64_e64 v[3:4], v[139:140], -v[3:4]
	scratch_store_b128 off, v[1:4], off offset:272
	v_cmpx_lt_u32_e32 15, v0
	s_cbranch_execz .LBB108_253
; %bb.252:
	scratch_load_b128 v[1:4], off, s43
	v_mov_b32_e32 v5, 0
	s_delay_alu instid0(VALU_DEP_1)
	v_dual_mov_b32 v6, v5 :: v_dual_mov_b32 v7, v5
	v_mov_b32_e32 v8, v5
	scratch_store_b128 off, v[5:8], off offset:256
	s_wait_loadcnt 0x0
	ds_store_b128 v136, v[1:4]
.LBB108_253:
	s_wait_alu 0xfffe
	s_or_b32 exec_lo, exec_lo, s0
	s_wait_storecnt_dscnt 0x0
	s_barrier_signal -1
	s_barrier_wait -1
	global_inv scope:SCOPE_SE
	s_clause 0x7
	scratch_load_b128 v[2:5], off, off offset:272
	scratch_load_b128 v[6:9], off, off offset:288
	;; [unrolled: 1-line block ×8, first 2 shown]
	v_mov_b32_e32 v1, 0
	s_mov_b32 s0, exec_lo
	ds_load_b128 v[34:37], v1 offset:976
	s_clause 0x1
	scratch_load_b128 v[38:41], off, off offset:400
	scratch_load_b128 v[42:45], off, off offset:256
	ds_load_b128 v[137:140], v1 offset:992
	scratch_load_b128 v[141:144], off, off offset:416
	s_wait_loadcnt_dscnt 0xa01
	v_mul_f64_e32 v[145:146], v[36:37], v[4:5]
	v_mul_f64_e32 v[4:5], v[34:35], v[4:5]
	s_delay_alu instid0(VALU_DEP_2) | instskip(NEXT) | instid1(VALU_DEP_2)
	v_fma_f64 v[151:152], v[34:35], v[2:3], -v[145:146]
	v_fma_f64 v[153:154], v[36:37], v[2:3], v[4:5]
	ds_load_b128 v[2:5], v1 offset:1008
	s_wait_loadcnt_dscnt 0x901
	v_mul_f64_e32 v[149:150], v[137:138], v[8:9]
	v_mul_f64_e32 v[8:9], v[139:140], v[8:9]
	scratch_load_b128 v[34:37], off, off offset:432
	ds_load_b128 v[145:148], v1 offset:1024
	s_wait_loadcnt_dscnt 0x901
	v_mul_f64_e32 v[155:156], v[2:3], v[12:13]
	v_mul_f64_e32 v[12:13], v[4:5], v[12:13]
	v_fma_f64 v[139:140], v[139:140], v[6:7], v[149:150]
	v_fma_f64 v[137:138], v[137:138], v[6:7], -v[8:9]
	v_add_f64_e32 v[149:150], 0, v[151:152]
	v_add_f64_e32 v[151:152], 0, v[153:154]
	scratch_load_b128 v[6:9], off, off offset:448
	v_fma_f64 v[155:156], v[4:5], v[10:11], v[155:156]
	v_fma_f64 v[157:158], v[2:3], v[10:11], -v[12:13]
	ds_load_b128 v[2:5], v1 offset:1040
	s_wait_loadcnt_dscnt 0x901
	v_mul_f64_e32 v[153:154], v[145:146], v[16:17]
	v_mul_f64_e32 v[16:17], v[147:148], v[16:17]
	scratch_load_b128 v[10:13], off, off offset:464
	v_add_f64_e32 v[149:150], v[149:150], v[137:138]
	v_add_f64_e32 v[151:152], v[151:152], v[139:140]
	s_wait_loadcnt_dscnt 0x900
	v_mul_f64_e32 v[159:160], v[2:3], v[20:21]
	v_mul_f64_e32 v[20:21], v[4:5], v[20:21]
	ds_load_b128 v[137:140], v1 offset:1056
	v_fma_f64 v[147:148], v[147:148], v[14:15], v[153:154]
	v_fma_f64 v[145:146], v[145:146], v[14:15], -v[16:17]
	scratch_load_b128 v[14:17], off, off offset:480
	v_add_f64_e32 v[149:150], v[149:150], v[157:158]
	v_add_f64_e32 v[151:152], v[151:152], v[155:156]
	v_fma_f64 v[155:156], v[4:5], v[18:19], v[159:160]
	v_fma_f64 v[157:158], v[2:3], v[18:19], -v[20:21]
	ds_load_b128 v[2:5], v1 offset:1072
	s_wait_loadcnt_dscnt 0x901
	v_mul_f64_e32 v[153:154], v[137:138], v[24:25]
	v_mul_f64_e32 v[24:25], v[139:140], v[24:25]
	scratch_load_b128 v[18:21], off, off offset:496
	s_wait_loadcnt_dscnt 0x900
	v_mul_f64_e32 v[159:160], v[2:3], v[28:29]
	v_mul_f64_e32 v[28:29], v[4:5], v[28:29]
	v_add_f64_e32 v[149:150], v[149:150], v[145:146]
	v_add_f64_e32 v[151:152], v[151:152], v[147:148]
	ds_load_b128 v[145:148], v1 offset:1088
	v_fma_f64 v[139:140], v[139:140], v[22:23], v[153:154]
	v_fma_f64 v[137:138], v[137:138], v[22:23], -v[24:25]
	scratch_load_b128 v[22:25], off, off offset:512
	v_add_f64_e32 v[149:150], v[149:150], v[157:158]
	v_add_f64_e32 v[151:152], v[151:152], v[155:156]
	v_fma_f64 v[155:156], v[4:5], v[26:27], v[159:160]
	v_fma_f64 v[157:158], v[2:3], v[26:27], -v[28:29]
	ds_load_b128 v[2:5], v1 offset:1104
	s_wait_loadcnt_dscnt 0x901
	v_mul_f64_e32 v[153:154], v[145:146], v[32:33]
	v_mul_f64_e32 v[32:33], v[147:148], v[32:33]
	scratch_load_b128 v[26:29], off, off offset:528
	s_wait_loadcnt_dscnt 0x900
	v_mul_f64_e32 v[159:160], v[2:3], v[40:41]
	v_mul_f64_e32 v[40:41], v[4:5], v[40:41]
	v_add_f64_e32 v[149:150], v[149:150], v[137:138]
	v_add_f64_e32 v[151:152], v[151:152], v[139:140]
	ds_load_b128 v[137:140], v1 offset:1120
	v_fma_f64 v[147:148], v[147:148], v[30:31], v[153:154]
	v_fma_f64 v[145:146], v[145:146], v[30:31], -v[32:33]
	scratch_load_b128 v[30:33], off, off offset:544
	v_add_f64_e32 v[149:150], v[149:150], v[157:158]
	v_add_f64_e32 v[151:152], v[151:152], v[155:156]
	v_fma_f64 v[157:158], v[4:5], v[38:39], v[159:160]
	v_fma_f64 v[159:160], v[2:3], v[38:39], -v[40:41]
	ds_load_b128 v[2:5], v1 offset:1136
	s_wait_loadcnt_dscnt 0x801
	v_mul_f64_e32 v[153:154], v[137:138], v[143:144]
	v_mul_f64_e32 v[155:156], v[139:140], v[143:144]
	scratch_load_b128 v[38:41], off, off offset:560
	v_add_f64_e32 v[149:150], v[149:150], v[145:146]
	v_add_f64_e32 v[147:148], v[151:152], v[147:148]
	ds_load_b128 v[143:146], v1 offset:1152
	v_fma_f64 v[153:154], v[139:140], v[141:142], v[153:154]
	v_fma_f64 v[141:142], v[137:138], v[141:142], -v[155:156]
	scratch_load_b128 v[137:140], off, off offset:576
	s_wait_loadcnt_dscnt 0x901
	v_mul_f64_e32 v[151:152], v[2:3], v[36:37]
	v_mul_f64_e32 v[36:37], v[4:5], v[36:37]
	v_add_f64_e32 v[149:150], v[149:150], v[159:160]
	v_add_f64_e32 v[147:148], v[147:148], v[157:158]
	s_delay_alu instid0(VALU_DEP_4) | instskip(NEXT) | instid1(VALU_DEP_4)
	v_fma_f64 v[151:152], v[4:5], v[34:35], v[151:152]
	v_fma_f64 v[157:158], v[2:3], v[34:35], -v[36:37]
	ds_load_b128 v[2:5], v1 offset:1168
	s_wait_loadcnt_dscnt 0x801
	v_mul_f64_e32 v[155:156], v[143:144], v[8:9]
	v_mul_f64_e32 v[8:9], v[145:146], v[8:9]
	scratch_load_b128 v[34:37], off, off offset:592
	s_wait_loadcnt_dscnt 0x800
	v_mul_f64_e32 v[159:160], v[2:3], v[12:13]
	v_add_f64_e32 v[141:142], v[149:150], v[141:142]
	v_add_f64_e32 v[153:154], v[147:148], v[153:154]
	v_mul_f64_e32 v[12:13], v[4:5], v[12:13]
	ds_load_b128 v[147:150], v1 offset:1184
	v_fma_f64 v[145:146], v[145:146], v[6:7], v[155:156]
	v_fma_f64 v[143:144], v[143:144], v[6:7], -v[8:9]
	scratch_load_b128 v[6:9], off, off offset:608
	v_fma_f64 v[155:156], v[4:5], v[10:11], v[159:160]
	v_add_f64_e32 v[141:142], v[141:142], v[157:158]
	v_add_f64_e32 v[151:152], v[153:154], v[151:152]
	v_fma_f64 v[157:158], v[2:3], v[10:11], -v[12:13]
	ds_load_b128 v[2:5], v1 offset:1200
	s_wait_loadcnt_dscnt 0x801
	v_mul_f64_e32 v[153:154], v[147:148], v[16:17]
	v_mul_f64_e32 v[16:17], v[149:150], v[16:17]
	scratch_load_b128 v[10:13], off, off offset:624
	v_add_f64_e32 v[159:160], v[141:142], v[143:144]
	v_add_f64_e32 v[145:146], v[151:152], v[145:146]
	s_wait_loadcnt_dscnt 0x800
	v_mul_f64_e32 v[151:152], v[2:3], v[20:21]
	v_mul_f64_e32 v[20:21], v[4:5], v[20:21]
	v_fma_f64 v[149:150], v[149:150], v[14:15], v[153:154]
	v_fma_f64 v[147:148], v[147:148], v[14:15], -v[16:17]
	ds_load_b128 v[141:144], v1 offset:1216
	scratch_load_b128 v[14:17], off, off offset:640
	v_add_f64_e32 v[153:154], v[159:160], v[157:158]
	v_add_f64_e32 v[145:146], v[145:146], v[155:156]
	v_fma_f64 v[151:152], v[4:5], v[18:19], v[151:152]
	v_fma_f64 v[157:158], v[2:3], v[18:19], -v[20:21]
	ds_load_b128 v[2:5], v1 offset:1232
	s_wait_loadcnt_dscnt 0x801
	v_mul_f64_e32 v[155:156], v[141:142], v[24:25]
	v_mul_f64_e32 v[24:25], v[143:144], v[24:25]
	scratch_load_b128 v[18:21], off, off offset:656
	s_wait_loadcnt_dscnt 0x800
	v_mul_f64_e32 v[159:160], v[2:3], v[28:29]
	v_mul_f64_e32 v[28:29], v[4:5], v[28:29]
	v_add_f64_e32 v[153:154], v[153:154], v[147:148]
	v_add_f64_e32 v[149:150], v[145:146], v[149:150]
	ds_load_b128 v[145:148], v1 offset:1248
	v_fma_f64 v[143:144], v[143:144], v[22:23], v[155:156]
	v_fma_f64 v[141:142], v[141:142], v[22:23], -v[24:25]
	scratch_load_b128 v[22:25], off, off offset:672
	v_fma_f64 v[155:156], v[4:5], v[26:27], v[159:160]
	v_add_f64_e32 v[153:154], v[153:154], v[157:158]
	v_add_f64_e32 v[149:150], v[149:150], v[151:152]
	v_fma_f64 v[157:158], v[2:3], v[26:27], -v[28:29]
	ds_load_b128 v[2:5], v1 offset:1264
	s_wait_loadcnt_dscnt 0x801
	v_mul_f64_e32 v[151:152], v[145:146], v[32:33]
	v_mul_f64_e32 v[32:33], v[147:148], v[32:33]
	scratch_load_b128 v[26:29], off, off offset:688
	s_wait_loadcnt_dscnt 0x800
	v_mul_f64_e32 v[159:160], v[2:3], v[40:41]
	v_mul_f64_e32 v[40:41], v[4:5], v[40:41]
	v_add_f64_e32 v[153:154], v[153:154], v[141:142]
	v_add_f64_e32 v[149:150], v[149:150], v[143:144]
	ds_load_b128 v[141:144], v1 offset:1280
	v_fma_f64 v[147:148], v[147:148], v[30:31], v[151:152]
	v_fma_f64 v[145:146], v[145:146], v[30:31], -v[32:33]
	scratch_load_b128 v[30:33], off, off offset:704
	v_add_f64_e32 v[151:152], v[153:154], v[157:158]
	v_add_f64_e32 v[149:150], v[149:150], v[155:156]
	v_fma_f64 v[155:156], v[4:5], v[38:39], v[159:160]
	v_fma_f64 v[157:158], v[2:3], v[38:39], -v[40:41]
	ds_load_b128 v[2:5], v1 offset:1296
	s_wait_loadcnt_dscnt 0x801
	v_mul_f64_e32 v[153:154], v[141:142], v[139:140]
	v_mul_f64_e32 v[139:140], v[143:144], v[139:140]
	scratch_load_b128 v[38:41], off, off offset:720
	s_wait_loadcnt_dscnt 0x800
	v_mul_f64_e32 v[159:160], v[2:3], v[36:37]
	v_mul_f64_e32 v[36:37], v[4:5], v[36:37]
	v_add_f64_e32 v[151:152], v[151:152], v[145:146]
	v_add_f64_e32 v[149:150], v[149:150], v[147:148]
	ds_load_b128 v[145:148], v1 offset:1312
	v_fma_f64 v[143:144], v[143:144], v[137:138], v[153:154]
	v_fma_f64 v[137:138], v[141:142], v[137:138], -v[139:140]
	v_fma_f64 v[153:154], v[2:3], v[34:35], -v[36:37]
	v_add_f64_e32 v[139:140], v[151:152], v[157:158]
	v_add_f64_e32 v[141:142], v[149:150], v[155:156]
	s_wait_loadcnt_dscnt 0x700
	v_mul_f64_e32 v[149:150], v[145:146], v[8:9]
	v_mul_f64_e32 v[8:9], v[147:148], v[8:9]
	v_fma_f64 v[151:152], v[4:5], v[34:35], v[159:160]
	ds_load_b128 v[2:5], v1 offset:1328
	ds_load_b128 v[34:37], v1 offset:1344
	v_add_f64_e32 v[137:138], v[139:140], v[137:138]
	v_add_f64_e32 v[139:140], v[141:142], v[143:144]
	s_wait_loadcnt_dscnt 0x601
	v_mul_f64_e32 v[141:142], v[2:3], v[12:13]
	v_mul_f64_e32 v[12:13], v[4:5], v[12:13]
	v_fma_f64 v[143:144], v[147:148], v[6:7], v[149:150]
	v_fma_f64 v[6:7], v[145:146], v[6:7], -v[8:9]
	v_add_f64_e32 v[8:9], v[137:138], v[153:154]
	v_add_f64_e32 v[137:138], v[139:140], v[151:152]
	s_wait_loadcnt_dscnt 0x500
	v_mul_f64_e32 v[139:140], v[34:35], v[16:17]
	v_mul_f64_e32 v[16:17], v[36:37], v[16:17]
	v_fma_f64 v[141:142], v[4:5], v[10:11], v[141:142]
	v_fma_f64 v[10:11], v[2:3], v[10:11], -v[12:13]
	v_add_f64_e32 v[12:13], v[8:9], v[6:7]
	v_add_f64_e32 v[137:138], v[137:138], v[143:144]
	ds_load_b128 v[2:5], v1 offset:1360
	ds_load_b128 v[6:9], v1 offset:1376
	v_fma_f64 v[36:37], v[36:37], v[14:15], v[139:140]
	v_fma_f64 v[14:15], v[34:35], v[14:15], -v[16:17]
	s_wait_loadcnt_dscnt 0x401
	v_mul_f64_e32 v[143:144], v[2:3], v[20:21]
	v_mul_f64_e32 v[20:21], v[4:5], v[20:21]
	s_wait_loadcnt_dscnt 0x300
	v_mul_f64_e32 v[16:17], v[6:7], v[24:25]
	v_mul_f64_e32 v[24:25], v[8:9], v[24:25]
	v_add_f64_e32 v[10:11], v[12:13], v[10:11]
	v_add_f64_e32 v[12:13], v[137:138], v[141:142]
	v_fma_f64 v[34:35], v[4:5], v[18:19], v[143:144]
	v_fma_f64 v[18:19], v[2:3], v[18:19], -v[20:21]
	v_fma_f64 v[8:9], v[8:9], v[22:23], v[16:17]
	v_fma_f64 v[6:7], v[6:7], v[22:23], -v[24:25]
	v_add_f64_e32 v[14:15], v[10:11], v[14:15]
	v_add_f64_e32 v[20:21], v[12:13], v[36:37]
	ds_load_b128 v[2:5], v1 offset:1392
	ds_load_b128 v[10:13], v1 offset:1408
	s_wait_loadcnt_dscnt 0x201
	v_mul_f64_e32 v[36:37], v[2:3], v[28:29]
	v_mul_f64_e32 v[28:29], v[4:5], v[28:29]
	v_add_f64_e32 v[14:15], v[14:15], v[18:19]
	v_add_f64_e32 v[16:17], v[20:21], v[34:35]
	s_wait_loadcnt_dscnt 0x100
	v_mul_f64_e32 v[18:19], v[10:11], v[32:33]
	v_mul_f64_e32 v[20:21], v[12:13], v[32:33]
	v_fma_f64 v[22:23], v[4:5], v[26:27], v[36:37]
	v_fma_f64 v[24:25], v[2:3], v[26:27], -v[28:29]
	ds_load_b128 v[2:5], v1 offset:1424
	v_add_f64_e32 v[6:7], v[14:15], v[6:7]
	v_add_f64_e32 v[8:9], v[16:17], v[8:9]
	v_fma_f64 v[12:13], v[12:13], v[30:31], v[18:19]
	v_fma_f64 v[10:11], v[10:11], v[30:31], -v[20:21]
	s_wait_loadcnt_dscnt 0x0
	v_mul_f64_e32 v[14:15], v[2:3], v[40:41]
	v_mul_f64_e32 v[16:17], v[4:5], v[40:41]
	v_add_f64_e32 v[6:7], v[6:7], v[24:25]
	v_add_f64_e32 v[8:9], v[8:9], v[22:23]
	s_delay_alu instid0(VALU_DEP_4) | instskip(NEXT) | instid1(VALU_DEP_4)
	v_fma_f64 v[4:5], v[4:5], v[38:39], v[14:15]
	v_fma_f64 v[2:3], v[2:3], v[38:39], -v[16:17]
	s_delay_alu instid0(VALU_DEP_4) | instskip(NEXT) | instid1(VALU_DEP_4)
	v_add_f64_e32 v[6:7], v[6:7], v[10:11]
	v_add_f64_e32 v[8:9], v[8:9], v[12:13]
	s_delay_alu instid0(VALU_DEP_2) | instskip(NEXT) | instid1(VALU_DEP_2)
	v_add_f64_e32 v[2:3], v[6:7], v[2:3]
	v_add_f64_e32 v[4:5], v[8:9], v[4:5]
	s_delay_alu instid0(VALU_DEP_2) | instskip(NEXT) | instid1(VALU_DEP_2)
	v_add_f64_e64 v[2:3], v[42:43], -v[2:3]
	v_add_f64_e64 v[4:5], v[44:45], -v[4:5]
	scratch_store_b128 off, v[2:5], off offset:256
	v_cmpx_lt_u32_e32 14, v0
	s_cbranch_execz .LBB108_255
; %bb.254:
	scratch_load_b128 v[5:8], off, s44
	v_dual_mov_b32 v2, v1 :: v_dual_mov_b32 v3, v1
	v_mov_b32_e32 v4, v1
	scratch_store_b128 off, v[1:4], off offset:240
	s_wait_loadcnt 0x0
	ds_store_b128 v136, v[5:8]
.LBB108_255:
	s_wait_alu 0xfffe
	s_or_b32 exec_lo, exec_lo, s0
	s_wait_storecnt_dscnt 0x0
	s_barrier_signal -1
	s_barrier_wait -1
	global_inv scope:SCOPE_SE
	s_clause 0x8
	scratch_load_b128 v[2:5], off, off offset:256
	scratch_load_b128 v[6:9], off, off offset:272
	;; [unrolled: 1-line block ×9, first 2 shown]
	ds_load_b128 v[38:41], v1 offset:960
	ds_load_b128 v[42:45], v1 offset:976
	s_clause 0x1
	scratch_load_b128 v[137:140], off, off offset:240
	scratch_load_b128 v[141:144], off, off offset:400
	s_mov_b32 s0, exec_lo
	s_wait_loadcnt_dscnt 0xa01
	v_mul_f64_e32 v[145:146], v[40:41], v[4:5]
	v_mul_f64_e32 v[4:5], v[38:39], v[4:5]
	s_wait_loadcnt_dscnt 0x900
	v_mul_f64_e32 v[149:150], v[42:43], v[8:9]
	v_mul_f64_e32 v[8:9], v[44:45], v[8:9]
	s_delay_alu instid0(VALU_DEP_4) | instskip(NEXT) | instid1(VALU_DEP_4)
	v_fma_f64 v[151:152], v[38:39], v[2:3], -v[145:146]
	v_fma_f64 v[153:154], v[40:41], v[2:3], v[4:5]
	ds_load_b128 v[2:5], v1 offset:992
	ds_load_b128 v[145:148], v1 offset:1008
	scratch_load_b128 v[38:41], off, off offset:416
	v_fma_f64 v[44:45], v[44:45], v[6:7], v[149:150]
	v_fma_f64 v[42:43], v[42:43], v[6:7], -v[8:9]
	scratch_load_b128 v[6:9], off, off offset:432
	s_wait_loadcnt_dscnt 0xa01
	v_mul_f64_e32 v[155:156], v[2:3], v[12:13]
	v_mul_f64_e32 v[12:13], v[4:5], v[12:13]
	v_add_f64_e32 v[149:150], 0, v[151:152]
	v_add_f64_e32 v[151:152], 0, v[153:154]
	s_wait_loadcnt_dscnt 0x900
	v_mul_f64_e32 v[153:154], v[145:146], v[16:17]
	v_mul_f64_e32 v[16:17], v[147:148], v[16:17]
	v_fma_f64 v[155:156], v[4:5], v[10:11], v[155:156]
	v_fma_f64 v[157:158], v[2:3], v[10:11], -v[12:13]
	ds_load_b128 v[2:5], v1 offset:1024
	scratch_load_b128 v[10:13], off, off offset:448
	v_add_f64_e32 v[149:150], v[149:150], v[42:43]
	v_add_f64_e32 v[151:152], v[151:152], v[44:45]
	ds_load_b128 v[42:45], v1 offset:1040
	v_fma_f64 v[147:148], v[147:148], v[14:15], v[153:154]
	v_fma_f64 v[145:146], v[145:146], v[14:15], -v[16:17]
	scratch_load_b128 v[14:17], off, off offset:464
	s_wait_loadcnt_dscnt 0xa01
	v_mul_f64_e32 v[159:160], v[2:3], v[20:21]
	v_mul_f64_e32 v[20:21], v[4:5], v[20:21]
	s_wait_loadcnt_dscnt 0x900
	v_mul_f64_e32 v[153:154], v[42:43], v[24:25]
	v_mul_f64_e32 v[24:25], v[44:45], v[24:25]
	v_add_f64_e32 v[149:150], v[149:150], v[157:158]
	v_add_f64_e32 v[151:152], v[151:152], v[155:156]
	v_fma_f64 v[155:156], v[4:5], v[18:19], v[159:160]
	v_fma_f64 v[157:158], v[2:3], v[18:19], -v[20:21]
	ds_load_b128 v[2:5], v1 offset:1056
	scratch_load_b128 v[18:21], off, off offset:480
	v_fma_f64 v[44:45], v[44:45], v[22:23], v[153:154]
	v_fma_f64 v[42:43], v[42:43], v[22:23], -v[24:25]
	scratch_load_b128 v[22:25], off, off offset:496
	v_add_f64_e32 v[149:150], v[149:150], v[145:146]
	v_add_f64_e32 v[151:152], v[151:152], v[147:148]
	ds_load_b128 v[145:148], v1 offset:1072
	s_wait_loadcnt_dscnt 0xa01
	v_mul_f64_e32 v[159:160], v[2:3], v[28:29]
	v_mul_f64_e32 v[28:29], v[4:5], v[28:29]
	s_wait_loadcnt_dscnt 0x900
	v_mul_f64_e32 v[153:154], v[145:146], v[32:33]
	v_mul_f64_e32 v[32:33], v[147:148], v[32:33]
	v_add_f64_e32 v[149:150], v[149:150], v[157:158]
	v_add_f64_e32 v[151:152], v[151:152], v[155:156]
	v_fma_f64 v[155:156], v[4:5], v[26:27], v[159:160]
	v_fma_f64 v[157:158], v[2:3], v[26:27], -v[28:29]
	ds_load_b128 v[2:5], v1 offset:1088
	scratch_load_b128 v[26:29], off, off offset:512
	v_fma_f64 v[147:148], v[147:148], v[30:31], v[153:154]
	v_fma_f64 v[145:146], v[145:146], v[30:31], -v[32:33]
	scratch_load_b128 v[30:33], off, off offset:528
	v_add_f64_e32 v[149:150], v[149:150], v[42:43]
	v_add_f64_e32 v[151:152], v[151:152], v[44:45]
	ds_load_b128 v[42:45], v1 offset:1104
	s_wait_loadcnt_dscnt 0xa01
	v_mul_f64_e32 v[159:160], v[2:3], v[36:37]
	v_mul_f64_e32 v[36:37], v[4:5], v[36:37]
	s_wait_loadcnt_dscnt 0x800
	v_mul_f64_e32 v[153:154], v[42:43], v[143:144]
	v_add_f64_e32 v[149:150], v[149:150], v[157:158]
	v_add_f64_e32 v[151:152], v[151:152], v[155:156]
	v_mul_f64_e32 v[155:156], v[44:45], v[143:144]
	v_fma_f64 v[157:158], v[4:5], v[34:35], v[159:160]
	v_fma_f64 v[159:160], v[2:3], v[34:35], -v[36:37]
	ds_load_b128 v[2:5], v1 offset:1120
	scratch_load_b128 v[34:37], off, off offset:544
	v_fma_f64 v[44:45], v[44:45], v[141:142], v[153:154]
	v_add_f64_e32 v[149:150], v[149:150], v[145:146]
	v_add_f64_e32 v[147:148], v[151:152], v[147:148]
	ds_load_b128 v[143:146], v1 offset:1136
	v_fma_f64 v[141:142], v[42:43], v[141:142], -v[155:156]
	s_wait_loadcnt_dscnt 0x801
	v_mul_f64_e32 v[151:152], v[2:3], v[40:41]
	v_mul_f64_e32 v[161:162], v[4:5], v[40:41]
	scratch_load_b128 v[40:43], off, off offset:560
	s_wait_loadcnt_dscnt 0x800
	v_mul_f64_e32 v[155:156], v[143:144], v[8:9]
	v_mul_f64_e32 v[8:9], v[145:146], v[8:9]
	v_add_f64_e32 v[149:150], v[149:150], v[159:160]
	v_add_f64_e32 v[147:148], v[147:148], v[157:158]
	v_fma_f64 v[157:158], v[4:5], v[38:39], v[151:152]
	v_fma_f64 v[38:39], v[2:3], v[38:39], -v[161:162]
	ds_load_b128 v[2:5], v1 offset:1152
	ds_load_b128 v[151:154], v1 offset:1168
	v_fma_f64 v[145:146], v[145:146], v[6:7], v[155:156]
	v_fma_f64 v[143:144], v[143:144], v[6:7], -v[8:9]
	scratch_load_b128 v[6:9], off, off offset:592
	v_add_f64_e32 v[141:142], v[149:150], v[141:142]
	v_add_f64_e32 v[44:45], v[147:148], v[44:45]
	scratch_load_b128 v[147:150], off, off offset:576
	s_wait_loadcnt_dscnt 0x901
	v_mul_f64_e32 v[159:160], v[2:3], v[12:13]
	v_mul_f64_e32 v[12:13], v[4:5], v[12:13]
	s_wait_loadcnt_dscnt 0x800
	v_mul_f64_e32 v[155:156], v[151:152], v[16:17]
	v_mul_f64_e32 v[16:17], v[153:154], v[16:17]
	v_add_f64_e32 v[38:39], v[141:142], v[38:39]
	v_add_f64_e32 v[44:45], v[44:45], v[157:158]
	v_fma_f64 v[157:158], v[4:5], v[10:11], v[159:160]
	v_fma_f64 v[159:160], v[2:3], v[10:11], -v[12:13]
	ds_load_b128 v[2:5], v1 offset:1184
	scratch_load_b128 v[10:13], off, off offset:608
	v_fma_f64 v[153:154], v[153:154], v[14:15], v[155:156]
	v_fma_f64 v[151:152], v[151:152], v[14:15], -v[16:17]
	scratch_load_b128 v[14:17], off, off offset:624
	v_add_f64_e32 v[38:39], v[38:39], v[143:144]
	v_add_f64_e32 v[44:45], v[44:45], v[145:146]
	ds_load_b128 v[141:144], v1 offset:1200
	s_wait_loadcnt_dscnt 0x901
	v_mul_f64_e32 v[145:146], v[2:3], v[20:21]
	v_mul_f64_e32 v[20:21], v[4:5], v[20:21]
	s_wait_loadcnt_dscnt 0x800
	v_mul_f64_e32 v[155:156], v[141:142], v[24:25]
	v_mul_f64_e32 v[24:25], v[143:144], v[24:25]
	v_add_f64_e32 v[38:39], v[38:39], v[159:160]
	v_add_f64_e32 v[44:45], v[44:45], v[157:158]
	v_fma_f64 v[145:146], v[4:5], v[18:19], v[145:146]
	v_fma_f64 v[157:158], v[2:3], v[18:19], -v[20:21]
	ds_load_b128 v[2:5], v1 offset:1216
	scratch_load_b128 v[18:21], off, off offset:640
	v_fma_f64 v[143:144], v[143:144], v[22:23], v[155:156]
	v_fma_f64 v[141:142], v[141:142], v[22:23], -v[24:25]
	scratch_load_b128 v[22:25], off, off offset:656
	v_add_f64_e32 v[38:39], v[38:39], v[151:152]
	v_add_f64_e32 v[44:45], v[44:45], v[153:154]
	ds_load_b128 v[151:154], v1 offset:1232
	s_wait_loadcnt_dscnt 0x901
	v_mul_f64_e32 v[159:160], v[2:3], v[28:29]
	v_mul_f64_e32 v[28:29], v[4:5], v[28:29]
	v_add_f64_e32 v[38:39], v[38:39], v[157:158]
	v_add_f64_e32 v[44:45], v[44:45], v[145:146]
	s_wait_loadcnt_dscnt 0x800
	v_mul_f64_e32 v[145:146], v[151:152], v[32:33]
	v_mul_f64_e32 v[32:33], v[153:154], v[32:33]
	v_fma_f64 v[155:156], v[4:5], v[26:27], v[159:160]
	v_fma_f64 v[157:158], v[2:3], v[26:27], -v[28:29]
	ds_load_b128 v[2:5], v1 offset:1248
	scratch_load_b128 v[26:29], off, off offset:672
	v_add_f64_e32 v[38:39], v[38:39], v[141:142]
	v_add_f64_e32 v[44:45], v[44:45], v[143:144]
	ds_load_b128 v[141:144], v1 offset:1264
	s_wait_loadcnt_dscnt 0x801
	v_mul_f64_e32 v[159:160], v[2:3], v[36:37]
	v_mul_f64_e32 v[36:37], v[4:5], v[36:37]
	v_fma_f64 v[145:146], v[153:154], v[30:31], v[145:146]
	v_fma_f64 v[151:152], v[151:152], v[30:31], -v[32:33]
	scratch_load_b128 v[30:33], off, off offset:688
	s_wait_loadcnt_dscnt 0x800
	v_mul_f64_e32 v[153:154], v[141:142], v[42:43]
	v_add_f64_e32 v[38:39], v[38:39], v[157:158]
	v_add_f64_e32 v[44:45], v[44:45], v[155:156]
	v_mul_f64_e32 v[155:156], v[143:144], v[42:43]
	v_fma_f64 v[157:158], v[4:5], v[34:35], v[159:160]
	v_fma_f64 v[159:160], v[2:3], v[34:35], -v[36:37]
	ds_load_b128 v[2:5], v1 offset:1280
	scratch_load_b128 v[34:37], off, off offset:704
	v_fma_f64 v[143:144], v[143:144], v[40:41], v[153:154]
	v_add_f64_e32 v[38:39], v[38:39], v[151:152]
	v_add_f64_e32 v[145:146], v[44:45], v[145:146]
	ds_load_b128 v[42:45], v1 offset:1296
	v_fma_f64 v[141:142], v[141:142], v[40:41], -v[155:156]
	s_wait_loadcnt_dscnt 0x701
	v_mul_f64_e32 v[151:152], v[2:3], v[149:150]
	v_mul_f64_e32 v[149:150], v[4:5], v[149:150]
	s_wait_dscnt 0x0
	v_mul_f64_e32 v[155:156], v[42:43], v[8:9]
	v_mul_f64_e32 v[8:9], v[44:45], v[8:9]
	v_add_f64_e32 v[153:154], v[38:39], v[159:160]
	v_add_f64_e32 v[145:146], v[145:146], v[157:158]
	scratch_load_b128 v[38:41], off, off offset:720
	v_fma_f64 v[151:152], v[4:5], v[147:148], v[151:152]
	v_fma_f64 v[147:148], v[2:3], v[147:148], -v[149:150]
	v_fma_f64 v[44:45], v[44:45], v[6:7], v[155:156]
	v_fma_f64 v[6:7], v[42:43], v[6:7], -v[8:9]
	v_add_f64_e32 v[149:150], v[153:154], v[141:142]
	v_add_f64_e32 v[145:146], v[145:146], v[143:144]
	ds_load_b128 v[2:5], v1 offset:1312
	ds_load_b128 v[141:144], v1 offset:1328
	s_wait_loadcnt_dscnt 0x701
	v_mul_f64_e32 v[153:154], v[2:3], v[12:13]
	v_mul_f64_e32 v[12:13], v[4:5], v[12:13]
	v_add_f64_e32 v[8:9], v[149:150], v[147:148]
	v_add_f64_e32 v[42:43], v[145:146], v[151:152]
	s_wait_loadcnt_dscnt 0x600
	v_mul_f64_e32 v[145:146], v[141:142], v[16:17]
	v_mul_f64_e32 v[16:17], v[143:144], v[16:17]
	v_fma_f64 v[147:148], v[4:5], v[10:11], v[153:154]
	v_fma_f64 v[10:11], v[2:3], v[10:11], -v[12:13]
	v_add_f64_e32 v[12:13], v[8:9], v[6:7]
	v_add_f64_e32 v[42:43], v[42:43], v[44:45]
	ds_load_b128 v[2:5], v1 offset:1344
	ds_load_b128 v[6:9], v1 offset:1360
	v_fma_f64 v[143:144], v[143:144], v[14:15], v[145:146]
	v_fma_f64 v[14:15], v[141:142], v[14:15], -v[16:17]
	s_wait_loadcnt_dscnt 0x501
	v_mul_f64_e32 v[44:45], v[2:3], v[20:21]
	v_mul_f64_e32 v[20:21], v[4:5], v[20:21]
	s_wait_loadcnt_dscnt 0x400
	v_mul_f64_e32 v[16:17], v[6:7], v[24:25]
	v_mul_f64_e32 v[24:25], v[8:9], v[24:25]
	v_add_f64_e32 v[10:11], v[12:13], v[10:11]
	v_add_f64_e32 v[12:13], v[42:43], v[147:148]
	v_fma_f64 v[42:43], v[4:5], v[18:19], v[44:45]
	v_fma_f64 v[18:19], v[2:3], v[18:19], -v[20:21]
	v_fma_f64 v[8:9], v[8:9], v[22:23], v[16:17]
	v_fma_f64 v[6:7], v[6:7], v[22:23], -v[24:25]
	v_add_f64_e32 v[14:15], v[10:11], v[14:15]
	v_add_f64_e32 v[20:21], v[12:13], v[143:144]
	ds_load_b128 v[2:5], v1 offset:1376
	ds_load_b128 v[10:13], v1 offset:1392
	s_wait_loadcnt_dscnt 0x301
	v_mul_f64_e32 v[44:45], v[2:3], v[28:29]
	v_mul_f64_e32 v[28:29], v[4:5], v[28:29]
	v_add_f64_e32 v[14:15], v[14:15], v[18:19]
	v_add_f64_e32 v[16:17], v[20:21], v[42:43]
	s_wait_loadcnt_dscnt 0x200
	v_mul_f64_e32 v[18:19], v[10:11], v[32:33]
	v_mul_f64_e32 v[20:21], v[12:13], v[32:33]
	v_fma_f64 v[22:23], v[4:5], v[26:27], v[44:45]
	v_fma_f64 v[24:25], v[2:3], v[26:27], -v[28:29]
	v_add_f64_e32 v[14:15], v[14:15], v[6:7]
	v_add_f64_e32 v[16:17], v[16:17], v[8:9]
	ds_load_b128 v[2:5], v1 offset:1408
	ds_load_b128 v[6:9], v1 offset:1424
	v_fma_f64 v[12:13], v[12:13], v[30:31], v[18:19]
	v_fma_f64 v[10:11], v[10:11], v[30:31], -v[20:21]
	s_wait_loadcnt_dscnt 0x101
	v_mul_f64_e32 v[26:27], v[2:3], v[36:37]
	v_mul_f64_e32 v[28:29], v[4:5], v[36:37]
	v_add_f64_e32 v[14:15], v[14:15], v[24:25]
	v_add_f64_e32 v[16:17], v[16:17], v[22:23]
	s_wait_loadcnt_dscnt 0x0
	v_mul_f64_e32 v[18:19], v[6:7], v[40:41]
	v_mul_f64_e32 v[20:21], v[8:9], v[40:41]
	v_fma_f64 v[4:5], v[4:5], v[34:35], v[26:27]
	v_fma_f64 v[1:2], v[2:3], v[34:35], -v[28:29]
	v_add_f64_e32 v[10:11], v[14:15], v[10:11]
	v_add_f64_e32 v[12:13], v[16:17], v[12:13]
	v_fma_f64 v[8:9], v[8:9], v[38:39], v[18:19]
	v_fma_f64 v[6:7], v[6:7], v[38:39], -v[20:21]
	s_delay_alu instid0(VALU_DEP_4) | instskip(NEXT) | instid1(VALU_DEP_4)
	v_add_f64_e32 v[1:2], v[10:11], v[1:2]
	v_add_f64_e32 v[3:4], v[12:13], v[4:5]
	s_delay_alu instid0(VALU_DEP_2) | instskip(NEXT) | instid1(VALU_DEP_2)
	v_add_f64_e32 v[1:2], v[1:2], v[6:7]
	v_add_f64_e32 v[3:4], v[3:4], v[8:9]
	s_delay_alu instid0(VALU_DEP_2) | instskip(NEXT) | instid1(VALU_DEP_2)
	v_add_f64_e64 v[1:2], v[137:138], -v[1:2]
	v_add_f64_e64 v[3:4], v[139:140], -v[3:4]
	scratch_store_b128 off, v[1:4], off offset:240
	v_cmpx_lt_u32_e32 13, v0
	s_cbranch_execz .LBB108_257
; %bb.256:
	scratch_load_b128 v[1:4], off, s45
	v_mov_b32_e32 v5, 0
	s_delay_alu instid0(VALU_DEP_1)
	v_dual_mov_b32 v6, v5 :: v_dual_mov_b32 v7, v5
	v_mov_b32_e32 v8, v5
	scratch_store_b128 off, v[5:8], off offset:224
	s_wait_loadcnt 0x0
	ds_store_b128 v136, v[1:4]
.LBB108_257:
	s_wait_alu 0xfffe
	s_or_b32 exec_lo, exec_lo, s0
	s_wait_storecnt_dscnt 0x0
	s_barrier_signal -1
	s_barrier_wait -1
	global_inv scope:SCOPE_SE
	s_clause 0x7
	scratch_load_b128 v[2:5], off, off offset:240
	scratch_load_b128 v[6:9], off, off offset:256
	;; [unrolled: 1-line block ×8, first 2 shown]
	v_mov_b32_e32 v1, 0
	s_mov_b32 s0, exec_lo
	ds_load_b128 v[34:37], v1 offset:944
	s_clause 0x1
	scratch_load_b128 v[38:41], off, off offset:368
	scratch_load_b128 v[42:45], off, off offset:224
	ds_load_b128 v[137:140], v1 offset:960
	scratch_load_b128 v[141:144], off, off offset:384
	s_wait_loadcnt_dscnt 0xa01
	v_mul_f64_e32 v[145:146], v[36:37], v[4:5]
	v_mul_f64_e32 v[4:5], v[34:35], v[4:5]
	s_delay_alu instid0(VALU_DEP_2) | instskip(NEXT) | instid1(VALU_DEP_2)
	v_fma_f64 v[151:152], v[34:35], v[2:3], -v[145:146]
	v_fma_f64 v[153:154], v[36:37], v[2:3], v[4:5]
	ds_load_b128 v[2:5], v1 offset:976
	s_wait_loadcnt_dscnt 0x901
	v_mul_f64_e32 v[149:150], v[137:138], v[8:9]
	v_mul_f64_e32 v[8:9], v[139:140], v[8:9]
	scratch_load_b128 v[34:37], off, off offset:400
	ds_load_b128 v[145:148], v1 offset:992
	s_wait_loadcnt_dscnt 0x901
	v_mul_f64_e32 v[155:156], v[2:3], v[12:13]
	v_mul_f64_e32 v[12:13], v[4:5], v[12:13]
	v_fma_f64 v[139:140], v[139:140], v[6:7], v[149:150]
	v_fma_f64 v[137:138], v[137:138], v[6:7], -v[8:9]
	v_add_f64_e32 v[149:150], 0, v[151:152]
	v_add_f64_e32 v[151:152], 0, v[153:154]
	scratch_load_b128 v[6:9], off, off offset:416
	v_fma_f64 v[155:156], v[4:5], v[10:11], v[155:156]
	v_fma_f64 v[157:158], v[2:3], v[10:11], -v[12:13]
	ds_load_b128 v[2:5], v1 offset:1008
	s_wait_loadcnt_dscnt 0x901
	v_mul_f64_e32 v[153:154], v[145:146], v[16:17]
	v_mul_f64_e32 v[16:17], v[147:148], v[16:17]
	scratch_load_b128 v[10:13], off, off offset:432
	v_add_f64_e32 v[149:150], v[149:150], v[137:138]
	v_add_f64_e32 v[151:152], v[151:152], v[139:140]
	s_wait_loadcnt_dscnt 0x900
	v_mul_f64_e32 v[159:160], v[2:3], v[20:21]
	v_mul_f64_e32 v[20:21], v[4:5], v[20:21]
	ds_load_b128 v[137:140], v1 offset:1024
	v_fma_f64 v[147:148], v[147:148], v[14:15], v[153:154]
	v_fma_f64 v[145:146], v[145:146], v[14:15], -v[16:17]
	scratch_load_b128 v[14:17], off, off offset:448
	v_add_f64_e32 v[149:150], v[149:150], v[157:158]
	v_add_f64_e32 v[151:152], v[151:152], v[155:156]
	v_fma_f64 v[155:156], v[4:5], v[18:19], v[159:160]
	v_fma_f64 v[157:158], v[2:3], v[18:19], -v[20:21]
	ds_load_b128 v[2:5], v1 offset:1040
	s_wait_loadcnt_dscnt 0x901
	v_mul_f64_e32 v[153:154], v[137:138], v[24:25]
	v_mul_f64_e32 v[24:25], v[139:140], v[24:25]
	scratch_load_b128 v[18:21], off, off offset:464
	s_wait_loadcnt_dscnt 0x900
	v_mul_f64_e32 v[159:160], v[2:3], v[28:29]
	v_mul_f64_e32 v[28:29], v[4:5], v[28:29]
	v_add_f64_e32 v[149:150], v[149:150], v[145:146]
	v_add_f64_e32 v[151:152], v[151:152], v[147:148]
	ds_load_b128 v[145:148], v1 offset:1056
	v_fma_f64 v[139:140], v[139:140], v[22:23], v[153:154]
	v_fma_f64 v[137:138], v[137:138], v[22:23], -v[24:25]
	scratch_load_b128 v[22:25], off, off offset:480
	v_add_f64_e32 v[149:150], v[149:150], v[157:158]
	v_add_f64_e32 v[151:152], v[151:152], v[155:156]
	v_fma_f64 v[155:156], v[4:5], v[26:27], v[159:160]
	v_fma_f64 v[157:158], v[2:3], v[26:27], -v[28:29]
	ds_load_b128 v[2:5], v1 offset:1072
	s_wait_loadcnt_dscnt 0x901
	v_mul_f64_e32 v[153:154], v[145:146], v[32:33]
	v_mul_f64_e32 v[32:33], v[147:148], v[32:33]
	scratch_load_b128 v[26:29], off, off offset:496
	s_wait_loadcnt_dscnt 0x900
	v_mul_f64_e32 v[159:160], v[2:3], v[40:41]
	v_mul_f64_e32 v[40:41], v[4:5], v[40:41]
	v_add_f64_e32 v[149:150], v[149:150], v[137:138]
	v_add_f64_e32 v[151:152], v[151:152], v[139:140]
	ds_load_b128 v[137:140], v1 offset:1088
	v_fma_f64 v[147:148], v[147:148], v[30:31], v[153:154]
	v_fma_f64 v[145:146], v[145:146], v[30:31], -v[32:33]
	scratch_load_b128 v[30:33], off, off offset:512
	v_add_f64_e32 v[149:150], v[149:150], v[157:158]
	v_add_f64_e32 v[151:152], v[151:152], v[155:156]
	v_fma_f64 v[157:158], v[4:5], v[38:39], v[159:160]
	v_fma_f64 v[159:160], v[2:3], v[38:39], -v[40:41]
	ds_load_b128 v[2:5], v1 offset:1104
	s_wait_loadcnt_dscnt 0x801
	v_mul_f64_e32 v[153:154], v[137:138], v[143:144]
	v_mul_f64_e32 v[155:156], v[139:140], v[143:144]
	scratch_load_b128 v[38:41], off, off offset:528
	v_add_f64_e32 v[149:150], v[149:150], v[145:146]
	v_add_f64_e32 v[147:148], v[151:152], v[147:148]
	ds_load_b128 v[143:146], v1 offset:1120
	v_fma_f64 v[153:154], v[139:140], v[141:142], v[153:154]
	v_fma_f64 v[141:142], v[137:138], v[141:142], -v[155:156]
	scratch_load_b128 v[137:140], off, off offset:544
	s_wait_loadcnt_dscnt 0x901
	v_mul_f64_e32 v[151:152], v[2:3], v[36:37]
	v_mul_f64_e32 v[36:37], v[4:5], v[36:37]
	v_add_f64_e32 v[149:150], v[149:150], v[159:160]
	v_add_f64_e32 v[147:148], v[147:148], v[157:158]
	s_delay_alu instid0(VALU_DEP_4) | instskip(NEXT) | instid1(VALU_DEP_4)
	v_fma_f64 v[151:152], v[4:5], v[34:35], v[151:152]
	v_fma_f64 v[157:158], v[2:3], v[34:35], -v[36:37]
	ds_load_b128 v[2:5], v1 offset:1136
	s_wait_loadcnt_dscnt 0x801
	v_mul_f64_e32 v[155:156], v[143:144], v[8:9]
	v_mul_f64_e32 v[8:9], v[145:146], v[8:9]
	scratch_load_b128 v[34:37], off, off offset:560
	s_wait_loadcnt_dscnt 0x800
	v_mul_f64_e32 v[159:160], v[2:3], v[12:13]
	v_add_f64_e32 v[141:142], v[149:150], v[141:142]
	v_add_f64_e32 v[153:154], v[147:148], v[153:154]
	v_mul_f64_e32 v[12:13], v[4:5], v[12:13]
	ds_load_b128 v[147:150], v1 offset:1152
	v_fma_f64 v[145:146], v[145:146], v[6:7], v[155:156]
	v_fma_f64 v[143:144], v[143:144], v[6:7], -v[8:9]
	scratch_load_b128 v[6:9], off, off offset:576
	v_fma_f64 v[155:156], v[4:5], v[10:11], v[159:160]
	v_add_f64_e32 v[141:142], v[141:142], v[157:158]
	v_add_f64_e32 v[151:152], v[153:154], v[151:152]
	v_fma_f64 v[157:158], v[2:3], v[10:11], -v[12:13]
	ds_load_b128 v[2:5], v1 offset:1168
	s_wait_loadcnt_dscnt 0x801
	v_mul_f64_e32 v[153:154], v[147:148], v[16:17]
	v_mul_f64_e32 v[16:17], v[149:150], v[16:17]
	scratch_load_b128 v[10:13], off, off offset:592
	v_add_f64_e32 v[159:160], v[141:142], v[143:144]
	v_add_f64_e32 v[145:146], v[151:152], v[145:146]
	s_wait_loadcnt_dscnt 0x800
	v_mul_f64_e32 v[151:152], v[2:3], v[20:21]
	v_mul_f64_e32 v[20:21], v[4:5], v[20:21]
	v_fma_f64 v[149:150], v[149:150], v[14:15], v[153:154]
	v_fma_f64 v[147:148], v[147:148], v[14:15], -v[16:17]
	ds_load_b128 v[141:144], v1 offset:1184
	scratch_load_b128 v[14:17], off, off offset:608
	v_add_f64_e32 v[153:154], v[159:160], v[157:158]
	v_add_f64_e32 v[145:146], v[145:146], v[155:156]
	v_fma_f64 v[151:152], v[4:5], v[18:19], v[151:152]
	v_fma_f64 v[157:158], v[2:3], v[18:19], -v[20:21]
	ds_load_b128 v[2:5], v1 offset:1200
	s_wait_loadcnt_dscnt 0x801
	v_mul_f64_e32 v[155:156], v[141:142], v[24:25]
	v_mul_f64_e32 v[24:25], v[143:144], v[24:25]
	scratch_load_b128 v[18:21], off, off offset:624
	s_wait_loadcnt_dscnt 0x800
	v_mul_f64_e32 v[159:160], v[2:3], v[28:29]
	v_mul_f64_e32 v[28:29], v[4:5], v[28:29]
	v_add_f64_e32 v[153:154], v[153:154], v[147:148]
	v_add_f64_e32 v[149:150], v[145:146], v[149:150]
	ds_load_b128 v[145:148], v1 offset:1216
	v_fma_f64 v[143:144], v[143:144], v[22:23], v[155:156]
	v_fma_f64 v[141:142], v[141:142], v[22:23], -v[24:25]
	scratch_load_b128 v[22:25], off, off offset:640
	v_fma_f64 v[155:156], v[4:5], v[26:27], v[159:160]
	v_add_f64_e32 v[153:154], v[153:154], v[157:158]
	v_add_f64_e32 v[149:150], v[149:150], v[151:152]
	v_fma_f64 v[157:158], v[2:3], v[26:27], -v[28:29]
	ds_load_b128 v[2:5], v1 offset:1232
	s_wait_loadcnt_dscnt 0x801
	v_mul_f64_e32 v[151:152], v[145:146], v[32:33]
	v_mul_f64_e32 v[32:33], v[147:148], v[32:33]
	scratch_load_b128 v[26:29], off, off offset:656
	s_wait_loadcnt_dscnt 0x800
	v_mul_f64_e32 v[159:160], v[2:3], v[40:41]
	v_mul_f64_e32 v[40:41], v[4:5], v[40:41]
	v_add_f64_e32 v[153:154], v[153:154], v[141:142]
	v_add_f64_e32 v[149:150], v[149:150], v[143:144]
	ds_load_b128 v[141:144], v1 offset:1248
	v_fma_f64 v[147:148], v[147:148], v[30:31], v[151:152]
	v_fma_f64 v[145:146], v[145:146], v[30:31], -v[32:33]
	scratch_load_b128 v[30:33], off, off offset:672
	v_add_f64_e32 v[151:152], v[153:154], v[157:158]
	v_add_f64_e32 v[149:150], v[149:150], v[155:156]
	v_fma_f64 v[155:156], v[4:5], v[38:39], v[159:160]
	v_fma_f64 v[157:158], v[2:3], v[38:39], -v[40:41]
	ds_load_b128 v[2:5], v1 offset:1264
	s_wait_loadcnt_dscnt 0x801
	v_mul_f64_e32 v[153:154], v[141:142], v[139:140]
	v_mul_f64_e32 v[139:140], v[143:144], v[139:140]
	scratch_load_b128 v[38:41], off, off offset:688
	s_wait_loadcnt_dscnt 0x800
	v_mul_f64_e32 v[159:160], v[2:3], v[36:37]
	v_mul_f64_e32 v[36:37], v[4:5], v[36:37]
	v_add_f64_e32 v[151:152], v[151:152], v[145:146]
	v_add_f64_e32 v[149:150], v[149:150], v[147:148]
	ds_load_b128 v[145:148], v1 offset:1280
	v_fma_f64 v[143:144], v[143:144], v[137:138], v[153:154]
	v_fma_f64 v[141:142], v[141:142], v[137:138], -v[139:140]
	scratch_load_b128 v[137:140], off, off offset:704
	v_add_f64_e32 v[151:152], v[151:152], v[157:158]
	v_add_f64_e32 v[149:150], v[149:150], v[155:156]
	v_fma_f64 v[155:156], v[4:5], v[34:35], v[159:160]
	v_fma_f64 v[157:158], v[2:3], v[34:35], -v[36:37]
	ds_load_b128 v[2:5], v1 offset:1296
	s_wait_loadcnt_dscnt 0x801
	v_mul_f64_e32 v[153:154], v[145:146], v[8:9]
	v_mul_f64_e32 v[8:9], v[147:148], v[8:9]
	scratch_load_b128 v[34:37], off, off offset:720
	s_wait_loadcnt_dscnt 0x800
	v_mul_f64_e32 v[159:160], v[2:3], v[12:13]
	v_mul_f64_e32 v[12:13], v[4:5], v[12:13]
	v_add_f64_e32 v[151:152], v[151:152], v[141:142]
	v_add_f64_e32 v[149:150], v[149:150], v[143:144]
	ds_load_b128 v[141:144], v1 offset:1312
	v_fma_f64 v[147:148], v[147:148], v[6:7], v[153:154]
	v_fma_f64 v[6:7], v[145:146], v[6:7], -v[8:9]
	v_add_f64_e32 v[8:9], v[151:152], v[157:158]
	v_add_f64_e32 v[145:146], v[149:150], v[155:156]
	s_wait_loadcnt_dscnt 0x700
	v_mul_f64_e32 v[149:150], v[141:142], v[16:17]
	v_mul_f64_e32 v[16:17], v[143:144], v[16:17]
	v_fma_f64 v[151:152], v[4:5], v[10:11], v[159:160]
	v_fma_f64 v[10:11], v[2:3], v[10:11], -v[12:13]
	v_add_f64_e32 v[12:13], v[8:9], v[6:7]
	v_add_f64_e32 v[145:146], v[145:146], v[147:148]
	ds_load_b128 v[2:5], v1 offset:1328
	ds_load_b128 v[6:9], v1 offset:1344
	v_fma_f64 v[143:144], v[143:144], v[14:15], v[149:150]
	v_fma_f64 v[14:15], v[141:142], v[14:15], -v[16:17]
	s_wait_loadcnt_dscnt 0x601
	v_mul_f64_e32 v[147:148], v[2:3], v[20:21]
	v_mul_f64_e32 v[20:21], v[4:5], v[20:21]
	s_wait_loadcnt_dscnt 0x500
	v_mul_f64_e32 v[16:17], v[6:7], v[24:25]
	v_mul_f64_e32 v[24:25], v[8:9], v[24:25]
	v_add_f64_e32 v[10:11], v[12:13], v[10:11]
	v_add_f64_e32 v[12:13], v[145:146], v[151:152]
	v_fma_f64 v[141:142], v[4:5], v[18:19], v[147:148]
	v_fma_f64 v[18:19], v[2:3], v[18:19], -v[20:21]
	v_fma_f64 v[8:9], v[8:9], v[22:23], v[16:17]
	v_fma_f64 v[6:7], v[6:7], v[22:23], -v[24:25]
	v_add_f64_e32 v[14:15], v[10:11], v[14:15]
	v_add_f64_e32 v[20:21], v[12:13], v[143:144]
	ds_load_b128 v[2:5], v1 offset:1360
	ds_load_b128 v[10:13], v1 offset:1376
	s_wait_loadcnt_dscnt 0x401
	v_mul_f64_e32 v[143:144], v[2:3], v[28:29]
	v_mul_f64_e32 v[28:29], v[4:5], v[28:29]
	v_add_f64_e32 v[14:15], v[14:15], v[18:19]
	v_add_f64_e32 v[16:17], v[20:21], v[141:142]
	s_wait_loadcnt_dscnt 0x300
	v_mul_f64_e32 v[18:19], v[10:11], v[32:33]
	v_mul_f64_e32 v[20:21], v[12:13], v[32:33]
	v_fma_f64 v[22:23], v[4:5], v[26:27], v[143:144]
	v_fma_f64 v[24:25], v[2:3], v[26:27], -v[28:29]
	v_add_f64_e32 v[14:15], v[14:15], v[6:7]
	v_add_f64_e32 v[16:17], v[16:17], v[8:9]
	ds_load_b128 v[2:5], v1 offset:1392
	ds_load_b128 v[6:9], v1 offset:1408
	v_fma_f64 v[12:13], v[12:13], v[30:31], v[18:19]
	v_fma_f64 v[10:11], v[10:11], v[30:31], -v[20:21]
	s_wait_loadcnt_dscnt 0x201
	v_mul_f64_e32 v[26:27], v[2:3], v[40:41]
	v_mul_f64_e32 v[28:29], v[4:5], v[40:41]
	s_wait_loadcnt_dscnt 0x100
	v_mul_f64_e32 v[18:19], v[6:7], v[139:140]
	v_mul_f64_e32 v[20:21], v[8:9], v[139:140]
	v_add_f64_e32 v[14:15], v[14:15], v[24:25]
	v_add_f64_e32 v[16:17], v[16:17], v[22:23]
	v_fma_f64 v[22:23], v[4:5], v[38:39], v[26:27]
	v_fma_f64 v[24:25], v[2:3], v[38:39], -v[28:29]
	ds_load_b128 v[2:5], v1 offset:1424
	v_fma_f64 v[8:9], v[8:9], v[137:138], v[18:19]
	v_fma_f64 v[6:7], v[6:7], v[137:138], -v[20:21]
	v_add_f64_e32 v[10:11], v[14:15], v[10:11]
	v_add_f64_e32 v[12:13], v[16:17], v[12:13]
	s_wait_loadcnt_dscnt 0x0
	v_mul_f64_e32 v[14:15], v[2:3], v[36:37]
	v_mul_f64_e32 v[16:17], v[4:5], v[36:37]
	s_delay_alu instid0(VALU_DEP_4) | instskip(NEXT) | instid1(VALU_DEP_4)
	v_add_f64_e32 v[10:11], v[10:11], v[24:25]
	v_add_f64_e32 v[12:13], v[12:13], v[22:23]
	s_delay_alu instid0(VALU_DEP_4) | instskip(NEXT) | instid1(VALU_DEP_4)
	v_fma_f64 v[4:5], v[4:5], v[34:35], v[14:15]
	v_fma_f64 v[2:3], v[2:3], v[34:35], -v[16:17]
	s_delay_alu instid0(VALU_DEP_4) | instskip(NEXT) | instid1(VALU_DEP_4)
	v_add_f64_e32 v[6:7], v[10:11], v[6:7]
	v_add_f64_e32 v[8:9], v[12:13], v[8:9]
	s_delay_alu instid0(VALU_DEP_2) | instskip(NEXT) | instid1(VALU_DEP_2)
	v_add_f64_e32 v[2:3], v[6:7], v[2:3]
	v_add_f64_e32 v[4:5], v[8:9], v[4:5]
	s_delay_alu instid0(VALU_DEP_2) | instskip(NEXT) | instid1(VALU_DEP_2)
	v_add_f64_e64 v[2:3], v[42:43], -v[2:3]
	v_add_f64_e64 v[4:5], v[44:45], -v[4:5]
	scratch_store_b128 off, v[2:5], off offset:224
	v_cmpx_lt_u32_e32 12, v0
	s_cbranch_execz .LBB108_259
; %bb.258:
	scratch_load_b128 v[5:8], off, s46
	v_dual_mov_b32 v2, v1 :: v_dual_mov_b32 v3, v1
	v_mov_b32_e32 v4, v1
	scratch_store_b128 off, v[1:4], off offset:208
	s_wait_loadcnt 0x0
	ds_store_b128 v136, v[5:8]
.LBB108_259:
	s_wait_alu 0xfffe
	s_or_b32 exec_lo, exec_lo, s0
	s_wait_storecnt_dscnt 0x0
	s_barrier_signal -1
	s_barrier_wait -1
	global_inv scope:SCOPE_SE
	s_clause 0x8
	scratch_load_b128 v[2:5], off, off offset:224
	scratch_load_b128 v[6:9], off, off offset:240
	;; [unrolled: 1-line block ×9, first 2 shown]
	ds_load_b128 v[38:41], v1 offset:928
	ds_load_b128 v[42:45], v1 offset:944
	s_clause 0x1
	scratch_load_b128 v[137:140], off, off offset:208
	scratch_load_b128 v[141:144], off, off offset:368
	s_mov_b32 s0, exec_lo
	s_wait_loadcnt_dscnt 0xa01
	v_mul_f64_e32 v[145:146], v[40:41], v[4:5]
	v_mul_f64_e32 v[4:5], v[38:39], v[4:5]
	s_wait_loadcnt_dscnt 0x900
	v_mul_f64_e32 v[149:150], v[42:43], v[8:9]
	v_mul_f64_e32 v[8:9], v[44:45], v[8:9]
	s_delay_alu instid0(VALU_DEP_4) | instskip(NEXT) | instid1(VALU_DEP_4)
	v_fma_f64 v[151:152], v[38:39], v[2:3], -v[145:146]
	v_fma_f64 v[153:154], v[40:41], v[2:3], v[4:5]
	ds_load_b128 v[2:5], v1 offset:960
	ds_load_b128 v[145:148], v1 offset:976
	scratch_load_b128 v[38:41], off, off offset:384
	v_fma_f64 v[44:45], v[44:45], v[6:7], v[149:150]
	v_fma_f64 v[42:43], v[42:43], v[6:7], -v[8:9]
	scratch_load_b128 v[6:9], off, off offset:400
	s_wait_loadcnt_dscnt 0xa01
	v_mul_f64_e32 v[155:156], v[2:3], v[12:13]
	v_mul_f64_e32 v[12:13], v[4:5], v[12:13]
	v_add_f64_e32 v[149:150], 0, v[151:152]
	v_add_f64_e32 v[151:152], 0, v[153:154]
	s_wait_loadcnt_dscnt 0x900
	v_mul_f64_e32 v[153:154], v[145:146], v[16:17]
	v_mul_f64_e32 v[16:17], v[147:148], v[16:17]
	v_fma_f64 v[155:156], v[4:5], v[10:11], v[155:156]
	v_fma_f64 v[157:158], v[2:3], v[10:11], -v[12:13]
	ds_load_b128 v[2:5], v1 offset:992
	scratch_load_b128 v[10:13], off, off offset:416
	v_add_f64_e32 v[149:150], v[149:150], v[42:43]
	v_add_f64_e32 v[151:152], v[151:152], v[44:45]
	ds_load_b128 v[42:45], v1 offset:1008
	v_fma_f64 v[147:148], v[147:148], v[14:15], v[153:154]
	v_fma_f64 v[145:146], v[145:146], v[14:15], -v[16:17]
	scratch_load_b128 v[14:17], off, off offset:432
	s_wait_loadcnt_dscnt 0xa01
	v_mul_f64_e32 v[159:160], v[2:3], v[20:21]
	v_mul_f64_e32 v[20:21], v[4:5], v[20:21]
	s_wait_loadcnt_dscnt 0x900
	v_mul_f64_e32 v[153:154], v[42:43], v[24:25]
	v_mul_f64_e32 v[24:25], v[44:45], v[24:25]
	v_add_f64_e32 v[149:150], v[149:150], v[157:158]
	v_add_f64_e32 v[151:152], v[151:152], v[155:156]
	v_fma_f64 v[155:156], v[4:5], v[18:19], v[159:160]
	v_fma_f64 v[157:158], v[2:3], v[18:19], -v[20:21]
	ds_load_b128 v[2:5], v1 offset:1024
	scratch_load_b128 v[18:21], off, off offset:448
	v_fma_f64 v[44:45], v[44:45], v[22:23], v[153:154]
	v_fma_f64 v[42:43], v[42:43], v[22:23], -v[24:25]
	scratch_load_b128 v[22:25], off, off offset:464
	v_add_f64_e32 v[149:150], v[149:150], v[145:146]
	v_add_f64_e32 v[151:152], v[151:152], v[147:148]
	ds_load_b128 v[145:148], v1 offset:1040
	s_wait_loadcnt_dscnt 0xa01
	v_mul_f64_e32 v[159:160], v[2:3], v[28:29]
	v_mul_f64_e32 v[28:29], v[4:5], v[28:29]
	s_wait_loadcnt_dscnt 0x900
	v_mul_f64_e32 v[153:154], v[145:146], v[32:33]
	v_mul_f64_e32 v[32:33], v[147:148], v[32:33]
	v_add_f64_e32 v[149:150], v[149:150], v[157:158]
	v_add_f64_e32 v[151:152], v[151:152], v[155:156]
	v_fma_f64 v[155:156], v[4:5], v[26:27], v[159:160]
	v_fma_f64 v[157:158], v[2:3], v[26:27], -v[28:29]
	ds_load_b128 v[2:5], v1 offset:1056
	scratch_load_b128 v[26:29], off, off offset:480
	v_fma_f64 v[147:148], v[147:148], v[30:31], v[153:154]
	v_fma_f64 v[145:146], v[145:146], v[30:31], -v[32:33]
	scratch_load_b128 v[30:33], off, off offset:496
	v_add_f64_e32 v[149:150], v[149:150], v[42:43]
	v_add_f64_e32 v[151:152], v[151:152], v[44:45]
	ds_load_b128 v[42:45], v1 offset:1072
	s_wait_loadcnt_dscnt 0xa01
	v_mul_f64_e32 v[159:160], v[2:3], v[36:37]
	v_mul_f64_e32 v[36:37], v[4:5], v[36:37]
	s_wait_loadcnt_dscnt 0x800
	v_mul_f64_e32 v[153:154], v[42:43], v[143:144]
	v_add_f64_e32 v[149:150], v[149:150], v[157:158]
	v_add_f64_e32 v[151:152], v[151:152], v[155:156]
	v_mul_f64_e32 v[155:156], v[44:45], v[143:144]
	v_fma_f64 v[157:158], v[4:5], v[34:35], v[159:160]
	v_fma_f64 v[159:160], v[2:3], v[34:35], -v[36:37]
	ds_load_b128 v[2:5], v1 offset:1088
	scratch_load_b128 v[34:37], off, off offset:512
	v_fma_f64 v[44:45], v[44:45], v[141:142], v[153:154]
	v_add_f64_e32 v[149:150], v[149:150], v[145:146]
	v_add_f64_e32 v[147:148], v[151:152], v[147:148]
	ds_load_b128 v[143:146], v1 offset:1104
	v_fma_f64 v[141:142], v[42:43], v[141:142], -v[155:156]
	s_wait_loadcnt_dscnt 0x801
	v_mul_f64_e32 v[151:152], v[2:3], v[40:41]
	v_mul_f64_e32 v[161:162], v[4:5], v[40:41]
	scratch_load_b128 v[40:43], off, off offset:528
	s_wait_loadcnt_dscnt 0x800
	v_mul_f64_e32 v[155:156], v[143:144], v[8:9]
	v_mul_f64_e32 v[8:9], v[145:146], v[8:9]
	v_add_f64_e32 v[149:150], v[149:150], v[159:160]
	v_add_f64_e32 v[147:148], v[147:148], v[157:158]
	v_fma_f64 v[157:158], v[4:5], v[38:39], v[151:152]
	v_fma_f64 v[38:39], v[2:3], v[38:39], -v[161:162]
	ds_load_b128 v[2:5], v1 offset:1120
	ds_load_b128 v[151:154], v1 offset:1136
	v_fma_f64 v[145:146], v[145:146], v[6:7], v[155:156]
	v_fma_f64 v[143:144], v[143:144], v[6:7], -v[8:9]
	scratch_load_b128 v[6:9], off, off offset:560
	v_add_f64_e32 v[141:142], v[149:150], v[141:142]
	v_add_f64_e32 v[44:45], v[147:148], v[44:45]
	scratch_load_b128 v[147:150], off, off offset:544
	s_wait_loadcnt_dscnt 0x901
	v_mul_f64_e32 v[159:160], v[2:3], v[12:13]
	v_mul_f64_e32 v[12:13], v[4:5], v[12:13]
	s_wait_loadcnt_dscnt 0x800
	v_mul_f64_e32 v[155:156], v[151:152], v[16:17]
	v_mul_f64_e32 v[16:17], v[153:154], v[16:17]
	v_add_f64_e32 v[38:39], v[141:142], v[38:39]
	v_add_f64_e32 v[44:45], v[44:45], v[157:158]
	v_fma_f64 v[157:158], v[4:5], v[10:11], v[159:160]
	v_fma_f64 v[159:160], v[2:3], v[10:11], -v[12:13]
	ds_load_b128 v[2:5], v1 offset:1152
	scratch_load_b128 v[10:13], off, off offset:576
	v_fma_f64 v[153:154], v[153:154], v[14:15], v[155:156]
	v_fma_f64 v[151:152], v[151:152], v[14:15], -v[16:17]
	scratch_load_b128 v[14:17], off, off offset:592
	v_add_f64_e32 v[38:39], v[38:39], v[143:144]
	v_add_f64_e32 v[44:45], v[44:45], v[145:146]
	ds_load_b128 v[141:144], v1 offset:1168
	s_wait_loadcnt_dscnt 0x901
	v_mul_f64_e32 v[145:146], v[2:3], v[20:21]
	v_mul_f64_e32 v[20:21], v[4:5], v[20:21]
	s_wait_loadcnt_dscnt 0x800
	v_mul_f64_e32 v[155:156], v[141:142], v[24:25]
	v_mul_f64_e32 v[24:25], v[143:144], v[24:25]
	v_add_f64_e32 v[38:39], v[38:39], v[159:160]
	v_add_f64_e32 v[44:45], v[44:45], v[157:158]
	v_fma_f64 v[145:146], v[4:5], v[18:19], v[145:146]
	v_fma_f64 v[157:158], v[2:3], v[18:19], -v[20:21]
	ds_load_b128 v[2:5], v1 offset:1184
	scratch_load_b128 v[18:21], off, off offset:608
	v_fma_f64 v[143:144], v[143:144], v[22:23], v[155:156]
	v_fma_f64 v[141:142], v[141:142], v[22:23], -v[24:25]
	scratch_load_b128 v[22:25], off, off offset:624
	v_add_f64_e32 v[38:39], v[38:39], v[151:152]
	v_add_f64_e32 v[44:45], v[44:45], v[153:154]
	ds_load_b128 v[151:154], v1 offset:1200
	s_wait_loadcnt_dscnt 0x901
	v_mul_f64_e32 v[159:160], v[2:3], v[28:29]
	v_mul_f64_e32 v[28:29], v[4:5], v[28:29]
	v_add_f64_e32 v[38:39], v[38:39], v[157:158]
	v_add_f64_e32 v[44:45], v[44:45], v[145:146]
	s_wait_loadcnt_dscnt 0x800
	v_mul_f64_e32 v[145:146], v[151:152], v[32:33]
	v_mul_f64_e32 v[32:33], v[153:154], v[32:33]
	v_fma_f64 v[155:156], v[4:5], v[26:27], v[159:160]
	v_fma_f64 v[157:158], v[2:3], v[26:27], -v[28:29]
	ds_load_b128 v[2:5], v1 offset:1216
	scratch_load_b128 v[26:29], off, off offset:640
	v_add_f64_e32 v[38:39], v[38:39], v[141:142]
	v_add_f64_e32 v[44:45], v[44:45], v[143:144]
	ds_load_b128 v[141:144], v1 offset:1232
	s_wait_loadcnt_dscnt 0x801
	v_mul_f64_e32 v[159:160], v[2:3], v[36:37]
	v_mul_f64_e32 v[36:37], v[4:5], v[36:37]
	v_fma_f64 v[145:146], v[153:154], v[30:31], v[145:146]
	v_fma_f64 v[151:152], v[151:152], v[30:31], -v[32:33]
	scratch_load_b128 v[30:33], off, off offset:656
	s_wait_loadcnt_dscnt 0x800
	v_mul_f64_e32 v[153:154], v[141:142], v[42:43]
	v_add_f64_e32 v[38:39], v[38:39], v[157:158]
	v_add_f64_e32 v[44:45], v[44:45], v[155:156]
	v_mul_f64_e32 v[155:156], v[143:144], v[42:43]
	v_fma_f64 v[157:158], v[4:5], v[34:35], v[159:160]
	v_fma_f64 v[159:160], v[2:3], v[34:35], -v[36:37]
	ds_load_b128 v[2:5], v1 offset:1248
	scratch_load_b128 v[34:37], off, off offset:672
	v_fma_f64 v[143:144], v[143:144], v[40:41], v[153:154]
	v_add_f64_e32 v[38:39], v[38:39], v[151:152]
	v_add_f64_e32 v[145:146], v[44:45], v[145:146]
	ds_load_b128 v[42:45], v1 offset:1264
	v_fma_f64 v[141:142], v[141:142], v[40:41], -v[155:156]
	s_wait_loadcnt_dscnt 0x701
	v_mul_f64_e32 v[151:152], v[2:3], v[149:150]
	v_mul_f64_e32 v[149:150], v[4:5], v[149:150]
	s_wait_dscnt 0x0
	v_mul_f64_e32 v[155:156], v[42:43], v[8:9]
	v_mul_f64_e32 v[8:9], v[44:45], v[8:9]
	v_add_f64_e32 v[153:154], v[38:39], v[159:160]
	v_add_f64_e32 v[145:146], v[145:146], v[157:158]
	scratch_load_b128 v[38:41], off, off offset:688
	v_fma_f64 v[151:152], v[4:5], v[147:148], v[151:152]
	v_fma_f64 v[149:150], v[2:3], v[147:148], -v[149:150]
	ds_load_b128 v[2:5], v1 offset:1280
	v_fma_f64 v[44:45], v[44:45], v[6:7], v[155:156]
	v_fma_f64 v[42:43], v[42:43], v[6:7], -v[8:9]
	scratch_load_b128 v[6:9], off, off offset:720
	v_add_f64_e32 v[153:154], v[153:154], v[141:142]
	v_add_f64_e32 v[157:158], v[145:146], v[143:144]
	scratch_load_b128 v[141:144], off, off offset:704
	ds_load_b128 v[145:148], v1 offset:1296
	s_wait_loadcnt_dscnt 0x901
	v_mul_f64_e32 v[159:160], v[2:3], v[12:13]
	v_mul_f64_e32 v[12:13], v[4:5], v[12:13]
	v_add_f64_e32 v[149:150], v[153:154], v[149:150]
	v_add_f64_e32 v[151:152], v[157:158], v[151:152]
	s_wait_loadcnt_dscnt 0x800
	v_mul_f64_e32 v[153:154], v[145:146], v[16:17]
	v_mul_f64_e32 v[16:17], v[147:148], v[16:17]
	v_fma_f64 v[155:156], v[4:5], v[10:11], v[159:160]
	v_fma_f64 v[157:158], v[2:3], v[10:11], -v[12:13]
	ds_load_b128 v[2:5], v1 offset:1312
	ds_load_b128 v[10:13], v1 offset:1328
	v_add_f64_e32 v[42:43], v[149:150], v[42:43]
	v_add_f64_e32 v[44:45], v[151:152], v[44:45]
	s_wait_loadcnt_dscnt 0x701
	v_mul_f64_e32 v[149:150], v[2:3], v[20:21]
	v_mul_f64_e32 v[20:21], v[4:5], v[20:21]
	v_fma_f64 v[147:148], v[147:148], v[14:15], v[153:154]
	v_fma_f64 v[14:15], v[145:146], v[14:15], -v[16:17]
	v_add_f64_e32 v[16:17], v[42:43], v[157:158]
	v_add_f64_e32 v[42:43], v[44:45], v[155:156]
	s_wait_loadcnt_dscnt 0x600
	v_mul_f64_e32 v[44:45], v[10:11], v[24:25]
	v_mul_f64_e32 v[24:25], v[12:13], v[24:25]
	v_fma_f64 v[145:146], v[4:5], v[18:19], v[149:150]
	v_fma_f64 v[18:19], v[2:3], v[18:19], -v[20:21]
	v_add_f64_e32 v[20:21], v[16:17], v[14:15]
	v_add_f64_e32 v[42:43], v[42:43], v[147:148]
	ds_load_b128 v[2:5], v1 offset:1344
	ds_load_b128 v[14:17], v1 offset:1360
	v_fma_f64 v[12:13], v[12:13], v[22:23], v[44:45]
	v_fma_f64 v[10:11], v[10:11], v[22:23], -v[24:25]
	s_wait_loadcnt_dscnt 0x501
	v_mul_f64_e32 v[147:148], v[2:3], v[28:29]
	v_mul_f64_e32 v[28:29], v[4:5], v[28:29]
	s_wait_loadcnt_dscnt 0x400
	v_mul_f64_e32 v[22:23], v[14:15], v[32:33]
	v_mul_f64_e32 v[24:25], v[16:17], v[32:33]
	v_add_f64_e32 v[18:19], v[20:21], v[18:19]
	v_add_f64_e32 v[20:21], v[42:43], v[145:146]
	v_fma_f64 v[32:33], v[4:5], v[26:27], v[147:148]
	v_fma_f64 v[26:27], v[2:3], v[26:27], -v[28:29]
	v_fma_f64 v[16:17], v[16:17], v[30:31], v[22:23]
	v_fma_f64 v[14:15], v[14:15], v[30:31], -v[24:25]
	v_add_f64_e32 v[18:19], v[18:19], v[10:11]
	v_add_f64_e32 v[20:21], v[20:21], v[12:13]
	ds_load_b128 v[2:5], v1 offset:1376
	ds_load_b128 v[10:13], v1 offset:1392
	s_wait_loadcnt_dscnt 0x301
	v_mul_f64_e32 v[28:29], v[2:3], v[36:37]
	v_mul_f64_e32 v[36:37], v[4:5], v[36:37]
	v_add_f64_e32 v[18:19], v[18:19], v[26:27]
	v_add_f64_e32 v[20:21], v[20:21], v[32:33]
	s_wait_loadcnt_dscnt 0x200
	v_mul_f64_e32 v[22:23], v[10:11], v[40:41]
	v_mul_f64_e32 v[24:25], v[12:13], v[40:41]
	v_fma_f64 v[26:27], v[4:5], v[34:35], v[28:29]
	v_fma_f64 v[28:29], v[2:3], v[34:35], -v[36:37]
	v_add_f64_e32 v[18:19], v[18:19], v[14:15]
	v_add_f64_e32 v[20:21], v[20:21], v[16:17]
	ds_load_b128 v[2:5], v1 offset:1408
	ds_load_b128 v[14:17], v1 offset:1424
	v_fma_f64 v[12:13], v[12:13], v[38:39], v[22:23]
	v_fma_f64 v[10:11], v[10:11], v[38:39], -v[24:25]
	s_wait_loadcnt_dscnt 0x1
	v_mul_f64_e32 v[30:31], v[2:3], v[143:144]
	v_mul_f64_e32 v[32:33], v[4:5], v[143:144]
	s_wait_dscnt 0x0
	v_mul_f64_e32 v[22:23], v[14:15], v[8:9]
	v_mul_f64_e32 v[8:9], v[16:17], v[8:9]
	v_add_f64_e32 v[18:19], v[18:19], v[28:29]
	v_add_f64_e32 v[20:21], v[20:21], v[26:27]
	v_fma_f64 v[4:5], v[4:5], v[141:142], v[30:31]
	v_fma_f64 v[1:2], v[2:3], v[141:142], -v[32:33]
	v_fma_f64 v[16:17], v[16:17], v[6:7], v[22:23]
	v_fma_f64 v[6:7], v[14:15], v[6:7], -v[8:9]
	v_add_f64_e32 v[10:11], v[18:19], v[10:11]
	v_add_f64_e32 v[12:13], v[20:21], v[12:13]
	s_delay_alu instid0(VALU_DEP_2) | instskip(NEXT) | instid1(VALU_DEP_2)
	v_add_f64_e32 v[1:2], v[10:11], v[1:2]
	v_add_f64_e32 v[3:4], v[12:13], v[4:5]
	s_delay_alu instid0(VALU_DEP_2) | instskip(NEXT) | instid1(VALU_DEP_2)
	;; [unrolled: 3-line block ×3, first 2 shown]
	v_add_f64_e64 v[1:2], v[137:138], -v[1:2]
	v_add_f64_e64 v[3:4], v[139:140], -v[3:4]
	scratch_store_b128 off, v[1:4], off offset:208
	v_cmpx_lt_u32_e32 11, v0
	s_cbranch_execz .LBB108_261
; %bb.260:
	scratch_load_b128 v[1:4], off, s47
	v_mov_b32_e32 v5, 0
	s_delay_alu instid0(VALU_DEP_1)
	v_dual_mov_b32 v6, v5 :: v_dual_mov_b32 v7, v5
	v_mov_b32_e32 v8, v5
	scratch_store_b128 off, v[5:8], off offset:192
	s_wait_loadcnt 0x0
	ds_store_b128 v136, v[1:4]
.LBB108_261:
	s_wait_alu 0xfffe
	s_or_b32 exec_lo, exec_lo, s0
	s_wait_storecnt_dscnt 0x0
	s_barrier_signal -1
	s_barrier_wait -1
	global_inv scope:SCOPE_SE
	s_clause 0x7
	scratch_load_b128 v[2:5], off, off offset:208
	scratch_load_b128 v[6:9], off, off offset:224
	;; [unrolled: 1-line block ×8, first 2 shown]
	v_mov_b32_e32 v1, 0
	s_mov_b32 s0, exec_lo
	ds_load_b128 v[34:37], v1 offset:912
	s_clause 0x1
	scratch_load_b128 v[38:41], off, off offset:336
	scratch_load_b128 v[42:45], off, off offset:192
	ds_load_b128 v[137:140], v1 offset:928
	scratch_load_b128 v[141:144], off, off offset:352
	s_wait_loadcnt_dscnt 0xa01
	v_mul_f64_e32 v[145:146], v[36:37], v[4:5]
	v_mul_f64_e32 v[4:5], v[34:35], v[4:5]
	s_delay_alu instid0(VALU_DEP_2) | instskip(NEXT) | instid1(VALU_DEP_2)
	v_fma_f64 v[151:152], v[34:35], v[2:3], -v[145:146]
	v_fma_f64 v[153:154], v[36:37], v[2:3], v[4:5]
	ds_load_b128 v[2:5], v1 offset:944
	s_wait_loadcnt_dscnt 0x901
	v_mul_f64_e32 v[149:150], v[137:138], v[8:9]
	v_mul_f64_e32 v[8:9], v[139:140], v[8:9]
	scratch_load_b128 v[34:37], off, off offset:368
	ds_load_b128 v[145:148], v1 offset:960
	s_wait_loadcnt_dscnt 0x901
	v_mul_f64_e32 v[155:156], v[2:3], v[12:13]
	v_mul_f64_e32 v[12:13], v[4:5], v[12:13]
	v_fma_f64 v[139:140], v[139:140], v[6:7], v[149:150]
	v_fma_f64 v[137:138], v[137:138], v[6:7], -v[8:9]
	v_add_f64_e32 v[149:150], 0, v[151:152]
	v_add_f64_e32 v[151:152], 0, v[153:154]
	scratch_load_b128 v[6:9], off, off offset:384
	v_fma_f64 v[155:156], v[4:5], v[10:11], v[155:156]
	v_fma_f64 v[157:158], v[2:3], v[10:11], -v[12:13]
	ds_load_b128 v[2:5], v1 offset:976
	s_wait_loadcnt_dscnt 0x901
	v_mul_f64_e32 v[153:154], v[145:146], v[16:17]
	v_mul_f64_e32 v[16:17], v[147:148], v[16:17]
	scratch_load_b128 v[10:13], off, off offset:400
	v_add_f64_e32 v[149:150], v[149:150], v[137:138]
	v_add_f64_e32 v[151:152], v[151:152], v[139:140]
	s_wait_loadcnt_dscnt 0x900
	v_mul_f64_e32 v[159:160], v[2:3], v[20:21]
	v_mul_f64_e32 v[20:21], v[4:5], v[20:21]
	ds_load_b128 v[137:140], v1 offset:992
	v_fma_f64 v[147:148], v[147:148], v[14:15], v[153:154]
	v_fma_f64 v[145:146], v[145:146], v[14:15], -v[16:17]
	scratch_load_b128 v[14:17], off, off offset:416
	v_add_f64_e32 v[149:150], v[149:150], v[157:158]
	v_add_f64_e32 v[151:152], v[151:152], v[155:156]
	v_fma_f64 v[155:156], v[4:5], v[18:19], v[159:160]
	v_fma_f64 v[157:158], v[2:3], v[18:19], -v[20:21]
	ds_load_b128 v[2:5], v1 offset:1008
	s_wait_loadcnt_dscnt 0x901
	v_mul_f64_e32 v[153:154], v[137:138], v[24:25]
	v_mul_f64_e32 v[24:25], v[139:140], v[24:25]
	scratch_load_b128 v[18:21], off, off offset:432
	s_wait_loadcnt_dscnt 0x900
	v_mul_f64_e32 v[159:160], v[2:3], v[28:29]
	v_mul_f64_e32 v[28:29], v[4:5], v[28:29]
	v_add_f64_e32 v[149:150], v[149:150], v[145:146]
	v_add_f64_e32 v[151:152], v[151:152], v[147:148]
	ds_load_b128 v[145:148], v1 offset:1024
	v_fma_f64 v[139:140], v[139:140], v[22:23], v[153:154]
	v_fma_f64 v[137:138], v[137:138], v[22:23], -v[24:25]
	scratch_load_b128 v[22:25], off, off offset:448
	v_add_f64_e32 v[149:150], v[149:150], v[157:158]
	v_add_f64_e32 v[151:152], v[151:152], v[155:156]
	v_fma_f64 v[155:156], v[4:5], v[26:27], v[159:160]
	v_fma_f64 v[157:158], v[2:3], v[26:27], -v[28:29]
	ds_load_b128 v[2:5], v1 offset:1040
	s_wait_loadcnt_dscnt 0x901
	v_mul_f64_e32 v[153:154], v[145:146], v[32:33]
	v_mul_f64_e32 v[32:33], v[147:148], v[32:33]
	scratch_load_b128 v[26:29], off, off offset:464
	s_wait_loadcnt_dscnt 0x900
	v_mul_f64_e32 v[159:160], v[2:3], v[40:41]
	v_mul_f64_e32 v[40:41], v[4:5], v[40:41]
	v_add_f64_e32 v[149:150], v[149:150], v[137:138]
	v_add_f64_e32 v[151:152], v[151:152], v[139:140]
	ds_load_b128 v[137:140], v1 offset:1056
	v_fma_f64 v[147:148], v[147:148], v[30:31], v[153:154]
	v_fma_f64 v[145:146], v[145:146], v[30:31], -v[32:33]
	scratch_load_b128 v[30:33], off, off offset:480
	v_add_f64_e32 v[149:150], v[149:150], v[157:158]
	v_add_f64_e32 v[151:152], v[151:152], v[155:156]
	v_fma_f64 v[157:158], v[4:5], v[38:39], v[159:160]
	v_fma_f64 v[159:160], v[2:3], v[38:39], -v[40:41]
	ds_load_b128 v[2:5], v1 offset:1072
	s_wait_loadcnt_dscnt 0x801
	v_mul_f64_e32 v[153:154], v[137:138], v[143:144]
	v_mul_f64_e32 v[155:156], v[139:140], v[143:144]
	scratch_load_b128 v[38:41], off, off offset:496
	v_add_f64_e32 v[149:150], v[149:150], v[145:146]
	v_add_f64_e32 v[147:148], v[151:152], v[147:148]
	ds_load_b128 v[143:146], v1 offset:1088
	v_fma_f64 v[153:154], v[139:140], v[141:142], v[153:154]
	v_fma_f64 v[141:142], v[137:138], v[141:142], -v[155:156]
	scratch_load_b128 v[137:140], off, off offset:512
	s_wait_loadcnt_dscnt 0x901
	v_mul_f64_e32 v[151:152], v[2:3], v[36:37]
	v_mul_f64_e32 v[36:37], v[4:5], v[36:37]
	v_add_f64_e32 v[149:150], v[149:150], v[159:160]
	v_add_f64_e32 v[147:148], v[147:148], v[157:158]
	s_delay_alu instid0(VALU_DEP_4) | instskip(NEXT) | instid1(VALU_DEP_4)
	v_fma_f64 v[151:152], v[4:5], v[34:35], v[151:152]
	v_fma_f64 v[157:158], v[2:3], v[34:35], -v[36:37]
	ds_load_b128 v[2:5], v1 offset:1104
	s_wait_loadcnt_dscnt 0x801
	v_mul_f64_e32 v[155:156], v[143:144], v[8:9]
	v_mul_f64_e32 v[8:9], v[145:146], v[8:9]
	scratch_load_b128 v[34:37], off, off offset:528
	s_wait_loadcnt_dscnt 0x800
	v_mul_f64_e32 v[159:160], v[2:3], v[12:13]
	v_add_f64_e32 v[141:142], v[149:150], v[141:142]
	v_add_f64_e32 v[153:154], v[147:148], v[153:154]
	v_mul_f64_e32 v[12:13], v[4:5], v[12:13]
	ds_load_b128 v[147:150], v1 offset:1120
	v_fma_f64 v[145:146], v[145:146], v[6:7], v[155:156]
	v_fma_f64 v[143:144], v[143:144], v[6:7], -v[8:9]
	scratch_load_b128 v[6:9], off, off offset:544
	v_fma_f64 v[155:156], v[4:5], v[10:11], v[159:160]
	v_add_f64_e32 v[141:142], v[141:142], v[157:158]
	v_add_f64_e32 v[151:152], v[153:154], v[151:152]
	v_fma_f64 v[157:158], v[2:3], v[10:11], -v[12:13]
	ds_load_b128 v[2:5], v1 offset:1136
	s_wait_loadcnt_dscnt 0x801
	v_mul_f64_e32 v[153:154], v[147:148], v[16:17]
	v_mul_f64_e32 v[16:17], v[149:150], v[16:17]
	scratch_load_b128 v[10:13], off, off offset:560
	v_add_f64_e32 v[159:160], v[141:142], v[143:144]
	v_add_f64_e32 v[145:146], v[151:152], v[145:146]
	s_wait_loadcnt_dscnt 0x800
	v_mul_f64_e32 v[151:152], v[2:3], v[20:21]
	v_mul_f64_e32 v[20:21], v[4:5], v[20:21]
	v_fma_f64 v[149:150], v[149:150], v[14:15], v[153:154]
	v_fma_f64 v[147:148], v[147:148], v[14:15], -v[16:17]
	ds_load_b128 v[141:144], v1 offset:1152
	scratch_load_b128 v[14:17], off, off offset:576
	v_add_f64_e32 v[153:154], v[159:160], v[157:158]
	v_add_f64_e32 v[145:146], v[145:146], v[155:156]
	v_fma_f64 v[151:152], v[4:5], v[18:19], v[151:152]
	v_fma_f64 v[157:158], v[2:3], v[18:19], -v[20:21]
	ds_load_b128 v[2:5], v1 offset:1168
	s_wait_loadcnt_dscnt 0x801
	v_mul_f64_e32 v[155:156], v[141:142], v[24:25]
	v_mul_f64_e32 v[24:25], v[143:144], v[24:25]
	scratch_load_b128 v[18:21], off, off offset:592
	s_wait_loadcnt_dscnt 0x800
	v_mul_f64_e32 v[159:160], v[2:3], v[28:29]
	v_mul_f64_e32 v[28:29], v[4:5], v[28:29]
	v_add_f64_e32 v[153:154], v[153:154], v[147:148]
	v_add_f64_e32 v[149:150], v[145:146], v[149:150]
	ds_load_b128 v[145:148], v1 offset:1184
	v_fma_f64 v[143:144], v[143:144], v[22:23], v[155:156]
	v_fma_f64 v[141:142], v[141:142], v[22:23], -v[24:25]
	scratch_load_b128 v[22:25], off, off offset:608
	v_fma_f64 v[155:156], v[4:5], v[26:27], v[159:160]
	v_add_f64_e32 v[153:154], v[153:154], v[157:158]
	v_add_f64_e32 v[149:150], v[149:150], v[151:152]
	v_fma_f64 v[157:158], v[2:3], v[26:27], -v[28:29]
	ds_load_b128 v[2:5], v1 offset:1200
	s_wait_loadcnt_dscnt 0x801
	v_mul_f64_e32 v[151:152], v[145:146], v[32:33]
	v_mul_f64_e32 v[32:33], v[147:148], v[32:33]
	scratch_load_b128 v[26:29], off, off offset:624
	s_wait_loadcnt_dscnt 0x800
	v_mul_f64_e32 v[159:160], v[2:3], v[40:41]
	v_mul_f64_e32 v[40:41], v[4:5], v[40:41]
	v_add_f64_e32 v[153:154], v[153:154], v[141:142]
	v_add_f64_e32 v[149:150], v[149:150], v[143:144]
	ds_load_b128 v[141:144], v1 offset:1216
	v_fma_f64 v[147:148], v[147:148], v[30:31], v[151:152]
	v_fma_f64 v[145:146], v[145:146], v[30:31], -v[32:33]
	scratch_load_b128 v[30:33], off, off offset:640
	v_add_f64_e32 v[151:152], v[153:154], v[157:158]
	v_add_f64_e32 v[149:150], v[149:150], v[155:156]
	v_fma_f64 v[155:156], v[4:5], v[38:39], v[159:160]
	v_fma_f64 v[157:158], v[2:3], v[38:39], -v[40:41]
	ds_load_b128 v[2:5], v1 offset:1232
	s_wait_loadcnt_dscnt 0x801
	v_mul_f64_e32 v[153:154], v[141:142], v[139:140]
	v_mul_f64_e32 v[139:140], v[143:144], v[139:140]
	scratch_load_b128 v[38:41], off, off offset:656
	s_wait_loadcnt_dscnt 0x800
	v_mul_f64_e32 v[159:160], v[2:3], v[36:37]
	v_mul_f64_e32 v[36:37], v[4:5], v[36:37]
	v_add_f64_e32 v[151:152], v[151:152], v[145:146]
	v_add_f64_e32 v[149:150], v[149:150], v[147:148]
	ds_load_b128 v[145:148], v1 offset:1248
	v_fma_f64 v[143:144], v[143:144], v[137:138], v[153:154]
	v_fma_f64 v[141:142], v[141:142], v[137:138], -v[139:140]
	scratch_load_b128 v[137:140], off, off offset:672
	v_add_f64_e32 v[151:152], v[151:152], v[157:158]
	v_add_f64_e32 v[149:150], v[149:150], v[155:156]
	v_fma_f64 v[155:156], v[4:5], v[34:35], v[159:160]
	;; [unrolled: 18-line block ×3, first 2 shown]
	v_fma_f64 v[157:158], v[2:3], v[10:11], -v[12:13]
	ds_load_b128 v[2:5], v1 offset:1296
	s_wait_loadcnt_dscnt 0x801
	v_mul_f64_e32 v[153:154], v[141:142], v[16:17]
	v_mul_f64_e32 v[16:17], v[143:144], v[16:17]
	scratch_load_b128 v[10:13], off, off offset:720
	s_wait_loadcnt_dscnt 0x800
	v_mul_f64_e32 v[159:160], v[2:3], v[20:21]
	v_mul_f64_e32 v[20:21], v[4:5], v[20:21]
	v_add_f64_e32 v[151:152], v[151:152], v[145:146]
	v_add_f64_e32 v[149:150], v[149:150], v[147:148]
	ds_load_b128 v[145:148], v1 offset:1312
	v_fma_f64 v[143:144], v[143:144], v[14:15], v[153:154]
	v_fma_f64 v[14:15], v[141:142], v[14:15], -v[16:17]
	v_add_f64_e32 v[16:17], v[151:152], v[157:158]
	v_add_f64_e32 v[141:142], v[149:150], v[155:156]
	s_wait_loadcnt_dscnt 0x700
	v_mul_f64_e32 v[149:150], v[145:146], v[24:25]
	v_mul_f64_e32 v[24:25], v[147:148], v[24:25]
	v_fma_f64 v[151:152], v[4:5], v[18:19], v[159:160]
	v_fma_f64 v[18:19], v[2:3], v[18:19], -v[20:21]
	v_add_f64_e32 v[20:21], v[16:17], v[14:15]
	v_add_f64_e32 v[141:142], v[141:142], v[143:144]
	ds_load_b128 v[2:5], v1 offset:1328
	ds_load_b128 v[14:17], v1 offset:1344
	v_fma_f64 v[147:148], v[147:148], v[22:23], v[149:150]
	v_fma_f64 v[22:23], v[145:146], v[22:23], -v[24:25]
	s_wait_loadcnt_dscnt 0x601
	v_mul_f64_e32 v[143:144], v[2:3], v[28:29]
	v_mul_f64_e32 v[28:29], v[4:5], v[28:29]
	s_wait_loadcnt_dscnt 0x500
	v_mul_f64_e32 v[24:25], v[14:15], v[32:33]
	v_mul_f64_e32 v[32:33], v[16:17], v[32:33]
	v_add_f64_e32 v[18:19], v[20:21], v[18:19]
	v_add_f64_e32 v[20:21], v[141:142], v[151:152]
	v_fma_f64 v[141:142], v[4:5], v[26:27], v[143:144]
	v_fma_f64 v[26:27], v[2:3], v[26:27], -v[28:29]
	v_fma_f64 v[16:17], v[16:17], v[30:31], v[24:25]
	v_fma_f64 v[14:15], v[14:15], v[30:31], -v[32:33]
	v_add_f64_e32 v[22:23], v[18:19], v[22:23]
	v_add_f64_e32 v[28:29], v[20:21], v[147:148]
	ds_load_b128 v[2:5], v1 offset:1360
	ds_load_b128 v[18:21], v1 offset:1376
	s_wait_loadcnt_dscnt 0x401
	v_mul_f64_e32 v[143:144], v[2:3], v[40:41]
	v_mul_f64_e32 v[40:41], v[4:5], v[40:41]
	v_add_f64_e32 v[22:23], v[22:23], v[26:27]
	v_add_f64_e32 v[24:25], v[28:29], v[141:142]
	s_wait_loadcnt_dscnt 0x300
	v_mul_f64_e32 v[26:27], v[18:19], v[139:140]
	v_mul_f64_e32 v[28:29], v[20:21], v[139:140]
	v_fma_f64 v[30:31], v[4:5], v[38:39], v[143:144]
	v_fma_f64 v[32:33], v[2:3], v[38:39], -v[40:41]
	v_add_f64_e32 v[22:23], v[22:23], v[14:15]
	v_add_f64_e32 v[24:25], v[24:25], v[16:17]
	ds_load_b128 v[2:5], v1 offset:1392
	ds_load_b128 v[14:17], v1 offset:1408
	v_fma_f64 v[20:21], v[20:21], v[137:138], v[26:27]
	v_fma_f64 v[18:19], v[18:19], v[137:138], -v[28:29]
	s_wait_loadcnt_dscnt 0x201
	v_mul_f64_e32 v[38:39], v[2:3], v[36:37]
	v_mul_f64_e32 v[36:37], v[4:5], v[36:37]
	s_wait_loadcnt_dscnt 0x100
	v_mul_f64_e32 v[26:27], v[14:15], v[8:9]
	v_mul_f64_e32 v[8:9], v[16:17], v[8:9]
	v_add_f64_e32 v[22:23], v[22:23], v[32:33]
	v_add_f64_e32 v[24:25], v[24:25], v[30:31]
	v_fma_f64 v[28:29], v[4:5], v[34:35], v[38:39]
	v_fma_f64 v[30:31], v[2:3], v[34:35], -v[36:37]
	ds_load_b128 v[2:5], v1 offset:1424
	v_fma_f64 v[16:17], v[16:17], v[6:7], v[26:27]
	v_fma_f64 v[6:7], v[14:15], v[6:7], -v[8:9]
	v_add_f64_e32 v[18:19], v[22:23], v[18:19]
	v_add_f64_e32 v[20:21], v[24:25], v[20:21]
	s_wait_loadcnt_dscnt 0x0
	v_mul_f64_e32 v[22:23], v[2:3], v[12:13]
	v_mul_f64_e32 v[12:13], v[4:5], v[12:13]
	s_delay_alu instid0(VALU_DEP_4) | instskip(NEXT) | instid1(VALU_DEP_4)
	v_add_f64_e32 v[8:9], v[18:19], v[30:31]
	v_add_f64_e32 v[14:15], v[20:21], v[28:29]
	s_delay_alu instid0(VALU_DEP_4) | instskip(NEXT) | instid1(VALU_DEP_4)
	v_fma_f64 v[4:5], v[4:5], v[10:11], v[22:23]
	v_fma_f64 v[2:3], v[2:3], v[10:11], -v[12:13]
	s_delay_alu instid0(VALU_DEP_4) | instskip(NEXT) | instid1(VALU_DEP_4)
	v_add_f64_e32 v[6:7], v[8:9], v[6:7]
	v_add_f64_e32 v[8:9], v[14:15], v[16:17]
	s_delay_alu instid0(VALU_DEP_2) | instskip(NEXT) | instid1(VALU_DEP_2)
	v_add_f64_e32 v[2:3], v[6:7], v[2:3]
	v_add_f64_e32 v[4:5], v[8:9], v[4:5]
	s_delay_alu instid0(VALU_DEP_2) | instskip(NEXT) | instid1(VALU_DEP_2)
	v_add_f64_e64 v[2:3], v[42:43], -v[2:3]
	v_add_f64_e64 v[4:5], v[44:45], -v[4:5]
	scratch_store_b128 off, v[2:5], off offset:192
	v_cmpx_lt_u32_e32 10, v0
	s_cbranch_execz .LBB108_263
; %bb.262:
	scratch_load_b128 v[5:8], off, s48
	v_dual_mov_b32 v2, v1 :: v_dual_mov_b32 v3, v1
	v_mov_b32_e32 v4, v1
	scratch_store_b128 off, v[1:4], off offset:176
	s_wait_loadcnt 0x0
	ds_store_b128 v136, v[5:8]
.LBB108_263:
	s_wait_alu 0xfffe
	s_or_b32 exec_lo, exec_lo, s0
	s_wait_storecnt_dscnt 0x0
	s_barrier_signal -1
	s_barrier_wait -1
	global_inv scope:SCOPE_SE
	s_clause 0x8
	scratch_load_b128 v[2:5], off, off offset:192
	scratch_load_b128 v[6:9], off, off offset:208
	;; [unrolled: 1-line block ×9, first 2 shown]
	ds_load_b128 v[38:41], v1 offset:896
	ds_load_b128 v[42:45], v1 offset:912
	s_clause 0x1
	scratch_load_b128 v[137:140], off, off offset:176
	scratch_load_b128 v[141:144], off, off offset:336
	s_mov_b32 s0, exec_lo
	s_wait_loadcnt_dscnt 0xa01
	v_mul_f64_e32 v[145:146], v[40:41], v[4:5]
	v_mul_f64_e32 v[4:5], v[38:39], v[4:5]
	s_wait_loadcnt_dscnt 0x900
	v_mul_f64_e32 v[149:150], v[42:43], v[8:9]
	v_mul_f64_e32 v[8:9], v[44:45], v[8:9]
	s_delay_alu instid0(VALU_DEP_4) | instskip(NEXT) | instid1(VALU_DEP_4)
	v_fma_f64 v[151:152], v[38:39], v[2:3], -v[145:146]
	v_fma_f64 v[153:154], v[40:41], v[2:3], v[4:5]
	ds_load_b128 v[2:5], v1 offset:928
	ds_load_b128 v[145:148], v1 offset:944
	scratch_load_b128 v[38:41], off, off offset:352
	v_fma_f64 v[44:45], v[44:45], v[6:7], v[149:150]
	v_fma_f64 v[42:43], v[42:43], v[6:7], -v[8:9]
	scratch_load_b128 v[6:9], off, off offset:368
	s_wait_loadcnt_dscnt 0xa01
	v_mul_f64_e32 v[155:156], v[2:3], v[12:13]
	v_mul_f64_e32 v[12:13], v[4:5], v[12:13]
	v_add_f64_e32 v[149:150], 0, v[151:152]
	v_add_f64_e32 v[151:152], 0, v[153:154]
	s_wait_loadcnt_dscnt 0x900
	v_mul_f64_e32 v[153:154], v[145:146], v[16:17]
	v_mul_f64_e32 v[16:17], v[147:148], v[16:17]
	v_fma_f64 v[155:156], v[4:5], v[10:11], v[155:156]
	v_fma_f64 v[157:158], v[2:3], v[10:11], -v[12:13]
	ds_load_b128 v[2:5], v1 offset:960
	scratch_load_b128 v[10:13], off, off offset:384
	v_add_f64_e32 v[149:150], v[149:150], v[42:43]
	v_add_f64_e32 v[151:152], v[151:152], v[44:45]
	ds_load_b128 v[42:45], v1 offset:976
	v_fma_f64 v[147:148], v[147:148], v[14:15], v[153:154]
	v_fma_f64 v[145:146], v[145:146], v[14:15], -v[16:17]
	scratch_load_b128 v[14:17], off, off offset:400
	s_wait_loadcnt_dscnt 0xa01
	v_mul_f64_e32 v[159:160], v[2:3], v[20:21]
	v_mul_f64_e32 v[20:21], v[4:5], v[20:21]
	s_wait_loadcnt_dscnt 0x900
	v_mul_f64_e32 v[153:154], v[42:43], v[24:25]
	v_mul_f64_e32 v[24:25], v[44:45], v[24:25]
	v_add_f64_e32 v[149:150], v[149:150], v[157:158]
	v_add_f64_e32 v[151:152], v[151:152], v[155:156]
	v_fma_f64 v[155:156], v[4:5], v[18:19], v[159:160]
	v_fma_f64 v[157:158], v[2:3], v[18:19], -v[20:21]
	ds_load_b128 v[2:5], v1 offset:992
	scratch_load_b128 v[18:21], off, off offset:416
	v_fma_f64 v[44:45], v[44:45], v[22:23], v[153:154]
	v_fma_f64 v[42:43], v[42:43], v[22:23], -v[24:25]
	scratch_load_b128 v[22:25], off, off offset:432
	v_add_f64_e32 v[149:150], v[149:150], v[145:146]
	v_add_f64_e32 v[151:152], v[151:152], v[147:148]
	ds_load_b128 v[145:148], v1 offset:1008
	s_wait_loadcnt_dscnt 0xa01
	v_mul_f64_e32 v[159:160], v[2:3], v[28:29]
	v_mul_f64_e32 v[28:29], v[4:5], v[28:29]
	s_wait_loadcnt_dscnt 0x900
	v_mul_f64_e32 v[153:154], v[145:146], v[32:33]
	v_mul_f64_e32 v[32:33], v[147:148], v[32:33]
	v_add_f64_e32 v[149:150], v[149:150], v[157:158]
	v_add_f64_e32 v[151:152], v[151:152], v[155:156]
	v_fma_f64 v[155:156], v[4:5], v[26:27], v[159:160]
	v_fma_f64 v[157:158], v[2:3], v[26:27], -v[28:29]
	ds_load_b128 v[2:5], v1 offset:1024
	scratch_load_b128 v[26:29], off, off offset:448
	v_fma_f64 v[147:148], v[147:148], v[30:31], v[153:154]
	v_fma_f64 v[145:146], v[145:146], v[30:31], -v[32:33]
	scratch_load_b128 v[30:33], off, off offset:464
	v_add_f64_e32 v[149:150], v[149:150], v[42:43]
	v_add_f64_e32 v[151:152], v[151:152], v[44:45]
	ds_load_b128 v[42:45], v1 offset:1040
	s_wait_loadcnt_dscnt 0xa01
	v_mul_f64_e32 v[159:160], v[2:3], v[36:37]
	v_mul_f64_e32 v[36:37], v[4:5], v[36:37]
	s_wait_loadcnt_dscnt 0x800
	v_mul_f64_e32 v[153:154], v[42:43], v[143:144]
	v_add_f64_e32 v[149:150], v[149:150], v[157:158]
	v_add_f64_e32 v[151:152], v[151:152], v[155:156]
	v_mul_f64_e32 v[155:156], v[44:45], v[143:144]
	v_fma_f64 v[157:158], v[4:5], v[34:35], v[159:160]
	v_fma_f64 v[159:160], v[2:3], v[34:35], -v[36:37]
	ds_load_b128 v[2:5], v1 offset:1056
	scratch_load_b128 v[34:37], off, off offset:480
	v_fma_f64 v[44:45], v[44:45], v[141:142], v[153:154]
	v_add_f64_e32 v[149:150], v[149:150], v[145:146]
	v_add_f64_e32 v[147:148], v[151:152], v[147:148]
	ds_load_b128 v[143:146], v1 offset:1072
	v_fma_f64 v[141:142], v[42:43], v[141:142], -v[155:156]
	s_wait_loadcnt_dscnt 0x801
	v_mul_f64_e32 v[151:152], v[2:3], v[40:41]
	v_mul_f64_e32 v[161:162], v[4:5], v[40:41]
	scratch_load_b128 v[40:43], off, off offset:496
	s_wait_loadcnt_dscnt 0x800
	v_mul_f64_e32 v[155:156], v[143:144], v[8:9]
	v_mul_f64_e32 v[8:9], v[145:146], v[8:9]
	v_add_f64_e32 v[149:150], v[149:150], v[159:160]
	v_add_f64_e32 v[147:148], v[147:148], v[157:158]
	v_fma_f64 v[157:158], v[4:5], v[38:39], v[151:152]
	v_fma_f64 v[38:39], v[2:3], v[38:39], -v[161:162]
	ds_load_b128 v[2:5], v1 offset:1088
	ds_load_b128 v[151:154], v1 offset:1104
	v_fma_f64 v[145:146], v[145:146], v[6:7], v[155:156]
	v_fma_f64 v[143:144], v[143:144], v[6:7], -v[8:9]
	scratch_load_b128 v[6:9], off, off offset:528
	v_add_f64_e32 v[141:142], v[149:150], v[141:142]
	v_add_f64_e32 v[44:45], v[147:148], v[44:45]
	scratch_load_b128 v[147:150], off, off offset:512
	s_wait_loadcnt_dscnt 0x901
	v_mul_f64_e32 v[159:160], v[2:3], v[12:13]
	v_mul_f64_e32 v[12:13], v[4:5], v[12:13]
	s_wait_loadcnt_dscnt 0x800
	v_mul_f64_e32 v[155:156], v[151:152], v[16:17]
	v_mul_f64_e32 v[16:17], v[153:154], v[16:17]
	v_add_f64_e32 v[38:39], v[141:142], v[38:39]
	v_add_f64_e32 v[44:45], v[44:45], v[157:158]
	v_fma_f64 v[157:158], v[4:5], v[10:11], v[159:160]
	v_fma_f64 v[159:160], v[2:3], v[10:11], -v[12:13]
	ds_load_b128 v[2:5], v1 offset:1120
	scratch_load_b128 v[10:13], off, off offset:544
	v_fma_f64 v[153:154], v[153:154], v[14:15], v[155:156]
	v_fma_f64 v[151:152], v[151:152], v[14:15], -v[16:17]
	scratch_load_b128 v[14:17], off, off offset:560
	v_add_f64_e32 v[38:39], v[38:39], v[143:144]
	v_add_f64_e32 v[44:45], v[44:45], v[145:146]
	ds_load_b128 v[141:144], v1 offset:1136
	s_wait_loadcnt_dscnt 0x901
	v_mul_f64_e32 v[145:146], v[2:3], v[20:21]
	v_mul_f64_e32 v[20:21], v[4:5], v[20:21]
	s_wait_loadcnt_dscnt 0x800
	v_mul_f64_e32 v[155:156], v[141:142], v[24:25]
	v_mul_f64_e32 v[24:25], v[143:144], v[24:25]
	v_add_f64_e32 v[38:39], v[38:39], v[159:160]
	v_add_f64_e32 v[44:45], v[44:45], v[157:158]
	v_fma_f64 v[145:146], v[4:5], v[18:19], v[145:146]
	v_fma_f64 v[157:158], v[2:3], v[18:19], -v[20:21]
	ds_load_b128 v[2:5], v1 offset:1152
	scratch_load_b128 v[18:21], off, off offset:576
	v_fma_f64 v[143:144], v[143:144], v[22:23], v[155:156]
	v_fma_f64 v[141:142], v[141:142], v[22:23], -v[24:25]
	scratch_load_b128 v[22:25], off, off offset:592
	v_add_f64_e32 v[38:39], v[38:39], v[151:152]
	v_add_f64_e32 v[44:45], v[44:45], v[153:154]
	ds_load_b128 v[151:154], v1 offset:1168
	s_wait_loadcnt_dscnt 0x901
	v_mul_f64_e32 v[159:160], v[2:3], v[28:29]
	v_mul_f64_e32 v[28:29], v[4:5], v[28:29]
	v_add_f64_e32 v[38:39], v[38:39], v[157:158]
	v_add_f64_e32 v[44:45], v[44:45], v[145:146]
	s_wait_loadcnt_dscnt 0x800
	v_mul_f64_e32 v[145:146], v[151:152], v[32:33]
	v_mul_f64_e32 v[32:33], v[153:154], v[32:33]
	v_fma_f64 v[155:156], v[4:5], v[26:27], v[159:160]
	v_fma_f64 v[157:158], v[2:3], v[26:27], -v[28:29]
	ds_load_b128 v[2:5], v1 offset:1184
	scratch_load_b128 v[26:29], off, off offset:608
	v_add_f64_e32 v[38:39], v[38:39], v[141:142]
	v_add_f64_e32 v[44:45], v[44:45], v[143:144]
	ds_load_b128 v[141:144], v1 offset:1200
	s_wait_loadcnt_dscnt 0x801
	v_mul_f64_e32 v[159:160], v[2:3], v[36:37]
	v_mul_f64_e32 v[36:37], v[4:5], v[36:37]
	v_fma_f64 v[145:146], v[153:154], v[30:31], v[145:146]
	v_fma_f64 v[151:152], v[151:152], v[30:31], -v[32:33]
	scratch_load_b128 v[30:33], off, off offset:624
	s_wait_loadcnt_dscnt 0x800
	v_mul_f64_e32 v[153:154], v[141:142], v[42:43]
	v_add_f64_e32 v[38:39], v[38:39], v[157:158]
	v_add_f64_e32 v[44:45], v[44:45], v[155:156]
	v_mul_f64_e32 v[155:156], v[143:144], v[42:43]
	v_fma_f64 v[157:158], v[4:5], v[34:35], v[159:160]
	v_fma_f64 v[159:160], v[2:3], v[34:35], -v[36:37]
	ds_load_b128 v[2:5], v1 offset:1216
	scratch_load_b128 v[34:37], off, off offset:640
	v_fma_f64 v[143:144], v[143:144], v[40:41], v[153:154]
	v_add_f64_e32 v[38:39], v[38:39], v[151:152]
	v_add_f64_e32 v[145:146], v[44:45], v[145:146]
	ds_load_b128 v[42:45], v1 offset:1232
	v_fma_f64 v[141:142], v[141:142], v[40:41], -v[155:156]
	s_wait_loadcnt_dscnt 0x701
	v_mul_f64_e32 v[151:152], v[2:3], v[149:150]
	v_mul_f64_e32 v[149:150], v[4:5], v[149:150]
	s_wait_dscnt 0x0
	v_mul_f64_e32 v[155:156], v[42:43], v[8:9]
	v_mul_f64_e32 v[8:9], v[44:45], v[8:9]
	v_add_f64_e32 v[153:154], v[38:39], v[159:160]
	v_add_f64_e32 v[145:146], v[145:146], v[157:158]
	scratch_load_b128 v[38:41], off, off offset:656
	v_fma_f64 v[151:152], v[4:5], v[147:148], v[151:152]
	v_fma_f64 v[149:150], v[2:3], v[147:148], -v[149:150]
	ds_load_b128 v[2:5], v1 offset:1248
	v_fma_f64 v[44:45], v[44:45], v[6:7], v[155:156]
	v_fma_f64 v[42:43], v[42:43], v[6:7], -v[8:9]
	scratch_load_b128 v[6:9], off, off offset:688
	v_add_f64_e32 v[153:154], v[153:154], v[141:142]
	v_add_f64_e32 v[157:158], v[145:146], v[143:144]
	scratch_load_b128 v[141:144], off, off offset:672
	ds_load_b128 v[145:148], v1 offset:1264
	s_wait_loadcnt_dscnt 0x901
	v_mul_f64_e32 v[159:160], v[2:3], v[12:13]
	v_mul_f64_e32 v[12:13], v[4:5], v[12:13]
	v_add_f64_e32 v[149:150], v[153:154], v[149:150]
	v_add_f64_e32 v[151:152], v[157:158], v[151:152]
	s_wait_loadcnt_dscnt 0x800
	v_mul_f64_e32 v[153:154], v[145:146], v[16:17]
	v_mul_f64_e32 v[16:17], v[147:148], v[16:17]
	v_fma_f64 v[155:156], v[4:5], v[10:11], v[159:160]
	v_fma_f64 v[157:158], v[2:3], v[10:11], -v[12:13]
	ds_load_b128 v[2:5], v1 offset:1280
	scratch_load_b128 v[10:13], off, off offset:704
	v_add_f64_e32 v[149:150], v[149:150], v[42:43]
	v_add_f64_e32 v[151:152], v[151:152], v[44:45]
	ds_load_b128 v[42:45], v1 offset:1296
	s_wait_loadcnt_dscnt 0x801
	v_mul_f64_e32 v[159:160], v[2:3], v[20:21]
	v_mul_f64_e32 v[20:21], v[4:5], v[20:21]
	v_fma_f64 v[147:148], v[147:148], v[14:15], v[153:154]
	v_fma_f64 v[145:146], v[145:146], v[14:15], -v[16:17]
	scratch_load_b128 v[14:17], off, off offset:720
	s_wait_loadcnt_dscnt 0x800
	v_mul_f64_e32 v[153:154], v[42:43], v[24:25]
	v_mul_f64_e32 v[24:25], v[44:45], v[24:25]
	v_add_f64_e32 v[149:150], v[149:150], v[157:158]
	v_add_f64_e32 v[151:152], v[151:152], v[155:156]
	v_fma_f64 v[155:156], v[4:5], v[18:19], v[159:160]
	v_fma_f64 v[157:158], v[2:3], v[18:19], -v[20:21]
	ds_load_b128 v[2:5], v1 offset:1312
	ds_load_b128 v[18:21], v1 offset:1328
	v_fma_f64 v[44:45], v[44:45], v[22:23], v[153:154]
	v_fma_f64 v[22:23], v[42:43], v[22:23], -v[24:25]
	v_add_f64_e32 v[145:146], v[149:150], v[145:146]
	v_add_f64_e32 v[147:148], v[151:152], v[147:148]
	s_wait_loadcnt_dscnt 0x701
	v_mul_f64_e32 v[149:150], v[2:3], v[28:29]
	v_mul_f64_e32 v[28:29], v[4:5], v[28:29]
	s_delay_alu instid0(VALU_DEP_4) | instskip(NEXT) | instid1(VALU_DEP_4)
	v_add_f64_e32 v[24:25], v[145:146], v[157:158]
	v_add_f64_e32 v[42:43], v[147:148], v[155:156]
	s_wait_loadcnt_dscnt 0x600
	v_mul_f64_e32 v[145:146], v[18:19], v[32:33]
	v_mul_f64_e32 v[32:33], v[20:21], v[32:33]
	v_fma_f64 v[147:148], v[4:5], v[26:27], v[149:150]
	v_fma_f64 v[26:27], v[2:3], v[26:27], -v[28:29]
	v_add_f64_e32 v[28:29], v[24:25], v[22:23]
	v_add_f64_e32 v[42:43], v[42:43], v[44:45]
	ds_load_b128 v[2:5], v1 offset:1344
	ds_load_b128 v[22:25], v1 offset:1360
	v_fma_f64 v[20:21], v[20:21], v[30:31], v[145:146]
	v_fma_f64 v[18:19], v[18:19], v[30:31], -v[32:33]
	s_wait_loadcnt_dscnt 0x501
	v_mul_f64_e32 v[44:45], v[2:3], v[36:37]
	v_mul_f64_e32 v[36:37], v[4:5], v[36:37]
	v_add_f64_e32 v[26:27], v[28:29], v[26:27]
	v_add_f64_e32 v[28:29], v[42:43], v[147:148]
	s_wait_loadcnt_dscnt 0x400
	v_mul_f64_e32 v[30:31], v[22:23], v[40:41]
	v_mul_f64_e32 v[32:33], v[24:25], v[40:41]
	v_fma_f64 v[40:41], v[4:5], v[34:35], v[44:45]
	v_fma_f64 v[34:35], v[2:3], v[34:35], -v[36:37]
	v_add_f64_e32 v[26:27], v[26:27], v[18:19]
	v_add_f64_e32 v[28:29], v[28:29], v[20:21]
	ds_load_b128 v[2:5], v1 offset:1376
	ds_load_b128 v[18:21], v1 offset:1392
	v_fma_f64 v[24:25], v[24:25], v[38:39], v[30:31]
	v_fma_f64 v[22:23], v[22:23], v[38:39], -v[32:33]
	s_wait_loadcnt_dscnt 0x201
	v_mul_f64_e32 v[36:37], v[2:3], v[143:144]
	v_mul_f64_e32 v[42:43], v[4:5], v[143:144]
	s_wait_dscnt 0x0
	v_mul_f64_e32 v[30:31], v[18:19], v[8:9]
	v_mul_f64_e32 v[8:9], v[20:21], v[8:9]
	v_add_f64_e32 v[26:27], v[26:27], v[34:35]
	v_add_f64_e32 v[28:29], v[28:29], v[40:41]
	v_fma_f64 v[32:33], v[4:5], v[141:142], v[36:37]
	v_fma_f64 v[34:35], v[2:3], v[141:142], -v[42:43]
	v_fma_f64 v[20:21], v[20:21], v[6:7], v[30:31]
	v_fma_f64 v[6:7], v[18:19], v[6:7], -v[8:9]
	v_add_f64_e32 v[26:27], v[26:27], v[22:23]
	v_add_f64_e32 v[28:29], v[28:29], v[24:25]
	ds_load_b128 v[2:5], v1 offset:1408
	ds_load_b128 v[22:25], v1 offset:1424
	s_wait_loadcnt_dscnt 0x101
	v_mul_f64_e32 v[36:37], v[2:3], v[12:13]
	v_mul_f64_e32 v[12:13], v[4:5], v[12:13]
	v_add_f64_e32 v[8:9], v[26:27], v[34:35]
	v_add_f64_e32 v[18:19], v[28:29], v[32:33]
	s_wait_loadcnt_dscnt 0x0
	v_mul_f64_e32 v[26:27], v[22:23], v[16:17]
	v_mul_f64_e32 v[16:17], v[24:25], v[16:17]
	v_fma_f64 v[4:5], v[4:5], v[10:11], v[36:37]
	v_fma_f64 v[1:2], v[2:3], v[10:11], -v[12:13]
	v_add_f64_e32 v[6:7], v[8:9], v[6:7]
	v_add_f64_e32 v[8:9], v[18:19], v[20:21]
	v_fma_f64 v[10:11], v[24:25], v[14:15], v[26:27]
	v_fma_f64 v[12:13], v[22:23], v[14:15], -v[16:17]
	s_delay_alu instid0(VALU_DEP_4) | instskip(NEXT) | instid1(VALU_DEP_4)
	v_add_f64_e32 v[1:2], v[6:7], v[1:2]
	v_add_f64_e32 v[3:4], v[8:9], v[4:5]
	s_delay_alu instid0(VALU_DEP_2) | instskip(NEXT) | instid1(VALU_DEP_2)
	v_add_f64_e32 v[1:2], v[1:2], v[12:13]
	v_add_f64_e32 v[3:4], v[3:4], v[10:11]
	s_delay_alu instid0(VALU_DEP_2) | instskip(NEXT) | instid1(VALU_DEP_2)
	v_add_f64_e64 v[1:2], v[137:138], -v[1:2]
	v_add_f64_e64 v[3:4], v[139:140], -v[3:4]
	scratch_store_b128 off, v[1:4], off offset:176
	v_cmpx_lt_u32_e32 9, v0
	s_cbranch_execz .LBB108_265
; %bb.264:
	scratch_load_b128 v[1:4], off, s49
	v_mov_b32_e32 v5, 0
	s_delay_alu instid0(VALU_DEP_1)
	v_dual_mov_b32 v6, v5 :: v_dual_mov_b32 v7, v5
	v_mov_b32_e32 v8, v5
	scratch_store_b128 off, v[5:8], off offset:160
	s_wait_loadcnt 0x0
	ds_store_b128 v136, v[1:4]
.LBB108_265:
	s_wait_alu 0xfffe
	s_or_b32 exec_lo, exec_lo, s0
	s_wait_storecnt_dscnt 0x0
	s_barrier_signal -1
	s_barrier_wait -1
	global_inv scope:SCOPE_SE
	s_clause 0x7
	scratch_load_b128 v[2:5], off, off offset:176
	scratch_load_b128 v[6:9], off, off offset:192
	;; [unrolled: 1-line block ×8, first 2 shown]
	v_mov_b32_e32 v1, 0
	s_mov_b32 s0, exec_lo
	ds_load_b128 v[38:41], v1 offset:880
	s_clause 0x1
	scratch_load_b128 v[34:37], off, off offset:304
	scratch_load_b128 v[42:45], off, off offset:160
	ds_load_b128 v[137:140], v1 offset:896
	scratch_load_b128 v[141:144], off, off offset:320
	s_wait_loadcnt_dscnt 0xa01
	v_mul_f64_e32 v[145:146], v[40:41], v[4:5]
	v_mul_f64_e32 v[4:5], v[38:39], v[4:5]
	s_delay_alu instid0(VALU_DEP_2) | instskip(NEXT) | instid1(VALU_DEP_2)
	v_fma_f64 v[151:152], v[38:39], v[2:3], -v[145:146]
	v_fma_f64 v[153:154], v[40:41], v[2:3], v[4:5]
	ds_load_b128 v[2:5], v1 offset:912
	s_wait_loadcnt_dscnt 0x901
	v_mul_f64_e32 v[149:150], v[137:138], v[8:9]
	v_mul_f64_e32 v[8:9], v[139:140], v[8:9]
	scratch_load_b128 v[38:41], off, off offset:336
	ds_load_b128 v[145:148], v1 offset:928
	s_wait_loadcnt_dscnt 0x901
	v_mul_f64_e32 v[155:156], v[2:3], v[12:13]
	v_mul_f64_e32 v[12:13], v[4:5], v[12:13]
	v_fma_f64 v[139:140], v[139:140], v[6:7], v[149:150]
	v_fma_f64 v[137:138], v[137:138], v[6:7], -v[8:9]
	v_add_f64_e32 v[149:150], 0, v[151:152]
	v_add_f64_e32 v[151:152], 0, v[153:154]
	scratch_load_b128 v[6:9], off, off offset:352
	v_fma_f64 v[155:156], v[4:5], v[10:11], v[155:156]
	v_fma_f64 v[157:158], v[2:3], v[10:11], -v[12:13]
	ds_load_b128 v[2:5], v1 offset:944
	s_wait_loadcnt_dscnt 0x901
	v_mul_f64_e32 v[153:154], v[145:146], v[16:17]
	v_mul_f64_e32 v[16:17], v[147:148], v[16:17]
	scratch_load_b128 v[10:13], off, off offset:368
	v_add_f64_e32 v[149:150], v[149:150], v[137:138]
	v_add_f64_e32 v[151:152], v[151:152], v[139:140]
	s_wait_loadcnt_dscnt 0x900
	v_mul_f64_e32 v[159:160], v[2:3], v[20:21]
	v_mul_f64_e32 v[20:21], v[4:5], v[20:21]
	ds_load_b128 v[137:140], v1 offset:960
	v_fma_f64 v[147:148], v[147:148], v[14:15], v[153:154]
	v_fma_f64 v[145:146], v[145:146], v[14:15], -v[16:17]
	scratch_load_b128 v[14:17], off, off offset:384
	v_add_f64_e32 v[149:150], v[149:150], v[157:158]
	v_add_f64_e32 v[151:152], v[151:152], v[155:156]
	v_fma_f64 v[155:156], v[4:5], v[18:19], v[159:160]
	v_fma_f64 v[157:158], v[2:3], v[18:19], -v[20:21]
	ds_load_b128 v[2:5], v1 offset:976
	s_wait_loadcnt_dscnt 0x901
	v_mul_f64_e32 v[153:154], v[137:138], v[24:25]
	v_mul_f64_e32 v[24:25], v[139:140], v[24:25]
	scratch_load_b128 v[18:21], off, off offset:400
	s_wait_loadcnt_dscnt 0x900
	v_mul_f64_e32 v[159:160], v[2:3], v[28:29]
	v_mul_f64_e32 v[28:29], v[4:5], v[28:29]
	v_add_f64_e32 v[149:150], v[149:150], v[145:146]
	v_add_f64_e32 v[151:152], v[151:152], v[147:148]
	ds_load_b128 v[145:148], v1 offset:992
	v_fma_f64 v[139:140], v[139:140], v[22:23], v[153:154]
	v_fma_f64 v[137:138], v[137:138], v[22:23], -v[24:25]
	scratch_load_b128 v[22:25], off, off offset:416
	v_add_f64_e32 v[149:150], v[149:150], v[157:158]
	v_add_f64_e32 v[151:152], v[151:152], v[155:156]
	v_fma_f64 v[155:156], v[4:5], v[26:27], v[159:160]
	v_fma_f64 v[157:158], v[2:3], v[26:27], -v[28:29]
	ds_load_b128 v[2:5], v1 offset:1008
	s_wait_loadcnt_dscnt 0x901
	v_mul_f64_e32 v[153:154], v[145:146], v[32:33]
	v_mul_f64_e32 v[32:33], v[147:148], v[32:33]
	scratch_load_b128 v[26:29], off, off offset:432
	s_wait_loadcnt_dscnt 0x900
	v_mul_f64_e32 v[159:160], v[2:3], v[36:37]
	v_mul_f64_e32 v[36:37], v[4:5], v[36:37]
	v_add_f64_e32 v[149:150], v[149:150], v[137:138]
	v_add_f64_e32 v[151:152], v[151:152], v[139:140]
	ds_load_b128 v[137:140], v1 offset:1024
	v_fma_f64 v[147:148], v[147:148], v[30:31], v[153:154]
	v_fma_f64 v[145:146], v[145:146], v[30:31], -v[32:33]
	scratch_load_b128 v[30:33], off, off offset:448
	v_add_f64_e32 v[149:150], v[149:150], v[157:158]
	v_add_f64_e32 v[151:152], v[151:152], v[155:156]
	v_fma_f64 v[157:158], v[4:5], v[34:35], v[159:160]
	v_fma_f64 v[159:160], v[2:3], v[34:35], -v[36:37]
	ds_load_b128 v[2:5], v1 offset:1040
	s_wait_loadcnt_dscnt 0x801
	v_mul_f64_e32 v[153:154], v[137:138], v[143:144]
	v_mul_f64_e32 v[155:156], v[139:140], v[143:144]
	scratch_load_b128 v[34:37], off, off offset:464
	v_add_f64_e32 v[149:150], v[149:150], v[145:146]
	v_add_f64_e32 v[147:148], v[151:152], v[147:148]
	ds_load_b128 v[143:146], v1 offset:1056
	v_fma_f64 v[153:154], v[139:140], v[141:142], v[153:154]
	v_fma_f64 v[141:142], v[137:138], v[141:142], -v[155:156]
	scratch_load_b128 v[137:140], off, off offset:480
	s_wait_loadcnt_dscnt 0x901
	v_mul_f64_e32 v[151:152], v[2:3], v[40:41]
	v_mul_f64_e32 v[40:41], v[4:5], v[40:41]
	v_add_f64_e32 v[149:150], v[149:150], v[159:160]
	v_add_f64_e32 v[147:148], v[147:148], v[157:158]
	s_delay_alu instid0(VALU_DEP_4) | instskip(NEXT) | instid1(VALU_DEP_4)
	v_fma_f64 v[151:152], v[4:5], v[38:39], v[151:152]
	v_fma_f64 v[157:158], v[2:3], v[38:39], -v[40:41]
	ds_load_b128 v[2:5], v1 offset:1072
	s_wait_loadcnt_dscnt 0x801
	v_mul_f64_e32 v[155:156], v[143:144], v[8:9]
	v_mul_f64_e32 v[8:9], v[145:146], v[8:9]
	scratch_load_b128 v[38:41], off, off offset:496
	s_wait_loadcnt_dscnt 0x800
	v_mul_f64_e32 v[159:160], v[2:3], v[12:13]
	v_add_f64_e32 v[141:142], v[149:150], v[141:142]
	v_add_f64_e32 v[153:154], v[147:148], v[153:154]
	v_mul_f64_e32 v[12:13], v[4:5], v[12:13]
	ds_load_b128 v[147:150], v1 offset:1088
	v_fma_f64 v[145:146], v[145:146], v[6:7], v[155:156]
	v_fma_f64 v[143:144], v[143:144], v[6:7], -v[8:9]
	scratch_load_b128 v[6:9], off, off offset:512
	v_fma_f64 v[155:156], v[4:5], v[10:11], v[159:160]
	v_add_f64_e32 v[141:142], v[141:142], v[157:158]
	v_add_f64_e32 v[151:152], v[153:154], v[151:152]
	v_fma_f64 v[157:158], v[2:3], v[10:11], -v[12:13]
	ds_load_b128 v[2:5], v1 offset:1104
	s_wait_loadcnt_dscnt 0x801
	v_mul_f64_e32 v[153:154], v[147:148], v[16:17]
	v_mul_f64_e32 v[16:17], v[149:150], v[16:17]
	scratch_load_b128 v[10:13], off, off offset:528
	v_add_f64_e32 v[159:160], v[141:142], v[143:144]
	v_add_f64_e32 v[145:146], v[151:152], v[145:146]
	s_wait_loadcnt_dscnt 0x800
	v_mul_f64_e32 v[151:152], v[2:3], v[20:21]
	v_mul_f64_e32 v[20:21], v[4:5], v[20:21]
	v_fma_f64 v[149:150], v[149:150], v[14:15], v[153:154]
	v_fma_f64 v[147:148], v[147:148], v[14:15], -v[16:17]
	ds_load_b128 v[141:144], v1 offset:1120
	scratch_load_b128 v[14:17], off, off offset:544
	v_add_f64_e32 v[153:154], v[159:160], v[157:158]
	v_add_f64_e32 v[145:146], v[145:146], v[155:156]
	v_fma_f64 v[151:152], v[4:5], v[18:19], v[151:152]
	v_fma_f64 v[157:158], v[2:3], v[18:19], -v[20:21]
	ds_load_b128 v[2:5], v1 offset:1136
	s_wait_loadcnt_dscnt 0x801
	v_mul_f64_e32 v[155:156], v[141:142], v[24:25]
	v_mul_f64_e32 v[24:25], v[143:144], v[24:25]
	scratch_load_b128 v[18:21], off, off offset:560
	s_wait_loadcnt_dscnt 0x800
	v_mul_f64_e32 v[159:160], v[2:3], v[28:29]
	v_mul_f64_e32 v[28:29], v[4:5], v[28:29]
	v_add_f64_e32 v[153:154], v[153:154], v[147:148]
	v_add_f64_e32 v[149:150], v[145:146], v[149:150]
	ds_load_b128 v[145:148], v1 offset:1152
	v_fma_f64 v[143:144], v[143:144], v[22:23], v[155:156]
	v_fma_f64 v[141:142], v[141:142], v[22:23], -v[24:25]
	scratch_load_b128 v[22:25], off, off offset:576
	v_fma_f64 v[155:156], v[4:5], v[26:27], v[159:160]
	v_add_f64_e32 v[153:154], v[153:154], v[157:158]
	v_add_f64_e32 v[149:150], v[149:150], v[151:152]
	v_fma_f64 v[157:158], v[2:3], v[26:27], -v[28:29]
	ds_load_b128 v[2:5], v1 offset:1168
	s_wait_loadcnt_dscnt 0x801
	v_mul_f64_e32 v[151:152], v[145:146], v[32:33]
	v_mul_f64_e32 v[32:33], v[147:148], v[32:33]
	scratch_load_b128 v[26:29], off, off offset:592
	s_wait_loadcnt_dscnt 0x800
	v_mul_f64_e32 v[159:160], v[2:3], v[36:37]
	v_mul_f64_e32 v[36:37], v[4:5], v[36:37]
	v_add_f64_e32 v[153:154], v[153:154], v[141:142]
	v_add_f64_e32 v[149:150], v[149:150], v[143:144]
	ds_load_b128 v[141:144], v1 offset:1184
	v_fma_f64 v[147:148], v[147:148], v[30:31], v[151:152]
	v_fma_f64 v[145:146], v[145:146], v[30:31], -v[32:33]
	scratch_load_b128 v[30:33], off, off offset:608
	v_add_f64_e32 v[151:152], v[153:154], v[157:158]
	v_add_f64_e32 v[149:150], v[149:150], v[155:156]
	v_fma_f64 v[155:156], v[4:5], v[34:35], v[159:160]
	v_fma_f64 v[157:158], v[2:3], v[34:35], -v[36:37]
	ds_load_b128 v[2:5], v1 offset:1200
	s_wait_loadcnt_dscnt 0x801
	v_mul_f64_e32 v[153:154], v[141:142], v[139:140]
	v_mul_f64_e32 v[139:140], v[143:144], v[139:140]
	scratch_load_b128 v[34:37], off, off offset:624
	s_wait_loadcnt_dscnt 0x800
	v_mul_f64_e32 v[159:160], v[2:3], v[40:41]
	v_mul_f64_e32 v[40:41], v[4:5], v[40:41]
	v_add_f64_e32 v[151:152], v[151:152], v[145:146]
	v_add_f64_e32 v[149:150], v[149:150], v[147:148]
	ds_load_b128 v[145:148], v1 offset:1216
	v_fma_f64 v[143:144], v[143:144], v[137:138], v[153:154]
	v_fma_f64 v[141:142], v[141:142], v[137:138], -v[139:140]
	scratch_load_b128 v[137:140], off, off offset:640
	v_add_f64_e32 v[151:152], v[151:152], v[157:158]
	v_add_f64_e32 v[149:150], v[149:150], v[155:156]
	v_fma_f64 v[155:156], v[4:5], v[38:39], v[159:160]
	;; [unrolled: 18-line block ×4, first 2 shown]
	v_fma_f64 v[157:158], v[2:3], v[18:19], -v[20:21]
	ds_load_b128 v[2:5], v1 offset:1296
	s_wait_loadcnt_dscnt 0x801
	v_mul_f64_e32 v[153:154], v[145:146], v[24:25]
	v_mul_f64_e32 v[24:25], v[147:148], v[24:25]
	scratch_load_b128 v[18:21], off, off offset:720
	s_wait_loadcnt_dscnt 0x800
	v_mul_f64_e32 v[159:160], v[2:3], v[28:29]
	v_mul_f64_e32 v[28:29], v[4:5], v[28:29]
	v_add_f64_e32 v[151:152], v[151:152], v[141:142]
	v_add_f64_e32 v[149:150], v[149:150], v[143:144]
	ds_load_b128 v[141:144], v1 offset:1312
	v_fma_f64 v[147:148], v[147:148], v[22:23], v[153:154]
	v_fma_f64 v[22:23], v[145:146], v[22:23], -v[24:25]
	v_add_f64_e32 v[24:25], v[151:152], v[157:158]
	v_add_f64_e32 v[145:146], v[149:150], v[155:156]
	s_wait_loadcnt_dscnt 0x700
	v_mul_f64_e32 v[149:150], v[141:142], v[32:33]
	v_mul_f64_e32 v[32:33], v[143:144], v[32:33]
	v_fma_f64 v[151:152], v[4:5], v[26:27], v[159:160]
	v_fma_f64 v[26:27], v[2:3], v[26:27], -v[28:29]
	v_add_f64_e32 v[28:29], v[24:25], v[22:23]
	v_add_f64_e32 v[145:146], v[145:146], v[147:148]
	ds_load_b128 v[2:5], v1 offset:1328
	ds_load_b128 v[22:25], v1 offset:1344
	v_fma_f64 v[143:144], v[143:144], v[30:31], v[149:150]
	v_fma_f64 v[30:31], v[141:142], v[30:31], -v[32:33]
	s_wait_loadcnt_dscnt 0x601
	v_mul_f64_e32 v[147:148], v[2:3], v[36:37]
	v_mul_f64_e32 v[36:37], v[4:5], v[36:37]
	s_wait_loadcnt_dscnt 0x500
	v_mul_f64_e32 v[32:33], v[22:23], v[139:140]
	v_mul_f64_e32 v[139:140], v[24:25], v[139:140]
	v_add_f64_e32 v[26:27], v[28:29], v[26:27]
	v_add_f64_e32 v[28:29], v[145:146], v[151:152]
	v_fma_f64 v[141:142], v[4:5], v[34:35], v[147:148]
	v_fma_f64 v[34:35], v[2:3], v[34:35], -v[36:37]
	v_fma_f64 v[24:25], v[24:25], v[137:138], v[32:33]
	v_fma_f64 v[22:23], v[22:23], v[137:138], -v[139:140]
	v_add_f64_e32 v[30:31], v[26:27], v[30:31]
	v_add_f64_e32 v[36:37], v[28:29], v[143:144]
	ds_load_b128 v[2:5], v1 offset:1360
	ds_load_b128 v[26:29], v1 offset:1376
	s_wait_loadcnt_dscnt 0x401
	v_mul_f64_e32 v[143:144], v[2:3], v[40:41]
	v_mul_f64_e32 v[40:41], v[4:5], v[40:41]
	v_add_f64_e32 v[30:31], v[30:31], v[34:35]
	v_add_f64_e32 v[32:33], v[36:37], v[141:142]
	s_wait_loadcnt_dscnt 0x300
	v_mul_f64_e32 v[34:35], v[26:27], v[8:9]
	v_mul_f64_e32 v[8:9], v[28:29], v[8:9]
	v_fma_f64 v[36:37], v[4:5], v[38:39], v[143:144]
	v_fma_f64 v[38:39], v[2:3], v[38:39], -v[40:41]
	v_add_f64_e32 v[30:31], v[30:31], v[22:23]
	v_add_f64_e32 v[32:33], v[32:33], v[24:25]
	ds_load_b128 v[2:5], v1 offset:1392
	ds_load_b128 v[22:25], v1 offset:1408
	v_fma_f64 v[28:29], v[28:29], v[6:7], v[34:35]
	v_fma_f64 v[6:7], v[26:27], v[6:7], -v[8:9]
	s_wait_loadcnt_dscnt 0x201
	v_mul_f64_e32 v[40:41], v[2:3], v[12:13]
	v_mul_f64_e32 v[12:13], v[4:5], v[12:13]
	v_add_f64_e32 v[8:9], v[30:31], v[38:39]
	v_add_f64_e32 v[26:27], v[32:33], v[36:37]
	s_wait_loadcnt_dscnt 0x100
	v_mul_f64_e32 v[30:31], v[22:23], v[16:17]
	v_mul_f64_e32 v[16:17], v[24:25], v[16:17]
	v_fma_f64 v[32:33], v[4:5], v[10:11], v[40:41]
	v_fma_f64 v[10:11], v[2:3], v[10:11], -v[12:13]
	ds_load_b128 v[2:5], v1 offset:1424
	v_add_f64_e32 v[6:7], v[8:9], v[6:7]
	v_add_f64_e32 v[8:9], v[26:27], v[28:29]
	v_fma_f64 v[24:25], v[24:25], v[14:15], v[30:31]
	v_fma_f64 v[14:15], v[22:23], v[14:15], -v[16:17]
	s_wait_loadcnt_dscnt 0x0
	v_mul_f64_e32 v[12:13], v[2:3], v[20:21]
	v_mul_f64_e32 v[20:21], v[4:5], v[20:21]
	v_add_f64_e32 v[6:7], v[6:7], v[10:11]
	v_add_f64_e32 v[8:9], v[8:9], v[32:33]
	s_delay_alu instid0(VALU_DEP_4) | instskip(NEXT) | instid1(VALU_DEP_4)
	v_fma_f64 v[4:5], v[4:5], v[18:19], v[12:13]
	v_fma_f64 v[2:3], v[2:3], v[18:19], -v[20:21]
	s_delay_alu instid0(VALU_DEP_4) | instskip(NEXT) | instid1(VALU_DEP_4)
	v_add_f64_e32 v[6:7], v[6:7], v[14:15]
	v_add_f64_e32 v[8:9], v[8:9], v[24:25]
	s_delay_alu instid0(VALU_DEP_2) | instskip(NEXT) | instid1(VALU_DEP_2)
	v_add_f64_e32 v[2:3], v[6:7], v[2:3]
	v_add_f64_e32 v[4:5], v[8:9], v[4:5]
	s_delay_alu instid0(VALU_DEP_2) | instskip(NEXT) | instid1(VALU_DEP_2)
	v_add_f64_e64 v[2:3], v[42:43], -v[2:3]
	v_add_f64_e64 v[4:5], v[44:45], -v[4:5]
	scratch_store_b128 off, v[2:5], off offset:160
	v_cmpx_lt_u32_e32 8, v0
	s_cbranch_execz .LBB108_267
; %bb.266:
	scratch_load_b128 v[5:8], off, s50
	v_dual_mov_b32 v2, v1 :: v_dual_mov_b32 v3, v1
	v_mov_b32_e32 v4, v1
	scratch_store_b128 off, v[1:4], off offset:144
	s_wait_loadcnt 0x0
	ds_store_b128 v136, v[5:8]
.LBB108_267:
	s_wait_alu 0xfffe
	s_or_b32 exec_lo, exec_lo, s0
	s_wait_storecnt_dscnt 0x0
	s_barrier_signal -1
	s_barrier_wait -1
	global_inv scope:SCOPE_SE
	s_clause 0x8
	scratch_load_b128 v[2:5], off, off offset:160
	scratch_load_b128 v[6:9], off, off offset:176
	;; [unrolled: 1-line block ×9, first 2 shown]
	ds_load_b128 v[38:41], v1 offset:864
	ds_load_b128 v[42:45], v1 offset:880
	s_clause 0x1
	scratch_load_b128 v[137:140], off, off offset:144
	scratch_load_b128 v[141:144], off, off offset:304
	s_mov_b32 s0, exec_lo
	s_wait_loadcnt_dscnt 0xa01
	v_mul_f64_e32 v[145:146], v[40:41], v[4:5]
	v_mul_f64_e32 v[4:5], v[38:39], v[4:5]
	s_wait_loadcnt_dscnt 0x900
	v_mul_f64_e32 v[149:150], v[42:43], v[8:9]
	v_mul_f64_e32 v[8:9], v[44:45], v[8:9]
	s_delay_alu instid0(VALU_DEP_4) | instskip(NEXT) | instid1(VALU_DEP_4)
	v_fma_f64 v[151:152], v[38:39], v[2:3], -v[145:146]
	v_fma_f64 v[153:154], v[40:41], v[2:3], v[4:5]
	ds_load_b128 v[2:5], v1 offset:896
	ds_load_b128 v[145:148], v1 offset:912
	scratch_load_b128 v[38:41], off, off offset:320
	v_fma_f64 v[44:45], v[44:45], v[6:7], v[149:150]
	v_fma_f64 v[42:43], v[42:43], v[6:7], -v[8:9]
	scratch_load_b128 v[6:9], off, off offset:336
	s_wait_loadcnt_dscnt 0xa01
	v_mul_f64_e32 v[155:156], v[2:3], v[12:13]
	v_mul_f64_e32 v[12:13], v[4:5], v[12:13]
	v_add_f64_e32 v[149:150], 0, v[151:152]
	v_add_f64_e32 v[151:152], 0, v[153:154]
	s_wait_loadcnt_dscnt 0x900
	v_mul_f64_e32 v[153:154], v[145:146], v[16:17]
	v_mul_f64_e32 v[16:17], v[147:148], v[16:17]
	v_fma_f64 v[155:156], v[4:5], v[10:11], v[155:156]
	v_fma_f64 v[157:158], v[2:3], v[10:11], -v[12:13]
	ds_load_b128 v[2:5], v1 offset:928
	scratch_load_b128 v[10:13], off, off offset:352
	v_add_f64_e32 v[149:150], v[149:150], v[42:43]
	v_add_f64_e32 v[151:152], v[151:152], v[44:45]
	ds_load_b128 v[42:45], v1 offset:944
	v_fma_f64 v[147:148], v[147:148], v[14:15], v[153:154]
	v_fma_f64 v[145:146], v[145:146], v[14:15], -v[16:17]
	scratch_load_b128 v[14:17], off, off offset:368
	s_wait_loadcnt_dscnt 0xa01
	v_mul_f64_e32 v[159:160], v[2:3], v[20:21]
	v_mul_f64_e32 v[20:21], v[4:5], v[20:21]
	s_wait_loadcnt_dscnt 0x900
	v_mul_f64_e32 v[153:154], v[42:43], v[24:25]
	v_mul_f64_e32 v[24:25], v[44:45], v[24:25]
	v_add_f64_e32 v[149:150], v[149:150], v[157:158]
	v_add_f64_e32 v[151:152], v[151:152], v[155:156]
	v_fma_f64 v[155:156], v[4:5], v[18:19], v[159:160]
	v_fma_f64 v[157:158], v[2:3], v[18:19], -v[20:21]
	ds_load_b128 v[2:5], v1 offset:960
	scratch_load_b128 v[18:21], off, off offset:384
	v_fma_f64 v[44:45], v[44:45], v[22:23], v[153:154]
	v_fma_f64 v[42:43], v[42:43], v[22:23], -v[24:25]
	scratch_load_b128 v[22:25], off, off offset:400
	v_add_f64_e32 v[149:150], v[149:150], v[145:146]
	v_add_f64_e32 v[151:152], v[151:152], v[147:148]
	ds_load_b128 v[145:148], v1 offset:976
	s_wait_loadcnt_dscnt 0xa01
	v_mul_f64_e32 v[159:160], v[2:3], v[28:29]
	v_mul_f64_e32 v[28:29], v[4:5], v[28:29]
	s_wait_loadcnt_dscnt 0x900
	v_mul_f64_e32 v[153:154], v[145:146], v[32:33]
	v_mul_f64_e32 v[32:33], v[147:148], v[32:33]
	v_add_f64_e32 v[149:150], v[149:150], v[157:158]
	v_add_f64_e32 v[151:152], v[151:152], v[155:156]
	v_fma_f64 v[155:156], v[4:5], v[26:27], v[159:160]
	v_fma_f64 v[157:158], v[2:3], v[26:27], -v[28:29]
	ds_load_b128 v[2:5], v1 offset:992
	scratch_load_b128 v[26:29], off, off offset:416
	v_fma_f64 v[147:148], v[147:148], v[30:31], v[153:154]
	v_fma_f64 v[145:146], v[145:146], v[30:31], -v[32:33]
	scratch_load_b128 v[30:33], off, off offset:432
	v_add_f64_e32 v[149:150], v[149:150], v[42:43]
	v_add_f64_e32 v[151:152], v[151:152], v[44:45]
	ds_load_b128 v[42:45], v1 offset:1008
	s_wait_loadcnt_dscnt 0xa01
	v_mul_f64_e32 v[159:160], v[2:3], v[36:37]
	v_mul_f64_e32 v[36:37], v[4:5], v[36:37]
	s_wait_loadcnt_dscnt 0x800
	v_mul_f64_e32 v[153:154], v[42:43], v[143:144]
	v_add_f64_e32 v[149:150], v[149:150], v[157:158]
	v_add_f64_e32 v[151:152], v[151:152], v[155:156]
	v_mul_f64_e32 v[155:156], v[44:45], v[143:144]
	v_fma_f64 v[157:158], v[4:5], v[34:35], v[159:160]
	v_fma_f64 v[159:160], v[2:3], v[34:35], -v[36:37]
	ds_load_b128 v[2:5], v1 offset:1024
	scratch_load_b128 v[34:37], off, off offset:448
	v_fma_f64 v[44:45], v[44:45], v[141:142], v[153:154]
	v_add_f64_e32 v[149:150], v[149:150], v[145:146]
	v_add_f64_e32 v[147:148], v[151:152], v[147:148]
	ds_load_b128 v[143:146], v1 offset:1040
	v_fma_f64 v[141:142], v[42:43], v[141:142], -v[155:156]
	s_wait_loadcnt_dscnt 0x801
	v_mul_f64_e32 v[151:152], v[2:3], v[40:41]
	v_mul_f64_e32 v[161:162], v[4:5], v[40:41]
	scratch_load_b128 v[40:43], off, off offset:464
	s_wait_loadcnt_dscnt 0x800
	v_mul_f64_e32 v[155:156], v[143:144], v[8:9]
	v_mul_f64_e32 v[8:9], v[145:146], v[8:9]
	v_add_f64_e32 v[149:150], v[149:150], v[159:160]
	v_add_f64_e32 v[147:148], v[147:148], v[157:158]
	v_fma_f64 v[157:158], v[4:5], v[38:39], v[151:152]
	v_fma_f64 v[38:39], v[2:3], v[38:39], -v[161:162]
	ds_load_b128 v[2:5], v1 offset:1056
	ds_load_b128 v[151:154], v1 offset:1072
	v_fma_f64 v[145:146], v[145:146], v[6:7], v[155:156]
	v_fma_f64 v[143:144], v[143:144], v[6:7], -v[8:9]
	scratch_load_b128 v[6:9], off, off offset:496
	v_add_f64_e32 v[141:142], v[149:150], v[141:142]
	v_add_f64_e32 v[44:45], v[147:148], v[44:45]
	scratch_load_b128 v[147:150], off, off offset:480
	s_wait_loadcnt_dscnt 0x901
	v_mul_f64_e32 v[159:160], v[2:3], v[12:13]
	v_mul_f64_e32 v[12:13], v[4:5], v[12:13]
	s_wait_loadcnt_dscnt 0x800
	v_mul_f64_e32 v[155:156], v[151:152], v[16:17]
	v_mul_f64_e32 v[16:17], v[153:154], v[16:17]
	v_add_f64_e32 v[38:39], v[141:142], v[38:39]
	v_add_f64_e32 v[44:45], v[44:45], v[157:158]
	v_fma_f64 v[157:158], v[4:5], v[10:11], v[159:160]
	v_fma_f64 v[159:160], v[2:3], v[10:11], -v[12:13]
	ds_load_b128 v[2:5], v1 offset:1088
	scratch_load_b128 v[10:13], off, off offset:512
	v_fma_f64 v[153:154], v[153:154], v[14:15], v[155:156]
	v_fma_f64 v[151:152], v[151:152], v[14:15], -v[16:17]
	scratch_load_b128 v[14:17], off, off offset:528
	v_add_f64_e32 v[38:39], v[38:39], v[143:144]
	v_add_f64_e32 v[44:45], v[44:45], v[145:146]
	ds_load_b128 v[141:144], v1 offset:1104
	s_wait_loadcnt_dscnt 0x901
	v_mul_f64_e32 v[145:146], v[2:3], v[20:21]
	v_mul_f64_e32 v[20:21], v[4:5], v[20:21]
	s_wait_loadcnt_dscnt 0x800
	v_mul_f64_e32 v[155:156], v[141:142], v[24:25]
	v_mul_f64_e32 v[24:25], v[143:144], v[24:25]
	v_add_f64_e32 v[38:39], v[38:39], v[159:160]
	v_add_f64_e32 v[44:45], v[44:45], v[157:158]
	v_fma_f64 v[145:146], v[4:5], v[18:19], v[145:146]
	v_fma_f64 v[157:158], v[2:3], v[18:19], -v[20:21]
	ds_load_b128 v[2:5], v1 offset:1120
	scratch_load_b128 v[18:21], off, off offset:544
	v_fma_f64 v[143:144], v[143:144], v[22:23], v[155:156]
	v_fma_f64 v[141:142], v[141:142], v[22:23], -v[24:25]
	scratch_load_b128 v[22:25], off, off offset:560
	v_add_f64_e32 v[38:39], v[38:39], v[151:152]
	v_add_f64_e32 v[44:45], v[44:45], v[153:154]
	ds_load_b128 v[151:154], v1 offset:1136
	s_wait_loadcnt_dscnt 0x901
	v_mul_f64_e32 v[159:160], v[2:3], v[28:29]
	v_mul_f64_e32 v[28:29], v[4:5], v[28:29]
	v_add_f64_e32 v[38:39], v[38:39], v[157:158]
	v_add_f64_e32 v[44:45], v[44:45], v[145:146]
	s_wait_loadcnt_dscnt 0x800
	v_mul_f64_e32 v[145:146], v[151:152], v[32:33]
	v_mul_f64_e32 v[32:33], v[153:154], v[32:33]
	v_fma_f64 v[155:156], v[4:5], v[26:27], v[159:160]
	v_fma_f64 v[157:158], v[2:3], v[26:27], -v[28:29]
	ds_load_b128 v[2:5], v1 offset:1152
	scratch_load_b128 v[26:29], off, off offset:576
	v_add_f64_e32 v[38:39], v[38:39], v[141:142]
	v_add_f64_e32 v[44:45], v[44:45], v[143:144]
	ds_load_b128 v[141:144], v1 offset:1168
	s_wait_loadcnt_dscnt 0x801
	v_mul_f64_e32 v[159:160], v[2:3], v[36:37]
	v_mul_f64_e32 v[36:37], v[4:5], v[36:37]
	v_fma_f64 v[145:146], v[153:154], v[30:31], v[145:146]
	v_fma_f64 v[151:152], v[151:152], v[30:31], -v[32:33]
	scratch_load_b128 v[30:33], off, off offset:592
	s_wait_loadcnt_dscnt 0x800
	v_mul_f64_e32 v[153:154], v[141:142], v[42:43]
	v_add_f64_e32 v[38:39], v[38:39], v[157:158]
	v_add_f64_e32 v[44:45], v[44:45], v[155:156]
	v_mul_f64_e32 v[155:156], v[143:144], v[42:43]
	v_fma_f64 v[157:158], v[4:5], v[34:35], v[159:160]
	v_fma_f64 v[159:160], v[2:3], v[34:35], -v[36:37]
	ds_load_b128 v[2:5], v1 offset:1184
	scratch_load_b128 v[34:37], off, off offset:608
	v_fma_f64 v[143:144], v[143:144], v[40:41], v[153:154]
	v_add_f64_e32 v[38:39], v[38:39], v[151:152]
	v_add_f64_e32 v[145:146], v[44:45], v[145:146]
	ds_load_b128 v[42:45], v1 offset:1200
	v_fma_f64 v[141:142], v[141:142], v[40:41], -v[155:156]
	s_wait_loadcnt_dscnt 0x701
	v_mul_f64_e32 v[151:152], v[2:3], v[149:150]
	v_mul_f64_e32 v[149:150], v[4:5], v[149:150]
	s_wait_dscnt 0x0
	v_mul_f64_e32 v[155:156], v[42:43], v[8:9]
	v_mul_f64_e32 v[8:9], v[44:45], v[8:9]
	v_add_f64_e32 v[153:154], v[38:39], v[159:160]
	v_add_f64_e32 v[145:146], v[145:146], v[157:158]
	scratch_load_b128 v[38:41], off, off offset:624
	v_fma_f64 v[151:152], v[4:5], v[147:148], v[151:152]
	v_fma_f64 v[149:150], v[2:3], v[147:148], -v[149:150]
	ds_load_b128 v[2:5], v1 offset:1216
	v_fma_f64 v[44:45], v[44:45], v[6:7], v[155:156]
	v_fma_f64 v[42:43], v[42:43], v[6:7], -v[8:9]
	scratch_load_b128 v[6:9], off, off offset:656
	v_add_f64_e32 v[153:154], v[153:154], v[141:142]
	v_add_f64_e32 v[157:158], v[145:146], v[143:144]
	scratch_load_b128 v[141:144], off, off offset:640
	ds_load_b128 v[145:148], v1 offset:1232
	s_wait_loadcnt_dscnt 0x901
	v_mul_f64_e32 v[159:160], v[2:3], v[12:13]
	v_mul_f64_e32 v[12:13], v[4:5], v[12:13]
	v_add_f64_e32 v[149:150], v[153:154], v[149:150]
	v_add_f64_e32 v[151:152], v[157:158], v[151:152]
	s_wait_loadcnt_dscnt 0x800
	v_mul_f64_e32 v[153:154], v[145:146], v[16:17]
	v_mul_f64_e32 v[16:17], v[147:148], v[16:17]
	v_fma_f64 v[155:156], v[4:5], v[10:11], v[159:160]
	v_fma_f64 v[157:158], v[2:3], v[10:11], -v[12:13]
	ds_load_b128 v[2:5], v1 offset:1248
	scratch_load_b128 v[10:13], off, off offset:672
	v_add_f64_e32 v[149:150], v[149:150], v[42:43]
	v_add_f64_e32 v[151:152], v[151:152], v[44:45]
	ds_load_b128 v[42:45], v1 offset:1264
	s_wait_loadcnt_dscnt 0x801
	v_mul_f64_e32 v[159:160], v[2:3], v[20:21]
	v_mul_f64_e32 v[20:21], v[4:5], v[20:21]
	v_fma_f64 v[147:148], v[147:148], v[14:15], v[153:154]
	v_fma_f64 v[145:146], v[145:146], v[14:15], -v[16:17]
	scratch_load_b128 v[14:17], off, off offset:688
	s_wait_loadcnt_dscnt 0x800
	v_mul_f64_e32 v[153:154], v[42:43], v[24:25]
	v_mul_f64_e32 v[24:25], v[44:45], v[24:25]
	v_add_f64_e32 v[149:150], v[149:150], v[157:158]
	v_add_f64_e32 v[151:152], v[151:152], v[155:156]
	v_fma_f64 v[155:156], v[4:5], v[18:19], v[159:160]
	v_fma_f64 v[157:158], v[2:3], v[18:19], -v[20:21]
	ds_load_b128 v[2:5], v1 offset:1280
	scratch_load_b128 v[18:21], off, off offset:704
	v_fma_f64 v[44:45], v[44:45], v[22:23], v[153:154]
	v_fma_f64 v[42:43], v[42:43], v[22:23], -v[24:25]
	scratch_load_b128 v[22:25], off, off offset:720
	v_add_f64_e32 v[149:150], v[149:150], v[145:146]
	v_add_f64_e32 v[151:152], v[151:152], v[147:148]
	ds_load_b128 v[145:148], v1 offset:1296
	s_wait_loadcnt_dscnt 0x901
	v_mul_f64_e32 v[159:160], v[2:3], v[28:29]
	v_mul_f64_e32 v[28:29], v[4:5], v[28:29]
	s_wait_loadcnt_dscnt 0x800
	v_mul_f64_e32 v[153:154], v[145:146], v[32:33]
	v_mul_f64_e32 v[32:33], v[147:148], v[32:33]
	v_add_f64_e32 v[149:150], v[149:150], v[157:158]
	v_add_f64_e32 v[151:152], v[151:152], v[155:156]
	v_fma_f64 v[155:156], v[4:5], v[26:27], v[159:160]
	v_fma_f64 v[157:158], v[2:3], v[26:27], -v[28:29]
	ds_load_b128 v[2:5], v1 offset:1312
	ds_load_b128 v[26:29], v1 offset:1328
	v_fma_f64 v[147:148], v[147:148], v[30:31], v[153:154]
	v_fma_f64 v[30:31], v[145:146], v[30:31], -v[32:33]
	v_add_f64_e32 v[42:43], v[149:150], v[42:43]
	v_add_f64_e32 v[44:45], v[151:152], v[44:45]
	s_wait_loadcnt_dscnt 0x701
	v_mul_f64_e32 v[149:150], v[2:3], v[36:37]
	v_mul_f64_e32 v[36:37], v[4:5], v[36:37]
	s_delay_alu instid0(VALU_DEP_4) | instskip(NEXT) | instid1(VALU_DEP_4)
	v_add_f64_e32 v[32:33], v[42:43], v[157:158]
	v_add_f64_e32 v[42:43], v[44:45], v[155:156]
	s_delay_alu instid0(VALU_DEP_4) | instskip(NEXT) | instid1(VALU_DEP_4)
	v_fma_f64 v[145:146], v[4:5], v[34:35], v[149:150]
	v_fma_f64 v[34:35], v[2:3], v[34:35], -v[36:37]
	s_wait_loadcnt_dscnt 0x600
	v_mul_f64_e32 v[44:45], v[26:27], v[40:41]
	v_mul_f64_e32 v[40:41], v[28:29], v[40:41]
	v_add_f64_e32 v[36:37], v[32:33], v[30:31]
	v_add_f64_e32 v[42:43], v[42:43], v[147:148]
	ds_load_b128 v[2:5], v1 offset:1344
	ds_load_b128 v[30:33], v1 offset:1360
	v_fma_f64 v[28:29], v[28:29], v[38:39], v[44:45]
	v_fma_f64 v[26:27], v[26:27], v[38:39], -v[40:41]
	s_wait_loadcnt_dscnt 0x401
	v_mul_f64_e32 v[147:148], v[2:3], v[143:144]
	v_mul_f64_e32 v[143:144], v[4:5], v[143:144]
	s_wait_dscnt 0x0
	v_mul_f64_e32 v[38:39], v[30:31], v[8:9]
	v_mul_f64_e32 v[8:9], v[32:33], v[8:9]
	v_add_f64_e32 v[34:35], v[36:37], v[34:35]
	v_add_f64_e32 v[36:37], v[42:43], v[145:146]
	v_fma_f64 v[40:41], v[4:5], v[141:142], v[147:148]
	v_fma_f64 v[42:43], v[2:3], v[141:142], -v[143:144]
	v_fma_f64 v[32:33], v[32:33], v[6:7], v[38:39]
	v_fma_f64 v[6:7], v[30:31], v[6:7], -v[8:9]
	v_add_f64_e32 v[34:35], v[34:35], v[26:27]
	v_add_f64_e32 v[36:37], v[36:37], v[28:29]
	ds_load_b128 v[2:5], v1 offset:1376
	ds_load_b128 v[26:29], v1 offset:1392
	s_wait_loadcnt_dscnt 0x301
	v_mul_f64_e32 v[44:45], v[2:3], v[12:13]
	v_mul_f64_e32 v[12:13], v[4:5], v[12:13]
	v_add_f64_e32 v[8:9], v[34:35], v[42:43]
	v_add_f64_e32 v[30:31], v[36:37], v[40:41]
	s_wait_loadcnt_dscnt 0x200
	v_mul_f64_e32 v[34:35], v[26:27], v[16:17]
	v_mul_f64_e32 v[16:17], v[28:29], v[16:17]
	v_fma_f64 v[36:37], v[4:5], v[10:11], v[44:45]
	v_fma_f64 v[10:11], v[2:3], v[10:11], -v[12:13]
	v_add_f64_e32 v[12:13], v[8:9], v[6:7]
	v_add_f64_e32 v[30:31], v[30:31], v[32:33]
	ds_load_b128 v[2:5], v1 offset:1408
	ds_load_b128 v[6:9], v1 offset:1424
	v_fma_f64 v[28:29], v[28:29], v[14:15], v[34:35]
	v_fma_f64 v[14:15], v[26:27], v[14:15], -v[16:17]
	s_wait_loadcnt_dscnt 0x101
	v_mul_f64_e32 v[32:33], v[2:3], v[20:21]
	v_mul_f64_e32 v[20:21], v[4:5], v[20:21]
	s_wait_loadcnt_dscnt 0x0
	v_mul_f64_e32 v[16:17], v[6:7], v[24:25]
	v_mul_f64_e32 v[24:25], v[8:9], v[24:25]
	v_add_f64_e32 v[10:11], v[12:13], v[10:11]
	v_add_f64_e32 v[12:13], v[30:31], v[36:37]
	v_fma_f64 v[4:5], v[4:5], v[18:19], v[32:33]
	v_fma_f64 v[1:2], v[2:3], v[18:19], -v[20:21]
	v_fma_f64 v[8:9], v[8:9], v[22:23], v[16:17]
	v_fma_f64 v[6:7], v[6:7], v[22:23], -v[24:25]
	v_add_f64_e32 v[10:11], v[10:11], v[14:15]
	v_add_f64_e32 v[12:13], v[12:13], v[28:29]
	s_delay_alu instid0(VALU_DEP_2) | instskip(NEXT) | instid1(VALU_DEP_2)
	v_add_f64_e32 v[1:2], v[10:11], v[1:2]
	v_add_f64_e32 v[3:4], v[12:13], v[4:5]
	s_delay_alu instid0(VALU_DEP_2) | instskip(NEXT) | instid1(VALU_DEP_2)
	;; [unrolled: 3-line block ×3, first 2 shown]
	v_add_f64_e64 v[1:2], v[137:138], -v[1:2]
	v_add_f64_e64 v[3:4], v[139:140], -v[3:4]
	scratch_store_b128 off, v[1:4], off offset:144
	v_cmpx_lt_u32_e32 7, v0
	s_cbranch_execz .LBB108_269
; %bb.268:
	scratch_load_b128 v[1:4], off, s51
	v_mov_b32_e32 v5, 0
	s_delay_alu instid0(VALU_DEP_1)
	v_dual_mov_b32 v6, v5 :: v_dual_mov_b32 v7, v5
	v_mov_b32_e32 v8, v5
	scratch_store_b128 off, v[5:8], off offset:128
	s_wait_loadcnt 0x0
	ds_store_b128 v136, v[1:4]
.LBB108_269:
	s_wait_alu 0xfffe
	s_or_b32 exec_lo, exec_lo, s0
	s_wait_storecnt_dscnt 0x0
	s_barrier_signal -1
	s_barrier_wait -1
	global_inv scope:SCOPE_SE
	s_clause 0x7
	scratch_load_b128 v[2:5], off, off offset:144
	scratch_load_b128 v[6:9], off, off offset:160
	;; [unrolled: 1-line block ×8, first 2 shown]
	v_mov_b32_e32 v1, 0
	s_mov_b32 s0, exec_lo
	ds_load_b128 v[38:41], v1 offset:848
	s_clause 0x1
	scratch_load_b128 v[34:37], off, off offset:272
	scratch_load_b128 v[42:45], off, off offset:128
	ds_load_b128 v[137:140], v1 offset:864
	scratch_load_b128 v[141:144], off, off offset:288
	s_wait_loadcnt_dscnt 0xa01
	v_mul_f64_e32 v[145:146], v[40:41], v[4:5]
	v_mul_f64_e32 v[4:5], v[38:39], v[4:5]
	s_delay_alu instid0(VALU_DEP_2) | instskip(NEXT) | instid1(VALU_DEP_2)
	v_fma_f64 v[151:152], v[38:39], v[2:3], -v[145:146]
	v_fma_f64 v[153:154], v[40:41], v[2:3], v[4:5]
	ds_load_b128 v[2:5], v1 offset:880
	s_wait_loadcnt_dscnt 0x901
	v_mul_f64_e32 v[149:150], v[137:138], v[8:9]
	v_mul_f64_e32 v[8:9], v[139:140], v[8:9]
	scratch_load_b128 v[38:41], off, off offset:304
	ds_load_b128 v[145:148], v1 offset:896
	s_wait_loadcnt_dscnt 0x901
	v_mul_f64_e32 v[155:156], v[2:3], v[12:13]
	v_mul_f64_e32 v[12:13], v[4:5], v[12:13]
	v_fma_f64 v[139:140], v[139:140], v[6:7], v[149:150]
	v_fma_f64 v[137:138], v[137:138], v[6:7], -v[8:9]
	v_add_f64_e32 v[149:150], 0, v[151:152]
	v_add_f64_e32 v[151:152], 0, v[153:154]
	scratch_load_b128 v[6:9], off, off offset:320
	v_fma_f64 v[155:156], v[4:5], v[10:11], v[155:156]
	v_fma_f64 v[157:158], v[2:3], v[10:11], -v[12:13]
	ds_load_b128 v[2:5], v1 offset:912
	s_wait_loadcnt_dscnt 0x901
	v_mul_f64_e32 v[153:154], v[145:146], v[16:17]
	v_mul_f64_e32 v[16:17], v[147:148], v[16:17]
	scratch_load_b128 v[10:13], off, off offset:336
	v_add_f64_e32 v[149:150], v[149:150], v[137:138]
	v_add_f64_e32 v[151:152], v[151:152], v[139:140]
	s_wait_loadcnt_dscnt 0x900
	v_mul_f64_e32 v[159:160], v[2:3], v[20:21]
	v_mul_f64_e32 v[20:21], v[4:5], v[20:21]
	ds_load_b128 v[137:140], v1 offset:928
	v_fma_f64 v[147:148], v[147:148], v[14:15], v[153:154]
	v_fma_f64 v[145:146], v[145:146], v[14:15], -v[16:17]
	scratch_load_b128 v[14:17], off, off offset:352
	v_add_f64_e32 v[149:150], v[149:150], v[157:158]
	v_add_f64_e32 v[151:152], v[151:152], v[155:156]
	v_fma_f64 v[155:156], v[4:5], v[18:19], v[159:160]
	v_fma_f64 v[157:158], v[2:3], v[18:19], -v[20:21]
	ds_load_b128 v[2:5], v1 offset:944
	s_wait_loadcnt_dscnt 0x901
	v_mul_f64_e32 v[153:154], v[137:138], v[24:25]
	v_mul_f64_e32 v[24:25], v[139:140], v[24:25]
	scratch_load_b128 v[18:21], off, off offset:368
	s_wait_loadcnt_dscnt 0x900
	v_mul_f64_e32 v[159:160], v[2:3], v[28:29]
	v_mul_f64_e32 v[28:29], v[4:5], v[28:29]
	v_add_f64_e32 v[149:150], v[149:150], v[145:146]
	v_add_f64_e32 v[151:152], v[151:152], v[147:148]
	ds_load_b128 v[145:148], v1 offset:960
	v_fma_f64 v[139:140], v[139:140], v[22:23], v[153:154]
	v_fma_f64 v[137:138], v[137:138], v[22:23], -v[24:25]
	scratch_load_b128 v[22:25], off, off offset:384
	v_add_f64_e32 v[149:150], v[149:150], v[157:158]
	v_add_f64_e32 v[151:152], v[151:152], v[155:156]
	v_fma_f64 v[155:156], v[4:5], v[26:27], v[159:160]
	v_fma_f64 v[157:158], v[2:3], v[26:27], -v[28:29]
	ds_load_b128 v[2:5], v1 offset:976
	s_wait_loadcnt_dscnt 0x901
	v_mul_f64_e32 v[153:154], v[145:146], v[32:33]
	v_mul_f64_e32 v[32:33], v[147:148], v[32:33]
	scratch_load_b128 v[26:29], off, off offset:400
	s_wait_loadcnt_dscnt 0x900
	v_mul_f64_e32 v[159:160], v[2:3], v[36:37]
	v_mul_f64_e32 v[36:37], v[4:5], v[36:37]
	v_add_f64_e32 v[149:150], v[149:150], v[137:138]
	v_add_f64_e32 v[151:152], v[151:152], v[139:140]
	ds_load_b128 v[137:140], v1 offset:992
	v_fma_f64 v[147:148], v[147:148], v[30:31], v[153:154]
	v_fma_f64 v[145:146], v[145:146], v[30:31], -v[32:33]
	scratch_load_b128 v[30:33], off, off offset:416
	v_add_f64_e32 v[149:150], v[149:150], v[157:158]
	v_add_f64_e32 v[151:152], v[151:152], v[155:156]
	v_fma_f64 v[157:158], v[4:5], v[34:35], v[159:160]
	v_fma_f64 v[159:160], v[2:3], v[34:35], -v[36:37]
	ds_load_b128 v[2:5], v1 offset:1008
	s_wait_loadcnt_dscnt 0x801
	v_mul_f64_e32 v[153:154], v[137:138], v[143:144]
	v_mul_f64_e32 v[155:156], v[139:140], v[143:144]
	scratch_load_b128 v[34:37], off, off offset:432
	v_add_f64_e32 v[149:150], v[149:150], v[145:146]
	v_add_f64_e32 v[147:148], v[151:152], v[147:148]
	ds_load_b128 v[143:146], v1 offset:1024
	v_fma_f64 v[153:154], v[139:140], v[141:142], v[153:154]
	v_fma_f64 v[141:142], v[137:138], v[141:142], -v[155:156]
	scratch_load_b128 v[137:140], off, off offset:448
	s_wait_loadcnt_dscnt 0x901
	v_mul_f64_e32 v[151:152], v[2:3], v[40:41]
	v_mul_f64_e32 v[40:41], v[4:5], v[40:41]
	v_add_f64_e32 v[149:150], v[149:150], v[159:160]
	v_add_f64_e32 v[147:148], v[147:148], v[157:158]
	s_delay_alu instid0(VALU_DEP_4) | instskip(NEXT) | instid1(VALU_DEP_4)
	v_fma_f64 v[151:152], v[4:5], v[38:39], v[151:152]
	v_fma_f64 v[157:158], v[2:3], v[38:39], -v[40:41]
	ds_load_b128 v[2:5], v1 offset:1040
	s_wait_loadcnt_dscnt 0x801
	v_mul_f64_e32 v[155:156], v[143:144], v[8:9]
	v_mul_f64_e32 v[8:9], v[145:146], v[8:9]
	scratch_load_b128 v[38:41], off, off offset:464
	s_wait_loadcnt_dscnt 0x800
	v_mul_f64_e32 v[159:160], v[2:3], v[12:13]
	v_add_f64_e32 v[141:142], v[149:150], v[141:142]
	v_add_f64_e32 v[153:154], v[147:148], v[153:154]
	v_mul_f64_e32 v[12:13], v[4:5], v[12:13]
	ds_load_b128 v[147:150], v1 offset:1056
	v_fma_f64 v[145:146], v[145:146], v[6:7], v[155:156]
	v_fma_f64 v[143:144], v[143:144], v[6:7], -v[8:9]
	scratch_load_b128 v[6:9], off, off offset:480
	v_fma_f64 v[155:156], v[4:5], v[10:11], v[159:160]
	v_add_f64_e32 v[141:142], v[141:142], v[157:158]
	v_add_f64_e32 v[151:152], v[153:154], v[151:152]
	v_fma_f64 v[157:158], v[2:3], v[10:11], -v[12:13]
	ds_load_b128 v[2:5], v1 offset:1072
	s_wait_loadcnt_dscnt 0x801
	v_mul_f64_e32 v[153:154], v[147:148], v[16:17]
	v_mul_f64_e32 v[16:17], v[149:150], v[16:17]
	scratch_load_b128 v[10:13], off, off offset:496
	v_add_f64_e32 v[159:160], v[141:142], v[143:144]
	v_add_f64_e32 v[145:146], v[151:152], v[145:146]
	s_wait_loadcnt_dscnt 0x800
	v_mul_f64_e32 v[151:152], v[2:3], v[20:21]
	v_mul_f64_e32 v[20:21], v[4:5], v[20:21]
	v_fma_f64 v[149:150], v[149:150], v[14:15], v[153:154]
	v_fma_f64 v[147:148], v[147:148], v[14:15], -v[16:17]
	ds_load_b128 v[141:144], v1 offset:1088
	scratch_load_b128 v[14:17], off, off offset:512
	v_add_f64_e32 v[153:154], v[159:160], v[157:158]
	v_add_f64_e32 v[145:146], v[145:146], v[155:156]
	v_fma_f64 v[151:152], v[4:5], v[18:19], v[151:152]
	v_fma_f64 v[157:158], v[2:3], v[18:19], -v[20:21]
	ds_load_b128 v[2:5], v1 offset:1104
	s_wait_loadcnt_dscnt 0x801
	v_mul_f64_e32 v[155:156], v[141:142], v[24:25]
	v_mul_f64_e32 v[24:25], v[143:144], v[24:25]
	scratch_load_b128 v[18:21], off, off offset:528
	s_wait_loadcnt_dscnt 0x800
	v_mul_f64_e32 v[159:160], v[2:3], v[28:29]
	v_mul_f64_e32 v[28:29], v[4:5], v[28:29]
	v_add_f64_e32 v[153:154], v[153:154], v[147:148]
	v_add_f64_e32 v[149:150], v[145:146], v[149:150]
	ds_load_b128 v[145:148], v1 offset:1120
	v_fma_f64 v[143:144], v[143:144], v[22:23], v[155:156]
	v_fma_f64 v[141:142], v[141:142], v[22:23], -v[24:25]
	scratch_load_b128 v[22:25], off, off offset:544
	v_fma_f64 v[155:156], v[4:5], v[26:27], v[159:160]
	v_add_f64_e32 v[153:154], v[153:154], v[157:158]
	v_add_f64_e32 v[149:150], v[149:150], v[151:152]
	v_fma_f64 v[157:158], v[2:3], v[26:27], -v[28:29]
	ds_load_b128 v[2:5], v1 offset:1136
	s_wait_loadcnt_dscnt 0x801
	v_mul_f64_e32 v[151:152], v[145:146], v[32:33]
	v_mul_f64_e32 v[32:33], v[147:148], v[32:33]
	scratch_load_b128 v[26:29], off, off offset:560
	s_wait_loadcnt_dscnt 0x800
	v_mul_f64_e32 v[159:160], v[2:3], v[36:37]
	v_mul_f64_e32 v[36:37], v[4:5], v[36:37]
	v_add_f64_e32 v[153:154], v[153:154], v[141:142]
	v_add_f64_e32 v[149:150], v[149:150], v[143:144]
	ds_load_b128 v[141:144], v1 offset:1152
	v_fma_f64 v[147:148], v[147:148], v[30:31], v[151:152]
	v_fma_f64 v[145:146], v[145:146], v[30:31], -v[32:33]
	scratch_load_b128 v[30:33], off, off offset:576
	v_add_f64_e32 v[151:152], v[153:154], v[157:158]
	v_add_f64_e32 v[149:150], v[149:150], v[155:156]
	v_fma_f64 v[155:156], v[4:5], v[34:35], v[159:160]
	v_fma_f64 v[157:158], v[2:3], v[34:35], -v[36:37]
	ds_load_b128 v[2:5], v1 offset:1168
	s_wait_loadcnt_dscnt 0x801
	v_mul_f64_e32 v[153:154], v[141:142], v[139:140]
	v_mul_f64_e32 v[139:140], v[143:144], v[139:140]
	scratch_load_b128 v[34:37], off, off offset:592
	s_wait_loadcnt_dscnt 0x800
	v_mul_f64_e32 v[159:160], v[2:3], v[40:41]
	v_mul_f64_e32 v[40:41], v[4:5], v[40:41]
	v_add_f64_e32 v[151:152], v[151:152], v[145:146]
	v_add_f64_e32 v[149:150], v[149:150], v[147:148]
	ds_load_b128 v[145:148], v1 offset:1184
	v_fma_f64 v[143:144], v[143:144], v[137:138], v[153:154]
	v_fma_f64 v[141:142], v[141:142], v[137:138], -v[139:140]
	scratch_load_b128 v[137:140], off, off offset:608
	v_add_f64_e32 v[151:152], v[151:152], v[157:158]
	v_add_f64_e32 v[149:150], v[149:150], v[155:156]
	v_fma_f64 v[155:156], v[4:5], v[38:39], v[159:160]
	;; [unrolled: 18-line block ×5, first 2 shown]
	v_fma_f64 v[157:158], v[2:3], v[26:27], -v[28:29]
	ds_load_b128 v[2:5], v1 offset:1296
	s_wait_loadcnt_dscnt 0x801
	v_mul_f64_e32 v[153:154], v[141:142], v[32:33]
	v_mul_f64_e32 v[32:33], v[143:144], v[32:33]
	scratch_load_b128 v[26:29], off, off offset:720
	s_wait_loadcnt_dscnt 0x800
	v_mul_f64_e32 v[159:160], v[2:3], v[36:37]
	v_mul_f64_e32 v[36:37], v[4:5], v[36:37]
	v_add_f64_e32 v[151:152], v[151:152], v[145:146]
	v_add_f64_e32 v[149:150], v[149:150], v[147:148]
	ds_load_b128 v[145:148], v1 offset:1312
	v_fma_f64 v[143:144], v[143:144], v[30:31], v[153:154]
	v_fma_f64 v[30:31], v[141:142], v[30:31], -v[32:33]
	v_add_f64_e32 v[32:33], v[151:152], v[157:158]
	v_add_f64_e32 v[141:142], v[149:150], v[155:156]
	s_wait_loadcnt_dscnt 0x700
	v_mul_f64_e32 v[149:150], v[145:146], v[139:140]
	v_mul_f64_e32 v[139:140], v[147:148], v[139:140]
	v_fma_f64 v[151:152], v[4:5], v[34:35], v[159:160]
	v_fma_f64 v[34:35], v[2:3], v[34:35], -v[36:37]
	v_add_f64_e32 v[36:37], v[32:33], v[30:31]
	v_add_f64_e32 v[141:142], v[141:142], v[143:144]
	ds_load_b128 v[2:5], v1 offset:1328
	ds_load_b128 v[30:33], v1 offset:1344
	v_fma_f64 v[147:148], v[147:148], v[137:138], v[149:150]
	v_fma_f64 v[137:138], v[145:146], v[137:138], -v[139:140]
	s_wait_loadcnt_dscnt 0x601
	v_mul_f64_e32 v[143:144], v[2:3], v[40:41]
	v_mul_f64_e32 v[40:41], v[4:5], v[40:41]
	s_wait_loadcnt_dscnt 0x500
	v_mul_f64_e32 v[139:140], v[30:31], v[8:9]
	v_mul_f64_e32 v[8:9], v[32:33], v[8:9]
	v_add_f64_e32 v[34:35], v[36:37], v[34:35]
	v_add_f64_e32 v[36:37], v[141:142], v[151:152]
	v_fma_f64 v[141:142], v[4:5], v[38:39], v[143:144]
	v_fma_f64 v[38:39], v[2:3], v[38:39], -v[40:41]
	v_fma_f64 v[32:33], v[32:33], v[6:7], v[139:140]
	v_fma_f64 v[6:7], v[30:31], v[6:7], -v[8:9]
	v_add_f64_e32 v[40:41], v[34:35], v[137:138]
	v_add_f64_e32 v[137:138], v[36:37], v[147:148]
	ds_load_b128 v[2:5], v1 offset:1360
	ds_load_b128 v[34:37], v1 offset:1376
	s_wait_loadcnt_dscnt 0x401
	v_mul_f64_e32 v[143:144], v[2:3], v[12:13]
	v_mul_f64_e32 v[12:13], v[4:5], v[12:13]
	v_add_f64_e32 v[8:9], v[40:41], v[38:39]
	v_add_f64_e32 v[30:31], v[137:138], v[141:142]
	s_wait_loadcnt_dscnt 0x300
	v_mul_f64_e32 v[38:39], v[34:35], v[16:17]
	v_mul_f64_e32 v[16:17], v[36:37], v[16:17]
	v_fma_f64 v[40:41], v[4:5], v[10:11], v[143:144]
	v_fma_f64 v[10:11], v[2:3], v[10:11], -v[12:13]
	v_add_f64_e32 v[12:13], v[8:9], v[6:7]
	v_add_f64_e32 v[30:31], v[30:31], v[32:33]
	ds_load_b128 v[2:5], v1 offset:1392
	ds_load_b128 v[6:9], v1 offset:1408
	v_fma_f64 v[36:37], v[36:37], v[14:15], v[38:39]
	v_fma_f64 v[14:15], v[34:35], v[14:15], -v[16:17]
	s_wait_loadcnt_dscnt 0x201
	v_mul_f64_e32 v[32:33], v[2:3], v[20:21]
	v_mul_f64_e32 v[20:21], v[4:5], v[20:21]
	s_wait_loadcnt_dscnt 0x100
	v_mul_f64_e32 v[16:17], v[6:7], v[24:25]
	v_mul_f64_e32 v[24:25], v[8:9], v[24:25]
	v_add_f64_e32 v[10:11], v[12:13], v[10:11]
	v_add_f64_e32 v[12:13], v[30:31], v[40:41]
	v_fma_f64 v[30:31], v[4:5], v[18:19], v[32:33]
	v_fma_f64 v[18:19], v[2:3], v[18:19], -v[20:21]
	ds_load_b128 v[2:5], v1 offset:1424
	v_fma_f64 v[8:9], v[8:9], v[22:23], v[16:17]
	v_fma_f64 v[6:7], v[6:7], v[22:23], -v[24:25]
	v_add_f64_e32 v[10:11], v[10:11], v[14:15]
	v_add_f64_e32 v[12:13], v[12:13], v[36:37]
	s_wait_loadcnt_dscnt 0x0
	v_mul_f64_e32 v[14:15], v[2:3], v[28:29]
	v_mul_f64_e32 v[20:21], v[4:5], v[28:29]
	s_delay_alu instid0(VALU_DEP_4) | instskip(NEXT) | instid1(VALU_DEP_4)
	v_add_f64_e32 v[10:11], v[10:11], v[18:19]
	v_add_f64_e32 v[12:13], v[12:13], v[30:31]
	s_delay_alu instid0(VALU_DEP_4) | instskip(NEXT) | instid1(VALU_DEP_4)
	v_fma_f64 v[4:5], v[4:5], v[26:27], v[14:15]
	v_fma_f64 v[2:3], v[2:3], v[26:27], -v[20:21]
	s_delay_alu instid0(VALU_DEP_4) | instskip(NEXT) | instid1(VALU_DEP_4)
	v_add_f64_e32 v[6:7], v[10:11], v[6:7]
	v_add_f64_e32 v[8:9], v[12:13], v[8:9]
	s_delay_alu instid0(VALU_DEP_2) | instskip(NEXT) | instid1(VALU_DEP_2)
	v_add_f64_e32 v[2:3], v[6:7], v[2:3]
	v_add_f64_e32 v[4:5], v[8:9], v[4:5]
	s_delay_alu instid0(VALU_DEP_2) | instskip(NEXT) | instid1(VALU_DEP_2)
	v_add_f64_e64 v[2:3], v[42:43], -v[2:3]
	v_add_f64_e64 v[4:5], v[44:45], -v[4:5]
	scratch_store_b128 off, v[2:5], off offset:128
	v_cmpx_lt_u32_e32 6, v0
	s_cbranch_execz .LBB108_271
; %bb.270:
	scratch_load_b128 v[5:8], off, s52
	v_dual_mov_b32 v2, v1 :: v_dual_mov_b32 v3, v1
	v_mov_b32_e32 v4, v1
	scratch_store_b128 off, v[1:4], off offset:112
	s_wait_loadcnt 0x0
	ds_store_b128 v136, v[5:8]
.LBB108_271:
	s_wait_alu 0xfffe
	s_or_b32 exec_lo, exec_lo, s0
	s_wait_storecnt_dscnt 0x0
	s_barrier_signal -1
	s_barrier_wait -1
	global_inv scope:SCOPE_SE
	s_clause 0x8
	scratch_load_b128 v[2:5], off, off offset:128
	scratch_load_b128 v[6:9], off, off offset:144
	;; [unrolled: 1-line block ×9, first 2 shown]
	ds_load_b128 v[42:45], v1 offset:832
	ds_load_b128 v[38:41], v1 offset:848
	s_clause 0x1
	scratch_load_b128 v[137:140], off, off offset:112
	scratch_load_b128 v[141:144], off, off offset:272
	s_mov_b32 s0, exec_lo
	s_wait_loadcnt_dscnt 0xa01
	v_mul_f64_e32 v[145:146], v[44:45], v[4:5]
	v_mul_f64_e32 v[4:5], v[42:43], v[4:5]
	s_wait_loadcnt_dscnt 0x900
	v_mul_f64_e32 v[149:150], v[38:39], v[8:9]
	v_mul_f64_e32 v[8:9], v[40:41], v[8:9]
	s_delay_alu instid0(VALU_DEP_4) | instskip(NEXT) | instid1(VALU_DEP_4)
	v_fma_f64 v[151:152], v[42:43], v[2:3], -v[145:146]
	v_fma_f64 v[153:154], v[44:45], v[2:3], v[4:5]
	ds_load_b128 v[2:5], v1 offset:864
	ds_load_b128 v[145:148], v1 offset:880
	scratch_load_b128 v[42:45], off, off offset:288
	v_fma_f64 v[40:41], v[40:41], v[6:7], v[149:150]
	v_fma_f64 v[38:39], v[38:39], v[6:7], -v[8:9]
	scratch_load_b128 v[6:9], off, off offset:304
	s_wait_loadcnt_dscnt 0xa01
	v_mul_f64_e32 v[155:156], v[2:3], v[12:13]
	v_mul_f64_e32 v[12:13], v[4:5], v[12:13]
	v_add_f64_e32 v[149:150], 0, v[151:152]
	v_add_f64_e32 v[151:152], 0, v[153:154]
	s_wait_loadcnt_dscnt 0x900
	v_mul_f64_e32 v[153:154], v[145:146], v[16:17]
	v_mul_f64_e32 v[16:17], v[147:148], v[16:17]
	v_fma_f64 v[155:156], v[4:5], v[10:11], v[155:156]
	v_fma_f64 v[157:158], v[2:3], v[10:11], -v[12:13]
	ds_load_b128 v[2:5], v1 offset:896
	scratch_load_b128 v[10:13], off, off offset:320
	v_add_f64_e32 v[149:150], v[149:150], v[38:39]
	v_add_f64_e32 v[151:152], v[151:152], v[40:41]
	ds_load_b128 v[38:41], v1 offset:912
	v_fma_f64 v[147:148], v[147:148], v[14:15], v[153:154]
	v_fma_f64 v[145:146], v[145:146], v[14:15], -v[16:17]
	scratch_load_b128 v[14:17], off, off offset:336
	s_wait_loadcnt_dscnt 0xa01
	v_mul_f64_e32 v[159:160], v[2:3], v[20:21]
	v_mul_f64_e32 v[20:21], v[4:5], v[20:21]
	s_wait_loadcnt_dscnt 0x900
	v_mul_f64_e32 v[153:154], v[38:39], v[24:25]
	v_mul_f64_e32 v[24:25], v[40:41], v[24:25]
	v_add_f64_e32 v[149:150], v[149:150], v[157:158]
	v_add_f64_e32 v[151:152], v[151:152], v[155:156]
	v_fma_f64 v[155:156], v[4:5], v[18:19], v[159:160]
	v_fma_f64 v[157:158], v[2:3], v[18:19], -v[20:21]
	ds_load_b128 v[2:5], v1 offset:928
	scratch_load_b128 v[18:21], off, off offset:352
	v_fma_f64 v[40:41], v[40:41], v[22:23], v[153:154]
	v_fma_f64 v[38:39], v[38:39], v[22:23], -v[24:25]
	scratch_load_b128 v[22:25], off, off offset:368
	v_add_f64_e32 v[149:150], v[149:150], v[145:146]
	v_add_f64_e32 v[151:152], v[151:152], v[147:148]
	ds_load_b128 v[145:148], v1 offset:944
	s_wait_loadcnt_dscnt 0xa01
	v_mul_f64_e32 v[159:160], v[2:3], v[28:29]
	v_mul_f64_e32 v[28:29], v[4:5], v[28:29]
	s_wait_loadcnt_dscnt 0x900
	v_mul_f64_e32 v[153:154], v[145:146], v[32:33]
	v_mul_f64_e32 v[32:33], v[147:148], v[32:33]
	v_add_f64_e32 v[149:150], v[149:150], v[157:158]
	v_add_f64_e32 v[151:152], v[151:152], v[155:156]
	v_fma_f64 v[155:156], v[4:5], v[26:27], v[159:160]
	v_fma_f64 v[157:158], v[2:3], v[26:27], -v[28:29]
	ds_load_b128 v[2:5], v1 offset:960
	scratch_load_b128 v[26:29], off, off offset:384
	v_fma_f64 v[147:148], v[147:148], v[30:31], v[153:154]
	v_fma_f64 v[145:146], v[145:146], v[30:31], -v[32:33]
	scratch_load_b128 v[30:33], off, off offset:400
	v_add_f64_e32 v[149:150], v[149:150], v[38:39]
	v_add_f64_e32 v[151:152], v[151:152], v[40:41]
	ds_load_b128 v[38:41], v1 offset:976
	s_wait_loadcnt_dscnt 0xa01
	v_mul_f64_e32 v[159:160], v[2:3], v[36:37]
	v_mul_f64_e32 v[36:37], v[4:5], v[36:37]
	s_wait_loadcnt_dscnt 0x800
	v_mul_f64_e32 v[153:154], v[38:39], v[143:144]
	v_add_f64_e32 v[149:150], v[149:150], v[157:158]
	v_add_f64_e32 v[151:152], v[151:152], v[155:156]
	v_mul_f64_e32 v[155:156], v[40:41], v[143:144]
	v_fma_f64 v[157:158], v[4:5], v[34:35], v[159:160]
	v_fma_f64 v[159:160], v[2:3], v[34:35], -v[36:37]
	ds_load_b128 v[2:5], v1 offset:992
	scratch_load_b128 v[34:37], off, off offset:416
	v_fma_f64 v[153:154], v[40:41], v[141:142], v[153:154]
	v_add_f64_e32 v[149:150], v[149:150], v[145:146]
	v_add_f64_e32 v[147:148], v[151:152], v[147:148]
	ds_load_b128 v[143:146], v1 offset:1008
	v_fma_f64 v[141:142], v[38:39], v[141:142], -v[155:156]
	scratch_load_b128 v[38:41], off, off offset:432
	s_wait_loadcnt_dscnt 0x901
	v_mul_f64_e32 v[151:152], v[2:3], v[44:45]
	v_mul_f64_e32 v[44:45], v[4:5], v[44:45]
	s_wait_loadcnt_dscnt 0x800
	v_mul_f64_e32 v[155:156], v[143:144], v[8:9]
	v_mul_f64_e32 v[8:9], v[145:146], v[8:9]
	v_add_f64_e32 v[149:150], v[149:150], v[159:160]
	v_add_f64_e32 v[147:148], v[147:148], v[157:158]
	v_fma_f64 v[151:152], v[4:5], v[42:43], v[151:152]
	v_fma_f64 v[157:158], v[2:3], v[42:43], -v[44:45]
	ds_load_b128 v[2:5], v1 offset:1024
	scratch_load_b128 v[42:45], off, off offset:448
	v_fma_f64 v[145:146], v[145:146], v[6:7], v[155:156]
	v_fma_f64 v[143:144], v[143:144], v[6:7], -v[8:9]
	scratch_load_b128 v[6:9], off, off offset:464
	v_add_f64_e32 v[141:142], v[149:150], v[141:142]
	v_add_f64_e32 v[153:154], v[147:148], v[153:154]
	ds_load_b128 v[147:150], v1 offset:1040
	s_wait_loadcnt_dscnt 0x901
	v_mul_f64_e32 v[159:160], v[2:3], v[12:13]
	v_mul_f64_e32 v[12:13], v[4:5], v[12:13]
	v_add_f64_e32 v[141:142], v[141:142], v[157:158]
	v_add_f64_e32 v[151:152], v[153:154], v[151:152]
	s_wait_loadcnt_dscnt 0x800
	v_mul_f64_e32 v[153:154], v[147:148], v[16:17]
	v_mul_f64_e32 v[16:17], v[149:150], v[16:17]
	v_fma_f64 v[155:156], v[4:5], v[10:11], v[159:160]
	v_fma_f64 v[157:158], v[2:3], v[10:11], -v[12:13]
	ds_load_b128 v[2:5], v1 offset:1056
	scratch_load_b128 v[10:13], off, off offset:480
	v_add_f64_e32 v[159:160], v[141:142], v[143:144]
	v_add_f64_e32 v[145:146], v[151:152], v[145:146]
	ds_load_b128 v[141:144], v1 offset:1072
	s_wait_loadcnt_dscnt 0x801
	v_mul_f64_e32 v[151:152], v[2:3], v[20:21]
	v_mul_f64_e32 v[20:21], v[4:5], v[20:21]
	v_fma_f64 v[149:150], v[149:150], v[14:15], v[153:154]
	v_fma_f64 v[147:148], v[147:148], v[14:15], -v[16:17]
	scratch_load_b128 v[14:17], off, off offset:496
	v_add_f64_e32 v[153:154], v[159:160], v[157:158]
	v_add_f64_e32 v[145:146], v[145:146], v[155:156]
	s_wait_loadcnt_dscnt 0x800
	v_mul_f64_e32 v[155:156], v[141:142], v[24:25]
	v_mul_f64_e32 v[24:25], v[143:144], v[24:25]
	v_fma_f64 v[151:152], v[4:5], v[18:19], v[151:152]
	v_fma_f64 v[157:158], v[2:3], v[18:19], -v[20:21]
	ds_load_b128 v[2:5], v1 offset:1088
	scratch_load_b128 v[18:21], off, off offset:512
	v_add_f64_e32 v[153:154], v[153:154], v[147:148]
	v_add_f64_e32 v[149:150], v[145:146], v[149:150]
	ds_load_b128 v[145:148], v1 offset:1104
	s_wait_loadcnt_dscnt 0x801
	v_mul_f64_e32 v[159:160], v[2:3], v[28:29]
	v_mul_f64_e32 v[28:29], v[4:5], v[28:29]
	v_fma_f64 v[143:144], v[143:144], v[22:23], v[155:156]
	v_fma_f64 v[141:142], v[141:142], v[22:23], -v[24:25]
	scratch_load_b128 v[22:25], off, off offset:528
	;; [unrolled: 18-line block ×4, first 2 shown]
	s_wait_loadcnt_dscnt 0x800
	v_mul_f64_e32 v[153:154], v[145:146], v[8:9]
	v_mul_f64_e32 v[8:9], v[147:148], v[8:9]
	v_add_f64_e32 v[151:152], v[151:152], v[157:158]
	v_add_f64_e32 v[149:150], v[149:150], v[155:156]
	v_fma_f64 v[155:156], v[4:5], v[42:43], v[159:160]
	v_fma_f64 v[157:158], v[2:3], v[42:43], -v[44:45]
	ds_load_b128 v[2:5], v1 offset:1184
	scratch_load_b128 v[42:45], off, off offset:608
	v_fma_f64 v[147:148], v[147:148], v[6:7], v[153:154]
	v_fma_f64 v[145:146], v[145:146], v[6:7], -v[8:9]
	scratch_load_b128 v[6:9], off, off offset:624
	v_add_f64_e32 v[151:152], v[151:152], v[141:142]
	v_add_f64_e32 v[149:150], v[149:150], v[143:144]
	ds_load_b128 v[141:144], v1 offset:1200
	s_wait_loadcnt_dscnt 0x901
	v_mul_f64_e32 v[159:160], v[2:3], v[12:13]
	v_mul_f64_e32 v[12:13], v[4:5], v[12:13]
	s_wait_loadcnt_dscnt 0x800
	v_mul_f64_e32 v[153:154], v[141:142], v[16:17]
	v_mul_f64_e32 v[16:17], v[143:144], v[16:17]
	v_add_f64_e32 v[151:152], v[151:152], v[157:158]
	v_add_f64_e32 v[149:150], v[149:150], v[155:156]
	v_fma_f64 v[155:156], v[4:5], v[10:11], v[159:160]
	v_fma_f64 v[157:158], v[2:3], v[10:11], -v[12:13]
	ds_load_b128 v[2:5], v1 offset:1216
	scratch_load_b128 v[10:13], off, off offset:640
	v_fma_f64 v[143:144], v[143:144], v[14:15], v[153:154]
	v_fma_f64 v[141:142], v[141:142], v[14:15], -v[16:17]
	scratch_load_b128 v[14:17], off, off offset:656
	v_add_f64_e32 v[151:152], v[151:152], v[145:146]
	v_add_f64_e32 v[149:150], v[149:150], v[147:148]
	ds_load_b128 v[145:148], v1 offset:1232
	s_wait_loadcnt_dscnt 0x901
	v_mul_f64_e32 v[159:160], v[2:3], v[20:21]
	v_mul_f64_e32 v[20:21], v[4:5], v[20:21]
	s_wait_loadcnt_dscnt 0x800
	v_mul_f64_e32 v[153:154], v[145:146], v[24:25]
	v_mul_f64_e32 v[24:25], v[147:148], v[24:25]
	v_add_f64_e32 v[151:152], v[151:152], v[157:158]
	v_add_f64_e32 v[149:150], v[149:150], v[155:156]
	v_fma_f64 v[155:156], v[4:5], v[18:19], v[159:160]
	v_fma_f64 v[157:158], v[2:3], v[18:19], -v[20:21]
	ds_load_b128 v[2:5], v1 offset:1248
	scratch_load_b128 v[18:21], off, off offset:672
	v_fma_f64 v[147:148], v[147:148], v[22:23], v[153:154]
	v_fma_f64 v[145:146], v[145:146], v[22:23], -v[24:25]
	scratch_load_b128 v[22:25], off, off offset:688
	v_add_f64_e32 v[151:152], v[151:152], v[141:142]
	v_add_f64_e32 v[149:150], v[149:150], v[143:144]
	ds_load_b128 v[141:144], v1 offset:1264
	s_wait_loadcnt_dscnt 0x901
	v_mul_f64_e32 v[159:160], v[2:3], v[28:29]
	v_mul_f64_e32 v[28:29], v[4:5], v[28:29]
	s_wait_loadcnt_dscnt 0x800
	v_mul_f64_e32 v[153:154], v[141:142], v[32:33]
	v_mul_f64_e32 v[32:33], v[143:144], v[32:33]
	v_add_f64_e32 v[151:152], v[151:152], v[157:158]
	v_add_f64_e32 v[149:150], v[149:150], v[155:156]
	v_fma_f64 v[155:156], v[4:5], v[26:27], v[159:160]
	v_fma_f64 v[157:158], v[2:3], v[26:27], -v[28:29]
	ds_load_b128 v[2:5], v1 offset:1280
	scratch_load_b128 v[26:29], off, off offset:704
	v_fma_f64 v[143:144], v[143:144], v[30:31], v[153:154]
	v_fma_f64 v[141:142], v[141:142], v[30:31], -v[32:33]
	scratch_load_b128 v[30:33], off, off offset:720
	v_add_f64_e32 v[151:152], v[151:152], v[145:146]
	v_add_f64_e32 v[149:150], v[149:150], v[147:148]
	ds_load_b128 v[145:148], v1 offset:1296
	s_wait_loadcnt_dscnt 0x901
	v_mul_f64_e32 v[159:160], v[2:3], v[36:37]
	v_mul_f64_e32 v[36:37], v[4:5], v[36:37]
	s_wait_loadcnt_dscnt 0x800
	v_mul_f64_e32 v[153:154], v[145:146], v[40:41]
	v_mul_f64_e32 v[40:41], v[147:148], v[40:41]
	v_add_f64_e32 v[151:152], v[151:152], v[157:158]
	v_add_f64_e32 v[149:150], v[149:150], v[155:156]
	v_fma_f64 v[155:156], v[4:5], v[34:35], v[159:160]
	v_fma_f64 v[157:158], v[2:3], v[34:35], -v[36:37]
	ds_load_b128 v[2:5], v1 offset:1312
	ds_load_b128 v[34:37], v1 offset:1328
	v_fma_f64 v[147:148], v[147:148], v[38:39], v[153:154]
	v_fma_f64 v[38:39], v[145:146], v[38:39], -v[40:41]
	v_add_f64_e32 v[141:142], v[151:152], v[141:142]
	v_add_f64_e32 v[143:144], v[149:150], v[143:144]
	s_wait_loadcnt_dscnt 0x701
	v_mul_f64_e32 v[149:150], v[2:3], v[44:45]
	v_mul_f64_e32 v[44:45], v[4:5], v[44:45]
	s_delay_alu instid0(VALU_DEP_4) | instskip(NEXT) | instid1(VALU_DEP_4)
	v_add_f64_e32 v[40:41], v[141:142], v[157:158]
	v_add_f64_e32 v[141:142], v[143:144], v[155:156]
	s_wait_loadcnt_dscnt 0x600
	v_mul_f64_e32 v[143:144], v[34:35], v[8:9]
	v_mul_f64_e32 v[8:9], v[36:37], v[8:9]
	v_fma_f64 v[145:146], v[4:5], v[42:43], v[149:150]
	v_fma_f64 v[42:43], v[2:3], v[42:43], -v[44:45]
	v_add_f64_e32 v[44:45], v[40:41], v[38:39]
	v_add_f64_e32 v[141:142], v[141:142], v[147:148]
	ds_load_b128 v[2:5], v1 offset:1344
	ds_load_b128 v[38:41], v1 offset:1360
	v_fma_f64 v[36:37], v[36:37], v[6:7], v[143:144]
	v_fma_f64 v[6:7], v[34:35], v[6:7], -v[8:9]
	s_wait_loadcnt_dscnt 0x501
	v_mul_f64_e32 v[147:148], v[2:3], v[12:13]
	v_mul_f64_e32 v[12:13], v[4:5], v[12:13]
	v_add_f64_e32 v[8:9], v[44:45], v[42:43]
	v_add_f64_e32 v[34:35], v[141:142], v[145:146]
	s_wait_loadcnt_dscnt 0x400
	v_mul_f64_e32 v[42:43], v[38:39], v[16:17]
	v_mul_f64_e32 v[16:17], v[40:41], v[16:17]
	v_fma_f64 v[44:45], v[4:5], v[10:11], v[147:148]
	v_fma_f64 v[10:11], v[2:3], v[10:11], -v[12:13]
	v_add_f64_e32 v[12:13], v[8:9], v[6:7]
	v_add_f64_e32 v[34:35], v[34:35], v[36:37]
	ds_load_b128 v[2:5], v1 offset:1376
	ds_load_b128 v[6:9], v1 offset:1392
	v_fma_f64 v[40:41], v[40:41], v[14:15], v[42:43]
	v_fma_f64 v[14:15], v[38:39], v[14:15], -v[16:17]
	s_wait_loadcnt_dscnt 0x301
	v_mul_f64_e32 v[36:37], v[2:3], v[20:21]
	v_mul_f64_e32 v[20:21], v[4:5], v[20:21]
	s_wait_loadcnt_dscnt 0x200
	v_mul_f64_e32 v[16:17], v[6:7], v[24:25]
	v_mul_f64_e32 v[24:25], v[8:9], v[24:25]
	v_add_f64_e32 v[10:11], v[12:13], v[10:11]
	v_add_f64_e32 v[12:13], v[34:35], v[44:45]
	v_fma_f64 v[34:35], v[4:5], v[18:19], v[36:37]
	v_fma_f64 v[18:19], v[2:3], v[18:19], -v[20:21]
	v_fma_f64 v[8:9], v[8:9], v[22:23], v[16:17]
	v_fma_f64 v[6:7], v[6:7], v[22:23], -v[24:25]
	v_add_f64_e32 v[14:15], v[10:11], v[14:15]
	v_add_f64_e32 v[20:21], v[12:13], v[40:41]
	ds_load_b128 v[2:5], v1 offset:1408
	ds_load_b128 v[10:13], v1 offset:1424
	s_wait_loadcnt_dscnt 0x101
	v_mul_f64_e32 v[36:37], v[2:3], v[28:29]
	v_mul_f64_e32 v[28:29], v[4:5], v[28:29]
	v_add_f64_e32 v[14:15], v[14:15], v[18:19]
	v_add_f64_e32 v[16:17], v[20:21], v[34:35]
	s_wait_loadcnt_dscnt 0x0
	v_mul_f64_e32 v[18:19], v[10:11], v[32:33]
	v_mul_f64_e32 v[20:21], v[12:13], v[32:33]
	v_fma_f64 v[4:5], v[4:5], v[26:27], v[36:37]
	v_fma_f64 v[1:2], v[2:3], v[26:27], -v[28:29]
	v_add_f64_e32 v[6:7], v[14:15], v[6:7]
	v_add_f64_e32 v[8:9], v[16:17], v[8:9]
	v_fma_f64 v[12:13], v[12:13], v[30:31], v[18:19]
	v_fma_f64 v[10:11], v[10:11], v[30:31], -v[20:21]
	s_delay_alu instid0(VALU_DEP_4) | instskip(NEXT) | instid1(VALU_DEP_4)
	v_add_f64_e32 v[1:2], v[6:7], v[1:2]
	v_add_f64_e32 v[3:4], v[8:9], v[4:5]
	s_delay_alu instid0(VALU_DEP_2) | instskip(NEXT) | instid1(VALU_DEP_2)
	v_add_f64_e32 v[1:2], v[1:2], v[10:11]
	v_add_f64_e32 v[3:4], v[3:4], v[12:13]
	s_delay_alu instid0(VALU_DEP_2) | instskip(NEXT) | instid1(VALU_DEP_2)
	v_add_f64_e64 v[1:2], v[137:138], -v[1:2]
	v_add_f64_e64 v[3:4], v[139:140], -v[3:4]
	scratch_store_b128 off, v[1:4], off offset:112
	v_cmpx_lt_u32_e32 5, v0
	s_cbranch_execz .LBB108_273
; %bb.272:
	scratch_load_b128 v[1:4], off, s53
	v_mov_b32_e32 v5, 0
	s_delay_alu instid0(VALU_DEP_1)
	v_dual_mov_b32 v6, v5 :: v_dual_mov_b32 v7, v5
	v_mov_b32_e32 v8, v5
	scratch_store_b128 off, v[5:8], off offset:96
	s_wait_loadcnt 0x0
	ds_store_b128 v136, v[1:4]
.LBB108_273:
	s_wait_alu 0xfffe
	s_or_b32 exec_lo, exec_lo, s0
	s_wait_storecnt_dscnt 0x0
	s_barrier_signal -1
	s_barrier_wait -1
	global_inv scope:SCOPE_SE
	s_clause 0x7
	scratch_load_b128 v[2:5], off, off offset:112
	scratch_load_b128 v[6:9], off, off offset:128
	scratch_load_b128 v[10:13], off, off offset:144
	scratch_load_b128 v[14:17], off, off offset:160
	scratch_load_b128 v[18:21], off, off offset:176
	scratch_load_b128 v[22:25], off, off offset:192
	scratch_load_b128 v[26:29], off, off offset:208
	scratch_load_b128 v[30:33], off, off offset:224
	v_mov_b32_e32 v1, 0
	s_mov_b32 s0, exec_lo
	ds_load_b128 v[38:41], v1 offset:816
	s_clause 0x1
	scratch_load_b128 v[34:37], off, off offset:240
	scratch_load_b128 v[42:45], off, off offset:96
	ds_load_b128 v[137:140], v1 offset:832
	scratch_load_b128 v[141:144], off, off offset:256
	s_wait_loadcnt_dscnt 0xa01
	v_mul_f64_e32 v[145:146], v[40:41], v[4:5]
	v_mul_f64_e32 v[4:5], v[38:39], v[4:5]
	s_delay_alu instid0(VALU_DEP_2) | instskip(NEXT) | instid1(VALU_DEP_2)
	v_fma_f64 v[151:152], v[38:39], v[2:3], -v[145:146]
	v_fma_f64 v[153:154], v[40:41], v[2:3], v[4:5]
	ds_load_b128 v[2:5], v1 offset:848
	s_wait_loadcnt_dscnt 0x901
	v_mul_f64_e32 v[149:150], v[137:138], v[8:9]
	v_mul_f64_e32 v[8:9], v[139:140], v[8:9]
	scratch_load_b128 v[38:41], off, off offset:272
	ds_load_b128 v[145:148], v1 offset:864
	s_wait_loadcnt_dscnt 0x901
	v_mul_f64_e32 v[155:156], v[2:3], v[12:13]
	v_mul_f64_e32 v[12:13], v[4:5], v[12:13]
	v_fma_f64 v[139:140], v[139:140], v[6:7], v[149:150]
	v_fma_f64 v[137:138], v[137:138], v[6:7], -v[8:9]
	v_add_f64_e32 v[149:150], 0, v[151:152]
	v_add_f64_e32 v[151:152], 0, v[153:154]
	scratch_load_b128 v[6:9], off, off offset:288
	v_fma_f64 v[155:156], v[4:5], v[10:11], v[155:156]
	v_fma_f64 v[157:158], v[2:3], v[10:11], -v[12:13]
	ds_load_b128 v[2:5], v1 offset:880
	s_wait_loadcnt_dscnt 0x901
	v_mul_f64_e32 v[153:154], v[145:146], v[16:17]
	v_mul_f64_e32 v[16:17], v[147:148], v[16:17]
	scratch_load_b128 v[10:13], off, off offset:304
	v_add_f64_e32 v[149:150], v[149:150], v[137:138]
	v_add_f64_e32 v[151:152], v[151:152], v[139:140]
	s_wait_loadcnt_dscnt 0x900
	v_mul_f64_e32 v[159:160], v[2:3], v[20:21]
	v_mul_f64_e32 v[20:21], v[4:5], v[20:21]
	ds_load_b128 v[137:140], v1 offset:896
	v_fma_f64 v[147:148], v[147:148], v[14:15], v[153:154]
	v_fma_f64 v[145:146], v[145:146], v[14:15], -v[16:17]
	scratch_load_b128 v[14:17], off, off offset:320
	v_add_f64_e32 v[149:150], v[149:150], v[157:158]
	v_add_f64_e32 v[151:152], v[151:152], v[155:156]
	v_fma_f64 v[155:156], v[4:5], v[18:19], v[159:160]
	v_fma_f64 v[157:158], v[2:3], v[18:19], -v[20:21]
	ds_load_b128 v[2:5], v1 offset:912
	s_wait_loadcnt_dscnt 0x901
	v_mul_f64_e32 v[153:154], v[137:138], v[24:25]
	v_mul_f64_e32 v[24:25], v[139:140], v[24:25]
	scratch_load_b128 v[18:21], off, off offset:336
	s_wait_loadcnt_dscnt 0x900
	v_mul_f64_e32 v[159:160], v[2:3], v[28:29]
	v_mul_f64_e32 v[28:29], v[4:5], v[28:29]
	v_add_f64_e32 v[149:150], v[149:150], v[145:146]
	v_add_f64_e32 v[151:152], v[151:152], v[147:148]
	ds_load_b128 v[145:148], v1 offset:928
	v_fma_f64 v[139:140], v[139:140], v[22:23], v[153:154]
	v_fma_f64 v[137:138], v[137:138], v[22:23], -v[24:25]
	scratch_load_b128 v[22:25], off, off offset:352
	v_add_f64_e32 v[149:150], v[149:150], v[157:158]
	v_add_f64_e32 v[151:152], v[151:152], v[155:156]
	v_fma_f64 v[155:156], v[4:5], v[26:27], v[159:160]
	v_fma_f64 v[157:158], v[2:3], v[26:27], -v[28:29]
	ds_load_b128 v[2:5], v1 offset:944
	s_wait_loadcnt_dscnt 0x901
	v_mul_f64_e32 v[153:154], v[145:146], v[32:33]
	v_mul_f64_e32 v[32:33], v[147:148], v[32:33]
	scratch_load_b128 v[26:29], off, off offset:368
	s_wait_loadcnt_dscnt 0x900
	v_mul_f64_e32 v[159:160], v[2:3], v[36:37]
	v_mul_f64_e32 v[36:37], v[4:5], v[36:37]
	v_add_f64_e32 v[149:150], v[149:150], v[137:138]
	v_add_f64_e32 v[151:152], v[151:152], v[139:140]
	ds_load_b128 v[137:140], v1 offset:960
	v_fma_f64 v[147:148], v[147:148], v[30:31], v[153:154]
	v_fma_f64 v[145:146], v[145:146], v[30:31], -v[32:33]
	scratch_load_b128 v[30:33], off, off offset:384
	v_add_f64_e32 v[149:150], v[149:150], v[157:158]
	v_add_f64_e32 v[151:152], v[151:152], v[155:156]
	v_fma_f64 v[157:158], v[4:5], v[34:35], v[159:160]
	v_fma_f64 v[159:160], v[2:3], v[34:35], -v[36:37]
	ds_load_b128 v[2:5], v1 offset:976
	s_wait_loadcnt_dscnt 0x801
	v_mul_f64_e32 v[153:154], v[137:138], v[143:144]
	v_mul_f64_e32 v[155:156], v[139:140], v[143:144]
	scratch_load_b128 v[34:37], off, off offset:400
	v_add_f64_e32 v[149:150], v[149:150], v[145:146]
	v_add_f64_e32 v[147:148], v[151:152], v[147:148]
	ds_load_b128 v[143:146], v1 offset:992
	v_fma_f64 v[153:154], v[139:140], v[141:142], v[153:154]
	v_fma_f64 v[141:142], v[137:138], v[141:142], -v[155:156]
	scratch_load_b128 v[137:140], off, off offset:416
	s_wait_loadcnt_dscnt 0x901
	v_mul_f64_e32 v[151:152], v[2:3], v[40:41]
	v_mul_f64_e32 v[40:41], v[4:5], v[40:41]
	v_add_f64_e32 v[149:150], v[149:150], v[159:160]
	v_add_f64_e32 v[147:148], v[147:148], v[157:158]
	s_delay_alu instid0(VALU_DEP_4) | instskip(NEXT) | instid1(VALU_DEP_4)
	v_fma_f64 v[151:152], v[4:5], v[38:39], v[151:152]
	v_fma_f64 v[157:158], v[2:3], v[38:39], -v[40:41]
	ds_load_b128 v[2:5], v1 offset:1008
	s_wait_loadcnt_dscnt 0x801
	v_mul_f64_e32 v[155:156], v[143:144], v[8:9]
	v_mul_f64_e32 v[8:9], v[145:146], v[8:9]
	scratch_load_b128 v[38:41], off, off offset:432
	s_wait_loadcnt_dscnt 0x800
	v_mul_f64_e32 v[159:160], v[2:3], v[12:13]
	v_add_f64_e32 v[141:142], v[149:150], v[141:142]
	v_add_f64_e32 v[153:154], v[147:148], v[153:154]
	v_mul_f64_e32 v[12:13], v[4:5], v[12:13]
	ds_load_b128 v[147:150], v1 offset:1024
	v_fma_f64 v[145:146], v[145:146], v[6:7], v[155:156]
	v_fma_f64 v[143:144], v[143:144], v[6:7], -v[8:9]
	scratch_load_b128 v[6:9], off, off offset:448
	v_fma_f64 v[155:156], v[4:5], v[10:11], v[159:160]
	v_add_f64_e32 v[141:142], v[141:142], v[157:158]
	v_add_f64_e32 v[151:152], v[153:154], v[151:152]
	v_fma_f64 v[157:158], v[2:3], v[10:11], -v[12:13]
	ds_load_b128 v[2:5], v1 offset:1040
	s_wait_loadcnt_dscnt 0x801
	v_mul_f64_e32 v[153:154], v[147:148], v[16:17]
	v_mul_f64_e32 v[16:17], v[149:150], v[16:17]
	scratch_load_b128 v[10:13], off, off offset:464
	v_add_f64_e32 v[159:160], v[141:142], v[143:144]
	v_add_f64_e32 v[145:146], v[151:152], v[145:146]
	s_wait_loadcnt_dscnt 0x800
	v_mul_f64_e32 v[151:152], v[2:3], v[20:21]
	v_mul_f64_e32 v[20:21], v[4:5], v[20:21]
	v_fma_f64 v[149:150], v[149:150], v[14:15], v[153:154]
	v_fma_f64 v[147:148], v[147:148], v[14:15], -v[16:17]
	ds_load_b128 v[141:144], v1 offset:1056
	scratch_load_b128 v[14:17], off, off offset:480
	v_add_f64_e32 v[153:154], v[159:160], v[157:158]
	v_add_f64_e32 v[145:146], v[145:146], v[155:156]
	v_fma_f64 v[151:152], v[4:5], v[18:19], v[151:152]
	v_fma_f64 v[157:158], v[2:3], v[18:19], -v[20:21]
	ds_load_b128 v[2:5], v1 offset:1072
	s_wait_loadcnt_dscnt 0x801
	v_mul_f64_e32 v[155:156], v[141:142], v[24:25]
	v_mul_f64_e32 v[24:25], v[143:144], v[24:25]
	scratch_load_b128 v[18:21], off, off offset:496
	s_wait_loadcnt_dscnt 0x800
	v_mul_f64_e32 v[159:160], v[2:3], v[28:29]
	v_mul_f64_e32 v[28:29], v[4:5], v[28:29]
	v_add_f64_e32 v[153:154], v[153:154], v[147:148]
	v_add_f64_e32 v[149:150], v[145:146], v[149:150]
	ds_load_b128 v[145:148], v1 offset:1088
	v_fma_f64 v[143:144], v[143:144], v[22:23], v[155:156]
	v_fma_f64 v[141:142], v[141:142], v[22:23], -v[24:25]
	scratch_load_b128 v[22:25], off, off offset:512
	v_fma_f64 v[155:156], v[4:5], v[26:27], v[159:160]
	v_add_f64_e32 v[153:154], v[153:154], v[157:158]
	v_add_f64_e32 v[149:150], v[149:150], v[151:152]
	v_fma_f64 v[157:158], v[2:3], v[26:27], -v[28:29]
	ds_load_b128 v[2:5], v1 offset:1104
	s_wait_loadcnt_dscnt 0x801
	v_mul_f64_e32 v[151:152], v[145:146], v[32:33]
	v_mul_f64_e32 v[32:33], v[147:148], v[32:33]
	scratch_load_b128 v[26:29], off, off offset:528
	s_wait_loadcnt_dscnt 0x800
	v_mul_f64_e32 v[159:160], v[2:3], v[36:37]
	v_mul_f64_e32 v[36:37], v[4:5], v[36:37]
	v_add_f64_e32 v[153:154], v[153:154], v[141:142]
	v_add_f64_e32 v[149:150], v[149:150], v[143:144]
	ds_load_b128 v[141:144], v1 offset:1120
	v_fma_f64 v[147:148], v[147:148], v[30:31], v[151:152]
	v_fma_f64 v[145:146], v[145:146], v[30:31], -v[32:33]
	scratch_load_b128 v[30:33], off, off offset:544
	v_add_f64_e32 v[151:152], v[153:154], v[157:158]
	v_add_f64_e32 v[149:150], v[149:150], v[155:156]
	v_fma_f64 v[155:156], v[4:5], v[34:35], v[159:160]
	v_fma_f64 v[157:158], v[2:3], v[34:35], -v[36:37]
	ds_load_b128 v[2:5], v1 offset:1136
	s_wait_loadcnt_dscnt 0x801
	v_mul_f64_e32 v[153:154], v[141:142], v[139:140]
	v_mul_f64_e32 v[139:140], v[143:144], v[139:140]
	scratch_load_b128 v[34:37], off, off offset:560
	s_wait_loadcnt_dscnt 0x800
	v_mul_f64_e32 v[159:160], v[2:3], v[40:41]
	v_mul_f64_e32 v[40:41], v[4:5], v[40:41]
	v_add_f64_e32 v[151:152], v[151:152], v[145:146]
	v_add_f64_e32 v[149:150], v[149:150], v[147:148]
	ds_load_b128 v[145:148], v1 offset:1152
	v_fma_f64 v[143:144], v[143:144], v[137:138], v[153:154]
	v_fma_f64 v[141:142], v[141:142], v[137:138], -v[139:140]
	scratch_load_b128 v[137:140], off, off offset:576
	v_add_f64_e32 v[151:152], v[151:152], v[157:158]
	v_add_f64_e32 v[149:150], v[149:150], v[155:156]
	v_fma_f64 v[155:156], v[4:5], v[38:39], v[159:160]
	;; [unrolled: 18-line block ×6, first 2 shown]
	v_fma_f64 v[159:160], v[2:3], v[34:35], -v[36:37]
	ds_load_b128 v[2:5], v1 offset:1296
	s_wait_loadcnt_dscnt 0x801
	v_mul_f64_e32 v[153:154], v[145:146], v[139:140]
	v_mul_f64_e32 v[155:156], v[147:148], v[139:140]
	scratch_load_b128 v[34:37], off, off offset:720
	v_add_f64_e32 v[151:152], v[151:152], v[141:142]
	v_add_f64_e32 v[143:144], v[149:150], v[143:144]
	s_wait_loadcnt_dscnt 0x800
	v_mul_f64_e32 v[149:150], v[2:3], v[40:41]
	v_mul_f64_e32 v[40:41], v[4:5], v[40:41]
	ds_load_b128 v[139:142], v1 offset:1312
	v_fma_f64 v[147:148], v[147:148], v[137:138], v[153:154]
	v_fma_f64 v[137:138], v[145:146], v[137:138], -v[155:156]
	v_add_f64_e32 v[145:146], v[151:152], v[159:160]
	v_add_f64_e32 v[143:144], v[143:144], v[157:158]
	s_wait_loadcnt_dscnt 0x700
	v_mul_f64_e32 v[151:152], v[139:140], v[8:9]
	v_mul_f64_e32 v[8:9], v[141:142], v[8:9]
	v_fma_f64 v[149:150], v[4:5], v[38:39], v[149:150]
	v_fma_f64 v[153:154], v[2:3], v[38:39], -v[40:41]
	ds_load_b128 v[2:5], v1 offset:1328
	ds_load_b128 v[38:41], v1 offset:1344
	v_add_f64_e32 v[137:138], v[145:146], v[137:138]
	v_add_f64_e32 v[143:144], v[143:144], v[147:148]
	s_wait_loadcnt_dscnt 0x601
	v_mul_f64_e32 v[145:146], v[2:3], v[12:13]
	v_mul_f64_e32 v[12:13], v[4:5], v[12:13]
	v_fma_f64 v[141:142], v[141:142], v[6:7], v[151:152]
	v_fma_f64 v[6:7], v[139:140], v[6:7], -v[8:9]
	s_wait_loadcnt_dscnt 0x500
	v_mul_f64_e32 v[139:140], v[38:39], v[16:17]
	v_mul_f64_e32 v[16:17], v[40:41], v[16:17]
	v_add_f64_e32 v[8:9], v[137:138], v[153:154]
	v_add_f64_e32 v[137:138], v[143:144], v[149:150]
	v_fma_f64 v[143:144], v[4:5], v[10:11], v[145:146]
	v_fma_f64 v[10:11], v[2:3], v[10:11], -v[12:13]
	v_fma_f64 v[40:41], v[40:41], v[14:15], v[139:140]
	v_fma_f64 v[14:15], v[38:39], v[14:15], -v[16:17]
	v_add_f64_e32 v[12:13], v[8:9], v[6:7]
	v_add_f64_e32 v[137:138], v[137:138], v[141:142]
	ds_load_b128 v[2:5], v1 offset:1360
	ds_load_b128 v[6:9], v1 offset:1376
	s_wait_loadcnt_dscnt 0x401
	v_mul_f64_e32 v[141:142], v[2:3], v[20:21]
	v_mul_f64_e32 v[20:21], v[4:5], v[20:21]
	s_wait_loadcnt_dscnt 0x300
	v_mul_f64_e32 v[16:17], v[6:7], v[24:25]
	v_mul_f64_e32 v[24:25], v[8:9], v[24:25]
	v_add_f64_e32 v[10:11], v[12:13], v[10:11]
	v_add_f64_e32 v[12:13], v[137:138], v[143:144]
	v_fma_f64 v[38:39], v[4:5], v[18:19], v[141:142]
	v_fma_f64 v[18:19], v[2:3], v[18:19], -v[20:21]
	v_fma_f64 v[8:9], v[8:9], v[22:23], v[16:17]
	v_fma_f64 v[6:7], v[6:7], v[22:23], -v[24:25]
	v_add_f64_e32 v[14:15], v[10:11], v[14:15]
	v_add_f64_e32 v[20:21], v[12:13], v[40:41]
	ds_load_b128 v[2:5], v1 offset:1392
	ds_load_b128 v[10:13], v1 offset:1408
	s_wait_loadcnt_dscnt 0x201
	v_mul_f64_e32 v[40:41], v[2:3], v[28:29]
	v_mul_f64_e32 v[28:29], v[4:5], v[28:29]
	v_add_f64_e32 v[14:15], v[14:15], v[18:19]
	v_add_f64_e32 v[16:17], v[20:21], v[38:39]
	s_wait_loadcnt_dscnt 0x100
	v_mul_f64_e32 v[18:19], v[10:11], v[32:33]
	v_mul_f64_e32 v[20:21], v[12:13], v[32:33]
	v_fma_f64 v[22:23], v[4:5], v[26:27], v[40:41]
	v_fma_f64 v[24:25], v[2:3], v[26:27], -v[28:29]
	ds_load_b128 v[2:5], v1 offset:1424
	v_add_f64_e32 v[6:7], v[14:15], v[6:7]
	v_add_f64_e32 v[8:9], v[16:17], v[8:9]
	v_fma_f64 v[12:13], v[12:13], v[30:31], v[18:19]
	v_fma_f64 v[10:11], v[10:11], v[30:31], -v[20:21]
	s_wait_loadcnt_dscnt 0x0
	v_mul_f64_e32 v[14:15], v[2:3], v[36:37]
	v_mul_f64_e32 v[16:17], v[4:5], v[36:37]
	v_add_f64_e32 v[6:7], v[6:7], v[24:25]
	v_add_f64_e32 v[8:9], v[8:9], v[22:23]
	s_delay_alu instid0(VALU_DEP_4) | instskip(NEXT) | instid1(VALU_DEP_4)
	v_fma_f64 v[4:5], v[4:5], v[34:35], v[14:15]
	v_fma_f64 v[2:3], v[2:3], v[34:35], -v[16:17]
	s_delay_alu instid0(VALU_DEP_4) | instskip(NEXT) | instid1(VALU_DEP_4)
	v_add_f64_e32 v[6:7], v[6:7], v[10:11]
	v_add_f64_e32 v[8:9], v[8:9], v[12:13]
	s_delay_alu instid0(VALU_DEP_2) | instskip(NEXT) | instid1(VALU_DEP_2)
	v_add_f64_e32 v[2:3], v[6:7], v[2:3]
	v_add_f64_e32 v[4:5], v[8:9], v[4:5]
	s_delay_alu instid0(VALU_DEP_2) | instskip(NEXT) | instid1(VALU_DEP_2)
	v_add_f64_e64 v[2:3], v[42:43], -v[2:3]
	v_add_f64_e64 v[4:5], v[44:45], -v[4:5]
	scratch_store_b128 off, v[2:5], off offset:96
	v_cmpx_lt_u32_e32 4, v0
	s_cbranch_execz .LBB108_275
; %bb.274:
	scratch_load_b128 v[5:8], off, s4
	v_dual_mov_b32 v2, v1 :: v_dual_mov_b32 v3, v1
	v_mov_b32_e32 v4, v1
	scratch_store_b128 off, v[1:4], off offset:80
	s_wait_loadcnt 0x0
	ds_store_b128 v136, v[5:8]
.LBB108_275:
	s_wait_alu 0xfffe
	s_or_b32 exec_lo, exec_lo, s0
	s_wait_storecnt_dscnt 0x0
	s_barrier_signal -1
	s_barrier_wait -1
	global_inv scope:SCOPE_SE
	s_clause 0x8
	scratch_load_b128 v[2:5], off, off offset:96
	scratch_load_b128 v[6:9], off, off offset:112
	;; [unrolled: 1-line block ×9, first 2 shown]
	ds_load_b128 v[42:45], v1 offset:800
	ds_load_b128 v[38:41], v1 offset:816
	s_clause 0x1
	scratch_load_b128 v[137:140], off, off offset:80
	scratch_load_b128 v[141:144], off, off offset:240
	s_mov_b32 s0, exec_lo
	s_wait_loadcnt_dscnt 0xa01
	v_mul_f64_e32 v[145:146], v[44:45], v[4:5]
	v_mul_f64_e32 v[4:5], v[42:43], v[4:5]
	s_wait_loadcnt_dscnt 0x900
	v_mul_f64_e32 v[149:150], v[38:39], v[8:9]
	v_mul_f64_e32 v[8:9], v[40:41], v[8:9]
	s_delay_alu instid0(VALU_DEP_4) | instskip(NEXT) | instid1(VALU_DEP_4)
	v_fma_f64 v[151:152], v[42:43], v[2:3], -v[145:146]
	v_fma_f64 v[153:154], v[44:45], v[2:3], v[4:5]
	ds_load_b128 v[2:5], v1 offset:832
	ds_load_b128 v[145:148], v1 offset:848
	scratch_load_b128 v[42:45], off, off offset:256
	v_fma_f64 v[40:41], v[40:41], v[6:7], v[149:150]
	v_fma_f64 v[38:39], v[38:39], v[6:7], -v[8:9]
	scratch_load_b128 v[6:9], off, off offset:272
	s_wait_loadcnt_dscnt 0xa01
	v_mul_f64_e32 v[155:156], v[2:3], v[12:13]
	v_mul_f64_e32 v[12:13], v[4:5], v[12:13]
	v_add_f64_e32 v[149:150], 0, v[151:152]
	v_add_f64_e32 v[151:152], 0, v[153:154]
	s_wait_loadcnt_dscnt 0x900
	v_mul_f64_e32 v[153:154], v[145:146], v[16:17]
	v_mul_f64_e32 v[16:17], v[147:148], v[16:17]
	v_fma_f64 v[155:156], v[4:5], v[10:11], v[155:156]
	v_fma_f64 v[157:158], v[2:3], v[10:11], -v[12:13]
	ds_load_b128 v[2:5], v1 offset:864
	scratch_load_b128 v[10:13], off, off offset:288
	v_add_f64_e32 v[149:150], v[149:150], v[38:39]
	v_add_f64_e32 v[151:152], v[151:152], v[40:41]
	ds_load_b128 v[38:41], v1 offset:880
	v_fma_f64 v[147:148], v[147:148], v[14:15], v[153:154]
	v_fma_f64 v[145:146], v[145:146], v[14:15], -v[16:17]
	scratch_load_b128 v[14:17], off, off offset:304
	s_wait_loadcnt_dscnt 0xa01
	v_mul_f64_e32 v[159:160], v[2:3], v[20:21]
	v_mul_f64_e32 v[20:21], v[4:5], v[20:21]
	s_wait_loadcnt_dscnt 0x900
	v_mul_f64_e32 v[153:154], v[38:39], v[24:25]
	v_mul_f64_e32 v[24:25], v[40:41], v[24:25]
	v_add_f64_e32 v[149:150], v[149:150], v[157:158]
	v_add_f64_e32 v[151:152], v[151:152], v[155:156]
	v_fma_f64 v[155:156], v[4:5], v[18:19], v[159:160]
	v_fma_f64 v[157:158], v[2:3], v[18:19], -v[20:21]
	ds_load_b128 v[2:5], v1 offset:896
	scratch_load_b128 v[18:21], off, off offset:320
	v_fma_f64 v[40:41], v[40:41], v[22:23], v[153:154]
	v_fma_f64 v[38:39], v[38:39], v[22:23], -v[24:25]
	scratch_load_b128 v[22:25], off, off offset:336
	v_add_f64_e32 v[149:150], v[149:150], v[145:146]
	v_add_f64_e32 v[151:152], v[151:152], v[147:148]
	ds_load_b128 v[145:148], v1 offset:912
	s_wait_loadcnt_dscnt 0xa01
	v_mul_f64_e32 v[159:160], v[2:3], v[28:29]
	v_mul_f64_e32 v[28:29], v[4:5], v[28:29]
	s_wait_loadcnt_dscnt 0x900
	v_mul_f64_e32 v[153:154], v[145:146], v[32:33]
	v_mul_f64_e32 v[32:33], v[147:148], v[32:33]
	v_add_f64_e32 v[149:150], v[149:150], v[157:158]
	v_add_f64_e32 v[151:152], v[151:152], v[155:156]
	v_fma_f64 v[155:156], v[4:5], v[26:27], v[159:160]
	v_fma_f64 v[157:158], v[2:3], v[26:27], -v[28:29]
	ds_load_b128 v[2:5], v1 offset:928
	scratch_load_b128 v[26:29], off, off offset:352
	v_fma_f64 v[147:148], v[147:148], v[30:31], v[153:154]
	v_fma_f64 v[145:146], v[145:146], v[30:31], -v[32:33]
	scratch_load_b128 v[30:33], off, off offset:368
	v_add_f64_e32 v[149:150], v[149:150], v[38:39]
	v_add_f64_e32 v[151:152], v[151:152], v[40:41]
	ds_load_b128 v[38:41], v1 offset:944
	s_wait_loadcnt_dscnt 0xa01
	v_mul_f64_e32 v[159:160], v[2:3], v[36:37]
	v_mul_f64_e32 v[36:37], v[4:5], v[36:37]
	s_wait_loadcnt_dscnt 0x800
	v_mul_f64_e32 v[153:154], v[38:39], v[143:144]
	v_add_f64_e32 v[149:150], v[149:150], v[157:158]
	v_add_f64_e32 v[151:152], v[151:152], v[155:156]
	v_mul_f64_e32 v[155:156], v[40:41], v[143:144]
	v_fma_f64 v[157:158], v[4:5], v[34:35], v[159:160]
	v_fma_f64 v[159:160], v[2:3], v[34:35], -v[36:37]
	ds_load_b128 v[2:5], v1 offset:960
	scratch_load_b128 v[34:37], off, off offset:384
	v_fma_f64 v[153:154], v[40:41], v[141:142], v[153:154]
	v_add_f64_e32 v[149:150], v[149:150], v[145:146]
	v_add_f64_e32 v[147:148], v[151:152], v[147:148]
	ds_load_b128 v[143:146], v1 offset:976
	v_fma_f64 v[141:142], v[38:39], v[141:142], -v[155:156]
	scratch_load_b128 v[38:41], off, off offset:400
	s_wait_loadcnt_dscnt 0x901
	v_mul_f64_e32 v[151:152], v[2:3], v[44:45]
	v_mul_f64_e32 v[44:45], v[4:5], v[44:45]
	s_wait_loadcnt_dscnt 0x800
	v_mul_f64_e32 v[155:156], v[143:144], v[8:9]
	v_mul_f64_e32 v[8:9], v[145:146], v[8:9]
	v_add_f64_e32 v[149:150], v[149:150], v[159:160]
	v_add_f64_e32 v[147:148], v[147:148], v[157:158]
	v_fma_f64 v[151:152], v[4:5], v[42:43], v[151:152]
	v_fma_f64 v[157:158], v[2:3], v[42:43], -v[44:45]
	ds_load_b128 v[2:5], v1 offset:992
	scratch_load_b128 v[42:45], off, off offset:416
	v_fma_f64 v[145:146], v[145:146], v[6:7], v[155:156]
	v_fma_f64 v[143:144], v[143:144], v[6:7], -v[8:9]
	scratch_load_b128 v[6:9], off, off offset:432
	v_add_f64_e32 v[141:142], v[149:150], v[141:142]
	v_add_f64_e32 v[153:154], v[147:148], v[153:154]
	ds_load_b128 v[147:150], v1 offset:1008
	s_wait_loadcnt_dscnt 0x901
	v_mul_f64_e32 v[159:160], v[2:3], v[12:13]
	v_mul_f64_e32 v[12:13], v[4:5], v[12:13]
	v_add_f64_e32 v[141:142], v[141:142], v[157:158]
	v_add_f64_e32 v[151:152], v[153:154], v[151:152]
	s_wait_loadcnt_dscnt 0x800
	v_mul_f64_e32 v[153:154], v[147:148], v[16:17]
	v_mul_f64_e32 v[16:17], v[149:150], v[16:17]
	v_fma_f64 v[155:156], v[4:5], v[10:11], v[159:160]
	v_fma_f64 v[157:158], v[2:3], v[10:11], -v[12:13]
	ds_load_b128 v[2:5], v1 offset:1024
	scratch_load_b128 v[10:13], off, off offset:448
	v_add_f64_e32 v[159:160], v[141:142], v[143:144]
	v_add_f64_e32 v[145:146], v[151:152], v[145:146]
	ds_load_b128 v[141:144], v1 offset:1040
	s_wait_loadcnt_dscnt 0x801
	v_mul_f64_e32 v[151:152], v[2:3], v[20:21]
	v_mul_f64_e32 v[20:21], v[4:5], v[20:21]
	v_fma_f64 v[149:150], v[149:150], v[14:15], v[153:154]
	v_fma_f64 v[147:148], v[147:148], v[14:15], -v[16:17]
	scratch_load_b128 v[14:17], off, off offset:464
	v_add_f64_e32 v[153:154], v[159:160], v[157:158]
	v_add_f64_e32 v[145:146], v[145:146], v[155:156]
	s_wait_loadcnt_dscnt 0x800
	v_mul_f64_e32 v[155:156], v[141:142], v[24:25]
	v_mul_f64_e32 v[24:25], v[143:144], v[24:25]
	v_fma_f64 v[151:152], v[4:5], v[18:19], v[151:152]
	v_fma_f64 v[157:158], v[2:3], v[18:19], -v[20:21]
	ds_load_b128 v[2:5], v1 offset:1056
	scratch_load_b128 v[18:21], off, off offset:480
	v_add_f64_e32 v[153:154], v[153:154], v[147:148]
	v_add_f64_e32 v[149:150], v[145:146], v[149:150]
	ds_load_b128 v[145:148], v1 offset:1072
	s_wait_loadcnt_dscnt 0x801
	v_mul_f64_e32 v[159:160], v[2:3], v[28:29]
	v_mul_f64_e32 v[28:29], v[4:5], v[28:29]
	v_fma_f64 v[143:144], v[143:144], v[22:23], v[155:156]
	v_fma_f64 v[141:142], v[141:142], v[22:23], -v[24:25]
	scratch_load_b128 v[22:25], off, off offset:496
	;; [unrolled: 18-line block ×4, first 2 shown]
	s_wait_loadcnt_dscnt 0x800
	v_mul_f64_e32 v[153:154], v[145:146], v[8:9]
	v_mul_f64_e32 v[8:9], v[147:148], v[8:9]
	v_add_f64_e32 v[151:152], v[151:152], v[157:158]
	v_add_f64_e32 v[149:150], v[149:150], v[155:156]
	v_fma_f64 v[155:156], v[4:5], v[42:43], v[159:160]
	v_fma_f64 v[157:158], v[2:3], v[42:43], -v[44:45]
	ds_load_b128 v[2:5], v1 offset:1152
	scratch_load_b128 v[42:45], off, off offset:576
	v_fma_f64 v[147:148], v[147:148], v[6:7], v[153:154]
	v_fma_f64 v[145:146], v[145:146], v[6:7], -v[8:9]
	scratch_load_b128 v[6:9], off, off offset:592
	v_add_f64_e32 v[151:152], v[151:152], v[141:142]
	v_add_f64_e32 v[149:150], v[149:150], v[143:144]
	ds_load_b128 v[141:144], v1 offset:1168
	s_wait_loadcnt_dscnt 0x901
	v_mul_f64_e32 v[159:160], v[2:3], v[12:13]
	v_mul_f64_e32 v[12:13], v[4:5], v[12:13]
	s_wait_loadcnt_dscnt 0x800
	v_mul_f64_e32 v[153:154], v[141:142], v[16:17]
	v_mul_f64_e32 v[16:17], v[143:144], v[16:17]
	v_add_f64_e32 v[151:152], v[151:152], v[157:158]
	v_add_f64_e32 v[149:150], v[149:150], v[155:156]
	v_fma_f64 v[155:156], v[4:5], v[10:11], v[159:160]
	v_fma_f64 v[157:158], v[2:3], v[10:11], -v[12:13]
	ds_load_b128 v[2:5], v1 offset:1184
	scratch_load_b128 v[10:13], off, off offset:608
	v_fma_f64 v[143:144], v[143:144], v[14:15], v[153:154]
	v_fma_f64 v[141:142], v[141:142], v[14:15], -v[16:17]
	scratch_load_b128 v[14:17], off, off offset:624
	v_add_f64_e32 v[151:152], v[151:152], v[145:146]
	v_add_f64_e32 v[149:150], v[149:150], v[147:148]
	ds_load_b128 v[145:148], v1 offset:1200
	s_wait_loadcnt_dscnt 0x901
	v_mul_f64_e32 v[159:160], v[2:3], v[20:21]
	v_mul_f64_e32 v[20:21], v[4:5], v[20:21]
	;; [unrolled: 18-line block ×5, first 2 shown]
	s_wait_loadcnt_dscnt 0x800
	v_mul_f64_e32 v[153:154], v[141:142], v[8:9]
	v_mul_f64_e32 v[8:9], v[143:144], v[8:9]
	v_add_f64_e32 v[151:152], v[151:152], v[157:158]
	v_add_f64_e32 v[149:150], v[149:150], v[155:156]
	v_fma_f64 v[155:156], v[4:5], v[42:43], v[159:160]
	v_fma_f64 v[157:158], v[2:3], v[42:43], -v[44:45]
	ds_load_b128 v[2:5], v1 offset:1312
	ds_load_b128 v[42:45], v1 offset:1328
	v_fma_f64 v[143:144], v[143:144], v[6:7], v[153:154]
	v_fma_f64 v[6:7], v[141:142], v[6:7], -v[8:9]
	v_add_f64_e32 v[145:146], v[151:152], v[145:146]
	v_add_f64_e32 v[147:148], v[149:150], v[147:148]
	s_wait_loadcnt_dscnt 0x701
	v_mul_f64_e32 v[149:150], v[2:3], v[12:13]
	v_mul_f64_e32 v[12:13], v[4:5], v[12:13]
	s_delay_alu instid0(VALU_DEP_4) | instskip(NEXT) | instid1(VALU_DEP_4)
	v_add_f64_e32 v[8:9], v[145:146], v[157:158]
	v_add_f64_e32 v[141:142], v[147:148], v[155:156]
	s_wait_loadcnt_dscnt 0x600
	v_mul_f64_e32 v[145:146], v[42:43], v[16:17]
	v_mul_f64_e32 v[16:17], v[44:45], v[16:17]
	v_fma_f64 v[147:148], v[4:5], v[10:11], v[149:150]
	v_fma_f64 v[10:11], v[2:3], v[10:11], -v[12:13]
	v_add_f64_e32 v[12:13], v[8:9], v[6:7]
	v_add_f64_e32 v[141:142], v[141:142], v[143:144]
	ds_load_b128 v[2:5], v1 offset:1344
	ds_load_b128 v[6:9], v1 offset:1360
	v_fma_f64 v[44:45], v[44:45], v[14:15], v[145:146]
	v_fma_f64 v[14:15], v[42:43], v[14:15], -v[16:17]
	s_wait_loadcnt_dscnt 0x501
	v_mul_f64_e32 v[143:144], v[2:3], v[20:21]
	v_mul_f64_e32 v[20:21], v[4:5], v[20:21]
	s_wait_loadcnt_dscnt 0x400
	v_mul_f64_e32 v[16:17], v[6:7], v[24:25]
	v_mul_f64_e32 v[24:25], v[8:9], v[24:25]
	v_add_f64_e32 v[10:11], v[12:13], v[10:11]
	v_add_f64_e32 v[12:13], v[141:142], v[147:148]
	v_fma_f64 v[42:43], v[4:5], v[18:19], v[143:144]
	v_fma_f64 v[18:19], v[2:3], v[18:19], -v[20:21]
	v_fma_f64 v[8:9], v[8:9], v[22:23], v[16:17]
	v_fma_f64 v[6:7], v[6:7], v[22:23], -v[24:25]
	v_add_f64_e32 v[14:15], v[10:11], v[14:15]
	v_add_f64_e32 v[20:21], v[12:13], v[44:45]
	ds_load_b128 v[2:5], v1 offset:1376
	ds_load_b128 v[10:13], v1 offset:1392
	s_wait_loadcnt_dscnt 0x301
	v_mul_f64_e32 v[44:45], v[2:3], v[28:29]
	v_mul_f64_e32 v[28:29], v[4:5], v[28:29]
	v_add_f64_e32 v[14:15], v[14:15], v[18:19]
	v_add_f64_e32 v[16:17], v[20:21], v[42:43]
	s_wait_loadcnt_dscnt 0x200
	v_mul_f64_e32 v[18:19], v[10:11], v[32:33]
	v_mul_f64_e32 v[20:21], v[12:13], v[32:33]
	v_fma_f64 v[22:23], v[4:5], v[26:27], v[44:45]
	v_fma_f64 v[24:25], v[2:3], v[26:27], -v[28:29]
	v_add_f64_e32 v[14:15], v[14:15], v[6:7]
	v_add_f64_e32 v[16:17], v[16:17], v[8:9]
	ds_load_b128 v[2:5], v1 offset:1408
	ds_load_b128 v[6:9], v1 offset:1424
	v_fma_f64 v[12:13], v[12:13], v[30:31], v[18:19]
	v_fma_f64 v[10:11], v[10:11], v[30:31], -v[20:21]
	s_wait_loadcnt_dscnt 0x101
	v_mul_f64_e32 v[26:27], v[2:3], v[36:37]
	v_mul_f64_e32 v[28:29], v[4:5], v[36:37]
	s_wait_loadcnt_dscnt 0x0
	v_mul_f64_e32 v[18:19], v[6:7], v[40:41]
	v_mul_f64_e32 v[20:21], v[8:9], v[40:41]
	v_add_f64_e32 v[14:15], v[14:15], v[24:25]
	v_add_f64_e32 v[16:17], v[16:17], v[22:23]
	v_fma_f64 v[4:5], v[4:5], v[34:35], v[26:27]
	v_fma_f64 v[1:2], v[2:3], v[34:35], -v[28:29]
	v_fma_f64 v[8:9], v[8:9], v[38:39], v[18:19]
	v_fma_f64 v[6:7], v[6:7], v[38:39], -v[20:21]
	v_add_f64_e32 v[10:11], v[14:15], v[10:11]
	v_add_f64_e32 v[12:13], v[16:17], v[12:13]
	s_delay_alu instid0(VALU_DEP_2) | instskip(NEXT) | instid1(VALU_DEP_2)
	v_add_f64_e32 v[1:2], v[10:11], v[1:2]
	v_add_f64_e32 v[3:4], v[12:13], v[4:5]
	s_delay_alu instid0(VALU_DEP_2) | instskip(NEXT) | instid1(VALU_DEP_2)
	;; [unrolled: 3-line block ×3, first 2 shown]
	v_add_f64_e64 v[1:2], v[137:138], -v[1:2]
	v_add_f64_e64 v[3:4], v[139:140], -v[3:4]
	scratch_store_b128 off, v[1:4], off offset:80
	v_cmpx_lt_u32_e32 3, v0
	s_cbranch_execz .LBB108_277
; %bb.276:
	scratch_load_b128 v[1:4], off, s10
	v_mov_b32_e32 v5, 0
	s_delay_alu instid0(VALU_DEP_1)
	v_dual_mov_b32 v6, v5 :: v_dual_mov_b32 v7, v5
	v_mov_b32_e32 v8, v5
	scratch_store_b128 off, v[5:8], off offset:64
	s_wait_loadcnt 0x0
	ds_store_b128 v136, v[1:4]
.LBB108_277:
	s_wait_alu 0xfffe
	s_or_b32 exec_lo, exec_lo, s0
	s_wait_storecnt_dscnt 0x0
	s_barrier_signal -1
	s_barrier_wait -1
	global_inv scope:SCOPE_SE
	s_clause 0x7
	scratch_load_b128 v[2:5], off, off offset:80
	scratch_load_b128 v[6:9], off, off offset:96
	;; [unrolled: 1-line block ×8, first 2 shown]
	v_mov_b32_e32 v1, 0
	s_mov_b32 s0, exec_lo
	ds_load_b128 v[38:41], v1 offset:784
	s_clause 0x1
	scratch_load_b128 v[34:37], off, off offset:208
	scratch_load_b128 v[42:45], off, off offset:64
	ds_load_b128 v[137:140], v1 offset:800
	scratch_load_b128 v[141:144], off, off offset:224
	s_wait_loadcnt_dscnt 0xa01
	v_mul_f64_e32 v[145:146], v[40:41], v[4:5]
	v_mul_f64_e32 v[4:5], v[38:39], v[4:5]
	s_delay_alu instid0(VALU_DEP_2) | instskip(NEXT) | instid1(VALU_DEP_2)
	v_fma_f64 v[151:152], v[38:39], v[2:3], -v[145:146]
	v_fma_f64 v[153:154], v[40:41], v[2:3], v[4:5]
	ds_load_b128 v[2:5], v1 offset:816
	s_wait_loadcnt_dscnt 0x901
	v_mul_f64_e32 v[149:150], v[137:138], v[8:9]
	v_mul_f64_e32 v[8:9], v[139:140], v[8:9]
	scratch_load_b128 v[38:41], off, off offset:240
	ds_load_b128 v[145:148], v1 offset:832
	s_wait_loadcnt_dscnt 0x901
	v_mul_f64_e32 v[155:156], v[2:3], v[12:13]
	v_mul_f64_e32 v[12:13], v[4:5], v[12:13]
	v_fma_f64 v[139:140], v[139:140], v[6:7], v[149:150]
	v_fma_f64 v[137:138], v[137:138], v[6:7], -v[8:9]
	v_add_f64_e32 v[149:150], 0, v[151:152]
	v_add_f64_e32 v[151:152], 0, v[153:154]
	scratch_load_b128 v[6:9], off, off offset:256
	v_fma_f64 v[155:156], v[4:5], v[10:11], v[155:156]
	v_fma_f64 v[157:158], v[2:3], v[10:11], -v[12:13]
	ds_load_b128 v[2:5], v1 offset:848
	s_wait_loadcnt_dscnt 0x901
	v_mul_f64_e32 v[153:154], v[145:146], v[16:17]
	v_mul_f64_e32 v[16:17], v[147:148], v[16:17]
	scratch_load_b128 v[10:13], off, off offset:272
	v_add_f64_e32 v[149:150], v[149:150], v[137:138]
	v_add_f64_e32 v[151:152], v[151:152], v[139:140]
	s_wait_loadcnt_dscnt 0x900
	v_mul_f64_e32 v[159:160], v[2:3], v[20:21]
	v_mul_f64_e32 v[20:21], v[4:5], v[20:21]
	ds_load_b128 v[137:140], v1 offset:864
	v_fma_f64 v[147:148], v[147:148], v[14:15], v[153:154]
	v_fma_f64 v[145:146], v[145:146], v[14:15], -v[16:17]
	scratch_load_b128 v[14:17], off, off offset:288
	v_add_f64_e32 v[149:150], v[149:150], v[157:158]
	v_add_f64_e32 v[151:152], v[151:152], v[155:156]
	v_fma_f64 v[155:156], v[4:5], v[18:19], v[159:160]
	v_fma_f64 v[157:158], v[2:3], v[18:19], -v[20:21]
	ds_load_b128 v[2:5], v1 offset:880
	s_wait_loadcnt_dscnt 0x901
	v_mul_f64_e32 v[153:154], v[137:138], v[24:25]
	v_mul_f64_e32 v[24:25], v[139:140], v[24:25]
	scratch_load_b128 v[18:21], off, off offset:304
	s_wait_loadcnt_dscnt 0x900
	v_mul_f64_e32 v[159:160], v[2:3], v[28:29]
	v_mul_f64_e32 v[28:29], v[4:5], v[28:29]
	v_add_f64_e32 v[149:150], v[149:150], v[145:146]
	v_add_f64_e32 v[151:152], v[151:152], v[147:148]
	ds_load_b128 v[145:148], v1 offset:896
	v_fma_f64 v[139:140], v[139:140], v[22:23], v[153:154]
	v_fma_f64 v[137:138], v[137:138], v[22:23], -v[24:25]
	scratch_load_b128 v[22:25], off, off offset:320
	v_add_f64_e32 v[149:150], v[149:150], v[157:158]
	v_add_f64_e32 v[151:152], v[151:152], v[155:156]
	v_fma_f64 v[155:156], v[4:5], v[26:27], v[159:160]
	v_fma_f64 v[157:158], v[2:3], v[26:27], -v[28:29]
	ds_load_b128 v[2:5], v1 offset:912
	s_wait_loadcnt_dscnt 0x901
	v_mul_f64_e32 v[153:154], v[145:146], v[32:33]
	v_mul_f64_e32 v[32:33], v[147:148], v[32:33]
	scratch_load_b128 v[26:29], off, off offset:336
	s_wait_loadcnt_dscnt 0x900
	v_mul_f64_e32 v[159:160], v[2:3], v[36:37]
	v_mul_f64_e32 v[36:37], v[4:5], v[36:37]
	v_add_f64_e32 v[149:150], v[149:150], v[137:138]
	v_add_f64_e32 v[151:152], v[151:152], v[139:140]
	ds_load_b128 v[137:140], v1 offset:928
	v_fma_f64 v[147:148], v[147:148], v[30:31], v[153:154]
	v_fma_f64 v[145:146], v[145:146], v[30:31], -v[32:33]
	scratch_load_b128 v[30:33], off, off offset:352
	v_add_f64_e32 v[149:150], v[149:150], v[157:158]
	v_add_f64_e32 v[151:152], v[151:152], v[155:156]
	v_fma_f64 v[157:158], v[4:5], v[34:35], v[159:160]
	v_fma_f64 v[159:160], v[2:3], v[34:35], -v[36:37]
	ds_load_b128 v[2:5], v1 offset:944
	s_wait_loadcnt_dscnt 0x801
	v_mul_f64_e32 v[153:154], v[137:138], v[143:144]
	v_mul_f64_e32 v[155:156], v[139:140], v[143:144]
	scratch_load_b128 v[34:37], off, off offset:368
	v_add_f64_e32 v[149:150], v[149:150], v[145:146]
	v_add_f64_e32 v[147:148], v[151:152], v[147:148]
	ds_load_b128 v[143:146], v1 offset:960
	v_fma_f64 v[153:154], v[139:140], v[141:142], v[153:154]
	v_fma_f64 v[141:142], v[137:138], v[141:142], -v[155:156]
	scratch_load_b128 v[137:140], off, off offset:384
	s_wait_loadcnt_dscnt 0x901
	v_mul_f64_e32 v[151:152], v[2:3], v[40:41]
	v_mul_f64_e32 v[40:41], v[4:5], v[40:41]
	v_add_f64_e32 v[149:150], v[149:150], v[159:160]
	v_add_f64_e32 v[147:148], v[147:148], v[157:158]
	s_delay_alu instid0(VALU_DEP_4) | instskip(NEXT) | instid1(VALU_DEP_4)
	v_fma_f64 v[151:152], v[4:5], v[38:39], v[151:152]
	v_fma_f64 v[157:158], v[2:3], v[38:39], -v[40:41]
	ds_load_b128 v[2:5], v1 offset:976
	s_wait_loadcnt_dscnt 0x801
	v_mul_f64_e32 v[155:156], v[143:144], v[8:9]
	v_mul_f64_e32 v[8:9], v[145:146], v[8:9]
	scratch_load_b128 v[38:41], off, off offset:400
	s_wait_loadcnt_dscnt 0x800
	v_mul_f64_e32 v[159:160], v[2:3], v[12:13]
	v_add_f64_e32 v[141:142], v[149:150], v[141:142]
	v_add_f64_e32 v[153:154], v[147:148], v[153:154]
	v_mul_f64_e32 v[12:13], v[4:5], v[12:13]
	ds_load_b128 v[147:150], v1 offset:992
	v_fma_f64 v[145:146], v[145:146], v[6:7], v[155:156]
	v_fma_f64 v[143:144], v[143:144], v[6:7], -v[8:9]
	scratch_load_b128 v[6:9], off, off offset:416
	v_fma_f64 v[155:156], v[4:5], v[10:11], v[159:160]
	v_add_f64_e32 v[141:142], v[141:142], v[157:158]
	v_add_f64_e32 v[151:152], v[153:154], v[151:152]
	v_fma_f64 v[157:158], v[2:3], v[10:11], -v[12:13]
	ds_load_b128 v[2:5], v1 offset:1008
	s_wait_loadcnt_dscnt 0x801
	v_mul_f64_e32 v[153:154], v[147:148], v[16:17]
	v_mul_f64_e32 v[16:17], v[149:150], v[16:17]
	scratch_load_b128 v[10:13], off, off offset:432
	v_add_f64_e32 v[159:160], v[141:142], v[143:144]
	v_add_f64_e32 v[145:146], v[151:152], v[145:146]
	s_wait_loadcnt_dscnt 0x800
	v_mul_f64_e32 v[151:152], v[2:3], v[20:21]
	v_mul_f64_e32 v[20:21], v[4:5], v[20:21]
	v_fma_f64 v[149:150], v[149:150], v[14:15], v[153:154]
	v_fma_f64 v[147:148], v[147:148], v[14:15], -v[16:17]
	ds_load_b128 v[141:144], v1 offset:1024
	scratch_load_b128 v[14:17], off, off offset:448
	v_add_f64_e32 v[153:154], v[159:160], v[157:158]
	v_add_f64_e32 v[145:146], v[145:146], v[155:156]
	v_fma_f64 v[151:152], v[4:5], v[18:19], v[151:152]
	v_fma_f64 v[157:158], v[2:3], v[18:19], -v[20:21]
	ds_load_b128 v[2:5], v1 offset:1040
	s_wait_loadcnt_dscnt 0x801
	v_mul_f64_e32 v[155:156], v[141:142], v[24:25]
	v_mul_f64_e32 v[24:25], v[143:144], v[24:25]
	scratch_load_b128 v[18:21], off, off offset:464
	s_wait_loadcnt_dscnt 0x800
	v_mul_f64_e32 v[159:160], v[2:3], v[28:29]
	v_mul_f64_e32 v[28:29], v[4:5], v[28:29]
	v_add_f64_e32 v[153:154], v[153:154], v[147:148]
	v_add_f64_e32 v[149:150], v[145:146], v[149:150]
	ds_load_b128 v[145:148], v1 offset:1056
	v_fma_f64 v[143:144], v[143:144], v[22:23], v[155:156]
	v_fma_f64 v[141:142], v[141:142], v[22:23], -v[24:25]
	scratch_load_b128 v[22:25], off, off offset:480
	v_fma_f64 v[155:156], v[4:5], v[26:27], v[159:160]
	v_add_f64_e32 v[153:154], v[153:154], v[157:158]
	v_add_f64_e32 v[149:150], v[149:150], v[151:152]
	v_fma_f64 v[157:158], v[2:3], v[26:27], -v[28:29]
	ds_load_b128 v[2:5], v1 offset:1072
	s_wait_loadcnt_dscnt 0x801
	v_mul_f64_e32 v[151:152], v[145:146], v[32:33]
	v_mul_f64_e32 v[32:33], v[147:148], v[32:33]
	scratch_load_b128 v[26:29], off, off offset:496
	s_wait_loadcnt_dscnt 0x800
	v_mul_f64_e32 v[159:160], v[2:3], v[36:37]
	v_mul_f64_e32 v[36:37], v[4:5], v[36:37]
	v_add_f64_e32 v[153:154], v[153:154], v[141:142]
	v_add_f64_e32 v[149:150], v[149:150], v[143:144]
	ds_load_b128 v[141:144], v1 offset:1088
	v_fma_f64 v[147:148], v[147:148], v[30:31], v[151:152]
	v_fma_f64 v[145:146], v[145:146], v[30:31], -v[32:33]
	scratch_load_b128 v[30:33], off, off offset:512
	v_add_f64_e32 v[151:152], v[153:154], v[157:158]
	v_add_f64_e32 v[149:150], v[149:150], v[155:156]
	v_fma_f64 v[155:156], v[4:5], v[34:35], v[159:160]
	v_fma_f64 v[157:158], v[2:3], v[34:35], -v[36:37]
	ds_load_b128 v[2:5], v1 offset:1104
	s_wait_loadcnt_dscnt 0x801
	v_mul_f64_e32 v[153:154], v[141:142], v[139:140]
	v_mul_f64_e32 v[139:140], v[143:144], v[139:140]
	scratch_load_b128 v[34:37], off, off offset:528
	s_wait_loadcnt_dscnt 0x800
	v_mul_f64_e32 v[159:160], v[2:3], v[40:41]
	v_mul_f64_e32 v[40:41], v[4:5], v[40:41]
	v_add_f64_e32 v[151:152], v[151:152], v[145:146]
	v_add_f64_e32 v[149:150], v[149:150], v[147:148]
	ds_load_b128 v[145:148], v1 offset:1120
	v_fma_f64 v[143:144], v[143:144], v[137:138], v[153:154]
	v_fma_f64 v[141:142], v[141:142], v[137:138], -v[139:140]
	scratch_load_b128 v[137:140], off, off offset:544
	v_add_f64_e32 v[151:152], v[151:152], v[157:158]
	v_add_f64_e32 v[149:150], v[149:150], v[155:156]
	v_fma_f64 v[155:156], v[4:5], v[38:39], v[159:160]
	v_fma_f64 v[157:158], v[2:3], v[38:39], -v[40:41]
	ds_load_b128 v[2:5], v1 offset:1136
	s_wait_loadcnt_dscnt 0x801
	v_mul_f64_e32 v[153:154], v[145:146], v[8:9]
	v_mul_f64_e32 v[8:9], v[147:148], v[8:9]
	scratch_load_b128 v[38:41], off, off offset:560
	s_wait_loadcnt_dscnt 0x800
	v_mul_f64_e32 v[159:160], v[2:3], v[12:13]
	v_mul_f64_e32 v[12:13], v[4:5], v[12:13]
	v_add_f64_e32 v[151:152], v[151:152], v[141:142]
	v_add_f64_e32 v[149:150], v[149:150], v[143:144]
	ds_load_b128 v[141:144], v1 offset:1152
	v_fma_f64 v[147:148], v[147:148], v[6:7], v[153:154]
	v_fma_f64 v[145:146], v[145:146], v[6:7], -v[8:9]
	scratch_load_b128 v[6:9], off, off offset:576
	v_add_f64_e32 v[151:152], v[151:152], v[157:158]
	v_add_f64_e32 v[149:150], v[149:150], v[155:156]
	v_fma_f64 v[155:156], v[4:5], v[10:11], v[159:160]
	v_fma_f64 v[157:158], v[2:3], v[10:11], -v[12:13]
	ds_load_b128 v[2:5], v1 offset:1168
	s_wait_loadcnt_dscnt 0x801
	v_mul_f64_e32 v[153:154], v[141:142], v[16:17]
	v_mul_f64_e32 v[16:17], v[143:144], v[16:17]
	scratch_load_b128 v[10:13], off, off offset:592
	s_wait_loadcnt_dscnt 0x800
	v_mul_f64_e32 v[159:160], v[2:3], v[20:21]
	v_mul_f64_e32 v[20:21], v[4:5], v[20:21]
	v_add_f64_e32 v[151:152], v[151:152], v[145:146]
	v_add_f64_e32 v[149:150], v[149:150], v[147:148]
	ds_load_b128 v[145:148], v1 offset:1184
	v_fma_f64 v[143:144], v[143:144], v[14:15], v[153:154]
	v_fma_f64 v[141:142], v[141:142], v[14:15], -v[16:17]
	scratch_load_b128 v[14:17], off, off offset:608
	v_add_f64_e32 v[151:152], v[151:152], v[157:158]
	v_add_f64_e32 v[149:150], v[149:150], v[155:156]
	v_fma_f64 v[155:156], v[4:5], v[18:19], v[159:160]
	v_fma_f64 v[157:158], v[2:3], v[18:19], -v[20:21]
	ds_load_b128 v[2:5], v1 offset:1200
	s_wait_loadcnt_dscnt 0x801
	v_mul_f64_e32 v[153:154], v[145:146], v[24:25]
	v_mul_f64_e32 v[24:25], v[147:148], v[24:25]
	scratch_load_b128 v[18:21], off, off offset:624
	s_wait_loadcnt_dscnt 0x800
	v_mul_f64_e32 v[159:160], v[2:3], v[28:29]
	v_mul_f64_e32 v[28:29], v[4:5], v[28:29]
	v_add_f64_e32 v[151:152], v[151:152], v[141:142]
	v_add_f64_e32 v[149:150], v[149:150], v[143:144]
	ds_load_b128 v[141:144], v1 offset:1216
	v_fma_f64 v[147:148], v[147:148], v[22:23], v[153:154]
	v_fma_f64 v[145:146], v[145:146], v[22:23], -v[24:25]
	scratch_load_b128 v[22:25], off, off offset:640
	v_add_f64_e32 v[151:152], v[151:152], v[157:158]
	v_add_f64_e32 v[149:150], v[149:150], v[155:156]
	v_fma_f64 v[155:156], v[4:5], v[26:27], v[159:160]
	v_fma_f64 v[157:158], v[2:3], v[26:27], -v[28:29]
	ds_load_b128 v[2:5], v1 offset:1232
	s_wait_loadcnt_dscnt 0x801
	v_mul_f64_e32 v[153:154], v[141:142], v[32:33]
	v_mul_f64_e32 v[32:33], v[143:144], v[32:33]
	scratch_load_b128 v[26:29], off, off offset:656
	s_wait_loadcnt_dscnt 0x800
	v_mul_f64_e32 v[159:160], v[2:3], v[36:37]
	v_mul_f64_e32 v[36:37], v[4:5], v[36:37]
	v_add_f64_e32 v[151:152], v[151:152], v[145:146]
	v_add_f64_e32 v[149:150], v[149:150], v[147:148]
	ds_load_b128 v[145:148], v1 offset:1248
	v_fma_f64 v[143:144], v[143:144], v[30:31], v[153:154]
	v_fma_f64 v[141:142], v[141:142], v[30:31], -v[32:33]
	scratch_load_b128 v[30:33], off, off offset:672
	v_add_f64_e32 v[151:152], v[151:152], v[157:158]
	v_add_f64_e32 v[149:150], v[149:150], v[155:156]
	v_fma_f64 v[157:158], v[4:5], v[34:35], v[159:160]
	v_fma_f64 v[159:160], v[2:3], v[34:35], -v[36:37]
	ds_load_b128 v[2:5], v1 offset:1264
	s_wait_loadcnt_dscnt 0x801
	v_mul_f64_e32 v[153:154], v[145:146], v[139:140]
	v_mul_f64_e32 v[155:156], v[147:148], v[139:140]
	scratch_load_b128 v[34:37], off, off offset:688
	v_add_f64_e32 v[151:152], v[151:152], v[141:142]
	v_add_f64_e32 v[143:144], v[149:150], v[143:144]
	s_wait_loadcnt_dscnt 0x800
	v_mul_f64_e32 v[149:150], v[2:3], v[40:41]
	v_mul_f64_e32 v[40:41], v[4:5], v[40:41]
	ds_load_b128 v[139:142], v1 offset:1280
	v_fma_f64 v[147:148], v[147:148], v[137:138], v[153:154]
	v_fma_f64 v[137:138], v[145:146], v[137:138], -v[155:156]
	v_add_f64_e32 v[151:152], v[151:152], v[159:160]
	v_add_f64_e32 v[153:154], v[143:144], v[157:158]
	scratch_load_b128 v[143:146], off, off offset:704
	v_fma_f64 v[157:158], v[4:5], v[38:39], v[149:150]
	v_fma_f64 v[159:160], v[2:3], v[38:39], -v[40:41]
	ds_load_b128 v[2:5], v1 offset:1296
	s_wait_loadcnt_dscnt 0x801
	v_mul_f64_e32 v[155:156], v[139:140], v[8:9]
	v_mul_f64_e32 v[8:9], v[141:142], v[8:9]
	scratch_load_b128 v[38:41], off, off offset:720
	v_add_f64_e32 v[137:138], v[151:152], v[137:138]
	v_add_f64_e32 v[151:152], v[153:154], v[147:148]
	s_wait_loadcnt_dscnt 0x800
	v_mul_f64_e32 v[153:154], v[2:3], v[12:13]
	v_mul_f64_e32 v[12:13], v[4:5], v[12:13]
	ds_load_b128 v[147:150], v1 offset:1312
	v_fma_f64 v[141:142], v[141:142], v[6:7], v[155:156]
	v_fma_f64 v[6:7], v[139:140], v[6:7], -v[8:9]
	s_wait_loadcnt_dscnt 0x700
	v_mul_f64_e32 v[139:140], v[147:148], v[16:17]
	v_mul_f64_e32 v[16:17], v[149:150], v[16:17]
	v_add_f64_e32 v[8:9], v[137:138], v[159:160]
	v_add_f64_e32 v[137:138], v[151:152], v[157:158]
	v_fma_f64 v[151:152], v[4:5], v[10:11], v[153:154]
	v_fma_f64 v[10:11], v[2:3], v[10:11], -v[12:13]
	v_fma_f64 v[139:140], v[149:150], v[14:15], v[139:140]
	v_fma_f64 v[14:15], v[147:148], v[14:15], -v[16:17]
	v_add_f64_e32 v[12:13], v[8:9], v[6:7]
	v_add_f64_e32 v[137:138], v[137:138], v[141:142]
	ds_load_b128 v[2:5], v1 offset:1328
	ds_load_b128 v[6:9], v1 offset:1344
	s_wait_loadcnt_dscnt 0x601
	v_mul_f64_e32 v[141:142], v[2:3], v[20:21]
	v_mul_f64_e32 v[20:21], v[4:5], v[20:21]
	s_wait_loadcnt_dscnt 0x500
	v_mul_f64_e32 v[16:17], v[6:7], v[24:25]
	v_mul_f64_e32 v[24:25], v[8:9], v[24:25]
	v_add_f64_e32 v[10:11], v[12:13], v[10:11]
	v_add_f64_e32 v[12:13], v[137:138], v[151:152]
	v_fma_f64 v[137:138], v[4:5], v[18:19], v[141:142]
	v_fma_f64 v[18:19], v[2:3], v[18:19], -v[20:21]
	v_fma_f64 v[8:9], v[8:9], v[22:23], v[16:17]
	v_fma_f64 v[6:7], v[6:7], v[22:23], -v[24:25]
	v_add_f64_e32 v[14:15], v[10:11], v[14:15]
	v_add_f64_e32 v[20:21], v[12:13], v[139:140]
	ds_load_b128 v[2:5], v1 offset:1360
	ds_load_b128 v[10:13], v1 offset:1376
	s_wait_loadcnt_dscnt 0x401
	v_mul_f64_e32 v[139:140], v[2:3], v[28:29]
	v_mul_f64_e32 v[28:29], v[4:5], v[28:29]
	v_add_f64_e32 v[14:15], v[14:15], v[18:19]
	v_add_f64_e32 v[16:17], v[20:21], v[137:138]
	s_wait_loadcnt_dscnt 0x300
	v_mul_f64_e32 v[18:19], v[10:11], v[32:33]
	v_mul_f64_e32 v[20:21], v[12:13], v[32:33]
	v_fma_f64 v[22:23], v[4:5], v[26:27], v[139:140]
	v_fma_f64 v[24:25], v[2:3], v[26:27], -v[28:29]
	v_add_f64_e32 v[14:15], v[14:15], v[6:7]
	v_add_f64_e32 v[16:17], v[16:17], v[8:9]
	ds_load_b128 v[2:5], v1 offset:1392
	ds_load_b128 v[6:9], v1 offset:1408
	v_fma_f64 v[12:13], v[12:13], v[30:31], v[18:19]
	v_fma_f64 v[10:11], v[10:11], v[30:31], -v[20:21]
	s_wait_loadcnt_dscnt 0x201
	v_mul_f64_e32 v[26:27], v[2:3], v[36:37]
	v_mul_f64_e32 v[28:29], v[4:5], v[36:37]
	v_add_f64_e32 v[14:15], v[14:15], v[24:25]
	v_add_f64_e32 v[16:17], v[16:17], v[22:23]
	s_wait_loadcnt_dscnt 0x100
	v_mul_f64_e32 v[18:19], v[6:7], v[145:146]
	v_mul_f64_e32 v[20:21], v[8:9], v[145:146]
	v_fma_f64 v[22:23], v[4:5], v[34:35], v[26:27]
	v_fma_f64 v[24:25], v[2:3], v[34:35], -v[28:29]
	ds_load_b128 v[2:5], v1 offset:1424
	v_add_f64_e32 v[10:11], v[14:15], v[10:11]
	v_add_f64_e32 v[12:13], v[16:17], v[12:13]
	s_wait_loadcnt_dscnt 0x0
	v_mul_f64_e32 v[14:15], v[2:3], v[40:41]
	v_mul_f64_e32 v[16:17], v[4:5], v[40:41]
	v_fma_f64 v[8:9], v[8:9], v[143:144], v[18:19]
	v_fma_f64 v[6:7], v[6:7], v[143:144], -v[20:21]
	v_add_f64_e32 v[10:11], v[10:11], v[24:25]
	v_add_f64_e32 v[12:13], v[12:13], v[22:23]
	v_fma_f64 v[4:5], v[4:5], v[38:39], v[14:15]
	v_fma_f64 v[2:3], v[2:3], v[38:39], -v[16:17]
	s_delay_alu instid0(VALU_DEP_4) | instskip(NEXT) | instid1(VALU_DEP_4)
	v_add_f64_e32 v[6:7], v[10:11], v[6:7]
	v_add_f64_e32 v[8:9], v[12:13], v[8:9]
	s_delay_alu instid0(VALU_DEP_2) | instskip(NEXT) | instid1(VALU_DEP_2)
	v_add_f64_e32 v[2:3], v[6:7], v[2:3]
	v_add_f64_e32 v[4:5], v[8:9], v[4:5]
	s_delay_alu instid0(VALU_DEP_2) | instskip(NEXT) | instid1(VALU_DEP_2)
	v_add_f64_e64 v[2:3], v[42:43], -v[2:3]
	v_add_f64_e64 v[4:5], v[44:45], -v[4:5]
	scratch_store_b128 off, v[2:5], off offset:64
	v_cmpx_lt_u32_e32 2, v0
	s_cbranch_execz .LBB108_279
; %bb.278:
	scratch_load_b128 v[5:8], off, s13
	v_dual_mov_b32 v2, v1 :: v_dual_mov_b32 v3, v1
	v_mov_b32_e32 v4, v1
	scratch_store_b128 off, v[1:4], off offset:48
	s_wait_loadcnt 0x0
	ds_store_b128 v136, v[5:8]
.LBB108_279:
	s_wait_alu 0xfffe
	s_or_b32 exec_lo, exec_lo, s0
	s_wait_storecnt_dscnt 0x0
	s_barrier_signal -1
	s_barrier_wait -1
	global_inv scope:SCOPE_SE
	s_clause 0x8
	scratch_load_b128 v[2:5], off, off offset:64
	scratch_load_b128 v[6:9], off, off offset:80
	scratch_load_b128 v[10:13], off, off offset:96
	scratch_load_b128 v[14:17], off, off offset:112
	scratch_load_b128 v[18:21], off, off offset:128
	scratch_load_b128 v[22:25], off, off offset:144
	scratch_load_b128 v[26:29], off, off offset:160
	scratch_load_b128 v[30:33], off, off offset:176
	scratch_load_b128 v[34:37], off, off offset:192
	ds_load_b128 v[42:45], v1 offset:768
	ds_load_b128 v[38:41], v1 offset:784
	s_clause 0x1
	scratch_load_b128 v[137:140], off, off offset:48
	scratch_load_b128 v[141:144], off, off offset:208
	s_mov_b32 s0, exec_lo
	s_wait_loadcnt_dscnt 0xa01
	v_mul_f64_e32 v[145:146], v[44:45], v[4:5]
	v_mul_f64_e32 v[4:5], v[42:43], v[4:5]
	s_wait_loadcnt_dscnt 0x900
	v_mul_f64_e32 v[149:150], v[38:39], v[8:9]
	v_mul_f64_e32 v[8:9], v[40:41], v[8:9]
	s_delay_alu instid0(VALU_DEP_4) | instskip(NEXT) | instid1(VALU_DEP_4)
	v_fma_f64 v[151:152], v[42:43], v[2:3], -v[145:146]
	v_fma_f64 v[153:154], v[44:45], v[2:3], v[4:5]
	ds_load_b128 v[2:5], v1 offset:800
	ds_load_b128 v[145:148], v1 offset:816
	scratch_load_b128 v[42:45], off, off offset:224
	v_fma_f64 v[40:41], v[40:41], v[6:7], v[149:150]
	v_fma_f64 v[38:39], v[38:39], v[6:7], -v[8:9]
	scratch_load_b128 v[6:9], off, off offset:240
	s_wait_loadcnt_dscnt 0xa01
	v_mul_f64_e32 v[155:156], v[2:3], v[12:13]
	v_mul_f64_e32 v[12:13], v[4:5], v[12:13]
	v_add_f64_e32 v[149:150], 0, v[151:152]
	v_add_f64_e32 v[151:152], 0, v[153:154]
	s_wait_loadcnt_dscnt 0x900
	v_mul_f64_e32 v[153:154], v[145:146], v[16:17]
	v_mul_f64_e32 v[16:17], v[147:148], v[16:17]
	v_fma_f64 v[155:156], v[4:5], v[10:11], v[155:156]
	v_fma_f64 v[157:158], v[2:3], v[10:11], -v[12:13]
	ds_load_b128 v[2:5], v1 offset:832
	scratch_load_b128 v[10:13], off, off offset:256
	v_add_f64_e32 v[149:150], v[149:150], v[38:39]
	v_add_f64_e32 v[151:152], v[151:152], v[40:41]
	ds_load_b128 v[38:41], v1 offset:848
	v_fma_f64 v[147:148], v[147:148], v[14:15], v[153:154]
	v_fma_f64 v[145:146], v[145:146], v[14:15], -v[16:17]
	scratch_load_b128 v[14:17], off, off offset:272
	s_wait_loadcnt_dscnt 0xa01
	v_mul_f64_e32 v[159:160], v[2:3], v[20:21]
	v_mul_f64_e32 v[20:21], v[4:5], v[20:21]
	s_wait_loadcnt_dscnt 0x900
	v_mul_f64_e32 v[153:154], v[38:39], v[24:25]
	v_mul_f64_e32 v[24:25], v[40:41], v[24:25]
	v_add_f64_e32 v[149:150], v[149:150], v[157:158]
	v_add_f64_e32 v[151:152], v[151:152], v[155:156]
	v_fma_f64 v[155:156], v[4:5], v[18:19], v[159:160]
	v_fma_f64 v[157:158], v[2:3], v[18:19], -v[20:21]
	ds_load_b128 v[2:5], v1 offset:864
	scratch_load_b128 v[18:21], off, off offset:288
	v_fma_f64 v[40:41], v[40:41], v[22:23], v[153:154]
	v_fma_f64 v[38:39], v[38:39], v[22:23], -v[24:25]
	scratch_load_b128 v[22:25], off, off offset:304
	v_add_f64_e32 v[149:150], v[149:150], v[145:146]
	v_add_f64_e32 v[151:152], v[151:152], v[147:148]
	ds_load_b128 v[145:148], v1 offset:880
	s_wait_loadcnt_dscnt 0xa01
	v_mul_f64_e32 v[159:160], v[2:3], v[28:29]
	v_mul_f64_e32 v[28:29], v[4:5], v[28:29]
	s_wait_loadcnt_dscnt 0x900
	v_mul_f64_e32 v[153:154], v[145:146], v[32:33]
	v_mul_f64_e32 v[32:33], v[147:148], v[32:33]
	v_add_f64_e32 v[149:150], v[149:150], v[157:158]
	v_add_f64_e32 v[151:152], v[151:152], v[155:156]
	v_fma_f64 v[155:156], v[4:5], v[26:27], v[159:160]
	v_fma_f64 v[157:158], v[2:3], v[26:27], -v[28:29]
	ds_load_b128 v[2:5], v1 offset:896
	scratch_load_b128 v[26:29], off, off offset:320
	v_fma_f64 v[147:148], v[147:148], v[30:31], v[153:154]
	v_fma_f64 v[145:146], v[145:146], v[30:31], -v[32:33]
	scratch_load_b128 v[30:33], off, off offset:336
	v_add_f64_e32 v[149:150], v[149:150], v[38:39]
	v_add_f64_e32 v[151:152], v[151:152], v[40:41]
	ds_load_b128 v[38:41], v1 offset:912
	s_wait_loadcnt_dscnt 0xa01
	v_mul_f64_e32 v[159:160], v[2:3], v[36:37]
	v_mul_f64_e32 v[36:37], v[4:5], v[36:37]
	s_wait_loadcnt_dscnt 0x800
	v_mul_f64_e32 v[153:154], v[38:39], v[143:144]
	v_add_f64_e32 v[149:150], v[149:150], v[157:158]
	v_add_f64_e32 v[151:152], v[151:152], v[155:156]
	v_mul_f64_e32 v[155:156], v[40:41], v[143:144]
	v_fma_f64 v[157:158], v[4:5], v[34:35], v[159:160]
	v_fma_f64 v[159:160], v[2:3], v[34:35], -v[36:37]
	ds_load_b128 v[2:5], v1 offset:928
	scratch_load_b128 v[34:37], off, off offset:352
	v_fma_f64 v[153:154], v[40:41], v[141:142], v[153:154]
	v_add_f64_e32 v[149:150], v[149:150], v[145:146]
	v_add_f64_e32 v[147:148], v[151:152], v[147:148]
	ds_load_b128 v[143:146], v1 offset:944
	v_fma_f64 v[141:142], v[38:39], v[141:142], -v[155:156]
	scratch_load_b128 v[38:41], off, off offset:368
	s_wait_loadcnt_dscnt 0x901
	v_mul_f64_e32 v[151:152], v[2:3], v[44:45]
	v_mul_f64_e32 v[44:45], v[4:5], v[44:45]
	s_wait_loadcnt_dscnt 0x800
	v_mul_f64_e32 v[155:156], v[143:144], v[8:9]
	v_mul_f64_e32 v[8:9], v[145:146], v[8:9]
	v_add_f64_e32 v[149:150], v[149:150], v[159:160]
	v_add_f64_e32 v[147:148], v[147:148], v[157:158]
	v_fma_f64 v[151:152], v[4:5], v[42:43], v[151:152]
	v_fma_f64 v[157:158], v[2:3], v[42:43], -v[44:45]
	ds_load_b128 v[2:5], v1 offset:960
	scratch_load_b128 v[42:45], off, off offset:384
	v_fma_f64 v[145:146], v[145:146], v[6:7], v[155:156]
	v_fma_f64 v[143:144], v[143:144], v[6:7], -v[8:9]
	scratch_load_b128 v[6:9], off, off offset:400
	v_add_f64_e32 v[141:142], v[149:150], v[141:142]
	v_add_f64_e32 v[153:154], v[147:148], v[153:154]
	ds_load_b128 v[147:150], v1 offset:976
	s_wait_loadcnt_dscnt 0x901
	v_mul_f64_e32 v[159:160], v[2:3], v[12:13]
	v_mul_f64_e32 v[12:13], v[4:5], v[12:13]
	v_add_f64_e32 v[141:142], v[141:142], v[157:158]
	v_add_f64_e32 v[151:152], v[153:154], v[151:152]
	s_wait_loadcnt_dscnt 0x800
	v_mul_f64_e32 v[153:154], v[147:148], v[16:17]
	v_mul_f64_e32 v[16:17], v[149:150], v[16:17]
	v_fma_f64 v[155:156], v[4:5], v[10:11], v[159:160]
	v_fma_f64 v[157:158], v[2:3], v[10:11], -v[12:13]
	ds_load_b128 v[2:5], v1 offset:992
	scratch_load_b128 v[10:13], off, off offset:416
	v_add_f64_e32 v[159:160], v[141:142], v[143:144]
	v_add_f64_e32 v[145:146], v[151:152], v[145:146]
	ds_load_b128 v[141:144], v1 offset:1008
	s_wait_loadcnt_dscnt 0x801
	v_mul_f64_e32 v[151:152], v[2:3], v[20:21]
	v_mul_f64_e32 v[20:21], v[4:5], v[20:21]
	v_fma_f64 v[149:150], v[149:150], v[14:15], v[153:154]
	v_fma_f64 v[147:148], v[147:148], v[14:15], -v[16:17]
	scratch_load_b128 v[14:17], off, off offset:432
	v_add_f64_e32 v[153:154], v[159:160], v[157:158]
	v_add_f64_e32 v[145:146], v[145:146], v[155:156]
	s_wait_loadcnt_dscnt 0x800
	v_mul_f64_e32 v[155:156], v[141:142], v[24:25]
	v_mul_f64_e32 v[24:25], v[143:144], v[24:25]
	v_fma_f64 v[151:152], v[4:5], v[18:19], v[151:152]
	v_fma_f64 v[157:158], v[2:3], v[18:19], -v[20:21]
	ds_load_b128 v[2:5], v1 offset:1024
	scratch_load_b128 v[18:21], off, off offset:448
	v_add_f64_e32 v[153:154], v[153:154], v[147:148]
	v_add_f64_e32 v[149:150], v[145:146], v[149:150]
	ds_load_b128 v[145:148], v1 offset:1040
	s_wait_loadcnt_dscnt 0x801
	v_mul_f64_e32 v[159:160], v[2:3], v[28:29]
	v_mul_f64_e32 v[28:29], v[4:5], v[28:29]
	v_fma_f64 v[143:144], v[143:144], v[22:23], v[155:156]
	v_fma_f64 v[141:142], v[141:142], v[22:23], -v[24:25]
	scratch_load_b128 v[22:25], off, off offset:464
	v_add_f64_e32 v[153:154], v[153:154], v[157:158]
	v_add_f64_e32 v[149:150], v[149:150], v[151:152]
	s_wait_loadcnt_dscnt 0x800
	v_mul_f64_e32 v[151:152], v[145:146], v[32:33]
	v_mul_f64_e32 v[32:33], v[147:148], v[32:33]
	v_fma_f64 v[155:156], v[4:5], v[26:27], v[159:160]
	v_fma_f64 v[157:158], v[2:3], v[26:27], -v[28:29]
	ds_load_b128 v[2:5], v1 offset:1056
	scratch_load_b128 v[26:29], off, off offset:480
	v_add_f64_e32 v[153:154], v[153:154], v[141:142]
	v_add_f64_e32 v[149:150], v[149:150], v[143:144]
	ds_load_b128 v[141:144], v1 offset:1072
	s_wait_loadcnt_dscnt 0x801
	v_mul_f64_e32 v[159:160], v[2:3], v[36:37]
	v_mul_f64_e32 v[36:37], v[4:5], v[36:37]
	v_fma_f64 v[147:148], v[147:148], v[30:31], v[151:152]
	v_fma_f64 v[145:146], v[145:146], v[30:31], -v[32:33]
	scratch_load_b128 v[30:33], off, off offset:496
	v_add_f64_e32 v[151:152], v[153:154], v[157:158]
	v_add_f64_e32 v[149:150], v[149:150], v[155:156]
	s_wait_loadcnt_dscnt 0x800
	v_mul_f64_e32 v[153:154], v[141:142], v[40:41]
	v_mul_f64_e32 v[40:41], v[143:144], v[40:41]
	v_fma_f64 v[155:156], v[4:5], v[34:35], v[159:160]
	v_fma_f64 v[157:158], v[2:3], v[34:35], -v[36:37]
	ds_load_b128 v[2:5], v1 offset:1088
	scratch_load_b128 v[34:37], off, off offset:512
	v_add_f64_e32 v[151:152], v[151:152], v[145:146]
	v_add_f64_e32 v[149:150], v[149:150], v[147:148]
	ds_load_b128 v[145:148], v1 offset:1104
	s_wait_loadcnt_dscnt 0x801
	v_mul_f64_e32 v[159:160], v[2:3], v[44:45]
	v_mul_f64_e32 v[44:45], v[4:5], v[44:45]
	v_fma_f64 v[143:144], v[143:144], v[38:39], v[153:154]
	v_fma_f64 v[141:142], v[141:142], v[38:39], -v[40:41]
	scratch_load_b128 v[38:41], off, off offset:528
	s_wait_loadcnt_dscnt 0x800
	v_mul_f64_e32 v[153:154], v[145:146], v[8:9]
	v_mul_f64_e32 v[8:9], v[147:148], v[8:9]
	v_add_f64_e32 v[151:152], v[151:152], v[157:158]
	v_add_f64_e32 v[149:150], v[149:150], v[155:156]
	v_fma_f64 v[155:156], v[4:5], v[42:43], v[159:160]
	v_fma_f64 v[157:158], v[2:3], v[42:43], -v[44:45]
	ds_load_b128 v[2:5], v1 offset:1120
	scratch_load_b128 v[42:45], off, off offset:544
	v_fma_f64 v[147:148], v[147:148], v[6:7], v[153:154]
	v_fma_f64 v[145:146], v[145:146], v[6:7], -v[8:9]
	scratch_load_b128 v[6:9], off, off offset:560
	v_add_f64_e32 v[151:152], v[151:152], v[141:142]
	v_add_f64_e32 v[149:150], v[149:150], v[143:144]
	ds_load_b128 v[141:144], v1 offset:1136
	s_wait_loadcnt_dscnt 0x901
	v_mul_f64_e32 v[159:160], v[2:3], v[12:13]
	v_mul_f64_e32 v[12:13], v[4:5], v[12:13]
	s_wait_loadcnt_dscnt 0x800
	v_mul_f64_e32 v[153:154], v[141:142], v[16:17]
	v_mul_f64_e32 v[16:17], v[143:144], v[16:17]
	v_add_f64_e32 v[151:152], v[151:152], v[157:158]
	v_add_f64_e32 v[149:150], v[149:150], v[155:156]
	v_fma_f64 v[155:156], v[4:5], v[10:11], v[159:160]
	v_fma_f64 v[157:158], v[2:3], v[10:11], -v[12:13]
	ds_load_b128 v[2:5], v1 offset:1152
	scratch_load_b128 v[10:13], off, off offset:576
	v_fma_f64 v[143:144], v[143:144], v[14:15], v[153:154]
	v_fma_f64 v[141:142], v[141:142], v[14:15], -v[16:17]
	scratch_load_b128 v[14:17], off, off offset:592
	v_add_f64_e32 v[151:152], v[151:152], v[145:146]
	v_add_f64_e32 v[149:150], v[149:150], v[147:148]
	ds_load_b128 v[145:148], v1 offset:1168
	s_wait_loadcnt_dscnt 0x901
	v_mul_f64_e32 v[159:160], v[2:3], v[20:21]
	v_mul_f64_e32 v[20:21], v[4:5], v[20:21]
	;; [unrolled: 18-line block ×6, first 2 shown]
	s_wait_loadcnt_dscnt 0x800
	v_mul_f64_e32 v[153:154], v[145:146], v[16:17]
	v_mul_f64_e32 v[16:17], v[147:148], v[16:17]
	v_add_f64_e32 v[151:152], v[151:152], v[157:158]
	v_add_f64_e32 v[149:150], v[149:150], v[155:156]
	v_fma_f64 v[155:156], v[4:5], v[10:11], v[159:160]
	v_fma_f64 v[157:158], v[2:3], v[10:11], -v[12:13]
	ds_load_b128 v[2:5], v1 offset:1312
	ds_load_b128 v[10:13], v1 offset:1328
	v_fma_f64 v[147:148], v[147:148], v[14:15], v[153:154]
	v_fma_f64 v[14:15], v[145:146], v[14:15], -v[16:17]
	v_add_f64_e32 v[141:142], v[151:152], v[141:142]
	v_add_f64_e32 v[143:144], v[149:150], v[143:144]
	s_wait_loadcnt_dscnt 0x701
	v_mul_f64_e32 v[149:150], v[2:3], v[20:21]
	v_mul_f64_e32 v[20:21], v[4:5], v[20:21]
	s_delay_alu instid0(VALU_DEP_4) | instskip(NEXT) | instid1(VALU_DEP_4)
	v_add_f64_e32 v[16:17], v[141:142], v[157:158]
	v_add_f64_e32 v[141:142], v[143:144], v[155:156]
	s_wait_loadcnt_dscnt 0x600
	v_mul_f64_e32 v[143:144], v[10:11], v[24:25]
	v_mul_f64_e32 v[24:25], v[12:13], v[24:25]
	v_fma_f64 v[145:146], v[4:5], v[18:19], v[149:150]
	v_fma_f64 v[18:19], v[2:3], v[18:19], -v[20:21]
	v_add_f64_e32 v[20:21], v[16:17], v[14:15]
	v_add_f64_e32 v[141:142], v[141:142], v[147:148]
	ds_load_b128 v[2:5], v1 offset:1344
	ds_load_b128 v[14:17], v1 offset:1360
	v_fma_f64 v[12:13], v[12:13], v[22:23], v[143:144]
	v_fma_f64 v[10:11], v[10:11], v[22:23], -v[24:25]
	s_wait_loadcnt_dscnt 0x501
	v_mul_f64_e32 v[147:148], v[2:3], v[28:29]
	v_mul_f64_e32 v[28:29], v[4:5], v[28:29]
	s_wait_loadcnt_dscnt 0x400
	v_mul_f64_e32 v[22:23], v[14:15], v[32:33]
	v_mul_f64_e32 v[24:25], v[16:17], v[32:33]
	v_add_f64_e32 v[18:19], v[20:21], v[18:19]
	v_add_f64_e32 v[20:21], v[141:142], v[145:146]
	v_fma_f64 v[32:33], v[4:5], v[26:27], v[147:148]
	v_fma_f64 v[26:27], v[2:3], v[26:27], -v[28:29]
	v_fma_f64 v[16:17], v[16:17], v[30:31], v[22:23]
	v_fma_f64 v[14:15], v[14:15], v[30:31], -v[24:25]
	v_add_f64_e32 v[18:19], v[18:19], v[10:11]
	v_add_f64_e32 v[20:21], v[20:21], v[12:13]
	ds_load_b128 v[2:5], v1 offset:1376
	ds_load_b128 v[10:13], v1 offset:1392
	s_wait_loadcnt_dscnt 0x301
	v_mul_f64_e32 v[28:29], v[2:3], v[36:37]
	v_mul_f64_e32 v[36:37], v[4:5], v[36:37]
	s_wait_loadcnt_dscnt 0x200
	v_mul_f64_e32 v[22:23], v[10:11], v[40:41]
	v_mul_f64_e32 v[24:25], v[12:13], v[40:41]
	v_add_f64_e32 v[18:19], v[18:19], v[26:27]
	v_add_f64_e32 v[20:21], v[20:21], v[32:33]
	v_fma_f64 v[26:27], v[4:5], v[34:35], v[28:29]
	v_fma_f64 v[28:29], v[2:3], v[34:35], -v[36:37]
	v_fma_f64 v[12:13], v[12:13], v[38:39], v[22:23]
	v_fma_f64 v[10:11], v[10:11], v[38:39], -v[24:25]
	v_add_f64_e32 v[18:19], v[18:19], v[14:15]
	v_add_f64_e32 v[20:21], v[20:21], v[16:17]
	ds_load_b128 v[2:5], v1 offset:1408
	ds_load_b128 v[14:17], v1 offset:1424
	s_wait_loadcnt_dscnt 0x101
	v_mul_f64_e32 v[30:31], v[2:3], v[44:45]
	v_mul_f64_e32 v[32:33], v[4:5], v[44:45]
	s_wait_loadcnt_dscnt 0x0
	v_mul_f64_e32 v[22:23], v[14:15], v[8:9]
	v_mul_f64_e32 v[8:9], v[16:17], v[8:9]
	v_add_f64_e32 v[18:19], v[18:19], v[28:29]
	v_add_f64_e32 v[20:21], v[20:21], v[26:27]
	v_fma_f64 v[4:5], v[4:5], v[42:43], v[30:31]
	v_fma_f64 v[1:2], v[2:3], v[42:43], -v[32:33]
	v_fma_f64 v[16:17], v[16:17], v[6:7], v[22:23]
	v_fma_f64 v[6:7], v[14:15], v[6:7], -v[8:9]
	v_add_f64_e32 v[10:11], v[18:19], v[10:11]
	v_add_f64_e32 v[12:13], v[20:21], v[12:13]
	s_delay_alu instid0(VALU_DEP_2) | instskip(NEXT) | instid1(VALU_DEP_2)
	v_add_f64_e32 v[1:2], v[10:11], v[1:2]
	v_add_f64_e32 v[3:4], v[12:13], v[4:5]
	s_delay_alu instid0(VALU_DEP_2) | instskip(NEXT) | instid1(VALU_DEP_2)
	;; [unrolled: 3-line block ×3, first 2 shown]
	v_add_f64_e64 v[1:2], v[137:138], -v[1:2]
	v_add_f64_e64 v[3:4], v[139:140], -v[3:4]
	scratch_store_b128 off, v[1:4], off offset:48
	v_cmpx_lt_u32_e32 1, v0
	s_cbranch_execz .LBB108_281
; %bb.280:
	scratch_load_b128 v[1:4], off, s15
	v_mov_b32_e32 v5, 0
	s_delay_alu instid0(VALU_DEP_1)
	v_dual_mov_b32 v6, v5 :: v_dual_mov_b32 v7, v5
	v_mov_b32_e32 v8, v5
	scratch_store_b128 off, v[5:8], off offset:32
	s_wait_loadcnt 0x0
	ds_store_b128 v136, v[1:4]
.LBB108_281:
	s_wait_alu 0xfffe
	s_or_b32 exec_lo, exec_lo, s0
	s_wait_storecnt_dscnt 0x0
	s_barrier_signal -1
	s_barrier_wait -1
	global_inv scope:SCOPE_SE
	s_clause 0x7
	scratch_load_b128 v[2:5], off, off offset:48
	scratch_load_b128 v[6:9], off, off offset:64
	;; [unrolled: 1-line block ×8, first 2 shown]
	v_mov_b32_e32 v1, 0
	s_mov_b32 s0, exec_lo
	ds_load_b128 v[38:41], v1 offset:752
	s_clause 0x1
	scratch_load_b128 v[34:37], off, off offset:176
	scratch_load_b128 v[42:45], off, off offset:32
	ds_load_b128 v[137:140], v1 offset:768
	scratch_load_b128 v[141:144], off, off offset:192
	s_wait_loadcnt_dscnt 0xa01
	v_mul_f64_e32 v[145:146], v[40:41], v[4:5]
	v_mul_f64_e32 v[4:5], v[38:39], v[4:5]
	s_delay_alu instid0(VALU_DEP_2) | instskip(NEXT) | instid1(VALU_DEP_2)
	v_fma_f64 v[151:152], v[38:39], v[2:3], -v[145:146]
	v_fma_f64 v[153:154], v[40:41], v[2:3], v[4:5]
	ds_load_b128 v[2:5], v1 offset:784
	s_wait_loadcnt_dscnt 0x901
	v_mul_f64_e32 v[149:150], v[137:138], v[8:9]
	v_mul_f64_e32 v[8:9], v[139:140], v[8:9]
	scratch_load_b128 v[38:41], off, off offset:208
	ds_load_b128 v[145:148], v1 offset:800
	s_wait_loadcnt_dscnt 0x901
	v_mul_f64_e32 v[155:156], v[2:3], v[12:13]
	v_mul_f64_e32 v[12:13], v[4:5], v[12:13]
	v_fma_f64 v[139:140], v[139:140], v[6:7], v[149:150]
	v_fma_f64 v[137:138], v[137:138], v[6:7], -v[8:9]
	v_add_f64_e32 v[149:150], 0, v[151:152]
	v_add_f64_e32 v[151:152], 0, v[153:154]
	scratch_load_b128 v[6:9], off, off offset:224
	v_fma_f64 v[155:156], v[4:5], v[10:11], v[155:156]
	v_fma_f64 v[157:158], v[2:3], v[10:11], -v[12:13]
	ds_load_b128 v[2:5], v1 offset:816
	s_wait_loadcnt_dscnt 0x901
	v_mul_f64_e32 v[153:154], v[145:146], v[16:17]
	v_mul_f64_e32 v[16:17], v[147:148], v[16:17]
	scratch_load_b128 v[10:13], off, off offset:240
	v_add_f64_e32 v[149:150], v[149:150], v[137:138]
	v_add_f64_e32 v[151:152], v[151:152], v[139:140]
	s_wait_loadcnt_dscnt 0x900
	v_mul_f64_e32 v[159:160], v[2:3], v[20:21]
	v_mul_f64_e32 v[20:21], v[4:5], v[20:21]
	ds_load_b128 v[137:140], v1 offset:832
	v_fma_f64 v[147:148], v[147:148], v[14:15], v[153:154]
	v_fma_f64 v[145:146], v[145:146], v[14:15], -v[16:17]
	scratch_load_b128 v[14:17], off, off offset:256
	v_add_f64_e32 v[149:150], v[149:150], v[157:158]
	v_add_f64_e32 v[151:152], v[151:152], v[155:156]
	v_fma_f64 v[155:156], v[4:5], v[18:19], v[159:160]
	v_fma_f64 v[157:158], v[2:3], v[18:19], -v[20:21]
	ds_load_b128 v[2:5], v1 offset:848
	s_wait_loadcnt_dscnt 0x901
	v_mul_f64_e32 v[153:154], v[137:138], v[24:25]
	v_mul_f64_e32 v[24:25], v[139:140], v[24:25]
	scratch_load_b128 v[18:21], off, off offset:272
	s_wait_loadcnt_dscnt 0x900
	v_mul_f64_e32 v[159:160], v[2:3], v[28:29]
	v_mul_f64_e32 v[28:29], v[4:5], v[28:29]
	v_add_f64_e32 v[149:150], v[149:150], v[145:146]
	v_add_f64_e32 v[151:152], v[151:152], v[147:148]
	ds_load_b128 v[145:148], v1 offset:864
	v_fma_f64 v[139:140], v[139:140], v[22:23], v[153:154]
	v_fma_f64 v[137:138], v[137:138], v[22:23], -v[24:25]
	scratch_load_b128 v[22:25], off, off offset:288
	v_add_f64_e32 v[149:150], v[149:150], v[157:158]
	v_add_f64_e32 v[151:152], v[151:152], v[155:156]
	v_fma_f64 v[155:156], v[4:5], v[26:27], v[159:160]
	v_fma_f64 v[157:158], v[2:3], v[26:27], -v[28:29]
	ds_load_b128 v[2:5], v1 offset:880
	s_wait_loadcnt_dscnt 0x901
	v_mul_f64_e32 v[153:154], v[145:146], v[32:33]
	v_mul_f64_e32 v[32:33], v[147:148], v[32:33]
	scratch_load_b128 v[26:29], off, off offset:304
	s_wait_loadcnt_dscnt 0x900
	v_mul_f64_e32 v[159:160], v[2:3], v[36:37]
	v_mul_f64_e32 v[36:37], v[4:5], v[36:37]
	v_add_f64_e32 v[149:150], v[149:150], v[137:138]
	v_add_f64_e32 v[151:152], v[151:152], v[139:140]
	ds_load_b128 v[137:140], v1 offset:896
	v_fma_f64 v[147:148], v[147:148], v[30:31], v[153:154]
	v_fma_f64 v[145:146], v[145:146], v[30:31], -v[32:33]
	scratch_load_b128 v[30:33], off, off offset:320
	v_add_f64_e32 v[149:150], v[149:150], v[157:158]
	v_add_f64_e32 v[151:152], v[151:152], v[155:156]
	v_fma_f64 v[157:158], v[4:5], v[34:35], v[159:160]
	v_fma_f64 v[159:160], v[2:3], v[34:35], -v[36:37]
	ds_load_b128 v[2:5], v1 offset:912
	s_wait_loadcnt_dscnt 0x801
	v_mul_f64_e32 v[153:154], v[137:138], v[143:144]
	v_mul_f64_e32 v[155:156], v[139:140], v[143:144]
	scratch_load_b128 v[34:37], off, off offset:336
	v_add_f64_e32 v[149:150], v[149:150], v[145:146]
	v_add_f64_e32 v[147:148], v[151:152], v[147:148]
	ds_load_b128 v[143:146], v1 offset:928
	v_fma_f64 v[153:154], v[139:140], v[141:142], v[153:154]
	v_fma_f64 v[141:142], v[137:138], v[141:142], -v[155:156]
	scratch_load_b128 v[137:140], off, off offset:352
	s_wait_loadcnt_dscnt 0x901
	v_mul_f64_e32 v[151:152], v[2:3], v[40:41]
	v_mul_f64_e32 v[40:41], v[4:5], v[40:41]
	v_add_f64_e32 v[149:150], v[149:150], v[159:160]
	v_add_f64_e32 v[147:148], v[147:148], v[157:158]
	s_delay_alu instid0(VALU_DEP_4) | instskip(NEXT) | instid1(VALU_DEP_4)
	v_fma_f64 v[151:152], v[4:5], v[38:39], v[151:152]
	v_fma_f64 v[157:158], v[2:3], v[38:39], -v[40:41]
	ds_load_b128 v[2:5], v1 offset:944
	s_wait_loadcnt_dscnt 0x801
	v_mul_f64_e32 v[155:156], v[143:144], v[8:9]
	v_mul_f64_e32 v[8:9], v[145:146], v[8:9]
	scratch_load_b128 v[38:41], off, off offset:368
	s_wait_loadcnt_dscnt 0x800
	v_mul_f64_e32 v[159:160], v[2:3], v[12:13]
	v_add_f64_e32 v[141:142], v[149:150], v[141:142]
	v_add_f64_e32 v[153:154], v[147:148], v[153:154]
	v_mul_f64_e32 v[12:13], v[4:5], v[12:13]
	ds_load_b128 v[147:150], v1 offset:960
	v_fma_f64 v[145:146], v[145:146], v[6:7], v[155:156]
	v_fma_f64 v[143:144], v[143:144], v[6:7], -v[8:9]
	scratch_load_b128 v[6:9], off, off offset:384
	v_fma_f64 v[155:156], v[4:5], v[10:11], v[159:160]
	v_add_f64_e32 v[141:142], v[141:142], v[157:158]
	v_add_f64_e32 v[151:152], v[153:154], v[151:152]
	v_fma_f64 v[157:158], v[2:3], v[10:11], -v[12:13]
	ds_load_b128 v[2:5], v1 offset:976
	s_wait_loadcnt_dscnt 0x801
	v_mul_f64_e32 v[153:154], v[147:148], v[16:17]
	v_mul_f64_e32 v[16:17], v[149:150], v[16:17]
	scratch_load_b128 v[10:13], off, off offset:400
	v_add_f64_e32 v[159:160], v[141:142], v[143:144]
	v_add_f64_e32 v[145:146], v[151:152], v[145:146]
	s_wait_loadcnt_dscnt 0x800
	v_mul_f64_e32 v[151:152], v[2:3], v[20:21]
	v_mul_f64_e32 v[20:21], v[4:5], v[20:21]
	v_fma_f64 v[149:150], v[149:150], v[14:15], v[153:154]
	v_fma_f64 v[147:148], v[147:148], v[14:15], -v[16:17]
	ds_load_b128 v[141:144], v1 offset:992
	scratch_load_b128 v[14:17], off, off offset:416
	v_add_f64_e32 v[153:154], v[159:160], v[157:158]
	v_add_f64_e32 v[145:146], v[145:146], v[155:156]
	v_fma_f64 v[151:152], v[4:5], v[18:19], v[151:152]
	v_fma_f64 v[157:158], v[2:3], v[18:19], -v[20:21]
	ds_load_b128 v[2:5], v1 offset:1008
	s_wait_loadcnt_dscnt 0x801
	v_mul_f64_e32 v[155:156], v[141:142], v[24:25]
	v_mul_f64_e32 v[24:25], v[143:144], v[24:25]
	scratch_load_b128 v[18:21], off, off offset:432
	s_wait_loadcnt_dscnt 0x800
	v_mul_f64_e32 v[159:160], v[2:3], v[28:29]
	v_mul_f64_e32 v[28:29], v[4:5], v[28:29]
	v_add_f64_e32 v[153:154], v[153:154], v[147:148]
	v_add_f64_e32 v[149:150], v[145:146], v[149:150]
	ds_load_b128 v[145:148], v1 offset:1024
	v_fma_f64 v[143:144], v[143:144], v[22:23], v[155:156]
	v_fma_f64 v[141:142], v[141:142], v[22:23], -v[24:25]
	scratch_load_b128 v[22:25], off, off offset:448
	v_fma_f64 v[155:156], v[4:5], v[26:27], v[159:160]
	v_add_f64_e32 v[153:154], v[153:154], v[157:158]
	v_add_f64_e32 v[149:150], v[149:150], v[151:152]
	v_fma_f64 v[157:158], v[2:3], v[26:27], -v[28:29]
	ds_load_b128 v[2:5], v1 offset:1040
	s_wait_loadcnt_dscnt 0x801
	v_mul_f64_e32 v[151:152], v[145:146], v[32:33]
	v_mul_f64_e32 v[32:33], v[147:148], v[32:33]
	scratch_load_b128 v[26:29], off, off offset:464
	s_wait_loadcnt_dscnt 0x800
	v_mul_f64_e32 v[159:160], v[2:3], v[36:37]
	v_mul_f64_e32 v[36:37], v[4:5], v[36:37]
	v_add_f64_e32 v[153:154], v[153:154], v[141:142]
	v_add_f64_e32 v[149:150], v[149:150], v[143:144]
	ds_load_b128 v[141:144], v1 offset:1056
	v_fma_f64 v[147:148], v[147:148], v[30:31], v[151:152]
	v_fma_f64 v[145:146], v[145:146], v[30:31], -v[32:33]
	scratch_load_b128 v[30:33], off, off offset:480
	v_add_f64_e32 v[151:152], v[153:154], v[157:158]
	v_add_f64_e32 v[149:150], v[149:150], v[155:156]
	v_fma_f64 v[155:156], v[4:5], v[34:35], v[159:160]
	v_fma_f64 v[157:158], v[2:3], v[34:35], -v[36:37]
	ds_load_b128 v[2:5], v1 offset:1072
	s_wait_loadcnt_dscnt 0x801
	v_mul_f64_e32 v[153:154], v[141:142], v[139:140]
	v_mul_f64_e32 v[139:140], v[143:144], v[139:140]
	scratch_load_b128 v[34:37], off, off offset:496
	s_wait_loadcnt_dscnt 0x800
	v_mul_f64_e32 v[159:160], v[2:3], v[40:41]
	v_mul_f64_e32 v[40:41], v[4:5], v[40:41]
	v_add_f64_e32 v[151:152], v[151:152], v[145:146]
	v_add_f64_e32 v[149:150], v[149:150], v[147:148]
	ds_load_b128 v[145:148], v1 offset:1088
	v_fma_f64 v[143:144], v[143:144], v[137:138], v[153:154]
	v_fma_f64 v[141:142], v[141:142], v[137:138], -v[139:140]
	scratch_load_b128 v[137:140], off, off offset:512
	v_add_f64_e32 v[151:152], v[151:152], v[157:158]
	v_add_f64_e32 v[149:150], v[149:150], v[155:156]
	v_fma_f64 v[155:156], v[4:5], v[38:39], v[159:160]
	;; [unrolled: 18-line block ×6, first 2 shown]
	v_fma_f64 v[159:160], v[2:3], v[34:35], -v[36:37]
	ds_load_b128 v[2:5], v1 offset:1232
	s_wait_loadcnt_dscnt 0x801
	v_mul_f64_e32 v[153:154], v[145:146], v[139:140]
	v_mul_f64_e32 v[155:156], v[147:148], v[139:140]
	scratch_load_b128 v[34:37], off, off offset:656
	v_add_f64_e32 v[151:152], v[151:152], v[141:142]
	v_add_f64_e32 v[143:144], v[149:150], v[143:144]
	s_wait_loadcnt_dscnt 0x800
	v_mul_f64_e32 v[149:150], v[2:3], v[40:41]
	v_mul_f64_e32 v[40:41], v[4:5], v[40:41]
	ds_load_b128 v[139:142], v1 offset:1248
	v_fma_f64 v[147:148], v[147:148], v[137:138], v[153:154]
	v_fma_f64 v[137:138], v[145:146], v[137:138], -v[155:156]
	v_add_f64_e32 v[151:152], v[151:152], v[159:160]
	v_add_f64_e32 v[153:154], v[143:144], v[157:158]
	scratch_load_b128 v[143:146], off, off offset:672
	v_fma_f64 v[157:158], v[4:5], v[38:39], v[149:150]
	v_fma_f64 v[159:160], v[2:3], v[38:39], -v[40:41]
	ds_load_b128 v[2:5], v1 offset:1264
	s_wait_loadcnt_dscnt 0x801
	v_mul_f64_e32 v[155:156], v[139:140], v[8:9]
	v_mul_f64_e32 v[8:9], v[141:142], v[8:9]
	scratch_load_b128 v[38:41], off, off offset:688
	v_add_f64_e32 v[137:138], v[151:152], v[137:138]
	v_add_f64_e32 v[151:152], v[153:154], v[147:148]
	s_wait_loadcnt_dscnt 0x800
	v_mul_f64_e32 v[153:154], v[2:3], v[12:13]
	v_mul_f64_e32 v[12:13], v[4:5], v[12:13]
	ds_load_b128 v[147:150], v1 offset:1280
	v_fma_f64 v[141:142], v[141:142], v[6:7], v[155:156]
	v_fma_f64 v[139:140], v[139:140], v[6:7], -v[8:9]
	scratch_load_b128 v[6:9], off, off offset:704
	v_add_f64_e32 v[137:138], v[137:138], v[159:160]
	v_add_f64_e32 v[151:152], v[151:152], v[157:158]
	v_fma_f64 v[153:154], v[4:5], v[10:11], v[153:154]
	v_fma_f64 v[157:158], v[2:3], v[10:11], -v[12:13]
	ds_load_b128 v[2:5], v1 offset:1296
	s_wait_loadcnt_dscnt 0x801
	v_mul_f64_e32 v[155:156], v[147:148], v[16:17]
	v_mul_f64_e32 v[16:17], v[149:150], v[16:17]
	scratch_load_b128 v[10:13], off, off offset:720
	v_add_f64_e32 v[159:160], v[137:138], v[139:140]
	v_add_f64_e32 v[141:142], v[151:152], v[141:142]
	s_wait_loadcnt_dscnt 0x800
	v_mul_f64_e32 v[151:152], v[2:3], v[20:21]
	v_mul_f64_e32 v[20:21], v[4:5], v[20:21]
	ds_load_b128 v[137:140], v1 offset:1312
	v_fma_f64 v[149:150], v[149:150], v[14:15], v[155:156]
	v_fma_f64 v[14:15], v[147:148], v[14:15], -v[16:17]
	s_wait_loadcnt_dscnt 0x700
	v_mul_f64_e32 v[147:148], v[137:138], v[24:25]
	v_mul_f64_e32 v[24:25], v[139:140], v[24:25]
	v_add_f64_e32 v[16:17], v[159:160], v[157:158]
	v_add_f64_e32 v[141:142], v[141:142], v[153:154]
	v_fma_f64 v[151:152], v[4:5], v[18:19], v[151:152]
	v_fma_f64 v[18:19], v[2:3], v[18:19], -v[20:21]
	v_fma_f64 v[139:140], v[139:140], v[22:23], v[147:148]
	v_fma_f64 v[22:23], v[137:138], v[22:23], -v[24:25]
	v_add_f64_e32 v[20:21], v[16:17], v[14:15]
	v_add_f64_e32 v[141:142], v[141:142], v[149:150]
	ds_load_b128 v[2:5], v1 offset:1328
	ds_load_b128 v[14:17], v1 offset:1344
	s_wait_loadcnt_dscnt 0x601
	v_mul_f64_e32 v[149:150], v[2:3], v[28:29]
	v_mul_f64_e32 v[28:29], v[4:5], v[28:29]
	s_wait_loadcnt_dscnt 0x500
	v_mul_f64_e32 v[24:25], v[14:15], v[32:33]
	v_mul_f64_e32 v[32:33], v[16:17], v[32:33]
	v_add_f64_e32 v[18:19], v[20:21], v[18:19]
	v_add_f64_e32 v[20:21], v[141:142], v[151:152]
	v_fma_f64 v[137:138], v[4:5], v[26:27], v[149:150]
	v_fma_f64 v[26:27], v[2:3], v[26:27], -v[28:29]
	v_fma_f64 v[16:17], v[16:17], v[30:31], v[24:25]
	v_fma_f64 v[14:15], v[14:15], v[30:31], -v[32:33]
	v_add_f64_e32 v[22:23], v[18:19], v[22:23]
	v_add_f64_e32 v[28:29], v[20:21], v[139:140]
	ds_load_b128 v[2:5], v1 offset:1360
	ds_load_b128 v[18:21], v1 offset:1376
	s_wait_loadcnt_dscnt 0x401
	v_mul_f64_e32 v[139:140], v[2:3], v[36:37]
	v_mul_f64_e32 v[36:37], v[4:5], v[36:37]
	v_add_f64_e32 v[22:23], v[22:23], v[26:27]
	v_add_f64_e32 v[24:25], v[28:29], v[137:138]
	s_wait_loadcnt_dscnt 0x300
	v_mul_f64_e32 v[26:27], v[18:19], v[145:146]
	v_mul_f64_e32 v[28:29], v[20:21], v[145:146]
	v_fma_f64 v[30:31], v[4:5], v[34:35], v[139:140]
	v_fma_f64 v[32:33], v[2:3], v[34:35], -v[36:37]
	v_add_f64_e32 v[22:23], v[22:23], v[14:15]
	v_add_f64_e32 v[24:25], v[24:25], v[16:17]
	ds_load_b128 v[2:5], v1 offset:1392
	ds_load_b128 v[14:17], v1 offset:1408
	v_fma_f64 v[20:21], v[20:21], v[143:144], v[26:27]
	v_fma_f64 v[18:19], v[18:19], v[143:144], -v[28:29]
	s_wait_loadcnt_dscnt 0x201
	v_mul_f64_e32 v[34:35], v[2:3], v[40:41]
	v_mul_f64_e32 v[36:37], v[4:5], v[40:41]
	s_wait_loadcnt_dscnt 0x100
	v_mul_f64_e32 v[26:27], v[14:15], v[8:9]
	v_mul_f64_e32 v[8:9], v[16:17], v[8:9]
	v_add_f64_e32 v[22:23], v[22:23], v[32:33]
	v_add_f64_e32 v[24:25], v[24:25], v[30:31]
	v_fma_f64 v[28:29], v[4:5], v[38:39], v[34:35]
	v_fma_f64 v[30:31], v[2:3], v[38:39], -v[36:37]
	ds_load_b128 v[2:5], v1 offset:1424
	v_fma_f64 v[16:17], v[16:17], v[6:7], v[26:27]
	v_fma_f64 v[6:7], v[14:15], v[6:7], -v[8:9]
	v_add_f64_e32 v[18:19], v[22:23], v[18:19]
	v_add_f64_e32 v[20:21], v[24:25], v[20:21]
	s_wait_loadcnt_dscnt 0x0
	v_mul_f64_e32 v[22:23], v[2:3], v[12:13]
	v_mul_f64_e32 v[12:13], v[4:5], v[12:13]
	s_delay_alu instid0(VALU_DEP_4) | instskip(NEXT) | instid1(VALU_DEP_4)
	v_add_f64_e32 v[8:9], v[18:19], v[30:31]
	v_add_f64_e32 v[14:15], v[20:21], v[28:29]
	s_delay_alu instid0(VALU_DEP_4) | instskip(NEXT) | instid1(VALU_DEP_4)
	v_fma_f64 v[4:5], v[4:5], v[10:11], v[22:23]
	v_fma_f64 v[2:3], v[2:3], v[10:11], -v[12:13]
	s_delay_alu instid0(VALU_DEP_4) | instskip(NEXT) | instid1(VALU_DEP_4)
	v_add_f64_e32 v[6:7], v[8:9], v[6:7]
	v_add_f64_e32 v[8:9], v[14:15], v[16:17]
	s_delay_alu instid0(VALU_DEP_2) | instskip(NEXT) | instid1(VALU_DEP_2)
	v_add_f64_e32 v[2:3], v[6:7], v[2:3]
	v_add_f64_e32 v[4:5], v[8:9], v[4:5]
	s_delay_alu instid0(VALU_DEP_2) | instskip(NEXT) | instid1(VALU_DEP_2)
	v_add_f64_e64 v[2:3], v[42:43], -v[2:3]
	v_add_f64_e64 v[4:5], v[44:45], -v[4:5]
	scratch_store_b128 off, v[2:5], off offset:32
	v_cmpx_ne_u32_e32 0, v0
	s_cbranch_execz .LBB108_283
; %bb.282:
	scratch_load_b128 v[5:8], off, off offset:16
	v_dual_mov_b32 v2, v1 :: v_dual_mov_b32 v3, v1
	v_mov_b32_e32 v4, v1
	scratch_store_b128 off, v[1:4], off offset:16
	s_wait_loadcnt 0x0
	ds_store_b128 v136, v[5:8]
.LBB108_283:
	s_wait_alu 0xfffe
	s_or_b32 exec_lo, exec_lo, s0
	s_wait_storecnt_dscnt 0x0
	s_barrier_signal -1
	s_barrier_wait -1
	global_inv scope:SCOPE_SE
	s_clause 0x8
	scratch_load_b128 v[2:5], off, off offset:32
	scratch_load_b128 v[6:9], off, off offset:48
	;; [unrolled: 1-line block ×9, first 2 shown]
	ds_load_b128 v[42:45], v1 offset:736
	ds_load_b128 v[38:41], v1 offset:752
	s_clause 0x1
	scratch_load_b128 v[136:139], off, off offset:16
	scratch_load_b128 v[140:143], off, off offset:176
	s_and_b32 vcc_lo, exec_lo, s12
	s_wait_loadcnt_dscnt 0xa01
	v_mul_f64_e32 v[144:145], v[44:45], v[4:5]
	v_mul_f64_e32 v[4:5], v[42:43], v[4:5]
	s_wait_loadcnt_dscnt 0x900
	v_mul_f64_e32 v[148:149], v[38:39], v[8:9]
	v_mul_f64_e32 v[8:9], v[40:41], v[8:9]
	s_delay_alu instid0(VALU_DEP_4) | instskip(NEXT) | instid1(VALU_DEP_4)
	v_fma_f64 v[150:151], v[42:43], v[2:3], -v[144:145]
	v_fma_f64 v[152:153], v[44:45], v[2:3], v[4:5]
	ds_load_b128 v[2:5], v1 offset:768
	ds_load_b128 v[144:147], v1 offset:784
	scratch_load_b128 v[42:45], off, off offset:192
	v_fma_f64 v[40:41], v[40:41], v[6:7], v[148:149]
	v_fma_f64 v[38:39], v[38:39], v[6:7], -v[8:9]
	scratch_load_b128 v[6:9], off, off offset:208
	s_wait_loadcnt_dscnt 0xa01
	v_mul_f64_e32 v[154:155], v[2:3], v[12:13]
	v_mul_f64_e32 v[12:13], v[4:5], v[12:13]
	v_add_f64_e32 v[148:149], 0, v[150:151]
	v_add_f64_e32 v[150:151], 0, v[152:153]
	s_wait_loadcnt_dscnt 0x900
	v_mul_f64_e32 v[152:153], v[144:145], v[16:17]
	v_mul_f64_e32 v[16:17], v[146:147], v[16:17]
	v_fma_f64 v[154:155], v[4:5], v[10:11], v[154:155]
	v_fma_f64 v[156:157], v[2:3], v[10:11], -v[12:13]
	ds_load_b128 v[2:5], v1 offset:800
	scratch_load_b128 v[10:13], off, off offset:224
	v_add_f64_e32 v[148:149], v[148:149], v[38:39]
	v_add_f64_e32 v[150:151], v[150:151], v[40:41]
	ds_load_b128 v[38:41], v1 offset:816
	v_fma_f64 v[146:147], v[146:147], v[14:15], v[152:153]
	v_fma_f64 v[144:145], v[144:145], v[14:15], -v[16:17]
	scratch_load_b128 v[14:17], off, off offset:240
	s_wait_loadcnt_dscnt 0xa01
	v_mul_f64_e32 v[158:159], v[2:3], v[20:21]
	v_mul_f64_e32 v[20:21], v[4:5], v[20:21]
	s_wait_loadcnt_dscnt 0x900
	v_mul_f64_e32 v[152:153], v[38:39], v[24:25]
	v_mul_f64_e32 v[24:25], v[40:41], v[24:25]
	v_add_f64_e32 v[148:149], v[148:149], v[156:157]
	v_add_f64_e32 v[150:151], v[150:151], v[154:155]
	v_fma_f64 v[154:155], v[4:5], v[18:19], v[158:159]
	v_fma_f64 v[156:157], v[2:3], v[18:19], -v[20:21]
	ds_load_b128 v[2:5], v1 offset:832
	scratch_load_b128 v[18:21], off, off offset:256
	v_fma_f64 v[40:41], v[40:41], v[22:23], v[152:153]
	v_fma_f64 v[38:39], v[38:39], v[22:23], -v[24:25]
	scratch_load_b128 v[22:25], off, off offset:272
	v_add_f64_e32 v[148:149], v[148:149], v[144:145]
	v_add_f64_e32 v[150:151], v[150:151], v[146:147]
	ds_load_b128 v[144:147], v1 offset:848
	s_wait_loadcnt_dscnt 0xa01
	v_mul_f64_e32 v[158:159], v[2:3], v[28:29]
	v_mul_f64_e32 v[28:29], v[4:5], v[28:29]
	s_wait_loadcnt_dscnt 0x900
	v_mul_f64_e32 v[152:153], v[144:145], v[32:33]
	v_mul_f64_e32 v[32:33], v[146:147], v[32:33]
	v_add_f64_e32 v[148:149], v[148:149], v[156:157]
	v_add_f64_e32 v[150:151], v[150:151], v[154:155]
	v_fma_f64 v[154:155], v[4:5], v[26:27], v[158:159]
	v_fma_f64 v[156:157], v[2:3], v[26:27], -v[28:29]
	ds_load_b128 v[2:5], v1 offset:864
	scratch_load_b128 v[26:29], off, off offset:288
	v_fma_f64 v[146:147], v[146:147], v[30:31], v[152:153]
	v_fma_f64 v[144:145], v[144:145], v[30:31], -v[32:33]
	scratch_load_b128 v[30:33], off, off offset:304
	v_add_f64_e32 v[148:149], v[148:149], v[38:39]
	v_add_f64_e32 v[150:151], v[150:151], v[40:41]
	ds_load_b128 v[38:41], v1 offset:880
	s_wait_loadcnt_dscnt 0xa01
	v_mul_f64_e32 v[158:159], v[2:3], v[36:37]
	v_mul_f64_e32 v[36:37], v[4:5], v[36:37]
	s_wait_loadcnt_dscnt 0x800
	v_mul_f64_e32 v[152:153], v[38:39], v[142:143]
	v_add_f64_e32 v[148:149], v[148:149], v[156:157]
	v_add_f64_e32 v[150:151], v[150:151], v[154:155]
	v_mul_f64_e32 v[154:155], v[40:41], v[142:143]
	v_fma_f64 v[156:157], v[4:5], v[34:35], v[158:159]
	v_fma_f64 v[158:159], v[2:3], v[34:35], -v[36:37]
	ds_load_b128 v[2:5], v1 offset:896
	scratch_load_b128 v[34:37], off, off offset:320
	v_fma_f64 v[152:153], v[40:41], v[140:141], v[152:153]
	v_add_f64_e32 v[148:149], v[148:149], v[144:145]
	v_add_f64_e32 v[146:147], v[150:151], v[146:147]
	ds_load_b128 v[142:145], v1 offset:912
	v_fma_f64 v[140:141], v[38:39], v[140:141], -v[154:155]
	scratch_load_b128 v[38:41], off, off offset:336
	s_wait_loadcnt_dscnt 0x901
	v_mul_f64_e32 v[150:151], v[2:3], v[44:45]
	v_mul_f64_e32 v[44:45], v[4:5], v[44:45]
	s_wait_loadcnt_dscnt 0x800
	v_mul_f64_e32 v[154:155], v[142:143], v[8:9]
	v_mul_f64_e32 v[8:9], v[144:145], v[8:9]
	v_add_f64_e32 v[148:149], v[148:149], v[158:159]
	v_add_f64_e32 v[146:147], v[146:147], v[156:157]
	v_fma_f64 v[150:151], v[4:5], v[42:43], v[150:151]
	v_fma_f64 v[156:157], v[2:3], v[42:43], -v[44:45]
	ds_load_b128 v[2:5], v1 offset:928
	scratch_load_b128 v[42:45], off, off offset:352
	v_fma_f64 v[144:145], v[144:145], v[6:7], v[154:155]
	v_fma_f64 v[142:143], v[142:143], v[6:7], -v[8:9]
	scratch_load_b128 v[6:9], off, off offset:368
	v_add_f64_e32 v[140:141], v[148:149], v[140:141]
	v_add_f64_e32 v[152:153], v[146:147], v[152:153]
	ds_load_b128 v[146:149], v1 offset:944
	s_wait_loadcnt_dscnt 0x901
	v_mul_f64_e32 v[158:159], v[2:3], v[12:13]
	v_mul_f64_e32 v[12:13], v[4:5], v[12:13]
	v_add_f64_e32 v[140:141], v[140:141], v[156:157]
	v_add_f64_e32 v[150:151], v[152:153], v[150:151]
	s_wait_loadcnt_dscnt 0x800
	v_mul_f64_e32 v[152:153], v[146:147], v[16:17]
	v_mul_f64_e32 v[16:17], v[148:149], v[16:17]
	v_fma_f64 v[154:155], v[4:5], v[10:11], v[158:159]
	v_fma_f64 v[156:157], v[2:3], v[10:11], -v[12:13]
	ds_load_b128 v[2:5], v1 offset:960
	scratch_load_b128 v[10:13], off, off offset:384
	v_add_f64_e32 v[158:159], v[140:141], v[142:143]
	v_add_f64_e32 v[144:145], v[150:151], v[144:145]
	ds_load_b128 v[140:143], v1 offset:976
	s_wait_loadcnt_dscnt 0x801
	v_mul_f64_e32 v[150:151], v[2:3], v[20:21]
	v_mul_f64_e32 v[20:21], v[4:5], v[20:21]
	v_fma_f64 v[148:149], v[148:149], v[14:15], v[152:153]
	v_fma_f64 v[146:147], v[146:147], v[14:15], -v[16:17]
	scratch_load_b128 v[14:17], off, off offset:400
	v_add_f64_e32 v[152:153], v[158:159], v[156:157]
	v_add_f64_e32 v[144:145], v[144:145], v[154:155]
	s_wait_loadcnt_dscnt 0x800
	v_mul_f64_e32 v[154:155], v[140:141], v[24:25]
	v_mul_f64_e32 v[24:25], v[142:143], v[24:25]
	v_fma_f64 v[150:151], v[4:5], v[18:19], v[150:151]
	v_fma_f64 v[156:157], v[2:3], v[18:19], -v[20:21]
	ds_load_b128 v[2:5], v1 offset:992
	scratch_load_b128 v[18:21], off, off offset:416
	v_add_f64_e32 v[152:153], v[152:153], v[146:147]
	v_add_f64_e32 v[148:149], v[144:145], v[148:149]
	ds_load_b128 v[144:147], v1 offset:1008
	s_wait_loadcnt_dscnt 0x801
	v_mul_f64_e32 v[158:159], v[2:3], v[28:29]
	v_mul_f64_e32 v[28:29], v[4:5], v[28:29]
	v_fma_f64 v[142:143], v[142:143], v[22:23], v[154:155]
	v_fma_f64 v[140:141], v[140:141], v[22:23], -v[24:25]
	scratch_load_b128 v[22:25], off, off offset:432
	v_add_f64_e32 v[152:153], v[152:153], v[156:157]
	v_add_f64_e32 v[148:149], v[148:149], v[150:151]
	s_wait_loadcnt_dscnt 0x800
	v_mul_f64_e32 v[150:151], v[144:145], v[32:33]
	v_mul_f64_e32 v[32:33], v[146:147], v[32:33]
	v_fma_f64 v[154:155], v[4:5], v[26:27], v[158:159]
	v_fma_f64 v[156:157], v[2:3], v[26:27], -v[28:29]
	ds_load_b128 v[2:5], v1 offset:1024
	scratch_load_b128 v[26:29], off, off offset:448
	v_add_f64_e32 v[152:153], v[152:153], v[140:141]
	v_add_f64_e32 v[148:149], v[148:149], v[142:143]
	ds_load_b128 v[140:143], v1 offset:1040
	s_wait_loadcnt_dscnt 0x801
	v_mul_f64_e32 v[158:159], v[2:3], v[36:37]
	v_mul_f64_e32 v[36:37], v[4:5], v[36:37]
	v_fma_f64 v[146:147], v[146:147], v[30:31], v[150:151]
	v_fma_f64 v[144:145], v[144:145], v[30:31], -v[32:33]
	scratch_load_b128 v[30:33], off, off offset:464
	v_add_f64_e32 v[150:151], v[152:153], v[156:157]
	v_add_f64_e32 v[148:149], v[148:149], v[154:155]
	s_wait_loadcnt_dscnt 0x800
	v_mul_f64_e32 v[152:153], v[140:141], v[40:41]
	v_mul_f64_e32 v[40:41], v[142:143], v[40:41]
	v_fma_f64 v[154:155], v[4:5], v[34:35], v[158:159]
	v_fma_f64 v[156:157], v[2:3], v[34:35], -v[36:37]
	ds_load_b128 v[2:5], v1 offset:1056
	scratch_load_b128 v[34:37], off, off offset:480
	v_add_f64_e32 v[150:151], v[150:151], v[144:145]
	v_add_f64_e32 v[148:149], v[148:149], v[146:147]
	ds_load_b128 v[144:147], v1 offset:1072
	s_wait_loadcnt_dscnt 0x801
	v_mul_f64_e32 v[158:159], v[2:3], v[44:45]
	v_mul_f64_e32 v[44:45], v[4:5], v[44:45]
	v_fma_f64 v[142:143], v[142:143], v[38:39], v[152:153]
	v_fma_f64 v[140:141], v[140:141], v[38:39], -v[40:41]
	scratch_load_b128 v[38:41], off, off offset:496
	s_wait_loadcnt_dscnt 0x800
	v_mul_f64_e32 v[152:153], v[144:145], v[8:9]
	v_mul_f64_e32 v[8:9], v[146:147], v[8:9]
	v_add_f64_e32 v[150:151], v[150:151], v[156:157]
	v_add_f64_e32 v[148:149], v[148:149], v[154:155]
	v_fma_f64 v[154:155], v[4:5], v[42:43], v[158:159]
	v_fma_f64 v[156:157], v[2:3], v[42:43], -v[44:45]
	ds_load_b128 v[2:5], v1 offset:1088
	scratch_load_b128 v[42:45], off, off offset:512
	v_fma_f64 v[146:147], v[146:147], v[6:7], v[152:153]
	v_fma_f64 v[144:145], v[144:145], v[6:7], -v[8:9]
	scratch_load_b128 v[6:9], off, off offset:528
	v_add_f64_e32 v[150:151], v[150:151], v[140:141]
	v_add_f64_e32 v[148:149], v[148:149], v[142:143]
	ds_load_b128 v[140:143], v1 offset:1104
	s_wait_loadcnt_dscnt 0x901
	v_mul_f64_e32 v[158:159], v[2:3], v[12:13]
	v_mul_f64_e32 v[12:13], v[4:5], v[12:13]
	s_wait_loadcnt_dscnt 0x800
	v_mul_f64_e32 v[152:153], v[140:141], v[16:17]
	v_mul_f64_e32 v[16:17], v[142:143], v[16:17]
	v_add_f64_e32 v[150:151], v[150:151], v[156:157]
	v_add_f64_e32 v[148:149], v[148:149], v[154:155]
	v_fma_f64 v[154:155], v[4:5], v[10:11], v[158:159]
	v_fma_f64 v[156:157], v[2:3], v[10:11], -v[12:13]
	ds_load_b128 v[2:5], v1 offset:1120
	scratch_load_b128 v[10:13], off, off offset:544
	v_fma_f64 v[142:143], v[142:143], v[14:15], v[152:153]
	v_fma_f64 v[140:141], v[140:141], v[14:15], -v[16:17]
	scratch_load_b128 v[14:17], off, off offset:560
	v_add_f64_e32 v[150:151], v[150:151], v[144:145]
	v_add_f64_e32 v[148:149], v[148:149], v[146:147]
	ds_load_b128 v[144:147], v1 offset:1136
	s_wait_loadcnt_dscnt 0x901
	v_mul_f64_e32 v[158:159], v[2:3], v[20:21]
	v_mul_f64_e32 v[20:21], v[4:5], v[20:21]
	;; [unrolled: 18-line block ×7, first 2 shown]
	s_wait_loadcnt_dscnt 0x800
	v_mul_f64_e32 v[152:153], v[140:141], v[24:25]
	v_mul_f64_e32 v[24:25], v[142:143], v[24:25]
	v_add_f64_e32 v[150:151], v[150:151], v[156:157]
	v_add_f64_e32 v[148:149], v[148:149], v[154:155]
	v_fma_f64 v[154:155], v[4:5], v[18:19], v[158:159]
	v_fma_f64 v[156:157], v[2:3], v[18:19], -v[20:21]
	ds_load_b128 v[2:5], v1 offset:1312
	ds_load_b128 v[18:21], v1 offset:1328
	v_fma_f64 v[142:143], v[142:143], v[22:23], v[152:153]
	v_fma_f64 v[22:23], v[140:141], v[22:23], -v[24:25]
	v_add_f64_e32 v[144:145], v[150:151], v[144:145]
	v_add_f64_e32 v[146:147], v[148:149], v[146:147]
	s_wait_loadcnt_dscnt 0x701
	v_mul_f64_e32 v[148:149], v[2:3], v[28:29]
	v_mul_f64_e32 v[28:29], v[4:5], v[28:29]
	s_delay_alu instid0(VALU_DEP_4) | instskip(NEXT) | instid1(VALU_DEP_4)
	v_add_f64_e32 v[24:25], v[144:145], v[156:157]
	v_add_f64_e32 v[140:141], v[146:147], v[154:155]
	s_wait_loadcnt_dscnt 0x600
	v_mul_f64_e32 v[144:145], v[18:19], v[32:33]
	v_mul_f64_e32 v[32:33], v[20:21], v[32:33]
	v_fma_f64 v[146:147], v[4:5], v[26:27], v[148:149]
	v_fma_f64 v[26:27], v[2:3], v[26:27], -v[28:29]
	v_add_f64_e32 v[28:29], v[24:25], v[22:23]
	v_add_f64_e32 v[140:141], v[140:141], v[142:143]
	ds_load_b128 v[2:5], v1 offset:1344
	ds_load_b128 v[22:25], v1 offset:1360
	v_fma_f64 v[20:21], v[20:21], v[30:31], v[144:145]
	v_fma_f64 v[18:19], v[18:19], v[30:31], -v[32:33]
	s_wait_loadcnt_dscnt 0x501
	v_mul_f64_e32 v[142:143], v[2:3], v[36:37]
	v_mul_f64_e32 v[36:37], v[4:5], v[36:37]
	s_wait_loadcnt_dscnt 0x400
	v_mul_f64_e32 v[30:31], v[22:23], v[40:41]
	v_mul_f64_e32 v[32:33], v[24:25], v[40:41]
	v_add_f64_e32 v[26:27], v[28:29], v[26:27]
	v_add_f64_e32 v[28:29], v[140:141], v[146:147]
	v_fma_f64 v[40:41], v[4:5], v[34:35], v[142:143]
	v_fma_f64 v[34:35], v[2:3], v[34:35], -v[36:37]
	v_fma_f64 v[24:25], v[24:25], v[38:39], v[30:31]
	v_fma_f64 v[22:23], v[22:23], v[38:39], -v[32:33]
	v_add_f64_e32 v[26:27], v[26:27], v[18:19]
	v_add_f64_e32 v[28:29], v[28:29], v[20:21]
	ds_load_b128 v[2:5], v1 offset:1376
	ds_load_b128 v[18:21], v1 offset:1392
	s_wait_loadcnt_dscnt 0x301
	v_mul_f64_e32 v[36:37], v[2:3], v[44:45]
	v_mul_f64_e32 v[44:45], v[4:5], v[44:45]
	s_wait_loadcnt_dscnt 0x200
	v_mul_f64_e32 v[30:31], v[18:19], v[8:9]
	v_mul_f64_e32 v[8:9], v[20:21], v[8:9]
	v_add_f64_e32 v[26:27], v[26:27], v[34:35]
	v_add_f64_e32 v[28:29], v[28:29], v[40:41]
	v_fma_f64 v[32:33], v[4:5], v[42:43], v[36:37]
	v_fma_f64 v[34:35], v[2:3], v[42:43], -v[44:45]
	v_fma_f64 v[20:21], v[20:21], v[6:7], v[30:31]
	v_fma_f64 v[6:7], v[18:19], v[6:7], -v[8:9]
	v_add_f64_e32 v[26:27], v[26:27], v[22:23]
	v_add_f64_e32 v[28:29], v[28:29], v[24:25]
	ds_load_b128 v[2:5], v1 offset:1408
	ds_load_b128 v[22:25], v1 offset:1424
	s_wait_loadcnt_dscnt 0x101
	v_mul_f64_e32 v[0:1], v[2:3], v[12:13]
	v_mul_f64_e32 v[12:13], v[4:5], v[12:13]
	v_add_f64_e32 v[8:9], v[26:27], v[34:35]
	v_add_f64_e32 v[18:19], v[28:29], v[32:33]
	s_wait_loadcnt_dscnt 0x0
	v_mul_f64_e32 v[26:27], v[22:23], v[16:17]
	v_mul_f64_e32 v[16:17], v[24:25], v[16:17]
	v_fma_f64 v[0:1], v[4:5], v[10:11], v[0:1]
	v_fma_f64 v[2:3], v[2:3], v[10:11], -v[12:13]
	v_add_f64_e32 v[4:5], v[8:9], v[6:7]
	v_add_f64_e32 v[6:7], v[18:19], v[20:21]
	v_fma_f64 v[8:9], v[24:25], v[14:15], v[26:27]
	v_fma_f64 v[10:11], v[22:23], v[14:15], -v[16:17]
	s_delay_alu instid0(VALU_DEP_4) | instskip(NEXT) | instid1(VALU_DEP_4)
	v_add_f64_e32 v[2:3], v[4:5], v[2:3]
	v_add_f64_e32 v[0:1], v[6:7], v[0:1]
	s_delay_alu instid0(VALU_DEP_2) | instskip(NEXT) | instid1(VALU_DEP_2)
	v_add_f64_e32 v[2:3], v[2:3], v[10:11]
	v_add_f64_e32 v[4:5], v[0:1], v[8:9]
	s_delay_alu instid0(VALU_DEP_2) | instskip(NEXT) | instid1(VALU_DEP_2)
	v_add_f64_e64 v[0:1], v[136:137], -v[2:3]
	v_add_f64_e64 v[2:3], v[138:139], -v[4:5]
	scratch_store_b128 off, v[0:3], off offset:16
	s_wait_alu 0xfffe
	s_cbranch_vccz .LBB108_372
; %bb.284:
	v_mov_b32_e32 v0, 0
	global_load_b32 v1, v0, s[2:3] offset:172
	s_wait_loadcnt 0x0
	v_cmp_ne_u32_e32 vcc_lo, 44, v1
	s_cbranch_vccz .LBB108_286
; %bb.285:
	v_lshlrev_b32_e32 v1, 4, v1
	s_delay_alu instid0(VALU_DEP_1)
	v_add_nc_u32_e32 v9, 16, v1
	s_clause 0x1
	scratch_load_b128 v[1:4], v9, off offset:-16
	scratch_load_b128 v[5:8], off, s11
	s_wait_loadcnt 0x1
	scratch_store_b128 off, v[1:4], s11
	s_wait_loadcnt 0x0
	scratch_store_b128 v9, v[5:8], off offset:-16
.LBB108_286:
	global_load_b32 v0, v0, s[2:3] offset:168
	s_wait_loadcnt 0x0
	v_cmp_eq_u32_e32 vcc_lo, 43, v0
	s_cbranch_vccnz .LBB108_288
; %bb.287:
	v_lshlrev_b32_e32 v0, 4, v0
	s_delay_alu instid0(VALU_DEP_1)
	v_add_nc_u32_e32 v8, 16, v0
	s_clause 0x1
	scratch_load_b128 v[0:3], v8, off offset:-16
	scratch_load_b128 v[4:7], off, s14
	s_wait_loadcnt 0x1
	scratch_store_b128 off, v[0:3], s14
	s_wait_loadcnt 0x0
	scratch_store_b128 v8, v[4:7], off offset:-16
.LBB108_288:
	v_mov_b32_e32 v0, 0
	global_load_b32 v1, v0, s[2:3] offset:164
	s_wait_loadcnt 0x0
	v_cmp_eq_u32_e32 vcc_lo, 42, v1
	s_cbranch_vccnz .LBB108_290
; %bb.289:
	v_lshlrev_b32_e32 v1, 4, v1
	s_delay_alu instid0(VALU_DEP_1)
	v_add_nc_u32_e32 v9, 16, v1
	s_clause 0x1
	scratch_load_b128 v[1:4], v9, off offset:-16
	scratch_load_b128 v[5:8], off, s16
	s_wait_loadcnt 0x1
	scratch_store_b128 off, v[1:4], s16
	s_wait_loadcnt 0x0
	scratch_store_b128 v9, v[5:8], off offset:-16
.LBB108_290:
	global_load_b32 v0, v0, s[2:3] offset:160
	s_wait_loadcnt 0x0
	v_cmp_eq_u32_e32 vcc_lo, 41, v0
	s_cbranch_vccnz .LBB108_292
; %bb.291:
	v_lshlrev_b32_e32 v0, 4, v0
	s_delay_alu instid0(VALU_DEP_1)
	v_add_nc_u32_e32 v8, 16, v0
	s_clause 0x1
	scratch_load_b128 v[0:3], v8, off offset:-16
	scratch_load_b128 v[4:7], off, s17
	s_wait_loadcnt 0x1
	scratch_store_b128 off, v[0:3], s17
	s_wait_loadcnt 0x0
	scratch_store_b128 v8, v[4:7], off offset:-16
.LBB108_292:
	v_mov_b32_e32 v0, 0
	global_load_b32 v1, v0, s[2:3] offset:156
	s_wait_loadcnt 0x0
	v_cmp_eq_u32_e32 vcc_lo, 40, v1
	s_cbranch_vccnz .LBB108_294
; %bb.293:
	v_lshlrev_b32_e32 v1, 4, v1
	s_delay_alu instid0(VALU_DEP_1)
	v_add_nc_u32_e32 v9, 16, v1
	s_clause 0x1
	scratch_load_b128 v[1:4], v9, off offset:-16
	scratch_load_b128 v[5:8], off, s18
	s_wait_loadcnt 0x1
	scratch_store_b128 off, v[1:4], s18
	s_wait_loadcnt 0x0
	scratch_store_b128 v9, v[5:8], off offset:-16
.LBB108_294:
	global_load_b32 v0, v0, s[2:3] offset:152
	s_wait_loadcnt 0x0
	v_cmp_eq_u32_e32 vcc_lo, 39, v0
	s_cbranch_vccnz .LBB108_296
; %bb.295:
	v_lshlrev_b32_e32 v0, 4, v0
	s_delay_alu instid0(VALU_DEP_1)
	v_add_nc_u32_e32 v8, 16, v0
	s_clause 0x1
	scratch_load_b128 v[0:3], v8, off offset:-16
	scratch_load_b128 v[4:7], off, s19
	s_wait_loadcnt 0x1
	scratch_store_b128 off, v[0:3], s19
	s_wait_loadcnt 0x0
	scratch_store_b128 v8, v[4:7], off offset:-16
.LBB108_296:
	v_mov_b32_e32 v0, 0
	global_load_b32 v1, v0, s[2:3] offset:148
	s_wait_loadcnt 0x0
	v_cmp_eq_u32_e32 vcc_lo, 38, v1
	s_cbranch_vccnz .LBB108_298
; %bb.297:
	v_lshlrev_b32_e32 v1, 4, v1
	s_delay_alu instid0(VALU_DEP_1)
	v_add_nc_u32_e32 v9, 16, v1
	s_clause 0x1
	scratch_load_b128 v[1:4], v9, off offset:-16
	scratch_load_b128 v[5:8], off, s20
	s_wait_loadcnt 0x1
	scratch_store_b128 off, v[1:4], s20
	s_wait_loadcnt 0x0
	scratch_store_b128 v9, v[5:8], off offset:-16
.LBB108_298:
	global_load_b32 v0, v0, s[2:3] offset:144
	s_wait_loadcnt 0x0
	v_cmp_eq_u32_e32 vcc_lo, 37, v0
	s_cbranch_vccnz .LBB108_300
; %bb.299:
	v_lshlrev_b32_e32 v0, 4, v0
	s_delay_alu instid0(VALU_DEP_1)
	v_add_nc_u32_e32 v8, 16, v0
	s_clause 0x1
	scratch_load_b128 v[0:3], v8, off offset:-16
	scratch_load_b128 v[4:7], off, s21
	s_wait_loadcnt 0x1
	scratch_store_b128 off, v[0:3], s21
	s_wait_loadcnt 0x0
	scratch_store_b128 v8, v[4:7], off offset:-16
.LBB108_300:
	v_mov_b32_e32 v0, 0
	global_load_b32 v1, v0, s[2:3] offset:140
	s_wait_loadcnt 0x0
	v_cmp_eq_u32_e32 vcc_lo, 36, v1
	s_cbranch_vccnz .LBB108_302
; %bb.301:
	v_lshlrev_b32_e32 v1, 4, v1
	s_delay_alu instid0(VALU_DEP_1)
	v_add_nc_u32_e32 v9, 16, v1
	s_clause 0x1
	scratch_load_b128 v[1:4], v9, off offset:-16
	scratch_load_b128 v[5:8], off, s22
	s_wait_loadcnt 0x1
	scratch_store_b128 off, v[1:4], s22
	s_wait_loadcnt 0x0
	scratch_store_b128 v9, v[5:8], off offset:-16
.LBB108_302:
	global_load_b32 v0, v0, s[2:3] offset:136
	s_wait_loadcnt 0x0
	v_cmp_eq_u32_e32 vcc_lo, 35, v0
	s_cbranch_vccnz .LBB108_304
; %bb.303:
	v_lshlrev_b32_e32 v0, 4, v0
	s_delay_alu instid0(VALU_DEP_1)
	v_add_nc_u32_e32 v8, 16, v0
	s_clause 0x1
	scratch_load_b128 v[0:3], v8, off offset:-16
	scratch_load_b128 v[4:7], off, s23
	s_wait_loadcnt 0x1
	scratch_store_b128 off, v[0:3], s23
	s_wait_loadcnt 0x0
	scratch_store_b128 v8, v[4:7], off offset:-16
.LBB108_304:
	v_mov_b32_e32 v0, 0
	global_load_b32 v1, v0, s[2:3] offset:132
	s_wait_loadcnt 0x0
	v_cmp_eq_u32_e32 vcc_lo, 34, v1
	s_cbranch_vccnz .LBB108_306
; %bb.305:
	v_lshlrev_b32_e32 v1, 4, v1
	s_delay_alu instid0(VALU_DEP_1)
	v_add_nc_u32_e32 v9, 16, v1
	s_clause 0x1
	scratch_load_b128 v[1:4], v9, off offset:-16
	scratch_load_b128 v[5:8], off, s24
	s_wait_loadcnt 0x1
	scratch_store_b128 off, v[1:4], s24
	s_wait_loadcnt 0x0
	scratch_store_b128 v9, v[5:8], off offset:-16
.LBB108_306:
	global_load_b32 v0, v0, s[2:3] offset:128
	s_wait_loadcnt 0x0
	v_cmp_eq_u32_e32 vcc_lo, 33, v0
	s_cbranch_vccnz .LBB108_308
; %bb.307:
	v_lshlrev_b32_e32 v0, 4, v0
	s_delay_alu instid0(VALU_DEP_1)
	v_add_nc_u32_e32 v8, 16, v0
	s_clause 0x1
	scratch_load_b128 v[0:3], v8, off offset:-16
	scratch_load_b128 v[4:7], off, s25
	s_wait_loadcnt 0x1
	scratch_store_b128 off, v[0:3], s25
	s_wait_loadcnt 0x0
	scratch_store_b128 v8, v[4:7], off offset:-16
.LBB108_308:
	v_mov_b32_e32 v0, 0
	global_load_b32 v1, v0, s[2:3] offset:124
	s_wait_loadcnt 0x0
	v_cmp_eq_u32_e32 vcc_lo, 32, v1
	s_cbranch_vccnz .LBB108_310
; %bb.309:
	v_lshlrev_b32_e32 v1, 4, v1
	s_delay_alu instid0(VALU_DEP_1)
	v_add_nc_u32_e32 v9, 16, v1
	s_clause 0x1
	scratch_load_b128 v[1:4], v9, off offset:-16
	scratch_load_b128 v[5:8], off, s26
	s_wait_loadcnt 0x1
	scratch_store_b128 off, v[1:4], s26
	s_wait_loadcnt 0x0
	scratch_store_b128 v9, v[5:8], off offset:-16
.LBB108_310:
	global_load_b32 v0, v0, s[2:3] offset:120
	s_wait_loadcnt 0x0
	v_cmp_eq_u32_e32 vcc_lo, 31, v0
	s_cbranch_vccnz .LBB108_312
; %bb.311:
	v_lshlrev_b32_e32 v0, 4, v0
	s_delay_alu instid0(VALU_DEP_1)
	v_add_nc_u32_e32 v8, 16, v0
	s_clause 0x1
	scratch_load_b128 v[0:3], v8, off offset:-16
	scratch_load_b128 v[4:7], off, s27
	s_wait_loadcnt 0x1
	scratch_store_b128 off, v[0:3], s27
	s_wait_loadcnt 0x0
	scratch_store_b128 v8, v[4:7], off offset:-16
.LBB108_312:
	v_mov_b32_e32 v0, 0
	global_load_b32 v1, v0, s[2:3] offset:116
	s_wait_loadcnt 0x0
	v_cmp_eq_u32_e32 vcc_lo, 30, v1
	s_cbranch_vccnz .LBB108_314
; %bb.313:
	v_lshlrev_b32_e32 v1, 4, v1
	s_delay_alu instid0(VALU_DEP_1)
	v_add_nc_u32_e32 v9, 16, v1
	s_clause 0x1
	scratch_load_b128 v[1:4], v9, off offset:-16
	scratch_load_b128 v[5:8], off, s28
	s_wait_loadcnt 0x1
	scratch_store_b128 off, v[1:4], s28
	s_wait_loadcnt 0x0
	scratch_store_b128 v9, v[5:8], off offset:-16
.LBB108_314:
	global_load_b32 v0, v0, s[2:3] offset:112
	s_wait_loadcnt 0x0
	v_cmp_eq_u32_e32 vcc_lo, 29, v0
	s_cbranch_vccnz .LBB108_316
; %bb.315:
	v_lshlrev_b32_e32 v0, 4, v0
	s_delay_alu instid0(VALU_DEP_1)
	v_add_nc_u32_e32 v8, 16, v0
	s_clause 0x1
	scratch_load_b128 v[0:3], v8, off offset:-16
	scratch_load_b128 v[4:7], off, s29
	s_wait_loadcnt 0x1
	scratch_store_b128 off, v[0:3], s29
	s_wait_loadcnt 0x0
	scratch_store_b128 v8, v[4:7], off offset:-16
.LBB108_316:
	v_mov_b32_e32 v0, 0
	global_load_b32 v1, v0, s[2:3] offset:108
	s_wait_loadcnt 0x0
	v_cmp_eq_u32_e32 vcc_lo, 28, v1
	s_cbranch_vccnz .LBB108_318
; %bb.317:
	v_lshlrev_b32_e32 v1, 4, v1
	s_delay_alu instid0(VALU_DEP_1)
	v_add_nc_u32_e32 v9, 16, v1
	s_clause 0x1
	scratch_load_b128 v[1:4], v9, off offset:-16
	scratch_load_b128 v[5:8], off, s30
	s_wait_loadcnt 0x1
	scratch_store_b128 off, v[1:4], s30
	s_wait_loadcnt 0x0
	scratch_store_b128 v9, v[5:8], off offset:-16
.LBB108_318:
	global_load_b32 v0, v0, s[2:3] offset:104
	s_wait_loadcnt 0x0
	v_cmp_eq_u32_e32 vcc_lo, 27, v0
	s_cbranch_vccnz .LBB108_320
; %bb.319:
	v_lshlrev_b32_e32 v0, 4, v0
	s_delay_alu instid0(VALU_DEP_1)
	v_add_nc_u32_e32 v8, 16, v0
	s_clause 0x1
	scratch_load_b128 v[0:3], v8, off offset:-16
	scratch_load_b128 v[4:7], off, s31
	s_wait_loadcnt 0x1
	scratch_store_b128 off, v[0:3], s31
	s_wait_loadcnt 0x0
	scratch_store_b128 v8, v[4:7], off offset:-16
.LBB108_320:
	v_mov_b32_e32 v0, 0
	global_load_b32 v1, v0, s[2:3] offset:100
	s_wait_loadcnt 0x0
	v_cmp_eq_u32_e32 vcc_lo, 26, v1
	s_cbranch_vccnz .LBB108_322
; %bb.321:
	v_lshlrev_b32_e32 v1, 4, v1
	s_delay_alu instid0(VALU_DEP_1)
	v_add_nc_u32_e32 v9, 16, v1
	s_clause 0x1
	scratch_load_b128 v[1:4], v9, off offset:-16
	scratch_load_b128 v[5:8], off, s33
	s_wait_loadcnt 0x1
	scratch_store_b128 off, v[1:4], s33
	s_wait_loadcnt 0x0
	scratch_store_b128 v9, v[5:8], off offset:-16
.LBB108_322:
	global_load_b32 v0, v0, s[2:3] offset:96
	s_wait_loadcnt 0x0
	v_cmp_eq_u32_e32 vcc_lo, 25, v0
	s_cbranch_vccnz .LBB108_324
; %bb.323:
	v_lshlrev_b32_e32 v0, 4, v0
	s_delay_alu instid0(VALU_DEP_1)
	v_add_nc_u32_e32 v8, 16, v0
	s_clause 0x1
	scratch_load_b128 v[0:3], v8, off offset:-16
	scratch_load_b128 v[4:7], off, s34
	s_wait_loadcnt 0x1
	scratch_store_b128 off, v[0:3], s34
	s_wait_loadcnt 0x0
	scratch_store_b128 v8, v[4:7], off offset:-16
.LBB108_324:
	v_mov_b32_e32 v0, 0
	global_load_b32 v1, v0, s[2:3] offset:92
	s_wait_loadcnt 0x0
	v_cmp_eq_u32_e32 vcc_lo, 24, v1
	s_cbranch_vccnz .LBB108_326
; %bb.325:
	v_lshlrev_b32_e32 v1, 4, v1
	s_delay_alu instid0(VALU_DEP_1)
	v_add_nc_u32_e32 v9, 16, v1
	s_clause 0x1
	scratch_load_b128 v[1:4], v9, off offset:-16
	scratch_load_b128 v[5:8], off, s35
	s_wait_loadcnt 0x1
	scratch_store_b128 off, v[1:4], s35
	s_wait_loadcnt 0x0
	scratch_store_b128 v9, v[5:8], off offset:-16
.LBB108_326:
	global_load_b32 v0, v0, s[2:3] offset:88
	s_wait_loadcnt 0x0
	v_cmp_eq_u32_e32 vcc_lo, 23, v0
	s_cbranch_vccnz .LBB108_328
; %bb.327:
	v_lshlrev_b32_e32 v0, 4, v0
	s_delay_alu instid0(VALU_DEP_1)
	v_add_nc_u32_e32 v8, 16, v0
	s_clause 0x1
	scratch_load_b128 v[0:3], v8, off offset:-16
	scratch_load_b128 v[4:7], off, s36
	s_wait_loadcnt 0x1
	scratch_store_b128 off, v[0:3], s36
	s_wait_loadcnt 0x0
	scratch_store_b128 v8, v[4:7], off offset:-16
.LBB108_328:
	v_mov_b32_e32 v0, 0
	global_load_b32 v1, v0, s[2:3] offset:84
	s_wait_loadcnt 0x0
	v_cmp_eq_u32_e32 vcc_lo, 22, v1
	s_cbranch_vccnz .LBB108_330
; %bb.329:
	v_lshlrev_b32_e32 v1, 4, v1
	s_delay_alu instid0(VALU_DEP_1)
	v_add_nc_u32_e32 v9, 16, v1
	s_clause 0x1
	scratch_load_b128 v[1:4], v9, off offset:-16
	scratch_load_b128 v[5:8], off, s37
	s_wait_loadcnt 0x1
	scratch_store_b128 off, v[1:4], s37
	s_wait_loadcnt 0x0
	scratch_store_b128 v9, v[5:8], off offset:-16
.LBB108_330:
	global_load_b32 v0, v0, s[2:3] offset:80
	s_wait_loadcnt 0x0
	v_cmp_eq_u32_e32 vcc_lo, 21, v0
	s_cbranch_vccnz .LBB108_332
; %bb.331:
	v_lshlrev_b32_e32 v0, 4, v0
	s_delay_alu instid0(VALU_DEP_1)
	v_add_nc_u32_e32 v8, 16, v0
	s_clause 0x1
	scratch_load_b128 v[0:3], v8, off offset:-16
	scratch_load_b128 v[4:7], off, s38
	s_wait_loadcnt 0x1
	scratch_store_b128 off, v[0:3], s38
	s_wait_loadcnt 0x0
	scratch_store_b128 v8, v[4:7], off offset:-16
.LBB108_332:
	v_mov_b32_e32 v0, 0
	global_load_b32 v1, v0, s[2:3] offset:76
	s_wait_loadcnt 0x0
	v_cmp_eq_u32_e32 vcc_lo, 20, v1
	s_cbranch_vccnz .LBB108_334
; %bb.333:
	v_lshlrev_b32_e32 v1, 4, v1
	s_delay_alu instid0(VALU_DEP_1)
	v_add_nc_u32_e32 v9, 16, v1
	s_clause 0x1
	scratch_load_b128 v[1:4], v9, off offset:-16
	scratch_load_b128 v[5:8], off, s39
	s_wait_loadcnt 0x1
	scratch_store_b128 off, v[1:4], s39
	s_wait_loadcnt 0x0
	scratch_store_b128 v9, v[5:8], off offset:-16
.LBB108_334:
	global_load_b32 v0, v0, s[2:3] offset:72
	s_wait_loadcnt 0x0
	v_cmp_eq_u32_e32 vcc_lo, 19, v0
	s_cbranch_vccnz .LBB108_336
; %bb.335:
	v_lshlrev_b32_e32 v0, 4, v0
	s_delay_alu instid0(VALU_DEP_1)
	v_add_nc_u32_e32 v8, 16, v0
	s_clause 0x1
	scratch_load_b128 v[0:3], v8, off offset:-16
	scratch_load_b128 v[4:7], off, s40
	s_wait_loadcnt 0x1
	scratch_store_b128 off, v[0:3], s40
	s_wait_loadcnt 0x0
	scratch_store_b128 v8, v[4:7], off offset:-16
.LBB108_336:
	v_mov_b32_e32 v0, 0
	global_load_b32 v1, v0, s[2:3] offset:68
	s_wait_loadcnt 0x0
	v_cmp_eq_u32_e32 vcc_lo, 18, v1
	s_cbranch_vccnz .LBB108_338
; %bb.337:
	v_lshlrev_b32_e32 v1, 4, v1
	s_delay_alu instid0(VALU_DEP_1)
	v_add_nc_u32_e32 v9, 16, v1
	s_clause 0x1
	scratch_load_b128 v[1:4], v9, off offset:-16
	scratch_load_b128 v[5:8], off, s41
	s_wait_loadcnt 0x1
	scratch_store_b128 off, v[1:4], s41
	s_wait_loadcnt 0x0
	scratch_store_b128 v9, v[5:8], off offset:-16
.LBB108_338:
	global_load_b32 v0, v0, s[2:3] offset:64
	s_wait_loadcnt 0x0
	v_cmp_eq_u32_e32 vcc_lo, 17, v0
	s_cbranch_vccnz .LBB108_340
; %bb.339:
	v_lshlrev_b32_e32 v0, 4, v0
	s_delay_alu instid0(VALU_DEP_1)
	v_add_nc_u32_e32 v8, 16, v0
	s_clause 0x1
	scratch_load_b128 v[0:3], v8, off offset:-16
	scratch_load_b128 v[4:7], off, s42
	s_wait_loadcnt 0x1
	scratch_store_b128 off, v[0:3], s42
	s_wait_loadcnt 0x0
	scratch_store_b128 v8, v[4:7], off offset:-16
.LBB108_340:
	v_mov_b32_e32 v0, 0
	global_load_b32 v1, v0, s[2:3] offset:60
	s_wait_loadcnt 0x0
	v_cmp_eq_u32_e32 vcc_lo, 16, v1
	s_cbranch_vccnz .LBB108_342
; %bb.341:
	v_lshlrev_b32_e32 v1, 4, v1
	s_delay_alu instid0(VALU_DEP_1)
	v_add_nc_u32_e32 v9, 16, v1
	s_clause 0x1
	scratch_load_b128 v[1:4], v9, off offset:-16
	scratch_load_b128 v[5:8], off, s43
	s_wait_loadcnt 0x1
	scratch_store_b128 off, v[1:4], s43
	s_wait_loadcnt 0x0
	scratch_store_b128 v9, v[5:8], off offset:-16
.LBB108_342:
	global_load_b32 v0, v0, s[2:3] offset:56
	s_wait_loadcnt 0x0
	v_cmp_eq_u32_e32 vcc_lo, 15, v0
	s_cbranch_vccnz .LBB108_344
; %bb.343:
	v_lshlrev_b32_e32 v0, 4, v0
	s_delay_alu instid0(VALU_DEP_1)
	v_add_nc_u32_e32 v8, 16, v0
	s_clause 0x1
	scratch_load_b128 v[0:3], v8, off offset:-16
	scratch_load_b128 v[4:7], off, s44
	s_wait_loadcnt 0x1
	scratch_store_b128 off, v[0:3], s44
	s_wait_loadcnt 0x0
	scratch_store_b128 v8, v[4:7], off offset:-16
.LBB108_344:
	v_mov_b32_e32 v0, 0
	global_load_b32 v1, v0, s[2:3] offset:52
	s_wait_loadcnt 0x0
	v_cmp_eq_u32_e32 vcc_lo, 14, v1
	s_cbranch_vccnz .LBB108_346
; %bb.345:
	v_lshlrev_b32_e32 v1, 4, v1
	s_delay_alu instid0(VALU_DEP_1)
	v_add_nc_u32_e32 v9, 16, v1
	s_clause 0x1
	scratch_load_b128 v[1:4], v9, off offset:-16
	scratch_load_b128 v[5:8], off, s45
	s_wait_loadcnt 0x1
	scratch_store_b128 off, v[1:4], s45
	s_wait_loadcnt 0x0
	scratch_store_b128 v9, v[5:8], off offset:-16
.LBB108_346:
	global_load_b32 v0, v0, s[2:3] offset:48
	s_wait_loadcnt 0x0
	v_cmp_eq_u32_e32 vcc_lo, 13, v0
	s_cbranch_vccnz .LBB108_348
; %bb.347:
	v_lshlrev_b32_e32 v0, 4, v0
	s_delay_alu instid0(VALU_DEP_1)
	v_add_nc_u32_e32 v8, 16, v0
	s_clause 0x1
	scratch_load_b128 v[0:3], v8, off offset:-16
	scratch_load_b128 v[4:7], off, s46
	s_wait_loadcnt 0x1
	scratch_store_b128 off, v[0:3], s46
	s_wait_loadcnt 0x0
	scratch_store_b128 v8, v[4:7], off offset:-16
.LBB108_348:
	v_mov_b32_e32 v0, 0
	global_load_b32 v1, v0, s[2:3] offset:44
	s_wait_loadcnt 0x0
	v_cmp_eq_u32_e32 vcc_lo, 12, v1
	s_cbranch_vccnz .LBB108_350
; %bb.349:
	v_lshlrev_b32_e32 v1, 4, v1
	s_delay_alu instid0(VALU_DEP_1)
	v_add_nc_u32_e32 v9, 16, v1
	s_clause 0x1
	scratch_load_b128 v[1:4], v9, off offset:-16
	scratch_load_b128 v[5:8], off, s47
	s_wait_loadcnt 0x1
	scratch_store_b128 off, v[1:4], s47
	s_wait_loadcnt 0x0
	scratch_store_b128 v9, v[5:8], off offset:-16
.LBB108_350:
	global_load_b32 v0, v0, s[2:3] offset:40
	s_wait_loadcnt 0x0
	v_cmp_eq_u32_e32 vcc_lo, 11, v0
	s_cbranch_vccnz .LBB108_352
; %bb.351:
	v_lshlrev_b32_e32 v0, 4, v0
	s_delay_alu instid0(VALU_DEP_1)
	v_add_nc_u32_e32 v8, 16, v0
	s_clause 0x1
	scratch_load_b128 v[0:3], v8, off offset:-16
	scratch_load_b128 v[4:7], off, s48
	s_wait_loadcnt 0x1
	scratch_store_b128 off, v[0:3], s48
	s_wait_loadcnt 0x0
	scratch_store_b128 v8, v[4:7], off offset:-16
.LBB108_352:
	v_mov_b32_e32 v0, 0
	global_load_b32 v1, v0, s[2:3] offset:36
	s_wait_loadcnt 0x0
	v_cmp_eq_u32_e32 vcc_lo, 10, v1
	s_cbranch_vccnz .LBB108_354
; %bb.353:
	v_lshlrev_b32_e32 v1, 4, v1
	s_delay_alu instid0(VALU_DEP_1)
	v_add_nc_u32_e32 v9, 16, v1
	s_clause 0x1
	scratch_load_b128 v[1:4], v9, off offset:-16
	scratch_load_b128 v[5:8], off, s49
	s_wait_loadcnt 0x1
	scratch_store_b128 off, v[1:4], s49
	s_wait_loadcnt 0x0
	scratch_store_b128 v9, v[5:8], off offset:-16
.LBB108_354:
	global_load_b32 v0, v0, s[2:3] offset:32
	s_wait_loadcnt 0x0
	v_cmp_eq_u32_e32 vcc_lo, 9, v0
	s_cbranch_vccnz .LBB108_356
; %bb.355:
	v_lshlrev_b32_e32 v0, 4, v0
	s_delay_alu instid0(VALU_DEP_1)
	v_add_nc_u32_e32 v8, 16, v0
	s_clause 0x1
	scratch_load_b128 v[0:3], v8, off offset:-16
	scratch_load_b128 v[4:7], off, s50
	s_wait_loadcnt 0x1
	scratch_store_b128 off, v[0:3], s50
	s_wait_loadcnt 0x0
	scratch_store_b128 v8, v[4:7], off offset:-16
.LBB108_356:
	v_mov_b32_e32 v0, 0
	global_load_b32 v1, v0, s[2:3] offset:28
	s_wait_loadcnt 0x0
	v_cmp_eq_u32_e32 vcc_lo, 8, v1
	s_cbranch_vccnz .LBB108_358
; %bb.357:
	v_lshlrev_b32_e32 v1, 4, v1
	s_delay_alu instid0(VALU_DEP_1)
	v_add_nc_u32_e32 v9, 16, v1
	s_clause 0x1
	scratch_load_b128 v[1:4], v9, off offset:-16
	scratch_load_b128 v[5:8], off, s51
	s_wait_loadcnt 0x1
	scratch_store_b128 off, v[1:4], s51
	s_wait_loadcnt 0x0
	scratch_store_b128 v9, v[5:8], off offset:-16
.LBB108_358:
	global_load_b32 v0, v0, s[2:3] offset:24
	s_wait_loadcnt 0x0
	v_cmp_eq_u32_e32 vcc_lo, 7, v0
	s_cbranch_vccnz .LBB108_360
; %bb.359:
	v_lshlrev_b32_e32 v0, 4, v0
	s_delay_alu instid0(VALU_DEP_1)
	v_add_nc_u32_e32 v8, 16, v0
	s_clause 0x1
	scratch_load_b128 v[0:3], v8, off offset:-16
	scratch_load_b128 v[4:7], off, s52
	s_wait_loadcnt 0x1
	scratch_store_b128 off, v[0:3], s52
	s_wait_loadcnt 0x0
	scratch_store_b128 v8, v[4:7], off offset:-16
.LBB108_360:
	v_mov_b32_e32 v0, 0
	global_load_b32 v1, v0, s[2:3] offset:20
	s_wait_loadcnt 0x0
	v_cmp_eq_u32_e32 vcc_lo, 6, v1
	s_cbranch_vccnz .LBB108_362
; %bb.361:
	v_lshlrev_b32_e32 v1, 4, v1
	s_delay_alu instid0(VALU_DEP_1)
	v_add_nc_u32_e32 v9, 16, v1
	s_clause 0x1
	scratch_load_b128 v[1:4], v9, off offset:-16
	scratch_load_b128 v[5:8], off, s53
	s_wait_loadcnt 0x1
	scratch_store_b128 off, v[1:4], s53
	s_wait_loadcnt 0x0
	scratch_store_b128 v9, v[5:8], off offset:-16
.LBB108_362:
	global_load_b32 v0, v0, s[2:3] offset:16
	s_wait_loadcnt 0x0
	v_cmp_eq_u32_e32 vcc_lo, 5, v0
	s_cbranch_vccnz .LBB108_364
; %bb.363:
	v_lshlrev_b32_e32 v0, 4, v0
	s_delay_alu instid0(VALU_DEP_1)
	v_add_nc_u32_e32 v8, 16, v0
	s_clause 0x1
	scratch_load_b128 v[0:3], v8, off offset:-16
	scratch_load_b128 v[4:7], off, s4
	s_wait_loadcnt 0x1
	scratch_store_b128 off, v[0:3], s4
	s_wait_loadcnt 0x0
	scratch_store_b128 v8, v[4:7], off offset:-16
.LBB108_364:
	v_mov_b32_e32 v0, 0
	global_load_b32 v1, v0, s[2:3] offset:12
	s_wait_loadcnt 0x0
	v_cmp_eq_u32_e32 vcc_lo, 4, v1
	s_cbranch_vccnz .LBB108_366
; %bb.365:
	v_lshlrev_b32_e32 v1, 4, v1
	s_delay_alu instid0(VALU_DEP_1)
	v_add_nc_u32_e32 v9, 16, v1
	s_clause 0x1
	scratch_load_b128 v[1:4], v9, off offset:-16
	scratch_load_b128 v[5:8], off, s10
	s_wait_loadcnt 0x1
	scratch_store_b128 off, v[1:4], s10
	s_wait_loadcnt 0x0
	scratch_store_b128 v9, v[5:8], off offset:-16
.LBB108_366:
	global_load_b32 v0, v0, s[2:3] offset:8
	s_wait_loadcnt 0x0
	v_cmp_eq_u32_e32 vcc_lo, 3, v0
	s_cbranch_vccnz .LBB108_368
; %bb.367:
	v_lshlrev_b32_e32 v0, 4, v0
	s_delay_alu instid0(VALU_DEP_1)
	v_add_nc_u32_e32 v8, 16, v0
	s_clause 0x1
	scratch_load_b128 v[0:3], v8, off offset:-16
	scratch_load_b128 v[4:7], off, s13
	s_wait_loadcnt 0x1
	scratch_store_b128 off, v[0:3], s13
	s_wait_loadcnt 0x0
	scratch_store_b128 v8, v[4:7], off offset:-16
.LBB108_368:
	v_mov_b32_e32 v0, 0
	global_load_b32 v1, v0, s[2:3] offset:4
	s_wait_loadcnt 0x0
	v_cmp_eq_u32_e32 vcc_lo, 2, v1
	s_cbranch_vccnz .LBB108_370
; %bb.369:
	v_lshlrev_b32_e32 v1, 4, v1
	s_delay_alu instid0(VALU_DEP_1)
	v_add_nc_u32_e32 v9, 16, v1
	s_clause 0x1
	scratch_load_b128 v[1:4], v9, off offset:-16
	scratch_load_b128 v[5:8], off, s15
	s_wait_loadcnt 0x1
	scratch_store_b128 off, v[1:4], s15
	s_wait_loadcnt 0x0
	scratch_store_b128 v9, v[5:8], off offset:-16
.LBB108_370:
	global_load_b32 v0, v0, s[2:3]
	s_wait_loadcnt 0x0
	v_cmp_eq_u32_e32 vcc_lo, 1, v0
	s_cbranch_vccnz .LBB108_372
; %bb.371:
	v_lshlrev_b32_e32 v0, 4, v0
	s_delay_alu instid0(VALU_DEP_1)
	v_add_nc_u32_e32 v8, 16, v0
	scratch_load_b128 v[0:3], v8, off offset:-16
	scratch_load_b128 v[4:7], off, off offset:16
	s_wait_loadcnt 0x1
	scratch_store_b128 off, v[0:3], off offset:16
	s_wait_loadcnt 0x0
	scratch_store_b128 v8, v[4:7], off offset:-16
.LBB108_372:
	scratch_load_b128 v[0:3], off, off offset:16
	s_wait_loadcnt 0x0
	flat_store_b128 v[46:47], v[0:3]
	scratch_load_b128 v[0:3], off, s15
	s_wait_loadcnt 0x0
	flat_store_b128 v[48:49], v[0:3]
	scratch_load_b128 v[0:3], off, s13
	;; [unrolled: 3-line block ×44, first 2 shown]
	s_wait_loadcnt 0x0
	flat_store_b128 v[134:135], v[0:3]
	s_nop 0
	s_sendmsg sendmsg(MSG_DEALLOC_VGPRS)
	s_endpgm
	.section	.rodata,"a",@progbits
	.p2align	6, 0x0
	.amdhsa_kernel _ZN9rocsolver6v33100L18getri_kernel_smallILi45E19rocblas_complex_numIdEPKPS3_EEvT1_iilPiilS8_bb
		.amdhsa_group_segment_fixed_size 1448
		.amdhsa_private_segment_fixed_size 752
		.amdhsa_kernarg_size 60
		.amdhsa_user_sgpr_count 2
		.amdhsa_user_sgpr_dispatch_ptr 0
		.amdhsa_user_sgpr_queue_ptr 0
		.amdhsa_user_sgpr_kernarg_segment_ptr 1
		.amdhsa_user_sgpr_dispatch_id 0
		.amdhsa_user_sgpr_private_segment_size 0
		.amdhsa_wavefront_size32 1
		.amdhsa_uses_dynamic_stack 0
		.amdhsa_enable_private_segment 1
		.amdhsa_system_sgpr_workgroup_id_x 1
		.amdhsa_system_sgpr_workgroup_id_y 0
		.amdhsa_system_sgpr_workgroup_id_z 0
		.amdhsa_system_sgpr_workgroup_info 0
		.amdhsa_system_vgpr_workitem_id 0
		.amdhsa_next_free_vgpr 163
		.amdhsa_next_free_sgpr 74
		.amdhsa_reserve_vcc 1
		.amdhsa_float_round_mode_32 0
		.amdhsa_float_round_mode_16_64 0
		.amdhsa_float_denorm_mode_32 3
		.amdhsa_float_denorm_mode_16_64 3
		.amdhsa_fp16_overflow 0
		.amdhsa_workgroup_processor_mode 1
		.amdhsa_memory_ordered 1
		.amdhsa_forward_progress 1
		.amdhsa_inst_pref_size 255
		.amdhsa_round_robin_scheduling 0
		.amdhsa_exception_fp_ieee_invalid_op 0
		.amdhsa_exception_fp_denorm_src 0
		.amdhsa_exception_fp_ieee_div_zero 0
		.amdhsa_exception_fp_ieee_overflow 0
		.amdhsa_exception_fp_ieee_underflow 0
		.amdhsa_exception_fp_ieee_inexact 0
		.amdhsa_exception_int_div_zero 0
	.end_amdhsa_kernel
	.section	.text._ZN9rocsolver6v33100L18getri_kernel_smallILi45E19rocblas_complex_numIdEPKPS3_EEvT1_iilPiilS8_bb,"axG",@progbits,_ZN9rocsolver6v33100L18getri_kernel_smallILi45E19rocblas_complex_numIdEPKPS3_EEvT1_iilPiilS8_bb,comdat
.Lfunc_end108:
	.size	_ZN9rocsolver6v33100L18getri_kernel_smallILi45E19rocblas_complex_numIdEPKPS3_EEvT1_iilPiilS8_bb, .Lfunc_end108-_ZN9rocsolver6v33100L18getri_kernel_smallILi45E19rocblas_complex_numIdEPKPS3_EEvT1_iilPiilS8_bb
                                        ; -- End function
	.set _ZN9rocsolver6v33100L18getri_kernel_smallILi45E19rocblas_complex_numIdEPKPS3_EEvT1_iilPiilS8_bb.num_vgpr, 163
	.set _ZN9rocsolver6v33100L18getri_kernel_smallILi45E19rocblas_complex_numIdEPKPS3_EEvT1_iilPiilS8_bb.num_agpr, 0
	.set _ZN9rocsolver6v33100L18getri_kernel_smallILi45E19rocblas_complex_numIdEPKPS3_EEvT1_iilPiilS8_bb.numbered_sgpr, 74
	.set _ZN9rocsolver6v33100L18getri_kernel_smallILi45E19rocblas_complex_numIdEPKPS3_EEvT1_iilPiilS8_bb.num_named_barrier, 0
	.set _ZN9rocsolver6v33100L18getri_kernel_smallILi45E19rocblas_complex_numIdEPKPS3_EEvT1_iilPiilS8_bb.private_seg_size, 752
	.set _ZN9rocsolver6v33100L18getri_kernel_smallILi45E19rocblas_complex_numIdEPKPS3_EEvT1_iilPiilS8_bb.uses_vcc, 1
	.set _ZN9rocsolver6v33100L18getri_kernel_smallILi45E19rocblas_complex_numIdEPKPS3_EEvT1_iilPiilS8_bb.uses_flat_scratch, 1
	.set _ZN9rocsolver6v33100L18getri_kernel_smallILi45E19rocblas_complex_numIdEPKPS3_EEvT1_iilPiilS8_bb.has_dyn_sized_stack, 0
	.set _ZN9rocsolver6v33100L18getri_kernel_smallILi45E19rocblas_complex_numIdEPKPS3_EEvT1_iilPiilS8_bb.has_recursion, 0
	.set _ZN9rocsolver6v33100L18getri_kernel_smallILi45E19rocblas_complex_numIdEPKPS3_EEvT1_iilPiilS8_bb.has_indirect_call, 0
	.section	.AMDGPU.csdata,"",@progbits
; Kernel info:
; codeLenInByte = 85820
; TotalNumSgprs: 76
; NumVgprs: 163
; ScratchSize: 752
; MemoryBound: 0
; FloatMode: 240
; IeeeMode: 1
; LDSByteSize: 1448 bytes/workgroup (compile time only)
; SGPRBlocks: 0
; VGPRBlocks: 20
; NumSGPRsForWavesPerEU: 76
; NumVGPRsForWavesPerEU: 163
; Occupancy: 9
; WaveLimiterHint : 1
; COMPUTE_PGM_RSRC2:SCRATCH_EN: 1
; COMPUTE_PGM_RSRC2:USER_SGPR: 2
; COMPUTE_PGM_RSRC2:TRAP_HANDLER: 0
; COMPUTE_PGM_RSRC2:TGID_X_EN: 1
; COMPUTE_PGM_RSRC2:TGID_Y_EN: 0
; COMPUTE_PGM_RSRC2:TGID_Z_EN: 0
; COMPUTE_PGM_RSRC2:TIDIG_COMP_CNT: 0
	.section	.text._ZN9rocsolver6v33100L18getri_kernel_smallILi46E19rocblas_complex_numIdEPKPS3_EEvT1_iilPiilS8_bb,"axG",@progbits,_ZN9rocsolver6v33100L18getri_kernel_smallILi46E19rocblas_complex_numIdEPKPS3_EEvT1_iilPiilS8_bb,comdat
	.globl	_ZN9rocsolver6v33100L18getri_kernel_smallILi46E19rocblas_complex_numIdEPKPS3_EEvT1_iilPiilS8_bb ; -- Begin function _ZN9rocsolver6v33100L18getri_kernel_smallILi46E19rocblas_complex_numIdEPKPS3_EEvT1_iilPiilS8_bb
	.p2align	8
	.type	_ZN9rocsolver6v33100L18getri_kernel_smallILi46E19rocblas_complex_numIdEPKPS3_EEvT1_iilPiilS8_bb,@function
_ZN9rocsolver6v33100L18getri_kernel_smallILi46E19rocblas_complex_numIdEPKPS3_EEvT1_iilPiilS8_bb: ; @_ZN9rocsolver6v33100L18getri_kernel_smallILi46E19rocblas_complex_numIdEPKPS3_EEvT1_iilPiilS8_bb
; %bb.0:
	s_mov_b32 s2, exec_lo
	v_cmpx_gt_u32_e32 46, v0
	s_cbranch_execz .LBB109_198
; %bb.1:
	s_clause 0x1
	s_load_b32 s13, s[0:1], 0x38
	s_load_b64 s[2:3], s[0:1], 0x0
	s_mov_b32 s8, ttmp9
	s_load_b128 s[4:7], s[0:1], 0x28
	s_wait_kmcnt 0x0
	s_bitcmp1_b32 s13, 8
	s_cselect_b32 s12, -1, 0
	s_ashr_i32 s9, ttmp9, 31
	s_delay_alu instid0(SALU_CYCLE_1) | instskip(NEXT) | instid1(SALU_CYCLE_1)
	s_lshl_b64 s[10:11], s[8:9], 3
	s_add_nc_u64 s[2:3], s[2:3], s[10:11]
	s_load_b64 s[10:11], s[2:3], 0x0
	s_bfe_u32 s2, s13, 0x10008
	s_delay_alu instid0(SALU_CYCLE_1)
	s_cmp_eq_u32 s2, 0
                                        ; implicit-def: $sgpr2_sgpr3
	s_cbranch_scc1 .LBB109_3
; %bb.2:
	s_load_b96 s[16:18], s[0:1], 0x18
	s_mul_u64 s[2:3], s[4:5], s[8:9]
	s_delay_alu instid0(SALU_CYCLE_1)
	s_lshl_b64 s[2:3], s[2:3], 2
	s_wait_kmcnt 0x0
	s_ashr_i32 s5, s18, 31
	s_mov_b32 s4, s18
	s_add_nc_u64 s[2:3], s[16:17], s[2:3]
	s_lshl_b64 s[4:5], s[4:5], 2
	s_delay_alu instid0(SALU_CYCLE_1)
	s_add_nc_u64 s[2:3], s[2:3], s[4:5]
.LBB109_3:
	s_clause 0x1
	s_load_b64 s[4:5], s[0:1], 0x8
	s_load_b32 s55, s[0:1], 0x38
	v_lshlrev_b32_e32 v13, 4, v0
	s_movk_i32 s14, 0x90
	s_movk_i32 s16, 0xa0
	;; [unrolled: 1-line block ×17, first 2 shown]
	s_wait_kmcnt 0x0
	s_ashr_i32 s1, s4, 31
	s_mov_b32 s0, s4
	v_add3_u32 v5, s5, s5, v0
	s_lshl_b64 s[0:1], s[0:1], 4
	s_movk_i32 s33, 0x1a0
	s_add_nc_u64 s[0:1], s[10:11], s[0:1]
	s_ashr_i32 s11, s5, 31
	v_add_co_u32 v46, s4, s0, v13
	s_wait_alu 0xf1ff
	v_add_co_ci_u32_e64 v47, null, s1, 0, s4
	s_mov_b32 s10, s5
	v_ashrrev_i32_e32 v6, 31, v5
	s_lshl_b64 s[10:11], s[10:11], 4
	flat_load_b128 v[1:4], v[46:47]
	v_add_co_u32 v48, vcc_lo, v46, s10
	s_delay_alu instid0(VALU_DEP_1)
	v_add_co_ci_u32_e64 v49, null, s11, v47, vcc_lo
	v_lshlrev_b64_e32 v[6:7], 4, v[5:6]
	v_add_nc_u32_e32 v5, s5, v5
	s_movk_i32 s11, 0x80
	s_movk_i32 s56, 0x1b0
	;; [unrolled: 1-line block ×4, first 2 shown]
	v_add_co_u32 v50, vcc_lo, s0, v6
	s_wait_alu 0xfffd
	v_add_co_ci_u32_e64 v51, null, s1, v7, vcc_lo
	v_ashrrev_i32_e32 v6, 31, v5
	s_movk_i32 s59, 0x1e0
	s_movk_i32 s60, 0x1f0
	;; [unrolled: 1-line block ×4, first 2 shown]
	v_lshlrev_b64_e32 v[6:7], 4, v[5:6]
	v_add_nc_u32_e32 v5, s5, v5
	s_movk_i32 s63, 0x220
	s_movk_i32 s64, 0x230
	;; [unrolled: 1-line block ×4, first 2 shown]
	v_add_co_u32 v52, vcc_lo, s0, v6
	s_wait_alu 0xfffd
	v_add_co_ci_u32_e64 v53, null, s1, v7, vcc_lo
	v_ashrrev_i32_e32 v6, 31, v5
	s_movk_i32 s67, 0x260
	s_movk_i32 s68, 0x270
	;; [unrolled: 1-line block ×4, first 2 shown]
	v_lshlrev_b64_e32 v[6:7], 4, v[5:6]
	v_add_nc_u32_e32 v5, s5, v5
	s_movk_i32 s71, 0x2a0
	s_movk_i32 s72, 0x2b0
	;; [unrolled: 1-line block ×4, first 2 shown]
	v_add_co_u32 v54, vcc_lo, s0, v6
	s_wait_alu 0xfffd
	v_add_co_ci_u32_e64 v55, null, s1, v7, vcc_lo
	v_ashrrev_i32_e32 v6, 31, v5
	s_wait_alu 0xfffe
	s_add_co_i32 s51, s11, 16
	s_add_co_i32 s50, s14, 16
	s_add_co_i32 s49, s16, 16
	s_add_co_i32 s48, s17, 16
	v_lshlrev_b64_e32 v[6:7], 4, v[5:6]
	v_add_nc_u32_e32 v5, s5, v5
	s_add_co_i32 s47, s18, 16
	s_add_co_i32 s46, s19, 16
	s_add_co_i32 s45, s20, 16
	s_add_co_i32 s44, s21, 16
	v_add_co_u32 v56, vcc_lo, s0, v6
	s_wait_alu 0xfffd
	v_add_co_ci_u32_e64 v57, null, s1, v7, vcc_lo
	v_ashrrev_i32_e32 v6, 31, v5
	s_add_co_i32 s43, s22, 16
	s_add_co_i32 s42, s23, 16
	s_add_co_i32 s41, s24, 16
	s_add_co_i32 s40, s25, 16
	v_lshlrev_b64_e32 v[6:7], 4, v[5:6]
	v_add_nc_u32_e32 v5, s5, v5
	s_add_co_i32 s39, s26, 16
	s_add_co_i32 s38, s27, 16
	s_add_co_i32 s37, s28, 16
	s_add_co_i32 s36, s29, 16
	v_add_co_u32 v58, vcc_lo, s0, v6
	s_wait_alu 0xfffd
	v_add_co_ci_u32_e64 v59, null, s1, v7, vcc_lo
	v_ashrrev_i32_e32 v6, 31, v5
	;; [unrolled: 14-line block ×4, first 2 shown]
	s_add_co_i32 s18, s69, 16
	s_add_co_i32 s17, s70, 16
	;; [unrolled: 1-line block ×4, first 2 shown]
	v_lshlrev_b64_e32 v[6:7], 4, v[5:6]
	v_add_nc_u32_e32 v5, s5, v5
	s_add_co_i32 s11, s73, 16
	s_mov_b32 s15, 32
	s_mov_b32 s13, 48
	;; [unrolled: 1-line block ×3, first 2 shown]
	v_add_co_u32 v64, vcc_lo, s0, v6
	s_wait_alu 0xfffd
	v_add_co_ci_u32_e64 v65, null, s1, v7, vcc_lo
	v_ashrrev_i32_e32 v6, 31, v5
	s_movk_i32 s4, 0x50
	s_delay_alu instid0(VALU_DEP_1) | instskip(SKIP_1) | instid1(VALU_DEP_2)
	v_lshlrev_b64_e32 v[6:7], 4, v[5:6]
	v_add_nc_u32_e32 v5, s5, v5
	v_add_co_u32 v66, vcc_lo, s0, v6
	s_wait_alu 0xfffd
	s_delay_alu instid0(VALU_DEP_3) | instskip(NEXT) | instid1(VALU_DEP_3)
	v_add_co_ci_u32_e64 v67, null, s1, v7, vcc_lo
	v_ashrrev_i32_e32 v6, 31, v5
	s_delay_alu instid0(VALU_DEP_1) | instskip(SKIP_1) | instid1(VALU_DEP_2)
	v_lshlrev_b64_e32 v[6:7], 4, v[5:6]
	v_add_nc_u32_e32 v5, s5, v5
	v_add_co_u32 v68, vcc_lo, s0, v6
	s_wait_alu 0xfffd
	s_delay_alu instid0(VALU_DEP_3) | instskip(NEXT) | instid1(VALU_DEP_3)
	v_add_co_ci_u32_e64 v69, null, s1, v7, vcc_lo
	v_ashrrev_i32_e32 v6, 31, v5
	;; [unrolled: 8-line block ×13, first 2 shown]
	s_delay_alu instid0(VALU_DEP_1)
	v_lshlrev_b64_e32 v[6:7], 4, v[5:6]
	s_wait_loadcnt_dscnt 0x0
	scratch_store_b128 off, v[1:4], off offset:16
	flat_load_b128 v[1:4], v[48:49]
	v_add_nc_u32_e32 v5, s5, v5
	v_add_co_u32 v92, vcc_lo, s0, v6
	s_wait_alu 0xfffd
	v_add_co_ci_u32_e64 v93, null, s1, v7, vcc_lo
	s_delay_alu instid0(VALU_DEP_3) | instskip(NEXT) | instid1(VALU_DEP_1)
	v_ashrrev_i32_e32 v6, 31, v5
	v_lshlrev_b64_e32 v[6:7], 4, v[5:6]
	v_add_nc_u32_e32 v5, s5, v5
	s_delay_alu instid0(VALU_DEP_2) | instskip(SKIP_1) | instid1(VALU_DEP_3)
	v_add_co_u32 v94, vcc_lo, s0, v6
	s_wait_alu 0xfffd
	v_add_co_ci_u32_e64 v95, null, s1, v7, vcc_lo
	s_delay_alu instid0(VALU_DEP_3) | instskip(NEXT) | instid1(VALU_DEP_1)
	v_ashrrev_i32_e32 v6, 31, v5
	v_lshlrev_b64_e32 v[6:7], 4, v[5:6]
	v_add_nc_u32_e32 v5, s5, v5
	s_delay_alu instid0(VALU_DEP_2) | instskip(SKIP_1) | instid1(VALU_DEP_3)
	;; [unrolled: 8-line block ×20, first 2 shown]
	v_add_co_u32 v132, vcc_lo, s0, v6
	s_wait_alu 0xfffd
	v_add_co_ci_u32_e64 v133, null, s1, v7, vcc_lo
	s_delay_alu instid0(VALU_DEP_3) | instskip(NEXT) | instid1(VALU_DEP_1)
	v_ashrrev_i32_e32 v6, 31, v5
	v_lshlrev_b64_e32 v[6:7], 4, v[5:6]
	v_add_nc_u32_e32 v5, s5, v5
	s_movk_i32 s5, 0x70
	s_wait_alu 0xfffe
	s_add_co_i32 s52, s5, 16
	s_add_co_i32 s5, s74, 16
	v_add_co_u32 v134, vcc_lo, s0, v6
	s_wait_loadcnt_dscnt 0x0
	scratch_store_b128 off, v[1:4], off offset:32
	flat_load_b128 v[1:4], v[50:51]
	s_wait_alu 0xfffd
	v_add_co_ci_u32_e64 v135, null, s1, v7, vcc_lo
	v_ashrrev_i32_e32 v6, 31, v5
	s_delay_alu instid0(VALU_DEP_1) | instskip(NEXT) | instid1(VALU_DEP_1)
	v_lshlrev_b64_e32 v[5:6], 4, v[5:6]
	v_add_co_u32 v136, vcc_lo, s0, v5
	s_wait_alu 0xfffd
	s_delay_alu instid0(VALU_DEP_2)
	v_add_co_ci_u32_e64 v137, null, s1, v6, vcc_lo
	s_movk_i32 s0, 0x50
	s_movk_i32 s1, 0x60
	s_wait_alu 0xfffe
	s_add_co_i32 s54, s0, 16
	s_add_co_i32 s53, s1, 16
	s_bitcmp0_b32 s55, 0
	s_mov_b32 s1, -1
	s_wait_loadcnt_dscnt 0x0
	scratch_store_b128 off, v[1:4], off offset:48
	flat_load_b128 v[1:4], v[52:53]
	s_wait_loadcnt_dscnt 0x0
	scratch_store_b128 off, v[1:4], off offset:64
	flat_load_b128 v[1:4], v[54:55]
	;; [unrolled: 3-line block ×43, first 2 shown]
	s_wait_loadcnt_dscnt 0x0
	scratch_store_b128 off, v[1:4], off offset:736
	s_cbranch_scc1 .LBB109_196
; %bb.4:
	v_cmp_eq_u32_e64 s0, 0, v0
	s_and_saveexec_b32 s1, s0
; %bb.5:
	v_mov_b32_e32 v1, 0
	ds_store_b32 v1, v1 offset:1472
; %bb.6:
	s_wait_alu 0xfffe
	s_or_b32 exec_lo, exec_lo, s1
	s_wait_storecnt_dscnt 0x0
	s_barrier_signal -1
	s_barrier_wait -1
	global_inv scope:SCOPE_SE
	scratch_load_b128 v[1:4], v13, off offset:16
	s_wait_loadcnt 0x0
	v_cmp_eq_f64_e32 vcc_lo, 0, v[1:2]
	v_cmp_eq_f64_e64 s1, 0, v[3:4]
	s_and_b32 s1, vcc_lo, s1
	s_wait_alu 0xfffe
	s_and_saveexec_b32 s55, s1
	s_cbranch_execz .LBB109_10
; %bb.7:
	v_mov_b32_e32 v1, 0
	s_mov_b32 s56, 0
	ds_load_b32 v2, v1 offset:1472
	s_wait_dscnt 0x0
	v_readfirstlane_b32 s1, v2
	v_add_nc_u32_e32 v2, 1, v0
	s_cmp_eq_u32 s1, 0
	s_delay_alu instid0(VALU_DEP_1) | instskip(SKIP_1) | instid1(SALU_CYCLE_1)
	v_cmp_gt_i32_e32 vcc_lo, s1, v2
	s_cselect_b32 s57, -1, 0
	s_or_b32 s57, s57, vcc_lo
	s_delay_alu instid0(SALU_CYCLE_1)
	s_and_b32 exec_lo, exec_lo, s57
	s_cbranch_execz .LBB109_10
; %bb.8:
	v_mov_b32_e32 v3, s1
.LBB109_9:                              ; =>This Inner Loop Header: Depth=1
	ds_cmpstore_rtn_b32 v3, v1, v2, v3 offset:1472
	s_wait_dscnt 0x0
	v_cmp_ne_u32_e32 vcc_lo, 0, v3
	v_cmp_le_i32_e64 s1, v3, v2
	s_and_b32 s1, vcc_lo, s1
	s_wait_alu 0xfffe
	s_and_b32 s1, exec_lo, s1
	s_wait_alu 0xfffe
	s_or_b32 s56, s1, s56
	s_delay_alu instid0(SALU_CYCLE_1)
	s_and_not1_b32 exec_lo, exec_lo, s56
	s_cbranch_execnz .LBB109_9
.LBB109_10:
	s_or_b32 exec_lo, exec_lo, s55
	v_mov_b32_e32 v1, 0
	s_barrier_signal -1
	s_barrier_wait -1
	global_inv scope:SCOPE_SE
	ds_load_b32 v2, v1 offset:1472
	s_and_saveexec_b32 s1, s0
	s_cbranch_execz .LBB109_12
; %bb.11:
	s_lshl_b64 s[56:57], s[8:9], 2
	s_delay_alu instid0(SALU_CYCLE_1)
	s_add_nc_u64 s[56:57], s[6:7], s[56:57]
	s_wait_dscnt 0x0
	global_store_b32 v1, v2, s[56:57]
.LBB109_12:
	s_wait_alu 0xfffe
	s_or_b32 exec_lo, exec_lo, s1
	s_wait_dscnt 0x0
	v_cmp_ne_u32_e32 vcc_lo, 0, v2
	s_mov_b32 s1, 0
	s_cbranch_vccnz .LBB109_196
; %bb.13:
	v_add_nc_u32_e32 v14, 16, v13
                                        ; implicit-def: $vgpr1_vgpr2
                                        ; implicit-def: $vgpr9_vgpr10
	scratch_load_b128 v[5:8], v14, off
	s_wait_loadcnt 0x0
	v_cmp_ngt_f64_e64 s1, |v[5:6]|, |v[7:8]|
	s_wait_alu 0xfffe
	s_and_saveexec_b32 s55, s1
	s_delay_alu instid0(SALU_CYCLE_1)
	s_xor_b32 s1, exec_lo, s55
	s_cbranch_execz .LBB109_15
; %bb.14:
	v_div_scale_f64 v[1:2], null, v[7:8], v[7:8], v[5:6]
	v_div_scale_f64 v[11:12], vcc_lo, v[5:6], v[7:8], v[5:6]
	s_delay_alu instid0(VALU_DEP_2) | instskip(NEXT) | instid1(TRANS32_DEP_1)
	v_rcp_f64_e32 v[3:4], v[1:2]
	v_fma_f64 v[9:10], -v[1:2], v[3:4], 1.0
	s_delay_alu instid0(VALU_DEP_1) | instskip(NEXT) | instid1(VALU_DEP_1)
	v_fma_f64 v[3:4], v[3:4], v[9:10], v[3:4]
	v_fma_f64 v[9:10], -v[1:2], v[3:4], 1.0
	s_delay_alu instid0(VALU_DEP_1) | instskip(NEXT) | instid1(VALU_DEP_1)
	v_fma_f64 v[3:4], v[3:4], v[9:10], v[3:4]
	v_mul_f64_e32 v[9:10], v[11:12], v[3:4]
	s_delay_alu instid0(VALU_DEP_1) | instskip(SKIP_1) | instid1(VALU_DEP_1)
	v_fma_f64 v[1:2], -v[1:2], v[9:10], v[11:12]
	s_wait_alu 0xfffd
	v_div_fmas_f64 v[1:2], v[1:2], v[3:4], v[9:10]
	s_delay_alu instid0(VALU_DEP_1) | instskip(NEXT) | instid1(VALU_DEP_1)
	v_div_fixup_f64 v[1:2], v[1:2], v[7:8], v[5:6]
	v_fma_f64 v[3:4], v[5:6], v[1:2], v[7:8]
	s_delay_alu instid0(VALU_DEP_1) | instskip(SKIP_1) | instid1(VALU_DEP_2)
	v_div_scale_f64 v[5:6], null, v[3:4], v[3:4], 1.0
	v_div_scale_f64 v[11:12], vcc_lo, 1.0, v[3:4], 1.0
	v_rcp_f64_e32 v[7:8], v[5:6]
	s_delay_alu instid0(TRANS32_DEP_1) | instskip(NEXT) | instid1(VALU_DEP_1)
	v_fma_f64 v[9:10], -v[5:6], v[7:8], 1.0
	v_fma_f64 v[7:8], v[7:8], v[9:10], v[7:8]
	s_delay_alu instid0(VALU_DEP_1) | instskip(NEXT) | instid1(VALU_DEP_1)
	v_fma_f64 v[9:10], -v[5:6], v[7:8], 1.0
	v_fma_f64 v[7:8], v[7:8], v[9:10], v[7:8]
	s_delay_alu instid0(VALU_DEP_1) | instskip(NEXT) | instid1(VALU_DEP_1)
	v_mul_f64_e32 v[9:10], v[11:12], v[7:8]
	v_fma_f64 v[5:6], -v[5:6], v[9:10], v[11:12]
	s_wait_alu 0xfffd
	s_delay_alu instid0(VALU_DEP_1) | instskip(NEXT) | instid1(VALU_DEP_1)
	v_div_fmas_f64 v[5:6], v[5:6], v[7:8], v[9:10]
	v_div_fixup_f64 v[3:4], v[5:6], v[3:4], 1.0
                                        ; implicit-def: $vgpr5_vgpr6
	s_delay_alu instid0(VALU_DEP_1) | instskip(SKIP_1) | instid1(VALU_DEP_2)
	v_mul_f64_e32 v[1:2], v[1:2], v[3:4]
	v_xor_b32_e32 v4, 0x80000000, v4
	v_xor_b32_e32 v10, 0x80000000, v2
	s_delay_alu instid0(VALU_DEP_3)
	v_mov_b32_e32 v9, v1
.LBB109_15:
	s_wait_alu 0xfffe
	s_and_not1_saveexec_b32 s1, s1
	s_cbranch_execz .LBB109_17
; %bb.16:
	v_div_scale_f64 v[1:2], null, v[5:6], v[5:6], v[7:8]
	v_div_scale_f64 v[11:12], vcc_lo, v[7:8], v[5:6], v[7:8]
	s_delay_alu instid0(VALU_DEP_2) | instskip(NEXT) | instid1(TRANS32_DEP_1)
	v_rcp_f64_e32 v[3:4], v[1:2]
	v_fma_f64 v[9:10], -v[1:2], v[3:4], 1.0
	s_delay_alu instid0(VALU_DEP_1) | instskip(NEXT) | instid1(VALU_DEP_1)
	v_fma_f64 v[3:4], v[3:4], v[9:10], v[3:4]
	v_fma_f64 v[9:10], -v[1:2], v[3:4], 1.0
	s_delay_alu instid0(VALU_DEP_1) | instskip(NEXT) | instid1(VALU_DEP_1)
	v_fma_f64 v[3:4], v[3:4], v[9:10], v[3:4]
	v_mul_f64_e32 v[9:10], v[11:12], v[3:4]
	s_delay_alu instid0(VALU_DEP_1) | instskip(SKIP_1) | instid1(VALU_DEP_1)
	v_fma_f64 v[1:2], -v[1:2], v[9:10], v[11:12]
	s_wait_alu 0xfffd
	v_div_fmas_f64 v[1:2], v[1:2], v[3:4], v[9:10]
	s_delay_alu instid0(VALU_DEP_1) | instskip(NEXT) | instid1(VALU_DEP_1)
	v_div_fixup_f64 v[3:4], v[1:2], v[5:6], v[7:8]
	v_fma_f64 v[1:2], v[7:8], v[3:4], v[5:6]
	s_delay_alu instid0(VALU_DEP_1) | instskip(NEXT) | instid1(VALU_DEP_1)
	v_div_scale_f64 v[5:6], null, v[1:2], v[1:2], 1.0
	v_rcp_f64_e32 v[7:8], v[5:6]
	s_delay_alu instid0(TRANS32_DEP_1) | instskip(NEXT) | instid1(VALU_DEP_1)
	v_fma_f64 v[9:10], -v[5:6], v[7:8], 1.0
	v_fma_f64 v[7:8], v[7:8], v[9:10], v[7:8]
	s_delay_alu instid0(VALU_DEP_1) | instskip(NEXT) | instid1(VALU_DEP_1)
	v_fma_f64 v[9:10], -v[5:6], v[7:8], 1.0
	v_fma_f64 v[7:8], v[7:8], v[9:10], v[7:8]
	v_div_scale_f64 v[9:10], vcc_lo, 1.0, v[1:2], 1.0
	s_delay_alu instid0(VALU_DEP_1) | instskip(NEXT) | instid1(VALU_DEP_1)
	v_mul_f64_e32 v[11:12], v[9:10], v[7:8]
	v_fma_f64 v[5:6], -v[5:6], v[11:12], v[9:10]
	s_wait_alu 0xfffd
	s_delay_alu instid0(VALU_DEP_1) | instskip(NEXT) | instid1(VALU_DEP_1)
	v_div_fmas_f64 v[5:6], v[5:6], v[7:8], v[11:12]
	v_div_fixup_f64 v[1:2], v[5:6], v[1:2], 1.0
	s_delay_alu instid0(VALU_DEP_1)
	v_mul_f64_e64 v[3:4], v[3:4], -v[1:2]
	v_xor_b32_e32 v10, 0x80000000, v2
	v_mov_b32_e32 v9, v1
.LBB109_17:
	s_wait_alu 0xfffe
	s_or_b32 exec_lo, exec_lo, s1
	scratch_store_b128 v14, v[1:4], off
	scratch_load_b128 v[15:18], off, s15
	v_xor_b32_e32 v12, 0x80000000, v4
	v_mov_b32_e32 v11, v3
	v_add_nc_u32_e32 v5, 0x2e0, v13
	ds_store_b128 v13, v[9:12]
	s_wait_loadcnt 0x0
	ds_store_b128 v13, v[15:18] offset:736
	s_wait_storecnt_dscnt 0x0
	s_barrier_signal -1
	s_barrier_wait -1
	global_inv scope:SCOPE_SE
	s_and_saveexec_b32 s1, s0
	s_cbranch_execz .LBB109_19
; %bb.18:
	scratch_load_b128 v[1:4], v14, off
	ds_load_b128 v[6:9], v5
	v_mov_b32_e32 v10, 0
	ds_load_b128 v[15:18], v10 offset:16
	s_wait_loadcnt_dscnt 0x1
	v_mul_f64_e32 v[10:11], v[6:7], v[3:4]
	v_mul_f64_e32 v[3:4], v[8:9], v[3:4]
	s_delay_alu instid0(VALU_DEP_2) | instskip(NEXT) | instid1(VALU_DEP_2)
	v_fma_f64 v[8:9], v[8:9], v[1:2], v[10:11]
	v_fma_f64 v[1:2], v[6:7], v[1:2], -v[3:4]
	s_delay_alu instid0(VALU_DEP_2) | instskip(NEXT) | instid1(VALU_DEP_2)
	v_add_f64_e32 v[3:4], 0, v[8:9]
	v_add_f64_e32 v[1:2], 0, v[1:2]
	s_wait_dscnt 0x0
	s_delay_alu instid0(VALU_DEP_2) | instskip(NEXT) | instid1(VALU_DEP_2)
	v_mul_f64_e32 v[6:7], v[3:4], v[17:18]
	v_mul_f64_e32 v[8:9], v[1:2], v[17:18]
	s_delay_alu instid0(VALU_DEP_2) | instskip(NEXT) | instid1(VALU_DEP_2)
	v_fma_f64 v[1:2], v[1:2], v[15:16], -v[6:7]
	v_fma_f64 v[3:4], v[3:4], v[15:16], v[8:9]
	scratch_store_b128 off, v[1:4], off offset:32
.LBB109_19:
	s_wait_alu 0xfffe
	s_or_b32 exec_lo, exec_lo, s1
	s_wait_loadcnt 0x0
	s_wait_storecnt 0x0
	s_barrier_signal -1
	s_barrier_wait -1
	global_inv scope:SCOPE_SE
	scratch_load_b128 v[1:4], off, s13
	s_mov_b32 s1, exec_lo
	s_wait_loadcnt 0x0
	ds_store_b128 v5, v[1:4]
	s_wait_dscnt 0x0
	s_barrier_signal -1
	s_barrier_wait -1
	global_inv scope:SCOPE_SE
	v_cmpx_gt_u32_e32 2, v0
	s_cbranch_execz .LBB109_23
; %bb.20:
	scratch_load_b128 v[1:4], v14, off
	ds_load_b128 v[6:9], v5
	s_wait_loadcnt_dscnt 0x0
	v_mul_f64_e32 v[10:11], v[8:9], v[3:4]
	v_mul_f64_e32 v[3:4], v[6:7], v[3:4]
	s_delay_alu instid0(VALU_DEP_2) | instskip(NEXT) | instid1(VALU_DEP_2)
	v_fma_f64 v[6:7], v[6:7], v[1:2], -v[10:11]
	v_fma_f64 v[3:4], v[8:9], v[1:2], v[3:4]
	s_delay_alu instid0(VALU_DEP_2) | instskip(NEXT) | instid1(VALU_DEP_2)
	v_add_f64_e32 v[1:2], 0, v[6:7]
	v_add_f64_e32 v[3:4], 0, v[3:4]
	s_and_saveexec_b32 s55, s0
	s_cbranch_execz .LBB109_22
; %bb.21:
	scratch_load_b128 v[6:9], off, off offset:32
	v_mov_b32_e32 v10, 0
	ds_load_b128 v[15:18], v10 offset:752
	s_wait_loadcnt_dscnt 0x0
	v_mul_f64_e32 v[10:11], v[15:16], v[8:9]
	v_mul_f64_e32 v[8:9], v[17:18], v[8:9]
	s_delay_alu instid0(VALU_DEP_2) | instskip(NEXT) | instid1(VALU_DEP_2)
	v_fma_f64 v[10:11], v[17:18], v[6:7], v[10:11]
	v_fma_f64 v[6:7], v[15:16], v[6:7], -v[8:9]
	s_delay_alu instid0(VALU_DEP_2) | instskip(NEXT) | instid1(VALU_DEP_2)
	v_add_f64_e32 v[3:4], v[3:4], v[10:11]
	v_add_f64_e32 v[1:2], v[1:2], v[6:7]
.LBB109_22:
	s_or_b32 exec_lo, exec_lo, s55
	v_mov_b32_e32 v6, 0
	ds_load_b128 v[6:9], v6 offset:32
	s_wait_dscnt 0x0
	v_mul_f64_e32 v[10:11], v[3:4], v[8:9]
	v_mul_f64_e32 v[8:9], v[1:2], v[8:9]
	s_delay_alu instid0(VALU_DEP_2) | instskip(NEXT) | instid1(VALU_DEP_2)
	v_fma_f64 v[1:2], v[1:2], v[6:7], -v[10:11]
	v_fma_f64 v[3:4], v[3:4], v[6:7], v[8:9]
	scratch_store_b128 off, v[1:4], off offset:48
.LBB109_23:
	s_wait_alu 0xfffe
	s_or_b32 exec_lo, exec_lo, s1
	s_wait_loadcnt 0x0
	s_wait_storecnt 0x0
	s_barrier_signal -1
	s_barrier_wait -1
	global_inv scope:SCOPE_SE
	scratch_load_b128 v[1:4], off, s10
	v_add_nc_u32_e32 v6, -1, v0
	s_mov_b32 s0, exec_lo
	s_wait_loadcnt 0x0
	ds_store_b128 v5, v[1:4]
	s_wait_dscnt 0x0
	s_barrier_signal -1
	s_barrier_wait -1
	global_inv scope:SCOPE_SE
	v_cmpx_gt_u32_e32 3, v0
	s_cbranch_execz .LBB109_27
; %bb.24:
	v_dual_mov_b32 v1, 0 :: v_dual_add_nc_u32 v8, 0x2e0, v13
	v_mov_b32_e32 v3, 0
	v_dual_mov_b32 v2, 0 :: v_dual_add_nc_u32 v7, -1, v0
	v_mov_b32_e32 v4, 0
	v_or_b32_e32 v9, 8, v14
	s_mov_b32 s1, 0
.LBB109_25:                             ; =>This Inner Loop Header: Depth=1
	scratch_load_b128 v[15:18], v9, off offset:-8
	ds_load_b128 v[19:22], v8
	v_add_nc_u32_e32 v7, 1, v7
	v_add_nc_u32_e32 v8, 16, v8
	v_add_nc_u32_e32 v9, 16, v9
	s_delay_alu instid0(VALU_DEP_3)
	v_cmp_lt_u32_e32 vcc_lo, 1, v7
	s_wait_alu 0xfffe
	s_or_b32 s1, vcc_lo, s1
	s_wait_loadcnt_dscnt 0x0
	v_mul_f64_e32 v[10:11], v[21:22], v[17:18]
	v_mul_f64_e32 v[17:18], v[19:20], v[17:18]
	s_delay_alu instid0(VALU_DEP_2) | instskip(NEXT) | instid1(VALU_DEP_2)
	v_fma_f64 v[10:11], v[19:20], v[15:16], -v[10:11]
	v_fma_f64 v[15:16], v[21:22], v[15:16], v[17:18]
	s_delay_alu instid0(VALU_DEP_2) | instskip(NEXT) | instid1(VALU_DEP_2)
	v_add_f64_e32 v[3:4], v[3:4], v[10:11]
	v_add_f64_e32 v[1:2], v[1:2], v[15:16]
	s_wait_alu 0xfffe
	s_and_not1_b32 exec_lo, exec_lo, s1
	s_cbranch_execnz .LBB109_25
; %bb.26:
	s_or_b32 exec_lo, exec_lo, s1
	v_mov_b32_e32 v7, 0
	ds_load_b128 v[7:10], v7 offset:48
	s_wait_dscnt 0x0
	v_mul_f64_e32 v[11:12], v[1:2], v[9:10]
	v_mul_f64_e32 v[15:16], v[3:4], v[9:10]
	s_delay_alu instid0(VALU_DEP_2) | instskip(NEXT) | instid1(VALU_DEP_2)
	v_fma_f64 v[9:10], v[3:4], v[7:8], -v[11:12]
	v_fma_f64 v[11:12], v[1:2], v[7:8], v[15:16]
	scratch_store_b128 off, v[9:12], off offset:64
.LBB109_27:
	s_wait_alu 0xfffe
	s_or_b32 exec_lo, exec_lo, s0
	s_wait_loadcnt 0x0
	s_wait_storecnt 0x0
	s_barrier_signal -1
	s_barrier_wait -1
	global_inv scope:SCOPE_SE
	scratch_load_b128 v[1:4], off, s4
	s_mov_b32 s0, exec_lo
	s_wait_loadcnt 0x0
	ds_store_b128 v5, v[1:4]
	s_wait_dscnt 0x0
	s_barrier_signal -1
	s_barrier_wait -1
	global_inv scope:SCOPE_SE
	v_cmpx_gt_u32_e32 4, v0
	s_cbranch_execz .LBB109_31
; %bb.28:
	v_dual_mov_b32 v1, 0 :: v_dual_add_nc_u32 v8, 0x2e0, v13
	v_mov_b32_e32 v3, 0
	v_dual_mov_b32 v2, 0 :: v_dual_add_nc_u32 v7, -1, v0
	v_mov_b32_e32 v4, 0
	v_or_b32_e32 v9, 8, v14
	s_mov_b32 s1, 0
.LBB109_29:                             ; =>This Inner Loop Header: Depth=1
	scratch_load_b128 v[15:18], v9, off offset:-8
	ds_load_b128 v[19:22], v8
	v_add_nc_u32_e32 v7, 1, v7
	v_add_nc_u32_e32 v8, 16, v8
	v_add_nc_u32_e32 v9, 16, v9
	s_delay_alu instid0(VALU_DEP_3)
	v_cmp_lt_u32_e32 vcc_lo, 2, v7
	s_wait_alu 0xfffe
	s_or_b32 s1, vcc_lo, s1
	s_wait_loadcnt_dscnt 0x0
	v_mul_f64_e32 v[10:11], v[21:22], v[17:18]
	v_mul_f64_e32 v[17:18], v[19:20], v[17:18]
	s_delay_alu instid0(VALU_DEP_2) | instskip(NEXT) | instid1(VALU_DEP_2)
	v_fma_f64 v[10:11], v[19:20], v[15:16], -v[10:11]
	v_fma_f64 v[15:16], v[21:22], v[15:16], v[17:18]
	s_delay_alu instid0(VALU_DEP_2) | instskip(NEXT) | instid1(VALU_DEP_2)
	v_add_f64_e32 v[3:4], v[3:4], v[10:11]
	v_add_f64_e32 v[1:2], v[1:2], v[15:16]
	s_wait_alu 0xfffe
	s_and_not1_b32 exec_lo, exec_lo, s1
	s_cbranch_execnz .LBB109_29
; %bb.30:
	s_or_b32 exec_lo, exec_lo, s1
	v_mov_b32_e32 v7, 0
	ds_load_b128 v[7:10], v7 offset:64
	s_wait_dscnt 0x0
	v_mul_f64_e32 v[11:12], v[1:2], v[9:10]
	v_mul_f64_e32 v[15:16], v[3:4], v[9:10]
	s_delay_alu instid0(VALU_DEP_2) | instskip(NEXT) | instid1(VALU_DEP_2)
	v_fma_f64 v[9:10], v[3:4], v[7:8], -v[11:12]
	v_fma_f64 v[11:12], v[1:2], v[7:8], v[15:16]
	scratch_store_b128 off, v[9:12], off offset:80
.LBB109_31:
	s_wait_alu 0xfffe
	s_or_b32 exec_lo, exec_lo, s0
	s_wait_loadcnt 0x0
	s_wait_storecnt 0x0
	s_barrier_signal -1
	s_barrier_wait -1
	global_inv scope:SCOPE_SE
	scratch_load_b128 v[1:4], off, s54
	;; [unrolled: 58-line block ×19, first 2 shown]
	s_mov_b32 s0, exec_lo
	s_wait_loadcnt 0x0
	ds_store_b128 v5, v[1:4]
	s_wait_dscnt 0x0
	s_barrier_signal -1
	s_barrier_wait -1
	global_inv scope:SCOPE_SE
	v_cmpx_gt_u32_e32 22, v0
	s_cbranch_execz .LBB109_103
; %bb.100:
	v_dual_mov_b32 v1, 0 :: v_dual_add_nc_u32 v8, 0x2e0, v13
	v_mov_b32_e32 v3, 0
	v_dual_mov_b32 v2, 0 :: v_dual_add_nc_u32 v7, -1, v0
	v_mov_b32_e32 v4, 0
	v_or_b32_e32 v9, 8, v14
	s_mov_b32 s1, 0
.LBB109_101:                            ; =>This Inner Loop Header: Depth=1
	scratch_load_b128 v[15:18], v9, off offset:-8
	ds_load_b128 v[19:22], v8
	v_add_nc_u32_e32 v7, 1, v7
	v_add_nc_u32_e32 v8, 16, v8
	v_add_nc_u32_e32 v9, 16, v9
	s_delay_alu instid0(VALU_DEP_3)
	v_cmp_lt_u32_e32 vcc_lo, 20, v7
	s_wait_alu 0xfffe
	s_or_b32 s1, vcc_lo, s1
	s_wait_loadcnt_dscnt 0x0
	v_mul_f64_e32 v[10:11], v[21:22], v[17:18]
	v_mul_f64_e32 v[17:18], v[19:20], v[17:18]
	s_delay_alu instid0(VALU_DEP_2) | instskip(NEXT) | instid1(VALU_DEP_2)
	v_fma_f64 v[10:11], v[19:20], v[15:16], -v[10:11]
	v_fma_f64 v[15:16], v[21:22], v[15:16], v[17:18]
	s_delay_alu instid0(VALU_DEP_2) | instskip(NEXT) | instid1(VALU_DEP_2)
	v_add_f64_e32 v[3:4], v[3:4], v[10:11]
	v_add_f64_e32 v[1:2], v[1:2], v[15:16]
	s_wait_alu 0xfffe
	s_and_not1_b32 exec_lo, exec_lo, s1
	s_cbranch_execnz .LBB109_101
; %bb.102:
	s_or_b32 exec_lo, exec_lo, s1
	v_mov_b32_e32 v7, 0
	ds_load_b128 v[7:10], v7 offset:352
	s_wait_dscnt 0x0
	v_mul_f64_e32 v[11:12], v[1:2], v[9:10]
	v_mul_f64_e32 v[15:16], v[3:4], v[9:10]
	s_delay_alu instid0(VALU_DEP_2) | instskip(NEXT) | instid1(VALU_DEP_2)
	v_fma_f64 v[9:10], v[3:4], v[7:8], -v[11:12]
	v_fma_f64 v[11:12], v[1:2], v[7:8], v[15:16]
	scratch_store_b128 off, v[9:12], off offset:368
.LBB109_103:
	s_wait_alu 0xfffe
	s_or_b32 exec_lo, exec_lo, s0
	s_wait_loadcnt 0x0
	s_wait_storecnt 0x0
	s_barrier_signal -1
	s_barrier_wait -1
	global_inv scope:SCOPE_SE
	scratch_load_b128 v[1:4], off, s36
	s_mov_b32 s0, exec_lo
	s_wait_loadcnt 0x0
	ds_store_b128 v5, v[1:4]
	s_wait_dscnt 0x0
	s_barrier_signal -1
	s_barrier_wait -1
	global_inv scope:SCOPE_SE
	v_cmpx_gt_u32_e32 23, v0
	s_cbranch_execz .LBB109_107
; %bb.104:
	v_dual_mov_b32 v1, 0 :: v_dual_add_nc_u32 v8, 0x2e0, v13
	v_mov_b32_e32 v3, 0
	v_dual_mov_b32 v2, 0 :: v_dual_add_nc_u32 v7, -1, v0
	v_mov_b32_e32 v4, 0
	v_or_b32_e32 v9, 8, v14
	s_mov_b32 s1, 0
.LBB109_105:                            ; =>This Inner Loop Header: Depth=1
	scratch_load_b128 v[15:18], v9, off offset:-8
	ds_load_b128 v[19:22], v8
	v_add_nc_u32_e32 v7, 1, v7
	v_add_nc_u32_e32 v8, 16, v8
	v_add_nc_u32_e32 v9, 16, v9
	s_delay_alu instid0(VALU_DEP_3)
	v_cmp_lt_u32_e32 vcc_lo, 21, v7
	s_wait_alu 0xfffe
	s_or_b32 s1, vcc_lo, s1
	s_wait_loadcnt_dscnt 0x0
	v_mul_f64_e32 v[10:11], v[21:22], v[17:18]
	v_mul_f64_e32 v[17:18], v[19:20], v[17:18]
	s_delay_alu instid0(VALU_DEP_2) | instskip(NEXT) | instid1(VALU_DEP_2)
	v_fma_f64 v[10:11], v[19:20], v[15:16], -v[10:11]
	v_fma_f64 v[15:16], v[21:22], v[15:16], v[17:18]
	s_delay_alu instid0(VALU_DEP_2) | instskip(NEXT) | instid1(VALU_DEP_2)
	v_add_f64_e32 v[3:4], v[3:4], v[10:11]
	v_add_f64_e32 v[1:2], v[1:2], v[15:16]
	s_wait_alu 0xfffe
	s_and_not1_b32 exec_lo, exec_lo, s1
	s_cbranch_execnz .LBB109_105
; %bb.106:
	s_or_b32 exec_lo, exec_lo, s1
	v_mov_b32_e32 v7, 0
	ds_load_b128 v[7:10], v7 offset:368
	s_wait_dscnt 0x0
	v_mul_f64_e32 v[11:12], v[1:2], v[9:10]
	v_mul_f64_e32 v[15:16], v[3:4], v[9:10]
	s_delay_alu instid0(VALU_DEP_2) | instskip(NEXT) | instid1(VALU_DEP_2)
	v_fma_f64 v[9:10], v[3:4], v[7:8], -v[11:12]
	v_fma_f64 v[11:12], v[1:2], v[7:8], v[15:16]
	scratch_store_b128 off, v[9:12], off offset:384
.LBB109_107:
	s_wait_alu 0xfffe
	s_or_b32 exec_lo, exec_lo, s0
	s_wait_loadcnt 0x0
	s_wait_storecnt 0x0
	s_barrier_signal -1
	s_barrier_wait -1
	global_inv scope:SCOPE_SE
	scratch_load_b128 v[1:4], off, s35
	s_mov_b32 s0, exec_lo
	s_wait_loadcnt 0x0
	ds_store_b128 v5, v[1:4]
	s_wait_dscnt 0x0
	s_barrier_signal -1
	s_barrier_wait -1
	global_inv scope:SCOPE_SE
	v_cmpx_gt_u32_e32 24, v0
	s_cbranch_execz .LBB109_111
; %bb.108:
	v_dual_mov_b32 v1, 0 :: v_dual_add_nc_u32 v8, 0x2e0, v13
	v_mov_b32_e32 v3, 0
	v_dual_mov_b32 v2, 0 :: v_dual_add_nc_u32 v7, -1, v0
	v_mov_b32_e32 v4, 0
	v_or_b32_e32 v9, 8, v14
	s_mov_b32 s1, 0
.LBB109_109:                            ; =>This Inner Loop Header: Depth=1
	scratch_load_b128 v[15:18], v9, off offset:-8
	ds_load_b128 v[19:22], v8
	v_add_nc_u32_e32 v7, 1, v7
	v_add_nc_u32_e32 v8, 16, v8
	v_add_nc_u32_e32 v9, 16, v9
	s_delay_alu instid0(VALU_DEP_3)
	v_cmp_lt_u32_e32 vcc_lo, 22, v7
	s_wait_alu 0xfffe
	s_or_b32 s1, vcc_lo, s1
	s_wait_loadcnt_dscnt 0x0
	v_mul_f64_e32 v[10:11], v[21:22], v[17:18]
	v_mul_f64_e32 v[17:18], v[19:20], v[17:18]
	s_delay_alu instid0(VALU_DEP_2) | instskip(NEXT) | instid1(VALU_DEP_2)
	v_fma_f64 v[10:11], v[19:20], v[15:16], -v[10:11]
	v_fma_f64 v[15:16], v[21:22], v[15:16], v[17:18]
	s_delay_alu instid0(VALU_DEP_2) | instskip(NEXT) | instid1(VALU_DEP_2)
	v_add_f64_e32 v[3:4], v[3:4], v[10:11]
	v_add_f64_e32 v[1:2], v[1:2], v[15:16]
	s_wait_alu 0xfffe
	s_and_not1_b32 exec_lo, exec_lo, s1
	s_cbranch_execnz .LBB109_109
; %bb.110:
	s_or_b32 exec_lo, exec_lo, s1
	v_mov_b32_e32 v7, 0
	ds_load_b128 v[7:10], v7 offset:384
	s_wait_dscnt 0x0
	v_mul_f64_e32 v[11:12], v[1:2], v[9:10]
	v_mul_f64_e32 v[15:16], v[3:4], v[9:10]
	s_delay_alu instid0(VALU_DEP_2) | instskip(NEXT) | instid1(VALU_DEP_2)
	v_fma_f64 v[9:10], v[3:4], v[7:8], -v[11:12]
	v_fma_f64 v[11:12], v[1:2], v[7:8], v[15:16]
	scratch_store_b128 off, v[9:12], off offset:400
.LBB109_111:
	s_wait_alu 0xfffe
	s_or_b32 exec_lo, exec_lo, s0
	s_wait_loadcnt 0x0
	s_wait_storecnt 0x0
	s_barrier_signal -1
	s_barrier_wait -1
	global_inv scope:SCOPE_SE
	scratch_load_b128 v[1:4], off, s34
	s_mov_b32 s0, exec_lo
	s_wait_loadcnt 0x0
	ds_store_b128 v5, v[1:4]
	s_wait_dscnt 0x0
	s_barrier_signal -1
	s_barrier_wait -1
	global_inv scope:SCOPE_SE
	v_cmpx_gt_u32_e32 25, v0
	s_cbranch_execz .LBB109_115
; %bb.112:
	v_dual_mov_b32 v1, 0 :: v_dual_add_nc_u32 v8, 0x2e0, v13
	v_mov_b32_e32 v3, 0
	v_dual_mov_b32 v2, 0 :: v_dual_add_nc_u32 v7, -1, v0
	v_mov_b32_e32 v4, 0
	v_or_b32_e32 v9, 8, v14
	s_mov_b32 s1, 0
.LBB109_113:                            ; =>This Inner Loop Header: Depth=1
	scratch_load_b128 v[15:18], v9, off offset:-8
	ds_load_b128 v[19:22], v8
	v_add_nc_u32_e32 v7, 1, v7
	v_add_nc_u32_e32 v8, 16, v8
	v_add_nc_u32_e32 v9, 16, v9
	s_delay_alu instid0(VALU_DEP_3)
	v_cmp_lt_u32_e32 vcc_lo, 23, v7
	s_wait_alu 0xfffe
	s_or_b32 s1, vcc_lo, s1
	s_wait_loadcnt_dscnt 0x0
	v_mul_f64_e32 v[10:11], v[21:22], v[17:18]
	v_mul_f64_e32 v[17:18], v[19:20], v[17:18]
	s_delay_alu instid0(VALU_DEP_2) | instskip(NEXT) | instid1(VALU_DEP_2)
	v_fma_f64 v[10:11], v[19:20], v[15:16], -v[10:11]
	v_fma_f64 v[15:16], v[21:22], v[15:16], v[17:18]
	s_delay_alu instid0(VALU_DEP_2) | instskip(NEXT) | instid1(VALU_DEP_2)
	v_add_f64_e32 v[3:4], v[3:4], v[10:11]
	v_add_f64_e32 v[1:2], v[1:2], v[15:16]
	s_wait_alu 0xfffe
	s_and_not1_b32 exec_lo, exec_lo, s1
	s_cbranch_execnz .LBB109_113
; %bb.114:
	s_or_b32 exec_lo, exec_lo, s1
	v_mov_b32_e32 v7, 0
	ds_load_b128 v[7:10], v7 offset:400
	s_wait_dscnt 0x0
	v_mul_f64_e32 v[11:12], v[1:2], v[9:10]
	v_mul_f64_e32 v[15:16], v[3:4], v[9:10]
	s_delay_alu instid0(VALU_DEP_2) | instskip(NEXT) | instid1(VALU_DEP_2)
	v_fma_f64 v[9:10], v[3:4], v[7:8], -v[11:12]
	v_fma_f64 v[11:12], v[1:2], v[7:8], v[15:16]
	scratch_store_b128 off, v[9:12], off offset:416
.LBB109_115:
	s_wait_alu 0xfffe
	s_or_b32 exec_lo, exec_lo, s0
	s_wait_loadcnt 0x0
	s_wait_storecnt 0x0
	s_barrier_signal -1
	s_barrier_wait -1
	global_inv scope:SCOPE_SE
	scratch_load_b128 v[1:4], off, s33
	s_mov_b32 s0, exec_lo
	s_wait_loadcnt 0x0
	ds_store_b128 v5, v[1:4]
	s_wait_dscnt 0x0
	s_barrier_signal -1
	s_barrier_wait -1
	global_inv scope:SCOPE_SE
	v_cmpx_gt_u32_e32 26, v0
	s_cbranch_execz .LBB109_119
; %bb.116:
	v_dual_mov_b32 v1, 0 :: v_dual_add_nc_u32 v8, 0x2e0, v13
	v_mov_b32_e32 v3, 0
	v_dual_mov_b32 v2, 0 :: v_dual_add_nc_u32 v7, -1, v0
	v_mov_b32_e32 v4, 0
	v_or_b32_e32 v9, 8, v14
	s_mov_b32 s1, 0
.LBB109_117:                            ; =>This Inner Loop Header: Depth=1
	scratch_load_b128 v[15:18], v9, off offset:-8
	ds_load_b128 v[19:22], v8
	v_add_nc_u32_e32 v7, 1, v7
	v_add_nc_u32_e32 v8, 16, v8
	v_add_nc_u32_e32 v9, 16, v9
	s_delay_alu instid0(VALU_DEP_3)
	v_cmp_lt_u32_e32 vcc_lo, 24, v7
	s_wait_alu 0xfffe
	s_or_b32 s1, vcc_lo, s1
	s_wait_loadcnt_dscnt 0x0
	v_mul_f64_e32 v[10:11], v[21:22], v[17:18]
	v_mul_f64_e32 v[17:18], v[19:20], v[17:18]
	s_delay_alu instid0(VALU_DEP_2) | instskip(NEXT) | instid1(VALU_DEP_2)
	v_fma_f64 v[10:11], v[19:20], v[15:16], -v[10:11]
	v_fma_f64 v[15:16], v[21:22], v[15:16], v[17:18]
	s_delay_alu instid0(VALU_DEP_2) | instskip(NEXT) | instid1(VALU_DEP_2)
	v_add_f64_e32 v[3:4], v[3:4], v[10:11]
	v_add_f64_e32 v[1:2], v[1:2], v[15:16]
	s_wait_alu 0xfffe
	s_and_not1_b32 exec_lo, exec_lo, s1
	s_cbranch_execnz .LBB109_117
; %bb.118:
	s_or_b32 exec_lo, exec_lo, s1
	v_mov_b32_e32 v7, 0
	ds_load_b128 v[7:10], v7 offset:416
	s_wait_dscnt 0x0
	v_mul_f64_e32 v[11:12], v[1:2], v[9:10]
	v_mul_f64_e32 v[15:16], v[3:4], v[9:10]
	s_delay_alu instid0(VALU_DEP_2) | instskip(NEXT) | instid1(VALU_DEP_2)
	v_fma_f64 v[9:10], v[3:4], v[7:8], -v[11:12]
	v_fma_f64 v[11:12], v[1:2], v[7:8], v[15:16]
	scratch_store_b128 off, v[9:12], off offset:432
.LBB109_119:
	s_wait_alu 0xfffe
	s_or_b32 exec_lo, exec_lo, s0
	s_wait_loadcnt 0x0
	s_wait_storecnt 0x0
	s_barrier_signal -1
	s_barrier_wait -1
	global_inv scope:SCOPE_SE
	scratch_load_b128 v[1:4], off, s31
	s_mov_b32 s0, exec_lo
	s_wait_loadcnt 0x0
	ds_store_b128 v5, v[1:4]
	s_wait_dscnt 0x0
	s_barrier_signal -1
	s_barrier_wait -1
	global_inv scope:SCOPE_SE
	v_cmpx_gt_u32_e32 27, v0
	s_cbranch_execz .LBB109_123
; %bb.120:
	v_dual_mov_b32 v1, 0 :: v_dual_add_nc_u32 v8, 0x2e0, v13
	v_mov_b32_e32 v3, 0
	v_dual_mov_b32 v2, 0 :: v_dual_add_nc_u32 v7, -1, v0
	v_mov_b32_e32 v4, 0
	v_or_b32_e32 v9, 8, v14
	s_mov_b32 s1, 0
.LBB109_121:                            ; =>This Inner Loop Header: Depth=1
	scratch_load_b128 v[15:18], v9, off offset:-8
	ds_load_b128 v[19:22], v8
	v_add_nc_u32_e32 v7, 1, v7
	v_add_nc_u32_e32 v8, 16, v8
	v_add_nc_u32_e32 v9, 16, v9
	s_delay_alu instid0(VALU_DEP_3)
	v_cmp_lt_u32_e32 vcc_lo, 25, v7
	s_wait_alu 0xfffe
	s_or_b32 s1, vcc_lo, s1
	s_wait_loadcnt_dscnt 0x0
	v_mul_f64_e32 v[10:11], v[21:22], v[17:18]
	v_mul_f64_e32 v[17:18], v[19:20], v[17:18]
	s_delay_alu instid0(VALU_DEP_2) | instskip(NEXT) | instid1(VALU_DEP_2)
	v_fma_f64 v[10:11], v[19:20], v[15:16], -v[10:11]
	v_fma_f64 v[15:16], v[21:22], v[15:16], v[17:18]
	s_delay_alu instid0(VALU_DEP_2) | instskip(NEXT) | instid1(VALU_DEP_2)
	v_add_f64_e32 v[3:4], v[3:4], v[10:11]
	v_add_f64_e32 v[1:2], v[1:2], v[15:16]
	s_wait_alu 0xfffe
	s_and_not1_b32 exec_lo, exec_lo, s1
	s_cbranch_execnz .LBB109_121
; %bb.122:
	s_or_b32 exec_lo, exec_lo, s1
	v_mov_b32_e32 v7, 0
	ds_load_b128 v[7:10], v7 offset:432
	s_wait_dscnt 0x0
	v_mul_f64_e32 v[11:12], v[1:2], v[9:10]
	v_mul_f64_e32 v[15:16], v[3:4], v[9:10]
	s_delay_alu instid0(VALU_DEP_2) | instskip(NEXT) | instid1(VALU_DEP_2)
	v_fma_f64 v[9:10], v[3:4], v[7:8], -v[11:12]
	v_fma_f64 v[11:12], v[1:2], v[7:8], v[15:16]
	scratch_store_b128 off, v[9:12], off offset:448
.LBB109_123:
	s_wait_alu 0xfffe
	s_or_b32 exec_lo, exec_lo, s0
	s_wait_loadcnt 0x0
	s_wait_storecnt 0x0
	s_barrier_signal -1
	s_barrier_wait -1
	global_inv scope:SCOPE_SE
	scratch_load_b128 v[1:4], off, s30
	s_mov_b32 s0, exec_lo
	s_wait_loadcnt 0x0
	ds_store_b128 v5, v[1:4]
	s_wait_dscnt 0x0
	s_barrier_signal -1
	s_barrier_wait -1
	global_inv scope:SCOPE_SE
	v_cmpx_gt_u32_e32 28, v0
	s_cbranch_execz .LBB109_127
; %bb.124:
	v_dual_mov_b32 v1, 0 :: v_dual_add_nc_u32 v8, 0x2e0, v13
	v_mov_b32_e32 v3, 0
	v_dual_mov_b32 v2, 0 :: v_dual_add_nc_u32 v7, -1, v0
	v_mov_b32_e32 v4, 0
	v_or_b32_e32 v9, 8, v14
	s_mov_b32 s1, 0
.LBB109_125:                            ; =>This Inner Loop Header: Depth=1
	scratch_load_b128 v[15:18], v9, off offset:-8
	ds_load_b128 v[19:22], v8
	v_add_nc_u32_e32 v7, 1, v7
	v_add_nc_u32_e32 v8, 16, v8
	v_add_nc_u32_e32 v9, 16, v9
	s_delay_alu instid0(VALU_DEP_3)
	v_cmp_lt_u32_e32 vcc_lo, 26, v7
	s_wait_alu 0xfffe
	s_or_b32 s1, vcc_lo, s1
	s_wait_loadcnt_dscnt 0x0
	v_mul_f64_e32 v[10:11], v[21:22], v[17:18]
	v_mul_f64_e32 v[17:18], v[19:20], v[17:18]
	s_delay_alu instid0(VALU_DEP_2) | instskip(NEXT) | instid1(VALU_DEP_2)
	v_fma_f64 v[10:11], v[19:20], v[15:16], -v[10:11]
	v_fma_f64 v[15:16], v[21:22], v[15:16], v[17:18]
	s_delay_alu instid0(VALU_DEP_2) | instskip(NEXT) | instid1(VALU_DEP_2)
	v_add_f64_e32 v[3:4], v[3:4], v[10:11]
	v_add_f64_e32 v[1:2], v[1:2], v[15:16]
	s_wait_alu 0xfffe
	s_and_not1_b32 exec_lo, exec_lo, s1
	s_cbranch_execnz .LBB109_125
; %bb.126:
	s_or_b32 exec_lo, exec_lo, s1
	v_mov_b32_e32 v7, 0
	ds_load_b128 v[7:10], v7 offset:448
	s_wait_dscnt 0x0
	v_mul_f64_e32 v[11:12], v[1:2], v[9:10]
	v_mul_f64_e32 v[15:16], v[3:4], v[9:10]
	s_delay_alu instid0(VALU_DEP_2) | instskip(NEXT) | instid1(VALU_DEP_2)
	v_fma_f64 v[9:10], v[3:4], v[7:8], -v[11:12]
	v_fma_f64 v[11:12], v[1:2], v[7:8], v[15:16]
	scratch_store_b128 off, v[9:12], off offset:464
.LBB109_127:
	s_wait_alu 0xfffe
	s_or_b32 exec_lo, exec_lo, s0
	s_wait_loadcnt 0x0
	s_wait_storecnt 0x0
	s_barrier_signal -1
	s_barrier_wait -1
	global_inv scope:SCOPE_SE
	scratch_load_b128 v[1:4], off, s29
	s_mov_b32 s0, exec_lo
	s_wait_loadcnt 0x0
	ds_store_b128 v5, v[1:4]
	s_wait_dscnt 0x0
	s_barrier_signal -1
	s_barrier_wait -1
	global_inv scope:SCOPE_SE
	v_cmpx_gt_u32_e32 29, v0
	s_cbranch_execz .LBB109_131
; %bb.128:
	v_dual_mov_b32 v1, 0 :: v_dual_add_nc_u32 v8, 0x2e0, v13
	v_mov_b32_e32 v3, 0
	v_dual_mov_b32 v2, 0 :: v_dual_add_nc_u32 v7, -1, v0
	v_mov_b32_e32 v4, 0
	v_or_b32_e32 v9, 8, v14
	s_mov_b32 s1, 0
.LBB109_129:                            ; =>This Inner Loop Header: Depth=1
	scratch_load_b128 v[15:18], v9, off offset:-8
	ds_load_b128 v[19:22], v8
	v_add_nc_u32_e32 v7, 1, v7
	v_add_nc_u32_e32 v8, 16, v8
	v_add_nc_u32_e32 v9, 16, v9
	s_delay_alu instid0(VALU_DEP_3)
	v_cmp_lt_u32_e32 vcc_lo, 27, v7
	s_wait_alu 0xfffe
	s_or_b32 s1, vcc_lo, s1
	s_wait_loadcnt_dscnt 0x0
	v_mul_f64_e32 v[10:11], v[21:22], v[17:18]
	v_mul_f64_e32 v[17:18], v[19:20], v[17:18]
	s_delay_alu instid0(VALU_DEP_2) | instskip(NEXT) | instid1(VALU_DEP_2)
	v_fma_f64 v[10:11], v[19:20], v[15:16], -v[10:11]
	v_fma_f64 v[15:16], v[21:22], v[15:16], v[17:18]
	s_delay_alu instid0(VALU_DEP_2) | instskip(NEXT) | instid1(VALU_DEP_2)
	v_add_f64_e32 v[3:4], v[3:4], v[10:11]
	v_add_f64_e32 v[1:2], v[1:2], v[15:16]
	s_wait_alu 0xfffe
	s_and_not1_b32 exec_lo, exec_lo, s1
	s_cbranch_execnz .LBB109_129
; %bb.130:
	s_or_b32 exec_lo, exec_lo, s1
	v_mov_b32_e32 v7, 0
	ds_load_b128 v[7:10], v7 offset:464
	s_wait_dscnt 0x0
	v_mul_f64_e32 v[11:12], v[1:2], v[9:10]
	v_mul_f64_e32 v[15:16], v[3:4], v[9:10]
	s_delay_alu instid0(VALU_DEP_2) | instskip(NEXT) | instid1(VALU_DEP_2)
	v_fma_f64 v[9:10], v[3:4], v[7:8], -v[11:12]
	v_fma_f64 v[11:12], v[1:2], v[7:8], v[15:16]
	scratch_store_b128 off, v[9:12], off offset:480
.LBB109_131:
	s_wait_alu 0xfffe
	s_or_b32 exec_lo, exec_lo, s0
	s_wait_loadcnt 0x0
	s_wait_storecnt 0x0
	s_barrier_signal -1
	s_barrier_wait -1
	global_inv scope:SCOPE_SE
	scratch_load_b128 v[1:4], off, s28
	s_mov_b32 s0, exec_lo
	s_wait_loadcnt 0x0
	ds_store_b128 v5, v[1:4]
	s_wait_dscnt 0x0
	s_barrier_signal -1
	s_barrier_wait -1
	global_inv scope:SCOPE_SE
	v_cmpx_gt_u32_e32 30, v0
	s_cbranch_execz .LBB109_135
; %bb.132:
	v_dual_mov_b32 v1, 0 :: v_dual_add_nc_u32 v8, 0x2e0, v13
	v_mov_b32_e32 v3, 0
	v_dual_mov_b32 v2, 0 :: v_dual_add_nc_u32 v7, -1, v0
	v_mov_b32_e32 v4, 0
	v_or_b32_e32 v9, 8, v14
	s_mov_b32 s1, 0
.LBB109_133:                            ; =>This Inner Loop Header: Depth=1
	scratch_load_b128 v[15:18], v9, off offset:-8
	ds_load_b128 v[19:22], v8
	v_add_nc_u32_e32 v7, 1, v7
	v_add_nc_u32_e32 v8, 16, v8
	v_add_nc_u32_e32 v9, 16, v9
	s_delay_alu instid0(VALU_DEP_3)
	v_cmp_lt_u32_e32 vcc_lo, 28, v7
	s_wait_alu 0xfffe
	s_or_b32 s1, vcc_lo, s1
	s_wait_loadcnt_dscnt 0x0
	v_mul_f64_e32 v[10:11], v[21:22], v[17:18]
	v_mul_f64_e32 v[17:18], v[19:20], v[17:18]
	s_delay_alu instid0(VALU_DEP_2) | instskip(NEXT) | instid1(VALU_DEP_2)
	v_fma_f64 v[10:11], v[19:20], v[15:16], -v[10:11]
	v_fma_f64 v[15:16], v[21:22], v[15:16], v[17:18]
	s_delay_alu instid0(VALU_DEP_2) | instskip(NEXT) | instid1(VALU_DEP_2)
	v_add_f64_e32 v[3:4], v[3:4], v[10:11]
	v_add_f64_e32 v[1:2], v[1:2], v[15:16]
	s_wait_alu 0xfffe
	s_and_not1_b32 exec_lo, exec_lo, s1
	s_cbranch_execnz .LBB109_133
; %bb.134:
	s_or_b32 exec_lo, exec_lo, s1
	v_mov_b32_e32 v7, 0
	ds_load_b128 v[7:10], v7 offset:480
	s_wait_dscnt 0x0
	v_mul_f64_e32 v[11:12], v[1:2], v[9:10]
	v_mul_f64_e32 v[15:16], v[3:4], v[9:10]
	s_delay_alu instid0(VALU_DEP_2) | instskip(NEXT) | instid1(VALU_DEP_2)
	v_fma_f64 v[9:10], v[3:4], v[7:8], -v[11:12]
	v_fma_f64 v[11:12], v[1:2], v[7:8], v[15:16]
	scratch_store_b128 off, v[9:12], off offset:496
.LBB109_135:
	s_wait_alu 0xfffe
	s_or_b32 exec_lo, exec_lo, s0
	s_wait_loadcnt 0x0
	s_wait_storecnt 0x0
	s_barrier_signal -1
	s_barrier_wait -1
	global_inv scope:SCOPE_SE
	scratch_load_b128 v[1:4], off, s27
	s_mov_b32 s0, exec_lo
	s_wait_loadcnt 0x0
	ds_store_b128 v5, v[1:4]
	s_wait_dscnt 0x0
	s_barrier_signal -1
	s_barrier_wait -1
	global_inv scope:SCOPE_SE
	v_cmpx_gt_u32_e32 31, v0
	s_cbranch_execz .LBB109_139
; %bb.136:
	v_dual_mov_b32 v1, 0 :: v_dual_add_nc_u32 v8, 0x2e0, v13
	v_mov_b32_e32 v3, 0
	v_dual_mov_b32 v2, 0 :: v_dual_add_nc_u32 v7, -1, v0
	v_mov_b32_e32 v4, 0
	v_or_b32_e32 v9, 8, v14
	s_mov_b32 s1, 0
.LBB109_137:                            ; =>This Inner Loop Header: Depth=1
	scratch_load_b128 v[15:18], v9, off offset:-8
	ds_load_b128 v[19:22], v8
	v_add_nc_u32_e32 v7, 1, v7
	v_add_nc_u32_e32 v8, 16, v8
	v_add_nc_u32_e32 v9, 16, v9
	s_delay_alu instid0(VALU_DEP_3)
	v_cmp_lt_u32_e32 vcc_lo, 29, v7
	s_wait_alu 0xfffe
	s_or_b32 s1, vcc_lo, s1
	s_wait_loadcnt_dscnt 0x0
	v_mul_f64_e32 v[10:11], v[21:22], v[17:18]
	v_mul_f64_e32 v[17:18], v[19:20], v[17:18]
	s_delay_alu instid0(VALU_DEP_2) | instskip(NEXT) | instid1(VALU_DEP_2)
	v_fma_f64 v[10:11], v[19:20], v[15:16], -v[10:11]
	v_fma_f64 v[15:16], v[21:22], v[15:16], v[17:18]
	s_delay_alu instid0(VALU_DEP_2) | instskip(NEXT) | instid1(VALU_DEP_2)
	v_add_f64_e32 v[3:4], v[3:4], v[10:11]
	v_add_f64_e32 v[1:2], v[1:2], v[15:16]
	s_wait_alu 0xfffe
	s_and_not1_b32 exec_lo, exec_lo, s1
	s_cbranch_execnz .LBB109_137
; %bb.138:
	s_or_b32 exec_lo, exec_lo, s1
	v_mov_b32_e32 v7, 0
	ds_load_b128 v[7:10], v7 offset:496
	s_wait_dscnt 0x0
	v_mul_f64_e32 v[11:12], v[1:2], v[9:10]
	v_mul_f64_e32 v[15:16], v[3:4], v[9:10]
	s_delay_alu instid0(VALU_DEP_2) | instskip(NEXT) | instid1(VALU_DEP_2)
	v_fma_f64 v[9:10], v[3:4], v[7:8], -v[11:12]
	v_fma_f64 v[11:12], v[1:2], v[7:8], v[15:16]
	scratch_store_b128 off, v[9:12], off offset:512
.LBB109_139:
	s_wait_alu 0xfffe
	s_or_b32 exec_lo, exec_lo, s0
	s_wait_loadcnt 0x0
	s_wait_storecnt 0x0
	s_barrier_signal -1
	s_barrier_wait -1
	global_inv scope:SCOPE_SE
	scratch_load_b128 v[1:4], off, s26
	s_mov_b32 s0, exec_lo
	s_wait_loadcnt 0x0
	ds_store_b128 v5, v[1:4]
	s_wait_dscnt 0x0
	s_barrier_signal -1
	s_barrier_wait -1
	global_inv scope:SCOPE_SE
	v_cmpx_gt_u32_e32 32, v0
	s_cbranch_execz .LBB109_143
; %bb.140:
	v_dual_mov_b32 v1, 0 :: v_dual_add_nc_u32 v8, 0x2e0, v13
	v_mov_b32_e32 v3, 0
	v_dual_mov_b32 v2, 0 :: v_dual_add_nc_u32 v7, -1, v0
	v_mov_b32_e32 v4, 0
	v_or_b32_e32 v9, 8, v14
	s_mov_b32 s1, 0
.LBB109_141:                            ; =>This Inner Loop Header: Depth=1
	scratch_load_b128 v[15:18], v9, off offset:-8
	ds_load_b128 v[19:22], v8
	v_add_nc_u32_e32 v7, 1, v7
	v_add_nc_u32_e32 v8, 16, v8
	v_add_nc_u32_e32 v9, 16, v9
	s_delay_alu instid0(VALU_DEP_3)
	v_cmp_lt_u32_e32 vcc_lo, 30, v7
	s_wait_alu 0xfffe
	s_or_b32 s1, vcc_lo, s1
	s_wait_loadcnt_dscnt 0x0
	v_mul_f64_e32 v[10:11], v[21:22], v[17:18]
	v_mul_f64_e32 v[17:18], v[19:20], v[17:18]
	s_delay_alu instid0(VALU_DEP_2) | instskip(NEXT) | instid1(VALU_DEP_2)
	v_fma_f64 v[10:11], v[19:20], v[15:16], -v[10:11]
	v_fma_f64 v[15:16], v[21:22], v[15:16], v[17:18]
	s_delay_alu instid0(VALU_DEP_2) | instskip(NEXT) | instid1(VALU_DEP_2)
	v_add_f64_e32 v[3:4], v[3:4], v[10:11]
	v_add_f64_e32 v[1:2], v[1:2], v[15:16]
	s_wait_alu 0xfffe
	s_and_not1_b32 exec_lo, exec_lo, s1
	s_cbranch_execnz .LBB109_141
; %bb.142:
	s_or_b32 exec_lo, exec_lo, s1
	v_mov_b32_e32 v7, 0
	ds_load_b128 v[7:10], v7 offset:512
	s_wait_dscnt 0x0
	v_mul_f64_e32 v[11:12], v[1:2], v[9:10]
	v_mul_f64_e32 v[15:16], v[3:4], v[9:10]
	s_delay_alu instid0(VALU_DEP_2) | instskip(NEXT) | instid1(VALU_DEP_2)
	v_fma_f64 v[9:10], v[3:4], v[7:8], -v[11:12]
	v_fma_f64 v[11:12], v[1:2], v[7:8], v[15:16]
	scratch_store_b128 off, v[9:12], off offset:528
.LBB109_143:
	s_wait_alu 0xfffe
	s_or_b32 exec_lo, exec_lo, s0
	s_wait_loadcnt 0x0
	s_wait_storecnt 0x0
	s_barrier_signal -1
	s_barrier_wait -1
	global_inv scope:SCOPE_SE
	scratch_load_b128 v[1:4], off, s25
	s_mov_b32 s0, exec_lo
	s_wait_loadcnt 0x0
	ds_store_b128 v5, v[1:4]
	s_wait_dscnt 0x0
	s_barrier_signal -1
	s_barrier_wait -1
	global_inv scope:SCOPE_SE
	v_cmpx_gt_u32_e32 33, v0
	s_cbranch_execz .LBB109_147
; %bb.144:
	v_dual_mov_b32 v1, 0 :: v_dual_add_nc_u32 v8, 0x2e0, v13
	v_mov_b32_e32 v3, 0
	v_dual_mov_b32 v2, 0 :: v_dual_add_nc_u32 v7, -1, v0
	v_mov_b32_e32 v4, 0
	v_or_b32_e32 v9, 8, v14
	s_mov_b32 s1, 0
.LBB109_145:                            ; =>This Inner Loop Header: Depth=1
	scratch_load_b128 v[15:18], v9, off offset:-8
	ds_load_b128 v[19:22], v8
	v_add_nc_u32_e32 v7, 1, v7
	v_add_nc_u32_e32 v8, 16, v8
	v_add_nc_u32_e32 v9, 16, v9
	s_delay_alu instid0(VALU_DEP_3)
	v_cmp_lt_u32_e32 vcc_lo, 31, v7
	s_wait_alu 0xfffe
	s_or_b32 s1, vcc_lo, s1
	s_wait_loadcnt_dscnt 0x0
	v_mul_f64_e32 v[10:11], v[21:22], v[17:18]
	v_mul_f64_e32 v[17:18], v[19:20], v[17:18]
	s_delay_alu instid0(VALU_DEP_2) | instskip(NEXT) | instid1(VALU_DEP_2)
	v_fma_f64 v[10:11], v[19:20], v[15:16], -v[10:11]
	v_fma_f64 v[15:16], v[21:22], v[15:16], v[17:18]
	s_delay_alu instid0(VALU_DEP_2) | instskip(NEXT) | instid1(VALU_DEP_2)
	v_add_f64_e32 v[3:4], v[3:4], v[10:11]
	v_add_f64_e32 v[1:2], v[1:2], v[15:16]
	s_wait_alu 0xfffe
	s_and_not1_b32 exec_lo, exec_lo, s1
	s_cbranch_execnz .LBB109_145
; %bb.146:
	s_or_b32 exec_lo, exec_lo, s1
	v_mov_b32_e32 v7, 0
	ds_load_b128 v[7:10], v7 offset:528
	s_wait_dscnt 0x0
	v_mul_f64_e32 v[11:12], v[1:2], v[9:10]
	v_mul_f64_e32 v[15:16], v[3:4], v[9:10]
	s_delay_alu instid0(VALU_DEP_2) | instskip(NEXT) | instid1(VALU_DEP_2)
	v_fma_f64 v[9:10], v[3:4], v[7:8], -v[11:12]
	v_fma_f64 v[11:12], v[1:2], v[7:8], v[15:16]
	scratch_store_b128 off, v[9:12], off offset:544
.LBB109_147:
	s_wait_alu 0xfffe
	s_or_b32 exec_lo, exec_lo, s0
	s_wait_loadcnt 0x0
	s_wait_storecnt 0x0
	s_barrier_signal -1
	s_barrier_wait -1
	global_inv scope:SCOPE_SE
	scratch_load_b128 v[1:4], off, s24
	s_mov_b32 s0, exec_lo
	s_wait_loadcnt 0x0
	ds_store_b128 v5, v[1:4]
	s_wait_dscnt 0x0
	s_barrier_signal -1
	s_barrier_wait -1
	global_inv scope:SCOPE_SE
	v_cmpx_gt_u32_e32 34, v0
	s_cbranch_execz .LBB109_151
; %bb.148:
	v_dual_mov_b32 v1, 0 :: v_dual_add_nc_u32 v8, 0x2e0, v13
	v_mov_b32_e32 v3, 0
	v_dual_mov_b32 v2, 0 :: v_dual_add_nc_u32 v7, -1, v0
	v_mov_b32_e32 v4, 0
	v_or_b32_e32 v9, 8, v14
	s_mov_b32 s1, 0
.LBB109_149:                            ; =>This Inner Loop Header: Depth=1
	scratch_load_b128 v[15:18], v9, off offset:-8
	ds_load_b128 v[19:22], v8
	v_add_nc_u32_e32 v7, 1, v7
	v_add_nc_u32_e32 v8, 16, v8
	v_add_nc_u32_e32 v9, 16, v9
	s_delay_alu instid0(VALU_DEP_3)
	v_cmp_lt_u32_e32 vcc_lo, 32, v7
	s_wait_alu 0xfffe
	s_or_b32 s1, vcc_lo, s1
	s_wait_loadcnt_dscnt 0x0
	v_mul_f64_e32 v[10:11], v[21:22], v[17:18]
	v_mul_f64_e32 v[17:18], v[19:20], v[17:18]
	s_delay_alu instid0(VALU_DEP_2) | instskip(NEXT) | instid1(VALU_DEP_2)
	v_fma_f64 v[10:11], v[19:20], v[15:16], -v[10:11]
	v_fma_f64 v[15:16], v[21:22], v[15:16], v[17:18]
	s_delay_alu instid0(VALU_DEP_2) | instskip(NEXT) | instid1(VALU_DEP_2)
	v_add_f64_e32 v[3:4], v[3:4], v[10:11]
	v_add_f64_e32 v[1:2], v[1:2], v[15:16]
	s_wait_alu 0xfffe
	s_and_not1_b32 exec_lo, exec_lo, s1
	s_cbranch_execnz .LBB109_149
; %bb.150:
	s_or_b32 exec_lo, exec_lo, s1
	v_mov_b32_e32 v7, 0
	ds_load_b128 v[7:10], v7 offset:544
	s_wait_dscnt 0x0
	v_mul_f64_e32 v[11:12], v[1:2], v[9:10]
	v_mul_f64_e32 v[15:16], v[3:4], v[9:10]
	s_delay_alu instid0(VALU_DEP_2) | instskip(NEXT) | instid1(VALU_DEP_2)
	v_fma_f64 v[9:10], v[3:4], v[7:8], -v[11:12]
	v_fma_f64 v[11:12], v[1:2], v[7:8], v[15:16]
	scratch_store_b128 off, v[9:12], off offset:560
.LBB109_151:
	s_wait_alu 0xfffe
	s_or_b32 exec_lo, exec_lo, s0
	s_wait_loadcnt 0x0
	s_wait_storecnt 0x0
	s_barrier_signal -1
	s_barrier_wait -1
	global_inv scope:SCOPE_SE
	scratch_load_b128 v[1:4], off, s23
	s_mov_b32 s0, exec_lo
	s_wait_loadcnt 0x0
	ds_store_b128 v5, v[1:4]
	s_wait_dscnt 0x0
	s_barrier_signal -1
	s_barrier_wait -1
	global_inv scope:SCOPE_SE
	v_cmpx_gt_u32_e32 35, v0
	s_cbranch_execz .LBB109_155
; %bb.152:
	v_dual_mov_b32 v1, 0 :: v_dual_add_nc_u32 v8, 0x2e0, v13
	v_mov_b32_e32 v3, 0
	v_dual_mov_b32 v2, 0 :: v_dual_add_nc_u32 v7, -1, v0
	v_mov_b32_e32 v4, 0
	v_or_b32_e32 v9, 8, v14
	s_mov_b32 s1, 0
.LBB109_153:                            ; =>This Inner Loop Header: Depth=1
	scratch_load_b128 v[15:18], v9, off offset:-8
	ds_load_b128 v[19:22], v8
	v_add_nc_u32_e32 v7, 1, v7
	v_add_nc_u32_e32 v8, 16, v8
	v_add_nc_u32_e32 v9, 16, v9
	s_delay_alu instid0(VALU_DEP_3)
	v_cmp_lt_u32_e32 vcc_lo, 33, v7
	s_wait_alu 0xfffe
	s_or_b32 s1, vcc_lo, s1
	s_wait_loadcnt_dscnt 0x0
	v_mul_f64_e32 v[10:11], v[21:22], v[17:18]
	v_mul_f64_e32 v[17:18], v[19:20], v[17:18]
	s_delay_alu instid0(VALU_DEP_2) | instskip(NEXT) | instid1(VALU_DEP_2)
	v_fma_f64 v[10:11], v[19:20], v[15:16], -v[10:11]
	v_fma_f64 v[15:16], v[21:22], v[15:16], v[17:18]
	s_delay_alu instid0(VALU_DEP_2) | instskip(NEXT) | instid1(VALU_DEP_2)
	v_add_f64_e32 v[3:4], v[3:4], v[10:11]
	v_add_f64_e32 v[1:2], v[1:2], v[15:16]
	s_wait_alu 0xfffe
	s_and_not1_b32 exec_lo, exec_lo, s1
	s_cbranch_execnz .LBB109_153
; %bb.154:
	s_or_b32 exec_lo, exec_lo, s1
	v_mov_b32_e32 v7, 0
	ds_load_b128 v[7:10], v7 offset:560
	s_wait_dscnt 0x0
	v_mul_f64_e32 v[11:12], v[1:2], v[9:10]
	v_mul_f64_e32 v[15:16], v[3:4], v[9:10]
	s_delay_alu instid0(VALU_DEP_2) | instskip(NEXT) | instid1(VALU_DEP_2)
	v_fma_f64 v[9:10], v[3:4], v[7:8], -v[11:12]
	v_fma_f64 v[11:12], v[1:2], v[7:8], v[15:16]
	scratch_store_b128 off, v[9:12], off offset:576
.LBB109_155:
	s_wait_alu 0xfffe
	s_or_b32 exec_lo, exec_lo, s0
	s_wait_loadcnt 0x0
	s_wait_storecnt 0x0
	s_barrier_signal -1
	s_barrier_wait -1
	global_inv scope:SCOPE_SE
	scratch_load_b128 v[1:4], off, s22
	s_mov_b32 s0, exec_lo
	s_wait_loadcnt 0x0
	ds_store_b128 v5, v[1:4]
	s_wait_dscnt 0x0
	s_barrier_signal -1
	s_barrier_wait -1
	global_inv scope:SCOPE_SE
	v_cmpx_gt_u32_e32 36, v0
	s_cbranch_execz .LBB109_159
; %bb.156:
	v_dual_mov_b32 v1, 0 :: v_dual_add_nc_u32 v8, 0x2e0, v13
	v_mov_b32_e32 v3, 0
	v_dual_mov_b32 v2, 0 :: v_dual_add_nc_u32 v7, -1, v0
	v_mov_b32_e32 v4, 0
	v_or_b32_e32 v9, 8, v14
	s_mov_b32 s1, 0
.LBB109_157:                            ; =>This Inner Loop Header: Depth=1
	scratch_load_b128 v[15:18], v9, off offset:-8
	ds_load_b128 v[19:22], v8
	v_add_nc_u32_e32 v7, 1, v7
	v_add_nc_u32_e32 v8, 16, v8
	v_add_nc_u32_e32 v9, 16, v9
	s_delay_alu instid0(VALU_DEP_3)
	v_cmp_lt_u32_e32 vcc_lo, 34, v7
	s_wait_alu 0xfffe
	s_or_b32 s1, vcc_lo, s1
	s_wait_loadcnt_dscnt 0x0
	v_mul_f64_e32 v[10:11], v[21:22], v[17:18]
	v_mul_f64_e32 v[17:18], v[19:20], v[17:18]
	s_delay_alu instid0(VALU_DEP_2) | instskip(NEXT) | instid1(VALU_DEP_2)
	v_fma_f64 v[10:11], v[19:20], v[15:16], -v[10:11]
	v_fma_f64 v[15:16], v[21:22], v[15:16], v[17:18]
	s_delay_alu instid0(VALU_DEP_2) | instskip(NEXT) | instid1(VALU_DEP_2)
	v_add_f64_e32 v[3:4], v[3:4], v[10:11]
	v_add_f64_e32 v[1:2], v[1:2], v[15:16]
	s_wait_alu 0xfffe
	s_and_not1_b32 exec_lo, exec_lo, s1
	s_cbranch_execnz .LBB109_157
; %bb.158:
	s_or_b32 exec_lo, exec_lo, s1
	v_mov_b32_e32 v7, 0
	ds_load_b128 v[7:10], v7 offset:576
	s_wait_dscnt 0x0
	v_mul_f64_e32 v[11:12], v[1:2], v[9:10]
	v_mul_f64_e32 v[15:16], v[3:4], v[9:10]
	s_delay_alu instid0(VALU_DEP_2) | instskip(NEXT) | instid1(VALU_DEP_2)
	v_fma_f64 v[9:10], v[3:4], v[7:8], -v[11:12]
	v_fma_f64 v[11:12], v[1:2], v[7:8], v[15:16]
	scratch_store_b128 off, v[9:12], off offset:592
.LBB109_159:
	s_wait_alu 0xfffe
	s_or_b32 exec_lo, exec_lo, s0
	s_wait_loadcnt 0x0
	s_wait_storecnt 0x0
	s_barrier_signal -1
	s_barrier_wait -1
	global_inv scope:SCOPE_SE
	scratch_load_b128 v[1:4], off, s21
	s_mov_b32 s0, exec_lo
	s_wait_loadcnt 0x0
	ds_store_b128 v5, v[1:4]
	s_wait_dscnt 0x0
	s_barrier_signal -1
	s_barrier_wait -1
	global_inv scope:SCOPE_SE
	v_cmpx_gt_u32_e32 37, v0
	s_cbranch_execz .LBB109_163
; %bb.160:
	v_dual_mov_b32 v1, 0 :: v_dual_add_nc_u32 v8, 0x2e0, v13
	v_mov_b32_e32 v3, 0
	v_dual_mov_b32 v2, 0 :: v_dual_add_nc_u32 v7, -1, v0
	v_mov_b32_e32 v4, 0
	v_or_b32_e32 v9, 8, v14
	s_mov_b32 s1, 0
.LBB109_161:                            ; =>This Inner Loop Header: Depth=1
	scratch_load_b128 v[15:18], v9, off offset:-8
	ds_load_b128 v[19:22], v8
	v_add_nc_u32_e32 v7, 1, v7
	v_add_nc_u32_e32 v8, 16, v8
	v_add_nc_u32_e32 v9, 16, v9
	s_delay_alu instid0(VALU_DEP_3)
	v_cmp_lt_u32_e32 vcc_lo, 35, v7
	s_wait_alu 0xfffe
	s_or_b32 s1, vcc_lo, s1
	s_wait_loadcnt_dscnt 0x0
	v_mul_f64_e32 v[10:11], v[21:22], v[17:18]
	v_mul_f64_e32 v[17:18], v[19:20], v[17:18]
	s_delay_alu instid0(VALU_DEP_2) | instskip(NEXT) | instid1(VALU_DEP_2)
	v_fma_f64 v[10:11], v[19:20], v[15:16], -v[10:11]
	v_fma_f64 v[15:16], v[21:22], v[15:16], v[17:18]
	s_delay_alu instid0(VALU_DEP_2) | instskip(NEXT) | instid1(VALU_DEP_2)
	v_add_f64_e32 v[3:4], v[3:4], v[10:11]
	v_add_f64_e32 v[1:2], v[1:2], v[15:16]
	s_wait_alu 0xfffe
	s_and_not1_b32 exec_lo, exec_lo, s1
	s_cbranch_execnz .LBB109_161
; %bb.162:
	s_or_b32 exec_lo, exec_lo, s1
	v_mov_b32_e32 v7, 0
	ds_load_b128 v[7:10], v7 offset:592
	s_wait_dscnt 0x0
	v_mul_f64_e32 v[11:12], v[1:2], v[9:10]
	v_mul_f64_e32 v[15:16], v[3:4], v[9:10]
	s_delay_alu instid0(VALU_DEP_2) | instskip(NEXT) | instid1(VALU_DEP_2)
	v_fma_f64 v[9:10], v[3:4], v[7:8], -v[11:12]
	v_fma_f64 v[11:12], v[1:2], v[7:8], v[15:16]
	scratch_store_b128 off, v[9:12], off offset:608
.LBB109_163:
	s_wait_alu 0xfffe
	s_or_b32 exec_lo, exec_lo, s0
	s_wait_loadcnt 0x0
	s_wait_storecnt 0x0
	s_barrier_signal -1
	s_barrier_wait -1
	global_inv scope:SCOPE_SE
	scratch_load_b128 v[1:4], off, s20
	s_mov_b32 s0, exec_lo
	s_wait_loadcnt 0x0
	ds_store_b128 v5, v[1:4]
	s_wait_dscnt 0x0
	s_barrier_signal -1
	s_barrier_wait -1
	global_inv scope:SCOPE_SE
	v_cmpx_gt_u32_e32 38, v0
	s_cbranch_execz .LBB109_167
; %bb.164:
	v_dual_mov_b32 v1, 0 :: v_dual_add_nc_u32 v8, 0x2e0, v13
	v_mov_b32_e32 v3, 0
	v_dual_mov_b32 v2, 0 :: v_dual_add_nc_u32 v7, -1, v0
	v_mov_b32_e32 v4, 0
	v_or_b32_e32 v9, 8, v14
	s_mov_b32 s1, 0
.LBB109_165:                            ; =>This Inner Loop Header: Depth=1
	scratch_load_b128 v[15:18], v9, off offset:-8
	ds_load_b128 v[19:22], v8
	v_add_nc_u32_e32 v7, 1, v7
	v_add_nc_u32_e32 v8, 16, v8
	v_add_nc_u32_e32 v9, 16, v9
	s_delay_alu instid0(VALU_DEP_3)
	v_cmp_lt_u32_e32 vcc_lo, 36, v7
	s_wait_alu 0xfffe
	s_or_b32 s1, vcc_lo, s1
	s_wait_loadcnt_dscnt 0x0
	v_mul_f64_e32 v[10:11], v[21:22], v[17:18]
	v_mul_f64_e32 v[17:18], v[19:20], v[17:18]
	s_delay_alu instid0(VALU_DEP_2) | instskip(NEXT) | instid1(VALU_DEP_2)
	v_fma_f64 v[10:11], v[19:20], v[15:16], -v[10:11]
	v_fma_f64 v[15:16], v[21:22], v[15:16], v[17:18]
	s_delay_alu instid0(VALU_DEP_2) | instskip(NEXT) | instid1(VALU_DEP_2)
	v_add_f64_e32 v[3:4], v[3:4], v[10:11]
	v_add_f64_e32 v[1:2], v[1:2], v[15:16]
	s_wait_alu 0xfffe
	s_and_not1_b32 exec_lo, exec_lo, s1
	s_cbranch_execnz .LBB109_165
; %bb.166:
	s_or_b32 exec_lo, exec_lo, s1
	v_mov_b32_e32 v7, 0
	ds_load_b128 v[7:10], v7 offset:608
	s_wait_dscnt 0x0
	v_mul_f64_e32 v[11:12], v[1:2], v[9:10]
	v_mul_f64_e32 v[15:16], v[3:4], v[9:10]
	s_delay_alu instid0(VALU_DEP_2) | instskip(NEXT) | instid1(VALU_DEP_2)
	v_fma_f64 v[9:10], v[3:4], v[7:8], -v[11:12]
	v_fma_f64 v[11:12], v[1:2], v[7:8], v[15:16]
	scratch_store_b128 off, v[9:12], off offset:624
.LBB109_167:
	s_wait_alu 0xfffe
	s_or_b32 exec_lo, exec_lo, s0
	s_wait_loadcnt 0x0
	s_wait_storecnt 0x0
	s_barrier_signal -1
	s_barrier_wait -1
	global_inv scope:SCOPE_SE
	scratch_load_b128 v[1:4], off, s19
	s_mov_b32 s0, exec_lo
	s_wait_loadcnt 0x0
	ds_store_b128 v5, v[1:4]
	s_wait_dscnt 0x0
	s_barrier_signal -1
	s_barrier_wait -1
	global_inv scope:SCOPE_SE
	v_cmpx_gt_u32_e32 39, v0
	s_cbranch_execz .LBB109_171
; %bb.168:
	v_dual_mov_b32 v1, 0 :: v_dual_add_nc_u32 v8, 0x2e0, v13
	v_mov_b32_e32 v3, 0
	v_dual_mov_b32 v2, 0 :: v_dual_add_nc_u32 v7, -1, v0
	v_mov_b32_e32 v4, 0
	v_or_b32_e32 v9, 8, v14
	s_mov_b32 s1, 0
.LBB109_169:                            ; =>This Inner Loop Header: Depth=1
	scratch_load_b128 v[15:18], v9, off offset:-8
	ds_load_b128 v[19:22], v8
	v_add_nc_u32_e32 v7, 1, v7
	v_add_nc_u32_e32 v8, 16, v8
	v_add_nc_u32_e32 v9, 16, v9
	s_delay_alu instid0(VALU_DEP_3)
	v_cmp_lt_u32_e32 vcc_lo, 37, v7
	s_wait_alu 0xfffe
	s_or_b32 s1, vcc_lo, s1
	s_wait_loadcnt_dscnt 0x0
	v_mul_f64_e32 v[10:11], v[21:22], v[17:18]
	v_mul_f64_e32 v[17:18], v[19:20], v[17:18]
	s_delay_alu instid0(VALU_DEP_2) | instskip(NEXT) | instid1(VALU_DEP_2)
	v_fma_f64 v[10:11], v[19:20], v[15:16], -v[10:11]
	v_fma_f64 v[15:16], v[21:22], v[15:16], v[17:18]
	s_delay_alu instid0(VALU_DEP_2) | instskip(NEXT) | instid1(VALU_DEP_2)
	v_add_f64_e32 v[3:4], v[3:4], v[10:11]
	v_add_f64_e32 v[1:2], v[1:2], v[15:16]
	s_wait_alu 0xfffe
	s_and_not1_b32 exec_lo, exec_lo, s1
	s_cbranch_execnz .LBB109_169
; %bb.170:
	s_or_b32 exec_lo, exec_lo, s1
	v_mov_b32_e32 v7, 0
	ds_load_b128 v[7:10], v7 offset:624
	s_wait_dscnt 0x0
	v_mul_f64_e32 v[11:12], v[1:2], v[9:10]
	v_mul_f64_e32 v[15:16], v[3:4], v[9:10]
	s_delay_alu instid0(VALU_DEP_2) | instskip(NEXT) | instid1(VALU_DEP_2)
	v_fma_f64 v[9:10], v[3:4], v[7:8], -v[11:12]
	v_fma_f64 v[11:12], v[1:2], v[7:8], v[15:16]
	scratch_store_b128 off, v[9:12], off offset:640
.LBB109_171:
	s_wait_alu 0xfffe
	s_or_b32 exec_lo, exec_lo, s0
	s_wait_loadcnt 0x0
	s_wait_storecnt 0x0
	s_barrier_signal -1
	s_barrier_wait -1
	global_inv scope:SCOPE_SE
	scratch_load_b128 v[1:4], off, s18
	s_mov_b32 s0, exec_lo
	s_wait_loadcnt 0x0
	ds_store_b128 v5, v[1:4]
	s_wait_dscnt 0x0
	s_barrier_signal -1
	s_barrier_wait -1
	global_inv scope:SCOPE_SE
	v_cmpx_gt_u32_e32 40, v0
	s_cbranch_execz .LBB109_175
; %bb.172:
	v_dual_mov_b32 v1, 0 :: v_dual_add_nc_u32 v8, 0x2e0, v13
	v_mov_b32_e32 v3, 0
	v_dual_mov_b32 v2, 0 :: v_dual_add_nc_u32 v7, -1, v0
	v_mov_b32_e32 v4, 0
	v_or_b32_e32 v9, 8, v14
	s_mov_b32 s1, 0
.LBB109_173:                            ; =>This Inner Loop Header: Depth=1
	scratch_load_b128 v[15:18], v9, off offset:-8
	ds_load_b128 v[19:22], v8
	v_add_nc_u32_e32 v7, 1, v7
	v_add_nc_u32_e32 v8, 16, v8
	v_add_nc_u32_e32 v9, 16, v9
	s_delay_alu instid0(VALU_DEP_3)
	v_cmp_lt_u32_e32 vcc_lo, 38, v7
	s_wait_alu 0xfffe
	s_or_b32 s1, vcc_lo, s1
	s_wait_loadcnt_dscnt 0x0
	v_mul_f64_e32 v[10:11], v[21:22], v[17:18]
	v_mul_f64_e32 v[17:18], v[19:20], v[17:18]
	s_delay_alu instid0(VALU_DEP_2) | instskip(NEXT) | instid1(VALU_DEP_2)
	v_fma_f64 v[10:11], v[19:20], v[15:16], -v[10:11]
	v_fma_f64 v[15:16], v[21:22], v[15:16], v[17:18]
	s_delay_alu instid0(VALU_DEP_2) | instskip(NEXT) | instid1(VALU_DEP_2)
	v_add_f64_e32 v[3:4], v[3:4], v[10:11]
	v_add_f64_e32 v[1:2], v[1:2], v[15:16]
	s_wait_alu 0xfffe
	s_and_not1_b32 exec_lo, exec_lo, s1
	s_cbranch_execnz .LBB109_173
; %bb.174:
	s_or_b32 exec_lo, exec_lo, s1
	v_mov_b32_e32 v7, 0
	ds_load_b128 v[7:10], v7 offset:640
	s_wait_dscnt 0x0
	v_mul_f64_e32 v[11:12], v[1:2], v[9:10]
	v_mul_f64_e32 v[15:16], v[3:4], v[9:10]
	s_delay_alu instid0(VALU_DEP_2) | instskip(NEXT) | instid1(VALU_DEP_2)
	v_fma_f64 v[9:10], v[3:4], v[7:8], -v[11:12]
	v_fma_f64 v[11:12], v[1:2], v[7:8], v[15:16]
	scratch_store_b128 off, v[9:12], off offset:656
.LBB109_175:
	s_wait_alu 0xfffe
	s_or_b32 exec_lo, exec_lo, s0
	s_wait_loadcnt 0x0
	s_wait_storecnt 0x0
	s_barrier_signal -1
	s_barrier_wait -1
	global_inv scope:SCOPE_SE
	scratch_load_b128 v[1:4], off, s17
	s_mov_b32 s0, exec_lo
	s_wait_loadcnt 0x0
	ds_store_b128 v5, v[1:4]
	s_wait_dscnt 0x0
	s_barrier_signal -1
	s_barrier_wait -1
	global_inv scope:SCOPE_SE
	v_cmpx_gt_u32_e32 41, v0
	s_cbranch_execz .LBB109_179
; %bb.176:
	v_dual_mov_b32 v1, 0 :: v_dual_add_nc_u32 v8, 0x2e0, v13
	v_mov_b32_e32 v3, 0
	v_dual_mov_b32 v2, 0 :: v_dual_add_nc_u32 v7, -1, v0
	v_mov_b32_e32 v4, 0
	v_or_b32_e32 v9, 8, v14
	s_mov_b32 s1, 0
.LBB109_177:                            ; =>This Inner Loop Header: Depth=1
	scratch_load_b128 v[15:18], v9, off offset:-8
	ds_load_b128 v[19:22], v8
	v_add_nc_u32_e32 v7, 1, v7
	v_add_nc_u32_e32 v8, 16, v8
	v_add_nc_u32_e32 v9, 16, v9
	s_delay_alu instid0(VALU_DEP_3)
	v_cmp_lt_u32_e32 vcc_lo, 39, v7
	s_wait_alu 0xfffe
	s_or_b32 s1, vcc_lo, s1
	s_wait_loadcnt_dscnt 0x0
	v_mul_f64_e32 v[10:11], v[21:22], v[17:18]
	v_mul_f64_e32 v[17:18], v[19:20], v[17:18]
	s_delay_alu instid0(VALU_DEP_2) | instskip(NEXT) | instid1(VALU_DEP_2)
	v_fma_f64 v[10:11], v[19:20], v[15:16], -v[10:11]
	v_fma_f64 v[15:16], v[21:22], v[15:16], v[17:18]
	s_delay_alu instid0(VALU_DEP_2) | instskip(NEXT) | instid1(VALU_DEP_2)
	v_add_f64_e32 v[3:4], v[3:4], v[10:11]
	v_add_f64_e32 v[1:2], v[1:2], v[15:16]
	s_wait_alu 0xfffe
	s_and_not1_b32 exec_lo, exec_lo, s1
	s_cbranch_execnz .LBB109_177
; %bb.178:
	s_or_b32 exec_lo, exec_lo, s1
	v_mov_b32_e32 v7, 0
	ds_load_b128 v[7:10], v7 offset:656
	s_wait_dscnt 0x0
	v_mul_f64_e32 v[11:12], v[1:2], v[9:10]
	v_mul_f64_e32 v[15:16], v[3:4], v[9:10]
	s_delay_alu instid0(VALU_DEP_2) | instskip(NEXT) | instid1(VALU_DEP_2)
	v_fma_f64 v[9:10], v[3:4], v[7:8], -v[11:12]
	v_fma_f64 v[11:12], v[1:2], v[7:8], v[15:16]
	scratch_store_b128 off, v[9:12], off offset:672
.LBB109_179:
	s_wait_alu 0xfffe
	s_or_b32 exec_lo, exec_lo, s0
	s_wait_loadcnt 0x0
	s_wait_storecnt 0x0
	s_barrier_signal -1
	s_barrier_wait -1
	global_inv scope:SCOPE_SE
	scratch_load_b128 v[1:4], off, s16
	s_mov_b32 s0, exec_lo
	s_wait_loadcnt 0x0
	ds_store_b128 v5, v[1:4]
	s_wait_dscnt 0x0
	s_barrier_signal -1
	s_barrier_wait -1
	global_inv scope:SCOPE_SE
	v_cmpx_gt_u32_e32 42, v0
	s_cbranch_execz .LBB109_183
; %bb.180:
	v_dual_mov_b32 v1, 0 :: v_dual_add_nc_u32 v8, 0x2e0, v13
	v_mov_b32_e32 v3, 0
	v_dual_mov_b32 v2, 0 :: v_dual_add_nc_u32 v7, -1, v0
	v_mov_b32_e32 v4, 0
	v_or_b32_e32 v9, 8, v14
	s_mov_b32 s1, 0
.LBB109_181:                            ; =>This Inner Loop Header: Depth=1
	scratch_load_b128 v[15:18], v9, off offset:-8
	ds_load_b128 v[19:22], v8
	v_add_nc_u32_e32 v7, 1, v7
	v_add_nc_u32_e32 v8, 16, v8
	v_add_nc_u32_e32 v9, 16, v9
	s_delay_alu instid0(VALU_DEP_3)
	v_cmp_lt_u32_e32 vcc_lo, 40, v7
	s_wait_alu 0xfffe
	s_or_b32 s1, vcc_lo, s1
	s_wait_loadcnt_dscnt 0x0
	v_mul_f64_e32 v[10:11], v[21:22], v[17:18]
	v_mul_f64_e32 v[17:18], v[19:20], v[17:18]
	s_delay_alu instid0(VALU_DEP_2) | instskip(NEXT) | instid1(VALU_DEP_2)
	v_fma_f64 v[10:11], v[19:20], v[15:16], -v[10:11]
	v_fma_f64 v[15:16], v[21:22], v[15:16], v[17:18]
	s_delay_alu instid0(VALU_DEP_2) | instskip(NEXT) | instid1(VALU_DEP_2)
	v_add_f64_e32 v[3:4], v[3:4], v[10:11]
	v_add_f64_e32 v[1:2], v[1:2], v[15:16]
	s_wait_alu 0xfffe
	s_and_not1_b32 exec_lo, exec_lo, s1
	s_cbranch_execnz .LBB109_181
; %bb.182:
	s_or_b32 exec_lo, exec_lo, s1
	v_mov_b32_e32 v7, 0
	ds_load_b128 v[7:10], v7 offset:672
	s_wait_dscnt 0x0
	v_mul_f64_e32 v[11:12], v[1:2], v[9:10]
	v_mul_f64_e32 v[15:16], v[3:4], v[9:10]
	s_delay_alu instid0(VALU_DEP_2) | instskip(NEXT) | instid1(VALU_DEP_2)
	v_fma_f64 v[9:10], v[3:4], v[7:8], -v[11:12]
	v_fma_f64 v[11:12], v[1:2], v[7:8], v[15:16]
	scratch_store_b128 off, v[9:12], off offset:688
.LBB109_183:
	s_wait_alu 0xfffe
	s_or_b32 exec_lo, exec_lo, s0
	s_wait_loadcnt 0x0
	s_wait_storecnt 0x0
	s_barrier_signal -1
	s_barrier_wait -1
	global_inv scope:SCOPE_SE
	scratch_load_b128 v[1:4], off, s14
	s_mov_b32 s0, exec_lo
	s_wait_loadcnt 0x0
	ds_store_b128 v5, v[1:4]
	s_wait_dscnt 0x0
	s_barrier_signal -1
	s_barrier_wait -1
	global_inv scope:SCOPE_SE
	v_cmpx_gt_u32_e32 43, v0
	s_cbranch_execz .LBB109_187
; %bb.184:
	v_dual_mov_b32 v1, 0 :: v_dual_add_nc_u32 v8, 0x2e0, v13
	v_mov_b32_e32 v3, 0
	v_dual_mov_b32 v2, 0 :: v_dual_add_nc_u32 v7, -1, v0
	v_mov_b32_e32 v4, 0
	v_or_b32_e32 v9, 8, v14
	s_mov_b32 s1, 0
.LBB109_185:                            ; =>This Inner Loop Header: Depth=1
	scratch_load_b128 v[15:18], v9, off offset:-8
	ds_load_b128 v[19:22], v8
	v_add_nc_u32_e32 v7, 1, v7
	v_add_nc_u32_e32 v8, 16, v8
	v_add_nc_u32_e32 v9, 16, v9
	s_delay_alu instid0(VALU_DEP_3)
	v_cmp_lt_u32_e32 vcc_lo, 41, v7
	s_wait_alu 0xfffe
	s_or_b32 s1, vcc_lo, s1
	s_wait_loadcnt_dscnt 0x0
	v_mul_f64_e32 v[10:11], v[21:22], v[17:18]
	v_mul_f64_e32 v[17:18], v[19:20], v[17:18]
	s_delay_alu instid0(VALU_DEP_2) | instskip(NEXT) | instid1(VALU_DEP_2)
	v_fma_f64 v[10:11], v[19:20], v[15:16], -v[10:11]
	v_fma_f64 v[15:16], v[21:22], v[15:16], v[17:18]
	s_delay_alu instid0(VALU_DEP_2) | instskip(NEXT) | instid1(VALU_DEP_2)
	v_add_f64_e32 v[3:4], v[3:4], v[10:11]
	v_add_f64_e32 v[1:2], v[1:2], v[15:16]
	s_wait_alu 0xfffe
	s_and_not1_b32 exec_lo, exec_lo, s1
	s_cbranch_execnz .LBB109_185
; %bb.186:
	s_or_b32 exec_lo, exec_lo, s1
	v_mov_b32_e32 v7, 0
	ds_load_b128 v[7:10], v7 offset:688
	s_wait_dscnt 0x0
	v_mul_f64_e32 v[11:12], v[1:2], v[9:10]
	v_mul_f64_e32 v[15:16], v[3:4], v[9:10]
	s_delay_alu instid0(VALU_DEP_2) | instskip(NEXT) | instid1(VALU_DEP_2)
	v_fma_f64 v[9:10], v[3:4], v[7:8], -v[11:12]
	v_fma_f64 v[11:12], v[1:2], v[7:8], v[15:16]
	scratch_store_b128 off, v[9:12], off offset:704
.LBB109_187:
	s_wait_alu 0xfffe
	s_or_b32 exec_lo, exec_lo, s0
	s_wait_loadcnt 0x0
	s_wait_storecnt 0x0
	s_barrier_signal -1
	s_barrier_wait -1
	global_inv scope:SCOPE_SE
	scratch_load_b128 v[1:4], off, s11
	s_mov_b32 s0, exec_lo
	s_wait_loadcnt 0x0
	ds_store_b128 v5, v[1:4]
	s_wait_dscnt 0x0
	s_barrier_signal -1
	s_barrier_wait -1
	global_inv scope:SCOPE_SE
	v_cmpx_gt_u32_e32 44, v0
	s_cbranch_execz .LBB109_191
; %bb.188:
	v_dual_mov_b32 v1, 0 :: v_dual_add_nc_u32 v8, 0x2e0, v13
	v_mov_b32_e32 v3, 0
	v_dual_mov_b32 v2, 0 :: v_dual_add_nc_u32 v7, -1, v0
	v_mov_b32_e32 v4, 0
	v_or_b32_e32 v9, 8, v14
	s_mov_b32 s1, 0
.LBB109_189:                            ; =>This Inner Loop Header: Depth=1
	scratch_load_b128 v[10:13], v9, off offset:-8
	ds_load_b128 v[15:18], v8
	v_add_nc_u32_e32 v7, 1, v7
	v_add_nc_u32_e32 v8, 16, v8
	v_add_nc_u32_e32 v9, 16, v9
	s_delay_alu instid0(VALU_DEP_3)
	v_cmp_lt_u32_e32 vcc_lo, 42, v7
	s_wait_alu 0xfffe
	s_or_b32 s1, vcc_lo, s1
	s_wait_loadcnt_dscnt 0x0
	v_mul_f64_e32 v[19:20], v[17:18], v[12:13]
	v_mul_f64_e32 v[12:13], v[15:16], v[12:13]
	s_delay_alu instid0(VALU_DEP_2) | instskip(NEXT) | instid1(VALU_DEP_2)
	v_fma_f64 v[15:16], v[15:16], v[10:11], -v[19:20]
	v_fma_f64 v[10:11], v[17:18], v[10:11], v[12:13]
	s_delay_alu instid0(VALU_DEP_2) | instskip(NEXT) | instid1(VALU_DEP_2)
	v_add_f64_e32 v[3:4], v[3:4], v[15:16]
	v_add_f64_e32 v[1:2], v[1:2], v[10:11]
	s_wait_alu 0xfffe
	s_and_not1_b32 exec_lo, exec_lo, s1
	s_cbranch_execnz .LBB109_189
; %bb.190:
	s_or_b32 exec_lo, exec_lo, s1
	v_mov_b32_e32 v7, 0
	ds_load_b128 v[7:10], v7 offset:704
	s_wait_dscnt 0x0
	v_mul_f64_e32 v[11:12], v[1:2], v[9:10]
	v_mul_f64_e32 v[15:16], v[3:4], v[9:10]
	s_delay_alu instid0(VALU_DEP_2) | instskip(NEXT) | instid1(VALU_DEP_2)
	v_fma_f64 v[9:10], v[3:4], v[7:8], -v[11:12]
	v_fma_f64 v[11:12], v[1:2], v[7:8], v[15:16]
	scratch_store_b128 off, v[9:12], off offset:720
.LBB109_191:
	s_wait_alu 0xfffe
	s_or_b32 exec_lo, exec_lo, s0
	s_wait_loadcnt 0x0
	s_wait_storecnt 0x0
	s_barrier_signal -1
	s_barrier_wait -1
	global_inv scope:SCOPE_SE
	scratch_load_b128 v[1:4], off, s5
	s_mov_b32 s0, exec_lo
	s_wait_loadcnt 0x0
	ds_store_b128 v5, v[1:4]
	s_wait_dscnt 0x0
	s_barrier_signal -1
	s_barrier_wait -1
	global_inv scope:SCOPE_SE
	v_cmpx_ne_u32_e32 45, v0
	s_cbranch_execz .LBB109_195
; %bb.192:
	v_mov_b32_e32 v1, 0
	v_dual_mov_b32 v2, 0 :: v_dual_mov_b32 v3, 0
	v_mov_b32_e32 v4, 0
	v_or_b32_e32 v7, 8, v14
	s_mov_b32 s1, 0
.LBB109_193:                            ; =>This Inner Loop Header: Depth=1
	scratch_load_b128 v[8:11], v7, off offset:-8
	ds_load_b128 v[12:15], v5
	v_add_nc_u32_e32 v6, 1, v6
	v_add_nc_u32_e32 v5, 16, v5
	;; [unrolled: 1-line block ×3, first 2 shown]
	s_delay_alu instid0(VALU_DEP_3)
	v_cmp_lt_u32_e32 vcc_lo, 43, v6
	s_wait_alu 0xfffe
	s_or_b32 s1, vcc_lo, s1
	s_wait_loadcnt_dscnt 0x0
	v_mul_f64_e32 v[16:17], v[14:15], v[10:11]
	v_mul_f64_e32 v[10:11], v[12:13], v[10:11]
	s_delay_alu instid0(VALU_DEP_2) | instskip(NEXT) | instid1(VALU_DEP_2)
	v_fma_f64 v[12:13], v[12:13], v[8:9], -v[16:17]
	v_fma_f64 v[8:9], v[14:15], v[8:9], v[10:11]
	s_delay_alu instid0(VALU_DEP_2) | instskip(NEXT) | instid1(VALU_DEP_2)
	v_add_f64_e32 v[3:4], v[3:4], v[12:13]
	v_add_f64_e32 v[1:2], v[1:2], v[8:9]
	s_wait_alu 0xfffe
	s_and_not1_b32 exec_lo, exec_lo, s1
	s_cbranch_execnz .LBB109_193
; %bb.194:
	s_or_b32 exec_lo, exec_lo, s1
	v_mov_b32_e32 v5, 0
	ds_load_b128 v[5:8], v5 offset:720
	s_wait_dscnt 0x0
	v_mul_f64_e32 v[9:10], v[1:2], v[7:8]
	v_mul_f64_e32 v[7:8], v[3:4], v[7:8]
	s_delay_alu instid0(VALU_DEP_2) | instskip(NEXT) | instid1(VALU_DEP_2)
	v_fma_f64 v[3:4], v[3:4], v[5:6], -v[9:10]
	v_fma_f64 v[5:6], v[1:2], v[5:6], v[7:8]
	scratch_store_b128 off, v[3:6], off offset:736
.LBB109_195:
	s_wait_alu 0xfffe
	s_or_b32 exec_lo, exec_lo, s0
	s_mov_b32 s1, -1
	s_wait_loadcnt 0x0
	s_wait_storecnt 0x0
	s_barrier_signal -1
	s_barrier_wait -1
	global_inv scope:SCOPE_SE
.LBB109_196:
	s_wait_alu 0xfffe
	s_and_b32 vcc_lo, exec_lo, s1
	s_wait_alu 0xfffe
	s_cbranch_vccz .LBB109_198
; %bb.197:
	v_mov_b32_e32 v1, 0
	s_lshl_b64 s[0:1], s[8:9], 2
	s_wait_alu 0xfffe
	s_add_nc_u64 s[0:1], s[6:7], s[0:1]
	global_load_b32 v1, v1, s[0:1]
	s_wait_loadcnt 0x0
	v_cmp_ne_u32_e32 vcc_lo, 0, v1
	s_cbranch_vccz .LBB109_199
.LBB109_198:
	s_nop 0
	s_sendmsg sendmsg(MSG_DEALLOC_VGPRS)
	s_endpgm
.LBB109_199:
	v_lshl_add_u32 v138, v0, 4, 0x2e0
	s_mov_b32 s0, exec_lo
	v_cmpx_eq_u32_e32 45, v0
	s_cbranch_execz .LBB109_201
; %bb.200:
	scratch_load_b128 v[1:4], off, s11
	v_mov_b32_e32 v5, 0
	s_delay_alu instid0(VALU_DEP_1)
	v_dual_mov_b32 v6, v5 :: v_dual_mov_b32 v7, v5
	v_mov_b32_e32 v8, v5
	scratch_store_b128 off, v[5:8], off offset:720
	s_wait_loadcnt 0x0
	ds_store_b128 v138, v[1:4]
.LBB109_201:
	s_wait_alu 0xfffe
	s_or_b32 exec_lo, exec_lo, s0
	s_wait_storecnt_dscnt 0x0
	s_barrier_signal -1
	s_barrier_wait -1
	global_inv scope:SCOPE_SE
	s_clause 0x1
	scratch_load_b128 v[2:5], off, off offset:736
	scratch_load_b128 v[6:9], off, off offset:720
	v_mov_b32_e32 v1, 0
	s_mov_b32 s0, exec_lo
	ds_load_b128 v[10:13], v1 offset:1456
	s_wait_loadcnt_dscnt 0x100
	v_mul_f64_e32 v[14:15], v[12:13], v[4:5]
	v_mul_f64_e32 v[4:5], v[10:11], v[4:5]
	s_delay_alu instid0(VALU_DEP_2) | instskip(NEXT) | instid1(VALU_DEP_2)
	v_fma_f64 v[10:11], v[10:11], v[2:3], -v[14:15]
	v_fma_f64 v[2:3], v[12:13], v[2:3], v[4:5]
	s_delay_alu instid0(VALU_DEP_2) | instskip(NEXT) | instid1(VALU_DEP_2)
	v_add_f64_e32 v[4:5], 0, v[10:11]
	v_add_f64_e32 v[10:11], 0, v[2:3]
	s_wait_loadcnt 0x0
	s_delay_alu instid0(VALU_DEP_2) | instskip(NEXT) | instid1(VALU_DEP_2)
	v_add_f64_e64 v[2:3], v[6:7], -v[4:5]
	v_add_f64_e64 v[4:5], v[8:9], -v[10:11]
	scratch_store_b128 off, v[2:5], off offset:720
	v_cmpx_lt_u32_e32 43, v0
	s_cbranch_execz .LBB109_203
; %bb.202:
	scratch_load_b128 v[5:8], off, s14
	v_dual_mov_b32 v2, v1 :: v_dual_mov_b32 v3, v1
	v_mov_b32_e32 v4, v1
	scratch_store_b128 off, v[1:4], off offset:704
	s_wait_loadcnt 0x0
	ds_store_b128 v138, v[5:8]
.LBB109_203:
	s_wait_alu 0xfffe
	s_or_b32 exec_lo, exec_lo, s0
	s_wait_storecnt_dscnt 0x0
	s_barrier_signal -1
	s_barrier_wait -1
	global_inv scope:SCOPE_SE
	s_clause 0x2
	scratch_load_b128 v[2:5], off, off offset:720
	scratch_load_b128 v[6:9], off, off offset:736
	;; [unrolled: 1-line block ×3, first 2 shown]
	ds_load_b128 v[14:17], v1 offset:1440
	ds_load_b128 v[18:21], v1 offset:1456
	s_mov_b32 s0, exec_lo
	s_wait_loadcnt_dscnt 0x201
	v_mul_f64_e32 v[22:23], v[16:17], v[4:5]
	v_mul_f64_e32 v[4:5], v[14:15], v[4:5]
	s_wait_loadcnt_dscnt 0x100
	v_mul_f64_e32 v[24:25], v[18:19], v[8:9]
	v_mul_f64_e32 v[8:9], v[20:21], v[8:9]
	s_delay_alu instid0(VALU_DEP_4) | instskip(NEXT) | instid1(VALU_DEP_4)
	v_fma_f64 v[14:15], v[14:15], v[2:3], -v[22:23]
	v_fma_f64 v[1:2], v[16:17], v[2:3], v[4:5]
	s_delay_alu instid0(VALU_DEP_4) | instskip(NEXT) | instid1(VALU_DEP_4)
	v_fma_f64 v[3:4], v[20:21], v[6:7], v[24:25]
	v_fma_f64 v[5:6], v[18:19], v[6:7], -v[8:9]
	s_delay_alu instid0(VALU_DEP_4) | instskip(NEXT) | instid1(VALU_DEP_4)
	v_add_f64_e32 v[7:8], 0, v[14:15]
	v_add_f64_e32 v[1:2], 0, v[1:2]
	s_delay_alu instid0(VALU_DEP_2) | instskip(NEXT) | instid1(VALU_DEP_2)
	v_add_f64_e32 v[5:6], v[7:8], v[5:6]
	v_add_f64_e32 v[3:4], v[1:2], v[3:4]
	s_wait_loadcnt 0x0
	s_delay_alu instid0(VALU_DEP_2) | instskip(NEXT) | instid1(VALU_DEP_2)
	v_add_f64_e64 v[1:2], v[10:11], -v[5:6]
	v_add_f64_e64 v[3:4], v[12:13], -v[3:4]
	scratch_store_b128 off, v[1:4], off offset:704
	v_cmpx_lt_u32_e32 42, v0
	s_cbranch_execz .LBB109_205
; %bb.204:
	scratch_load_b128 v[1:4], off, s16
	v_mov_b32_e32 v5, 0
	s_delay_alu instid0(VALU_DEP_1)
	v_dual_mov_b32 v6, v5 :: v_dual_mov_b32 v7, v5
	v_mov_b32_e32 v8, v5
	scratch_store_b128 off, v[5:8], off offset:688
	s_wait_loadcnt 0x0
	ds_store_b128 v138, v[1:4]
.LBB109_205:
	s_wait_alu 0xfffe
	s_or_b32 exec_lo, exec_lo, s0
	s_wait_storecnt_dscnt 0x0
	s_barrier_signal -1
	s_barrier_wait -1
	global_inv scope:SCOPE_SE
	s_clause 0x3
	scratch_load_b128 v[2:5], off, off offset:704
	scratch_load_b128 v[6:9], off, off offset:720
	;; [unrolled: 1-line block ×4, first 2 shown]
	v_mov_b32_e32 v1, 0
	ds_load_b128 v[18:21], v1 offset:1424
	ds_load_b128 v[22:25], v1 offset:1440
	s_mov_b32 s0, exec_lo
	s_wait_loadcnt_dscnt 0x301
	v_mul_f64_e32 v[26:27], v[20:21], v[4:5]
	v_mul_f64_e32 v[4:5], v[18:19], v[4:5]
	s_wait_loadcnt_dscnt 0x200
	v_mul_f64_e32 v[28:29], v[22:23], v[8:9]
	v_mul_f64_e32 v[8:9], v[24:25], v[8:9]
	s_delay_alu instid0(VALU_DEP_4) | instskip(NEXT) | instid1(VALU_DEP_4)
	v_fma_f64 v[18:19], v[18:19], v[2:3], -v[26:27]
	v_fma_f64 v[20:21], v[20:21], v[2:3], v[4:5]
	ds_load_b128 v[2:5], v1 offset:1456
	v_fma_f64 v[24:25], v[24:25], v[6:7], v[28:29]
	v_fma_f64 v[6:7], v[22:23], v[6:7], -v[8:9]
	s_wait_loadcnt_dscnt 0x100
	v_mul_f64_e32 v[26:27], v[2:3], v[12:13]
	v_mul_f64_e32 v[12:13], v[4:5], v[12:13]
	v_add_f64_e32 v[8:9], 0, v[18:19]
	v_add_f64_e32 v[18:19], 0, v[20:21]
	s_delay_alu instid0(VALU_DEP_4) | instskip(NEXT) | instid1(VALU_DEP_4)
	v_fma_f64 v[4:5], v[4:5], v[10:11], v[26:27]
	v_fma_f64 v[2:3], v[2:3], v[10:11], -v[12:13]
	s_delay_alu instid0(VALU_DEP_4) | instskip(NEXT) | instid1(VALU_DEP_4)
	v_add_f64_e32 v[6:7], v[8:9], v[6:7]
	v_add_f64_e32 v[8:9], v[18:19], v[24:25]
	s_delay_alu instid0(VALU_DEP_2) | instskip(NEXT) | instid1(VALU_DEP_2)
	v_add_f64_e32 v[2:3], v[6:7], v[2:3]
	v_add_f64_e32 v[4:5], v[8:9], v[4:5]
	s_wait_loadcnt 0x0
	s_delay_alu instid0(VALU_DEP_2) | instskip(NEXT) | instid1(VALU_DEP_2)
	v_add_f64_e64 v[2:3], v[14:15], -v[2:3]
	v_add_f64_e64 v[4:5], v[16:17], -v[4:5]
	scratch_store_b128 off, v[2:5], off offset:688
	v_cmpx_lt_u32_e32 41, v0
	s_cbranch_execz .LBB109_207
; %bb.206:
	scratch_load_b128 v[5:8], off, s17
	v_dual_mov_b32 v2, v1 :: v_dual_mov_b32 v3, v1
	v_mov_b32_e32 v4, v1
	scratch_store_b128 off, v[1:4], off offset:672
	s_wait_loadcnt 0x0
	ds_store_b128 v138, v[5:8]
.LBB109_207:
	s_wait_alu 0xfffe
	s_or_b32 exec_lo, exec_lo, s0
	s_wait_storecnt_dscnt 0x0
	s_barrier_signal -1
	s_barrier_wait -1
	global_inv scope:SCOPE_SE
	s_clause 0x4
	scratch_load_b128 v[2:5], off, off offset:688
	scratch_load_b128 v[6:9], off, off offset:704
	;; [unrolled: 1-line block ×5, first 2 shown]
	ds_load_b128 v[22:25], v1 offset:1408
	ds_load_b128 v[26:29], v1 offset:1424
	s_mov_b32 s0, exec_lo
	s_wait_loadcnt_dscnt 0x401
	v_mul_f64_e32 v[30:31], v[24:25], v[4:5]
	v_mul_f64_e32 v[4:5], v[22:23], v[4:5]
	s_wait_loadcnt_dscnt 0x300
	v_mul_f64_e32 v[32:33], v[26:27], v[8:9]
	v_mul_f64_e32 v[8:9], v[28:29], v[8:9]
	s_delay_alu instid0(VALU_DEP_4) | instskip(NEXT) | instid1(VALU_DEP_4)
	v_fma_f64 v[30:31], v[22:23], v[2:3], -v[30:31]
	v_fma_f64 v[34:35], v[24:25], v[2:3], v[4:5]
	ds_load_b128 v[2:5], v1 offset:1440
	ds_load_b128 v[22:25], v1 offset:1456
	v_fma_f64 v[28:29], v[28:29], v[6:7], v[32:33]
	v_fma_f64 v[6:7], v[26:27], v[6:7], -v[8:9]
	s_wait_loadcnt_dscnt 0x201
	v_mul_f64_e32 v[36:37], v[2:3], v[12:13]
	v_mul_f64_e32 v[12:13], v[4:5], v[12:13]
	v_add_f64_e32 v[8:9], 0, v[30:31]
	v_add_f64_e32 v[26:27], 0, v[34:35]
	s_wait_loadcnt_dscnt 0x100
	v_mul_f64_e32 v[30:31], v[22:23], v[16:17]
	v_mul_f64_e32 v[16:17], v[24:25], v[16:17]
	v_fma_f64 v[4:5], v[4:5], v[10:11], v[36:37]
	v_fma_f64 v[1:2], v[2:3], v[10:11], -v[12:13]
	v_add_f64_e32 v[6:7], v[8:9], v[6:7]
	v_add_f64_e32 v[8:9], v[26:27], v[28:29]
	v_fma_f64 v[10:11], v[24:25], v[14:15], v[30:31]
	v_fma_f64 v[12:13], v[22:23], v[14:15], -v[16:17]
	s_delay_alu instid0(VALU_DEP_4) | instskip(NEXT) | instid1(VALU_DEP_4)
	v_add_f64_e32 v[1:2], v[6:7], v[1:2]
	v_add_f64_e32 v[3:4], v[8:9], v[4:5]
	s_delay_alu instid0(VALU_DEP_2) | instskip(NEXT) | instid1(VALU_DEP_2)
	v_add_f64_e32 v[1:2], v[1:2], v[12:13]
	v_add_f64_e32 v[3:4], v[3:4], v[10:11]
	s_wait_loadcnt 0x0
	s_delay_alu instid0(VALU_DEP_2) | instskip(NEXT) | instid1(VALU_DEP_2)
	v_add_f64_e64 v[1:2], v[18:19], -v[1:2]
	v_add_f64_e64 v[3:4], v[20:21], -v[3:4]
	scratch_store_b128 off, v[1:4], off offset:672
	v_cmpx_lt_u32_e32 40, v0
	s_cbranch_execz .LBB109_209
; %bb.208:
	scratch_load_b128 v[1:4], off, s18
	v_mov_b32_e32 v5, 0
	s_delay_alu instid0(VALU_DEP_1)
	v_dual_mov_b32 v6, v5 :: v_dual_mov_b32 v7, v5
	v_mov_b32_e32 v8, v5
	scratch_store_b128 off, v[5:8], off offset:656
	s_wait_loadcnt 0x0
	ds_store_b128 v138, v[1:4]
.LBB109_209:
	s_wait_alu 0xfffe
	s_or_b32 exec_lo, exec_lo, s0
	s_wait_storecnt_dscnt 0x0
	s_barrier_signal -1
	s_barrier_wait -1
	global_inv scope:SCOPE_SE
	s_clause 0x5
	scratch_load_b128 v[2:5], off, off offset:672
	scratch_load_b128 v[6:9], off, off offset:688
	;; [unrolled: 1-line block ×6, first 2 shown]
	v_mov_b32_e32 v1, 0
	ds_load_b128 v[26:29], v1 offset:1392
	ds_load_b128 v[30:33], v1 offset:1408
	s_mov_b32 s0, exec_lo
	s_wait_loadcnt_dscnt 0x501
	v_mul_f64_e32 v[34:35], v[28:29], v[4:5]
	v_mul_f64_e32 v[4:5], v[26:27], v[4:5]
	s_wait_loadcnt_dscnt 0x400
	v_mul_f64_e32 v[36:37], v[30:31], v[8:9]
	v_mul_f64_e32 v[8:9], v[32:33], v[8:9]
	s_delay_alu instid0(VALU_DEP_4) | instskip(NEXT) | instid1(VALU_DEP_4)
	v_fma_f64 v[34:35], v[26:27], v[2:3], -v[34:35]
	v_fma_f64 v[38:39], v[28:29], v[2:3], v[4:5]
	ds_load_b128 v[2:5], v1 offset:1424
	ds_load_b128 v[26:29], v1 offset:1440
	v_fma_f64 v[32:33], v[32:33], v[6:7], v[36:37]
	v_fma_f64 v[6:7], v[30:31], v[6:7], -v[8:9]
	s_wait_loadcnt_dscnt 0x301
	v_mul_f64_e32 v[40:41], v[2:3], v[12:13]
	v_mul_f64_e32 v[12:13], v[4:5], v[12:13]
	v_add_f64_e32 v[8:9], 0, v[34:35]
	v_add_f64_e32 v[30:31], 0, v[38:39]
	s_wait_loadcnt_dscnt 0x200
	v_mul_f64_e32 v[34:35], v[26:27], v[16:17]
	v_mul_f64_e32 v[16:17], v[28:29], v[16:17]
	v_fma_f64 v[36:37], v[4:5], v[10:11], v[40:41]
	v_fma_f64 v[10:11], v[2:3], v[10:11], -v[12:13]
	ds_load_b128 v[2:5], v1 offset:1456
	v_add_f64_e32 v[6:7], v[8:9], v[6:7]
	v_add_f64_e32 v[8:9], v[30:31], v[32:33]
	v_fma_f64 v[28:29], v[28:29], v[14:15], v[34:35]
	v_fma_f64 v[14:15], v[26:27], v[14:15], -v[16:17]
	s_wait_loadcnt_dscnt 0x100
	v_mul_f64_e32 v[12:13], v[2:3], v[20:21]
	v_mul_f64_e32 v[20:21], v[4:5], v[20:21]
	v_add_f64_e32 v[6:7], v[6:7], v[10:11]
	v_add_f64_e32 v[8:9], v[8:9], v[36:37]
	s_delay_alu instid0(VALU_DEP_4) | instskip(NEXT) | instid1(VALU_DEP_4)
	v_fma_f64 v[4:5], v[4:5], v[18:19], v[12:13]
	v_fma_f64 v[2:3], v[2:3], v[18:19], -v[20:21]
	s_delay_alu instid0(VALU_DEP_4) | instskip(NEXT) | instid1(VALU_DEP_4)
	v_add_f64_e32 v[6:7], v[6:7], v[14:15]
	v_add_f64_e32 v[8:9], v[8:9], v[28:29]
	s_delay_alu instid0(VALU_DEP_2) | instskip(NEXT) | instid1(VALU_DEP_2)
	v_add_f64_e32 v[2:3], v[6:7], v[2:3]
	v_add_f64_e32 v[4:5], v[8:9], v[4:5]
	s_wait_loadcnt 0x0
	s_delay_alu instid0(VALU_DEP_2) | instskip(NEXT) | instid1(VALU_DEP_2)
	v_add_f64_e64 v[2:3], v[22:23], -v[2:3]
	v_add_f64_e64 v[4:5], v[24:25], -v[4:5]
	scratch_store_b128 off, v[2:5], off offset:656
	v_cmpx_lt_u32_e32 39, v0
	s_cbranch_execz .LBB109_211
; %bb.210:
	scratch_load_b128 v[5:8], off, s19
	v_dual_mov_b32 v2, v1 :: v_dual_mov_b32 v3, v1
	v_mov_b32_e32 v4, v1
	scratch_store_b128 off, v[1:4], off offset:640
	s_wait_loadcnt 0x0
	ds_store_b128 v138, v[5:8]
.LBB109_211:
	s_wait_alu 0xfffe
	s_or_b32 exec_lo, exec_lo, s0
	s_wait_storecnt_dscnt 0x0
	s_barrier_signal -1
	s_barrier_wait -1
	global_inv scope:SCOPE_SE
	s_clause 0x5
	scratch_load_b128 v[2:5], off, off offset:656
	scratch_load_b128 v[6:9], off, off offset:672
	;; [unrolled: 1-line block ×6, first 2 shown]
	ds_load_b128 v[26:29], v1 offset:1376
	ds_load_b128 v[34:37], v1 offset:1392
	scratch_load_b128 v[30:33], off, off offset:640
	s_mov_b32 s0, exec_lo
	s_wait_loadcnt_dscnt 0x601
	v_mul_f64_e32 v[38:39], v[28:29], v[4:5]
	v_mul_f64_e32 v[4:5], v[26:27], v[4:5]
	s_wait_loadcnt_dscnt 0x500
	v_mul_f64_e32 v[40:41], v[34:35], v[8:9]
	v_mul_f64_e32 v[8:9], v[36:37], v[8:9]
	s_delay_alu instid0(VALU_DEP_4) | instskip(NEXT) | instid1(VALU_DEP_4)
	v_fma_f64 v[38:39], v[26:27], v[2:3], -v[38:39]
	v_fma_f64 v[42:43], v[28:29], v[2:3], v[4:5]
	ds_load_b128 v[2:5], v1 offset:1408
	ds_load_b128 v[26:29], v1 offset:1424
	v_fma_f64 v[36:37], v[36:37], v[6:7], v[40:41]
	v_fma_f64 v[6:7], v[34:35], v[6:7], -v[8:9]
	s_wait_loadcnt_dscnt 0x401
	v_mul_f64_e32 v[44:45], v[2:3], v[12:13]
	v_mul_f64_e32 v[12:13], v[4:5], v[12:13]
	v_add_f64_e32 v[8:9], 0, v[38:39]
	v_add_f64_e32 v[34:35], 0, v[42:43]
	s_wait_loadcnt_dscnt 0x300
	v_mul_f64_e32 v[38:39], v[26:27], v[16:17]
	v_mul_f64_e32 v[16:17], v[28:29], v[16:17]
	v_fma_f64 v[40:41], v[4:5], v[10:11], v[44:45]
	v_fma_f64 v[10:11], v[2:3], v[10:11], -v[12:13]
	v_add_f64_e32 v[12:13], v[8:9], v[6:7]
	v_add_f64_e32 v[34:35], v[34:35], v[36:37]
	ds_load_b128 v[2:5], v1 offset:1440
	ds_load_b128 v[6:9], v1 offset:1456
	v_fma_f64 v[28:29], v[28:29], v[14:15], v[38:39]
	v_fma_f64 v[14:15], v[26:27], v[14:15], -v[16:17]
	s_wait_loadcnt_dscnt 0x201
	v_mul_f64_e32 v[36:37], v[2:3], v[20:21]
	v_mul_f64_e32 v[20:21], v[4:5], v[20:21]
	s_wait_loadcnt_dscnt 0x100
	v_mul_f64_e32 v[16:17], v[6:7], v[24:25]
	v_mul_f64_e32 v[24:25], v[8:9], v[24:25]
	v_add_f64_e32 v[10:11], v[12:13], v[10:11]
	v_add_f64_e32 v[12:13], v[34:35], v[40:41]
	v_fma_f64 v[4:5], v[4:5], v[18:19], v[36:37]
	v_fma_f64 v[1:2], v[2:3], v[18:19], -v[20:21]
	v_fma_f64 v[8:9], v[8:9], v[22:23], v[16:17]
	v_fma_f64 v[6:7], v[6:7], v[22:23], -v[24:25]
	v_add_f64_e32 v[10:11], v[10:11], v[14:15]
	v_add_f64_e32 v[12:13], v[12:13], v[28:29]
	s_delay_alu instid0(VALU_DEP_2) | instskip(NEXT) | instid1(VALU_DEP_2)
	v_add_f64_e32 v[1:2], v[10:11], v[1:2]
	v_add_f64_e32 v[3:4], v[12:13], v[4:5]
	s_delay_alu instid0(VALU_DEP_2) | instskip(NEXT) | instid1(VALU_DEP_2)
	v_add_f64_e32 v[1:2], v[1:2], v[6:7]
	v_add_f64_e32 v[3:4], v[3:4], v[8:9]
	s_wait_loadcnt 0x0
	s_delay_alu instid0(VALU_DEP_2) | instskip(NEXT) | instid1(VALU_DEP_2)
	v_add_f64_e64 v[1:2], v[30:31], -v[1:2]
	v_add_f64_e64 v[3:4], v[32:33], -v[3:4]
	scratch_store_b128 off, v[1:4], off offset:640
	v_cmpx_lt_u32_e32 38, v0
	s_cbranch_execz .LBB109_213
; %bb.212:
	scratch_load_b128 v[1:4], off, s20
	v_mov_b32_e32 v5, 0
	s_delay_alu instid0(VALU_DEP_1)
	v_dual_mov_b32 v6, v5 :: v_dual_mov_b32 v7, v5
	v_mov_b32_e32 v8, v5
	scratch_store_b128 off, v[5:8], off offset:624
	s_wait_loadcnt 0x0
	ds_store_b128 v138, v[1:4]
.LBB109_213:
	s_wait_alu 0xfffe
	s_or_b32 exec_lo, exec_lo, s0
	s_wait_storecnt_dscnt 0x0
	s_barrier_signal -1
	s_barrier_wait -1
	global_inv scope:SCOPE_SE
	s_clause 0x6
	scratch_load_b128 v[2:5], off, off offset:640
	scratch_load_b128 v[6:9], off, off offset:656
	;; [unrolled: 1-line block ×7, first 2 shown]
	v_mov_b32_e32 v1, 0
	scratch_load_b128 v[38:41], off, off offset:624
	s_mov_b32 s0, exec_lo
	ds_load_b128 v[30:33], v1 offset:1360
	ds_load_b128 v[34:37], v1 offset:1376
	s_wait_loadcnt_dscnt 0x701
	v_mul_f64_e32 v[42:43], v[32:33], v[4:5]
	v_mul_f64_e32 v[4:5], v[30:31], v[4:5]
	s_wait_loadcnt_dscnt 0x600
	v_mul_f64_e32 v[44:45], v[34:35], v[8:9]
	v_mul_f64_e32 v[8:9], v[36:37], v[8:9]
	s_delay_alu instid0(VALU_DEP_4) | instskip(NEXT) | instid1(VALU_DEP_4)
	v_fma_f64 v[30:31], v[30:31], v[2:3], -v[42:43]
	v_fma_f64 v[32:33], v[32:33], v[2:3], v[4:5]
	ds_load_b128 v[2:5], v1 offset:1392
	v_fma_f64 v[36:37], v[36:37], v[6:7], v[44:45]
	v_fma_f64 v[34:35], v[34:35], v[6:7], -v[8:9]
	ds_load_b128 v[6:9], v1 offset:1408
	s_wait_loadcnt_dscnt 0x501
	v_mul_f64_e32 v[42:43], v[2:3], v[12:13]
	v_mul_f64_e32 v[12:13], v[4:5], v[12:13]
	s_wait_loadcnt_dscnt 0x400
	v_mul_f64_e32 v[44:45], v[6:7], v[16:17]
	v_mul_f64_e32 v[16:17], v[8:9], v[16:17]
	v_add_f64_e32 v[30:31], 0, v[30:31]
	v_add_f64_e32 v[32:33], 0, v[32:33]
	v_fma_f64 v[42:43], v[4:5], v[10:11], v[42:43]
	v_fma_f64 v[10:11], v[2:3], v[10:11], -v[12:13]
	ds_load_b128 v[2:5], v1 offset:1424
	v_add_f64_e32 v[12:13], v[30:31], v[34:35]
	v_add_f64_e32 v[30:31], v[32:33], v[36:37]
	v_fma_f64 v[34:35], v[8:9], v[14:15], v[44:45]
	v_fma_f64 v[14:15], v[6:7], v[14:15], -v[16:17]
	ds_load_b128 v[6:9], v1 offset:1440
	s_wait_loadcnt_dscnt 0x301
	v_mul_f64_e32 v[32:33], v[2:3], v[20:21]
	v_mul_f64_e32 v[20:21], v[4:5], v[20:21]
	s_wait_loadcnt_dscnt 0x200
	v_mul_f64_e32 v[16:17], v[6:7], v[24:25]
	v_mul_f64_e32 v[24:25], v[8:9], v[24:25]
	v_add_f64_e32 v[10:11], v[12:13], v[10:11]
	v_add_f64_e32 v[12:13], v[30:31], v[42:43]
	v_fma_f64 v[30:31], v[4:5], v[18:19], v[32:33]
	v_fma_f64 v[18:19], v[2:3], v[18:19], -v[20:21]
	ds_load_b128 v[2:5], v1 offset:1456
	v_fma_f64 v[8:9], v[8:9], v[22:23], v[16:17]
	v_fma_f64 v[6:7], v[6:7], v[22:23], -v[24:25]
	s_wait_loadcnt_dscnt 0x100
	v_mul_f64_e32 v[20:21], v[4:5], v[28:29]
	v_add_f64_e32 v[10:11], v[10:11], v[14:15]
	v_add_f64_e32 v[12:13], v[12:13], v[34:35]
	v_mul_f64_e32 v[14:15], v[2:3], v[28:29]
	s_delay_alu instid0(VALU_DEP_4) | instskip(NEXT) | instid1(VALU_DEP_4)
	v_fma_f64 v[2:3], v[2:3], v[26:27], -v[20:21]
	v_add_f64_e32 v[10:11], v[10:11], v[18:19]
	s_delay_alu instid0(VALU_DEP_4) | instskip(NEXT) | instid1(VALU_DEP_4)
	v_add_f64_e32 v[12:13], v[12:13], v[30:31]
	v_fma_f64 v[4:5], v[4:5], v[26:27], v[14:15]
	s_delay_alu instid0(VALU_DEP_3) | instskip(NEXT) | instid1(VALU_DEP_3)
	v_add_f64_e32 v[6:7], v[10:11], v[6:7]
	v_add_f64_e32 v[8:9], v[12:13], v[8:9]
	s_delay_alu instid0(VALU_DEP_2) | instskip(NEXT) | instid1(VALU_DEP_2)
	v_add_f64_e32 v[2:3], v[6:7], v[2:3]
	v_add_f64_e32 v[4:5], v[8:9], v[4:5]
	s_wait_loadcnt 0x0
	s_delay_alu instid0(VALU_DEP_2) | instskip(NEXT) | instid1(VALU_DEP_2)
	v_add_f64_e64 v[2:3], v[38:39], -v[2:3]
	v_add_f64_e64 v[4:5], v[40:41], -v[4:5]
	scratch_store_b128 off, v[2:5], off offset:624
	v_cmpx_lt_u32_e32 37, v0
	s_cbranch_execz .LBB109_215
; %bb.214:
	scratch_load_b128 v[5:8], off, s21
	v_dual_mov_b32 v2, v1 :: v_dual_mov_b32 v3, v1
	v_mov_b32_e32 v4, v1
	scratch_store_b128 off, v[1:4], off offset:608
	s_wait_loadcnt 0x0
	ds_store_b128 v138, v[5:8]
.LBB109_215:
	s_wait_alu 0xfffe
	s_or_b32 exec_lo, exec_lo, s0
	s_wait_storecnt_dscnt 0x0
	s_barrier_signal -1
	s_barrier_wait -1
	global_inv scope:SCOPE_SE
	s_clause 0x7
	scratch_load_b128 v[2:5], off, off offset:624
	scratch_load_b128 v[6:9], off, off offset:640
	;; [unrolled: 1-line block ×8, first 2 shown]
	ds_load_b128 v[34:37], v1 offset:1344
	ds_load_b128 v[38:41], v1 offset:1360
	s_mov_b32 s0, exec_lo
	s_wait_loadcnt_dscnt 0x701
	v_mul_f64_e32 v[42:43], v[36:37], v[4:5]
	v_mul_f64_e32 v[4:5], v[34:35], v[4:5]
	s_wait_loadcnt_dscnt 0x600
	v_mul_f64_e32 v[44:45], v[38:39], v[8:9]
	v_mul_f64_e32 v[8:9], v[40:41], v[8:9]
	s_delay_alu instid0(VALU_DEP_4) | instskip(NEXT) | instid1(VALU_DEP_4)
	v_fma_f64 v[42:43], v[34:35], v[2:3], -v[42:43]
	v_fma_f64 v[139:140], v[36:37], v[2:3], v[4:5]
	ds_load_b128 v[2:5], v1 offset:1376
	scratch_load_b128 v[34:37], off, off offset:608
	v_fma_f64 v[40:41], v[40:41], v[6:7], v[44:45]
	v_fma_f64 v[38:39], v[38:39], v[6:7], -v[8:9]
	ds_load_b128 v[6:9], v1 offset:1392
	s_wait_loadcnt_dscnt 0x601
	v_mul_f64_e32 v[141:142], v[2:3], v[12:13]
	v_mul_f64_e32 v[12:13], v[4:5], v[12:13]
	v_add_f64_e32 v[42:43], 0, v[42:43]
	v_add_f64_e32 v[44:45], 0, v[139:140]
	s_wait_loadcnt_dscnt 0x500
	v_mul_f64_e32 v[139:140], v[6:7], v[16:17]
	v_mul_f64_e32 v[16:17], v[8:9], v[16:17]
	v_fma_f64 v[141:142], v[4:5], v[10:11], v[141:142]
	v_fma_f64 v[10:11], v[2:3], v[10:11], -v[12:13]
	ds_load_b128 v[2:5], v1 offset:1408
	v_add_f64_e32 v[12:13], v[42:43], v[38:39]
	v_add_f64_e32 v[38:39], v[44:45], v[40:41]
	v_fma_f64 v[42:43], v[8:9], v[14:15], v[139:140]
	v_fma_f64 v[14:15], v[6:7], v[14:15], -v[16:17]
	ds_load_b128 v[6:9], v1 offset:1424
	s_wait_loadcnt_dscnt 0x401
	v_mul_f64_e32 v[40:41], v[2:3], v[20:21]
	v_mul_f64_e32 v[20:21], v[4:5], v[20:21]
	s_wait_loadcnt_dscnt 0x300
	v_mul_f64_e32 v[16:17], v[6:7], v[24:25]
	v_mul_f64_e32 v[24:25], v[8:9], v[24:25]
	v_add_f64_e32 v[10:11], v[12:13], v[10:11]
	v_add_f64_e32 v[12:13], v[38:39], v[141:142]
	v_fma_f64 v[38:39], v[4:5], v[18:19], v[40:41]
	v_fma_f64 v[18:19], v[2:3], v[18:19], -v[20:21]
	ds_load_b128 v[2:5], v1 offset:1440
	v_fma_f64 v[16:17], v[8:9], v[22:23], v[16:17]
	v_fma_f64 v[22:23], v[6:7], v[22:23], -v[24:25]
	ds_load_b128 v[6:9], v1 offset:1456
	s_wait_loadcnt_dscnt 0x201
	v_mul_f64_e32 v[20:21], v[4:5], v[28:29]
	v_add_f64_e32 v[10:11], v[10:11], v[14:15]
	v_add_f64_e32 v[12:13], v[12:13], v[42:43]
	v_mul_f64_e32 v[14:15], v[2:3], v[28:29]
	s_wait_loadcnt_dscnt 0x100
	v_mul_f64_e32 v[24:25], v[8:9], v[32:33]
	v_fma_f64 v[1:2], v[2:3], v[26:27], -v[20:21]
	v_add_f64_e32 v[10:11], v[10:11], v[18:19]
	v_add_f64_e32 v[12:13], v[12:13], v[38:39]
	v_mul_f64_e32 v[18:19], v[6:7], v[32:33]
	v_fma_f64 v[4:5], v[4:5], v[26:27], v[14:15]
	v_fma_f64 v[6:7], v[6:7], v[30:31], -v[24:25]
	v_add_f64_e32 v[10:11], v[10:11], v[22:23]
	v_add_f64_e32 v[12:13], v[12:13], v[16:17]
	v_fma_f64 v[8:9], v[8:9], v[30:31], v[18:19]
	s_delay_alu instid0(VALU_DEP_3) | instskip(NEXT) | instid1(VALU_DEP_3)
	v_add_f64_e32 v[1:2], v[10:11], v[1:2]
	v_add_f64_e32 v[3:4], v[12:13], v[4:5]
	s_delay_alu instid0(VALU_DEP_2) | instskip(NEXT) | instid1(VALU_DEP_2)
	v_add_f64_e32 v[1:2], v[1:2], v[6:7]
	v_add_f64_e32 v[3:4], v[3:4], v[8:9]
	s_wait_loadcnt 0x0
	s_delay_alu instid0(VALU_DEP_2) | instskip(NEXT) | instid1(VALU_DEP_2)
	v_add_f64_e64 v[1:2], v[34:35], -v[1:2]
	v_add_f64_e64 v[3:4], v[36:37], -v[3:4]
	scratch_store_b128 off, v[1:4], off offset:608
	v_cmpx_lt_u32_e32 36, v0
	s_cbranch_execz .LBB109_217
; %bb.216:
	scratch_load_b128 v[1:4], off, s22
	v_mov_b32_e32 v5, 0
	s_delay_alu instid0(VALU_DEP_1)
	v_dual_mov_b32 v6, v5 :: v_dual_mov_b32 v7, v5
	v_mov_b32_e32 v8, v5
	scratch_store_b128 off, v[5:8], off offset:592
	s_wait_loadcnt 0x0
	ds_store_b128 v138, v[1:4]
.LBB109_217:
	s_wait_alu 0xfffe
	s_or_b32 exec_lo, exec_lo, s0
	s_wait_storecnt_dscnt 0x0
	s_barrier_signal -1
	s_barrier_wait -1
	global_inv scope:SCOPE_SE
	s_clause 0x7
	scratch_load_b128 v[2:5], off, off offset:608
	scratch_load_b128 v[6:9], off, off offset:624
	;; [unrolled: 1-line block ×8, first 2 shown]
	v_mov_b32_e32 v1, 0
	s_mov_b32 s0, exec_lo
	ds_load_b128 v[34:37], v1 offset:1328
	s_clause 0x1
	scratch_load_b128 v[38:41], off, off offset:736
	scratch_load_b128 v[42:45], off, off offset:592
	ds_load_b128 v[139:142], v1 offset:1344
	s_wait_loadcnt_dscnt 0x901
	v_mul_f64_e32 v[143:144], v[36:37], v[4:5]
	v_mul_f64_e32 v[4:5], v[34:35], v[4:5]
	s_wait_loadcnt_dscnt 0x800
	v_mul_f64_e32 v[145:146], v[139:140], v[8:9]
	v_mul_f64_e32 v[8:9], v[141:142], v[8:9]
	s_delay_alu instid0(VALU_DEP_4) | instskip(NEXT) | instid1(VALU_DEP_4)
	v_fma_f64 v[143:144], v[34:35], v[2:3], -v[143:144]
	v_fma_f64 v[147:148], v[36:37], v[2:3], v[4:5]
	ds_load_b128 v[2:5], v1 offset:1360
	ds_load_b128 v[34:37], v1 offset:1376
	v_fma_f64 v[141:142], v[141:142], v[6:7], v[145:146]
	v_fma_f64 v[6:7], v[139:140], v[6:7], -v[8:9]
	s_wait_loadcnt_dscnt 0x701
	v_mul_f64_e32 v[149:150], v[2:3], v[12:13]
	v_mul_f64_e32 v[12:13], v[4:5], v[12:13]
	v_add_f64_e32 v[8:9], 0, v[143:144]
	v_add_f64_e32 v[139:140], 0, v[147:148]
	s_wait_loadcnt_dscnt 0x600
	v_mul_f64_e32 v[143:144], v[34:35], v[16:17]
	v_mul_f64_e32 v[16:17], v[36:37], v[16:17]
	v_fma_f64 v[145:146], v[4:5], v[10:11], v[149:150]
	v_fma_f64 v[10:11], v[2:3], v[10:11], -v[12:13]
	v_add_f64_e32 v[12:13], v[8:9], v[6:7]
	v_add_f64_e32 v[139:140], v[139:140], v[141:142]
	ds_load_b128 v[2:5], v1 offset:1392
	ds_load_b128 v[6:9], v1 offset:1408
	v_fma_f64 v[36:37], v[36:37], v[14:15], v[143:144]
	v_fma_f64 v[14:15], v[34:35], v[14:15], -v[16:17]
	s_wait_loadcnt_dscnt 0x501
	v_mul_f64_e32 v[141:142], v[2:3], v[20:21]
	v_mul_f64_e32 v[20:21], v[4:5], v[20:21]
	s_wait_loadcnt_dscnt 0x400
	v_mul_f64_e32 v[16:17], v[6:7], v[24:25]
	v_mul_f64_e32 v[24:25], v[8:9], v[24:25]
	v_add_f64_e32 v[10:11], v[12:13], v[10:11]
	v_add_f64_e32 v[12:13], v[139:140], v[145:146]
	v_fma_f64 v[34:35], v[4:5], v[18:19], v[141:142]
	v_fma_f64 v[18:19], v[2:3], v[18:19], -v[20:21]
	v_fma_f64 v[8:9], v[8:9], v[22:23], v[16:17]
	v_fma_f64 v[6:7], v[6:7], v[22:23], -v[24:25]
	v_add_f64_e32 v[14:15], v[10:11], v[14:15]
	v_add_f64_e32 v[20:21], v[12:13], v[36:37]
	ds_load_b128 v[2:5], v1 offset:1424
	ds_load_b128 v[10:13], v1 offset:1440
	s_wait_loadcnt_dscnt 0x301
	v_mul_f64_e32 v[36:37], v[2:3], v[28:29]
	v_mul_f64_e32 v[28:29], v[4:5], v[28:29]
	v_add_f64_e32 v[14:15], v[14:15], v[18:19]
	v_add_f64_e32 v[16:17], v[20:21], v[34:35]
	s_wait_loadcnt_dscnt 0x200
	v_mul_f64_e32 v[18:19], v[10:11], v[32:33]
	v_mul_f64_e32 v[20:21], v[12:13], v[32:33]
	v_fma_f64 v[22:23], v[4:5], v[26:27], v[36:37]
	v_fma_f64 v[24:25], v[2:3], v[26:27], -v[28:29]
	ds_load_b128 v[2:5], v1 offset:1456
	v_add_f64_e32 v[6:7], v[14:15], v[6:7]
	v_add_f64_e32 v[8:9], v[16:17], v[8:9]
	v_fma_f64 v[12:13], v[12:13], v[30:31], v[18:19]
	v_fma_f64 v[10:11], v[10:11], v[30:31], -v[20:21]
	s_wait_loadcnt_dscnt 0x100
	v_mul_f64_e32 v[14:15], v[2:3], v[40:41]
	v_mul_f64_e32 v[16:17], v[4:5], v[40:41]
	v_add_f64_e32 v[6:7], v[6:7], v[24:25]
	v_add_f64_e32 v[8:9], v[8:9], v[22:23]
	s_delay_alu instid0(VALU_DEP_4) | instskip(NEXT) | instid1(VALU_DEP_4)
	v_fma_f64 v[4:5], v[4:5], v[38:39], v[14:15]
	v_fma_f64 v[2:3], v[2:3], v[38:39], -v[16:17]
	s_delay_alu instid0(VALU_DEP_4) | instskip(NEXT) | instid1(VALU_DEP_4)
	v_add_f64_e32 v[6:7], v[6:7], v[10:11]
	v_add_f64_e32 v[8:9], v[8:9], v[12:13]
	s_delay_alu instid0(VALU_DEP_2) | instskip(NEXT) | instid1(VALU_DEP_2)
	v_add_f64_e32 v[2:3], v[6:7], v[2:3]
	v_add_f64_e32 v[4:5], v[8:9], v[4:5]
	s_wait_loadcnt 0x0
	s_delay_alu instid0(VALU_DEP_2) | instskip(NEXT) | instid1(VALU_DEP_2)
	v_add_f64_e64 v[2:3], v[42:43], -v[2:3]
	v_add_f64_e64 v[4:5], v[44:45], -v[4:5]
	scratch_store_b128 off, v[2:5], off offset:592
	v_cmpx_lt_u32_e32 35, v0
	s_cbranch_execz .LBB109_219
; %bb.218:
	scratch_load_b128 v[5:8], off, s23
	v_dual_mov_b32 v2, v1 :: v_dual_mov_b32 v3, v1
	v_mov_b32_e32 v4, v1
	scratch_store_b128 off, v[1:4], off offset:576
	s_wait_loadcnt 0x0
	ds_store_b128 v138, v[5:8]
.LBB109_219:
	s_wait_alu 0xfffe
	s_or_b32 exec_lo, exec_lo, s0
	s_wait_storecnt_dscnt 0x0
	s_barrier_signal -1
	s_barrier_wait -1
	global_inv scope:SCOPE_SE
	s_clause 0x8
	scratch_load_b128 v[2:5], off, off offset:592
	scratch_load_b128 v[6:9], off, off offset:608
	scratch_load_b128 v[10:13], off, off offset:624
	scratch_load_b128 v[14:17], off, off offset:640
	scratch_load_b128 v[18:21], off, off offset:656
	scratch_load_b128 v[22:25], off, off offset:672
	scratch_load_b128 v[26:29], off, off offset:688
	scratch_load_b128 v[30:33], off, off offset:704
	scratch_load_b128 v[34:37], off, off offset:720
	ds_load_b128 v[38:41], v1 offset:1312
	ds_load_b128 v[42:45], v1 offset:1328
	s_clause 0x1
	scratch_load_b128 v[139:142], off, off offset:576
	scratch_load_b128 v[143:146], off, off offset:736
	s_mov_b32 s0, exec_lo
	s_wait_loadcnt_dscnt 0xa01
	v_mul_f64_e32 v[147:148], v[40:41], v[4:5]
	v_mul_f64_e32 v[4:5], v[38:39], v[4:5]
	s_wait_loadcnt_dscnt 0x900
	v_mul_f64_e32 v[149:150], v[42:43], v[8:9]
	v_mul_f64_e32 v[8:9], v[44:45], v[8:9]
	s_delay_alu instid0(VALU_DEP_4) | instskip(NEXT) | instid1(VALU_DEP_4)
	v_fma_f64 v[147:148], v[38:39], v[2:3], -v[147:148]
	v_fma_f64 v[151:152], v[40:41], v[2:3], v[4:5]
	ds_load_b128 v[2:5], v1 offset:1344
	ds_load_b128 v[38:41], v1 offset:1360
	v_fma_f64 v[44:45], v[44:45], v[6:7], v[149:150]
	v_fma_f64 v[6:7], v[42:43], v[6:7], -v[8:9]
	s_wait_loadcnt_dscnt 0x801
	v_mul_f64_e32 v[153:154], v[2:3], v[12:13]
	v_mul_f64_e32 v[12:13], v[4:5], v[12:13]
	v_add_f64_e32 v[8:9], 0, v[147:148]
	v_add_f64_e32 v[42:43], 0, v[151:152]
	s_wait_loadcnt_dscnt 0x700
	v_mul_f64_e32 v[147:148], v[38:39], v[16:17]
	v_mul_f64_e32 v[16:17], v[40:41], v[16:17]
	v_fma_f64 v[149:150], v[4:5], v[10:11], v[153:154]
	v_fma_f64 v[10:11], v[2:3], v[10:11], -v[12:13]
	v_add_f64_e32 v[12:13], v[8:9], v[6:7]
	v_add_f64_e32 v[42:43], v[42:43], v[44:45]
	ds_load_b128 v[2:5], v1 offset:1376
	ds_load_b128 v[6:9], v1 offset:1392
	v_fma_f64 v[40:41], v[40:41], v[14:15], v[147:148]
	v_fma_f64 v[14:15], v[38:39], v[14:15], -v[16:17]
	s_wait_loadcnt_dscnt 0x601
	v_mul_f64_e32 v[44:45], v[2:3], v[20:21]
	v_mul_f64_e32 v[20:21], v[4:5], v[20:21]
	s_wait_loadcnt_dscnt 0x500
	v_mul_f64_e32 v[16:17], v[6:7], v[24:25]
	v_mul_f64_e32 v[24:25], v[8:9], v[24:25]
	v_add_f64_e32 v[10:11], v[12:13], v[10:11]
	v_add_f64_e32 v[12:13], v[42:43], v[149:150]
	v_fma_f64 v[38:39], v[4:5], v[18:19], v[44:45]
	v_fma_f64 v[18:19], v[2:3], v[18:19], -v[20:21]
	v_fma_f64 v[8:9], v[8:9], v[22:23], v[16:17]
	v_fma_f64 v[6:7], v[6:7], v[22:23], -v[24:25]
	v_add_f64_e32 v[14:15], v[10:11], v[14:15]
	v_add_f64_e32 v[20:21], v[12:13], v[40:41]
	ds_load_b128 v[2:5], v1 offset:1408
	ds_load_b128 v[10:13], v1 offset:1424
	s_wait_loadcnt_dscnt 0x401
	v_mul_f64_e32 v[40:41], v[2:3], v[28:29]
	v_mul_f64_e32 v[28:29], v[4:5], v[28:29]
	v_add_f64_e32 v[14:15], v[14:15], v[18:19]
	v_add_f64_e32 v[16:17], v[20:21], v[38:39]
	s_wait_loadcnt_dscnt 0x300
	v_mul_f64_e32 v[18:19], v[10:11], v[32:33]
	v_mul_f64_e32 v[20:21], v[12:13], v[32:33]
	v_fma_f64 v[22:23], v[4:5], v[26:27], v[40:41]
	v_fma_f64 v[24:25], v[2:3], v[26:27], -v[28:29]
	v_add_f64_e32 v[14:15], v[14:15], v[6:7]
	v_add_f64_e32 v[16:17], v[16:17], v[8:9]
	ds_load_b128 v[2:5], v1 offset:1440
	ds_load_b128 v[6:9], v1 offset:1456
	v_fma_f64 v[12:13], v[12:13], v[30:31], v[18:19]
	v_fma_f64 v[10:11], v[10:11], v[30:31], -v[20:21]
	s_wait_loadcnt_dscnt 0x201
	v_mul_f64_e32 v[26:27], v[2:3], v[36:37]
	v_mul_f64_e32 v[28:29], v[4:5], v[36:37]
	s_wait_loadcnt_dscnt 0x0
	v_mul_f64_e32 v[18:19], v[6:7], v[145:146]
	v_mul_f64_e32 v[20:21], v[8:9], v[145:146]
	v_add_f64_e32 v[14:15], v[14:15], v[24:25]
	v_add_f64_e32 v[16:17], v[16:17], v[22:23]
	v_fma_f64 v[4:5], v[4:5], v[34:35], v[26:27]
	v_fma_f64 v[1:2], v[2:3], v[34:35], -v[28:29]
	v_fma_f64 v[8:9], v[8:9], v[143:144], v[18:19]
	v_fma_f64 v[6:7], v[6:7], v[143:144], -v[20:21]
	v_add_f64_e32 v[10:11], v[14:15], v[10:11]
	v_add_f64_e32 v[12:13], v[16:17], v[12:13]
	s_delay_alu instid0(VALU_DEP_2) | instskip(NEXT) | instid1(VALU_DEP_2)
	v_add_f64_e32 v[1:2], v[10:11], v[1:2]
	v_add_f64_e32 v[3:4], v[12:13], v[4:5]
	s_delay_alu instid0(VALU_DEP_2) | instskip(NEXT) | instid1(VALU_DEP_2)
	;; [unrolled: 3-line block ×3, first 2 shown]
	v_add_f64_e64 v[1:2], v[139:140], -v[1:2]
	v_add_f64_e64 v[3:4], v[141:142], -v[3:4]
	scratch_store_b128 off, v[1:4], off offset:576
	v_cmpx_lt_u32_e32 34, v0
	s_cbranch_execz .LBB109_221
; %bb.220:
	scratch_load_b128 v[1:4], off, s24
	v_mov_b32_e32 v5, 0
	s_delay_alu instid0(VALU_DEP_1)
	v_dual_mov_b32 v6, v5 :: v_dual_mov_b32 v7, v5
	v_mov_b32_e32 v8, v5
	scratch_store_b128 off, v[5:8], off offset:560
	s_wait_loadcnt 0x0
	ds_store_b128 v138, v[1:4]
.LBB109_221:
	s_wait_alu 0xfffe
	s_or_b32 exec_lo, exec_lo, s0
	s_wait_storecnt_dscnt 0x0
	s_barrier_signal -1
	s_barrier_wait -1
	global_inv scope:SCOPE_SE
	s_clause 0x7
	scratch_load_b128 v[2:5], off, off offset:576
	scratch_load_b128 v[6:9], off, off offset:592
	;; [unrolled: 1-line block ×8, first 2 shown]
	v_mov_b32_e32 v1, 0
	s_mov_b32 s0, exec_lo
	ds_load_b128 v[34:37], v1 offset:1296
	s_clause 0x1
	scratch_load_b128 v[38:41], off, off offset:704
	scratch_load_b128 v[42:45], off, off offset:560
	ds_load_b128 v[139:142], v1 offset:1312
	scratch_load_b128 v[143:146], off, off offset:720
	s_wait_loadcnt_dscnt 0xa01
	v_mul_f64_e32 v[147:148], v[36:37], v[4:5]
	v_mul_f64_e32 v[4:5], v[34:35], v[4:5]
	s_delay_alu instid0(VALU_DEP_2) | instskip(NEXT) | instid1(VALU_DEP_2)
	v_fma_f64 v[153:154], v[34:35], v[2:3], -v[147:148]
	v_fma_f64 v[155:156], v[36:37], v[2:3], v[4:5]
	ds_load_b128 v[2:5], v1 offset:1328
	s_wait_loadcnt_dscnt 0x901
	v_mul_f64_e32 v[151:152], v[139:140], v[8:9]
	v_mul_f64_e32 v[8:9], v[141:142], v[8:9]
	scratch_load_b128 v[34:37], off, off offset:736
	ds_load_b128 v[147:150], v1 offset:1344
	s_wait_loadcnt_dscnt 0x901
	v_mul_f64_e32 v[157:158], v[2:3], v[12:13]
	v_mul_f64_e32 v[12:13], v[4:5], v[12:13]
	v_fma_f64 v[141:142], v[141:142], v[6:7], v[151:152]
	v_fma_f64 v[6:7], v[139:140], v[6:7], -v[8:9]
	v_add_f64_e32 v[8:9], 0, v[153:154]
	v_add_f64_e32 v[139:140], 0, v[155:156]
	s_wait_loadcnt_dscnt 0x800
	v_mul_f64_e32 v[151:152], v[147:148], v[16:17]
	v_mul_f64_e32 v[16:17], v[149:150], v[16:17]
	v_fma_f64 v[153:154], v[4:5], v[10:11], v[157:158]
	v_fma_f64 v[10:11], v[2:3], v[10:11], -v[12:13]
	v_add_f64_e32 v[12:13], v[8:9], v[6:7]
	v_add_f64_e32 v[139:140], v[139:140], v[141:142]
	ds_load_b128 v[2:5], v1 offset:1360
	ds_load_b128 v[6:9], v1 offset:1376
	v_fma_f64 v[149:150], v[149:150], v[14:15], v[151:152]
	v_fma_f64 v[14:15], v[147:148], v[14:15], -v[16:17]
	s_wait_loadcnt_dscnt 0x701
	v_mul_f64_e32 v[141:142], v[2:3], v[20:21]
	v_mul_f64_e32 v[20:21], v[4:5], v[20:21]
	s_wait_loadcnt_dscnt 0x600
	v_mul_f64_e32 v[16:17], v[6:7], v[24:25]
	v_mul_f64_e32 v[24:25], v[8:9], v[24:25]
	v_add_f64_e32 v[10:11], v[12:13], v[10:11]
	v_add_f64_e32 v[12:13], v[139:140], v[153:154]
	v_fma_f64 v[139:140], v[4:5], v[18:19], v[141:142]
	v_fma_f64 v[18:19], v[2:3], v[18:19], -v[20:21]
	v_fma_f64 v[8:9], v[8:9], v[22:23], v[16:17]
	v_fma_f64 v[6:7], v[6:7], v[22:23], -v[24:25]
	v_add_f64_e32 v[14:15], v[10:11], v[14:15]
	v_add_f64_e32 v[20:21], v[12:13], v[149:150]
	ds_load_b128 v[2:5], v1 offset:1392
	ds_load_b128 v[10:13], v1 offset:1408
	s_wait_loadcnt_dscnt 0x501
	v_mul_f64_e32 v[141:142], v[2:3], v[28:29]
	v_mul_f64_e32 v[28:29], v[4:5], v[28:29]
	v_add_f64_e32 v[14:15], v[14:15], v[18:19]
	v_add_f64_e32 v[16:17], v[20:21], v[139:140]
	s_wait_loadcnt_dscnt 0x400
	v_mul_f64_e32 v[18:19], v[10:11], v[32:33]
	v_mul_f64_e32 v[20:21], v[12:13], v[32:33]
	v_fma_f64 v[22:23], v[4:5], v[26:27], v[141:142]
	v_fma_f64 v[24:25], v[2:3], v[26:27], -v[28:29]
	v_add_f64_e32 v[14:15], v[14:15], v[6:7]
	v_add_f64_e32 v[16:17], v[16:17], v[8:9]
	ds_load_b128 v[2:5], v1 offset:1424
	ds_load_b128 v[6:9], v1 offset:1440
	v_fma_f64 v[12:13], v[12:13], v[30:31], v[18:19]
	v_fma_f64 v[10:11], v[10:11], v[30:31], -v[20:21]
	s_wait_loadcnt_dscnt 0x301
	v_mul_f64_e32 v[26:27], v[2:3], v[40:41]
	v_mul_f64_e32 v[28:29], v[4:5], v[40:41]
	s_wait_loadcnt_dscnt 0x100
	v_mul_f64_e32 v[18:19], v[6:7], v[145:146]
	v_mul_f64_e32 v[20:21], v[8:9], v[145:146]
	v_add_f64_e32 v[14:15], v[14:15], v[24:25]
	v_add_f64_e32 v[16:17], v[16:17], v[22:23]
	v_fma_f64 v[22:23], v[4:5], v[38:39], v[26:27]
	v_fma_f64 v[24:25], v[2:3], v[38:39], -v[28:29]
	ds_load_b128 v[2:5], v1 offset:1456
	v_fma_f64 v[8:9], v[8:9], v[143:144], v[18:19]
	v_fma_f64 v[6:7], v[6:7], v[143:144], -v[20:21]
	v_add_f64_e32 v[10:11], v[14:15], v[10:11]
	v_add_f64_e32 v[12:13], v[16:17], v[12:13]
	s_wait_loadcnt_dscnt 0x0
	v_mul_f64_e32 v[14:15], v[2:3], v[36:37]
	v_mul_f64_e32 v[16:17], v[4:5], v[36:37]
	s_delay_alu instid0(VALU_DEP_4) | instskip(NEXT) | instid1(VALU_DEP_4)
	v_add_f64_e32 v[10:11], v[10:11], v[24:25]
	v_add_f64_e32 v[12:13], v[12:13], v[22:23]
	s_delay_alu instid0(VALU_DEP_4) | instskip(NEXT) | instid1(VALU_DEP_4)
	v_fma_f64 v[4:5], v[4:5], v[34:35], v[14:15]
	v_fma_f64 v[2:3], v[2:3], v[34:35], -v[16:17]
	s_delay_alu instid0(VALU_DEP_4) | instskip(NEXT) | instid1(VALU_DEP_4)
	v_add_f64_e32 v[6:7], v[10:11], v[6:7]
	v_add_f64_e32 v[8:9], v[12:13], v[8:9]
	s_delay_alu instid0(VALU_DEP_2) | instskip(NEXT) | instid1(VALU_DEP_2)
	v_add_f64_e32 v[2:3], v[6:7], v[2:3]
	v_add_f64_e32 v[4:5], v[8:9], v[4:5]
	s_delay_alu instid0(VALU_DEP_2) | instskip(NEXT) | instid1(VALU_DEP_2)
	v_add_f64_e64 v[2:3], v[42:43], -v[2:3]
	v_add_f64_e64 v[4:5], v[44:45], -v[4:5]
	scratch_store_b128 off, v[2:5], off offset:560
	v_cmpx_lt_u32_e32 33, v0
	s_cbranch_execz .LBB109_223
; %bb.222:
	scratch_load_b128 v[5:8], off, s25
	v_dual_mov_b32 v2, v1 :: v_dual_mov_b32 v3, v1
	v_mov_b32_e32 v4, v1
	scratch_store_b128 off, v[1:4], off offset:544
	s_wait_loadcnt 0x0
	ds_store_b128 v138, v[5:8]
.LBB109_223:
	s_wait_alu 0xfffe
	s_or_b32 exec_lo, exec_lo, s0
	s_wait_storecnt_dscnt 0x0
	s_barrier_signal -1
	s_barrier_wait -1
	global_inv scope:SCOPE_SE
	s_clause 0x8
	scratch_load_b128 v[2:5], off, off offset:560
	scratch_load_b128 v[6:9], off, off offset:576
	;; [unrolled: 1-line block ×9, first 2 shown]
	ds_load_b128 v[38:41], v1 offset:1280
	ds_load_b128 v[42:45], v1 offset:1296
	s_clause 0x1
	scratch_load_b128 v[139:142], off, off offset:544
	scratch_load_b128 v[143:146], off, off offset:704
	s_mov_b32 s0, exec_lo
	s_wait_loadcnt_dscnt 0xa01
	v_mul_f64_e32 v[147:148], v[40:41], v[4:5]
	v_mul_f64_e32 v[4:5], v[38:39], v[4:5]
	s_wait_loadcnt_dscnt 0x900
	v_mul_f64_e32 v[151:152], v[42:43], v[8:9]
	v_mul_f64_e32 v[8:9], v[44:45], v[8:9]
	s_delay_alu instid0(VALU_DEP_4) | instskip(NEXT) | instid1(VALU_DEP_4)
	v_fma_f64 v[153:154], v[38:39], v[2:3], -v[147:148]
	v_fma_f64 v[155:156], v[40:41], v[2:3], v[4:5]
	ds_load_b128 v[2:5], v1 offset:1312
	ds_load_b128 v[147:150], v1 offset:1328
	scratch_load_b128 v[38:41], off, off offset:720
	v_fma_f64 v[44:45], v[44:45], v[6:7], v[151:152]
	v_fma_f64 v[42:43], v[42:43], v[6:7], -v[8:9]
	scratch_load_b128 v[6:9], off, off offset:736
	s_wait_loadcnt_dscnt 0xa01
	v_mul_f64_e32 v[157:158], v[2:3], v[12:13]
	v_mul_f64_e32 v[12:13], v[4:5], v[12:13]
	v_add_f64_e32 v[151:152], 0, v[153:154]
	v_add_f64_e32 v[153:154], 0, v[155:156]
	s_wait_loadcnt_dscnt 0x900
	v_mul_f64_e32 v[155:156], v[147:148], v[16:17]
	v_mul_f64_e32 v[16:17], v[149:150], v[16:17]
	v_fma_f64 v[157:158], v[4:5], v[10:11], v[157:158]
	v_fma_f64 v[159:160], v[2:3], v[10:11], -v[12:13]
	ds_load_b128 v[2:5], v1 offset:1344
	ds_load_b128 v[10:13], v1 offset:1360
	v_add_f64_e32 v[42:43], v[151:152], v[42:43]
	v_add_f64_e32 v[44:45], v[153:154], v[44:45]
	v_fma_f64 v[149:150], v[149:150], v[14:15], v[155:156]
	v_fma_f64 v[14:15], v[147:148], v[14:15], -v[16:17]
	s_wait_loadcnt_dscnt 0x801
	v_mul_f64_e32 v[151:152], v[2:3], v[20:21]
	v_mul_f64_e32 v[20:21], v[4:5], v[20:21]
	v_add_f64_e32 v[16:17], v[42:43], v[159:160]
	v_add_f64_e32 v[42:43], v[44:45], v[157:158]
	s_wait_loadcnt_dscnt 0x700
	v_mul_f64_e32 v[44:45], v[10:11], v[24:25]
	v_mul_f64_e32 v[24:25], v[12:13], v[24:25]
	v_fma_f64 v[147:148], v[4:5], v[18:19], v[151:152]
	v_fma_f64 v[18:19], v[2:3], v[18:19], -v[20:21]
	v_add_f64_e32 v[20:21], v[16:17], v[14:15]
	v_add_f64_e32 v[42:43], v[42:43], v[149:150]
	ds_load_b128 v[2:5], v1 offset:1376
	ds_load_b128 v[14:17], v1 offset:1392
	v_fma_f64 v[12:13], v[12:13], v[22:23], v[44:45]
	v_fma_f64 v[10:11], v[10:11], v[22:23], -v[24:25]
	s_wait_loadcnt_dscnt 0x601
	v_mul_f64_e32 v[149:150], v[2:3], v[28:29]
	v_mul_f64_e32 v[28:29], v[4:5], v[28:29]
	s_wait_loadcnt_dscnt 0x500
	v_mul_f64_e32 v[22:23], v[14:15], v[32:33]
	v_mul_f64_e32 v[24:25], v[16:17], v[32:33]
	v_add_f64_e32 v[18:19], v[20:21], v[18:19]
	v_add_f64_e32 v[20:21], v[42:43], v[147:148]
	v_fma_f64 v[32:33], v[4:5], v[26:27], v[149:150]
	v_fma_f64 v[26:27], v[2:3], v[26:27], -v[28:29]
	v_fma_f64 v[16:17], v[16:17], v[30:31], v[22:23]
	v_fma_f64 v[14:15], v[14:15], v[30:31], -v[24:25]
	v_add_f64_e32 v[18:19], v[18:19], v[10:11]
	v_add_f64_e32 v[20:21], v[20:21], v[12:13]
	ds_load_b128 v[2:5], v1 offset:1408
	ds_load_b128 v[10:13], v1 offset:1424
	s_wait_loadcnt_dscnt 0x401
	v_mul_f64_e32 v[28:29], v[2:3], v[36:37]
	v_mul_f64_e32 v[36:37], v[4:5], v[36:37]
	s_wait_loadcnt_dscnt 0x200
	v_mul_f64_e32 v[22:23], v[10:11], v[145:146]
	v_mul_f64_e32 v[24:25], v[12:13], v[145:146]
	v_add_f64_e32 v[18:19], v[18:19], v[26:27]
	v_add_f64_e32 v[20:21], v[20:21], v[32:33]
	v_fma_f64 v[26:27], v[4:5], v[34:35], v[28:29]
	v_fma_f64 v[28:29], v[2:3], v[34:35], -v[36:37]
	v_fma_f64 v[12:13], v[12:13], v[143:144], v[22:23]
	v_fma_f64 v[10:11], v[10:11], v[143:144], -v[24:25]
	v_add_f64_e32 v[18:19], v[18:19], v[14:15]
	v_add_f64_e32 v[20:21], v[20:21], v[16:17]
	ds_load_b128 v[2:5], v1 offset:1440
	ds_load_b128 v[14:17], v1 offset:1456
	s_wait_loadcnt_dscnt 0x101
	v_mul_f64_e32 v[30:31], v[2:3], v[40:41]
	v_mul_f64_e32 v[32:33], v[4:5], v[40:41]
	s_wait_loadcnt_dscnt 0x0
	v_mul_f64_e32 v[22:23], v[14:15], v[8:9]
	v_mul_f64_e32 v[8:9], v[16:17], v[8:9]
	v_add_f64_e32 v[18:19], v[18:19], v[28:29]
	v_add_f64_e32 v[20:21], v[20:21], v[26:27]
	v_fma_f64 v[4:5], v[4:5], v[38:39], v[30:31]
	v_fma_f64 v[1:2], v[2:3], v[38:39], -v[32:33]
	v_fma_f64 v[16:17], v[16:17], v[6:7], v[22:23]
	v_fma_f64 v[6:7], v[14:15], v[6:7], -v[8:9]
	v_add_f64_e32 v[10:11], v[18:19], v[10:11]
	v_add_f64_e32 v[12:13], v[20:21], v[12:13]
	s_delay_alu instid0(VALU_DEP_2) | instskip(NEXT) | instid1(VALU_DEP_2)
	v_add_f64_e32 v[1:2], v[10:11], v[1:2]
	v_add_f64_e32 v[3:4], v[12:13], v[4:5]
	s_delay_alu instid0(VALU_DEP_2) | instskip(NEXT) | instid1(VALU_DEP_2)
	;; [unrolled: 3-line block ×3, first 2 shown]
	v_add_f64_e64 v[1:2], v[139:140], -v[1:2]
	v_add_f64_e64 v[3:4], v[141:142], -v[3:4]
	scratch_store_b128 off, v[1:4], off offset:544
	v_cmpx_lt_u32_e32 32, v0
	s_cbranch_execz .LBB109_225
; %bb.224:
	scratch_load_b128 v[1:4], off, s26
	v_mov_b32_e32 v5, 0
	s_delay_alu instid0(VALU_DEP_1)
	v_dual_mov_b32 v6, v5 :: v_dual_mov_b32 v7, v5
	v_mov_b32_e32 v8, v5
	scratch_store_b128 off, v[5:8], off offset:528
	s_wait_loadcnt 0x0
	ds_store_b128 v138, v[1:4]
.LBB109_225:
	s_wait_alu 0xfffe
	s_or_b32 exec_lo, exec_lo, s0
	s_wait_storecnt_dscnt 0x0
	s_barrier_signal -1
	s_barrier_wait -1
	global_inv scope:SCOPE_SE
	s_clause 0x7
	scratch_load_b128 v[2:5], off, off offset:544
	scratch_load_b128 v[6:9], off, off offset:560
	;; [unrolled: 1-line block ×8, first 2 shown]
	v_mov_b32_e32 v1, 0
	s_mov_b32 s0, exec_lo
	ds_load_b128 v[34:37], v1 offset:1264
	s_clause 0x1
	scratch_load_b128 v[38:41], off, off offset:672
	scratch_load_b128 v[42:45], off, off offset:528
	ds_load_b128 v[139:142], v1 offset:1280
	scratch_load_b128 v[143:146], off, off offset:688
	s_wait_loadcnt_dscnt 0xa01
	v_mul_f64_e32 v[147:148], v[36:37], v[4:5]
	v_mul_f64_e32 v[4:5], v[34:35], v[4:5]
	s_delay_alu instid0(VALU_DEP_2) | instskip(NEXT) | instid1(VALU_DEP_2)
	v_fma_f64 v[153:154], v[34:35], v[2:3], -v[147:148]
	v_fma_f64 v[155:156], v[36:37], v[2:3], v[4:5]
	ds_load_b128 v[2:5], v1 offset:1296
	s_wait_loadcnt_dscnt 0x901
	v_mul_f64_e32 v[151:152], v[139:140], v[8:9]
	v_mul_f64_e32 v[8:9], v[141:142], v[8:9]
	scratch_load_b128 v[34:37], off, off offset:704
	ds_load_b128 v[147:150], v1 offset:1312
	s_wait_loadcnt_dscnt 0x901
	v_mul_f64_e32 v[157:158], v[2:3], v[12:13]
	v_mul_f64_e32 v[12:13], v[4:5], v[12:13]
	v_fma_f64 v[141:142], v[141:142], v[6:7], v[151:152]
	v_fma_f64 v[139:140], v[139:140], v[6:7], -v[8:9]
	v_add_f64_e32 v[151:152], 0, v[153:154]
	v_add_f64_e32 v[153:154], 0, v[155:156]
	scratch_load_b128 v[6:9], off, off offset:720
	v_fma_f64 v[157:158], v[4:5], v[10:11], v[157:158]
	v_fma_f64 v[159:160], v[2:3], v[10:11], -v[12:13]
	ds_load_b128 v[2:5], v1 offset:1328
	s_wait_loadcnt_dscnt 0x901
	v_mul_f64_e32 v[155:156], v[147:148], v[16:17]
	v_mul_f64_e32 v[16:17], v[149:150], v[16:17]
	scratch_load_b128 v[10:13], off, off offset:736
	v_add_f64_e32 v[151:152], v[151:152], v[139:140]
	v_add_f64_e32 v[153:154], v[153:154], v[141:142]
	s_wait_loadcnt_dscnt 0x900
	v_mul_f64_e32 v[161:162], v[2:3], v[20:21]
	v_mul_f64_e32 v[20:21], v[4:5], v[20:21]
	ds_load_b128 v[139:142], v1 offset:1344
	v_fma_f64 v[149:150], v[149:150], v[14:15], v[155:156]
	v_fma_f64 v[14:15], v[147:148], v[14:15], -v[16:17]
	v_add_f64_e32 v[16:17], v[151:152], v[159:160]
	v_add_f64_e32 v[147:148], v[153:154], v[157:158]
	s_wait_loadcnt_dscnt 0x800
	v_mul_f64_e32 v[151:152], v[139:140], v[24:25]
	v_mul_f64_e32 v[24:25], v[141:142], v[24:25]
	v_fma_f64 v[153:154], v[4:5], v[18:19], v[161:162]
	v_fma_f64 v[18:19], v[2:3], v[18:19], -v[20:21]
	v_add_f64_e32 v[20:21], v[16:17], v[14:15]
	v_add_f64_e32 v[147:148], v[147:148], v[149:150]
	ds_load_b128 v[2:5], v1 offset:1360
	ds_load_b128 v[14:17], v1 offset:1376
	v_fma_f64 v[141:142], v[141:142], v[22:23], v[151:152]
	v_fma_f64 v[22:23], v[139:140], v[22:23], -v[24:25]
	s_wait_loadcnt_dscnt 0x701
	v_mul_f64_e32 v[149:150], v[2:3], v[28:29]
	v_mul_f64_e32 v[28:29], v[4:5], v[28:29]
	s_wait_loadcnt_dscnt 0x600
	v_mul_f64_e32 v[24:25], v[14:15], v[32:33]
	v_mul_f64_e32 v[32:33], v[16:17], v[32:33]
	v_add_f64_e32 v[18:19], v[20:21], v[18:19]
	v_add_f64_e32 v[20:21], v[147:148], v[153:154]
	v_fma_f64 v[139:140], v[4:5], v[26:27], v[149:150]
	v_fma_f64 v[26:27], v[2:3], v[26:27], -v[28:29]
	v_fma_f64 v[16:17], v[16:17], v[30:31], v[24:25]
	v_fma_f64 v[14:15], v[14:15], v[30:31], -v[32:33]
	v_add_f64_e32 v[22:23], v[18:19], v[22:23]
	v_add_f64_e32 v[28:29], v[20:21], v[141:142]
	ds_load_b128 v[2:5], v1 offset:1392
	ds_load_b128 v[18:21], v1 offset:1408
	s_wait_loadcnt_dscnt 0x501
	v_mul_f64_e32 v[141:142], v[2:3], v[40:41]
	v_mul_f64_e32 v[40:41], v[4:5], v[40:41]
	v_add_f64_e32 v[22:23], v[22:23], v[26:27]
	v_add_f64_e32 v[24:25], v[28:29], v[139:140]
	s_wait_loadcnt_dscnt 0x300
	v_mul_f64_e32 v[26:27], v[18:19], v[145:146]
	v_mul_f64_e32 v[28:29], v[20:21], v[145:146]
	v_fma_f64 v[30:31], v[4:5], v[38:39], v[141:142]
	v_fma_f64 v[32:33], v[2:3], v[38:39], -v[40:41]
	v_add_f64_e32 v[22:23], v[22:23], v[14:15]
	v_add_f64_e32 v[24:25], v[24:25], v[16:17]
	ds_load_b128 v[2:5], v1 offset:1424
	ds_load_b128 v[14:17], v1 offset:1440
	v_fma_f64 v[20:21], v[20:21], v[143:144], v[26:27]
	v_fma_f64 v[18:19], v[18:19], v[143:144], -v[28:29]
	s_wait_loadcnt_dscnt 0x201
	v_mul_f64_e32 v[38:39], v[2:3], v[36:37]
	v_mul_f64_e32 v[36:37], v[4:5], v[36:37]
	v_add_f64_e32 v[22:23], v[22:23], v[32:33]
	v_add_f64_e32 v[24:25], v[24:25], v[30:31]
	s_wait_loadcnt_dscnt 0x100
	v_mul_f64_e32 v[26:27], v[14:15], v[8:9]
	v_mul_f64_e32 v[8:9], v[16:17], v[8:9]
	v_fma_f64 v[28:29], v[4:5], v[34:35], v[38:39]
	v_fma_f64 v[30:31], v[2:3], v[34:35], -v[36:37]
	ds_load_b128 v[2:5], v1 offset:1456
	v_add_f64_e32 v[18:19], v[22:23], v[18:19]
	v_add_f64_e32 v[20:21], v[24:25], v[20:21]
	s_wait_loadcnt_dscnt 0x0
	v_mul_f64_e32 v[22:23], v[2:3], v[12:13]
	v_mul_f64_e32 v[12:13], v[4:5], v[12:13]
	v_fma_f64 v[16:17], v[16:17], v[6:7], v[26:27]
	v_fma_f64 v[6:7], v[14:15], v[6:7], -v[8:9]
	v_add_f64_e32 v[8:9], v[18:19], v[30:31]
	v_add_f64_e32 v[14:15], v[20:21], v[28:29]
	v_fma_f64 v[4:5], v[4:5], v[10:11], v[22:23]
	v_fma_f64 v[2:3], v[2:3], v[10:11], -v[12:13]
	s_delay_alu instid0(VALU_DEP_4) | instskip(NEXT) | instid1(VALU_DEP_4)
	v_add_f64_e32 v[6:7], v[8:9], v[6:7]
	v_add_f64_e32 v[8:9], v[14:15], v[16:17]
	s_delay_alu instid0(VALU_DEP_2) | instskip(NEXT) | instid1(VALU_DEP_2)
	v_add_f64_e32 v[2:3], v[6:7], v[2:3]
	v_add_f64_e32 v[4:5], v[8:9], v[4:5]
	s_delay_alu instid0(VALU_DEP_2) | instskip(NEXT) | instid1(VALU_DEP_2)
	v_add_f64_e64 v[2:3], v[42:43], -v[2:3]
	v_add_f64_e64 v[4:5], v[44:45], -v[4:5]
	scratch_store_b128 off, v[2:5], off offset:528
	v_cmpx_lt_u32_e32 31, v0
	s_cbranch_execz .LBB109_227
; %bb.226:
	scratch_load_b128 v[5:8], off, s27
	v_dual_mov_b32 v2, v1 :: v_dual_mov_b32 v3, v1
	v_mov_b32_e32 v4, v1
	scratch_store_b128 off, v[1:4], off offset:512
	s_wait_loadcnt 0x0
	ds_store_b128 v138, v[5:8]
.LBB109_227:
	s_wait_alu 0xfffe
	s_or_b32 exec_lo, exec_lo, s0
	s_wait_storecnt_dscnt 0x0
	s_barrier_signal -1
	s_barrier_wait -1
	global_inv scope:SCOPE_SE
	s_clause 0x8
	scratch_load_b128 v[2:5], off, off offset:528
	scratch_load_b128 v[6:9], off, off offset:544
	scratch_load_b128 v[10:13], off, off offset:560
	scratch_load_b128 v[14:17], off, off offset:576
	scratch_load_b128 v[18:21], off, off offset:592
	scratch_load_b128 v[22:25], off, off offset:608
	scratch_load_b128 v[26:29], off, off offset:624
	scratch_load_b128 v[30:33], off, off offset:640
	scratch_load_b128 v[34:37], off, off offset:656
	ds_load_b128 v[38:41], v1 offset:1248
	ds_load_b128 v[42:45], v1 offset:1264
	s_clause 0x1
	scratch_load_b128 v[139:142], off, off offset:512
	scratch_load_b128 v[143:146], off, off offset:672
	s_mov_b32 s0, exec_lo
	s_wait_loadcnt_dscnt 0xa01
	v_mul_f64_e32 v[147:148], v[40:41], v[4:5]
	v_mul_f64_e32 v[4:5], v[38:39], v[4:5]
	s_wait_loadcnt_dscnt 0x900
	v_mul_f64_e32 v[151:152], v[42:43], v[8:9]
	v_mul_f64_e32 v[8:9], v[44:45], v[8:9]
	s_delay_alu instid0(VALU_DEP_4) | instskip(NEXT) | instid1(VALU_DEP_4)
	v_fma_f64 v[153:154], v[38:39], v[2:3], -v[147:148]
	v_fma_f64 v[155:156], v[40:41], v[2:3], v[4:5]
	ds_load_b128 v[2:5], v1 offset:1280
	ds_load_b128 v[147:150], v1 offset:1296
	scratch_load_b128 v[38:41], off, off offset:688
	v_fma_f64 v[44:45], v[44:45], v[6:7], v[151:152]
	v_fma_f64 v[42:43], v[42:43], v[6:7], -v[8:9]
	scratch_load_b128 v[6:9], off, off offset:704
	s_wait_loadcnt_dscnt 0xa01
	v_mul_f64_e32 v[157:158], v[2:3], v[12:13]
	v_mul_f64_e32 v[12:13], v[4:5], v[12:13]
	v_add_f64_e32 v[151:152], 0, v[153:154]
	v_add_f64_e32 v[153:154], 0, v[155:156]
	s_wait_loadcnt_dscnt 0x900
	v_mul_f64_e32 v[155:156], v[147:148], v[16:17]
	v_mul_f64_e32 v[16:17], v[149:150], v[16:17]
	v_fma_f64 v[157:158], v[4:5], v[10:11], v[157:158]
	v_fma_f64 v[159:160], v[2:3], v[10:11], -v[12:13]
	ds_load_b128 v[2:5], v1 offset:1312
	scratch_load_b128 v[10:13], off, off offset:720
	v_add_f64_e32 v[151:152], v[151:152], v[42:43]
	v_add_f64_e32 v[153:154], v[153:154], v[44:45]
	ds_load_b128 v[42:45], v1 offset:1328
	v_fma_f64 v[149:150], v[149:150], v[14:15], v[155:156]
	v_fma_f64 v[147:148], v[147:148], v[14:15], -v[16:17]
	scratch_load_b128 v[14:17], off, off offset:736
	s_wait_loadcnt_dscnt 0xa01
	v_mul_f64_e32 v[161:162], v[2:3], v[20:21]
	v_mul_f64_e32 v[20:21], v[4:5], v[20:21]
	s_wait_loadcnt_dscnt 0x900
	v_mul_f64_e32 v[155:156], v[42:43], v[24:25]
	v_mul_f64_e32 v[24:25], v[44:45], v[24:25]
	v_add_f64_e32 v[151:152], v[151:152], v[159:160]
	v_add_f64_e32 v[153:154], v[153:154], v[157:158]
	v_fma_f64 v[157:158], v[4:5], v[18:19], v[161:162]
	v_fma_f64 v[159:160], v[2:3], v[18:19], -v[20:21]
	ds_load_b128 v[2:5], v1 offset:1344
	ds_load_b128 v[18:21], v1 offset:1360
	v_fma_f64 v[44:45], v[44:45], v[22:23], v[155:156]
	v_fma_f64 v[22:23], v[42:43], v[22:23], -v[24:25]
	v_add_f64_e32 v[147:148], v[151:152], v[147:148]
	v_add_f64_e32 v[149:150], v[153:154], v[149:150]
	s_wait_loadcnt_dscnt 0x801
	v_mul_f64_e32 v[151:152], v[2:3], v[28:29]
	v_mul_f64_e32 v[28:29], v[4:5], v[28:29]
	s_delay_alu instid0(VALU_DEP_4) | instskip(NEXT) | instid1(VALU_DEP_4)
	v_add_f64_e32 v[24:25], v[147:148], v[159:160]
	v_add_f64_e32 v[42:43], v[149:150], v[157:158]
	s_wait_loadcnt_dscnt 0x700
	v_mul_f64_e32 v[147:148], v[18:19], v[32:33]
	v_mul_f64_e32 v[32:33], v[20:21], v[32:33]
	v_fma_f64 v[149:150], v[4:5], v[26:27], v[151:152]
	v_fma_f64 v[26:27], v[2:3], v[26:27], -v[28:29]
	v_add_f64_e32 v[28:29], v[24:25], v[22:23]
	v_add_f64_e32 v[42:43], v[42:43], v[44:45]
	ds_load_b128 v[2:5], v1 offset:1376
	ds_load_b128 v[22:25], v1 offset:1392
	v_fma_f64 v[20:21], v[20:21], v[30:31], v[147:148]
	v_fma_f64 v[18:19], v[18:19], v[30:31], -v[32:33]
	s_wait_loadcnt_dscnt 0x601
	v_mul_f64_e32 v[44:45], v[2:3], v[36:37]
	v_mul_f64_e32 v[36:37], v[4:5], v[36:37]
	s_wait_loadcnt_dscnt 0x400
	v_mul_f64_e32 v[30:31], v[22:23], v[145:146]
	v_mul_f64_e32 v[32:33], v[24:25], v[145:146]
	v_add_f64_e32 v[26:27], v[28:29], v[26:27]
	v_add_f64_e32 v[28:29], v[42:43], v[149:150]
	v_fma_f64 v[42:43], v[4:5], v[34:35], v[44:45]
	v_fma_f64 v[34:35], v[2:3], v[34:35], -v[36:37]
	v_fma_f64 v[24:25], v[24:25], v[143:144], v[30:31]
	v_fma_f64 v[22:23], v[22:23], v[143:144], -v[32:33]
	v_add_f64_e32 v[26:27], v[26:27], v[18:19]
	v_add_f64_e32 v[28:29], v[28:29], v[20:21]
	ds_load_b128 v[2:5], v1 offset:1408
	ds_load_b128 v[18:21], v1 offset:1424
	s_wait_loadcnt_dscnt 0x301
	v_mul_f64_e32 v[36:37], v[2:3], v[40:41]
	v_mul_f64_e32 v[40:41], v[4:5], v[40:41]
	s_wait_loadcnt_dscnt 0x200
	v_mul_f64_e32 v[30:31], v[18:19], v[8:9]
	v_mul_f64_e32 v[8:9], v[20:21], v[8:9]
	v_add_f64_e32 v[26:27], v[26:27], v[34:35]
	v_add_f64_e32 v[28:29], v[28:29], v[42:43]
	v_fma_f64 v[32:33], v[4:5], v[38:39], v[36:37]
	v_fma_f64 v[34:35], v[2:3], v[38:39], -v[40:41]
	v_fma_f64 v[20:21], v[20:21], v[6:7], v[30:31]
	v_fma_f64 v[6:7], v[18:19], v[6:7], -v[8:9]
	v_add_f64_e32 v[26:27], v[26:27], v[22:23]
	v_add_f64_e32 v[28:29], v[28:29], v[24:25]
	ds_load_b128 v[2:5], v1 offset:1440
	ds_load_b128 v[22:25], v1 offset:1456
	s_wait_loadcnt_dscnt 0x101
	v_mul_f64_e32 v[36:37], v[2:3], v[12:13]
	v_mul_f64_e32 v[12:13], v[4:5], v[12:13]
	v_add_f64_e32 v[8:9], v[26:27], v[34:35]
	v_add_f64_e32 v[18:19], v[28:29], v[32:33]
	s_wait_loadcnt_dscnt 0x0
	v_mul_f64_e32 v[26:27], v[22:23], v[16:17]
	v_mul_f64_e32 v[16:17], v[24:25], v[16:17]
	v_fma_f64 v[4:5], v[4:5], v[10:11], v[36:37]
	v_fma_f64 v[1:2], v[2:3], v[10:11], -v[12:13]
	v_add_f64_e32 v[6:7], v[8:9], v[6:7]
	v_add_f64_e32 v[8:9], v[18:19], v[20:21]
	v_fma_f64 v[10:11], v[24:25], v[14:15], v[26:27]
	v_fma_f64 v[12:13], v[22:23], v[14:15], -v[16:17]
	s_delay_alu instid0(VALU_DEP_4) | instskip(NEXT) | instid1(VALU_DEP_4)
	v_add_f64_e32 v[1:2], v[6:7], v[1:2]
	v_add_f64_e32 v[3:4], v[8:9], v[4:5]
	s_delay_alu instid0(VALU_DEP_2) | instskip(NEXT) | instid1(VALU_DEP_2)
	v_add_f64_e32 v[1:2], v[1:2], v[12:13]
	v_add_f64_e32 v[3:4], v[3:4], v[10:11]
	s_delay_alu instid0(VALU_DEP_2) | instskip(NEXT) | instid1(VALU_DEP_2)
	v_add_f64_e64 v[1:2], v[139:140], -v[1:2]
	v_add_f64_e64 v[3:4], v[141:142], -v[3:4]
	scratch_store_b128 off, v[1:4], off offset:512
	v_cmpx_lt_u32_e32 30, v0
	s_cbranch_execz .LBB109_229
; %bb.228:
	scratch_load_b128 v[1:4], off, s28
	v_mov_b32_e32 v5, 0
	s_delay_alu instid0(VALU_DEP_1)
	v_dual_mov_b32 v6, v5 :: v_dual_mov_b32 v7, v5
	v_mov_b32_e32 v8, v5
	scratch_store_b128 off, v[5:8], off offset:496
	s_wait_loadcnt 0x0
	ds_store_b128 v138, v[1:4]
.LBB109_229:
	s_wait_alu 0xfffe
	s_or_b32 exec_lo, exec_lo, s0
	s_wait_storecnt_dscnt 0x0
	s_barrier_signal -1
	s_barrier_wait -1
	global_inv scope:SCOPE_SE
	s_clause 0x7
	scratch_load_b128 v[2:5], off, off offset:512
	scratch_load_b128 v[6:9], off, off offset:528
	;; [unrolled: 1-line block ×8, first 2 shown]
	v_mov_b32_e32 v1, 0
	s_mov_b32 s0, exec_lo
	ds_load_b128 v[34:37], v1 offset:1232
	s_clause 0x1
	scratch_load_b128 v[38:41], off, off offset:640
	scratch_load_b128 v[42:45], off, off offset:496
	ds_load_b128 v[139:142], v1 offset:1248
	scratch_load_b128 v[143:146], off, off offset:656
	s_wait_loadcnt_dscnt 0xa01
	v_mul_f64_e32 v[147:148], v[36:37], v[4:5]
	v_mul_f64_e32 v[4:5], v[34:35], v[4:5]
	s_delay_alu instid0(VALU_DEP_2) | instskip(NEXT) | instid1(VALU_DEP_2)
	v_fma_f64 v[153:154], v[34:35], v[2:3], -v[147:148]
	v_fma_f64 v[155:156], v[36:37], v[2:3], v[4:5]
	ds_load_b128 v[2:5], v1 offset:1264
	s_wait_loadcnt_dscnt 0x901
	v_mul_f64_e32 v[151:152], v[139:140], v[8:9]
	v_mul_f64_e32 v[8:9], v[141:142], v[8:9]
	scratch_load_b128 v[34:37], off, off offset:672
	ds_load_b128 v[147:150], v1 offset:1280
	s_wait_loadcnt_dscnt 0x901
	v_mul_f64_e32 v[157:158], v[2:3], v[12:13]
	v_mul_f64_e32 v[12:13], v[4:5], v[12:13]
	v_fma_f64 v[141:142], v[141:142], v[6:7], v[151:152]
	v_fma_f64 v[139:140], v[139:140], v[6:7], -v[8:9]
	v_add_f64_e32 v[151:152], 0, v[153:154]
	v_add_f64_e32 v[153:154], 0, v[155:156]
	scratch_load_b128 v[6:9], off, off offset:688
	v_fma_f64 v[157:158], v[4:5], v[10:11], v[157:158]
	v_fma_f64 v[159:160], v[2:3], v[10:11], -v[12:13]
	ds_load_b128 v[2:5], v1 offset:1296
	s_wait_loadcnt_dscnt 0x901
	v_mul_f64_e32 v[155:156], v[147:148], v[16:17]
	v_mul_f64_e32 v[16:17], v[149:150], v[16:17]
	scratch_load_b128 v[10:13], off, off offset:704
	v_add_f64_e32 v[151:152], v[151:152], v[139:140]
	v_add_f64_e32 v[153:154], v[153:154], v[141:142]
	s_wait_loadcnt_dscnt 0x900
	v_mul_f64_e32 v[161:162], v[2:3], v[20:21]
	v_mul_f64_e32 v[20:21], v[4:5], v[20:21]
	ds_load_b128 v[139:142], v1 offset:1312
	v_fma_f64 v[149:150], v[149:150], v[14:15], v[155:156]
	v_fma_f64 v[147:148], v[147:148], v[14:15], -v[16:17]
	scratch_load_b128 v[14:17], off, off offset:720
	v_add_f64_e32 v[151:152], v[151:152], v[159:160]
	v_add_f64_e32 v[153:154], v[153:154], v[157:158]
	v_fma_f64 v[157:158], v[4:5], v[18:19], v[161:162]
	v_fma_f64 v[159:160], v[2:3], v[18:19], -v[20:21]
	ds_load_b128 v[2:5], v1 offset:1328
	s_wait_loadcnt_dscnt 0x901
	v_mul_f64_e32 v[155:156], v[139:140], v[24:25]
	v_mul_f64_e32 v[24:25], v[141:142], v[24:25]
	scratch_load_b128 v[18:21], off, off offset:736
	s_wait_loadcnt_dscnt 0x900
	v_mul_f64_e32 v[161:162], v[2:3], v[28:29]
	v_mul_f64_e32 v[28:29], v[4:5], v[28:29]
	v_add_f64_e32 v[151:152], v[151:152], v[147:148]
	v_add_f64_e32 v[153:154], v[153:154], v[149:150]
	ds_load_b128 v[147:150], v1 offset:1344
	v_fma_f64 v[141:142], v[141:142], v[22:23], v[155:156]
	v_fma_f64 v[22:23], v[139:140], v[22:23], -v[24:25]
	v_add_f64_e32 v[24:25], v[151:152], v[159:160]
	v_add_f64_e32 v[139:140], v[153:154], v[157:158]
	s_wait_loadcnt_dscnt 0x800
	v_mul_f64_e32 v[151:152], v[147:148], v[32:33]
	v_mul_f64_e32 v[32:33], v[149:150], v[32:33]
	v_fma_f64 v[153:154], v[4:5], v[26:27], v[161:162]
	v_fma_f64 v[26:27], v[2:3], v[26:27], -v[28:29]
	v_add_f64_e32 v[28:29], v[24:25], v[22:23]
	v_add_f64_e32 v[139:140], v[139:140], v[141:142]
	ds_load_b128 v[2:5], v1 offset:1360
	ds_load_b128 v[22:25], v1 offset:1376
	v_fma_f64 v[149:150], v[149:150], v[30:31], v[151:152]
	v_fma_f64 v[30:31], v[147:148], v[30:31], -v[32:33]
	s_wait_loadcnt_dscnt 0x701
	v_mul_f64_e32 v[141:142], v[2:3], v[40:41]
	v_mul_f64_e32 v[40:41], v[4:5], v[40:41]
	s_wait_loadcnt_dscnt 0x500
	v_mul_f64_e32 v[32:33], v[22:23], v[145:146]
	v_add_f64_e32 v[26:27], v[28:29], v[26:27]
	v_add_f64_e32 v[28:29], v[139:140], v[153:154]
	v_mul_f64_e32 v[139:140], v[24:25], v[145:146]
	v_fma_f64 v[141:142], v[4:5], v[38:39], v[141:142]
	v_fma_f64 v[38:39], v[2:3], v[38:39], -v[40:41]
	v_fma_f64 v[24:25], v[24:25], v[143:144], v[32:33]
	v_add_f64_e32 v[30:31], v[26:27], v[30:31]
	v_add_f64_e32 v[40:41], v[28:29], v[149:150]
	ds_load_b128 v[2:5], v1 offset:1392
	ds_load_b128 v[26:29], v1 offset:1408
	v_fma_f64 v[22:23], v[22:23], v[143:144], -v[139:140]
	s_wait_loadcnt_dscnt 0x401
	v_mul_f64_e32 v[145:146], v[2:3], v[36:37]
	v_mul_f64_e32 v[36:37], v[4:5], v[36:37]
	v_add_f64_e32 v[30:31], v[30:31], v[38:39]
	v_add_f64_e32 v[32:33], v[40:41], v[141:142]
	s_wait_loadcnt_dscnt 0x300
	v_mul_f64_e32 v[38:39], v[26:27], v[8:9]
	v_mul_f64_e32 v[8:9], v[28:29], v[8:9]
	v_fma_f64 v[40:41], v[4:5], v[34:35], v[145:146]
	v_fma_f64 v[34:35], v[2:3], v[34:35], -v[36:37]
	v_add_f64_e32 v[30:31], v[30:31], v[22:23]
	v_add_f64_e32 v[32:33], v[32:33], v[24:25]
	ds_load_b128 v[2:5], v1 offset:1424
	ds_load_b128 v[22:25], v1 offset:1440
	v_fma_f64 v[28:29], v[28:29], v[6:7], v[38:39]
	v_fma_f64 v[6:7], v[26:27], v[6:7], -v[8:9]
	s_wait_loadcnt_dscnt 0x201
	v_mul_f64_e32 v[36:37], v[2:3], v[12:13]
	v_mul_f64_e32 v[12:13], v[4:5], v[12:13]
	v_add_f64_e32 v[8:9], v[30:31], v[34:35]
	v_add_f64_e32 v[26:27], v[32:33], v[40:41]
	s_wait_loadcnt_dscnt 0x100
	v_mul_f64_e32 v[30:31], v[22:23], v[16:17]
	v_mul_f64_e32 v[16:17], v[24:25], v[16:17]
	v_fma_f64 v[32:33], v[4:5], v[10:11], v[36:37]
	v_fma_f64 v[10:11], v[2:3], v[10:11], -v[12:13]
	ds_load_b128 v[2:5], v1 offset:1456
	v_add_f64_e32 v[6:7], v[8:9], v[6:7]
	v_add_f64_e32 v[8:9], v[26:27], v[28:29]
	v_fma_f64 v[24:25], v[24:25], v[14:15], v[30:31]
	v_fma_f64 v[14:15], v[22:23], v[14:15], -v[16:17]
	s_wait_loadcnt_dscnt 0x0
	v_mul_f64_e32 v[12:13], v[2:3], v[20:21]
	v_mul_f64_e32 v[20:21], v[4:5], v[20:21]
	v_add_f64_e32 v[6:7], v[6:7], v[10:11]
	v_add_f64_e32 v[8:9], v[8:9], v[32:33]
	s_delay_alu instid0(VALU_DEP_4) | instskip(NEXT) | instid1(VALU_DEP_4)
	v_fma_f64 v[4:5], v[4:5], v[18:19], v[12:13]
	v_fma_f64 v[2:3], v[2:3], v[18:19], -v[20:21]
	s_delay_alu instid0(VALU_DEP_4) | instskip(NEXT) | instid1(VALU_DEP_4)
	v_add_f64_e32 v[6:7], v[6:7], v[14:15]
	v_add_f64_e32 v[8:9], v[8:9], v[24:25]
	s_delay_alu instid0(VALU_DEP_2) | instskip(NEXT) | instid1(VALU_DEP_2)
	v_add_f64_e32 v[2:3], v[6:7], v[2:3]
	v_add_f64_e32 v[4:5], v[8:9], v[4:5]
	s_delay_alu instid0(VALU_DEP_2) | instskip(NEXT) | instid1(VALU_DEP_2)
	v_add_f64_e64 v[2:3], v[42:43], -v[2:3]
	v_add_f64_e64 v[4:5], v[44:45], -v[4:5]
	scratch_store_b128 off, v[2:5], off offset:496
	v_cmpx_lt_u32_e32 29, v0
	s_cbranch_execz .LBB109_231
; %bb.230:
	scratch_load_b128 v[5:8], off, s29
	v_dual_mov_b32 v2, v1 :: v_dual_mov_b32 v3, v1
	v_mov_b32_e32 v4, v1
	scratch_store_b128 off, v[1:4], off offset:480
	s_wait_loadcnt 0x0
	ds_store_b128 v138, v[5:8]
.LBB109_231:
	s_wait_alu 0xfffe
	s_or_b32 exec_lo, exec_lo, s0
	s_wait_storecnt_dscnt 0x0
	s_barrier_signal -1
	s_barrier_wait -1
	global_inv scope:SCOPE_SE
	s_clause 0x8
	scratch_load_b128 v[2:5], off, off offset:496
	scratch_load_b128 v[6:9], off, off offset:512
	scratch_load_b128 v[10:13], off, off offset:528
	scratch_load_b128 v[14:17], off, off offset:544
	scratch_load_b128 v[18:21], off, off offset:560
	scratch_load_b128 v[22:25], off, off offset:576
	scratch_load_b128 v[26:29], off, off offset:592
	scratch_load_b128 v[30:33], off, off offset:608
	scratch_load_b128 v[34:37], off, off offset:624
	ds_load_b128 v[38:41], v1 offset:1216
	ds_load_b128 v[42:45], v1 offset:1232
	s_clause 0x1
	scratch_load_b128 v[139:142], off, off offset:480
	scratch_load_b128 v[143:146], off, off offset:640
	s_mov_b32 s0, exec_lo
	s_wait_loadcnt_dscnt 0xa01
	v_mul_f64_e32 v[147:148], v[40:41], v[4:5]
	v_mul_f64_e32 v[4:5], v[38:39], v[4:5]
	s_wait_loadcnt_dscnt 0x900
	v_mul_f64_e32 v[151:152], v[42:43], v[8:9]
	v_mul_f64_e32 v[8:9], v[44:45], v[8:9]
	s_delay_alu instid0(VALU_DEP_4) | instskip(NEXT) | instid1(VALU_DEP_4)
	v_fma_f64 v[153:154], v[38:39], v[2:3], -v[147:148]
	v_fma_f64 v[155:156], v[40:41], v[2:3], v[4:5]
	ds_load_b128 v[2:5], v1 offset:1248
	ds_load_b128 v[147:150], v1 offset:1264
	scratch_load_b128 v[38:41], off, off offset:656
	v_fma_f64 v[44:45], v[44:45], v[6:7], v[151:152]
	v_fma_f64 v[42:43], v[42:43], v[6:7], -v[8:9]
	scratch_load_b128 v[6:9], off, off offset:672
	s_wait_loadcnt_dscnt 0xa01
	v_mul_f64_e32 v[157:158], v[2:3], v[12:13]
	v_mul_f64_e32 v[12:13], v[4:5], v[12:13]
	v_add_f64_e32 v[151:152], 0, v[153:154]
	v_add_f64_e32 v[153:154], 0, v[155:156]
	s_wait_loadcnt_dscnt 0x900
	v_mul_f64_e32 v[155:156], v[147:148], v[16:17]
	v_mul_f64_e32 v[16:17], v[149:150], v[16:17]
	v_fma_f64 v[157:158], v[4:5], v[10:11], v[157:158]
	v_fma_f64 v[159:160], v[2:3], v[10:11], -v[12:13]
	ds_load_b128 v[2:5], v1 offset:1280
	scratch_load_b128 v[10:13], off, off offset:688
	v_add_f64_e32 v[151:152], v[151:152], v[42:43]
	v_add_f64_e32 v[153:154], v[153:154], v[44:45]
	ds_load_b128 v[42:45], v1 offset:1296
	v_fma_f64 v[149:150], v[149:150], v[14:15], v[155:156]
	v_fma_f64 v[147:148], v[147:148], v[14:15], -v[16:17]
	scratch_load_b128 v[14:17], off, off offset:704
	s_wait_loadcnt_dscnt 0xa01
	v_mul_f64_e32 v[161:162], v[2:3], v[20:21]
	v_mul_f64_e32 v[20:21], v[4:5], v[20:21]
	s_wait_loadcnt_dscnt 0x900
	v_mul_f64_e32 v[155:156], v[42:43], v[24:25]
	v_mul_f64_e32 v[24:25], v[44:45], v[24:25]
	v_add_f64_e32 v[151:152], v[151:152], v[159:160]
	v_add_f64_e32 v[153:154], v[153:154], v[157:158]
	v_fma_f64 v[157:158], v[4:5], v[18:19], v[161:162]
	v_fma_f64 v[159:160], v[2:3], v[18:19], -v[20:21]
	ds_load_b128 v[2:5], v1 offset:1312
	scratch_load_b128 v[18:21], off, off offset:720
	v_fma_f64 v[44:45], v[44:45], v[22:23], v[155:156]
	v_fma_f64 v[42:43], v[42:43], v[22:23], -v[24:25]
	scratch_load_b128 v[22:25], off, off offset:736
	v_add_f64_e32 v[151:152], v[151:152], v[147:148]
	v_add_f64_e32 v[153:154], v[153:154], v[149:150]
	ds_load_b128 v[147:150], v1 offset:1328
	s_wait_loadcnt_dscnt 0xa01
	v_mul_f64_e32 v[161:162], v[2:3], v[28:29]
	v_mul_f64_e32 v[28:29], v[4:5], v[28:29]
	s_wait_loadcnt_dscnt 0x900
	v_mul_f64_e32 v[155:156], v[147:148], v[32:33]
	v_mul_f64_e32 v[32:33], v[149:150], v[32:33]
	v_add_f64_e32 v[151:152], v[151:152], v[159:160]
	v_add_f64_e32 v[153:154], v[153:154], v[157:158]
	v_fma_f64 v[157:158], v[4:5], v[26:27], v[161:162]
	v_fma_f64 v[159:160], v[2:3], v[26:27], -v[28:29]
	ds_load_b128 v[2:5], v1 offset:1344
	ds_load_b128 v[26:29], v1 offset:1360
	v_fma_f64 v[149:150], v[149:150], v[30:31], v[155:156]
	v_fma_f64 v[30:31], v[147:148], v[30:31], -v[32:33]
	v_add_f64_e32 v[42:43], v[151:152], v[42:43]
	v_add_f64_e32 v[44:45], v[153:154], v[44:45]
	s_wait_loadcnt_dscnt 0x801
	v_mul_f64_e32 v[151:152], v[2:3], v[36:37]
	v_mul_f64_e32 v[36:37], v[4:5], v[36:37]
	s_delay_alu instid0(VALU_DEP_4) | instskip(NEXT) | instid1(VALU_DEP_4)
	v_add_f64_e32 v[32:33], v[42:43], v[159:160]
	v_add_f64_e32 v[42:43], v[44:45], v[157:158]
	s_wait_loadcnt_dscnt 0x600
	v_mul_f64_e32 v[44:45], v[26:27], v[145:146]
	v_mul_f64_e32 v[145:146], v[28:29], v[145:146]
	v_fma_f64 v[147:148], v[4:5], v[34:35], v[151:152]
	v_fma_f64 v[34:35], v[2:3], v[34:35], -v[36:37]
	v_add_f64_e32 v[36:37], v[32:33], v[30:31]
	v_add_f64_e32 v[42:43], v[42:43], v[149:150]
	ds_load_b128 v[2:5], v1 offset:1376
	ds_load_b128 v[30:33], v1 offset:1392
	v_fma_f64 v[28:29], v[28:29], v[143:144], v[44:45]
	v_fma_f64 v[26:27], v[26:27], v[143:144], -v[145:146]
	s_wait_loadcnt_dscnt 0x501
	v_mul_f64_e32 v[149:150], v[2:3], v[40:41]
	v_mul_f64_e32 v[40:41], v[4:5], v[40:41]
	v_add_f64_e32 v[34:35], v[36:37], v[34:35]
	v_add_f64_e32 v[36:37], v[42:43], v[147:148]
	s_wait_loadcnt_dscnt 0x400
	v_mul_f64_e32 v[42:43], v[30:31], v[8:9]
	v_mul_f64_e32 v[8:9], v[32:33], v[8:9]
	v_fma_f64 v[44:45], v[4:5], v[38:39], v[149:150]
	v_fma_f64 v[38:39], v[2:3], v[38:39], -v[40:41]
	v_add_f64_e32 v[34:35], v[34:35], v[26:27]
	v_add_f64_e32 v[36:37], v[36:37], v[28:29]
	ds_load_b128 v[2:5], v1 offset:1408
	ds_load_b128 v[26:29], v1 offset:1424
	v_fma_f64 v[32:33], v[32:33], v[6:7], v[42:43]
	v_fma_f64 v[6:7], v[30:31], v[6:7], -v[8:9]
	s_wait_loadcnt_dscnt 0x301
	v_mul_f64_e32 v[40:41], v[2:3], v[12:13]
	v_mul_f64_e32 v[12:13], v[4:5], v[12:13]
	;; [unrolled: 16-line block ×3, first 2 shown]
	s_wait_loadcnt_dscnt 0x0
	v_mul_f64_e32 v[16:17], v[6:7], v[24:25]
	v_mul_f64_e32 v[24:25], v[8:9], v[24:25]
	v_add_f64_e32 v[10:11], v[12:13], v[10:11]
	v_add_f64_e32 v[12:13], v[30:31], v[36:37]
	v_fma_f64 v[4:5], v[4:5], v[18:19], v[32:33]
	v_fma_f64 v[1:2], v[2:3], v[18:19], -v[20:21]
	v_fma_f64 v[8:9], v[8:9], v[22:23], v[16:17]
	v_fma_f64 v[6:7], v[6:7], v[22:23], -v[24:25]
	v_add_f64_e32 v[10:11], v[10:11], v[14:15]
	v_add_f64_e32 v[12:13], v[12:13], v[28:29]
	s_delay_alu instid0(VALU_DEP_2) | instskip(NEXT) | instid1(VALU_DEP_2)
	v_add_f64_e32 v[1:2], v[10:11], v[1:2]
	v_add_f64_e32 v[3:4], v[12:13], v[4:5]
	s_delay_alu instid0(VALU_DEP_2) | instskip(NEXT) | instid1(VALU_DEP_2)
	;; [unrolled: 3-line block ×3, first 2 shown]
	v_add_f64_e64 v[1:2], v[139:140], -v[1:2]
	v_add_f64_e64 v[3:4], v[141:142], -v[3:4]
	scratch_store_b128 off, v[1:4], off offset:480
	v_cmpx_lt_u32_e32 28, v0
	s_cbranch_execz .LBB109_233
; %bb.232:
	scratch_load_b128 v[1:4], off, s30
	v_mov_b32_e32 v5, 0
	s_delay_alu instid0(VALU_DEP_1)
	v_dual_mov_b32 v6, v5 :: v_dual_mov_b32 v7, v5
	v_mov_b32_e32 v8, v5
	scratch_store_b128 off, v[5:8], off offset:464
	s_wait_loadcnt 0x0
	ds_store_b128 v138, v[1:4]
.LBB109_233:
	s_wait_alu 0xfffe
	s_or_b32 exec_lo, exec_lo, s0
	s_wait_storecnt_dscnt 0x0
	s_barrier_signal -1
	s_barrier_wait -1
	global_inv scope:SCOPE_SE
	s_clause 0x7
	scratch_load_b128 v[2:5], off, off offset:480
	scratch_load_b128 v[6:9], off, off offset:496
	;; [unrolled: 1-line block ×8, first 2 shown]
	v_mov_b32_e32 v1, 0
	s_mov_b32 s0, exec_lo
	ds_load_b128 v[34:37], v1 offset:1200
	s_clause 0x1
	scratch_load_b128 v[38:41], off, off offset:608
	scratch_load_b128 v[42:45], off, off offset:464
	ds_load_b128 v[139:142], v1 offset:1216
	scratch_load_b128 v[143:146], off, off offset:624
	s_wait_loadcnt_dscnt 0xa01
	v_mul_f64_e32 v[147:148], v[36:37], v[4:5]
	v_mul_f64_e32 v[4:5], v[34:35], v[4:5]
	s_delay_alu instid0(VALU_DEP_2) | instskip(NEXT) | instid1(VALU_DEP_2)
	v_fma_f64 v[153:154], v[34:35], v[2:3], -v[147:148]
	v_fma_f64 v[155:156], v[36:37], v[2:3], v[4:5]
	ds_load_b128 v[2:5], v1 offset:1232
	s_wait_loadcnt_dscnt 0x901
	v_mul_f64_e32 v[151:152], v[139:140], v[8:9]
	v_mul_f64_e32 v[8:9], v[141:142], v[8:9]
	scratch_load_b128 v[34:37], off, off offset:640
	ds_load_b128 v[147:150], v1 offset:1248
	s_wait_loadcnt_dscnt 0x901
	v_mul_f64_e32 v[157:158], v[2:3], v[12:13]
	v_mul_f64_e32 v[12:13], v[4:5], v[12:13]
	v_fma_f64 v[141:142], v[141:142], v[6:7], v[151:152]
	v_fma_f64 v[139:140], v[139:140], v[6:7], -v[8:9]
	v_add_f64_e32 v[151:152], 0, v[153:154]
	v_add_f64_e32 v[153:154], 0, v[155:156]
	scratch_load_b128 v[6:9], off, off offset:656
	v_fma_f64 v[157:158], v[4:5], v[10:11], v[157:158]
	v_fma_f64 v[159:160], v[2:3], v[10:11], -v[12:13]
	ds_load_b128 v[2:5], v1 offset:1264
	s_wait_loadcnt_dscnt 0x901
	v_mul_f64_e32 v[155:156], v[147:148], v[16:17]
	v_mul_f64_e32 v[16:17], v[149:150], v[16:17]
	scratch_load_b128 v[10:13], off, off offset:672
	v_add_f64_e32 v[151:152], v[151:152], v[139:140]
	v_add_f64_e32 v[153:154], v[153:154], v[141:142]
	s_wait_loadcnt_dscnt 0x900
	v_mul_f64_e32 v[161:162], v[2:3], v[20:21]
	v_mul_f64_e32 v[20:21], v[4:5], v[20:21]
	ds_load_b128 v[139:142], v1 offset:1280
	v_fma_f64 v[149:150], v[149:150], v[14:15], v[155:156]
	v_fma_f64 v[147:148], v[147:148], v[14:15], -v[16:17]
	scratch_load_b128 v[14:17], off, off offset:688
	v_add_f64_e32 v[151:152], v[151:152], v[159:160]
	v_add_f64_e32 v[153:154], v[153:154], v[157:158]
	v_fma_f64 v[157:158], v[4:5], v[18:19], v[161:162]
	v_fma_f64 v[159:160], v[2:3], v[18:19], -v[20:21]
	ds_load_b128 v[2:5], v1 offset:1296
	s_wait_loadcnt_dscnt 0x901
	v_mul_f64_e32 v[155:156], v[139:140], v[24:25]
	v_mul_f64_e32 v[24:25], v[141:142], v[24:25]
	scratch_load_b128 v[18:21], off, off offset:704
	s_wait_loadcnt_dscnt 0x900
	v_mul_f64_e32 v[161:162], v[2:3], v[28:29]
	v_mul_f64_e32 v[28:29], v[4:5], v[28:29]
	v_add_f64_e32 v[151:152], v[151:152], v[147:148]
	v_add_f64_e32 v[153:154], v[153:154], v[149:150]
	ds_load_b128 v[147:150], v1 offset:1312
	v_fma_f64 v[141:142], v[141:142], v[22:23], v[155:156]
	v_fma_f64 v[139:140], v[139:140], v[22:23], -v[24:25]
	scratch_load_b128 v[22:25], off, off offset:720
	v_add_f64_e32 v[151:152], v[151:152], v[159:160]
	v_add_f64_e32 v[153:154], v[153:154], v[157:158]
	v_fma_f64 v[157:158], v[4:5], v[26:27], v[161:162]
	v_fma_f64 v[159:160], v[2:3], v[26:27], -v[28:29]
	ds_load_b128 v[2:5], v1 offset:1328
	s_wait_loadcnt_dscnt 0x901
	v_mul_f64_e32 v[155:156], v[147:148], v[32:33]
	v_mul_f64_e32 v[32:33], v[149:150], v[32:33]
	scratch_load_b128 v[26:29], off, off offset:736
	s_wait_loadcnt_dscnt 0x900
	v_mul_f64_e32 v[161:162], v[2:3], v[40:41]
	v_mul_f64_e32 v[40:41], v[4:5], v[40:41]
	v_add_f64_e32 v[151:152], v[151:152], v[139:140]
	v_add_f64_e32 v[153:154], v[153:154], v[141:142]
	ds_load_b128 v[139:142], v1 offset:1344
	v_fma_f64 v[149:150], v[149:150], v[30:31], v[155:156]
	v_fma_f64 v[30:31], v[147:148], v[30:31], -v[32:33]
	v_add_f64_e32 v[32:33], v[151:152], v[159:160]
	v_add_f64_e32 v[147:148], v[153:154], v[157:158]
	s_wait_loadcnt_dscnt 0x700
	v_mul_f64_e32 v[151:152], v[139:140], v[145:146]
	v_mul_f64_e32 v[145:146], v[141:142], v[145:146]
	v_fma_f64 v[153:154], v[4:5], v[38:39], v[161:162]
	v_fma_f64 v[38:39], v[2:3], v[38:39], -v[40:41]
	v_add_f64_e32 v[40:41], v[32:33], v[30:31]
	v_add_f64_e32 v[147:148], v[147:148], v[149:150]
	ds_load_b128 v[2:5], v1 offset:1360
	ds_load_b128 v[30:33], v1 offset:1376
	v_fma_f64 v[141:142], v[141:142], v[143:144], v[151:152]
	v_fma_f64 v[139:140], v[139:140], v[143:144], -v[145:146]
	s_wait_loadcnt_dscnt 0x601
	v_mul_f64_e32 v[149:150], v[2:3], v[36:37]
	v_mul_f64_e32 v[36:37], v[4:5], v[36:37]
	v_add_f64_e32 v[38:39], v[40:41], v[38:39]
	v_add_f64_e32 v[40:41], v[147:148], v[153:154]
	s_wait_loadcnt_dscnt 0x500
	v_mul_f64_e32 v[143:144], v[30:31], v[8:9]
	v_mul_f64_e32 v[8:9], v[32:33], v[8:9]
	v_fma_f64 v[145:146], v[4:5], v[34:35], v[149:150]
	v_fma_f64 v[147:148], v[2:3], v[34:35], -v[36:37]
	ds_load_b128 v[2:5], v1 offset:1392
	ds_load_b128 v[34:37], v1 offset:1408
	v_add_f64_e32 v[38:39], v[38:39], v[139:140]
	v_add_f64_e32 v[40:41], v[40:41], v[141:142]
	s_wait_loadcnt_dscnt 0x401
	v_mul_f64_e32 v[139:140], v[2:3], v[12:13]
	v_mul_f64_e32 v[12:13], v[4:5], v[12:13]
	v_fma_f64 v[32:33], v[32:33], v[6:7], v[143:144]
	v_fma_f64 v[6:7], v[30:31], v[6:7], -v[8:9]
	v_add_f64_e32 v[8:9], v[38:39], v[147:148]
	v_add_f64_e32 v[30:31], v[40:41], v[145:146]
	s_wait_loadcnt_dscnt 0x300
	v_mul_f64_e32 v[38:39], v[34:35], v[16:17]
	v_mul_f64_e32 v[16:17], v[36:37], v[16:17]
	v_fma_f64 v[40:41], v[4:5], v[10:11], v[139:140]
	v_fma_f64 v[10:11], v[2:3], v[10:11], -v[12:13]
	v_add_f64_e32 v[12:13], v[8:9], v[6:7]
	v_add_f64_e32 v[30:31], v[30:31], v[32:33]
	ds_load_b128 v[2:5], v1 offset:1424
	ds_load_b128 v[6:9], v1 offset:1440
	v_fma_f64 v[36:37], v[36:37], v[14:15], v[38:39]
	v_fma_f64 v[14:15], v[34:35], v[14:15], -v[16:17]
	s_wait_loadcnt_dscnt 0x201
	v_mul_f64_e32 v[32:33], v[2:3], v[20:21]
	v_mul_f64_e32 v[20:21], v[4:5], v[20:21]
	s_wait_loadcnt_dscnt 0x100
	v_mul_f64_e32 v[16:17], v[6:7], v[24:25]
	v_mul_f64_e32 v[24:25], v[8:9], v[24:25]
	v_add_f64_e32 v[10:11], v[12:13], v[10:11]
	v_add_f64_e32 v[12:13], v[30:31], v[40:41]
	v_fma_f64 v[30:31], v[4:5], v[18:19], v[32:33]
	v_fma_f64 v[18:19], v[2:3], v[18:19], -v[20:21]
	ds_load_b128 v[2:5], v1 offset:1456
	v_fma_f64 v[8:9], v[8:9], v[22:23], v[16:17]
	v_fma_f64 v[6:7], v[6:7], v[22:23], -v[24:25]
	v_add_f64_e32 v[10:11], v[10:11], v[14:15]
	v_add_f64_e32 v[12:13], v[12:13], v[36:37]
	s_wait_loadcnt_dscnt 0x0
	v_mul_f64_e32 v[14:15], v[2:3], v[28:29]
	v_mul_f64_e32 v[20:21], v[4:5], v[28:29]
	s_delay_alu instid0(VALU_DEP_4) | instskip(NEXT) | instid1(VALU_DEP_4)
	v_add_f64_e32 v[10:11], v[10:11], v[18:19]
	v_add_f64_e32 v[12:13], v[12:13], v[30:31]
	s_delay_alu instid0(VALU_DEP_4) | instskip(NEXT) | instid1(VALU_DEP_4)
	v_fma_f64 v[4:5], v[4:5], v[26:27], v[14:15]
	v_fma_f64 v[2:3], v[2:3], v[26:27], -v[20:21]
	s_delay_alu instid0(VALU_DEP_4) | instskip(NEXT) | instid1(VALU_DEP_4)
	v_add_f64_e32 v[6:7], v[10:11], v[6:7]
	v_add_f64_e32 v[8:9], v[12:13], v[8:9]
	s_delay_alu instid0(VALU_DEP_2) | instskip(NEXT) | instid1(VALU_DEP_2)
	v_add_f64_e32 v[2:3], v[6:7], v[2:3]
	v_add_f64_e32 v[4:5], v[8:9], v[4:5]
	s_delay_alu instid0(VALU_DEP_2) | instskip(NEXT) | instid1(VALU_DEP_2)
	v_add_f64_e64 v[2:3], v[42:43], -v[2:3]
	v_add_f64_e64 v[4:5], v[44:45], -v[4:5]
	scratch_store_b128 off, v[2:5], off offset:464
	v_cmpx_lt_u32_e32 27, v0
	s_cbranch_execz .LBB109_235
; %bb.234:
	scratch_load_b128 v[5:8], off, s31
	v_dual_mov_b32 v2, v1 :: v_dual_mov_b32 v3, v1
	v_mov_b32_e32 v4, v1
	scratch_store_b128 off, v[1:4], off offset:448
	s_wait_loadcnt 0x0
	ds_store_b128 v138, v[5:8]
.LBB109_235:
	s_wait_alu 0xfffe
	s_or_b32 exec_lo, exec_lo, s0
	s_wait_storecnt_dscnt 0x0
	s_barrier_signal -1
	s_barrier_wait -1
	global_inv scope:SCOPE_SE
	s_clause 0x8
	scratch_load_b128 v[2:5], off, off offset:464
	scratch_load_b128 v[6:9], off, off offset:480
	scratch_load_b128 v[10:13], off, off offset:496
	scratch_load_b128 v[14:17], off, off offset:512
	scratch_load_b128 v[18:21], off, off offset:528
	scratch_load_b128 v[22:25], off, off offset:544
	scratch_load_b128 v[26:29], off, off offset:560
	scratch_load_b128 v[30:33], off, off offset:576
	scratch_load_b128 v[34:37], off, off offset:592
	ds_load_b128 v[38:41], v1 offset:1184
	ds_load_b128 v[42:45], v1 offset:1200
	s_clause 0x1
	scratch_load_b128 v[139:142], off, off offset:448
	scratch_load_b128 v[143:146], off, off offset:608
	s_mov_b32 s0, exec_lo
	s_wait_loadcnt_dscnt 0xa01
	v_mul_f64_e32 v[147:148], v[40:41], v[4:5]
	v_mul_f64_e32 v[4:5], v[38:39], v[4:5]
	s_wait_loadcnt_dscnt 0x900
	v_mul_f64_e32 v[151:152], v[42:43], v[8:9]
	v_mul_f64_e32 v[8:9], v[44:45], v[8:9]
	s_delay_alu instid0(VALU_DEP_4) | instskip(NEXT) | instid1(VALU_DEP_4)
	v_fma_f64 v[153:154], v[38:39], v[2:3], -v[147:148]
	v_fma_f64 v[155:156], v[40:41], v[2:3], v[4:5]
	ds_load_b128 v[2:5], v1 offset:1216
	ds_load_b128 v[147:150], v1 offset:1232
	scratch_load_b128 v[38:41], off, off offset:624
	v_fma_f64 v[44:45], v[44:45], v[6:7], v[151:152]
	v_fma_f64 v[42:43], v[42:43], v[6:7], -v[8:9]
	scratch_load_b128 v[6:9], off, off offset:640
	s_wait_loadcnt_dscnt 0xa01
	v_mul_f64_e32 v[157:158], v[2:3], v[12:13]
	v_mul_f64_e32 v[12:13], v[4:5], v[12:13]
	v_add_f64_e32 v[151:152], 0, v[153:154]
	v_add_f64_e32 v[153:154], 0, v[155:156]
	s_wait_loadcnt_dscnt 0x900
	v_mul_f64_e32 v[155:156], v[147:148], v[16:17]
	v_mul_f64_e32 v[16:17], v[149:150], v[16:17]
	v_fma_f64 v[157:158], v[4:5], v[10:11], v[157:158]
	v_fma_f64 v[159:160], v[2:3], v[10:11], -v[12:13]
	ds_load_b128 v[2:5], v1 offset:1248
	scratch_load_b128 v[10:13], off, off offset:656
	v_add_f64_e32 v[151:152], v[151:152], v[42:43]
	v_add_f64_e32 v[153:154], v[153:154], v[44:45]
	ds_load_b128 v[42:45], v1 offset:1264
	v_fma_f64 v[149:150], v[149:150], v[14:15], v[155:156]
	v_fma_f64 v[147:148], v[147:148], v[14:15], -v[16:17]
	scratch_load_b128 v[14:17], off, off offset:672
	s_wait_loadcnt_dscnt 0xa01
	v_mul_f64_e32 v[161:162], v[2:3], v[20:21]
	v_mul_f64_e32 v[20:21], v[4:5], v[20:21]
	s_wait_loadcnt_dscnt 0x900
	v_mul_f64_e32 v[155:156], v[42:43], v[24:25]
	v_mul_f64_e32 v[24:25], v[44:45], v[24:25]
	v_add_f64_e32 v[151:152], v[151:152], v[159:160]
	v_add_f64_e32 v[153:154], v[153:154], v[157:158]
	v_fma_f64 v[157:158], v[4:5], v[18:19], v[161:162]
	v_fma_f64 v[159:160], v[2:3], v[18:19], -v[20:21]
	ds_load_b128 v[2:5], v1 offset:1280
	scratch_load_b128 v[18:21], off, off offset:688
	v_fma_f64 v[44:45], v[44:45], v[22:23], v[155:156]
	v_fma_f64 v[42:43], v[42:43], v[22:23], -v[24:25]
	scratch_load_b128 v[22:25], off, off offset:704
	v_add_f64_e32 v[151:152], v[151:152], v[147:148]
	v_add_f64_e32 v[153:154], v[153:154], v[149:150]
	ds_load_b128 v[147:150], v1 offset:1296
	s_wait_loadcnt_dscnt 0xa01
	v_mul_f64_e32 v[161:162], v[2:3], v[28:29]
	v_mul_f64_e32 v[28:29], v[4:5], v[28:29]
	s_wait_loadcnt_dscnt 0x900
	v_mul_f64_e32 v[155:156], v[147:148], v[32:33]
	v_mul_f64_e32 v[32:33], v[149:150], v[32:33]
	v_add_f64_e32 v[151:152], v[151:152], v[159:160]
	v_add_f64_e32 v[153:154], v[153:154], v[157:158]
	v_fma_f64 v[157:158], v[4:5], v[26:27], v[161:162]
	v_fma_f64 v[159:160], v[2:3], v[26:27], -v[28:29]
	ds_load_b128 v[2:5], v1 offset:1312
	scratch_load_b128 v[26:29], off, off offset:720
	v_fma_f64 v[149:150], v[149:150], v[30:31], v[155:156]
	v_fma_f64 v[147:148], v[147:148], v[30:31], -v[32:33]
	scratch_load_b128 v[30:33], off, off offset:736
	v_add_f64_e32 v[151:152], v[151:152], v[42:43]
	v_add_f64_e32 v[153:154], v[153:154], v[44:45]
	ds_load_b128 v[42:45], v1 offset:1328
	s_wait_loadcnt_dscnt 0xa01
	v_mul_f64_e32 v[161:162], v[2:3], v[36:37]
	v_mul_f64_e32 v[36:37], v[4:5], v[36:37]
	s_wait_loadcnt_dscnt 0x800
	v_mul_f64_e32 v[155:156], v[42:43], v[145:146]
	v_mul_f64_e32 v[145:146], v[44:45], v[145:146]
	v_add_f64_e32 v[151:152], v[151:152], v[159:160]
	v_add_f64_e32 v[153:154], v[153:154], v[157:158]
	v_fma_f64 v[157:158], v[4:5], v[34:35], v[161:162]
	v_fma_f64 v[159:160], v[2:3], v[34:35], -v[36:37]
	ds_load_b128 v[2:5], v1 offset:1344
	ds_load_b128 v[34:37], v1 offset:1360
	v_fma_f64 v[44:45], v[44:45], v[143:144], v[155:156]
	v_fma_f64 v[42:43], v[42:43], v[143:144], -v[145:146]
	v_add_f64_e32 v[147:148], v[151:152], v[147:148]
	v_add_f64_e32 v[149:150], v[153:154], v[149:150]
	s_wait_loadcnt_dscnt 0x701
	v_mul_f64_e32 v[151:152], v[2:3], v[40:41]
	v_mul_f64_e32 v[40:41], v[4:5], v[40:41]
	s_delay_alu instid0(VALU_DEP_4) | instskip(NEXT) | instid1(VALU_DEP_4)
	v_add_f64_e32 v[143:144], v[147:148], v[159:160]
	v_add_f64_e32 v[145:146], v[149:150], v[157:158]
	s_wait_loadcnt_dscnt 0x600
	v_mul_f64_e32 v[147:148], v[34:35], v[8:9]
	v_mul_f64_e32 v[8:9], v[36:37], v[8:9]
	v_fma_f64 v[149:150], v[4:5], v[38:39], v[151:152]
	v_fma_f64 v[151:152], v[2:3], v[38:39], -v[40:41]
	ds_load_b128 v[2:5], v1 offset:1376
	ds_load_b128 v[38:41], v1 offset:1392
	v_add_f64_e32 v[42:43], v[143:144], v[42:43]
	v_add_f64_e32 v[44:45], v[145:146], v[44:45]
	v_fma_f64 v[36:37], v[36:37], v[6:7], v[147:148]
	s_wait_loadcnt_dscnt 0x501
	v_mul_f64_e32 v[143:144], v[2:3], v[12:13]
	v_mul_f64_e32 v[12:13], v[4:5], v[12:13]
	v_fma_f64 v[6:7], v[34:35], v[6:7], -v[8:9]
	v_add_f64_e32 v[8:9], v[42:43], v[151:152]
	v_add_f64_e32 v[34:35], v[44:45], v[149:150]
	s_wait_loadcnt_dscnt 0x400
	v_mul_f64_e32 v[42:43], v[38:39], v[16:17]
	v_mul_f64_e32 v[16:17], v[40:41], v[16:17]
	v_fma_f64 v[44:45], v[4:5], v[10:11], v[143:144]
	v_fma_f64 v[10:11], v[2:3], v[10:11], -v[12:13]
	v_add_f64_e32 v[12:13], v[8:9], v[6:7]
	v_add_f64_e32 v[34:35], v[34:35], v[36:37]
	ds_load_b128 v[2:5], v1 offset:1408
	ds_load_b128 v[6:9], v1 offset:1424
	v_fma_f64 v[40:41], v[40:41], v[14:15], v[42:43]
	v_fma_f64 v[14:15], v[38:39], v[14:15], -v[16:17]
	s_wait_loadcnt_dscnt 0x301
	v_mul_f64_e32 v[36:37], v[2:3], v[20:21]
	v_mul_f64_e32 v[20:21], v[4:5], v[20:21]
	s_wait_loadcnt_dscnt 0x200
	v_mul_f64_e32 v[16:17], v[6:7], v[24:25]
	v_mul_f64_e32 v[24:25], v[8:9], v[24:25]
	v_add_f64_e32 v[10:11], v[12:13], v[10:11]
	v_add_f64_e32 v[12:13], v[34:35], v[44:45]
	v_fma_f64 v[34:35], v[4:5], v[18:19], v[36:37]
	v_fma_f64 v[18:19], v[2:3], v[18:19], -v[20:21]
	v_fma_f64 v[8:9], v[8:9], v[22:23], v[16:17]
	v_fma_f64 v[6:7], v[6:7], v[22:23], -v[24:25]
	v_add_f64_e32 v[14:15], v[10:11], v[14:15]
	v_add_f64_e32 v[20:21], v[12:13], v[40:41]
	ds_load_b128 v[2:5], v1 offset:1440
	ds_load_b128 v[10:13], v1 offset:1456
	s_wait_loadcnt_dscnt 0x101
	v_mul_f64_e32 v[36:37], v[2:3], v[28:29]
	v_mul_f64_e32 v[28:29], v[4:5], v[28:29]
	v_add_f64_e32 v[14:15], v[14:15], v[18:19]
	v_add_f64_e32 v[16:17], v[20:21], v[34:35]
	s_wait_loadcnt_dscnt 0x0
	v_mul_f64_e32 v[18:19], v[10:11], v[32:33]
	v_mul_f64_e32 v[20:21], v[12:13], v[32:33]
	v_fma_f64 v[4:5], v[4:5], v[26:27], v[36:37]
	v_fma_f64 v[1:2], v[2:3], v[26:27], -v[28:29]
	v_add_f64_e32 v[6:7], v[14:15], v[6:7]
	v_add_f64_e32 v[8:9], v[16:17], v[8:9]
	v_fma_f64 v[12:13], v[12:13], v[30:31], v[18:19]
	v_fma_f64 v[10:11], v[10:11], v[30:31], -v[20:21]
	s_delay_alu instid0(VALU_DEP_4) | instskip(NEXT) | instid1(VALU_DEP_4)
	v_add_f64_e32 v[1:2], v[6:7], v[1:2]
	v_add_f64_e32 v[3:4], v[8:9], v[4:5]
	s_delay_alu instid0(VALU_DEP_2) | instskip(NEXT) | instid1(VALU_DEP_2)
	v_add_f64_e32 v[1:2], v[1:2], v[10:11]
	v_add_f64_e32 v[3:4], v[3:4], v[12:13]
	s_delay_alu instid0(VALU_DEP_2) | instskip(NEXT) | instid1(VALU_DEP_2)
	v_add_f64_e64 v[1:2], v[139:140], -v[1:2]
	v_add_f64_e64 v[3:4], v[141:142], -v[3:4]
	scratch_store_b128 off, v[1:4], off offset:448
	v_cmpx_lt_u32_e32 26, v0
	s_cbranch_execz .LBB109_237
; %bb.236:
	scratch_load_b128 v[1:4], off, s33
	v_mov_b32_e32 v5, 0
	s_delay_alu instid0(VALU_DEP_1)
	v_dual_mov_b32 v6, v5 :: v_dual_mov_b32 v7, v5
	v_mov_b32_e32 v8, v5
	scratch_store_b128 off, v[5:8], off offset:432
	s_wait_loadcnt 0x0
	ds_store_b128 v138, v[1:4]
.LBB109_237:
	s_wait_alu 0xfffe
	s_or_b32 exec_lo, exec_lo, s0
	s_wait_storecnt_dscnt 0x0
	s_barrier_signal -1
	s_barrier_wait -1
	global_inv scope:SCOPE_SE
	s_clause 0x7
	scratch_load_b128 v[2:5], off, off offset:448
	scratch_load_b128 v[6:9], off, off offset:464
	;; [unrolled: 1-line block ×8, first 2 shown]
	v_mov_b32_e32 v1, 0
	s_mov_b32 s0, exec_lo
	ds_load_b128 v[34:37], v1 offset:1168
	s_clause 0x1
	scratch_load_b128 v[38:41], off, off offset:576
	scratch_load_b128 v[42:45], off, off offset:432
	ds_load_b128 v[139:142], v1 offset:1184
	scratch_load_b128 v[143:146], off, off offset:592
	s_wait_loadcnt_dscnt 0xa01
	v_mul_f64_e32 v[147:148], v[36:37], v[4:5]
	v_mul_f64_e32 v[4:5], v[34:35], v[4:5]
	s_delay_alu instid0(VALU_DEP_2) | instskip(NEXT) | instid1(VALU_DEP_2)
	v_fma_f64 v[153:154], v[34:35], v[2:3], -v[147:148]
	v_fma_f64 v[155:156], v[36:37], v[2:3], v[4:5]
	ds_load_b128 v[2:5], v1 offset:1200
	s_wait_loadcnt_dscnt 0x901
	v_mul_f64_e32 v[151:152], v[139:140], v[8:9]
	v_mul_f64_e32 v[8:9], v[141:142], v[8:9]
	scratch_load_b128 v[34:37], off, off offset:608
	ds_load_b128 v[147:150], v1 offset:1216
	s_wait_loadcnt_dscnt 0x901
	v_mul_f64_e32 v[157:158], v[2:3], v[12:13]
	v_mul_f64_e32 v[12:13], v[4:5], v[12:13]
	v_fma_f64 v[141:142], v[141:142], v[6:7], v[151:152]
	v_fma_f64 v[139:140], v[139:140], v[6:7], -v[8:9]
	v_add_f64_e32 v[151:152], 0, v[153:154]
	v_add_f64_e32 v[153:154], 0, v[155:156]
	scratch_load_b128 v[6:9], off, off offset:624
	v_fma_f64 v[157:158], v[4:5], v[10:11], v[157:158]
	v_fma_f64 v[159:160], v[2:3], v[10:11], -v[12:13]
	ds_load_b128 v[2:5], v1 offset:1232
	s_wait_loadcnt_dscnt 0x901
	v_mul_f64_e32 v[155:156], v[147:148], v[16:17]
	v_mul_f64_e32 v[16:17], v[149:150], v[16:17]
	scratch_load_b128 v[10:13], off, off offset:640
	v_add_f64_e32 v[151:152], v[151:152], v[139:140]
	v_add_f64_e32 v[153:154], v[153:154], v[141:142]
	s_wait_loadcnt_dscnt 0x900
	v_mul_f64_e32 v[161:162], v[2:3], v[20:21]
	v_mul_f64_e32 v[20:21], v[4:5], v[20:21]
	ds_load_b128 v[139:142], v1 offset:1248
	v_fma_f64 v[149:150], v[149:150], v[14:15], v[155:156]
	v_fma_f64 v[147:148], v[147:148], v[14:15], -v[16:17]
	scratch_load_b128 v[14:17], off, off offset:656
	v_add_f64_e32 v[151:152], v[151:152], v[159:160]
	v_add_f64_e32 v[153:154], v[153:154], v[157:158]
	v_fma_f64 v[157:158], v[4:5], v[18:19], v[161:162]
	v_fma_f64 v[159:160], v[2:3], v[18:19], -v[20:21]
	ds_load_b128 v[2:5], v1 offset:1264
	s_wait_loadcnt_dscnt 0x901
	v_mul_f64_e32 v[155:156], v[139:140], v[24:25]
	v_mul_f64_e32 v[24:25], v[141:142], v[24:25]
	scratch_load_b128 v[18:21], off, off offset:672
	s_wait_loadcnt_dscnt 0x900
	v_mul_f64_e32 v[161:162], v[2:3], v[28:29]
	v_mul_f64_e32 v[28:29], v[4:5], v[28:29]
	v_add_f64_e32 v[151:152], v[151:152], v[147:148]
	v_add_f64_e32 v[153:154], v[153:154], v[149:150]
	ds_load_b128 v[147:150], v1 offset:1280
	v_fma_f64 v[141:142], v[141:142], v[22:23], v[155:156]
	v_fma_f64 v[139:140], v[139:140], v[22:23], -v[24:25]
	scratch_load_b128 v[22:25], off, off offset:688
	v_add_f64_e32 v[151:152], v[151:152], v[159:160]
	v_add_f64_e32 v[153:154], v[153:154], v[157:158]
	v_fma_f64 v[157:158], v[4:5], v[26:27], v[161:162]
	v_fma_f64 v[159:160], v[2:3], v[26:27], -v[28:29]
	ds_load_b128 v[2:5], v1 offset:1296
	s_wait_loadcnt_dscnt 0x901
	v_mul_f64_e32 v[155:156], v[147:148], v[32:33]
	v_mul_f64_e32 v[32:33], v[149:150], v[32:33]
	scratch_load_b128 v[26:29], off, off offset:704
	s_wait_loadcnt_dscnt 0x900
	v_mul_f64_e32 v[161:162], v[2:3], v[40:41]
	v_mul_f64_e32 v[40:41], v[4:5], v[40:41]
	v_add_f64_e32 v[151:152], v[151:152], v[139:140]
	v_add_f64_e32 v[153:154], v[153:154], v[141:142]
	ds_load_b128 v[139:142], v1 offset:1312
	v_fma_f64 v[149:150], v[149:150], v[30:31], v[155:156]
	v_fma_f64 v[147:148], v[147:148], v[30:31], -v[32:33]
	scratch_load_b128 v[30:33], off, off offset:720
	v_add_f64_e32 v[151:152], v[151:152], v[159:160]
	v_add_f64_e32 v[153:154], v[153:154], v[157:158]
	v_fma_f64 v[159:160], v[4:5], v[38:39], v[161:162]
	v_fma_f64 v[161:162], v[2:3], v[38:39], -v[40:41]
	ds_load_b128 v[2:5], v1 offset:1328
	s_wait_loadcnt_dscnt 0x801
	v_mul_f64_e32 v[155:156], v[139:140], v[145:146]
	v_mul_f64_e32 v[157:158], v[141:142], v[145:146]
	scratch_load_b128 v[38:41], off, off offset:736
	v_add_f64_e32 v[151:152], v[151:152], v[147:148]
	v_add_f64_e32 v[149:150], v[153:154], v[149:150]
	ds_load_b128 v[145:148], v1 offset:1344
	v_fma_f64 v[141:142], v[141:142], v[143:144], v[155:156]
	v_fma_f64 v[139:140], v[139:140], v[143:144], -v[157:158]
	s_wait_loadcnt_dscnt 0x801
	v_mul_f64_e32 v[153:154], v[2:3], v[36:37]
	v_mul_f64_e32 v[36:37], v[4:5], v[36:37]
	v_add_f64_e32 v[143:144], v[151:152], v[161:162]
	v_add_f64_e32 v[149:150], v[149:150], v[159:160]
	s_delay_alu instid0(VALU_DEP_4) | instskip(NEXT) | instid1(VALU_DEP_4)
	v_fma_f64 v[153:154], v[4:5], v[34:35], v[153:154]
	v_fma_f64 v[155:156], v[2:3], v[34:35], -v[36:37]
	s_wait_loadcnt_dscnt 0x700
	v_mul_f64_e32 v[151:152], v[145:146], v[8:9]
	v_mul_f64_e32 v[8:9], v[147:148], v[8:9]
	ds_load_b128 v[2:5], v1 offset:1360
	ds_load_b128 v[34:37], v1 offset:1376
	v_add_f64_e32 v[139:140], v[143:144], v[139:140]
	v_add_f64_e32 v[141:142], v[149:150], v[141:142]
	s_wait_loadcnt_dscnt 0x601
	v_mul_f64_e32 v[143:144], v[2:3], v[12:13]
	v_mul_f64_e32 v[12:13], v[4:5], v[12:13]
	v_fma_f64 v[147:148], v[147:148], v[6:7], v[151:152]
	v_fma_f64 v[6:7], v[145:146], v[6:7], -v[8:9]
	v_add_f64_e32 v[8:9], v[139:140], v[155:156]
	v_add_f64_e32 v[139:140], v[141:142], v[153:154]
	s_wait_loadcnt_dscnt 0x500
	v_mul_f64_e32 v[141:142], v[34:35], v[16:17]
	v_mul_f64_e32 v[16:17], v[36:37], v[16:17]
	v_fma_f64 v[143:144], v[4:5], v[10:11], v[143:144]
	v_fma_f64 v[10:11], v[2:3], v[10:11], -v[12:13]
	v_add_f64_e32 v[12:13], v[8:9], v[6:7]
	v_add_f64_e32 v[139:140], v[139:140], v[147:148]
	ds_load_b128 v[2:5], v1 offset:1392
	ds_load_b128 v[6:9], v1 offset:1408
	v_fma_f64 v[36:37], v[36:37], v[14:15], v[141:142]
	v_fma_f64 v[14:15], v[34:35], v[14:15], -v[16:17]
	s_wait_loadcnt_dscnt 0x401
	v_mul_f64_e32 v[145:146], v[2:3], v[20:21]
	v_mul_f64_e32 v[20:21], v[4:5], v[20:21]
	s_wait_loadcnt_dscnt 0x300
	v_mul_f64_e32 v[16:17], v[6:7], v[24:25]
	v_mul_f64_e32 v[24:25], v[8:9], v[24:25]
	v_add_f64_e32 v[10:11], v[12:13], v[10:11]
	v_add_f64_e32 v[12:13], v[139:140], v[143:144]
	v_fma_f64 v[34:35], v[4:5], v[18:19], v[145:146]
	v_fma_f64 v[18:19], v[2:3], v[18:19], -v[20:21]
	v_fma_f64 v[8:9], v[8:9], v[22:23], v[16:17]
	v_fma_f64 v[6:7], v[6:7], v[22:23], -v[24:25]
	v_add_f64_e32 v[14:15], v[10:11], v[14:15]
	v_add_f64_e32 v[20:21], v[12:13], v[36:37]
	ds_load_b128 v[2:5], v1 offset:1424
	ds_load_b128 v[10:13], v1 offset:1440
	s_wait_loadcnt_dscnt 0x201
	v_mul_f64_e32 v[36:37], v[2:3], v[28:29]
	v_mul_f64_e32 v[28:29], v[4:5], v[28:29]
	v_add_f64_e32 v[14:15], v[14:15], v[18:19]
	v_add_f64_e32 v[16:17], v[20:21], v[34:35]
	s_wait_loadcnt_dscnt 0x100
	v_mul_f64_e32 v[18:19], v[10:11], v[32:33]
	v_mul_f64_e32 v[20:21], v[12:13], v[32:33]
	v_fma_f64 v[22:23], v[4:5], v[26:27], v[36:37]
	v_fma_f64 v[24:25], v[2:3], v[26:27], -v[28:29]
	ds_load_b128 v[2:5], v1 offset:1456
	v_add_f64_e32 v[6:7], v[14:15], v[6:7]
	v_add_f64_e32 v[8:9], v[16:17], v[8:9]
	v_fma_f64 v[12:13], v[12:13], v[30:31], v[18:19]
	v_fma_f64 v[10:11], v[10:11], v[30:31], -v[20:21]
	s_wait_loadcnt_dscnt 0x0
	v_mul_f64_e32 v[14:15], v[2:3], v[40:41]
	v_mul_f64_e32 v[16:17], v[4:5], v[40:41]
	v_add_f64_e32 v[6:7], v[6:7], v[24:25]
	v_add_f64_e32 v[8:9], v[8:9], v[22:23]
	s_delay_alu instid0(VALU_DEP_4) | instskip(NEXT) | instid1(VALU_DEP_4)
	v_fma_f64 v[4:5], v[4:5], v[38:39], v[14:15]
	v_fma_f64 v[2:3], v[2:3], v[38:39], -v[16:17]
	s_delay_alu instid0(VALU_DEP_4) | instskip(NEXT) | instid1(VALU_DEP_4)
	v_add_f64_e32 v[6:7], v[6:7], v[10:11]
	v_add_f64_e32 v[8:9], v[8:9], v[12:13]
	s_delay_alu instid0(VALU_DEP_2) | instskip(NEXT) | instid1(VALU_DEP_2)
	v_add_f64_e32 v[2:3], v[6:7], v[2:3]
	v_add_f64_e32 v[4:5], v[8:9], v[4:5]
	s_delay_alu instid0(VALU_DEP_2) | instskip(NEXT) | instid1(VALU_DEP_2)
	v_add_f64_e64 v[2:3], v[42:43], -v[2:3]
	v_add_f64_e64 v[4:5], v[44:45], -v[4:5]
	scratch_store_b128 off, v[2:5], off offset:432
	v_cmpx_lt_u32_e32 25, v0
	s_cbranch_execz .LBB109_239
; %bb.238:
	scratch_load_b128 v[5:8], off, s34
	v_dual_mov_b32 v2, v1 :: v_dual_mov_b32 v3, v1
	v_mov_b32_e32 v4, v1
	scratch_store_b128 off, v[1:4], off offset:416
	s_wait_loadcnt 0x0
	ds_store_b128 v138, v[5:8]
.LBB109_239:
	s_wait_alu 0xfffe
	s_or_b32 exec_lo, exec_lo, s0
	s_wait_storecnt_dscnt 0x0
	s_barrier_signal -1
	s_barrier_wait -1
	global_inv scope:SCOPE_SE
	s_clause 0x8
	scratch_load_b128 v[2:5], off, off offset:432
	scratch_load_b128 v[6:9], off, off offset:448
	;; [unrolled: 1-line block ×9, first 2 shown]
	ds_load_b128 v[38:41], v1 offset:1152
	ds_load_b128 v[42:45], v1 offset:1168
	s_clause 0x1
	scratch_load_b128 v[139:142], off, off offset:416
	scratch_load_b128 v[143:146], off, off offset:576
	s_mov_b32 s0, exec_lo
	s_wait_loadcnt_dscnt 0xa01
	v_mul_f64_e32 v[147:148], v[40:41], v[4:5]
	v_mul_f64_e32 v[4:5], v[38:39], v[4:5]
	s_wait_loadcnt_dscnt 0x900
	v_mul_f64_e32 v[151:152], v[42:43], v[8:9]
	v_mul_f64_e32 v[8:9], v[44:45], v[8:9]
	s_delay_alu instid0(VALU_DEP_4) | instskip(NEXT) | instid1(VALU_DEP_4)
	v_fma_f64 v[153:154], v[38:39], v[2:3], -v[147:148]
	v_fma_f64 v[155:156], v[40:41], v[2:3], v[4:5]
	ds_load_b128 v[2:5], v1 offset:1184
	ds_load_b128 v[147:150], v1 offset:1200
	scratch_load_b128 v[38:41], off, off offset:592
	v_fma_f64 v[44:45], v[44:45], v[6:7], v[151:152]
	v_fma_f64 v[42:43], v[42:43], v[6:7], -v[8:9]
	scratch_load_b128 v[6:9], off, off offset:608
	s_wait_loadcnt_dscnt 0xa01
	v_mul_f64_e32 v[157:158], v[2:3], v[12:13]
	v_mul_f64_e32 v[12:13], v[4:5], v[12:13]
	v_add_f64_e32 v[151:152], 0, v[153:154]
	v_add_f64_e32 v[153:154], 0, v[155:156]
	s_wait_loadcnt_dscnt 0x900
	v_mul_f64_e32 v[155:156], v[147:148], v[16:17]
	v_mul_f64_e32 v[16:17], v[149:150], v[16:17]
	v_fma_f64 v[157:158], v[4:5], v[10:11], v[157:158]
	v_fma_f64 v[159:160], v[2:3], v[10:11], -v[12:13]
	ds_load_b128 v[2:5], v1 offset:1216
	scratch_load_b128 v[10:13], off, off offset:624
	v_add_f64_e32 v[151:152], v[151:152], v[42:43]
	v_add_f64_e32 v[153:154], v[153:154], v[44:45]
	ds_load_b128 v[42:45], v1 offset:1232
	v_fma_f64 v[149:150], v[149:150], v[14:15], v[155:156]
	v_fma_f64 v[147:148], v[147:148], v[14:15], -v[16:17]
	scratch_load_b128 v[14:17], off, off offset:640
	s_wait_loadcnt_dscnt 0xa01
	v_mul_f64_e32 v[161:162], v[2:3], v[20:21]
	v_mul_f64_e32 v[20:21], v[4:5], v[20:21]
	s_wait_loadcnt_dscnt 0x900
	v_mul_f64_e32 v[155:156], v[42:43], v[24:25]
	v_mul_f64_e32 v[24:25], v[44:45], v[24:25]
	v_add_f64_e32 v[151:152], v[151:152], v[159:160]
	v_add_f64_e32 v[153:154], v[153:154], v[157:158]
	v_fma_f64 v[157:158], v[4:5], v[18:19], v[161:162]
	v_fma_f64 v[159:160], v[2:3], v[18:19], -v[20:21]
	ds_load_b128 v[2:5], v1 offset:1248
	scratch_load_b128 v[18:21], off, off offset:656
	v_fma_f64 v[44:45], v[44:45], v[22:23], v[155:156]
	v_fma_f64 v[42:43], v[42:43], v[22:23], -v[24:25]
	scratch_load_b128 v[22:25], off, off offset:672
	v_add_f64_e32 v[151:152], v[151:152], v[147:148]
	v_add_f64_e32 v[153:154], v[153:154], v[149:150]
	ds_load_b128 v[147:150], v1 offset:1264
	s_wait_loadcnt_dscnt 0xa01
	v_mul_f64_e32 v[161:162], v[2:3], v[28:29]
	v_mul_f64_e32 v[28:29], v[4:5], v[28:29]
	s_wait_loadcnt_dscnt 0x900
	v_mul_f64_e32 v[155:156], v[147:148], v[32:33]
	v_mul_f64_e32 v[32:33], v[149:150], v[32:33]
	v_add_f64_e32 v[151:152], v[151:152], v[159:160]
	v_add_f64_e32 v[153:154], v[153:154], v[157:158]
	v_fma_f64 v[157:158], v[4:5], v[26:27], v[161:162]
	v_fma_f64 v[159:160], v[2:3], v[26:27], -v[28:29]
	ds_load_b128 v[2:5], v1 offset:1280
	scratch_load_b128 v[26:29], off, off offset:688
	v_fma_f64 v[149:150], v[149:150], v[30:31], v[155:156]
	v_fma_f64 v[147:148], v[147:148], v[30:31], -v[32:33]
	scratch_load_b128 v[30:33], off, off offset:704
	v_add_f64_e32 v[151:152], v[151:152], v[42:43]
	v_add_f64_e32 v[153:154], v[153:154], v[44:45]
	ds_load_b128 v[42:45], v1 offset:1296
	s_wait_loadcnt_dscnt 0xa01
	v_mul_f64_e32 v[161:162], v[2:3], v[36:37]
	v_mul_f64_e32 v[36:37], v[4:5], v[36:37]
	s_wait_loadcnt_dscnt 0x800
	v_mul_f64_e32 v[155:156], v[42:43], v[145:146]
	v_add_f64_e32 v[151:152], v[151:152], v[159:160]
	v_add_f64_e32 v[153:154], v[153:154], v[157:158]
	v_mul_f64_e32 v[157:158], v[44:45], v[145:146]
	v_fma_f64 v[159:160], v[4:5], v[34:35], v[161:162]
	v_fma_f64 v[161:162], v[2:3], v[34:35], -v[36:37]
	ds_load_b128 v[2:5], v1 offset:1312
	scratch_load_b128 v[34:37], off, off offset:720
	v_fma_f64 v[44:45], v[44:45], v[143:144], v[155:156]
	v_add_f64_e32 v[151:152], v[151:152], v[147:148]
	v_add_f64_e32 v[149:150], v[153:154], v[149:150]
	ds_load_b128 v[145:148], v1 offset:1328
	v_fma_f64 v[143:144], v[42:43], v[143:144], -v[157:158]
	s_wait_loadcnt_dscnt 0x801
	v_mul_f64_e32 v[153:154], v[2:3], v[40:41]
	v_mul_f64_e32 v[163:164], v[4:5], v[40:41]
	scratch_load_b128 v[40:43], off, off offset:736
	s_wait_loadcnt_dscnt 0x800
	v_mul_f64_e32 v[155:156], v[145:146], v[8:9]
	v_mul_f64_e32 v[8:9], v[147:148], v[8:9]
	v_add_f64_e32 v[151:152], v[151:152], v[161:162]
	v_add_f64_e32 v[149:150], v[149:150], v[159:160]
	v_fma_f64 v[153:154], v[4:5], v[38:39], v[153:154]
	v_fma_f64 v[38:39], v[2:3], v[38:39], -v[163:164]
	v_fma_f64 v[147:148], v[147:148], v[6:7], v[155:156]
	v_fma_f64 v[6:7], v[145:146], v[6:7], -v[8:9]
	v_add_f64_e32 v[143:144], v[151:152], v[143:144]
	v_add_f64_e32 v[44:45], v[149:150], v[44:45]
	ds_load_b128 v[2:5], v1 offset:1344
	ds_load_b128 v[149:152], v1 offset:1360
	s_wait_loadcnt_dscnt 0x701
	v_mul_f64_e32 v[157:158], v[2:3], v[12:13]
	v_mul_f64_e32 v[12:13], v[4:5], v[12:13]
	v_add_f64_e32 v[8:9], v[143:144], v[38:39]
	v_add_f64_e32 v[38:39], v[44:45], v[153:154]
	s_wait_loadcnt_dscnt 0x600
	v_mul_f64_e32 v[44:45], v[149:150], v[16:17]
	v_mul_f64_e32 v[16:17], v[151:152], v[16:17]
	v_fma_f64 v[143:144], v[4:5], v[10:11], v[157:158]
	v_fma_f64 v[10:11], v[2:3], v[10:11], -v[12:13]
	v_add_f64_e32 v[12:13], v[8:9], v[6:7]
	v_add_f64_e32 v[38:39], v[38:39], v[147:148]
	ds_load_b128 v[2:5], v1 offset:1376
	ds_load_b128 v[6:9], v1 offset:1392
	v_fma_f64 v[44:45], v[151:152], v[14:15], v[44:45]
	v_fma_f64 v[14:15], v[149:150], v[14:15], -v[16:17]
	s_wait_loadcnt_dscnt 0x501
	v_mul_f64_e32 v[145:146], v[2:3], v[20:21]
	v_mul_f64_e32 v[20:21], v[4:5], v[20:21]
	s_wait_loadcnt_dscnt 0x400
	v_mul_f64_e32 v[16:17], v[6:7], v[24:25]
	v_mul_f64_e32 v[24:25], v[8:9], v[24:25]
	v_add_f64_e32 v[10:11], v[12:13], v[10:11]
	v_add_f64_e32 v[12:13], v[38:39], v[143:144]
	v_fma_f64 v[38:39], v[4:5], v[18:19], v[145:146]
	v_fma_f64 v[18:19], v[2:3], v[18:19], -v[20:21]
	v_fma_f64 v[8:9], v[8:9], v[22:23], v[16:17]
	v_fma_f64 v[6:7], v[6:7], v[22:23], -v[24:25]
	v_add_f64_e32 v[14:15], v[10:11], v[14:15]
	v_add_f64_e32 v[20:21], v[12:13], v[44:45]
	ds_load_b128 v[2:5], v1 offset:1408
	ds_load_b128 v[10:13], v1 offset:1424
	s_wait_loadcnt_dscnt 0x301
	v_mul_f64_e32 v[44:45], v[2:3], v[28:29]
	v_mul_f64_e32 v[28:29], v[4:5], v[28:29]
	v_add_f64_e32 v[14:15], v[14:15], v[18:19]
	v_add_f64_e32 v[16:17], v[20:21], v[38:39]
	s_wait_loadcnt_dscnt 0x200
	v_mul_f64_e32 v[18:19], v[10:11], v[32:33]
	v_mul_f64_e32 v[20:21], v[12:13], v[32:33]
	v_fma_f64 v[22:23], v[4:5], v[26:27], v[44:45]
	v_fma_f64 v[24:25], v[2:3], v[26:27], -v[28:29]
	v_add_f64_e32 v[14:15], v[14:15], v[6:7]
	v_add_f64_e32 v[16:17], v[16:17], v[8:9]
	ds_load_b128 v[2:5], v1 offset:1440
	ds_load_b128 v[6:9], v1 offset:1456
	v_fma_f64 v[12:13], v[12:13], v[30:31], v[18:19]
	v_fma_f64 v[10:11], v[10:11], v[30:31], -v[20:21]
	s_wait_loadcnt_dscnt 0x101
	v_mul_f64_e32 v[26:27], v[2:3], v[36:37]
	v_mul_f64_e32 v[28:29], v[4:5], v[36:37]
	s_wait_loadcnt_dscnt 0x0
	v_mul_f64_e32 v[18:19], v[6:7], v[42:43]
	v_add_f64_e32 v[14:15], v[14:15], v[24:25]
	v_add_f64_e32 v[16:17], v[16:17], v[22:23]
	v_mul_f64_e32 v[20:21], v[8:9], v[42:43]
	v_fma_f64 v[4:5], v[4:5], v[34:35], v[26:27]
	v_fma_f64 v[1:2], v[2:3], v[34:35], -v[28:29]
	v_fma_f64 v[8:9], v[8:9], v[40:41], v[18:19]
	v_add_f64_e32 v[10:11], v[14:15], v[10:11]
	v_add_f64_e32 v[12:13], v[16:17], v[12:13]
	v_fma_f64 v[6:7], v[6:7], v[40:41], -v[20:21]
	s_delay_alu instid0(VALU_DEP_3) | instskip(NEXT) | instid1(VALU_DEP_3)
	v_add_f64_e32 v[1:2], v[10:11], v[1:2]
	v_add_f64_e32 v[3:4], v[12:13], v[4:5]
	s_delay_alu instid0(VALU_DEP_2) | instskip(NEXT) | instid1(VALU_DEP_2)
	v_add_f64_e32 v[1:2], v[1:2], v[6:7]
	v_add_f64_e32 v[3:4], v[3:4], v[8:9]
	s_delay_alu instid0(VALU_DEP_2) | instskip(NEXT) | instid1(VALU_DEP_2)
	v_add_f64_e64 v[1:2], v[139:140], -v[1:2]
	v_add_f64_e64 v[3:4], v[141:142], -v[3:4]
	scratch_store_b128 off, v[1:4], off offset:416
	v_cmpx_lt_u32_e32 24, v0
	s_cbranch_execz .LBB109_241
; %bb.240:
	scratch_load_b128 v[1:4], off, s35
	v_mov_b32_e32 v5, 0
	s_delay_alu instid0(VALU_DEP_1)
	v_dual_mov_b32 v6, v5 :: v_dual_mov_b32 v7, v5
	v_mov_b32_e32 v8, v5
	scratch_store_b128 off, v[5:8], off offset:400
	s_wait_loadcnt 0x0
	ds_store_b128 v138, v[1:4]
.LBB109_241:
	s_wait_alu 0xfffe
	s_or_b32 exec_lo, exec_lo, s0
	s_wait_storecnt_dscnt 0x0
	s_barrier_signal -1
	s_barrier_wait -1
	global_inv scope:SCOPE_SE
	s_clause 0x7
	scratch_load_b128 v[2:5], off, off offset:416
	scratch_load_b128 v[6:9], off, off offset:432
	;; [unrolled: 1-line block ×8, first 2 shown]
	v_mov_b32_e32 v1, 0
	s_mov_b32 s0, exec_lo
	ds_load_b128 v[34:37], v1 offset:1136
	s_clause 0x1
	scratch_load_b128 v[38:41], off, off offset:544
	scratch_load_b128 v[42:45], off, off offset:400
	ds_load_b128 v[139:142], v1 offset:1152
	scratch_load_b128 v[143:146], off, off offset:560
	s_wait_loadcnt_dscnt 0xa01
	v_mul_f64_e32 v[147:148], v[36:37], v[4:5]
	v_mul_f64_e32 v[4:5], v[34:35], v[4:5]
	s_delay_alu instid0(VALU_DEP_2) | instskip(NEXT) | instid1(VALU_DEP_2)
	v_fma_f64 v[153:154], v[34:35], v[2:3], -v[147:148]
	v_fma_f64 v[155:156], v[36:37], v[2:3], v[4:5]
	ds_load_b128 v[2:5], v1 offset:1168
	s_wait_loadcnt_dscnt 0x901
	v_mul_f64_e32 v[151:152], v[139:140], v[8:9]
	v_mul_f64_e32 v[8:9], v[141:142], v[8:9]
	scratch_load_b128 v[34:37], off, off offset:576
	ds_load_b128 v[147:150], v1 offset:1184
	s_wait_loadcnt_dscnt 0x901
	v_mul_f64_e32 v[157:158], v[2:3], v[12:13]
	v_mul_f64_e32 v[12:13], v[4:5], v[12:13]
	v_fma_f64 v[141:142], v[141:142], v[6:7], v[151:152]
	v_fma_f64 v[139:140], v[139:140], v[6:7], -v[8:9]
	v_add_f64_e32 v[151:152], 0, v[153:154]
	v_add_f64_e32 v[153:154], 0, v[155:156]
	scratch_load_b128 v[6:9], off, off offset:592
	v_fma_f64 v[157:158], v[4:5], v[10:11], v[157:158]
	v_fma_f64 v[159:160], v[2:3], v[10:11], -v[12:13]
	ds_load_b128 v[2:5], v1 offset:1200
	s_wait_loadcnt_dscnt 0x901
	v_mul_f64_e32 v[155:156], v[147:148], v[16:17]
	v_mul_f64_e32 v[16:17], v[149:150], v[16:17]
	scratch_load_b128 v[10:13], off, off offset:608
	v_add_f64_e32 v[151:152], v[151:152], v[139:140]
	v_add_f64_e32 v[153:154], v[153:154], v[141:142]
	s_wait_loadcnt_dscnt 0x900
	v_mul_f64_e32 v[161:162], v[2:3], v[20:21]
	v_mul_f64_e32 v[20:21], v[4:5], v[20:21]
	ds_load_b128 v[139:142], v1 offset:1216
	v_fma_f64 v[149:150], v[149:150], v[14:15], v[155:156]
	v_fma_f64 v[147:148], v[147:148], v[14:15], -v[16:17]
	scratch_load_b128 v[14:17], off, off offset:624
	v_add_f64_e32 v[151:152], v[151:152], v[159:160]
	v_add_f64_e32 v[153:154], v[153:154], v[157:158]
	v_fma_f64 v[157:158], v[4:5], v[18:19], v[161:162]
	v_fma_f64 v[159:160], v[2:3], v[18:19], -v[20:21]
	ds_load_b128 v[2:5], v1 offset:1232
	s_wait_loadcnt_dscnt 0x901
	v_mul_f64_e32 v[155:156], v[139:140], v[24:25]
	v_mul_f64_e32 v[24:25], v[141:142], v[24:25]
	scratch_load_b128 v[18:21], off, off offset:640
	s_wait_loadcnt_dscnt 0x900
	v_mul_f64_e32 v[161:162], v[2:3], v[28:29]
	v_mul_f64_e32 v[28:29], v[4:5], v[28:29]
	v_add_f64_e32 v[151:152], v[151:152], v[147:148]
	v_add_f64_e32 v[153:154], v[153:154], v[149:150]
	ds_load_b128 v[147:150], v1 offset:1248
	v_fma_f64 v[141:142], v[141:142], v[22:23], v[155:156]
	v_fma_f64 v[139:140], v[139:140], v[22:23], -v[24:25]
	scratch_load_b128 v[22:25], off, off offset:656
	v_add_f64_e32 v[151:152], v[151:152], v[159:160]
	v_add_f64_e32 v[153:154], v[153:154], v[157:158]
	v_fma_f64 v[157:158], v[4:5], v[26:27], v[161:162]
	v_fma_f64 v[159:160], v[2:3], v[26:27], -v[28:29]
	ds_load_b128 v[2:5], v1 offset:1264
	s_wait_loadcnt_dscnt 0x901
	v_mul_f64_e32 v[155:156], v[147:148], v[32:33]
	v_mul_f64_e32 v[32:33], v[149:150], v[32:33]
	scratch_load_b128 v[26:29], off, off offset:672
	s_wait_loadcnt_dscnt 0x900
	v_mul_f64_e32 v[161:162], v[2:3], v[40:41]
	v_mul_f64_e32 v[40:41], v[4:5], v[40:41]
	v_add_f64_e32 v[151:152], v[151:152], v[139:140]
	v_add_f64_e32 v[153:154], v[153:154], v[141:142]
	ds_load_b128 v[139:142], v1 offset:1280
	v_fma_f64 v[149:150], v[149:150], v[30:31], v[155:156]
	v_fma_f64 v[147:148], v[147:148], v[30:31], -v[32:33]
	scratch_load_b128 v[30:33], off, off offset:688
	v_add_f64_e32 v[151:152], v[151:152], v[159:160]
	v_add_f64_e32 v[153:154], v[153:154], v[157:158]
	v_fma_f64 v[159:160], v[4:5], v[38:39], v[161:162]
	v_fma_f64 v[161:162], v[2:3], v[38:39], -v[40:41]
	ds_load_b128 v[2:5], v1 offset:1296
	s_wait_loadcnt_dscnt 0x801
	v_mul_f64_e32 v[155:156], v[139:140], v[145:146]
	v_mul_f64_e32 v[157:158], v[141:142], v[145:146]
	scratch_load_b128 v[38:41], off, off offset:704
	v_add_f64_e32 v[151:152], v[151:152], v[147:148]
	v_add_f64_e32 v[149:150], v[153:154], v[149:150]
	ds_load_b128 v[145:148], v1 offset:1312
	v_fma_f64 v[155:156], v[141:142], v[143:144], v[155:156]
	v_fma_f64 v[143:144], v[139:140], v[143:144], -v[157:158]
	scratch_load_b128 v[139:142], off, off offset:720
	s_wait_loadcnt_dscnt 0x901
	v_mul_f64_e32 v[153:154], v[2:3], v[36:37]
	v_mul_f64_e32 v[36:37], v[4:5], v[36:37]
	v_add_f64_e32 v[151:152], v[151:152], v[161:162]
	v_add_f64_e32 v[149:150], v[149:150], v[159:160]
	s_delay_alu instid0(VALU_DEP_4) | instskip(NEXT) | instid1(VALU_DEP_4)
	v_fma_f64 v[153:154], v[4:5], v[34:35], v[153:154]
	v_fma_f64 v[159:160], v[2:3], v[34:35], -v[36:37]
	ds_load_b128 v[2:5], v1 offset:1328
	s_wait_loadcnt_dscnt 0x801
	v_mul_f64_e32 v[157:158], v[145:146], v[8:9]
	v_mul_f64_e32 v[8:9], v[147:148], v[8:9]
	scratch_load_b128 v[34:37], off, off offset:736
	s_wait_loadcnt_dscnt 0x800
	v_mul_f64_e32 v[161:162], v[2:3], v[12:13]
	v_add_f64_e32 v[143:144], v[151:152], v[143:144]
	v_add_f64_e32 v[155:156], v[149:150], v[155:156]
	v_mul_f64_e32 v[12:13], v[4:5], v[12:13]
	ds_load_b128 v[149:152], v1 offset:1344
	v_fma_f64 v[147:148], v[147:148], v[6:7], v[157:158]
	v_fma_f64 v[6:7], v[145:146], v[6:7], -v[8:9]
	s_wait_loadcnt_dscnt 0x700
	v_mul_f64_e32 v[145:146], v[149:150], v[16:17]
	v_add_f64_e32 v[8:9], v[143:144], v[159:160]
	v_add_f64_e32 v[143:144], v[155:156], v[153:154]
	v_mul_f64_e32 v[16:17], v[151:152], v[16:17]
	v_fma_f64 v[153:154], v[4:5], v[10:11], v[161:162]
	v_fma_f64 v[10:11], v[2:3], v[10:11], -v[12:13]
	v_fma_f64 v[145:146], v[151:152], v[14:15], v[145:146]
	v_add_f64_e32 v[12:13], v[8:9], v[6:7]
	v_add_f64_e32 v[143:144], v[143:144], v[147:148]
	ds_load_b128 v[2:5], v1 offset:1360
	ds_load_b128 v[6:9], v1 offset:1376
	v_fma_f64 v[14:15], v[149:150], v[14:15], -v[16:17]
	s_wait_loadcnt_dscnt 0x601
	v_mul_f64_e32 v[147:148], v[2:3], v[20:21]
	v_mul_f64_e32 v[20:21], v[4:5], v[20:21]
	s_wait_loadcnt_dscnt 0x500
	v_mul_f64_e32 v[16:17], v[6:7], v[24:25]
	v_mul_f64_e32 v[24:25], v[8:9], v[24:25]
	v_add_f64_e32 v[10:11], v[12:13], v[10:11]
	v_add_f64_e32 v[12:13], v[143:144], v[153:154]
	v_fma_f64 v[143:144], v[4:5], v[18:19], v[147:148]
	v_fma_f64 v[18:19], v[2:3], v[18:19], -v[20:21]
	v_fma_f64 v[8:9], v[8:9], v[22:23], v[16:17]
	v_fma_f64 v[6:7], v[6:7], v[22:23], -v[24:25]
	v_add_f64_e32 v[14:15], v[10:11], v[14:15]
	v_add_f64_e32 v[20:21], v[12:13], v[145:146]
	ds_load_b128 v[2:5], v1 offset:1392
	ds_load_b128 v[10:13], v1 offset:1408
	s_wait_loadcnt_dscnt 0x401
	v_mul_f64_e32 v[145:146], v[2:3], v[28:29]
	v_mul_f64_e32 v[28:29], v[4:5], v[28:29]
	v_add_f64_e32 v[14:15], v[14:15], v[18:19]
	v_add_f64_e32 v[16:17], v[20:21], v[143:144]
	s_wait_loadcnt_dscnt 0x300
	v_mul_f64_e32 v[18:19], v[10:11], v[32:33]
	v_mul_f64_e32 v[20:21], v[12:13], v[32:33]
	v_fma_f64 v[22:23], v[4:5], v[26:27], v[145:146]
	v_fma_f64 v[24:25], v[2:3], v[26:27], -v[28:29]
	v_add_f64_e32 v[14:15], v[14:15], v[6:7]
	v_add_f64_e32 v[16:17], v[16:17], v[8:9]
	ds_load_b128 v[2:5], v1 offset:1424
	ds_load_b128 v[6:9], v1 offset:1440
	v_fma_f64 v[12:13], v[12:13], v[30:31], v[18:19]
	v_fma_f64 v[10:11], v[10:11], v[30:31], -v[20:21]
	s_wait_loadcnt_dscnt 0x201
	v_mul_f64_e32 v[26:27], v[2:3], v[40:41]
	v_mul_f64_e32 v[28:29], v[4:5], v[40:41]
	s_wait_loadcnt_dscnt 0x100
	v_mul_f64_e32 v[18:19], v[6:7], v[141:142]
	v_mul_f64_e32 v[20:21], v[8:9], v[141:142]
	v_add_f64_e32 v[14:15], v[14:15], v[24:25]
	v_add_f64_e32 v[16:17], v[16:17], v[22:23]
	v_fma_f64 v[22:23], v[4:5], v[38:39], v[26:27]
	v_fma_f64 v[24:25], v[2:3], v[38:39], -v[28:29]
	ds_load_b128 v[2:5], v1 offset:1456
	v_fma_f64 v[8:9], v[8:9], v[139:140], v[18:19]
	v_fma_f64 v[6:7], v[6:7], v[139:140], -v[20:21]
	v_add_f64_e32 v[10:11], v[14:15], v[10:11]
	v_add_f64_e32 v[12:13], v[16:17], v[12:13]
	s_wait_loadcnt_dscnt 0x0
	v_mul_f64_e32 v[14:15], v[2:3], v[36:37]
	v_mul_f64_e32 v[16:17], v[4:5], v[36:37]
	s_delay_alu instid0(VALU_DEP_4) | instskip(NEXT) | instid1(VALU_DEP_4)
	v_add_f64_e32 v[10:11], v[10:11], v[24:25]
	v_add_f64_e32 v[12:13], v[12:13], v[22:23]
	s_delay_alu instid0(VALU_DEP_4) | instskip(NEXT) | instid1(VALU_DEP_4)
	v_fma_f64 v[4:5], v[4:5], v[34:35], v[14:15]
	v_fma_f64 v[2:3], v[2:3], v[34:35], -v[16:17]
	s_delay_alu instid0(VALU_DEP_4) | instskip(NEXT) | instid1(VALU_DEP_4)
	v_add_f64_e32 v[6:7], v[10:11], v[6:7]
	v_add_f64_e32 v[8:9], v[12:13], v[8:9]
	s_delay_alu instid0(VALU_DEP_2) | instskip(NEXT) | instid1(VALU_DEP_2)
	v_add_f64_e32 v[2:3], v[6:7], v[2:3]
	v_add_f64_e32 v[4:5], v[8:9], v[4:5]
	s_delay_alu instid0(VALU_DEP_2) | instskip(NEXT) | instid1(VALU_DEP_2)
	v_add_f64_e64 v[2:3], v[42:43], -v[2:3]
	v_add_f64_e64 v[4:5], v[44:45], -v[4:5]
	scratch_store_b128 off, v[2:5], off offset:400
	v_cmpx_lt_u32_e32 23, v0
	s_cbranch_execz .LBB109_243
; %bb.242:
	scratch_load_b128 v[5:8], off, s36
	v_dual_mov_b32 v2, v1 :: v_dual_mov_b32 v3, v1
	v_mov_b32_e32 v4, v1
	scratch_store_b128 off, v[1:4], off offset:384
	s_wait_loadcnt 0x0
	ds_store_b128 v138, v[5:8]
.LBB109_243:
	s_wait_alu 0xfffe
	s_or_b32 exec_lo, exec_lo, s0
	s_wait_storecnt_dscnt 0x0
	s_barrier_signal -1
	s_barrier_wait -1
	global_inv scope:SCOPE_SE
	s_clause 0x8
	scratch_load_b128 v[2:5], off, off offset:400
	scratch_load_b128 v[6:9], off, off offset:416
	;; [unrolled: 1-line block ×9, first 2 shown]
	ds_load_b128 v[38:41], v1 offset:1120
	ds_load_b128 v[42:45], v1 offset:1136
	s_clause 0x1
	scratch_load_b128 v[139:142], off, off offset:384
	scratch_load_b128 v[143:146], off, off offset:544
	s_mov_b32 s0, exec_lo
	s_wait_loadcnt_dscnt 0xa01
	v_mul_f64_e32 v[147:148], v[40:41], v[4:5]
	v_mul_f64_e32 v[4:5], v[38:39], v[4:5]
	s_wait_loadcnt_dscnt 0x900
	v_mul_f64_e32 v[151:152], v[42:43], v[8:9]
	v_mul_f64_e32 v[8:9], v[44:45], v[8:9]
	s_delay_alu instid0(VALU_DEP_4) | instskip(NEXT) | instid1(VALU_DEP_4)
	v_fma_f64 v[153:154], v[38:39], v[2:3], -v[147:148]
	v_fma_f64 v[155:156], v[40:41], v[2:3], v[4:5]
	ds_load_b128 v[2:5], v1 offset:1152
	ds_load_b128 v[147:150], v1 offset:1168
	scratch_load_b128 v[38:41], off, off offset:560
	v_fma_f64 v[44:45], v[44:45], v[6:7], v[151:152]
	v_fma_f64 v[42:43], v[42:43], v[6:7], -v[8:9]
	scratch_load_b128 v[6:9], off, off offset:576
	s_wait_loadcnt_dscnt 0xa01
	v_mul_f64_e32 v[157:158], v[2:3], v[12:13]
	v_mul_f64_e32 v[12:13], v[4:5], v[12:13]
	v_add_f64_e32 v[151:152], 0, v[153:154]
	v_add_f64_e32 v[153:154], 0, v[155:156]
	s_wait_loadcnt_dscnt 0x900
	v_mul_f64_e32 v[155:156], v[147:148], v[16:17]
	v_mul_f64_e32 v[16:17], v[149:150], v[16:17]
	v_fma_f64 v[157:158], v[4:5], v[10:11], v[157:158]
	v_fma_f64 v[159:160], v[2:3], v[10:11], -v[12:13]
	ds_load_b128 v[2:5], v1 offset:1184
	scratch_load_b128 v[10:13], off, off offset:592
	v_add_f64_e32 v[151:152], v[151:152], v[42:43]
	v_add_f64_e32 v[153:154], v[153:154], v[44:45]
	ds_load_b128 v[42:45], v1 offset:1200
	v_fma_f64 v[149:150], v[149:150], v[14:15], v[155:156]
	v_fma_f64 v[147:148], v[147:148], v[14:15], -v[16:17]
	scratch_load_b128 v[14:17], off, off offset:608
	s_wait_loadcnt_dscnt 0xa01
	v_mul_f64_e32 v[161:162], v[2:3], v[20:21]
	v_mul_f64_e32 v[20:21], v[4:5], v[20:21]
	s_wait_loadcnt_dscnt 0x900
	v_mul_f64_e32 v[155:156], v[42:43], v[24:25]
	v_mul_f64_e32 v[24:25], v[44:45], v[24:25]
	v_add_f64_e32 v[151:152], v[151:152], v[159:160]
	v_add_f64_e32 v[153:154], v[153:154], v[157:158]
	v_fma_f64 v[157:158], v[4:5], v[18:19], v[161:162]
	v_fma_f64 v[159:160], v[2:3], v[18:19], -v[20:21]
	ds_load_b128 v[2:5], v1 offset:1216
	scratch_load_b128 v[18:21], off, off offset:624
	v_fma_f64 v[44:45], v[44:45], v[22:23], v[155:156]
	v_fma_f64 v[42:43], v[42:43], v[22:23], -v[24:25]
	scratch_load_b128 v[22:25], off, off offset:640
	v_add_f64_e32 v[151:152], v[151:152], v[147:148]
	v_add_f64_e32 v[153:154], v[153:154], v[149:150]
	ds_load_b128 v[147:150], v1 offset:1232
	s_wait_loadcnt_dscnt 0xa01
	v_mul_f64_e32 v[161:162], v[2:3], v[28:29]
	v_mul_f64_e32 v[28:29], v[4:5], v[28:29]
	s_wait_loadcnt_dscnt 0x900
	v_mul_f64_e32 v[155:156], v[147:148], v[32:33]
	v_mul_f64_e32 v[32:33], v[149:150], v[32:33]
	v_add_f64_e32 v[151:152], v[151:152], v[159:160]
	v_add_f64_e32 v[153:154], v[153:154], v[157:158]
	v_fma_f64 v[157:158], v[4:5], v[26:27], v[161:162]
	v_fma_f64 v[159:160], v[2:3], v[26:27], -v[28:29]
	ds_load_b128 v[2:5], v1 offset:1248
	scratch_load_b128 v[26:29], off, off offset:656
	v_fma_f64 v[149:150], v[149:150], v[30:31], v[155:156]
	v_fma_f64 v[147:148], v[147:148], v[30:31], -v[32:33]
	scratch_load_b128 v[30:33], off, off offset:672
	v_add_f64_e32 v[151:152], v[151:152], v[42:43]
	v_add_f64_e32 v[153:154], v[153:154], v[44:45]
	ds_load_b128 v[42:45], v1 offset:1264
	s_wait_loadcnt_dscnt 0xa01
	v_mul_f64_e32 v[161:162], v[2:3], v[36:37]
	v_mul_f64_e32 v[36:37], v[4:5], v[36:37]
	s_wait_loadcnt_dscnt 0x800
	v_mul_f64_e32 v[155:156], v[42:43], v[145:146]
	v_add_f64_e32 v[151:152], v[151:152], v[159:160]
	v_add_f64_e32 v[153:154], v[153:154], v[157:158]
	v_mul_f64_e32 v[157:158], v[44:45], v[145:146]
	v_fma_f64 v[159:160], v[4:5], v[34:35], v[161:162]
	v_fma_f64 v[161:162], v[2:3], v[34:35], -v[36:37]
	ds_load_b128 v[2:5], v1 offset:1280
	scratch_load_b128 v[34:37], off, off offset:688
	v_fma_f64 v[44:45], v[44:45], v[143:144], v[155:156]
	v_add_f64_e32 v[151:152], v[151:152], v[147:148]
	v_add_f64_e32 v[149:150], v[153:154], v[149:150]
	ds_load_b128 v[145:148], v1 offset:1296
	v_fma_f64 v[143:144], v[42:43], v[143:144], -v[157:158]
	s_wait_loadcnt_dscnt 0x801
	v_mul_f64_e32 v[153:154], v[2:3], v[40:41]
	v_mul_f64_e32 v[163:164], v[4:5], v[40:41]
	scratch_load_b128 v[40:43], off, off offset:704
	s_wait_loadcnt_dscnt 0x800
	v_mul_f64_e32 v[157:158], v[145:146], v[8:9]
	v_mul_f64_e32 v[8:9], v[147:148], v[8:9]
	v_add_f64_e32 v[151:152], v[151:152], v[161:162]
	v_add_f64_e32 v[149:150], v[149:150], v[159:160]
	v_fma_f64 v[159:160], v[4:5], v[38:39], v[153:154]
	v_fma_f64 v[38:39], v[2:3], v[38:39], -v[163:164]
	ds_load_b128 v[2:5], v1 offset:1312
	ds_load_b128 v[153:156], v1 offset:1328
	v_fma_f64 v[147:148], v[147:148], v[6:7], v[157:158]
	v_fma_f64 v[145:146], v[145:146], v[6:7], -v[8:9]
	scratch_load_b128 v[6:9], off, off offset:736
	v_add_f64_e32 v[143:144], v[151:152], v[143:144]
	v_add_f64_e32 v[44:45], v[149:150], v[44:45]
	scratch_load_b128 v[149:152], off, off offset:720
	s_wait_loadcnt_dscnt 0x901
	v_mul_f64_e32 v[161:162], v[2:3], v[12:13]
	v_mul_f64_e32 v[12:13], v[4:5], v[12:13]
	v_add_f64_e32 v[38:39], v[143:144], v[38:39]
	v_add_f64_e32 v[44:45], v[44:45], v[159:160]
	s_wait_loadcnt_dscnt 0x800
	v_mul_f64_e32 v[143:144], v[153:154], v[16:17]
	v_mul_f64_e32 v[16:17], v[155:156], v[16:17]
	v_fma_f64 v[157:158], v[4:5], v[10:11], v[161:162]
	v_fma_f64 v[159:160], v[2:3], v[10:11], -v[12:13]
	ds_load_b128 v[2:5], v1 offset:1344
	ds_load_b128 v[10:13], v1 offset:1360
	v_add_f64_e32 v[38:39], v[38:39], v[145:146]
	v_add_f64_e32 v[44:45], v[44:45], v[147:148]
	s_wait_loadcnt_dscnt 0x701
	v_mul_f64_e32 v[145:146], v[2:3], v[20:21]
	v_mul_f64_e32 v[20:21], v[4:5], v[20:21]
	v_fma_f64 v[143:144], v[155:156], v[14:15], v[143:144]
	v_fma_f64 v[14:15], v[153:154], v[14:15], -v[16:17]
	v_add_f64_e32 v[16:17], v[38:39], v[159:160]
	v_add_f64_e32 v[38:39], v[44:45], v[157:158]
	s_wait_loadcnt_dscnt 0x600
	v_mul_f64_e32 v[44:45], v[10:11], v[24:25]
	v_mul_f64_e32 v[24:25], v[12:13], v[24:25]
	v_fma_f64 v[145:146], v[4:5], v[18:19], v[145:146]
	v_fma_f64 v[18:19], v[2:3], v[18:19], -v[20:21]
	v_add_f64_e32 v[20:21], v[16:17], v[14:15]
	v_add_f64_e32 v[38:39], v[38:39], v[143:144]
	ds_load_b128 v[2:5], v1 offset:1376
	ds_load_b128 v[14:17], v1 offset:1392
	v_fma_f64 v[12:13], v[12:13], v[22:23], v[44:45]
	v_fma_f64 v[10:11], v[10:11], v[22:23], -v[24:25]
	s_wait_loadcnt_dscnt 0x501
	v_mul_f64_e32 v[143:144], v[2:3], v[28:29]
	v_mul_f64_e32 v[28:29], v[4:5], v[28:29]
	s_wait_loadcnt_dscnt 0x400
	v_mul_f64_e32 v[22:23], v[14:15], v[32:33]
	v_mul_f64_e32 v[24:25], v[16:17], v[32:33]
	v_add_f64_e32 v[18:19], v[20:21], v[18:19]
	v_add_f64_e32 v[20:21], v[38:39], v[145:146]
	v_fma_f64 v[32:33], v[4:5], v[26:27], v[143:144]
	v_fma_f64 v[26:27], v[2:3], v[26:27], -v[28:29]
	v_fma_f64 v[16:17], v[16:17], v[30:31], v[22:23]
	v_fma_f64 v[14:15], v[14:15], v[30:31], -v[24:25]
	v_add_f64_e32 v[18:19], v[18:19], v[10:11]
	v_add_f64_e32 v[20:21], v[20:21], v[12:13]
	ds_load_b128 v[2:5], v1 offset:1408
	ds_load_b128 v[10:13], v1 offset:1424
	s_wait_loadcnt_dscnt 0x301
	v_mul_f64_e32 v[28:29], v[2:3], v[36:37]
	v_mul_f64_e32 v[36:37], v[4:5], v[36:37]
	s_wait_loadcnt_dscnt 0x200
	v_mul_f64_e32 v[22:23], v[10:11], v[42:43]
	v_add_f64_e32 v[18:19], v[18:19], v[26:27]
	v_add_f64_e32 v[20:21], v[20:21], v[32:33]
	v_mul_f64_e32 v[24:25], v[12:13], v[42:43]
	v_fma_f64 v[26:27], v[4:5], v[34:35], v[28:29]
	v_fma_f64 v[28:29], v[2:3], v[34:35], -v[36:37]
	v_fma_f64 v[12:13], v[12:13], v[40:41], v[22:23]
	v_add_f64_e32 v[18:19], v[18:19], v[14:15]
	v_add_f64_e32 v[20:21], v[20:21], v[16:17]
	ds_load_b128 v[2:5], v1 offset:1440
	ds_load_b128 v[14:17], v1 offset:1456
	v_fma_f64 v[10:11], v[10:11], v[40:41], -v[24:25]
	s_wait_loadcnt_dscnt 0x1
	v_mul_f64_e32 v[30:31], v[2:3], v[151:152]
	v_mul_f64_e32 v[32:33], v[4:5], v[151:152]
	s_wait_dscnt 0x0
	v_mul_f64_e32 v[22:23], v[14:15], v[8:9]
	v_mul_f64_e32 v[8:9], v[16:17], v[8:9]
	v_add_f64_e32 v[18:19], v[18:19], v[28:29]
	v_add_f64_e32 v[20:21], v[20:21], v[26:27]
	v_fma_f64 v[4:5], v[4:5], v[149:150], v[30:31]
	v_fma_f64 v[1:2], v[2:3], v[149:150], -v[32:33]
	v_fma_f64 v[16:17], v[16:17], v[6:7], v[22:23]
	v_fma_f64 v[6:7], v[14:15], v[6:7], -v[8:9]
	v_add_f64_e32 v[10:11], v[18:19], v[10:11]
	v_add_f64_e32 v[12:13], v[20:21], v[12:13]
	s_delay_alu instid0(VALU_DEP_2) | instskip(NEXT) | instid1(VALU_DEP_2)
	v_add_f64_e32 v[1:2], v[10:11], v[1:2]
	v_add_f64_e32 v[3:4], v[12:13], v[4:5]
	s_delay_alu instid0(VALU_DEP_2) | instskip(NEXT) | instid1(VALU_DEP_2)
	;; [unrolled: 3-line block ×3, first 2 shown]
	v_add_f64_e64 v[1:2], v[139:140], -v[1:2]
	v_add_f64_e64 v[3:4], v[141:142], -v[3:4]
	scratch_store_b128 off, v[1:4], off offset:384
	v_cmpx_lt_u32_e32 22, v0
	s_cbranch_execz .LBB109_245
; %bb.244:
	scratch_load_b128 v[1:4], off, s37
	v_mov_b32_e32 v5, 0
	s_delay_alu instid0(VALU_DEP_1)
	v_dual_mov_b32 v6, v5 :: v_dual_mov_b32 v7, v5
	v_mov_b32_e32 v8, v5
	scratch_store_b128 off, v[5:8], off offset:368
	s_wait_loadcnt 0x0
	ds_store_b128 v138, v[1:4]
.LBB109_245:
	s_wait_alu 0xfffe
	s_or_b32 exec_lo, exec_lo, s0
	s_wait_storecnt_dscnt 0x0
	s_barrier_signal -1
	s_barrier_wait -1
	global_inv scope:SCOPE_SE
	s_clause 0x7
	scratch_load_b128 v[2:5], off, off offset:384
	scratch_load_b128 v[6:9], off, off offset:400
	;; [unrolled: 1-line block ×8, first 2 shown]
	v_mov_b32_e32 v1, 0
	s_mov_b32 s0, exec_lo
	ds_load_b128 v[34:37], v1 offset:1104
	s_clause 0x1
	scratch_load_b128 v[38:41], off, off offset:512
	scratch_load_b128 v[42:45], off, off offset:368
	ds_load_b128 v[139:142], v1 offset:1120
	scratch_load_b128 v[143:146], off, off offset:528
	s_wait_loadcnt_dscnt 0xa01
	v_mul_f64_e32 v[147:148], v[36:37], v[4:5]
	v_mul_f64_e32 v[4:5], v[34:35], v[4:5]
	s_delay_alu instid0(VALU_DEP_2) | instskip(NEXT) | instid1(VALU_DEP_2)
	v_fma_f64 v[153:154], v[34:35], v[2:3], -v[147:148]
	v_fma_f64 v[155:156], v[36:37], v[2:3], v[4:5]
	ds_load_b128 v[2:5], v1 offset:1136
	s_wait_loadcnt_dscnt 0x901
	v_mul_f64_e32 v[151:152], v[139:140], v[8:9]
	v_mul_f64_e32 v[8:9], v[141:142], v[8:9]
	scratch_load_b128 v[34:37], off, off offset:544
	ds_load_b128 v[147:150], v1 offset:1152
	s_wait_loadcnt_dscnt 0x901
	v_mul_f64_e32 v[157:158], v[2:3], v[12:13]
	v_mul_f64_e32 v[12:13], v[4:5], v[12:13]
	v_fma_f64 v[141:142], v[141:142], v[6:7], v[151:152]
	v_fma_f64 v[139:140], v[139:140], v[6:7], -v[8:9]
	v_add_f64_e32 v[151:152], 0, v[153:154]
	v_add_f64_e32 v[153:154], 0, v[155:156]
	scratch_load_b128 v[6:9], off, off offset:560
	v_fma_f64 v[157:158], v[4:5], v[10:11], v[157:158]
	v_fma_f64 v[159:160], v[2:3], v[10:11], -v[12:13]
	ds_load_b128 v[2:5], v1 offset:1168
	s_wait_loadcnt_dscnt 0x901
	v_mul_f64_e32 v[155:156], v[147:148], v[16:17]
	v_mul_f64_e32 v[16:17], v[149:150], v[16:17]
	scratch_load_b128 v[10:13], off, off offset:576
	v_add_f64_e32 v[151:152], v[151:152], v[139:140]
	v_add_f64_e32 v[153:154], v[153:154], v[141:142]
	s_wait_loadcnt_dscnt 0x900
	v_mul_f64_e32 v[161:162], v[2:3], v[20:21]
	v_mul_f64_e32 v[20:21], v[4:5], v[20:21]
	ds_load_b128 v[139:142], v1 offset:1184
	v_fma_f64 v[149:150], v[149:150], v[14:15], v[155:156]
	v_fma_f64 v[147:148], v[147:148], v[14:15], -v[16:17]
	scratch_load_b128 v[14:17], off, off offset:592
	v_add_f64_e32 v[151:152], v[151:152], v[159:160]
	v_add_f64_e32 v[153:154], v[153:154], v[157:158]
	v_fma_f64 v[157:158], v[4:5], v[18:19], v[161:162]
	v_fma_f64 v[159:160], v[2:3], v[18:19], -v[20:21]
	ds_load_b128 v[2:5], v1 offset:1200
	s_wait_loadcnt_dscnt 0x901
	v_mul_f64_e32 v[155:156], v[139:140], v[24:25]
	v_mul_f64_e32 v[24:25], v[141:142], v[24:25]
	scratch_load_b128 v[18:21], off, off offset:608
	s_wait_loadcnt_dscnt 0x900
	v_mul_f64_e32 v[161:162], v[2:3], v[28:29]
	v_mul_f64_e32 v[28:29], v[4:5], v[28:29]
	v_add_f64_e32 v[151:152], v[151:152], v[147:148]
	v_add_f64_e32 v[153:154], v[153:154], v[149:150]
	ds_load_b128 v[147:150], v1 offset:1216
	v_fma_f64 v[141:142], v[141:142], v[22:23], v[155:156]
	v_fma_f64 v[139:140], v[139:140], v[22:23], -v[24:25]
	scratch_load_b128 v[22:25], off, off offset:624
	v_add_f64_e32 v[151:152], v[151:152], v[159:160]
	v_add_f64_e32 v[153:154], v[153:154], v[157:158]
	v_fma_f64 v[157:158], v[4:5], v[26:27], v[161:162]
	v_fma_f64 v[159:160], v[2:3], v[26:27], -v[28:29]
	ds_load_b128 v[2:5], v1 offset:1232
	s_wait_loadcnt_dscnt 0x901
	v_mul_f64_e32 v[155:156], v[147:148], v[32:33]
	v_mul_f64_e32 v[32:33], v[149:150], v[32:33]
	scratch_load_b128 v[26:29], off, off offset:640
	s_wait_loadcnt_dscnt 0x900
	v_mul_f64_e32 v[161:162], v[2:3], v[40:41]
	v_mul_f64_e32 v[40:41], v[4:5], v[40:41]
	v_add_f64_e32 v[151:152], v[151:152], v[139:140]
	v_add_f64_e32 v[153:154], v[153:154], v[141:142]
	ds_load_b128 v[139:142], v1 offset:1248
	v_fma_f64 v[149:150], v[149:150], v[30:31], v[155:156]
	v_fma_f64 v[147:148], v[147:148], v[30:31], -v[32:33]
	scratch_load_b128 v[30:33], off, off offset:656
	v_add_f64_e32 v[151:152], v[151:152], v[159:160]
	v_add_f64_e32 v[153:154], v[153:154], v[157:158]
	v_fma_f64 v[159:160], v[4:5], v[38:39], v[161:162]
	v_fma_f64 v[161:162], v[2:3], v[38:39], -v[40:41]
	ds_load_b128 v[2:5], v1 offset:1264
	s_wait_loadcnt_dscnt 0x801
	v_mul_f64_e32 v[155:156], v[139:140], v[145:146]
	v_mul_f64_e32 v[157:158], v[141:142], v[145:146]
	scratch_load_b128 v[38:41], off, off offset:672
	v_add_f64_e32 v[151:152], v[151:152], v[147:148]
	v_add_f64_e32 v[149:150], v[153:154], v[149:150]
	ds_load_b128 v[145:148], v1 offset:1280
	v_fma_f64 v[155:156], v[141:142], v[143:144], v[155:156]
	v_fma_f64 v[143:144], v[139:140], v[143:144], -v[157:158]
	scratch_load_b128 v[139:142], off, off offset:688
	s_wait_loadcnt_dscnt 0x901
	v_mul_f64_e32 v[153:154], v[2:3], v[36:37]
	v_mul_f64_e32 v[36:37], v[4:5], v[36:37]
	v_add_f64_e32 v[151:152], v[151:152], v[161:162]
	v_add_f64_e32 v[149:150], v[149:150], v[159:160]
	s_delay_alu instid0(VALU_DEP_4) | instskip(NEXT) | instid1(VALU_DEP_4)
	v_fma_f64 v[153:154], v[4:5], v[34:35], v[153:154]
	v_fma_f64 v[159:160], v[2:3], v[34:35], -v[36:37]
	ds_load_b128 v[2:5], v1 offset:1296
	s_wait_loadcnt_dscnt 0x801
	v_mul_f64_e32 v[157:158], v[145:146], v[8:9]
	v_mul_f64_e32 v[8:9], v[147:148], v[8:9]
	scratch_load_b128 v[34:37], off, off offset:704
	s_wait_loadcnt_dscnt 0x800
	v_mul_f64_e32 v[161:162], v[2:3], v[12:13]
	v_add_f64_e32 v[143:144], v[151:152], v[143:144]
	v_add_f64_e32 v[155:156], v[149:150], v[155:156]
	v_mul_f64_e32 v[12:13], v[4:5], v[12:13]
	ds_load_b128 v[149:152], v1 offset:1312
	v_fma_f64 v[147:148], v[147:148], v[6:7], v[157:158]
	v_fma_f64 v[145:146], v[145:146], v[6:7], -v[8:9]
	scratch_load_b128 v[6:9], off, off offset:720
	v_fma_f64 v[157:158], v[4:5], v[10:11], v[161:162]
	v_add_f64_e32 v[143:144], v[143:144], v[159:160]
	v_add_f64_e32 v[153:154], v[155:156], v[153:154]
	v_fma_f64 v[159:160], v[2:3], v[10:11], -v[12:13]
	ds_load_b128 v[2:5], v1 offset:1328
	s_wait_loadcnt_dscnt 0x801
	v_mul_f64_e32 v[155:156], v[149:150], v[16:17]
	v_mul_f64_e32 v[16:17], v[151:152], v[16:17]
	scratch_load_b128 v[10:13], off, off offset:736
	v_add_f64_e32 v[161:162], v[143:144], v[145:146]
	v_add_f64_e32 v[147:148], v[153:154], v[147:148]
	s_wait_loadcnt_dscnt 0x800
	v_mul_f64_e32 v[153:154], v[2:3], v[20:21]
	v_mul_f64_e32 v[20:21], v[4:5], v[20:21]
	v_fma_f64 v[151:152], v[151:152], v[14:15], v[155:156]
	v_fma_f64 v[14:15], v[149:150], v[14:15], -v[16:17]
	ds_load_b128 v[143:146], v1 offset:1344
	s_wait_loadcnt_dscnt 0x700
	v_mul_f64_e32 v[149:150], v[143:144], v[24:25]
	v_mul_f64_e32 v[24:25], v[145:146], v[24:25]
	v_add_f64_e32 v[16:17], v[161:162], v[159:160]
	v_add_f64_e32 v[147:148], v[147:148], v[157:158]
	v_fma_f64 v[153:154], v[4:5], v[18:19], v[153:154]
	v_fma_f64 v[18:19], v[2:3], v[18:19], -v[20:21]
	v_fma_f64 v[145:146], v[145:146], v[22:23], v[149:150]
	v_fma_f64 v[22:23], v[143:144], v[22:23], -v[24:25]
	v_add_f64_e32 v[20:21], v[16:17], v[14:15]
	v_add_f64_e32 v[147:148], v[147:148], v[151:152]
	ds_load_b128 v[2:5], v1 offset:1360
	ds_load_b128 v[14:17], v1 offset:1376
	s_wait_loadcnt_dscnt 0x601
	v_mul_f64_e32 v[151:152], v[2:3], v[28:29]
	v_mul_f64_e32 v[28:29], v[4:5], v[28:29]
	s_wait_loadcnt_dscnt 0x500
	v_mul_f64_e32 v[24:25], v[14:15], v[32:33]
	v_mul_f64_e32 v[32:33], v[16:17], v[32:33]
	v_add_f64_e32 v[18:19], v[20:21], v[18:19]
	v_add_f64_e32 v[20:21], v[147:148], v[153:154]
	v_fma_f64 v[143:144], v[4:5], v[26:27], v[151:152]
	v_fma_f64 v[26:27], v[2:3], v[26:27], -v[28:29]
	v_fma_f64 v[16:17], v[16:17], v[30:31], v[24:25]
	v_fma_f64 v[14:15], v[14:15], v[30:31], -v[32:33]
	v_add_f64_e32 v[22:23], v[18:19], v[22:23]
	v_add_f64_e32 v[28:29], v[20:21], v[145:146]
	ds_load_b128 v[2:5], v1 offset:1392
	ds_load_b128 v[18:21], v1 offset:1408
	s_wait_loadcnt_dscnt 0x401
	v_mul_f64_e32 v[145:146], v[2:3], v[40:41]
	v_mul_f64_e32 v[40:41], v[4:5], v[40:41]
	v_add_f64_e32 v[22:23], v[22:23], v[26:27]
	v_add_f64_e32 v[24:25], v[28:29], v[143:144]
	s_wait_loadcnt_dscnt 0x300
	v_mul_f64_e32 v[26:27], v[18:19], v[141:142]
	v_mul_f64_e32 v[28:29], v[20:21], v[141:142]
	v_fma_f64 v[30:31], v[4:5], v[38:39], v[145:146]
	v_fma_f64 v[32:33], v[2:3], v[38:39], -v[40:41]
	v_add_f64_e32 v[22:23], v[22:23], v[14:15]
	v_add_f64_e32 v[24:25], v[24:25], v[16:17]
	ds_load_b128 v[2:5], v1 offset:1424
	ds_load_b128 v[14:17], v1 offset:1440
	v_fma_f64 v[20:21], v[20:21], v[139:140], v[26:27]
	v_fma_f64 v[18:19], v[18:19], v[139:140], -v[28:29]
	s_wait_loadcnt_dscnt 0x201
	v_mul_f64_e32 v[38:39], v[2:3], v[36:37]
	v_mul_f64_e32 v[36:37], v[4:5], v[36:37]
	s_wait_loadcnt_dscnt 0x100
	v_mul_f64_e32 v[26:27], v[14:15], v[8:9]
	v_mul_f64_e32 v[8:9], v[16:17], v[8:9]
	v_add_f64_e32 v[22:23], v[22:23], v[32:33]
	v_add_f64_e32 v[24:25], v[24:25], v[30:31]
	v_fma_f64 v[28:29], v[4:5], v[34:35], v[38:39]
	v_fma_f64 v[30:31], v[2:3], v[34:35], -v[36:37]
	ds_load_b128 v[2:5], v1 offset:1456
	v_fma_f64 v[16:17], v[16:17], v[6:7], v[26:27]
	v_fma_f64 v[6:7], v[14:15], v[6:7], -v[8:9]
	v_add_f64_e32 v[18:19], v[22:23], v[18:19]
	v_add_f64_e32 v[20:21], v[24:25], v[20:21]
	s_wait_loadcnt_dscnt 0x0
	v_mul_f64_e32 v[22:23], v[2:3], v[12:13]
	v_mul_f64_e32 v[12:13], v[4:5], v[12:13]
	s_delay_alu instid0(VALU_DEP_4) | instskip(NEXT) | instid1(VALU_DEP_4)
	v_add_f64_e32 v[8:9], v[18:19], v[30:31]
	v_add_f64_e32 v[14:15], v[20:21], v[28:29]
	s_delay_alu instid0(VALU_DEP_4) | instskip(NEXT) | instid1(VALU_DEP_4)
	v_fma_f64 v[4:5], v[4:5], v[10:11], v[22:23]
	v_fma_f64 v[2:3], v[2:3], v[10:11], -v[12:13]
	s_delay_alu instid0(VALU_DEP_4) | instskip(NEXT) | instid1(VALU_DEP_4)
	v_add_f64_e32 v[6:7], v[8:9], v[6:7]
	v_add_f64_e32 v[8:9], v[14:15], v[16:17]
	s_delay_alu instid0(VALU_DEP_2) | instskip(NEXT) | instid1(VALU_DEP_2)
	v_add_f64_e32 v[2:3], v[6:7], v[2:3]
	v_add_f64_e32 v[4:5], v[8:9], v[4:5]
	s_delay_alu instid0(VALU_DEP_2) | instskip(NEXT) | instid1(VALU_DEP_2)
	v_add_f64_e64 v[2:3], v[42:43], -v[2:3]
	v_add_f64_e64 v[4:5], v[44:45], -v[4:5]
	scratch_store_b128 off, v[2:5], off offset:368
	v_cmpx_lt_u32_e32 21, v0
	s_cbranch_execz .LBB109_247
; %bb.246:
	scratch_load_b128 v[5:8], off, s38
	v_dual_mov_b32 v2, v1 :: v_dual_mov_b32 v3, v1
	v_mov_b32_e32 v4, v1
	scratch_store_b128 off, v[1:4], off offset:352
	s_wait_loadcnt 0x0
	ds_store_b128 v138, v[5:8]
.LBB109_247:
	s_wait_alu 0xfffe
	s_or_b32 exec_lo, exec_lo, s0
	s_wait_storecnt_dscnt 0x0
	s_barrier_signal -1
	s_barrier_wait -1
	global_inv scope:SCOPE_SE
	s_clause 0x8
	scratch_load_b128 v[2:5], off, off offset:368
	scratch_load_b128 v[6:9], off, off offset:384
	;; [unrolled: 1-line block ×9, first 2 shown]
	ds_load_b128 v[38:41], v1 offset:1088
	ds_load_b128 v[42:45], v1 offset:1104
	s_clause 0x1
	scratch_load_b128 v[139:142], off, off offset:352
	scratch_load_b128 v[143:146], off, off offset:512
	s_mov_b32 s0, exec_lo
	s_wait_loadcnt_dscnt 0xa01
	v_mul_f64_e32 v[147:148], v[40:41], v[4:5]
	v_mul_f64_e32 v[4:5], v[38:39], v[4:5]
	s_wait_loadcnt_dscnt 0x900
	v_mul_f64_e32 v[151:152], v[42:43], v[8:9]
	v_mul_f64_e32 v[8:9], v[44:45], v[8:9]
	s_delay_alu instid0(VALU_DEP_4) | instskip(NEXT) | instid1(VALU_DEP_4)
	v_fma_f64 v[153:154], v[38:39], v[2:3], -v[147:148]
	v_fma_f64 v[155:156], v[40:41], v[2:3], v[4:5]
	ds_load_b128 v[2:5], v1 offset:1120
	ds_load_b128 v[147:150], v1 offset:1136
	scratch_load_b128 v[38:41], off, off offset:528
	v_fma_f64 v[44:45], v[44:45], v[6:7], v[151:152]
	v_fma_f64 v[42:43], v[42:43], v[6:7], -v[8:9]
	scratch_load_b128 v[6:9], off, off offset:544
	s_wait_loadcnt_dscnt 0xa01
	v_mul_f64_e32 v[157:158], v[2:3], v[12:13]
	v_mul_f64_e32 v[12:13], v[4:5], v[12:13]
	v_add_f64_e32 v[151:152], 0, v[153:154]
	v_add_f64_e32 v[153:154], 0, v[155:156]
	s_wait_loadcnt_dscnt 0x900
	v_mul_f64_e32 v[155:156], v[147:148], v[16:17]
	v_mul_f64_e32 v[16:17], v[149:150], v[16:17]
	v_fma_f64 v[157:158], v[4:5], v[10:11], v[157:158]
	v_fma_f64 v[159:160], v[2:3], v[10:11], -v[12:13]
	ds_load_b128 v[2:5], v1 offset:1152
	scratch_load_b128 v[10:13], off, off offset:560
	v_add_f64_e32 v[151:152], v[151:152], v[42:43]
	v_add_f64_e32 v[153:154], v[153:154], v[44:45]
	ds_load_b128 v[42:45], v1 offset:1168
	v_fma_f64 v[149:150], v[149:150], v[14:15], v[155:156]
	v_fma_f64 v[147:148], v[147:148], v[14:15], -v[16:17]
	scratch_load_b128 v[14:17], off, off offset:576
	s_wait_loadcnt_dscnt 0xa01
	v_mul_f64_e32 v[161:162], v[2:3], v[20:21]
	v_mul_f64_e32 v[20:21], v[4:5], v[20:21]
	s_wait_loadcnt_dscnt 0x900
	v_mul_f64_e32 v[155:156], v[42:43], v[24:25]
	v_mul_f64_e32 v[24:25], v[44:45], v[24:25]
	v_add_f64_e32 v[151:152], v[151:152], v[159:160]
	v_add_f64_e32 v[153:154], v[153:154], v[157:158]
	v_fma_f64 v[157:158], v[4:5], v[18:19], v[161:162]
	v_fma_f64 v[159:160], v[2:3], v[18:19], -v[20:21]
	ds_load_b128 v[2:5], v1 offset:1184
	scratch_load_b128 v[18:21], off, off offset:592
	v_fma_f64 v[44:45], v[44:45], v[22:23], v[155:156]
	v_fma_f64 v[42:43], v[42:43], v[22:23], -v[24:25]
	scratch_load_b128 v[22:25], off, off offset:608
	v_add_f64_e32 v[151:152], v[151:152], v[147:148]
	v_add_f64_e32 v[153:154], v[153:154], v[149:150]
	ds_load_b128 v[147:150], v1 offset:1200
	s_wait_loadcnt_dscnt 0xa01
	v_mul_f64_e32 v[161:162], v[2:3], v[28:29]
	v_mul_f64_e32 v[28:29], v[4:5], v[28:29]
	s_wait_loadcnt_dscnt 0x900
	v_mul_f64_e32 v[155:156], v[147:148], v[32:33]
	v_mul_f64_e32 v[32:33], v[149:150], v[32:33]
	v_add_f64_e32 v[151:152], v[151:152], v[159:160]
	v_add_f64_e32 v[153:154], v[153:154], v[157:158]
	v_fma_f64 v[157:158], v[4:5], v[26:27], v[161:162]
	v_fma_f64 v[159:160], v[2:3], v[26:27], -v[28:29]
	ds_load_b128 v[2:5], v1 offset:1216
	scratch_load_b128 v[26:29], off, off offset:624
	v_fma_f64 v[149:150], v[149:150], v[30:31], v[155:156]
	v_fma_f64 v[147:148], v[147:148], v[30:31], -v[32:33]
	scratch_load_b128 v[30:33], off, off offset:640
	v_add_f64_e32 v[151:152], v[151:152], v[42:43]
	v_add_f64_e32 v[153:154], v[153:154], v[44:45]
	ds_load_b128 v[42:45], v1 offset:1232
	s_wait_loadcnt_dscnt 0xa01
	v_mul_f64_e32 v[161:162], v[2:3], v[36:37]
	v_mul_f64_e32 v[36:37], v[4:5], v[36:37]
	s_wait_loadcnt_dscnt 0x800
	v_mul_f64_e32 v[155:156], v[42:43], v[145:146]
	v_add_f64_e32 v[151:152], v[151:152], v[159:160]
	v_add_f64_e32 v[153:154], v[153:154], v[157:158]
	v_mul_f64_e32 v[157:158], v[44:45], v[145:146]
	v_fma_f64 v[159:160], v[4:5], v[34:35], v[161:162]
	v_fma_f64 v[161:162], v[2:3], v[34:35], -v[36:37]
	ds_load_b128 v[2:5], v1 offset:1248
	scratch_load_b128 v[34:37], off, off offset:656
	v_fma_f64 v[44:45], v[44:45], v[143:144], v[155:156]
	v_add_f64_e32 v[151:152], v[151:152], v[147:148]
	v_add_f64_e32 v[149:150], v[153:154], v[149:150]
	ds_load_b128 v[145:148], v1 offset:1264
	v_fma_f64 v[143:144], v[42:43], v[143:144], -v[157:158]
	s_wait_loadcnt_dscnt 0x801
	v_mul_f64_e32 v[153:154], v[2:3], v[40:41]
	v_mul_f64_e32 v[163:164], v[4:5], v[40:41]
	scratch_load_b128 v[40:43], off, off offset:672
	s_wait_loadcnt_dscnt 0x800
	v_mul_f64_e32 v[157:158], v[145:146], v[8:9]
	v_mul_f64_e32 v[8:9], v[147:148], v[8:9]
	v_add_f64_e32 v[151:152], v[151:152], v[161:162]
	v_add_f64_e32 v[149:150], v[149:150], v[159:160]
	v_fma_f64 v[159:160], v[4:5], v[38:39], v[153:154]
	v_fma_f64 v[38:39], v[2:3], v[38:39], -v[163:164]
	ds_load_b128 v[2:5], v1 offset:1280
	ds_load_b128 v[153:156], v1 offset:1296
	v_fma_f64 v[147:148], v[147:148], v[6:7], v[157:158]
	v_fma_f64 v[145:146], v[145:146], v[6:7], -v[8:9]
	scratch_load_b128 v[6:9], off, off offset:704
	v_add_f64_e32 v[143:144], v[151:152], v[143:144]
	v_add_f64_e32 v[44:45], v[149:150], v[44:45]
	scratch_load_b128 v[149:152], off, off offset:688
	s_wait_loadcnt_dscnt 0x901
	v_mul_f64_e32 v[161:162], v[2:3], v[12:13]
	v_mul_f64_e32 v[12:13], v[4:5], v[12:13]
	s_wait_loadcnt_dscnt 0x800
	v_mul_f64_e32 v[157:158], v[153:154], v[16:17]
	v_mul_f64_e32 v[16:17], v[155:156], v[16:17]
	v_add_f64_e32 v[38:39], v[143:144], v[38:39]
	v_add_f64_e32 v[44:45], v[44:45], v[159:160]
	v_fma_f64 v[159:160], v[4:5], v[10:11], v[161:162]
	v_fma_f64 v[161:162], v[2:3], v[10:11], -v[12:13]
	ds_load_b128 v[2:5], v1 offset:1312
	scratch_load_b128 v[10:13], off, off offset:720
	v_fma_f64 v[155:156], v[155:156], v[14:15], v[157:158]
	v_fma_f64 v[153:154], v[153:154], v[14:15], -v[16:17]
	scratch_load_b128 v[14:17], off, off offset:736
	v_add_f64_e32 v[38:39], v[38:39], v[145:146]
	v_add_f64_e32 v[44:45], v[44:45], v[147:148]
	ds_load_b128 v[143:146], v1 offset:1328
	s_wait_loadcnt_dscnt 0x901
	v_mul_f64_e32 v[147:148], v[2:3], v[20:21]
	v_mul_f64_e32 v[20:21], v[4:5], v[20:21]
	s_wait_loadcnt_dscnt 0x800
	v_mul_f64_e32 v[157:158], v[143:144], v[24:25]
	v_mul_f64_e32 v[24:25], v[145:146], v[24:25]
	v_add_f64_e32 v[38:39], v[38:39], v[161:162]
	v_add_f64_e32 v[44:45], v[44:45], v[159:160]
	v_fma_f64 v[147:148], v[4:5], v[18:19], v[147:148]
	v_fma_f64 v[159:160], v[2:3], v[18:19], -v[20:21]
	ds_load_b128 v[2:5], v1 offset:1344
	ds_load_b128 v[18:21], v1 offset:1360
	v_fma_f64 v[145:146], v[145:146], v[22:23], v[157:158]
	v_fma_f64 v[22:23], v[143:144], v[22:23], -v[24:25]
	v_add_f64_e32 v[38:39], v[38:39], v[153:154]
	v_add_f64_e32 v[44:45], v[44:45], v[155:156]
	s_wait_loadcnt_dscnt 0x701
	v_mul_f64_e32 v[153:154], v[2:3], v[28:29]
	v_mul_f64_e32 v[28:29], v[4:5], v[28:29]
	s_delay_alu instid0(VALU_DEP_4) | instskip(NEXT) | instid1(VALU_DEP_4)
	v_add_f64_e32 v[24:25], v[38:39], v[159:160]
	v_add_f64_e32 v[38:39], v[44:45], v[147:148]
	s_wait_loadcnt_dscnt 0x600
	v_mul_f64_e32 v[44:45], v[18:19], v[32:33]
	v_mul_f64_e32 v[32:33], v[20:21], v[32:33]
	v_fma_f64 v[143:144], v[4:5], v[26:27], v[153:154]
	v_fma_f64 v[26:27], v[2:3], v[26:27], -v[28:29]
	v_add_f64_e32 v[28:29], v[24:25], v[22:23]
	v_add_f64_e32 v[38:39], v[38:39], v[145:146]
	ds_load_b128 v[2:5], v1 offset:1376
	ds_load_b128 v[22:25], v1 offset:1392
	v_fma_f64 v[20:21], v[20:21], v[30:31], v[44:45]
	v_fma_f64 v[18:19], v[18:19], v[30:31], -v[32:33]
	s_wait_loadcnt_dscnt 0x501
	v_mul_f64_e32 v[145:146], v[2:3], v[36:37]
	v_mul_f64_e32 v[36:37], v[4:5], v[36:37]
	s_wait_loadcnt_dscnt 0x400
	v_mul_f64_e32 v[30:31], v[22:23], v[42:43]
	v_add_f64_e32 v[26:27], v[28:29], v[26:27]
	v_add_f64_e32 v[28:29], v[38:39], v[143:144]
	v_mul_f64_e32 v[32:33], v[24:25], v[42:43]
	v_fma_f64 v[38:39], v[4:5], v[34:35], v[145:146]
	v_fma_f64 v[34:35], v[2:3], v[34:35], -v[36:37]
	v_fma_f64 v[24:25], v[24:25], v[40:41], v[30:31]
	v_add_f64_e32 v[26:27], v[26:27], v[18:19]
	v_add_f64_e32 v[28:29], v[28:29], v[20:21]
	ds_load_b128 v[2:5], v1 offset:1408
	ds_load_b128 v[18:21], v1 offset:1424
	v_fma_f64 v[22:23], v[22:23], v[40:41], -v[32:33]
	s_wait_loadcnt_dscnt 0x201
	v_mul_f64_e32 v[36:37], v[2:3], v[151:152]
	v_mul_f64_e32 v[42:43], v[4:5], v[151:152]
	s_wait_dscnt 0x0
	v_mul_f64_e32 v[30:31], v[18:19], v[8:9]
	v_mul_f64_e32 v[8:9], v[20:21], v[8:9]
	v_add_f64_e32 v[26:27], v[26:27], v[34:35]
	v_add_f64_e32 v[28:29], v[28:29], v[38:39]
	v_fma_f64 v[32:33], v[4:5], v[149:150], v[36:37]
	v_fma_f64 v[34:35], v[2:3], v[149:150], -v[42:43]
	v_fma_f64 v[20:21], v[20:21], v[6:7], v[30:31]
	v_fma_f64 v[6:7], v[18:19], v[6:7], -v[8:9]
	v_add_f64_e32 v[26:27], v[26:27], v[22:23]
	v_add_f64_e32 v[28:29], v[28:29], v[24:25]
	ds_load_b128 v[2:5], v1 offset:1440
	ds_load_b128 v[22:25], v1 offset:1456
	s_wait_loadcnt_dscnt 0x101
	v_mul_f64_e32 v[36:37], v[2:3], v[12:13]
	v_mul_f64_e32 v[12:13], v[4:5], v[12:13]
	v_add_f64_e32 v[8:9], v[26:27], v[34:35]
	v_add_f64_e32 v[18:19], v[28:29], v[32:33]
	s_wait_loadcnt_dscnt 0x0
	v_mul_f64_e32 v[26:27], v[22:23], v[16:17]
	v_mul_f64_e32 v[16:17], v[24:25], v[16:17]
	v_fma_f64 v[4:5], v[4:5], v[10:11], v[36:37]
	v_fma_f64 v[1:2], v[2:3], v[10:11], -v[12:13]
	v_add_f64_e32 v[6:7], v[8:9], v[6:7]
	v_add_f64_e32 v[8:9], v[18:19], v[20:21]
	v_fma_f64 v[10:11], v[24:25], v[14:15], v[26:27]
	v_fma_f64 v[12:13], v[22:23], v[14:15], -v[16:17]
	s_delay_alu instid0(VALU_DEP_4) | instskip(NEXT) | instid1(VALU_DEP_4)
	v_add_f64_e32 v[1:2], v[6:7], v[1:2]
	v_add_f64_e32 v[3:4], v[8:9], v[4:5]
	s_delay_alu instid0(VALU_DEP_2) | instskip(NEXT) | instid1(VALU_DEP_2)
	v_add_f64_e32 v[1:2], v[1:2], v[12:13]
	v_add_f64_e32 v[3:4], v[3:4], v[10:11]
	s_delay_alu instid0(VALU_DEP_2) | instskip(NEXT) | instid1(VALU_DEP_2)
	v_add_f64_e64 v[1:2], v[139:140], -v[1:2]
	v_add_f64_e64 v[3:4], v[141:142], -v[3:4]
	scratch_store_b128 off, v[1:4], off offset:352
	v_cmpx_lt_u32_e32 20, v0
	s_cbranch_execz .LBB109_249
; %bb.248:
	scratch_load_b128 v[1:4], off, s39
	v_mov_b32_e32 v5, 0
	s_delay_alu instid0(VALU_DEP_1)
	v_dual_mov_b32 v6, v5 :: v_dual_mov_b32 v7, v5
	v_mov_b32_e32 v8, v5
	scratch_store_b128 off, v[5:8], off offset:336
	s_wait_loadcnt 0x0
	ds_store_b128 v138, v[1:4]
.LBB109_249:
	s_wait_alu 0xfffe
	s_or_b32 exec_lo, exec_lo, s0
	s_wait_storecnt_dscnt 0x0
	s_barrier_signal -1
	s_barrier_wait -1
	global_inv scope:SCOPE_SE
	s_clause 0x7
	scratch_load_b128 v[2:5], off, off offset:352
	scratch_load_b128 v[6:9], off, off offset:368
	;; [unrolled: 1-line block ×8, first 2 shown]
	v_mov_b32_e32 v1, 0
	s_mov_b32 s0, exec_lo
	ds_load_b128 v[34:37], v1 offset:1072
	s_clause 0x1
	scratch_load_b128 v[38:41], off, off offset:480
	scratch_load_b128 v[42:45], off, off offset:336
	ds_load_b128 v[139:142], v1 offset:1088
	scratch_load_b128 v[143:146], off, off offset:496
	s_wait_loadcnt_dscnt 0xa01
	v_mul_f64_e32 v[147:148], v[36:37], v[4:5]
	v_mul_f64_e32 v[4:5], v[34:35], v[4:5]
	s_delay_alu instid0(VALU_DEP_2) | instskip(NEXT) | instid1(VALU_DEP_2)
	v_fma_f64 v[153:154], v[34:35], v[2:3], -v[147:148]
	v_fma_f64 v[155:156], v[36:37], v[2:3], v[4:5]
	ds_load_b128 v[2:5], v1 offset:1104
	s_wait_loadcnt_dscnt 0x901
	v_mul_f64_e32 v[151:152], v[139:140], v[8:9]
	v_mul_f64_e32 v[8:9], v[141:142], v[8:9]
	scratch_load_b128 v[34:37], off, off offset:512
	ds_load_b128 v[147:150], v1 offset:1120
	s_wait_loadcnt_dscnt 0x901
	v_mul_f64_e32 v[157:158], v[2:3], v[12:13]
	v_mul_f64_e32 v[12:13], v[4:5], v[12:13]
	v_fma_f64 v[141:142], v[141:142], v[6:7], v[151:152]
	v_fma_f64 v[139:140], v[139:140], v[6:7], -v[8:9]
	v_add_f64_e32 v[151:152], 0, v[153:154]
	v_add_f64_e32 v[153:154], 0, v[155:156]
	scratch_load_b128 v[6:9], off, off offset:528
	v_fma_f64 v[157:158], v[4:5], v[10:11], v[157:158]
	v_fma_f64 v[159:160], v[2:3], v[10:11], -v[12:13]
	ds_load_b128 v[2:5], v1 offset:1136
	s_wait_loadcnt_dscnt 0x901
	v_mul_f64_e32 v[155:156], v[147:148], v[16:17]
	v_mul_f64_e32 v[16:17], v[149:150], v[16:17]
	scratch_load_b128 v[10:13], off, off offset:544
	v_add_f64_e32 v[151:152], v[151:152], v[139:140]
	v_add_f64_e32 v[153:154], v[153:154], v[141:142]
	s_wait_loadcnt_dscnt 0x900
	v_mul_f64_e32 v[161:162], v[2:3], v[20:21]
	v_mul_f64_e32 v[20:21], v[4:5], v[20:21]
	ds_load_b128 v[139:142], v1 offset:1152
	v_fma_f64 v[149:150], v[149:150], v[14:15], v[155:156]
	v_fma_f64 v[147:148], v[147:148], v[14:15], -v[16:17]
	scratch_load_b128 v[14:17], off, off offset:560
	v_add_f64_e32 v[151:152], v[151:152], v[159:160]
	v_add_f64_e32 v[153:154], v[153:154], v[157:158]
	v_fma_f64 v[157:158], v[4:5], v[18:19], v[161:162]
	v_fma_f64 v[159:160], v[2:3], v[18:19], -v[20:21]
	ds_load_b128 v[2:5], v1 offset:1168
	s_wait_loadcnt_dscnt 0x901
	v_mul_f64_e32 v[155:156], v[139:140], v[24:25]
	v_mul_f64_e32 v[24:25], v[141:142], v[24:25]
	scratch_load_b128 v[18:21], off, off offset:576
	s_wait_loadcnt_dscnt 0x900
	v_mul_f64_e32 v[161:162], v[2:3], v[28:29]
	v_mul_f64_e32 v[28:29], v[4:5], v[28:29]
	v_add_f64_e32 v[151:152], v[151:152], v[147:148]
	v_add_f64_e32 v[153:154], v[153:154], v[149:150]
	ds_load_b128 v[147:150], v1 offset:1184
	v_fma_f64 v[141:142], v[141:142], v[22:23], v[155:156]
	v_fma_f64 v[139:140], v[139:140], v[22:23], -v[24:25]
	scratch_load_b128 v[22:25], off, off offset:592
	v_add_f64_e32 v[151:152], v[151:152], v[159:160]
	v_add_f64_e32 v[153:154], v[153:154], v[157:158]
	v_fma_f64 v[157:158], v[4:5], v[26:27], v[161:162]
	v_fma_f64 v[159:160], v[2:3], v[26:27], -v[28:29]
	ds_load_b128 v[2:5], v1 offset:1200
	s_wait_loadcnt_dscnt 0x901
	v_mul_f64_e32 v[155:156], v[147:148], v[32:33]
	v_mul_f64_e32 v[32:33], v[149:150], v[32:33]
	scratch_load_b128 v[26:29], off, off offset:608
	s_wait_loadcnt_dscnt 0x900
	v_mul_f64_e32 v[161:162], v[2:3], v[40:41]
	v_mul_f64_e32 v[40:41], v[4:5], v[40:41]
	v_add_f64_e32 v[151:152], v[151:152], v[139:140]
	v_add_f64_e32 v[153:154], v[153:154], v[141:142]
	ds_load_b128 v[139:142], v1 offset:1216
	v_fma_f64 v[149:150], v[149:150], v[30:31], v[155:156]
	v_fma_f64 v[147:148], v[147:148], v[30:31], -v[32:33]
	scratch_load_b128 v[30:33], off, off offset:624
	v_add_f64_e32 v[151:152], v[151:152], v[159:160]
	v_add_f64_e32 v[153:154], v[153:154], v[157:158]
	v_fma_f64 v[159:160], v[4:5], v[38:39], v[161:162]
	v_fma_f64 v[161:162], v[2:3], v[38:39], -v[40:41]
	ds_load_b128 v[2:5], v1 offset:1232
	s_wait_loadcnt_dscnt 0x801
	v_mul_f64_e32 v[155:156], v[139:140], v[145:146]
	v_mul_f64_e32 v[157:158], v[141:142], v[145:146]
	scratch_load_b128 v[38:41], off, off offset:640
	v_add_f64_e32 v[151:152], v[151:152], v[147:148]
	v_add_f64_e32 v[149:150], v[153:154], v[149:150]
	ds_load_b128 v[145:148], v1 offset:1248
	v_fma_f64 v[155:156], v[141:142], v[143:144], v[155:156]
	v_fma_f64 v[143:144], v[139:140], v[143:144], -v[157:158]
	scratch_load_b128 v[139:142], off, off offset:656
	s_wait_loadcnt_dscnt 0x901
	v_mul_f64_e32 v[153:154], v[2:3], v[36:37]
	v_mul_f64_e32 v[36:37], v[4:5], v[36:37]
	v_add_f64_e32 v[151:152], v[151:152], v[161:162]
	v_add_f64_e32 v[149:150], v[149:150], v[159:160]
	s_delay_alu instid0(VALU_DEP_4) | instskip(NEXT) | instid1(VALU_DEP_4)
	v_fma_f64 v[153:154], v[4:5], v[34:35], v[153:154]
	v_fma_f64 v[159:160], v[2:3], v[34:35], -v[36:37]
	ds_load_b128 v[2:5], v1 offset:1264
	s_wait_loadcnt_dscnt 0x801
	v_mul_f64_e32 v[157:158], v[145:146], v[8:9]
	v_mul_f64_e32 v[8:9], v[147:148], v[8:9]
	scratch_load_b128 v[34:37], off, off offset:672
	s_wait_loadcnt_dscnt 0x800
	v_mul_f64_e32 v[161:162], v[2:3], v[12:13]
	v_add_f64_e32 v[143:144], v[151:152], v[143:144]
	v_add_f64_e32 v[155:156], v[149:150], v[155:156]
	v_mul_f64_e32 v[12:13], v[4:5], v[12:13]
	ds_load_b128 v[149:152], v1 offset:1280
	v_fma_f64 v[147:148], v[147:148], v[6:7], v[157:158]
	v_fma_f64 v[145:146], v[145:146], v[6:7], -v[8:9]
	scratch_load_b128 v[6:9], off, off offset:688
	v_fma_f64 v[157:158], v[4:5], v[10:11], v[161:162]
	v_add_f64_e32 v[143:144], v[143:144], v[159:160]
	v_add_f64_e32 v[153:154], v[155:156], v[153:154]
	v_fma_f64 v[159:160], v[2:3], v[10:11], -v[12:13]
	ds_load_b128 v[2:5], v1 offset:1296
	s_wait_loadcnt_dscnt 0x801
	v_mul_f64_e32 v[155:156], v[149:150], v[16:17]
	v_mul_f64_e32 v[16:17], v[151:152], v[16:17]
	scratch_load_b128 v[10:13], off, off offset:704
	v_add_f64_e32 v[161:162], v[143:144], v[145:146]
	v_add_f64_e32 v[147:148], v[153:154], v[147:148]
	s_wait_loadcnt_dscnt 0x800
	v_mul_f64_e32 v[153:154], v[2:3], v[20:21]
	v_mul_f64_e32 v[20:21], v[4:5], v[20:21]
	v_fma_f64 v[151:152], v[151:152], v[14:15], v[155:156]
	v_fma_f64 v[149:150], v[149:150], v[14:15], -v[16:17]
	ds_load_b128 v[143:146], v1 offset:1312
	scratch_load_b128 v[14:17], off, off offset:720
	v_add_f64_e32 v[155:156], v[161:162], v[159:160]
	v_add_f64_e32 v[147:148], v[147:148], v[157:158]
	v_fma_f64 v[153:154], v[4:5], v[18:19], v[153:154]
	v_fma_f64 v[159:160], v[2:3], v[18:19], -v[20:21]
	ds_load_b128 v[2:5], v1 offset:1328
	s_wait_loadcnt_dscnt 0x801
	v_mul_f64_e32 v[157:158], v[143:144], v[24:25]
	v_mul_f64_e32 v[24:25], v[145:146], v[24:25]
	scratch_load_b128 v[18:21], off, off offset:736
	s_wait_loadcnt_dscnt 0x800
	v_mul_f64_e32 v[161:162], v[2:3], v[28:29]
	v_mul_f64_e32 v[28:29], v[4:5], v[28:29]
	v_add_f64_e32 v[155:156], v[155:156], v[149:150]
	v_add_f64_e32 v[151:152], v[147:148], v[151:152]
	ds_load_b128 v[147:150], v1 offset:1344
	v_fma_f64 v[145:146], v[145:146], v[22:23], v[157:158]
	v_fma_f64 v[22:23], v[143:144], v[22:23], -v[24:25]
	v_add_f64_e32 v[24:25], v[155:156], v[159:160]
	v_add_f64_e32 v[143:144], v[151:152], v[153:154]
	s_wait_loadcnt_dscnt 0x700
	v_mul_f64_e32 v[151:152], v[147:148], v[32:33]
	v_mul_f64_e32 v[32:33], v[149:150], v[32:33]
	v_fma_f64 v[153:154], v[4:5], v[26:27], v[161:162]
	v_fma_f64 v[26:27], v[2:3], v[26:27], -v[28:29]
	v_add_f64_e32 v[28:29], v[24:25], v[22:23]
	v_add_f64_e32 v[143:144], v[143:144], v[145:146]
	ds_load_b128 v[2:5], v1 offset:1360
	ds_load_b128 v[22:25], v1 offset:1376
	v_fma_f64 v[149:150], v[149:150], v[30:31], v[151:152]
	v_fma_f64 v[30:31], v[147:148], v[30:31], -v[32:33]
	s_wait_loadcnt_dscnt 0x601
	v_mul_f64_e32 v[145:146], v[2:3], v[40:41]
	v_mul_f64_e32 v[40:41], v[4:5], v[40:41]
	s_wait_loadcnt_dscnt 0x500
	v_mul_f64_e32 v[32:33], v[22:23], v[141:142]
	v_mul_f64_e32 v[141:142], v[24:25], v[141:142]
	v_add_f64_e32 v[26:27], v[28:29], v[26:27]
	v_add_f64_e32 v[28:29], v[143:144], v[153:154]
	v_fma_f64 v[143:144], v[4:5], v[38:39], v[145:146]
	v_fma_f64 v[38:39], v[2:3], v[38:39], -v[40:41]
	v_fma_f64 v[24:25], v[24:25], v[139:140], v[32:33]
	v_fma_f64 v[22:23], v[22:23], v[139:140], -v[141:142]
	v_add_f64_e32 v[30:31], v[26:27], v[30:31]
	v_add_f64_e32 v[40:41], v[28:29], v[149:150]
	ds_load_b128 v[2:5], v1 offset:1392
	ds_load_b128 v[26:29], v1 offset:1408
	s_wait_loadcnt_dscnt 0x401
	v_mul_f64_e32 v[145:146], v[2:3], v[36:37]
	v_mul_f64_e32 v[36:37], v[4:5], v[36:37]
	v_add_f64_e32 v[30:31], v[30:31], v[38:39]
	v_add_f64_e32 v[32:33], v[40:41], v[143:144]
	s_wait_loadcnt_dscnt 0x300
	v_mul_f64_e32 v[38:39], v[26:27], v[8:9]
	v_mul_f64_e32 v[8:9], v[28:29], v[8:9]
	v_fma_f64 v[40:41], v[4:5], v[34:35], v[145:146]
	v_fma_f64 v[34:35], v[2:3], v[34:35], -v[36:37]
	v_add_f64_e32 v[30:31], v[30:31], v[22:23]
	v_add_f64_e32 v[32:33], v[32:33], v[24:25]
	ds_load_b128 v[2:5], v1 offset:1424
	ds_load_b128 v[22:25], v1 offset:1440
	v_fma_f64 v[28:29], v[28:29], v[6:7], v[38:39]
	v_fma_f64 v[6:7], v[26:27], v[6:7], -v[8:9]
	s_wait_loadcnt_dscnt 0x201
	v_mul_f64_e32 v[36:37], v[2:3], v[12:13]
	v_mul_f64_e32 v[12:13], v[4:5], v[12:13]
	v_add_f64_e32 v[8:9], v[30:31], v[34:35]
	v_add_f64_e32 v[26:27], v[32:33], v[40:41]
	s_wait_loadcnt_dscnt 0x100
	v_mul_f64_e32 v[30:31], v[22:23], v[16:17]
	v_mul_f64_e32 v[16:17], v[24:25], v[16:17]
	v_fma_f64 v[32:33], v[4:5], v[10:11], v[36:37]
	v_fma_f64 v[10:11], v[2:3], v[10:11], -v[12:13]
	ds_load_b128 v[2:5], v1 offset:1456
	v_add_f64_e32 v[6:7], v[8:9], v[6:7]
	v_add_f64_e32 v[8:9], v[26:27], v[28:29]
	v_fma_f64 v[24:25], v[24:25], v[14:15], v[30:31]
	v_fma_f64 v[14:15], v[22:23], v[14:15], -v[16:17]
	s_wait_loadcnt_dscnt 0x0
	v_mul_f64_e32 v[12:13], v[2:3], v[20:21]
	v_mul_f64_e32 v[20:21], v[4:5], v[20:21]
	v_add_f64_e32 v[6:7], v[6:7], v[10:11]
	v_add_f64_e32 v[8:9], v[8:9], v[32:33]
	s_delay_alu instid0(VALU_DEP_4) | instskip(NEXT) | instid1(VALU_DEP_4)
	v_fma_f64 v[4:5], v[4:5], v[18:19], v[12:13]
	v_fma_f64 v[2:3], v[2:3], v[18:19], -v[20:21]
	s_delay_alu instid0(VALU_DEP_4) | instskip(NEXT) | instid1(VALU_DEP_4)
	v_add_f64_e32 v[6:7], v[6:7], v[14:15]
	v_add_f64_e32 v[8:9], v[8:9], v[24:25]
	s_delay_alu instid0(VALU_DEP_2) | instskip(NEXT) | instid1(VALU_DEP_2)
	v_add_f64_e32 v[2:3], v[6:7], v[2:3]
	v_add_f64_e32 v[4:5], v[8:9], v[4:5]
	s_delay_alu instid0(VALU_DEP_2) | instskip(NEXT) | instid1(VALU_DEP_2)
	v_add_f64_e64 v[2:3], v[42:43], -v[2:3]
	v_add_f64_e64 v[4:5], v[44:45], -v[4:5]
	scratch_store_b128 off, v[2:5], off offset:336
	v_cmpx_lt_u32_e32 19, v0
	s_cbranch_execz .LBB109_251
; %bb.250:
	scratch_load_b128 v[5:8], off, s40
	v_dual_mov_b32 v2, v1 :: v_dual_mov_b32 v3, v1
	v_mov_b32_e32 v4, v1
	scratch_store_b128 off, v[1:4], off offset:320
	s_wait_loadcnt 0x0
	ds_store_b128 v138, v[5:8]
.LBB109_251:
	s_wait_alu 0xfffe
	s_or_b32 exec_lo, exec_lo, s0
	s_wait_storecnt_dscnt 0x0
	s_barrier_signal -1
	s_barrier_wait -1
	global_inv scope:SCOPE_SE
	s_clause 0x8
	scratch_load_b128 v[2:5], off, off offset:336
	scratch_load_b128 v[6:9], off, off offset:352
	;; [unrolled: 1-line block ×9, first 2 shown]
	ds_load_b128 v[38:41], v1 offset:1056
	ds_load_b128 v[42:45], v1 offset:1072
	s_clause 0x1
	scratch_load_b128 v[139:142], off, off offset:320
	scratch_load_b128 v[143:146], off, off offset:480
	s_mov_b32 s0, exec_lo
	s_wait_loadcnt_dscnt 0xa01
	v_mul_f64_e32 v[147:148], v[40:41], v[4:5]
	v_mul_f64_e32 v[4:5], v[38:39], v[4:5]
	s_wait_loadcnt_dscnt 0x900
	v_mul_f64_e32 v[151:152], v[42:43], v[8:9]
	v_mul_f64_e32 v[8:9], v[44:45], v[8:9]
	s_delay_alu instid0(VALU_DEP_4) | instskip(NEXT) | instid1(VALU_DEP_4)
	v_fma_f64 v[153:154], v[38:39], v[2:3], -v[147:148]
	v_fma_f64 v[155:156], v[40:41], v[2:3], v[4:5]
	ds_load_b128 v[2:5], v1 offset:1088
	ds_load_b128 v[147:150], v1 offset:1104
	scratch_load_b128 v[38:41], off, off offset:496
	v_fma_f64 v[44:45], v[44:45], v[6:7], v[151:152]
	v_fma_f64 v[42:43], v[42:43], v[6:7], -v[8:9]
	scratch_load_b128 v[6:9], off, off offset:512
	s_wait_loadcnt_dscnt 0xa01
	v_mul_f64_e32 v[157:158], v[2:3], v[12:13]
	v_mul_f64_e32 v[12:13], v[4:5], v[12:13]
	v_add_f64_e32 v[151:152], 0, v[153:154]
	v_add_f64_e32 v[153:154], 0, v[155:156]
	s_wait_loadcnt_dscnt 0x900
	v_mul_f64_e32 v[155:156], v[147:148], v[16:17]
	v_mul_f64_e32 v[16:17], v[149:150], v[16:17]
	v_fma_f64 v[157:158], v[4:5], v[10:11], v[157:158]
	v_fma_f64 v[159:160], v[2:3], v[10:11], -v[12:13]
	ds_load_b128 v[2:5], v1 offset:1120
	scratch_load_b128 v[10:13], off, off offset:528
	v_add_f64_e32 v[151:152], v[151:152], v[42:43]
	v_add_f64_e32 v[153:154], v[153:154], v[44:45]
	ds_load_b128 v[42:45], v1 offset:1136
	v_fma_f64 v[149:150], v[149:150], v[14:15], v[155:156]
	v_fma_f64 v[147:148], v[147:148], v[14:15], -v[16:17]
	scratch_load_b128 v[14:17], off, off offset:544
	s_wait_loadcnt_dscnt 0xa01
	v_mul_f64_e32 v[161:162], v[2:3], v[20:21]
	v_mul_f64_e32 v[20:21], v[4:5], v[20:21]
	s_wait_loadcnt_dscnt 0x900
	v_mul_f64_e32 v[155:156], v[42:43], v[24:25]
	v_mul_f64_e32 v[24:25], v[44:45], v[24:25]
	v_add_f64_e32 v[151:152], v[151:152], v[159:160]
	v_add_f64_e32 v[153:154], v[153:154], v[157:158]
	v_fma_f64 v[157:158], v[4:5], v[18:19], v[161:162]
	v_fma_f64 v[159:160], v[2:3], v[18:19], -v[20:21]
	ds_load_b128 v[2:5], v1 offset:1152
	scratch_load_b128 v[18:21], off, off offset:560
	v_fma_f64 v[44:45], v[44:45], v[22:23], v[155:156]
	v_fma_f64 v[42:43], v[42:43], v[22:23], -v[24:25]
	scratch_load_b128 v[22:25], off, off offset:576
	v_add_f64_e32 v[151:152], v[151:152], v[147:148]
	v_add_f64_e32 v[153:154], v[153:154], v[149:150]
	ds_load_b128 v[147:150], v1 offset:1168
	s_wait_loadcnt_dscnt 0xa01
	v_mul_f64_e32 v[161:162], v[2:3], v[28:29]
	v_mul_f64_e32 v[28:29], v[4:5], v[28:29]
	s_wait_loadcnt_dscnt 0x900
	v_mul_f64_e32 v[155:156], v[147:148], v[32:33]
	v_mul_f64_e32 v[32:33], v[149:150], v[32:33]
	v_add_f64_e32 v[151:152], v[151:152], v[159:160]
	v_add_f64_e32 v[153:154], v[153:154], v[157:158]
	v_fma_f64 v[157:158], v[4:5], v[26:27], v[161:162]
	v_fma_f64 v[159:160], v[2:3], v[26:27], -v[28:29]
	ds_load_b128 v[2:5], v1 offset:1184
	scratch_load_b128 v[26:29], off, off offset:592
	v_fma_f64 v[149:150], v[149:150], v[30:31], v[155:156]
	v_fma_f64 v[147:148], v[147:148], v[30:31], -v[32:33]
	scratch_load_b128 v[30:33], off, off offset:608
	v_add_f64_e32 v[151:152], v[151:152], v[42:43]
	v_add_f64_e32 v[153:154], v[153:154], v[44:45]
	ds_load_b128 v[42:45], v1 offset:1200
	s_wait_loadcnt_dscnt 0xa01
	v_mul_f64_e32 v[161:162], v[2:3], v[36:37]
	v_mul_f64_e32 v[36:37], v[4:5], v[36:37]
	s_wait_loadcnt_dscnt 0x800
	v_mul_f64_e32 v[155:156], v[42:43], v[145:146]
	v_add_f64_e32 v[151:152], v[151:152], v[159:160]
	v_add_f64_e32 v[153:154], v[153:154], v[157:158]
	v_mul_f64_e32 v[157:158], v[44:45], v[145:146]
	v_fma_f64 v[159:160], v[4:5], v[34:35], v[161:162]
	v_fma_f64 v[161:162], v[2:3], v[34:35], -v[36:37]
	ds_load_b128 v[2:5], v1 offset:1216
	scratch_load_b128 v[34:37], off, off offset:624
	v_fma_f64 v[44:45], v[44:45], v[143:144], v[155:156]
	v_add_f64_e32 v[151:152], v[151:152], v[147:148]
	v_add_f64_e32 v[149:150], v[153:154], v[149:150]
	ds_load_b128 v[145:148], v1 offset:1232
	v_fma_f64 v[143:144], v[42:43], v[143:144], -v[157:158]
	s_wait_loadcnt_dscnt 0x801
	v_mul_f64_e32 v[153:154], v[2:3], v[40:41]
	v_mul_f64_e32 v[163:164], v[4:5], v[40:41]
	scratch_load_b128 v[40:43], off, off offset:640
	s_wait_loadcnt_dscnt 0x800
	v_mul_f64_e32 v[157:158], v[145:146], v[8:9]
	v_mul_f64_e32 v[8:9], v[147:148], v[8:9]
	v_add_f64_e32 v[151:152], v[151:152], v[161:162]
	v_add_f64_e32 v[149:150], v[149:150], v[159:160]
	v_fma_f64 v[159:160], v[4:5], v[38:39], v[153:154]
	v_fma_f64 v[38:39], v[2:3], v[38:39], -v[163:164]
	ds_load_b128 v[2:5], v1 offset:1248
	ds_load_b128 v[153:156], v1 offset:1264
	v_fma_f64 v[147:148], v[147:148], v[6:7], v[157:158]
	v_fma_f64 v[145:146], v[145:146], v[6:7], -v[8:9]
	scratch_load_b128 v[6:9], off, off offset:672
	v_add_f64_e32 v[143:144], v[151:152], v[143:144]
	v_add_f64_e32 v[44:45], v[149:150], v[44:45]
	scratch_load_b128 v[149:152], off, off offset:656
	s_wait_loadcnt_dscnt 0x901
	v_mul_f64_e32 v[161:162], v[2:3], v[12:13]
	v_mul_f64_e32 v[12:13], v[4:5], v[12:13]
	s_wait_loadcnt_dscnt 0x800
	v_mul_f64_e32 v[157:158], v[153:154], v[16:17]
	v_mul_f64_e32 v[16:17], v[155:156], v[16:17]
	v_add_f64_e32 v[38:39], v[143:144], v[38:39]
	v_add_f64_e32 v[44:45], v[44:45], v[159:160]
	v_fma_f64 v[159:160], v[4:5], v[10:11], v[161:162]
	v_fma_f64 v[161:162], v[2:3], v[10:11], -v[12:13]
	ds_load_b128 v[2:5], v1 offset:1280
	scratch_load_b128 v[10:13], off, off offset:688
	v_fma_f64 v[155:156], v[155:156], v[14:15], v[157:158]
	v_fma_f64 v[153:154], v[153:154], v[14:15], -v[16:17]
	scratch_load_b128 v[14:17], off, off offset:704
	v_add_f64_e32 v[38:39], v[38:39], v[145:146]
	v_add_f64_e32 v[44:45], v[44:45], v[147:148]
	ds_load_b128 v[143:146], v1 offset:1296
	s_wait_loadcnt_dscnt 0x901
	v_mul_f64_e32 v[147:148], v[2:3], v[20:21]
	v_mul_f64_e32 v[20:21], v[4:5], v[20:21]
	s_wait_loadcnt_dscnt 0x800
	v_mul_f64_e32 v[157:158], v[143:144], v[24:25]
	v_mul_f64_e32 v[24:25], v[145:146], v[24:25]
	v_add_f64_e32 v[38:39], v[38:39], v[161:162]
	v_add_f64_e32 v[44:45], v[44:45], v[159:160]
	v_fma_f64 v[147:148], v[4:5], v[18:19], v[147:148]
	v_fma_f64 v[159:160], v[2:3], v[18:19], -v[20:21]
	ds_load_b128 v[2:5], v1 offset:1312
	scratch_load_b128 v[18:21], off, off offset:720
	v_fma_f64 v[145:146], v[145:146], v[22:23], v[157:158]
	v_fma_f64 v[143:144], v[143:144], v[22:23], -v[24:25]
	scratch_load_b128 v[22:25], off, off offset:736
	v_add_f64_e32 v[38:39], v[38:39], v[153:154]
	v_add_f64_e32 v[44:45], v[44:45], v[155:156]
	ds_load_b128 v[153:156], v1 offset:1328
	s_wait_loadcnt_dscnt 0x901
	v_mul_f64_e32 v[161:162], v[2:3], v[28:29]
	v_mul_f64_e32 v[28:29], v[4:5], v[28:29]
	v_add_f64_e32 v[38:39], v[38:39], v[159:160]
	v_add_f64_e32 v[44:45], v[44:45], v[147:148]
	s_wait_loadcnt_dscnt 0x800
	v_mul_f64_e32 v[147:148], v[153:154], v[32:33]
	v_mul_f64_e32 v[32:33], v[155:156], v[32:33]
	v_fma_f64 v[157:158], v[4:5], v[26:27], v[161:162]
	v_fma_f64 v[159:160], v[2:3], v[26:27], -v[28:29]
	ds_load_b128 v[2:5], v1 offset:1344
	ds_load_b128 v[26:29], v1 offset:1360
	v_add_f64_e32 v[38:39], v[38:39], v[143:144]
	v_add_f64_e32 v[44:45], v[44:45], v[145:146]
	s_wait_loadcnt_dscnt 0x701
	v_mul_f64_e32 v[143:144], v[2:3], v[36:37]
	v_mul_f64_e32 v[36:37], v[4:5], v[36:37]
	v_fma_f64 v[145:146], v[155:156], v[30:31], v[147:148]
	v_fma_f64 v[30:31], v[153:154], v[30:31], -v[32:33]
	v_add_f64_e32 v[32:33], v[38:39], v[159:160]
	v_add_f64_e32 v[38:39], v[44:45], v[157:158]
	s_wait_loadcnt_dscnt 0x600
	v_mul_f64_e32 v[44:45], v[26:27], v[42:43]
	v_mul_f64_e32 v[42:43], v[28:29], v[42:43]
	v_fma_f64 v[143:144], v[4:5], v[34:35], v[143:144]
	v_fma_f64 v[34:35], v[2:3], v[34:35], -v[36:37]
	v_add_f64_e32 v[36:37], v[32:33], v[30:31]
	v_add_f64_e32 v[38:39], v[38:39], v[145:146]
	ds_load_b128 v[2:5], v1 offset:1376
	ds_load_b128 v[30:33], v1 offset:1392
	v_fma_f64 v[28:29], v[28:29], v[40:41], v[44:45]
	v_fma_f64 v[26:27], v[26:27], v[40:41], -v[42:43]
	s_wait_loadcnt_dscnt 0x401
	v_mul_f64_e32 v[145:146], v[2:3], v[151:152]
	v_mul_f64_e32 v[147:148], v[4:5], v[151:152]
	v_add_f64_e32 v[34:35], v[36:37], v[34:35]
	v_add_f64_e32 v[36:37], v[38:39], v[143:144]
	s_wait_dscnt 0x0
	v_mul_f64_e32 v[38:39], v[30:31], v[8:9]
	v_mul_f64_e32 v[8:9], v[32:33], v[8:9]
	v_fma_f64 v[40:41], v[4:5], v[149:150], v[145:146]
	v_fma_f64 v[42:43], v[2:3], v[149:150], -v[147:148]
	v_add_f64_e32 v[34:35], v[34:35], v[26:27]
	v_add_f64_e32 v[36:37], v[36:37], v[28:29]
	ds_load_b128 v[2:5], v1 offset:1408
	ds_load_b128 v[26:29], v1 offset:1424
	v_fma_f64 v[32:33], v[32:33], v[6:7], v[38:39]
	v_fma_f64 v[6:7], v[30:31], v[6:7], -v[8:9]
	s_wait_loadcnt_dscnt 0x301
	v_mul_f64_e32 v[44:45], v[2:3], v[12:13]
	v_mul_f64_e32 v[12:13], v[4:5], v[12:13]
	v_add_f64_e32 v[8:9], v[34:35], v[42:43]
	v_add_f64_e32 v[30:31], v[36:37], v[40:41]
	s_wait_loadcnt_dscnt 0x200
	v_mul_f64_e32 v[34:35], v[26:27], v[16:17]
	v_mul_f64_e32 v[16:17], v[28:29], v[16:17]
	v_fma_f64 v[36:37], v[4:5], v[10:11], v[44:45]
	v_fma_f64 v[10:11], v[2:3], v[10:11], -v[12:13]
	v_add_f64_e32 v[12:13], v[8:9], v[6:7]
	v_add_f64_e32 v[30:31], v[30:31], v[32:33]
	ds_load_b128 v[2:5], v1 offset:1440
	ds_load_b128 v[6:9], v1 offset:1456
	v_fma_f64 v[28:29], v[28:29], v[14:15], v[34:35]
	v_fma_f64 v[14:15], v[26:27], v[14:15], -v[16:17]
	s_wait_loadcnt_dscnt 0x101
	v_mul_f64_e32 v[32:33], v[2:3], v[20:21]
	v_mul_f64_e32 v[20:21], v[4:5], v[20:21]
	s_wait_loadcnt_dscnt 0x0
	v_mul_f64_e32 v[16:17], v[6:7], v[24:25]
	v_mul_f64_e32 v[24:25], v[8:9], v[24:25]
	v_add_f64_e32 v[10:11], v[12:13], v[10:11]
	v_add_f64_e32 v[12:13], v[30:31], v[36:37]
	v_fma_f64 v[4:5], v[4:5], v[18:19], v[32:33]
	v_fma_f64 v[1:2], v[2:3], v[18:19], -v[20:21]
	v_fma_f64 v[8:9], v[8:9], v[22:23], v[16:17]
	v_fma_f64 v[6:7], v[6:7], v[22:23], -v[24:25]
	v_add_f64_e32 v[10:11], v[10:11], v[14:15]
	v_add_f64_e32 v[12:13], v[12:13], v[28:29]
	s_delay_alu instid0(VALU_DEP_2) | instskip(NEXT) | instid1(VALU_DEP_2)
	v_add_f64_e32 v[1:2], v[10:11], v[1:2]
	v_add_f64_e32 v[3:4], v[12:13], v[4:5]
	s_delay_alu instid0(VALU_DEP_2) | instskip(NEXT) | instid1(VALU_DEP_2)
	;; [unrolled: 3-line block ×3, first 2 shown]
	v_add_f64_e64 v[1:2], v[139:140], -v[1:2]
	v_add_f64_e64 v[3:4], v[141:142], -v[3:4]
	scratch_store_b128 off, v[1:4], off offset:320
	v_cmpx_lt_u32_e32 18, v0
	s_cbranch_execz .LBB109_253
; %bb.252:
	scratch_load_b128 v[1:4], off, s41
	v_mov_b32_e32 v5, 0
	s_delay_alu instid0(VALU_DEP_1)
	v_dual_mov_b32 v6, v5 :: v_dual_mov_b32 v7, v5
	v_mov_b32_e32 v8, v5
	scratch_store_b128 off, v[5:8], off offset:304
	s_wait_loadcnt 0x0
	ds_store_b128 v138, v[1:4]
.LBB109_253:
	s_wait_alu 0xfffe
	s_or_b32 exec_lo, exec_lo, s0
	s_wait_storecnt_dscnt 0x0
	s_barrier_signal -1
	s_barrier_wait -1
	global_inv scope:SCOPE_SE
	s_clause 0x7
	scratch_load_b128 v[2:5], off, off offset:320
	scratch_load_b128 v[6:9], off, off offset:336
	scratch_load_b128 v[10:13], off, off offset:352
	scratch_load_b128 v[14:17], off, off offset:368
	scratch_load_b128 v[18:21], off, off offset:384
	scratch_load_b128 v[22:25], off, off offset:400
	scratch_load_b128 v[26:29], off, off offset:416
	scratch_load_b128 v[30:33], off, off offset:432
	v_mov_b32_e32 v1, 0
	s_mov_b32 s0, exec_lo
	ds_load_b128 v[34:37], v1 offset:1040
	s_clause 0x1
	scratch_load_b128 v[38:41], off, off offset:448
	scratch_load_b128 v[42:45], off, off offset:304
	ds_load_b128 v[139:142], v1 offset:1056
	scratch_load_b128 v[143:146], off, off offset:464
	s_wait_loadcnt_dscnt 0xa01
	v_mul_f64_e32 v[147:148], v[36:37], v[4:5]
	v_mul_f64_e32 v[4:5], v[34:35], v[4:5]
	s_delay_alu instid0(VALU_DEP_2) | instskip(NEXT) | instid1(VALU_DEP_2)
	v_fma_f64 v[153:154], v[34:35], v[2:3], -v[147:148]
	v_fma_f64 v[155:156], v[36:37], v[2:3], v[4:5]
	ds_load_b128 v[2:5], v1 offset:1072
	s_wait_loadcnt_dscnt 0x901
	v_mul_f64_e32 v[151:152], v[139:140], v[8:9]
	v_mul_f64_e32 v[8:9], v[141:142], v[8:9]
	scratch_load_b128 v[34:37], off, off offset:480
	ds_load_b128 v[147:150], v1 offset:1088
	s_wait_loadcnt_dscnt 0x901
	v_mul_f64_e32 v[157:158], v[2:3], v[12:13]
	v_mul_f64_e32 v[12:13], v[4:5], v[12:13]
	v_fma_f64 v[141:142], v[141:142], v[6:7], v[151:152]
	v_fma_f64 v[139:140], v[139:140], v[6:7], -v[8:9]
	v_add_f64_e32 v[151:152], 0, v[153:154]
	v_add_f64_e32 v[153:154], 0, v[155:156]
	scratch_load_b128 v[6:9], off, off offset:496
	v_fma_f64 v[157:158], v[4:5], v[10:11], v[157:158]
	v_fma_f64 v[159:160], v[2:3], v[10:11], -v[12:13]
	ds_load_b128 v[2:5], v1 offset:1104
	s_wait_loadcnt_dscnt 0x901
	v_mul_f64_e32 v[155:156], v[147:148], v[16:17]
	v_mul_f64_e32 v[16:17], v[149:150], v[16:17]
	scratch_load_b128 v[10:13], off, off offset:512
	v_add_f64_e32 v[151:152], v[151:152], v[139:140]
	v_add_f64_e32 v[153:154], v[153:154], v[141:142]
	s_wait_loadcnt_dscnt 0x900
	v_mul_f64_e32 v[161:162], v[2:3], v[20:21]
	v_mul_f64_e32 v[20:21], v[4:5], v[20:21]
	ds_load_b128 v[139:142], v1 offset:1120
	v_fma_f64 v[149:150], v[149:150], v[14:15], v[155:156]
	v_fma_f64 v[147:148], v[147:148], v[14:15], -v[16:17]
	scratch_load_b128 v[14:17], off, off offset:528
	v_add_f64_e32 v[151:152], v[151:152], v[159:160]
	v_add_f64_e32 v[153:154], v[153:154], v[157:158]
	v_fma_f64 v[157:158], v[4:5], v[18:19], v[161:162]
	v_fma_f64 v[159:160], v[2:3], v[18:19], -v[20:21]
	ds_load_b128 v[2:5], v1 offset:1136
	s_wait_loadcnt_dscnt 0x901
	v_mul_f64_e32 v[155:156], v[139:140], v[24:25]
	v_mul_f64_e32 v[24:25], v[141:142], v[24:25]
	scratch_load_b128 v[18:21], off, off offset:544
	s_wait_loadcnt_dscnt 0x900
	v_mul_f64_e32 v[161:162], v[2:3], v[28:29]
	v_mul_f64_e32 v[28:29], v[4:5], v[28:29]
	v_add_f64_e32 v[151:152], v[151:152], v[147:148]
	v_add_f64_e32 v[153:154], v[153:154], v[149:150]
	ds_load_b128 v[147:150], v1 offset:1152
	v_fma_f64 v[141:142], v[141:142], v[22:23], v[155:156]
	v_fma_f64 v[139:140], v[139:140], v[22:23], -v[24:25]
	scratch_load_b128 v[22:25], off, off offset:560
	v_add_f64_e32 v[151:152], v[151:152], v[159:160]
	v_add_f64_e32 v[153:154], v[153:154], v[157:158]
	v_fma_f64 v[157:158], v[4:5], v[26:27], v[161:162]
	v_fma_f64 v[159:160], v[2:3], v[26:27], -v[28:29]
	ds_load_b128 v[2:5], v1 offset:1168
	s_wait_loadcnt_dscnt 0x901
	v_mul_f64_e32 v[155:156], v[147:148], v[32:33]
	v_mul_f64_e32 v[32:33], v[149:150], v[32:33]
	scratch_load_b128 v[26:29], off, off offset:576
	s_wait_loadcnt_dscnt 0x900
	v_mul_f64_e32 v[161:162], v[2:3], v[40:41]
	v_mul_f64_e32 v[40:41], v[4:5], v[40:41]
	v_add_f64_e32 v[151:152], v[151:152], v[139:140]
	v_add_f64_e32 v[153:154], v[153:154], v[141:142]
	ds_load_b128 v[139:142], v1 offset:1184
	v_fma_f64 v[149:150], v[149:150], v[30:31], v[155:156]
	v_fma_f64 v[147:148], v[147:148], v[30:31], -v[32:33]
	scratch_load_b128 v[30:33], off, off offset:592
	v_add_f64_e32 v[151:152], v[151:152], v[159:160]
	v_add_f64_e32 v[153:154], v[153:154], v[157:158]
	v_fma_f64 v[159:160], v[4:5], v[38:39], v[161:162]
	v_fma_f64 v[161:162], v[2:3], v[38:39], -v[40:41]
	ds_load_b128 v[2:5], v1 offset:1200
	s_wait_loadcnt_dscnt 0x801
	v_mul_f64_e32 v[155:156], v[139:140], v[145:146]
	v_mul_f64_e32 v[157:158], v[141:142], v[145:146]
	scratch_load_b128 v[38:41], off, off offset:608
	v_add_f64_e32 v[151:152], v[151:152], v[147:148]
	v_add_f64_e32 v[149:150], v[153:154], v[149:150]
	ds_load_b128 v[145:148], v1 offset:1216
	v_fma_f64 v[155:156], v[141:142], v[143:144], v[155:156]
	v_fma_f64 v[143:144], v[139:140], v[143:144], -v[157:158]
	scratch_load_b128 v[139:142], off, off offset:624
	s_wait_loadcnt_dscnt 0x901
	v_mul_f64_e32 v[153:154], v[2:3], v[36:37]
	v_mul_f64_e32 v[36:37], v[4:5], v[36:37]
	v_add_f64_e32 v[151:152], v[151:152], v[161:162]
	v_add_f64_e32 v[149:150], v[149:150], v[159:160]
	s_delay_alu instid0(VALU_DEP_4) | instskip(NEXT) | instid1(VALU_DEP_4)
	v_fma_f64 v[153:154], v[4:5], v[34:35], v[153:154]
	v_fma_f64 v[159:160], v[2:3], v[34:35], -v[36:37]
	ds_load_b128 v[2:5], v1 offset:1232
	s_wait_loadcnt_dscnt 0x801
	v_mul_f64_e32 v[157:158], v[145:146], v[8:9]
	v_mul_f64_e32 v[8:9], v[147:148], v[8:9]
	scratch_load_b128 v[34:37], off, off offset:640
	s_wait_loadcnt_dscnt 0x800
	v_mul_f64_e32 v[161:162], v[2:3], v[12:13]
	v_add_f64_e32 v[143:144], v[151:152], v[143:144]
	v_add_f64_e32 v[155:156], v[149:150], v[155:156]
	v_mul_f64_e32 v[12:13], v[4:5], v[12:13]
	ds_load_b128 v[149:152], v1 offset:1248
	v_fma_f64 v[147:148], v[147:148], v[6:7], v[157:158]
	v_fma_f64 v[145:146], v[145:146], v[6:7], -v[8:9]
	scratch_load_b128 v[6:9], off, off offset:656
	v_fma_f64 v[157:158], v[4:5], v[10:11], v[161:162]
	v_add_f64_e32 v[143:144], v[143:144], v[159:160]
	v_add_f64_e32 v[153:154], v[155:156], v[153:154]
	v_fma_f64 v[159:160], v[2:3], v[10:11], -v[12:13]
	ds_load_b128 v[2:5], v1 offset:1264
	s_wait_loadcnt_dscnt 0x801
	v_mul_f64_e32 v[155:156], v[149:150], v[16:17]
	v_mul_f64_e32 v[16:17], v[151:152], v[16:17]
	scratch_load_b128 v[10:13], off, off offset:672
	v_add_f64_e32 v[161:162], v[143:144], v[145:146]
	v_add_f64_e32 v[147:148], v[153:154], v[147:148]
	s_wait_loadcnt_dscnt 0x800
	v_mul_f64_e32 v[153:154], v[2:3], v[20:21]
	v_mul_f64_e32 v[20:21], v[4:5], v[20:21]
	v_fma_f64 v[151:152], v[151:152], v[14:15], v[155:156]
	v_fma_f64 v[149:150], v[149:150], v[14:15], -v[16:17]
	ds_load_b128 v[143:146], v1 offset:1280
	scratch_load_b128 v[14:17], off, off offset:688
	v_add_f64_e32 v[155:156], v[161:162], v[159:160]
	v_add_f64_e32 v[147:148], v[147:148], v[157:158]
	v_fma_f64 v[153:154], v[4:5], v[18:19], v[153:154]
	v_fma_f64 v[159:160], v[2:3], v[18:19], -v[20:21]
	ds_load_b128 v[2:5], v1 offset:1296
	s_wait_loadcnt_dscnt 0x801
	v_mul_f64_e32 v[157:158], v[143:144], v[24:25]
	v_mul_f64_e32 v[24:25], v[145:146], v[24:25]
	scratch_load_b128 v[18:21], off, off offset:704
	s_wait_loadcnt_dscnt 0x800
	v_mul_f64_e32 v[161:162], v[2:3], v[28:29]
	v_mul_f64_e32 v[28:29], v[4:5], v[28:29]
	v_add_f64_e32 v[155:156], v[155:156], v[149:150]
	v_add_f64_e32 v[151:152], v[147:148], v[151:152]
	ds_load_b128 v[147:150], v1 offset:1312
	v_fma_f64 v[145:146], v[145:146], v[22:23], v[157:158]
	v_fma_f64 v[143:144], v[143:144], v[22:23], -v[24:25]
	scratch_load_b128 v[22:25], off, off offset:720
	v_fma_f64 v[157:158], v[4:5], v[26:27], v[161:162]
	v_add_f64_e32 v[155:156], v[155:156], v[159:160]
	v_add_f64_e32 v[151:152], v[151:152], v[153:154]
	v_fma_f64 v[159:160], v[2:3], v[26:27], -v[28:29]
	ds_load_b128 v[2:5], v1 offset:1328
	s_wait_loadcnt_dscnt 0x801
	v_mul_f64_e32 v[153:154], v[147:148], v[32:33]
	v_mul_f64_e32 v[32:33], v[149:150], v[32:33]
	scratch_load_b128 v[26:29], off, off offset:736
	s_wait_loadcnt_dscnt 0x800
	v_mul_f64_e32 v[161:162], v[2:3], v[40:41]
	v_mul_f64_e32 v[40:41], v[4:5], v[40:41]
	v_add_f64_e32 v[155:156], v[155:156], v[143:144]
	v_add_f64_e32 v[151:152], v[151:152], v[145:146]
	ds_load_b128 v[143:146], v1 offset:1344
	v_fma_f64 v[149:150], v[149:150], v[30:31], v[153:154]
	v_fma_f64 v[30:31], v[147:148], v[30:31], -v[32:33]
	v_fma_f64 v[153:154], v[4:5], v[38:39], v[161:162]
	v_fma_f64 v[38:39], v[2:3], v[38:39], -v[40:41]
	v_add_f64_e32 v[32:33], v[155:156], v[159:160]
	v_add_f64_e32 v[147:148], v[151:152], v[157:158]
	s_wait_loadcnt_dscnt 0x700
	v_mul_f64_e32 v[151:152], v[143:144], v[141:142]
	v_mul_f64_e32 v[141:142], v[145:146], v[141:142]
	s_delay_alu instid0(VALU_DEP_4) | instskip(NEXT) | instid1(VALU_DEP_4)
	v_add_f64_e32 v[40:41], v[32:33], v[30:31]
	v_add_f64_e32 v[147:148], v[147:148], v[149:150]
	ds_load_b128 v[2:5], v1 offset:1360
	ds_load_b128 v[30:33], v1 offset:1376
	v_fma_f64 v[145:146], v[145:146], v[139:140], v[151:152]
	v_fma_f64 v[139:140], v[143:144], v[139:140], -v[141:142]
	s_wait_loadcnt_dscnt 0x601
	v_mul_f64_e32 v[149:150], v[2:3], v[36:37]
	v_mul_f64_e32 v[36:37], v[4:5], v[36:37]
	s_wait_loadcnt_dscnt 0x500
	v_mul_f64_e32 v[141:142], v[30:31], v[8:9]
	v_mul_f64_e32 v[8:9], v[32:33], v[8:9]
	v_add_f64_e32 v[38:39], v[40:41], v[38:39]
	v_add_f64_e32 v[40:41], v[147:148], v[153:154]
	v_fma_f64 v[143:144], v[4:5], v[34:35], v[149:150]
	v_fma_f64 v[147:148], v[2:3], v[34:35], -v[36:37]
	ds_load_b128 v[2:5], v1 offset:1392
	ds_load_b128 v[34:37], v1 offset:1408
	v_fma_f64 v[32:33], v[32:33], v[6:7], v[141:142]
	v_fma_f64 v[6:7], v[30:31], v[6:7], -v[8:9]
	v_add_f64_e32 v[38:39], v[38:39], v[139:140]
	v_add_f64_e32 v[40:41], v[40:41], v[145:146]
	s_wait_loadcnt_dscnt 0x401
	v_mul_f64_e32 v[139:140], v[2:3], v[12:13]
	v_mul_f64_e32 v[12:13], v[4:5], v[12:13]
	s_delay_alu instid0(VALU_DEP_4) | instskip(NEXT) | instid1(VALU_DEP_4)
	v_add_f64_e32 v[8:9], v[38:39], v[147:148]
	v_add_f64_e32 v[30:31], v[40:41], v[143:144]
	s_wait_loadcnt_dscnt 0x300
	v_mul_f64_e32 v[38:39], v[34:35], v[16:17]
	v_mul_f64_e32 v[16:17], v[36:37], v[16:17]
	v_fma_f64 v[40:41], v[4:5], v[10:11], v[139:140]
	v_fma_f64 v[10:11], v[2:3], v[10:11], -v[12:13]
	v_add_f64_e32 v[12:13], v[8:9], v[6:7]
	v_add_f64_e32 v[30:31], v[30:31], v[32:33]
	ds_load_b128 v[2:5], v1 offset:1424
	ds_load_b128 v[6:9], v1 offset:1440
	v_fma_f64 v[36:37], v[36:37], v[14:15], v[38:39]
	v_fma_f64 v[14:15], v[34:35], v[14:15], -v[16:17]
	s_wait_loadcnt_dscnt 0x201
	v_mul_f64_e32 v[32:33], v[2:3], v[20:21]
	v_mul_f64_e32 v[20:21], v[4:5], v[20:21]
	s_wait_loadcnt_dscnt 0x100
	v_mul_f64_e32 v[16:17], v[6:7], v[24:25]
	v_mul_f64_e32 v[24:25], v[8:9], v[24:25]
	v_add_f64_e32 v[10:11], v[12:13], v[10:11]
	v_add_f64_e32 v[12:13], v[30:31], v[40:41]
	v_fma_f64 v[30:31], v[4:5], v[18:19], v[32:33]
	v_fma_f64 v[18:19], v[2:3], v[18:19], -v[20:21]
	ds_load_b128 v[2:5], v1 offset:1456
	v_fma_f64 v[8:9], v[8:9], v[22:23], v[16:17]
	v_fma_f64 v[6:7], v[6:7], v[22:23], -v[24:25]
	v_add_f64_e32 v[10:11], v[10:11], v[14:15]
	v_add_f64_e32 v[12:13], v[12:13], v[36:37]
	s_wait_loadcnt_dscnt 0x0
	v_mul_f64_e32 v[14:15], v[2:3], v[28:29]
	v_mul_f64_e32 v[20:21], v[4:5], v[28:29]
	s_delay_alu instid0(VALU_DEP_4) | instskip(NEXT) | instid1(VALU_DEP_4)
	v_add_f64_e32 v[10:11], v[10:11], v[18:19]
	v_add_f64_e32 v[12:13], v[12:13], v[30:31]
	s_delay_alu instid0(VALU_DEP_4) | instskip(NEXT) | instid1(VALU_DEP_4)
	v_fma_f64 v[4:5], v[4:5], v[26:27], v[14:15]
	v_fma_f64 v[2:3], v[2:3], v[26:27], -v[20:21]
	s_delay_alu instid0(VALU_DEP_4) | instskip(NEXT) | instid1(VALU_DEP_4)
	v_add_f64_e32 v[6:7], v[10:11], v[6:7]
	v_add_f64_e32 v[8:9], v[12:13], v[8:9]
	s_delay_alu instid0(VALU_DEP_2) | instskip(NEXT) | instid1(VALU_DEP_2)
	v_add_f64_e32 v[2:3], v[6:7], v[2:3]
	v_add_f64_e32 v[4:5], v[8:9], v[4:5]
	s_delay_alu instid0(VALU_DEP_2) | instskip(NEXT) | instid1(VALU_DEP_2)
	v_add_f64_e64 v[2:3], v[42:43], -v[2:3]
	v_add_f64_e64 v[4:5], v[44:45], -v[4:5]
	scratch_store_b128 off, v[2:5], off offset:304
	v_cmpx_lt_u32_e32 17, v0
	s_cbranch_execz .LBB109_255
; %bb.254:
	scratch_load_b128 v[5:8], off, s42
	v_dual_mov_b32 v2, v1 :: v_dual_mov_b32 v3, v1
	v_mov_b32_e32 v4, v1
	scratch_store_b128 off, v[1:4], off offset:288
	s_wait_loadcnt 0x0
	ds_store_b128 v138, v[5:8]
.LBB109_255:
	s_wait_alu 0xfffe
	s_or_b32 exec_lo, exec_lo, s0
	s_wait_storecnt_dscnt 0x0
	s_barrier_signal -1
	s_barrier_wait -1
	global_inv scope:SCOPE_SE
	s_clause 0x8
	scratch_load_b128 v[2:5], off, off offset:304
	scratch_load_b128 v[6:9], off, off offset:320
	;; [unrolled: 1-line block ×9, first 2 shown]
	ds_load_b128 v[38:41], v1 offset:1024
	ds_load_b128 v[42:45], v1 offset:1040
	s_clause 0x1
	scratch_load_b128 v[139:142], off, off offset:288
	scratch_load_b128 v[143:146], off, off offset:448
	s_mov_b32 s0, exec_lo
	s_wait_loadcnt_dscnt 0xa01
	v_mul_f64_e32 v[147:148], v[40:41], v[4:5]
	v_mul_f64_e32 v[4:5], v[38:39], v[4:5]
	s_wait_loadcnt_dscnt 0x900
	v_mul_f64_e32 v[151:152], v[42:43], v[8:9]
	v_mul_f64_e32 v[8:9], v[44:45], v[8:9]
	s_delay_alu instid0(VALU_DEP_4) | instskip(NEXT) | instid1(VALU_DEP_4)
	v_fma_f64 v[153:154], v[38:39], v[2:3], -v[147:148]
	v_fma_f64 v[155:156], v[40:41], v[2:3], v[4:5]
	ds_load_b128 v[2:5], v1 offset:1056
	ds_load_b128 v[147:150], v1 offset:1072
	scratch_load_b128 v[38:41], off, off offset:464
	v_fma_f64 v[44:45], v[44:45], v[6:7], v[151:152]
	v_fma_f64 v[42:43], v[42:43], v[6:7], -v[8:9]
	scratch_load_b128 v[6:9], off, off offset:480
	s_wait_loadcnt_dscnt 0xa01
	v_mul_f64_e32 v[157:158], v[2:3], v[12:13]
	v_mul_f64_e32 v[12:13], v[4:5], v[12:13]
	v_add_f64_e32 v[151:152], 0, v[153:154]
	v_add_f64_e32 v[153:154], 0, v[155:156]
	s_wait_loadcnt_dscnt 0x900
	v_mul_f64_e32 v[155:156], v[147:148], v[16:17]
	v_mul_f64_e32 v[16:17], v[149:150], v[16:17]
	v_fma_f64 v[157:158], v[4:5], v[10:11], v[157:158]
	v_fma_f64 v[159:160], v[2:3], v[10:11], -v[12:13]
	ds_load_b128 v[2:5], v1 offset:1088
	scratch_load_b128 v[10:13], off, off offset:496
	v_add_f64_e32 v[151:152], v[151:152], v[42:43]
	v_add_f64_e32 v[153:154], v[153:154], v[44:45]
	ds_load_b128 v[42:45], v1 offset:1104
	v_fma_f64 v[149:150], v[149:150], v[14:15], v[155:156]
	v_fma_f64 v[147:148], v[147:148], v[14:15], -v[16:17]
	scratch_load_b128 v[14:17], off, off offset:512
	s_wait_loadcnt_dscnt 0xa01
	v_mul_f64_e32 v[161:162], v[2:3], v[20:21]
	v_mul_f64_e32 v[20:21], v[4:5], v[20:21]
	s_wait_loadcnt_dscnt 0x900
	v_mul_f64_e32 v[155:156], v[42:43], v[24:25]
	v_mul_f64_e32 v[24:25], v[44:45], v[24:25]
	v_add_f64_e32 v[151:152], v[151:152], v[159:160]
	v_add_f64_e32 v[153:154], v[153:154], v[157:158]
	v_fma_f64 v[157:158], v[4:5], v[18:19], v[161:162]
	v_fma_f64 v[159:160], v[2:3], v[18:19], -v[20:21]
	ds_load_b128 v[2:5], v1 offset:1120
	scratch_load_b128 v[18:21], off, off offset:528
	v_fma_f64 v[44:45], v[44:45], v[22:23], v[155:156]
	v_fma_f64 v[42:43], v[42:43], v[22:23], -v[24:25]
	scratch_load_b128 v[22:25], off, off offset:544
	v_add_f64_e32 v[151:152], v[151:152], v[147:148]
	v_add_f64_e32 v[153:154], v[153:154], v[149:150]
	ds_load_b128 v[147:150], v1 offset:1136
	s_wait_loadcnt_dscnt 0xa01
	v_mul_f64_e32 v[161:162], v[2:3], v[28:29]
	v_mul_f64_e32 v[28:29], v[4:5], v[28:29]
	s_wait_loadcnt_dscnt 0x900
	v_mul_f64_e32 v[155:156], v[147:148], v[32:33]
	v_mul_f64_e32 v[32:33], v[149:150], v[32:33]
	v_add_f64_e32 v[151:152], v[151:152], v[159:160]
	v_add_f64_e32 v[153:154], v[153:154], v[157:158]
	v_fma_f64 v[157:158], v[4:5], v[26:27], v[161:162]
	v_fma_f64 v[159:160], v[2:3], v[26:27], -v[28:29]
	ds_load_b128 v[2:5], v1 offset:1152
	scratch_load_b128 v[26:29], off, off offset:560
	v_fma_f64 v[149:150], v[149:150], v[30:31], v[155:156]
	v_fma_f64 v[147:148], v[147:148], v[30:31], -v[32:33]
	scratch_load_b128 v[30:33], off, off offset:576
	v_add_f64_e32 v[151:152], v[151:152], v[42:43]
	v_add_f64_e32 v[153:154], v[153:154], v[44:45]
	ds_load_b128 v[42:45], v1 offset:1168
	s_wait_loadcnt_dscnt 0xa01
	v_mul_f64_e32 v[161:162], v[2:3], v[36:37]
	v_mul_f64_e32 v[36:37], v[4:5], v[36:37]
	s_wait_loadcnt_dscnt 0x800
	v_mul_f64_e32 v[155:156], v[42:43], v[145:146]
	v_add_f64_e32 v[151:152], v[151:152], v[159:160]
	v_add_f64_e32 v[153:154], v[153:154], v[157:158]
	v_mul_f64_e32 v[157:158], v[44:45], v[145:146]
	v_fma_f64 v[159:160], v[4:5], v[34:35], v[161:162]
	v_fma_f64 v[161:162], v[2:3], v[34:35], -v[36:37]
	ds_load_b128 v[2:5], v1 offset:1184
	scratch_load_b128 v[34:37], off, off offset:592
	v_fma_f64 v[44:45], v[44:45], v[143:144], v[155:156]
	v_add_f64_e32 v[151:152], v[151:152], v[147:148]
	v_add_f64_e32 v[149:150], v[153:154], v[149:150]
	ds_load_b128 v[145:148], v1 offset:1200
	v_fma_f64 v[143:144], v[42:43], v[143:144], -v[157:158]
	s_wait_loadcnt_dscnt 0x801
	v_mul_f64_e32 v[153:154], v[2:3], v[40:41]
	v_mul_f64_e32 v[163:164], v[4:5], v[40:41]
	scratch_load_b128 v[40:43], off, off offset:608
	s_wait_loadcnt_dscnt 0x800
	v_mul_f64_e32 v[157:158], v[145:146], v[8:9]
	v_mul_f64_e32 v[8:9], v[147:148], v[8:9]
	v_add_f64_e32 v[151:152], v[151:152], v[161:162]
	v_add_f64_e32 v[149:150], v[149:150], v[159:160]
	v_fma_f64 v[159:160], v[4:5], v[38:39], v[153:154]
	v_fma_f64 v[38:39], v[2:3], v[38:39], -v[163:164]
	ds_load_b128 v[2:5], v1 offset:1216
	ds_load_b128 v[153:156], v1 offset:1232
	v_fma_f64 v[147:148], v[147:148], v[6:7], v[157:158]
	v_fma_f64 v[145:146], v[145:146], v[6:7], -v[8:9]
	scratch_load_b128 v[6:9], off, off offset:640
	v_add_f64_e32 v[143:144], v[151:152], v[143:144]
	v_add_f64_e32 v[44:45], v[149:150], v[44:45]
	scratch_load_b128 v[149:152], off, off offset:624
	s_wait_loadcnt_dscnt 0x901
	v_mul_f64_e32 v[161:162], v[2:3], v[12:13]
	v_mul_f64_e32 v[12:13], v[4:5], v[12:13]
	s_wait_loadcnt_dscnt 0x800
	v_mul_f64_e32 v[157:158], v[153:154], v[16:17]
	v_mul_f64_e32 v[16:17], v[155:156], v[16:17]
	v_add_f64_e32 v[38:39], v[143:144], v[38:39]
	v_add_f64_e32 v[44:45], v[44:45], v[159:160]
	v_fma_f64 v[159:160], v[4:5], v[10:11], v[161:162]
	v_fma_f64 v[161:162], v[2:3], v[10:11], -v[12:13]
	ds_load_b128 v[2:5], v1 offset:1248
	scratch_load_b128 v[10:13], off, off offset:656
	v_fma_f64 v[155:156], v[155:156], v[14:15], v[157:158]
	v_fma_f64 v[153:154], v[153:154], v[14:15], -v[16:17]
	scratch_load_b128 v[14:17], off, off offset:672
	v_add_f64_e32 v[38:39], v[38:39], v[145:146]
	v_add_f64_e32 v[44:45], v[44:45], v[147:148]
	ds_load_b128 v[143:146], v1 offset:1264
	s_wait_loadcnt_dscnt 0x901
	v_mul_f64_e32 v[147:148], v[2:3], v[20:21]
	v_mul_f64_e32 v[20:21], v[4:5], v[20:21]
	s_wait_loadcnt_dscnt 0x800
	v_mul_f64_e32 v[157:158], v[143:144], v[24:25]
	v_mul_f64_e32 v[24:25], v[145:146], v[24:25]
	v_add_f64_e32 v[38:39], v[38:39], v[161:162]
	v_add_f64_e32 v[44:45], v[44:45], v[159:160]
	v_fma_f64 v[147:148], v[4:5], v[18:19], v[147:148]
	v_fma_f64 v[159:160], v[2:3], v[18:19], -v[20:21]
	ds_load_b128 v[2:5], v1 offset:1280
	scratch_load_b128 v[18:21], off, off offset:688
	v_fma_f64 v[145:146], v[145:146], v[22:23], v[157:158]
	v_fma_f64 v[143:144], v[143:144], v[22:23], -v[24:25]
	scratch_load_b128 v[22:25], off, off offset:704
	v_add_f64_e32 v[38:39], v[38:39], v[153:154]
	v_add_f64_e32 v[44:45], v[44:45], v[155:156]
	ds_load_b128 v[153:156], v1 offset:1296
	s_wait_loadcnt_dscnt 0x901
	v_mul_f64_e32 v[161:162], v[2:3], v[28:29]
	v_mul_f64_e32 v[28:29], v[4:5], v[28:29]
	v_add_f64_e32 v[38:39], v[38:39], v[159:160]
	v_add_f64_e32 v[44:45], v[44:45], v[147:148]
	s_wait_loadcnt_dscnt 0x800
	v_mul_f64_e32 v[147:148], v[153:154], v[32:33]
	v_mul_f64_e32 v[32:33], v[155:156], v[32:33]
	v_fma_f64 v[157:158], v[4:5], v[26:27], v[161:162]
	v_fma_f64 v[159:160], v[2:3], v[26:27], -v[28:29]
	ds_load_b128 v[2:5], v1 offset:1312
	scratch_load_b128 v[26:29], off, off offset:720
	v_add_f64_e32 v[38:39], v[38:39], v[143:144]
	v_add_f64_e32 v[44:45], v[44:45], v[145:146]
	ds_load_b128 v[143:146], v1 offset:1328
	s_wait_loadcnt_dscnt 0x801
	v_mul_f64_e32 v[161:162], v[2:3], v[36:37]
	v_mul_f64_e32 v[36:37], v[4:5], v[36:37]
	v_fma_f64 v[147:148], v[155:156], v[30:31], v[147:148]
	v_fma_f64 v[153:154], v[153:154], v[30:31], -v[32:33]
	scratch_load_b128 v[30:33], off, off offset:736
	s_wait_loadcnt_dscnt 0x800
	v_mul_f64_e32 v[155:156], v[143:144], v[42:43]
	v_add_f64_e32 v[38:39], v[38:39], v[159:160]
	v_add_f64_e32 v[44:45], v[44:45], v[157:158]
	v_mul_f64_e32 v[42:43], v[145:146], v[42:43]
	v_fma_f64 v[157:158], v[4:5], v[34:35], v[161:162]
	v_fma_f64 v[159:160], v[2:3], v[34:35], -v[36:37]
	ds_load_b128 v[2:5], v1 offset:1344
	ds_load_b128 v[34:37], v1 offset:1360
	v_fma_f64 v[145:146], v[145:146], v[40:41], v[155:156]
	v_add_f64_e32 v[38:39], v[38:39], v[153:154]
	v_add_f64_e32 v[44:45], v[44:45], v[147:148]
	v_fma_f64 v[40:41], v[143:144], v[40:41], -v[42:43]
	s_wait_loadcnt_dscnt 0x601
	v_mul_f64_e32 v[147:148], v[2:3], v[151:152]
	v_mul_f64_e32 v[151:152], v[4:5], v[151:152]
	v_add_f64_e32 v[38:39], v[38:39], v[159:160]
	v_add_f64_e32 v[42:43], v[44:45], v[157:158]
	s_wait_dscnt 0x0
	v_mul_f64_e32 v[44:45], v[34:35], v[8:9]
	v_mul_f64_e32 v[8:9], v[36:37], v[8:9]
	v_fma_f64 v[143:144], v[4:5], v[149:150], v[147:148]
	v_fma_f64 v[147:148], v[2:3], v[149:150], -v[151:152]
	v_add_f64_e32 v[149:150], v[38:39], v[40:41]
	v_add_f64_e32 v[42:43], v[42:43], v[145:146]
	ds_load_b128 v[2:5], v1 offset:1376
	ds_load_b128 v[38:41], v1 offset:1392
	v_fma_f64 v[36:37], v[36:37], v[6:7], v[44:45]
	v_fma_f64 v[6:7], v[34:35], v[6:7], -v[8:9]
	s_wait_loadcnt_dscnt 0x501
	v_mul_f64_e32 v[145:146], v[2:3], v[12:13]
	v_mul_f64_e32 v[12:13], v[4:5], v[12:13]
	v_add_f64_e32 v[8:9], v[149:150], v[147:148]
	v_add_f64_e32 v[34:35], v[42:43], v[143:144]
	s_wait_loadcnt_dscnt 0x400
	v_mul_f64_e32 v[42:43], v[38:39], v[16:17]
	v_mul_f64_e32 v[16:17], v[40:41], v[16:17]
	v_fma_f64 v[44:45], v[4:5], v[10:11], v[145:146]
	v_fma_f64 v[10:11], v[2:3], v[10:11], -v[12:13]
	v_add_f64_e32 v[12:13], v[8:9], v[6:7]
	v_add_f64_e32 v[34:35], v[34:35], v[36:37]
	ds_load_b128 v[2:5], v1 offset:1408
	ds_load_b128 v[6:9], v1 offset:1424
	v_fma_f64 v[40:41], v[40:41], v[14:15], v[42:43]
	v_fma_f64 v[14:15], v[38:39], v[14:15], -v[16:17]
	s_wait_loadcnt_dscnt 0x301
	v_mul_f64_e32 v[36:37], v[2:3], v[20:21]
	v_mul_f64_e32 v[20:21], v[4:5], v[20:21]
	s_wait_loadcnt_dscnt 0x200
	v_mul_f64_e32 v[16:17], v[6:7], v[24:25]
	v_mul_f64_e32 v[24:25], v[8:9], v[24:25]
	v_add_f64_e32 v[10:11], v[12:13], v[10:11]
	v_add_f64_e32 v[12:13], v[34:35], v[44:45]
	v_fma_f64 v[34:35], v[4:5], v[18:19], v[36:37]
	v_fma_f64 v[18:19], v[2:3], v[18:19], -v[20:21]
	v_fma_f64 v[8:9], v[8:9], v[22:23], v[16:17]
	v_fma_f64 v[6:7], v[6:7], v[22:23], -v[24:25]
	v_add_f64_e32 v[14:15], v[10:11], v[14:15]
	v_add_f64_e32 v[20:21], v[12:13], v[40:41]
	ds_load_b128 v[2:5], v1 offset:1440
	ds_load_b128 v[10:13], v1 offset:1456
	s_wait_loadcnt_dscnt 0x101
	v_mul_f64_e32 v[36:37], v[2:3], v[28:29]
	v_mul_f64_e32 v[28:29], v[4:5], v[28:29]
	v_add_f64_e32 v[14:15], v[14:15], v[18:19]
	v_add_f64_e32 v[16:17], v[20:21], v[34:35]
	s_wait_loadcnt_dscnt 0x0
	v_mul_f64_e32 v[18:19], v[10:11], v[32:33]
	v_mul_f64_e32 v[20:21], v[12:13], v[32:33]
	v_fma_f64 v[4:5], v[4:5], v[26:27], v[36:37]
	v_fma_f64 v[1:2], v[2:3], v[26:27], -v[28:29]
	v_add_f64_e32 v[6:7], v[14:15], v[6:7]
	v_add_f64_e32 v[8:9], v[16:17], v[8:9]
	v_fma_f64 v[12:13], v[12:13], v[30:31], v[18:19]
	v_fma_f64 v[10:11], v[10:11], v[30:31], -v[20:21]
	s_delay_alu instid0(VALU_DEP_4) | instskip(NEXT) | instid1(VALU_DEP_4)
	v_add_f64_e32 v[1:2], v[6:7], v[1:2]
	v_add_f64_e32 v[3:4], v[8:9], v[4:5]
	s_delay_alu instid0(VALU_DEP_2) | instskip(NEXT) | instid1(VALU_DEP_2)
	v_add_f64_e32 v[1:2], v[1:2], v[10:11]
	v_add_f64_e32 v[3:4], v[3:4], v[12:13]
	s_delay_alu instid0(VALU_DEP_2) | instskip(NEXT) | instid1(VALU_DEP_2)
	v_add_f64_e64 v[1:2], v[139:140], -v[1:2]
	v_add_f64_e64 v[3:4], v[141:142], -v[3:4]
	scratch_store_b128 off, v[1:4], off offset:288
	v_cmpx_lt_u32_e32 16, v0
	s_cbranch_execz .LBB109_257
; %bb.256:
	scratch_load_b128 v[1:4], off, s43
	v_mov_b32_e32 v5, 0
	s_delay_alu instid0(VALU_DEP_1)
	v_dual_mov_b32 v6, v5 :: v_dual_mov_b32 v7, v5
	v_mov_b32_e32 v8, v5
	scratch_store_b128 off, v[5:8], off offset:272
	s_wait_loadcnt 0x0
	ds_store_b128 v138, v[1:4]
.LBB109_257:
	s_wait_alu 0xfffe
	s_or_b32 exec_lo, exec_lo, s0
	s_wait_storecnt_dscnt 0x0
	s_barrier_signal -1
	s_barrier_wait -1
	global_inv scope:SCOPE_SE
	s_clause 0x7
	scratch_load_b128 v[2:5], off, off offset:288
	scratch_load_b128 v[6:9], off, off offset:304
	scratch_load_b128 v[10:13], off, off offset:320
	scratch_load_b128 v[14:17], off, off offset:336
	scratch_load_b128 v[18:21], off, off offset:352
	scratch_load_b128 v[22:25], off, off offset:368
	scratch_load_b128 v[26:29], off, off offset:384
	scratch_load_b128 v[30:33], off, off offset:400
	v_mov_b32_e32 v1, 0
	s_mov_b32 s0, exec_lo
	ds_load_b128 v[34:37], v1 offset:1008
	s_clause 0x1
	scratch_load_b128 v[38:41], off, off offset:416
	scratch_load_b128 v[42:45], off, off offset:272
	ds_load_b128 v[139:142], v1 offset:1024
	scratch_load_b128 v[143:146], off, off offset:432
	s_wait_loadcnt_dscnt 0xa01
	v_mul_f64_e32 v[147:148], v[36:37], v[4:5]
	v_mul_f64_e32 v[4:5], v[34:35], v[4:5]
	s_delay_alu instid0(VALU_DEP_2) | instskip(NEXT) | instid1(VALU_DEP_2)
	v_fma_f64 v[153:154], v[34:35], v[2:3], -v[147:148]
	v_fma_f64 v[155:156], v[36:37], v[2:3], v[4:5]
	ds_load_b128 v[2:5], v1 offset:1040
	s_wait_loadcnt_dscnt 0x901
	v_mul_f64_e32 v[151:152], v[139:140], v[8:9]
	v_mul_f64_e32 v[8:9], v[141:142], v[8:9]
	scratch_load_b128 v[34:37], off, off offset:448
	ds_load_b128 v[147:150], v1 offset:1056
	s_wait_loadcnt_dscnt 0x901
	v_mul_f64_e32 v[157:158], v[2:3], v[12:13]
	v_mul_f64_e32 v[12:13], v[4:5], v[12:13]
	v_fma_f64 v[141:142], v[141:142], v[6:7], v[151:152]
	v_fma_f64 v[139:140], v[139:140], v[6:7], -v[8:9]
	v_add_f64_e32 v[151:152], 0, v[153:154]
	v_add_f64_e32 v[153:154], 0, v[155:156]
	scratch_load_b128 v[6:9], off, off offset:464
	v_fma_f64 v[157:158], v[4:5], v[10:11], v[157:158]
	v_fma_f64 v[159:160], v[2:3], v[10:11], -v[12:13]
	ds_load_b128 v[2:5], v1 offset:1072
	s_wait_loadcnt_dscnt 0x901
	v_mul_f64_e32 v[155:156], v[147:148], v[16:17]
	v_mul_f64_e32 v[16:17], v[149:150], v[16:17]
	scratch_load_b128 v[10:13], off, off offset:480
	v_add_f64_e32 v[151:152], v[151:152], v[139:140]
	v_add_f64_e32 v[153:154], v[153:154], v[141:142]
	s_wait_loadcnt_dscnt 0x900
	v_mul_f64_e32 v[161:162], v[2:3], v[20:21]
	v_mul_f64_e32 v[20:21], v[4:5], v[20:21]
	ds_load_b128 v[139:142], v1 offset:1088
	v_fma_f64 v[149:150], v[149:150], v[14:15], v[155:156]
	v_fma_f64 v[147:148], v[147:148], v[14:15], -v[16:17]
	scratch_load_b128 v[14:17], off, off offset:496
	v_add_f64_e32 v[151:152], v[151:152], v[159:160]
	v_add_f64_e32 v[153:154], v[153:154], v[157:158]
	v_fma_f64 v[157:158], v[4:5], v[18:19], v[161:162]
	v_fma_f64 v[159:160], v[2:3], v[18:19], -v[20:21]
	ds_load_b128 v[2:5], v1 offset:1104
	s_wait_loadcnt_dscnt 0x901
	v_mul_f64_e32 v[155:156], v[139:140], v[24:25]
	v_mul_f64_e32 v[24:25], v[141:142], v[24:25]
	scratch_load_b128 v[18:21], off, off offset:512
	s_wait_loadcnt_dscnt 0x900
	v_mul_f64_e32 v[161:162], v[2:3], v[28:29]
	v_mul_f64_e32 v[28:29], v[4:5], v[28:29]
	v_add_f64_e32 v[151:152], v[151:152], v[147:148]
	v_add_f64_e32 v[153:154], v[153:154], v[149:150]
	ds_load_b128 v[147:150], v1 offset:1120
	v_fma_f64 v[141:142], v[141:142], v[22:23], v[155:156]
	v_fma_f64 v[139:140], v[139:140], v[22:23], -v[24:25]
	scratch_load_b128 v[22:25], off, off offset:528
	v_add_f64_e32 v[151:152], v[151:152], v[159:160]
	v_add_f64_e32 v[153:154], v[153:154], v[157:158]
	v_fma_f64 v[157:158], v[4:5], v[26:27], v[161:162]
	v_fma_f64 v[159:160], v[2:3], v[26:27], -v[28:29]
	ds_load_b128 v[2:5], v1 offset:1136
	s_wait_loadcnt_dscnt 0x901
	v_mul_f64_e32 v[155:156], v[147:148], v[32:33]
	v_mul_f64_e32 v[32:33], v[149:150], v[32:33]
	scratch_load_b128 v[26:29], off, off offset:544
	s_wait_loadcnt_dscnt 0x900
	v_mul_f64_e32 v[161:162], v[2:3], v[40:41]
	v_mul_f64_e32 v[40:41], v[4:5], v[40:41]
	v_add_f64_e32 v[151:152], v[151:152], v[139:140]
	v_add_f64_e32 v[153:154], v[153:154], v[141:142]
	ds_load_b128 v[139:142], v1 offset:1152
	v_fma_f64 v[149:150], v[149:150], v[30:31], v[155:156]
	v_fma_f64 v[147:148], v[147:148], v[30:31], -v[32:33]
	scratch_load_b128 v[30:33], off, off offset:560
	v_add_f64_e32 v[151:152], v[151:152], v[159:160]
	v_add_f64_e32 v[153:154], v[153:154], v[157:158]
	v_fma_f64 v[159:160], v[4:5], v[38:39], v[161:162]
	v_fma_f64 v[161:162], v[2:3], v[38:39], -v[40:41]
	ds_load_b128 v[2:5], v1 offset:1168
	s_wait_loadcnt_dscnt 0x801
	v_mul_f64_e32 v[155:156], v[139:140], v[145:146]
	v_mul_f64_e32 v[157:158], v[141:142], v[145:146]
	scratch_load_b128 v[38:41], off, off offset:576
	v_add_f64_e32 v[151:152], v[151:152], v[147:148]
	v_add_f64_e32 v[149:150], v[153:154], v[149:150]
	ds_load_b128 v[145:148], v1 offset:1184
	v_fma_f64 v[155:156], v[141:142], v[143:144], v[155:156]
	v_fma_f64 v[143:144], v[139:140], v[143:144], -v[157:158]
	scratch_load_b128 v[139:142], off, off offset:592
	s_wait_loadcnt_dscnt 0x901
	v_mul_f64_e32 v[153:154], v[2:3], v[36:37]
	v_mul_f64_e32 v[36:37], v[4:5], v[36:37]
	v_add_f64_e32 v[151:152], v[151:152], v[161:162]
	v_add_f64_e32 v[149:150], v[149:150], v[159:160]
	s_delay_alu instid0(VALU_DEP_4) | instskip(NEXT) | instid1(VALU_DEP_4)
	v_fma_f64 v[153:154], v[4:5], v[34:35], v[153:154]
	v_fma_f64 v[159:160], v[2:3], v[34:35], -v[36:37]
	ds_load_b128 v[2:5], v1 offset:1200
	s_wait_loadcnt_dscnt 0x801
	v_mul_f64_e32 v[157:158], v[145:146], v[8:9]
	v_mul_f64_e32 v[8:9], v[147:148], v[8:9]
	scratch_load_b128 v[34:37], off, off offset:608
	s_wait_loadcnt_dscnt 0x800
	v_mul_f64_e32 v[161:162], v[2:3], v[12:13]
	v_add_f64_e32 v[143:144], v[151:152], v[143:144]
	v_add_f64_e32 v[155:156], v[149:150], v[155:156]
	v_mul_f64_e32 v[12:13], v[4:5], v[12:13]
	ds_load_b128 v[149:152], v1 offset:1216
	v_fma_f64 v[147:148], v[147:148], v[6:7], v[157:158]
	v_fma_f64 v[145:146], v[145:146], v[6:7], -v[8:9]
	scratch_load_b128 v[6:9], off, off offset:624
	v_fma_f64 v[157:158], v[4:5], v[10:11], v[161:162]
	v_add_f64_e32 v[143:144], v[143:144], v[159:160]
	v_add_f64_e32 v[153:154], v[155:156], v[153:154]
	v_fma_f64 v[159:160], v[2:3], v[10:11], -v[12:13]
	ds_load_b128 v[2:5], v1 offset:1232
	s_wait_loadcnt_dscnt 0x801
	v_mul_f64_e32 v[155:156], v[149:150], v[16:17]
	v_mul_f64_e32 v[16:17], v[151:152], v[16:17]
	scratch_load_b128 v[10:13], off, off offset:640
	v_add_f64_e32 v[161:162], v[143:144], v[145:146]
	v_add_f64_e32 v[147:148], v[153:154], v[147:148]
	s_wait_loadcnt_dscnt 0x800
	v_mul_f64_e32 v[153:154], v[2:3], v[20:21]
	v_mul_f64_e32 v[20:21], v[4:5], v[20:21]
	v_fma_f64 v[151:152], v[151:152], v[14:15], v[155:156]
	v_fma_f64 v[149:150], v[149:150], v[14:15], -v[16:17]
	ds_load_b128 v[143:146], v1 offset:1248
	scratch_load_b128 v[14:17], off, off offset:656
	v_add_f64_e32 v[155:156], v[161:162], v[159:160]
	v_add_f64_e32 v[147:148], v[147:148], v[157:158]
	v_fma_f64 v[153:154], v[4:5], v[18:19], v[153:154]
	v_fma_f64 v[159:160], v[2:3], v[18:19], -v[20:21]
	ds_load_b128 v[2:5], v1 offset:1264
	s_wait_loadcnt_dscnt 0x801
	v_mul_f64_e32 v[157:158], v[143:144], v[24:25]
	v_mul_f64_e32 v[24:25], v[145:146], v[24:25]
	scratch_load_b128 v[18:21], off, off offset:672
	s_wait_loadcnt_dscnt 0x800
	v_mul_f64_e32 v[161:162], v[2:3], v[28:29]
	v_mul_f64_e32 v[28:29], v[4:5], v[28:29]
	v_add_f64_e32 v[155:156], v[155:156], v[149:150]
	v_add_f64_e32 v[151:152], v[147:148], v[151:152]
	ds_load_b128 v[147:150], v1 offset:1280
	v_fma_f64 v[145:146], v[145:146], v[22:23], v[157:158]
	v_fma_f64 v[143:144], v[143:144], v[22:23], -v[24:25]
	scratch_load_b128 v[22:25], off, off offset:688
	v_fma_f64 v[157:158], v[4:5], v[26:27], v[161:162]
	v_add_f64_e32 v[155:156], v[155:156], v[159:160]
	v_add_f64_e32 v[151:152], v[151:152], v[153:154]
	v_fma_f64 v[159:160], v[2:3], v[26:27], -v[28:29]
	ds_load_b128 v[2:5], v1 offset:1296
	s_wait_loadcnt_dscnt 0x801
	v_mul_f64_e32 v[153:154], v[147:148], v[32:33]
	v_mul_f64_e32 v[32:33], v[149:150], v[32:33]
	scratch_load_b128 v[26:29], off, off offset:704
	s_wait_loadcnt_dscnt 0x800
	v_mul_f64_e32 v[161:162], v[2:3], v[40:41]
	v_mul_f64_e32 v[40:41], v[4:5], v[40:41]
	v_add_f64_e32 v[155:156], v[155:156], v[143:144]
	v_add_f64_e32 v[151:152], v[151:152], v[145:146]
	ds_load_b128 v[143:146], v1 offset:1312
	v_fma_f64 v[149:150], v[149:150], v[30:31], v[153:154]
	v_fma_f64 v[147:148], v[147:148], v[30:31], -v[32:33]
	scratch_load_b128 v[30:33], off, off offset:720
	v_add_f64_e32 v[153:154], v[155:156], v[159:160]
	v_add_f64_e32 v[151:152], v[151:152], v[157:158]
	v_fma_f64 v[157:158], v[4:5], v[38:39], v[161:162]
	v_fma_f64 v[159:160], v[2:3], v[38:39], -v[40:41]
	ds_load_b128 v[2:5], v1 offset:1328
	s_wait_loadcnt_dscnt 0x801
	v_mul_f64_e32 v[155:156], v[143:144], v[141:142]
	v_mul_f64_e32 v[141:142], v[145:146], v[141:142]
	scratch_load_b128 v[38:41], off, off offset:736
	s_wait_loadcnt_dscnt 0x800
	v_mul_f64_e32 v[161:162], v[2:3], v[36:37]
	v_mul_f64_e32 v[36:37], v[4:5], v[36:37]
	v_add_f64_e32 v[153:154], v[153:154], v[147:148]
	v_add_f64_e32 v[151:152], v[151:152], v[149:150]
	ds_load_b128 v[147:150], v1 offset:1344
	v_fma_f64 v[145:146], v[145:146], v[139:140], v[155:156]
	v_fma_f64 v[139:140], v[143:144], v[139:140], -v[141:142]
	v_fma_f64 v[155:156], v[2:3], v[34:35], -v[36:37]
	v_add_f64_e32 v[141:142], v[153:154], v[159:160]
	v_add_f64_e32 v[143:144], v[151:152], v[157:158]
	s_wait_loadcnt_dscnt 0x700
	v_mul_f64_e32 v[151:152], v[147:148], v[8:9]
	v_mul_f64_e32 v[8:9], v[149:150], v[8:9]
	v_fma_f64 v[153:154], v[4:5], v[34:35], v[161:162]
	ds_load_b128 v[2:5], v1 offset:1360
	ds_load_b128 v[34:37], v1 offset:1376
	v_add_f64_e32 v[139:140], v[141:142], v[139:140]
	v_add_f64_e32 v[141:142], v[143:144], v[145:146]
	s_wait_loadcnt_dscnt 0x601
	v_mul_f64_e32 v[143:144], v[2:3], v[12:13]
	v_mul_f64_e32 v[12:13], v[4:5], v[12:13]
	v_fma_f64 v[145:146], v[149:150], v[6:7], v[151:152]
	v_fma_f64 v[6:7], v[147:148], v[6:7], -v[8:9]
	v_add_f64_e32 v[8:9], v[139:140], v[155:156]
	v_add_f64_e32 v[139:140], v[141:142], v[153:154]
	s_wait_loadcnt_dscnt 0x500
	v_mul_f64_e32 v[141:142], v[34:35], v[16:17]
	v_mul_f64_e32 v[16:17], v[36:37], v[16:17]
	v_fma_f64 v[143:144], v[4:5], v[10:11], v[143:144]
	v_fma_f64 v[10:11], v[2:3], v[10:11], -v[12:13]
	v_add_f64_e32 v[12:13], v[8:9], v[6:7]
	v_add_f64_e32 v[139:140], v[139:140], v[145:146]
	ds_load_b128 v[2:5], v1 offset:1392
	ds_load_b128 v[6:9], v1 offset:1408
	v_fma_f64 v[36:37], v[36:37], v[14:15], v[141:142]
	v_fma_f64 v[14:15], v[34:35], v[14:15], -v[16:17]
	s_wait_loadcnt_dscnt 0x401
	v_mul_f64_e32 v[145:146], v[2:3], v[20:21]
	v_mul_f64_e32 v[20:21], v[4:5], v[20:21]
	s_wait_loadcnt_dscnt 0x300
	v_mul_f64_e32 v[16:17], v[6:7], v[24:25]
	v_mul_f64_e32 v[24:25], v[8:9], v[24:25]
	v_add_f64_e32 v[10:11], v[12:13], v[10:11]
	v_add_f64_e32 v[12:13], v[139:140], v[143:144]
	v_fma_f64 v[34:35], v[4:5], v[18:19], v[145:146]
	v_fma_f64 v[18:19], v[2:3], v[18:19], -v[20:21]
	v_fma_f64 v[8:9], v[8:9], v[22:23], v[16:17]
	v_fma_f64 v[6:7], v[6:7], v[22:23], -v[24:25]
	v_add_f64_e32 v[14:15], v[10:11], v[14:15]
	v_add_f64_e32 v[20:21], v[12:13], v[36:37]
	ds_load_b128 v[2:5], v1 offset:1424
	ds_load_b128 v[10:13], v1 offset:1440
	s_wait_loadcnt_dscnt 0x201
	v_mul_f64_e32 v[36:37], v[2:3], v[28:29]
	v_mul_f64_e32 v[28:29], v[4:5], v[28:29]
	v_add_f64_e32 v[14:15], v[14:15], v[18:19]
	v_add_f64_e32 v[16:17], v[20:21], v[34:35]
	s_wait_loadcnt_dscnt 0x100
	v_mul_f64_e32 v[18:19], v[10:11], v[32:33]
	v_mul_f64_e32 v[20:21], v[12:13], v[32:33]
	v_fma_f64 v[22:23], v[4:5], v[26:27], v[36:37]
	v_fma_f64 v[24:25], v[2:3], v[26:27], -v[28:29]
	ds_load_b128 v[2:5], v1 offset:1456
	v_add_f64_e32 v[6:7], v[14:15], v[6:7]
	v_add_f64_e32 v[8:9], v[16:17], v[8:9]
	v_fma_f64 v[12:13], v[12:13], v[30:31], v[18:19]
	v_fma_f64 v[10:11], v[10:11], v[30:31], -v[20:21]
	s_wait_loadcnt_dscnt 0x0
	v_mul_f64_e32 v[14:15], v[2:3], v[40:41]
	v_mul_f64_e32 v[16:17], v[4:5], v[40:41]
	v_add_f64_e32 v[6:7], v[6:7], v[24:25]
	v_add_f64_e32 v[8:9], v[8:9], v[22:23]
	s_delay_alu instid0(VALU_DEP_4) | instskip(NEXT) | instid1(VALU_DEP_4)
	v_fma_f64 v[4:5], v[4:5], v[38:39], v[14:15]
	v_fma_f64 v[2:3], v[2:3], v[38:39], -v[16:17]
	s_delay_alu instid0(VALU_DEP_4) | instskip(NEXT) | instid1(VALU_DEP_4)
	v_add_f64_e32 v[6:7], v[6:7], v[10:11]
	v_add_f64_e32 v[8:9], v[8:9], v[12:13]
	s_delay_alu instid0(VALU_DEP_2) | instskip(NEXT) | instid1(VALU_DEP_2)
	v_add_f64_e32 v[2:3], v[6:7], v[2:3]
	v_add_f64_e32 v[4:5], v[8:9], v[4:5]
	s_delay_alu instid0(VALU_DEP_2) | instskip(NEXT) | instid1(VALU_DEP_2)
	v_add_f64_e64 v[2:3], v[42:43], -v[2:3]
	v_add_f64_e64 v[4:5], v[44:45], -v[4:5]
	scratch_store_b128 off, v[2:5], off offset:272
	v_cmpx_lt_u32_e32 15, v0
	s_cbranch_execz .LBB109_259
; %bb.258:
	scratch_load_b128 v[5:8], off, s44
	v_dual_mov_b32 v2, v1 :: v_dual_mov_b32 v3, v1
	v_mov_b32_e32 v4, v1
	scratch_store_b128 off, v[1:4], off offset:256
	s_wait_loadcnt 0x0
	ds_store_b128 v138, v[5:8]
.LBB109_259:
	s_wait_alu 0xfffe
	s_or_b32 exec_lo, exec_lo, s0
	s_wait_storecnt_dscnt 0x0
	s_barrier_signal -1
	s_barrier_wait -1
	global_inv scope:SCOPE_SE
	s_clause 0x8
	scratch_load_b128 v[2:5], off, off offset:272
	scratch_load_b128 v[6:9], off, off offset:288
	;; [unrolled: 1-line block ×9, first 2 shown]
	ds_load_b128 v[38:41], v1 offset:992
	ds_load_b128 v[42:45], v1 offset:1008
	s_clause 0x1
	scratch_load_b128 v[139:142], off, off offset:256
	scratch_load_b128 v[143:146], off, off offset:416
	s_mov_b32 s0, exec_lo
	s_wait_loadcnt_dscnt 0xa01
	v_mul_f64_e32 v[147:148], v[40:41], v[4:5]
	v_mul_f64_e32 v[4:5], v[38:39], v[4:5]
	s_wait_loadcnt_dscnt 0x900
	v_mul_f64_e32 v[151:152], v[42:43], v[8:9]
	v_mul_f64_e32 v[8:9], v[44:45], v[8:9]
	s_delay_alu instid0(VALU_DEP_4) | instskip(NEXT) | instid1(VALU_DEP_4)
	v_fma_f64 v[153:154], v[38:39], v[2:3], -v[147:148]
	v_fma_f64 v[155:156], v[40:41], v[2:3], v[4:5]
	ds_load_b128 v[2:5], v1 offset:1024
	ds_load_b128 v[147:150], v1 offset:1040
	scratch_load_b128 v[38:41], off, off offset:432
	v_fma_f64 v[44:45], v[44:45], v[6:7], v[151:152]
	v_fma_f64 v[42:43], v[42:43], v[6:7], -v[8:9]
	scratch_load_b128 v[6:9], off, off offset:448
	s_wait_loadcnt_dscnt 0xa01
	v_mul_f64_e32 v[157:158], v[2:3], v[12:13]
	v_mul_f64_e32 v[12:13], v[4:5], v[12:13]
	v_add_f64_e32 v[151:152], 0, v[153:154]
	v_add_f64_e32 v[153:154], 0, v[155:156]
	s_wait_loadcnt_dscnt 0x900
	v_mul_f64_e32 v[155:156], v[147:148], v[16:17]
	v_mul_f64_e32 v[16:17], v[149:150], v[16:17]
	v_fma_f64 v[157:158], v[4:5], v[10:11], v[157:158]
	v_fma_f64 v[159:160], v[2:3], v[10:11], -v[12:13]
	ds_load_b128 v[2:5], v1 offset:1056
	scratch_load_b128 v[10:13], off, off offset:464
	v_add_f64_e32 v[151:152], v[151:152], v[42:43]
	v_add_f64_e32 v[153:154], v[153:154], v[44:45]
	ds_load_b128 v[42:45], v1 offset:1072
	v_fma_f64 v[149:150], v[149:150], v[14:15], v[155:156]
	v_fma_f64 v[147:148], v[147:148], v[14:15], -v[16:17]
	scratch_load_b128 v[14:17], off, off offset:480
	s_wait_loadcnt_dscnt 0xa01
	v_mul_f64_e32 v[161:162], v[2:3], v[20:21]
	v_mul_f64_e32 v[20:21], v[4:5], v[20:21]
	s_wait_loadcnt_dscnt 0x900
	v_mul_f64_e32 v[155:156], v[42:43], v[24:25]
	v_mul_f64_e32 v[24:25], v[44:45], v[24:25]
	v_add_f64_e32 v[151:152], v[151:152], v[159:160]
	v_add_f64_e32 v[153:154], v[153:154], v[157:158]
	v_fma_f64 v[157:158], v[4:5], v[18:19], v[161:162]
	v_fma_f64 v[159:160], v[2:3], v[18:19], -v[20:21]
	ds_load_b128 v[2:5], v1 offset:1088
	scratch_load_b128 v[18:21], off, off offset:496
	v_fma_f64 v[44:45], v[44:45], v[22:23], v[155:156]
	v_fma_f64 v[42:43], v[42:43], v[22:23], -v[24:25]
	scratch_load_b128 v[22:25], off, off offset:512
	v_add_f64_e32 v[151:152], v[151:152], v[147:148]
	v_add_f64_e32 v[153:154], v[153:154], v[149:150]
	ds_load_b128 v[147:150], v1 offset:1104
	s_wait_loadcnt_dscnt 0xa01
	v_mul_f64_e32 v[161:162], v[2:3], v[28:29]
	v_mul_f64_e32 v[28:29], v[4:5], v[28:29]
	s_wait_loadcnt_dscnt 0x900
	v_mul_f64_e32 v[155:156], v[147:148], v[32:33]
	v_mul_f64_e32 v[32:33], v[149:150], v[32:33]
	v_add_f64_e32 v[151:152], v[151:152], v[159:160]
	v_add_f64_e32 v[153:154], v[153:154], v[157:158]
	v_fma_f64 v[157:158], v[4:5], v[26:27], v[161:162]
	v_fma_f64 v[159:160], v[2:3], v[26:27], -v[28:29]
	ds_load_b128 v[2:5], v1 offset:1120
	scratch_load_b128 v[26:29], off, off offset:528
	v_fma_f64 v[149:150], v[149:150], v[30:31], v[155:156]
	v_fma_f64 v[147:148], v[147:148], v[30:31], -v[32:33]
	scratch_load_b128 v[30:33], off, off offset:544
	v_add_f64_e32 v[151:152], v[151:152], v[42:43]
	v_add_f64_e32 v[153:154], v[153:154], v[44:45]
	ds_load_b128 v[42:45], v1 offset:1136
	s_wait_loadcnt_dscnt 0xa01
	v_mul_f64_e32 v[161:162], v[2:3], v[36:37]
	v_mul_f64_e32 v[36:37], v[4:5], v[36:37]
	s_wait_loadcnt_dscnt 0x800
	v_mul_f64_e32 v[155:156], v[42:43], v[145:146]
	v_add_f64_e32 v[151:152], v[151:152], v[159:160]
	v_add_f64_e32 v[153:154], v[153:154], v[157:158]
	v_mul_f64_e32 v[157:158], v[44:45], v[145:146]
	v_fma_f64 v[159:160], v[4:5], v[34:35], v[161:162]
	v_fma_f64 v[161:162], v[2:3], v[34:35], -v[36:37]
	ds_load_b128 v[2:5], v1 offset:1152
	scratch_load_b128 v[34:37], off, off offset:560
	v_fma_f64 v[44:45], v[44:45], v[143:144], v[155:156]
	v_add_f64_e32 v[151:152], v[151:152], v[147:148]
	v_add_f64_e32 v[149:150], v[153:154], v[149:150]
	ds_load_b128 v[145:148], v1 offset:1168
	v_fma_f64 v[143:144], v[42:43], v[143:144], -v[157:158]
	s_wait_loadcnt_dscnt 0x801
	v_mul_f64_e32 v[153:154], v[2:3], v[40:41]
	v_mul_f64_e32 v[163:164], v[4:5], v[40:41]
	scratch_load_b128 v[40:43], off, off offset:576
	s_wait_loadcnt_dscnt 0x800
	v_mul_f64_e32 v[157:158], v[145:146], v[8:9]
	v_mul_f64_e32 v[8:9], v[147:148], v[8:9]
	v_add_f64_e32 v[151:152], v[151:152], v[161:162]
	v_add_f64_e32 v[149:150], v[149:150], v[159:160]
	v_fma_f64 v[159:160], v[4:5], v[38:39], v[153:154]
	v_fma_f64 v[38:39], v[2:3], v[38:39], -v[163:164]
	ds_load_b128 v[2:5], v1 offset:1184
	ds_load_b128 v[153:156], v1 offset:1200
	v_fma_f64 v[147:148], v[147:148], v[6:7], v[157:158]
	v_fma_f64 v[145:146], v[145:146], v[6:7], -v[8:9]
	scratch_load_b128 v[6:9], off, off offset:608
	v_add_f64_e32 v[143:144], v[151:152], v[143:144]
	v_add_f64_e32 v[44:45], v[149:150], v[44:45]
	scratch_load_b128 v[149:152], off, off offset:592
	s_wait_loadcnt_dscnt 0x901
	v_mul_f64_e32 v[161:162], v[2:3], v[12:13]
	v_mul_f64_e32 v[12:13], v[4:5], v[12:13]
	s_wait_loadcnt_dscnt 0x800
	v_mul_f64_e32 v[157:158], v[153:154], v[16:17]
	v_mul_f64_e32 v[16:17], v[155:156], v[16:17]
	v_add_f64_e32 v[38:39], v[143:144], v[38:39]
	v_add_f64_e32 v[44:45], v[44:45], v[159:160]
	v_fma_f64 v[159:160], v[4:5], v[10:11], v[161:162]
	v_fma_f64 v[161:162], v[2:3], v[10:11], -v[12:13]
	ds_load_b128 v[2:5], v1 offset:1216
	scratch_load_b128 v[10:13], off, off offset:624
	v_fma_f64 v[155:156], v[155:156], v[14:15], v[157:158]
	v_fma_f64 v[153:154], v[153:154], v[14:15], -v[16:17]
	scratch_load_b128 v[14:17], off, off offset:640
	v_add_f64_e32 v[38:39], v[38:39], v[145:146]
	v_add_f64_e32 v[44:45], v[44:45], v[147:148]
	ds_load_b128 v[143:146], v1 offset:1232
	s_wait_loadcnt_dscnt 0x901
	v_mul_f64_e32 v[147:148], v[2:3], v[20:21]
	v_mul_f64_e32 v[20:21], v[4:5], v[20:21]
	s_wait_loadcnt_dscnt 0x800
	v_mul_f64_e32 v[157:158], v[143:144], v[24:25]
	v_mul_f64_e32 v[24:25], v[145:146], v[24:25]
	v_add_f64_e32 v[38:39], v[38:39], v[161:162]
	v_add_f64_e32 v[44:45], v[44:45], v[159:160]
	v_fma_f64 v[147:148], v[4:5], v[18:19], v[147:148]
	v_fma_f64 v[159:160], v[2:3], v[18:19], -v[20:21]
	ds_load_b128 v[2:5], v1 offset:1248
	scratch_load_b128 v[18:21], off, off offset:656
	v_fma_f64 v[145:146], v[145:146], v[22:23], v[157:158]
	v_fma_f64 v[143:144], v[143:144], v[22:23], -v[24:25]
	scratch_load_b128 v[22:25], off, off offset:672
	v_add_f64_e32 v[38:39], v[38:39], v[153:154]
	v_add_f64_e32 v[44:45], v[44:45], v[155:156]
	ds_load_b128 v[153:156], v1 offset:1264
	s_wait_loadcnt_dscnt 0x901
	v_mul_f64_e32 v[161:162], v[2:3], v[28:29]
	v_mul_f64_e32 v[28:29], v[4:5], v[28:29]
	v_add_f64_e32 v[38:39], v[38:39], v[159:160]
	v_add_f64_e32 v[44:45], v[44:45], v[147:148]
	s_wait_loadcnt_dscnt 0x800
	v_mul_f64_e32 v[147:148], v[153:154], v[32:33]
	v_mul_f64_e32 v[32:33], v[155:156], v[32:33]
	v_fma_f64 v[157:158], v[4:5], v[26:27], v[161:162]
	v_fma_f64 v[159:160], v[2:3], v[26:27], -v[28:29]
	ds_load_b128 v[2:5], v1 offset:1280
	scratch_load_b128 v[26:29], off, off offset:688
	v_add_f64_e32 v[38:39], v[38:39], v[143:144]
	v_add_f64_e32 v[44:45], v[44:45], v[145:146]
	ds_load_b128 v[143:146], v1 offset:1296
	s_wait_loadcnt_dscnt 0x801
	v_mul_f64_e32 v[161:162], v[2:3], v[36:37]
	v_mul_f64_e32 v[36:37], v[4:5], v[36:37]
	v_fma_f64 v[147:148], v[155:156], v[30:31], v[147:148]
	v_fma_f64 v[153:154], v[153:154], v[30:31], -v[32:33]
	scratch_load_b128 v[30:33], off, off offset:704
	s_wait_loadcnt_dscnt 0x800
	v_mul_f64_e32 v[155:156], v[143:144], v[42:43]
	v_add_f64_e32 v[38:39], v[38:39], v[159:160]
	v_add_f64_e32 v[44:45], v[44:45], v[157:158]
	v_mul_f64_e32 v[157:158], v[145:146], v[42:43]
	v_fma_f64 v[159:160], v[4:5], v[34:35], v[161:162]
	v_fma_f64 v[161:162], v[2:3], v[34:35], -v[36:37]
	ds_load_b128 v[2:5], v1 offset:1312
	scratch_load_b128 v[34:37], off, off offset:720
	v_fma_f64 v[145:146], v[145:146], v[40:41], v[155:156]
	v_add_f64_e32 v[38:39], v[38:39], v[153:154]
	v_add_f64_e32 v[147:148], v[44:45], v[147:148]
	ds_load_b128 v[42:45], v1 offset:1328
	v_fma_f64 v[143:144], v[143:144], v[40:41], -v[157:158]
	s_wait_loadcnt_dscnt 0x701
	v_mul_f64_e32 v[153:154], v[2:3], v[151:152]
	v_mul_f64_e32 v[151:152], v[4:5], v[151:152]
	s_wait_dscnt 0x0
	v_mul_f64_e32 v[157:158], v[42:43], v[8:9]
	v_mul_f64_e32 v[8:9], v[44:45], v[8:9]
	v_add_f64_e32 v[155:156], v[38:39], v[161:162]
	v_add_f64_e32 v[147:148], v[147:148], v[159:160]
	scratch_load_b128 v[38:41], off, off offset:736
	v_fma_f64 v[153:154], v[4:5], v[149:150], v[153:154]
	v_fma_f64 v[149:150], v[2:3], v[149:150], -v[151:152]
	v_fma_f64 v[44:45], v[44:45], v[6:7], v[157:158]
	v_fma_f64 v[6:7], v[42:43], v[6:7], -v[8:9]
	v_add_f64_e32 v[151:152], v[155:156], v[143:144]
	v_add_f64_e32 v[147:148], v[147:148], v[145:146]
	ds_load_b128 v[2:5], v1 offset:1344
	ds_load_b128 v[143:146], v1 offset:1360
	s_wait_loadcnt_dscnt 0x701
	v_mul_f64_e32 v[155:156], v[2:3], v[12:13]
	v_mul_f64_e32 v[12:13], v[4:5], v[12:13]
	v_add_f64_e32 v[8:9], v[151:152], v[149:150]
	v_add_f64_e32 v[42:43], v[147:148], v[153:154]
	s_wait_loadcnt_dscnt 0x600
	v_mul_f64_e32 v[147:148], v[143:144], v[16:17]
	v_mul_f64_e32 v[16:17], v[145:146], v[16:17]
	v_fma_f64 v[149:150], v[4:5], v[10:11], v[155:156]
	v_fma_f64 v[10:11], v[2:3], v[10:11], -v[12:13]
	v_add_f64_e32 v[12:13], v[8:9], v[6:7]
	v_add_f64_e32 v[42:43], v[42:43], v[44:45]
	ds_load_b128 v[2:5], v1 offset:1376
	ds_load_b128 v[6:9], v1 offset:1392
	v_fma_f64 v[145:146], v[145:146], v[14:15], v[147:148]
	v_fma_f64 v[14:15], v[143:144], v[14:15], -v[16:17]
	s_wait_loadcnt_dscnt 0x501
	v_mul_f64_e32 v[44:45], v[2:3], v[20:21]
	v_mul_f64_e32 v[20:21], v[4:5], v[20:21]
	s_wait_loadcnt_dscnt 0x400
	v_mul_f64_e32 v[16:17], v[6:7], v[24:25]
	v_mul_f64_e32 v[24:25], v[8:9], v[24:25]
	v_add_f64_e32 v[10:11], v[12:13], v[10:11]
	v_add_f64_e32 v[12:13], v[42:43], v[149:150]
	v_fma_f64 v[42:43], v[4:5], v[18:19], v[44:45]
	v_fma_f64 v[18:19], v[2:3], v[18:19], -v[20:21]
	v_fma_f64 v[8:9], v[8:9], v[22:23], v[16:17]
	v_fma_f64 v[6:7], v[6:7], v[22:23], -v[24:25]
	v_add_f64_e32 v[14:15], v[10:11], v[14:15]
	v_add_f64_e32 v[20:21], v[12:13], v[145:146]
	ds_load_b128 v[2:5], v1 offset:1408
	ds_load_b128 v[10:13], v1 offset:1424
	s_wait_loadcnt_dscnt 0x301
	v_mul_f64_e32 v[44:45], v[2:3], v[28:29]
	v_mul_f64_e32 v[28:29], v[4:5], v[28:29]
	v_add_f64_e32 v[14:15], v[14:15], v[18:19]
	v_add_f64_e32 v[16:17], v[20:21], v[42:43]
	s_wait_loadcnt_dscnt 0x200
	v_mul_f64_e32 v[18:19], v[10:11], v[32:33]
	v_mul_f64_e32 v[20:21], v[12:13], v[32:33]
	v_fma_f64 v[22:23], v[4:5], v[26:27], v[44:45]
	v_fma_f64 v[24:25], v[2:3], v[26:27], -v[28:29]
	v_add_f64_e32 v[14:15], v[14:15], v[6:7]
	v_add_f64_e32 v[16:17], v[16:17], v[8:9]
	ds_load_b128 v[2:5], v1 offset:1440
	ds_load_b128 v[6:9], v1 offset:1456
	v_fma_f64 v[12:13], v[12:13], v[30:31], v[18:19]
	v_fma_f64 v[10:11], v[10:11], v[30:31], -v[20:21]
	s_wait_loadcnt_dscnt 0x101
	v_mul_f64_e32 v[26:27], v[2:3], v[36:37]
	v_mul_f64_e32 v[28:29], v[4:5], v[36:37]
	v_add_f64_e32 v[14:15], v[14:15], v[24:25]
	v_add_f64_e32 v[16:17], v[16:17], v[22:23]
	s_wait_loadcnt_dscnt 0x0
	v_mul_f64_e32 v[18:19], v[6:7], v[40:41]
	v_mul_f64_e32 v[20:21], v[8:9], v[40:41]
	v_fma_f64 v[4:5], v[4:5], v[34:35], v[26:27]
	v_fma_f64 v[1:2], v[2:3], v[34:35], -v[28:29]
	v_add_f64_e32 v[10:11], v[14:15], v[10:11]
	v_add_f64_e32 v[12:13], v[16:17], v[12:13]
	v_fma_f64 v[8:9], v[8:9], v[38:39], v[18:19]
	v_fma_f64 v[6:7], v[6:7], v[38:39], -v[20:21]
	s_delay_alu instid0(VALU_DEP_4) | instskip(NEXT) | instid1(VALU_DEP_4)
	v_add_f64_e32 v[1:2], v[10:11], v[1:2]
	v_add_f64_e32 v[3:4], v[12:13], v[4:5]
	s_delay_alu instid0(VALU_DEP_2) | instskip(NEXT) | instid1(VALU_DEP_2)
	v_add_f64_e32 v[1:2], v[1:2], v[6:7]
	v_add_f64_e32 v[3:4], v[3:4], v[8:9]
	s_delay_alu instid0(VALU_DEP_2) | instskip(NEXT) | instid1(VALU_DEP_2)
	v_add_f64_e64 v[1:2], v[139:140], -v[1:2]
	v_add_f64_e64 v[3:4], v[141:142], -v[3:4]
	scratch_store_b128 off, v[1:4], off offset:256
	v_cmpx_lt_u32_e32 14, v0
	s_cbranch_execz .LBB109_261
; %bb.260:
	scratch_load_b128 v[1:4], off, s45
	v_mov_b32_e32 v5, 0
	s_delay_alu instid0(VALU_DEP_1)
	v_dual_mov_b32 v6, v5 :: v_dual_mov_b32 v7, v5
	v_mov_b32_e32 v8, v5
	scratch_store_b128 off, v[5:8], off offset:240
	s_wait_loadcnt 0x0
	ds_store_b128 v138, v[1:4]
.LBB109_261:
	s_wait_alu 0xfffe
	s_or_b32 exec_lo, exec_lo, s0
	s_wait_storecnt_dscnt 0x0
	s_barrier_signal -1
	s_barrier_wait -1
	global_inv scope:SCOPE_SE
	s_clause 0x7
	scratch_load_b128 v[2:5], off, off offset:256
	scratch_load_b128 v[6:9], off, off offset:272
	;; [unrolled: 1-line block ×8, first 2 shown]
	v_mov_b32_e32 v1, 0
	s_mov_b32 s0, exec_lo
	ds_load_b128 v[34:37], v1 offset:976
	s_clause 0x1
	scratch_load_b128 v[38:41], off, off offset:384
	scratch_load_b128 v[42:45], off, off offset:240
	ds_load_b128 v[139:142], v1 offset:992
	scratch_load_b128 v[143:146], off, off offset:400
	s_wait_loadcnt_dscnt 0xa01
	v_mul_f64_e32 v[147:148], v[36:37], v[4:5]
	v_mul_f64_e32 v[4:5], v[34:35], v[4:5]
	s_delay_alu instid0(VALU_DEP_2) | instskip(NEXT) | instid1(VALU_DEP_2)
	v_fma_f64 v[153:154], v[34:35], v[2:3], -v[147:148]
	v_fma_f64 v[155:156], v[36:37], v[2:3], v[4:5]
	ds_load_b128 v[2:5], v1 offset:1008
	s_wait_loadcnt_dscnt 0x901
	v_mul_f64_e32 v[151:152], v[139:140], v[8:9]
	v_mul_f64_e32 v[8:9], v[141:142], v[8:9]
	scratch_load_b128 v[34:37], off, off offset:416
	ds_load_b128 v[147:150], v1 offset:1024
	s_wait_loadcnt_dscnt 0x901
	v_mul_f64_e32 v[157:158], v[2:3], v[12:13]
	v_mul_f64_e32 v[12:13], v[4:5], v[12:13]
	v_fma_f64 v[141:142], v[141:142], v[6:7], v[151:152]
	v_fma_f64 v[139:140], v[139:140], v[6:7], -v[8:9]
	v_add_f64_e32 v[151:152], 0, v[153:154]
	v_add_f64_e32 v[153:154], 0, v[155:156]
	scratch_load_b128 v[6:9], off, off offset:432
	v_fma_f64 v[157:158], v[4:5], v[10:11], v[157:158]
	v_fma_f64 v[159:160], v[2:3], v[10:11], -v[12:13]
	ds_load_b128 v[2:5], v1 offset:1040
	s_wait_loadcnt_dscnt 0x901
	v_mul_f64_e32 v[155:156], v[147:148], v[16:17]
	v_mul_f64_e32 v[16:17], v[149:150], v[16:17]
	scratch_load_b128 v[10:13], off, off offset:448
	v_add_f64_e32 v[151:152], v[151:152], v[139:140]
	v_add_f64_e32 v[153:154], v[153:154], v[141:142]
	s_wait_loadcnt_dscnt 0x900
	v_mul_f64_e32 v[161:162], v[2:3], v[20:21]
	v_mul_f64_e32 v[20:21], v[4:5], v[20:21]
	ds_load_b128 v[139:142], v1 offset:1056
	v_fma_f64 v[149:150], v[149:150], v[14:15], v[155:156]
	v_fma_f64 v[147:148], v[147:148], v[14:15], -v[16:17]
	scratch_load_b128 v[14:17], off, off offset:464
	v_add_f64_e32 v[151:152], v[151:152], v[159:160]
	v_add_f64_e32 v[153:154], v[153:154], v[157:158]
	v_fma_f64 v[157:158], v[4:5], v[18:19], v[161:162]
	v_fma_f64 v[159:160], v[2:3], v[18:19], -v[20:21]
	ds_load_b128 v[2:5], v1 offset:1072
	s_wait_loadcnt_dscnt 0x901
	v_mul_f64_e32 v[155:156], v[139:140], v[24:25]
	v_mul_f64_e32 v[24:25], v[141:142], v[24:25]
	scratch_load_b128 v[18:21], off, off offset:480
	s_wait_loadcnt_dscnt 0x900
	v_mul_f64_e32 v[161:162], v[2:3], v[28:29]
	v_mul_f64_e32 v[28:29], v[4:5], v[28:29]
	v_add_f64_e32 v[151:152], v[151:152], v[147:148]
	v_add_f64_e32 v[153:154], v[153:154], v[149:150]
	ds_load_b128 v[147:150], v1 offset:1088
	v_fma_f64 v[141:142], v[141:142], v[22:23], v[155:156]
	v_fma_f64 v[139:140], v[139:140], v[22:23], -v[24:25]
	scratch_load_b128 v[22:25], off, off offset:496
	v_add_f64_e32 v[151:152], v[151:152], v[159:160]
	v_add_f64_e32 v[153:154], v[153:154], v[157:158]
	v_fma_f64 v[157:158], v[4:5], v[26:27], v[161:162]
	v_fma_f64 v[159:160], v[2:3], v[26:27], -v[28:29]
	ds_load_b128 v[2:5], v1 offset:1104
	s_wait_loadcnt_dscnt 0x901
	v_mul_f64_e32 v[155:156], v[147:148], v[32:33]
	v_mul_f64_e32 v[32:33], v[149:150], v[32:33]
	scratch_load_b128 v[26:29], off, off offset:512
	s_wait_loadcnt_dscnt 0x900
	v_mul_f64_e32 v[161:162], v[2:3], v[40:41]
	v_mul_f64_e32 v[40:41], v[4:5], v[40:41]
	v_add_f64_e32 v[151:152], v[151:152], v[139:140]
	v_add_f64_e32 v[153:154], v[153:154], v[141:142]
	ds_load_b128 v[139:142], v1 offset:1120
	v_fma_f64 v[149:150], v[149:150], v[30:31], v[155:156]
	v_fma_f64 v[147:148], v[147:148], v[30:31], -v[32:33]
	scratch_load_b128 v[30:33], off, off offset:528
	v_add_f64_e32 v[151:152], v[151:152], v[159:160]
	v_add_f64_e32 v[153:154], v[153:154], v[157:158]
	v_fma_f64 v[159:160], v[4:5], v[38:39], v[161:162]
	v_fma_f64 v[161:162], v[2:3], v[38:39], -v[40:41]
	ds_load_b128 v[2:5], v1 offset:1136
	s_wait_loadcnt_dscnt 0x801
	v_mul_f64_e32 v[155:156], v[139:140], v[145:146]
	v_mul_f64_e32 v[157:158], v[141:142], v[145:146]
	scratch_load_b128 v[38:41], off, off offset:544
	v_add_f64_e32 v[151:152], v[151:152], v[147:148]
	v_add_f64_e32 v[149:150], v[153:154], v[149:150]
	ds_load_b128 v[145:148], v1 offset:1152
	v_fma_f64 v[155:156], v[141:142], v[143:144], v[155:156]
	v_fma_f64 v[143:144], v[139:140], v[143:144], -v[157:158]
	scratch_load_b128 v[139:142], off, off offset:560
	s_wait_loadcnt_dscnt 0x901
	v_mul_f64_e32 v[153:154], v[2:3], v[36:37]
	v_mul_f64_e32 v[36:37], v[4:5], v[36:37]
	v_add_f64_e32 v[151:152], v[151:152], v[161:162]
	v_add_f64_e32 v[149:150], v[149:150], v[159:160]
	s_delay_alu instid0(VALU_DEP_4) | instskip(NEXT) | instid1(VALU_DEP_4)
	v_fma_f64 v[153:154], v[4:5], v[34:35], v[153:154]
	v_fma_f64 v[159:160], v[2:3], v[34:35], -v[36:37]
	ds_load_b128 v[2:5], v1 offset:1168
	s_wait_loadcnt_dscnt 0x801
	v_mul_f64_e32 v[157:158], v[145:146], v[8:9]
	v_mul_f64_e32 v[8:9], v[147:148], v[8:9]
	scratch_load_b128 v[34:37], off, off offset:576
	s_wait_loadcnt_dscnt 0x800
	v_mul_f64_e32 v[161:162], v[2:3], v[12:13]
	v_add_f64_e32 v[143:144], v[151:152], v[143:144]
	v_add_f64_e32 v[155:156], v[149:150], v[155:156]
	v_mul_f64_e32 v[12:13], v[4:5], v[12:13]
	ds_load_b128 v[149:152], v1 offset:1184
	v_fma_f64 v[147:148], v[147:148], v[6:7], v[157:158]
	v_fma_f64 v[145:146], v[145:146], v[6:7], -v[8:9]
	scratch_load_b128 v[6:9], off, off offset:592
	v_fma_f64 v[157:158], v[4:5], v[10:11], v[161:162]
	v_add_f64_e32 v[143:144], v[143:144], v[159:160]
	v_add_f64_e32 v[153:154], v[155:156], v[153:154]
	v_fma_f64 v[159:160], v[2:3], v[10:11], -v[12:13]
	ds_load_b128 v[2:5], v1 offset:1200
	s_wait_loadcnt_dscnt 0x801
	v_mul_f64_e32 v[155:156], v[149:150], v[16:17]
	v_mul_f64_e32 v[16:17], v[151:152], v[16:17]
	scratch_load_b128 v[10:13], off, off offset:608
	v_add_f64_e32 v[161:162], v[143:144], v[145:146]
	v_add_f64_e32 v[147:148], v[153:154], v[147:148]
	s_wait_loadcnt_dscnt 0x800
	v_mul_f64_e32 v[153:154], v[2:3], v[20:21]
	v_mul_f64_e32 v[20:21], v[4:5], v[20:21]
	v_fma_f64 v[151:152], v[151:152], v[14:15], v[155:156]
	v_fma_f64 v[149:150], v[149:150], v[14:15], -v[16:17]
	ds_load_b128 v[143:146], v1 offset:1216
	scratch_load_b128 v[14:17], off, off offset:624
	v_add_f64_e32 v[155:156], v[161:162], v[159:160]
	v_add_f64_e32 v[147:148], v[147:148], v[157:158]
	v_fma_f64 v[153:154], v[4:5], v[18:19], v[153:154]
	v_fma_f64 v[159:160], v[2:3], v[18:19], -v[20:21]
	ds_load_b128 v[2:5], v1 offset:1232
	s_wait_loadcnt_dscnt 0x801
	v_mul_f64_e32 v[157:158], v[143:144], v[24:25]
	v_mul_f64_e32 v[24:25], v[145:146], v[24:25]
	scratch_load_b128 v[18:21], off, off offset:640
	s_wait_loadcnt_dscnt 0x800
	v_mul_f64_e32 v[161:162], v[2:3], v[28:29]
	v_mul_f64_e32 v[28:29], v[4:5], v[28:29]
	v_add_f64_e32 v[155:156], v[155:156], v[149:150]
	v_add_f64_e32 v[151:152], v[147:148], v[151:152]
	ds_load_b128 v[147:150], v1 offset:1248
	v_fma_f64 v[145:146], v[145:146], v[22:23], v[157:158]
	v_fma_f64 v[143:144], v[143:144], v[22:23], -v[24:25]
	scratch_load_b128 v[22:25], off, off offset:656
	v_fma_f64 v[157:158], v[4:5], v[26:27], v[161:162]
	v_add_f64_e32 v[155:156], v[155:156], v[159:160]
	v_add_f64_e32 v[151:152], v[151:152], v[153:154]
	v_fma_f64 v[159:160], v[2:3], v[26:27], -v[28:29]
	ds_load_b128 v[2:5], v1 offset:1264
	s_wait_loadcnt_dscnt 0x801
	v_mul_f64_e32 v[153:154], v[147:148], v[32:33]
	v_mul_f64_e32 v[32:33], v[149:150], v[32:33]
	scratch_load_b128 v[26:29], off, off offset:672
	s_wait_loadcnt_dscnt 0x800
	v_mul_f64_e32 v[161:162], v[2:3], v[40:41]
	v_mul_f64_e32 v[40:41], v[4:5], v[40:41]
	v_add_f64_e32 v[155:156], v[155:156], v[143:144]
	v_add_f64_e32 v[151:152], v[151:152], v[145:146]
	ds_load_b128 v[143:146], v1 offset:1280
	v_fma_f64 v[149:150], v[149:150], v[30:31], v[153:154]
	v_fma_f64 v[147:148], v[147:148], v[30:31], -v[32:33]
	scratch_load_b128 v[30:33], off, off offset:688
	v_add_f64_e32 v[153:154], v[155:156], v[159:160]
	v_add_f64_e32 v[151:152], v[151:152], v[157:158]
	v_fma_f64 v[157:158], v[4:5], v[38:39], v[161:162]
	v_fma_f64 v[159:160], v[2:3], v[38:39], -v[40:41]
	ds_load_b128 v[2:5], v1 offset:1296
	s_wait_loadcnt_dscnt 0x801
	v_mul_f64_e32 v[155:156], v[143:144], v[141:142]
	v_mul_f64_e32 v[141:142], v[145:146], v[141:142]
	scratch_load_b128 v[38:41], off, off offset:704
	s_wait_loadcnt_dscnt 0x800
	v_mul_f64_e32 v[161:162], v[2:3], v[36:37]
	v_mul_f64_e32 v[36:37], v[4:5], v[36:37]
	v_add_f64_e32 v[153:154], v[153:154], v[147:148]
	v_add_f64_e32 v[151:152], v[151:152], v[149:150]
	ds_load_b128 v[147:150], v1 offset:1312
	v_fma_f64 v[145:146], v[145:146], v[139:140], v[155:156]
	v_fma_f64 v[143:144], v[143:144], v[139:140], -v[141:142]
	scratch_load_b128 v[139:142], off, off offset:720
	v_add_f64_e32 v[153:154], v[153:154], v[159:160]
	v_add_f64_e32 v[151:152], v[151:152], v[157:158]
	v_fma_f64 v[157:158], v[4:5], v[34:35], v[161:162]
	v_fma_f64 v[159:160], v[2:3], v[34:35], -v[36:37]
	ds_load_b128 v[2:5], v1 offset:1328
	s_wait_loadcnt_dscnt 0x801
	v_mul_f64_e32 v[155:156], v[147:148], v[8:9]
	v_mul_f64_e32 v[8:9], v[149:150], v[8:9]
	scratch_load_b128 v[34:37], off, off offset:736
	s_wait_loadcnt_dscnt 0x800
	v_mul_f64_e32 v[161:162], v[2:3], v[12:13]
	v_mul_f64_e32 v[12:13], v[4:5], v[12:13]
	v_add_f64_e32 v[153:154], v[153:154], v[143:144]
	v_add_f64_e32 v[151:152], v[151:152], v[145:146]
	ds_load_b128 v[143:146], v1 offset:1344
	v_fma_f64 v[149:150], v[149:150], v[6:7], v[155:156]
	v_fma_f64 v[6:7], v[147:148], v[6:7], -v[8:9]
	v_add_f64_e32 v[8:9], v[153:154], v[159:160]
	v_add_f64_e32 v[147:148], v[151:152], v[157:158]
	s_wait_loadcnt_dscnt 0x700
	v_mul_f64_e32 v[151:152], v[143:144], v[16:17]
	v_mul_f64_e32 v[16:17], v[145:146], v[16:17]
	v_fma_f64 v[153:154], v[4:5], v[10:11], v[161:162]
	v_fma_f64 v[10:11], v[2:3], v[10:11], -v[12:13]
	v_add_f64_e32 v[12:13], v[8:9], v[6:7]
	v_add_f64_e32 v[147:148], v[147:148], v[149:150]
	ds_load_b128 v[2:5], v1 offset:1360
	ds_load_b128 v[6:9], v1 offset:1376
	v_fma_f64 v[145:146], v[145:146], v[14:15], v[151:152]
	v_fma_f64 v[14:15], v[143:144], v[14:15], -v[16:17]
	s_wait_loadcnt_dscnt 0x601
	v_mul_f64_e32 v[149:150], v[2:3], v[20:21]
	v_mul_f64_e32 v[20:21], v[4:5], v[20:21]
	s_wait_loadcnt_dscnt 0x500
	v_mul_f64_e32 v[16:17], v[6:7], v[24:25]
	v_mul_f64_e32 v[24:25], v[8:9], v[24:25]
	v_add_f64_e32 v[10:11], v[12:13], v[10:11]
	v_add_f64_e32 v[12:13], v[147:148], v[153:154]
	v_fma_f64 v[143:144], v[4:5], v[18:19], v[149:150]
	v_fma_f64 v[18:19], v[2:3], v[18:19], -v[20:21]
	v_fma_f64 v[8:9], v[8:9], v[22:23], v[16:17]
	v_fma_f64 v[6:7], v[6:7], v[22:23], -v[24:25]
	v_add_f64_e32 v[14:15], v[10:11], v[14:15]
	v_add_f64_e32 v[20:21], v[12:13], v[145:146]
	ds_load_b128 v[2:5], v1 offset:1392
	ds_load_b128 v[10:13], v1 offset:1408
	s_wait_loadcnt_dscnt 0x401
	v_mul_f64_e32 v[145:146], v[2:3], v[28:29]
	v_mul_f64_e32 v[28:29], v[4:5], v[28:29]
	v_add_f64_e32 v[14:15], v[14:15], v[18:19]
	v_add_f64_e32 v[16:17], v[20:21], v[143:144]
	s_wait_loadcnt_dscnt 0x300
	v_mul_f64_e32 v[18:19], v[10:11], v[32:33]
	v_mul_f64_e32 v[20:21], v[12:13], v[32:33]
	v_fma_f64 v[22:23], v[4:5], v[26:27], v[145:146]
	v_fma_f64 v[24:25], v[2:3], v[26:27], -v[28:29]
	v_add_f64_e32 v[14:15], v[14:15], v[6:7]
	v_add_f64_e32 v[16:17], v[16:17], v[8:9]
	ds_load_b128 v[2:5], v1 offset:1424
	ds_load_b128 v[6:9], v1 offset:1440
	v_fma_f64 v[12:13], v[12:13], v[30:31], v[18:19]
	v_fma_f64 v[10:11], v[10:11], v[30:31], -v[20:21]
	s_wait_loadcnt_dscnt 0x201
	v_mul_f64_e32 v[26:27], v[2:3], v[40:41]
	v_mul_f64_e32 v[28:29], v[4:5], v[40:41]
	s_wait_loadcnt_dscnt 0x100
	v_mul_f64_e32 v[18:19], v[6:7], v[141:142]
	v_mul_f64_e32 v[20:21], v[8:9], v[141:142]
	v_add_f64_e32 v[14:15], v[14:15], v[24:25]
	v_add_f64_e32 v[16:17], v[16:17], v[22:23]
	v_fma_f64 v[22:23], v[4:5], v[38:39], v[26:27]
	v_fma_f64 v[24:25], v[2:3], v[38:39], -v[28:29]
	ds_load_b128 v[2:5], v1 offset:1456
	v_fma_f64 v[8:9], v[8:9], v[139:140], v[18:19]
	v_fma_f64 v[6:7], v[6:7], v[139:140], -v[20:21]
	v_add_f64_e32 v[10:11], v[14:15], v[10:11]
	v_add_f64_e32 v[12:13], v[16:17], v[12:13]
	s_wait_loadcnt_dscnt 0x0
	v_mul_f64_e32 v[14:15], v[2:3], v[36:37]
	v_mul_f64_e32 v[16:17], v[4:5], v[36:37]
	s_delay_alu instid0(VALU_DEP_4) | instskip(NEXT) | instid1(VALU_DEP_4)
	v_add_f64_e32 v[10:11], v[10:11], v[24:25]
	v_add_f64_e32 v[12:13], v[12:13], v[22:23]
	s_delay_alu instid0(VALU_DEP_4) | instskip(NEXT) | instid1(VALU_DEP_4)
	v_fma_f64 v[4:5], v[4:5], v[34:35], v[14:15]
	v_fma_f64 v[2:3], v[2:3], v[34:35], -v[16:17]
	s_delay_alu instid0(VALU_DEP_4) | instskip(NEXT) | instid1(VALU_DEP_4)
	v_add_f64_e32 v[6:7], v[10:11], v[6:7]
	v_add_f64_e32 v[8:9], v[12:13], v[8:9]
	s_delay_alu instid0(VALU_DEP_2) | instskip(NEXT) | instid1(VALU_DEP_2)
	v_add_f64_e32 v[2:3], v[6:7], v[2:3]
	v_add_f64_e32 v[4:5], v[8:9], v[4:5]
	s_delay_alu instid0(VALU_DEP_2) | instskip(NEXT) | instid1(VALU_DEP_2)
	v_add_f64_e64 v[2:3], v[42:43], -v[2:3]
	v_add_f64_e64 v[4:5], v[44:45], -v[4:5]
	scratch_store_b128 off, v[2:5], off offset:240
	v_cmpx_lt_u32_e32 13, v0
	s_cbranch_execz .LBB109_263
; %bb.262:
	scratch_load_b128 v[5:8], off, s46
	v_dual_mov_b32 v2, v1 :: v_dual_mov_b32 v3, v1
	v_mov_b32_e32 v4, v1
	scratch_store_b128 off, v[1:4], off offset:224
	s_wait_loadcnt 0x0
	ds_store_b128 v138, v[5:8]
.LBB109_263:
	s_wait_alu 0xfffe
	s_or_b32 exec_lo, exec_lo, s0
	s_wait_storecnt_dscnt 0x0
	s_barrier_signal -1
	s_barrier_wait -1
	global_inv scope:SCOPE_SE
	s_clause 0x8
	scratch_load_b128 v[2:5], off, off offset:240
	scratch_load_b128 v[6:9], off, off offset:256
	;; [unrolled: 1-line block ×9, first 2 shown]
	ds_load_b128 v[38:41], v1 offset:960
	ds_load_b128 v[42:45], v1 offset:976
	s_clause 0x1
	scratch_load_b128 v[139:142], off, off offset:224
	scratch_load_b128 v[143:146], off, off offset:384
	s_mov_b32 s0, exec_lo
	s_wait_loadcnt_dscnt 0xa01
	v_mul_f64_e32 v[147:148], v[40:41], v[4:5]
	v_mul_f64_e32 v[4:5], v[38:39], v[4:5]
	s_wait_loadcnt_dscnt 0x900
	v_mul_f64_e32 v[151:152], v[42:43], v[8:9]
	v_mul_f64_e32 v[8:9], v[44:45], v[8:9]
	s_delay_alu instid0(VALU_DEP_4) | instskip(NEXT) | instid1(VALU_DEP_4)
	v_fma_f64 v[153:154], v[38:39], v[2:3], -v[147:148]
	v_fma_f64 v[155:156], v[40:41], v[2:3], v[4:5]
	ds_load_b128 v[2:5], v1 offset:992
	ds_load_b128 v[147:150], v1 offset:1008
	scratch_load_b128 v[38:41], off, off offset:400
	v_fma_f64 v[44:45], v[44:45], v[6:7], v[151:152]
	v_fma_f64 v[42:43], v[42:43], v[6:7], -v[8:9]
	scratch_load_b128 v[6:9], off, off offset:416
	s_wait_loadcnt_dscnt 0xa01
	v_mul_f64_e32 v[157:158], v[2:3], v[12:13]
	v_mul_f64_e32 v[12:13], v[4:5], v[12:13]
	v_add_f64_e32 v[151:152], 0, v[153:154]
	v_add_f64_e32 v[153:154], 0, v[155:156]
	s_wait_loadcnt_dscnt 0x900
	v_mul_f64_e32 v[155:156], v[147:148], v[16:17]
	v_mul_f64_e32 v[16:17], v[149:150], v[16:17]
	v_fma_f64 v[157:158], v[4:5], v[10:11], v[157:158]
	v_fma_f64 v[159:160], v[2:3], v[10:11], -v[12:13]
	ds_load_b128 v[2:5], v1 offset:1024
	scratch_load_b128 v[10:13], off, off offset:432
	v_add_f64_e32 v[151:152], v[151:152], v[42:43]
	v_add_f64_e32 v[153:154], v[153:154], v[44:45]
	ds_load_b128 v[42:45], v1 offset:1040
	v_fma_f64 v[149:150], v[149:150], v[14:15], v[155:156]
	v_fma_f64 v[147:148], v[147:148], v[14:15], -v[16:17]
	scratch_load_b128 v[14:17], off, off offset:448
	s_wait_loadcnt_dscnt 0xa01
	v_mul_f64_e32 v[161:162], v[2:3], v[20:21]
	v_mul_f64_e32 v[20:21], v[4:5], v[20:21]
	s_wait_loadcnt_dscnt 0x900
	v_mul_f64_e32 v[155:156], v[42:43], v[24:25]
	v_mul_f64_e32 v[24:25], v[44:45], v[24:25]
	v_add_f64_e32 v[151:152], v[151:152], v[159:160]
	v_add_f64_e32 v[153:154], v[153:154], v[157:158]
	v_fma_f64 v[157:158], v[4:5], v[18:19], v[161:162]
	v_fma_f64 v[159:160], v[2:3], v[18:19], -v[20:21]
	ds_load_b128 v[2:5], v1 offset:1056
	scratch_load_b128 v[18:21], off, off offset:464
	v_fma_f64 v[44:45], v[44:45], v[22:23], v[155:156]
	v_fma_f64 v[42:43], v[42:43], v[22:23], -v[24:25]
	scratch_load_b128 v[22:25], off, off offset:480
	v_add_f64_e32 v[151:152], v[151:152], v[147:148]
	v_add_f64_e32 v[153:154], v[153:154], v[149:150]
	ds_load_b128 v[147:150], v1 offset:1072
	s_wait_loadcnt_dscnt 0xa01
	v_mul_f64_e32 v[161:162], v[2:3], v[28:29]
	v_mul_f64_e32 v[28:29], v[4:5], v[28:29]
	s_wait_loadcnt_dscnt 0x900
	v_mul_f64_e32 v[155:156], v[147:148], v[32:33]
	v_mul_f64_e32 v[32:33], v[149:150], v[32:33]
	v_add_f64_e32 v[151:152], v[151:152], v[159:160]
	v_add_f64_e32 v[153:154], v[153:154], v[157:158]
	v_fma_f64 v[157:158], v[4:5], v[26:27], v[161:162]
	v_fma_f64 v[159:160], v[2:3], v[26:27], -v[28:29]
	ds_load_b128 v[2:5], v1 offset:1088
	scratch_load_b128 v[26:29], off, off offset:496
	v_fma_f64 v[149:150], v[149:150], v[30:31], v[155:156]
	v_fma_f64 v[147:148], v[147:148], v[30:31], -v[32:33]
	scratch_load_b128 v[30:33], off, off offset:512
	v_add_f64_e32 v[151:152], v[151:152], v[42:43]
	v_add_f64_e32 v[153:154], v[153:154], v[44:45]
	ds_load_b128 v[42:45], v1 offset:1104
	s_wait_loadcnt_dscnt 0xa01
	v_mul_f64_e32 v[161:162], v[2:3], v[36:37]
	v_mul_f64_e32 v[36:37], v[4:5], v[36:37]
	s_wait_loadcnt_dscnt 0x800
	v_mul_f64_e32 v[155:156], v[42:43], v[145:146]
	v_add_f64_e32 v[151:152], v[151:152], v[159:160]
	v_add_f64_e32 v[153:154], v[153:154], v[157:158]
	v_mul_f64_e32 v[157:158], v[44:45], v[145:146]
	v_fma_f64 v[159:160], v[4:5], v[34:35], v[161:162]
	v_fma_f64 v[161:162], v[2:3], v[34:35], -v[36:37]
	ds_load_b128 v[2:5], v1 offset:1120
	scratch_load_b128 v[34:37], off, off offset:528
	v_fma_f64 v[44:45], v[44:45], v[143:144], v[155:156]
	v_add_f64_e32 v[151:152], v[151:152], v[147:148]
	v_add_f64_e32 v[149:150], v[153:154], v[149:150]
	ds_load_b128 v[145:148], v1 offset:1136
	v_fma_f64 v[143:144], v[42:43], v[143:144], -v[157:158]
	s_wait_loadcnt_dscnt 0x801
	v_mul_f64_e32 v[153:154], v[2:3], v[40:41]
	v_mul_f64_e32 v[163:164], v[4:5], v[40:41]
	scratch_load_b128 v[40:43], off, off offset:544
	s_wait_loadcnt_dscnt 0x800
	v_mul_f64_e32 v[157:158], v[145:146], v[8:9]
	v_mul_f64_e32 v[8:9], v[147:148], v[8:9]
	v_add_f64_e32 v[151:152], v[151:152], v[161:162]
	v_add_f64_e32 v[149:150], v[149:150], v[159:160]
	v_fma_f64 v[159:160], v[4:5], v[38:39], v[153:154]
	v_fma_f64 v[38:39], v[2:3], v[38:39], -v[163:164]
	ds_load_b128 v[2:5], v1 offset:1152
	ds_load_b128 v[153:156], v1 offset:1168
	v_fma_f64 v[147:148], v[147:148], v[6:7], v[157:158]
	v_fma_f64 v[145:146], v[145:146], v[6:7], -v[8:9]
	scratch_load_b128 v[6:9], off, off offset:576
	v_add_f64_e32 v[143:144], v[151:152], v[143:144]
	v_add_f64_e32 v[44:45], v[149:150], v[44:45]
	scratch_load_b128 v[149:152], off, off offset:560
	s_wait_loadcnt_dscnt 0x901
	v_mul_f64_e32 v[161:162], v[2:3], v[12:13]
	v_mul_f64_e32 v[12:13], v[4:5], v[12:13]
	s_wait_loadcnt_dscnt 0x800
	v_mul_f64_e32 v[157:158], v[153:154], v[16:17]
	v_mul_f64_e32 v[16:17], v[155:156], v[16:17]
	v_add_f64_e32 v[38:39], v[143:144], v[38:39]
	v_add_f64_e32 v[44:45], v[44:45], v[159:160]
	v_fma_f64 v[159:160], v[4:5], v[10:11], v[161:162]
	v_fma_f64 v[161:162], v[2:3], v[10:11], -v[12:13]
	ds_load_b128 v[2:5], v1 offset:1184
	scratch_load_b128 v[10:13], off, off offset:592
	v_fma_f64 v[155:156], v[155:156], v[14:15], v[157:158]
	v_fma_f64 v[153:154], v[153:154], v[14:15], -v[16:17]
	scratch_load_b128 v[14:17], off, off offset:608
	v_add_f64_e32 v[38:39], v[38:39], v[145:146]
	v_add_f64_e32 v[44:45], v[44:45], v[147:148]
	ds_load_b128 v[143:146], v1 offset:1200
	s_wait_loadcnt_dscnt 0x901
	v_mul_f64_e32 v[147:148], v[2:3], v[20:21]
	v_mul_f64_e32 v[20:21], v[4:5], v[20:21]
	s_wait_loadcnt_dscnt 0x800
	v_mul_f64_e32 v[157:158], v[143:144], v[24:25]
	v_mul_f64_e32 v[24:25], v[145:146], v[24:25]
	v_add_f64_e32 v[38:39], v[38:39], v[161:162]
	v_add_f64_e32 v[44:45], v[44:45], v[159:160]
	v_fma_f64 v[147:148], v[4:5], v[18:19], v[147:148]
	v_fma_f64 v[159:160], v[2:3], v[18:19], -v[20:21]
	ds_load_b128 v[2:5], v1 offset:1216
	scratch_load_b128 v[18:21], off, off offset:624
	v_fma_f64 v[145:146], v[145:146], v[22:23], v[157:158]
	v_fma_f64 v[143:144], v[143:144], v[22:23], -v[24:25]
	scratch_load_b128 v[22:25], off, off offset:640
	v_add_f64_e32 v[38:39], v[38:39], v[153:154]
	v_add_f64_e32 v[44:45], v[44:45], v[155:156]
	ds_load_b128 v[153:156], v1 offset:1232
	s_wait_loadcnt_dscnt 0x901
	v_mul_f64_e32 v[161:162], v[2:3], v[28:29]
	v_mul_f64_e32 v[28:29], v[4:5], v[28:29]
	v_add_f64_e32 v[38:39], v[38:39], v[159:160]
	v_add_f64_e32 v[44:45], v[44:45], v[147:148]
	s_wait_loadcnt_dscnt 0x800
	v_mul_f64_e32 v[147:148], v[153:154], v[32:33]
	v_mul_f64_e32 v[32:33], v[155:156], v[32:33]
	v_fma_f64 v[157:158], v[4:5], v[26:27], v[161:162]
	v_fma_f64 v[159:160], v[2:3], v[26:27], -v[28:29]
	ds_load_b128 v[2:5], v1 offset:1248
	scratch_load_b128 v[26:29], off, off offset:656
	v_add_f64_e32 v[38:39], v[38:39], v[143:144]
	v_add_f64_e32 v[44:45], v[44:45], v[145:146]
	ds_load_b128 v[143:146], v1 offset:1264
	s_wait_loadcnt_dscnt 0x801
	v_mul_f64_e32 v[161:162], v[2:3], v[36:37]
	v_mul_f64_e32 v[36:37], v[4:5], v[36:37]
	v_fma_f64 v[147:148], v[155:156], v[30:31], v[147:148]
	v_fma_f64 v[153:154], v[153:154], v[30:31], -v[32:33]
	scratch_load_b128 v[30:33], off, off offset:672
	s_wait_loadcnt_dscnt 0x800
	v_mul_f64_e32 v[155:156], v[143:144], v[42:43]
	v_add_f64_e32 v[38:39], v[38:39], v[159:160]
	v_add_f64_e32 v[44:45], v[44:45], v[157:158]
	v_mul_f64_e32 v[157:158], v[145:146], v[42:43]
	v_fma_f64 v[159:160], v[4:5], v[34:35], v[161:162]
	v_fma_f64 v[161:162], v[2:3], v[34:35], -v[36:37]
	ds_load_b128 v[2:5], v1 offset:1280
	scratch_load_b128 v[34:37], off, off offset:688
	v_fma_f64 v[145:146], v[145:146], v[40:41], v[155:156]
	v_add_f64_e32 v[38:39], v[38:39], v[153:154]
	v_add_f64_e32 v[147:148], v[44:45], v[147:148]
	ds_load_b128 v[42:45], v1 offset:1296
	v_fma_f64 v[143:144], v[143:144], v[40:41], -v[157:158]
	s_wait_loadcnt_dscnt 0x701
	v_mul_f64_e32 v[153:154], v[2:3], v[151:152]
	v_mul_f64_e32 v[151:152], v[4:5], v[151:152]
	s_wait_dscnt 0x0
	v_mul_f64_e32 v[157:158], v[42:43], v[8:9]
	v_mul_f64_e32 v[8:9], v[44:45], v[8:9]
	v_add_f64_e32 v[155:156], v[38:39], v[161:162]
	v_add_f64_e32 v[147:148], v[147:148], v[159:160]
	scratch_load_b128 v[38:41], off, off offset:704
	v_fma_f64 v[153:154], v[4:5], v[149:150], v[153:154]
	v_fma_f64 v[151:152], v[2:3], v[149:150], -v[151:152]
	ds_load_b128 v[2:5], v1 offset:1312
	v_fma_f64 v[44:45], v[44:45], v[6:7], v[157:158]
	v_fma_f64 v[42:43], v[42:43], v[6:7], -v[8:9]
	scratch_load_b128 v[6:9], off, off offset:736
	v_add_f64_e32 v[155:156], v[155:156], v[143:144]
	v_add_f64_e32 v[159:160], v[147:148], v[145:146]
	scratch_load_b128 v[143:146], off, off offset:720
	ds_load_b128 v[147:150], v1 offset:1328
	s_wait_loadcnt_dscnt 0x901
	v_mul_f64_e32 v[161:162], v[2:3], v[12:13]
	v_mul_f64_e32 v[12:13], v[4:5], v[12:13]
	v_add_f64_e32 v[151:152], v[155:156], v[151:152]
	v_add_f64_e32 v[153:154], v[159:160], v[153:154]
	s_wait_loadcnt_dscnt 0x800
	v_mul_f64_e32 v[155:156], v[147:148], v[16:17]
	v_mul_f64_e32 v[16:17], v[149:150], v[16:17]
	v_fma_f64 v[157:158], v[4:5], v[10:11], v[161:162]
	v_fma_f64 v[159:160], v[2:3], v[10:11], -v[12:13]
	ds_load_b128 v[2:5], v1 offset:1344
	ds_load_b128 v[10:13], v1 offset:1360
	v_add_f64_e32 v[42:43], v[151:152], v[42:43]
	v_add_f64_e32 v[44:45], v[153:154], v[44:45]
	s_wait_loadcnt_dscnt 0x701
	v_mul_f64_e32 v[151:152], v[2:3], v[20:21]
	v_mul_f64_e32 v[20:21], v[4:5], v[20:21]
	v_fma_f64 v[149:150], v[149:150], v[14:15], v[155:156]
	v_fma_f64 v[14:15], v[147:148], v[14:15], -v[16:17]
	v_add_f64_e32 v[16:17], v[42:43], v[159:160]
	v_add_f64_e32 v[42:43], v[44:45], v[157:158]
	s_wait_loadcnt_dscnt 0x600
	v_mul_f64_e32 v[44:45], v[10:11], v[24:25]
	v_mul_f64_e32 v[24:25], v[12:13], v[24:25]
	v_fma_f64 v[147:148], v[4:5], v[18:19], v[151:152]
	v_fma_f64 v[18:19], v[2:3], v[18:19], -v[20:21]
	v_add_f64_e32 v[20:21], v[16:17], v[14:15]
	v_add_f64_e32 v[42:43], v[42:43], v[149:150]
	ds_load_b128 v[2:5], v1 offset:1376
	ds_load_b128 v[14:17], v1 offset:1392
	v_fma_f64 v[12:13], v[12:13], v[22:23], v[44:45]
	v_fma_f64 v[10:11], v[10:11], v[22:23], -v[24:25]
	s_wait_loadcnt_dscnt 0x501
	v_mul_f64_e32 v[149:150], v[2:3], v[28:29]
	v_mul_f64_e32 v[28:29], v[4:5], v[28:29]
	s_wait_loadcnt_dscnt 0x400
	v_mul_f64_e32 v[22:23], v[14:15], v[32:33]
	v_mul_f64_e32 v[24:25], v[16:17], v[32:33]
	v_add_f64_e32 v[18:19], v[20:21], v[18:19]
	v_add_f64_e32 v[20:21], v[42:43], v[147:148]
	v_fma_f64 v[32:33], v[4:5], v[26:27], v[149:150]
	v_fma_f64 v[26:27], v[2:3], v[26:27], -v[28:29]
	v_fma_f64 v[16:17], v[16:17], v[30:31], v[22:23]
	v_fma_f64 v[14:15], v[14:15], v[30:31], -v[24:25]
	v_add_f64_e32 v[18:19], v[18:19], v[10:11]
	v_add_f64_e32 v[20:21], v[20:21], v[12:13]
	ds_load_b128 v[2:5], v1 offset:1408
	ds_load_b128 v[10:13], v1 offset:1424
	s_wait_loadcnt_dscnt 0x301
	v_mul_f64_e32 v[28:29], v[2:3], v[36:37]
	v_mul_f64_e32 v[36:37], v[4:5], v[36:37]
	v_add_f64_e32 v[18:19], v[18:19], v[26:27]
	v_add_f64_e32 v[20:21], v[20:21], v[32:33]
	s_wait_loadcnt_dscnt 0x200
	v_mul_f64_e32 v[22:23], v[10:11], v[40:41]
	v_mul_f64_e32 v[24:25], v[12:13], v[40:41]
	v_fma_f64 v[26:27], v[4:5], v[34:35], v[28:29]
	v_fma_f64 v[28:29], v[2:3], v[34:35], -v[36:37]
	v_add_f64_e32 v[18:19], v[18:19], v[14:15]
	v_add_f64_e32 v[20:21], v[20:21], v[16:17]
	ds_load_b128 v[2:5], v1 offset:1440
	ds_load_b128 v[14:17], v1 offset:1456
	v_fma_f64 v[12:13], v[12:13], v[38:39], v[22:23]
	v_fma_f64 v[10:11], v[10:11], v[38:39], -v[24:25]
	s_wait_loadcnt_dscnt 0x1
	v_mul_f64_e32 v[30:31], v[2:3], v[145:146]
	v_mul_f64_e32 v[32:33], v[4:5], v[145:146]
	s_wait_dscnt 0x0
	v_mul_f64_e32 v[22:23], v[14:15], v[8:9]
	v_mul_f64_e32 v[8:9], v[16:17], v[8:9]
	v_add_f64_e32 v[18:19], v[18:19], v[28:29]
	v_add_f64_e32 v[20:21], v[20:21], v[26:27]
	v_fma_f64 v[4:5], v[4:5], v[143:144], v[30:31]
	v_fma_f64 v[1:2], v[2:3], v[143:144], -v[32:33]
	v_fma_f64 v[16:17], v[16:17], v[6:7], v[22:23]
	v_fma_f64 v[6:7], v[14:15], v[6:7], -v[8:9]
	v_add_f64_e32 v[10:11], v[18:19], v[10:11]
	v_add_f64_e32 v[12:13], v[20:21], v[12:13]
	s_delay_alu instid0(VALU_DEP_2) | instskip(NEXT) | instid1(VALU_DEP_2)
	v_add_f64_e32 v[1:2], v[10:11], v[1:2]
	v_add_f64_e32 v[3:4], v[12:13], v[4:5]
	s_delay_alu instid0(VALU_DEP_2) | instskip(NEXT) | instid1(VALU_DEP_2)
	;; [unrolled: 3-line block ×3, first 2 shown]
	v_add_f64_e64 v[1:2], v[139:140], -v[1:2]
	v_add_f64_e64 v[3:4], v[141:142], -v[3:4]
	scratch_store_b128 off, v[1:4], off offset:224
	v_cmpx_lt_u32_e32 12, v0
	s_cbranch_execz .LBB109_265
; %bb.264:
	scratch_load_b128 v[1:4], off, s47
	v_mov_b32_e32 v5, 0
	s_delay_alu instid0(VALU_DEP_1)
	v_dual_mov_b32 v6, v5 :: v_dual_mov_b32 v7, v5
	v_mov_b32_e32 v8, v5
	scratch_store_b128 off, v[5:8], off offset:208
	s_wait_loadcnt 0x0
	ds_store_b128 v138, v[1:4]
.LBB109_265:
	s_wait_alu 0xfffe
	s_or_b32 exec_lo, exec_lo, s0
	s_wait_storecnt_dscnt 0x0
	s_barrier_signal -1
	s_barrier_wait -1
	global_inv scope:SCOPE_SE
	s_clause 0x7
	scratch_load_b128 v[2:5], off, off offset:224
	scratch_load_b128 v[6:9], off, off offset:240
	;; [unrolled: 1-line block ×8, first 2 shown]
	v_mov_b32_e32 v1, 0
	s_mov_b32 s0, exec_lo
	ds_load_b128 v[34:37], v1 offset:944
	s_clause 0x1
	scratch_load_b128 v[38:41], off, off offset:352
	scratch_load_b128 v[42:45], off, off offset:208
	ds_load_b128 v[139:142], v1 offset:960
	scratch_load_b128 v[143:146], off, off offset:368
	s_wait_loadcnt_dscnt 0xa01
	v_mul_f64_e32 v[147:148], v[36:37], v[4:5]
	v_mul_f64_e32 v[4:5], v[34:35], v[4:5]
	s_delay_alu instid0(VALU_DEP_2) | instskip(NEXT) | instid1(VALU_DEP_2)
	v_fma_f64 v[153:154], v[34:35], v[2:3], -v[147:148]
	v_fma_f64 v[155:156], v[36:37], v[2:3], v[4:5]
	ds_load_b128 v[2:5], v1 offset:976
	s_wait_loadcnt_dscnt 0x901
	v_mul_f64_e32 v[151:152], v[139:140], v[8:9]
	v_mul_f64_e32 v[8:9], v[141:142], v[8:9]
	scratch_load_b128 v[34:37], off, off offset:384
	ds_load_b128 v[147:150], v1 offset:992
	s_wait_loadcnt_dscnt 0x901
	v_mul_f64_e32 v[157:158], v[2:3], v[12:13]
	v_mul_f64_e32 v[12:13], v[4:5], v[12:13]
	v_fma_f64 v[141:142], v[141:142], v[6:7], v[151:152]
	v_fma_f64 v[139:140], v[139:140], v[6:7], -v[8:9]
	v_add_f64_e32 v[151:152], 0, v[153:154]
	v_add_f64_e32 v[153:154], 0, v[155:156]
	scratch_load_b128 v[6:9], off, off offset:400
	v_fma_f64 v[157:158], v[4:5], v[10:11], v[157:158]
	v_fma_f64 v[159:160], v[2:3], v[10:11], -v[12:13]
	ds_load_b128 v[2:5], v1 offset:1008
	s_wait_loadcnt_dscnt 0x901
	v_mul_f64_e32 v[155:156], v[147:148], v[16:17]
	v_mul_f64_e32 v[16:17], v[149:150], v[16:17]
	scratch_load_b128 v[10:13], off, off offset:416
	v_add_f64_e32 v[151:152], v[151:152], v[139:140]
	v_add_f64_e32 v[153:154], v[153:154], v[141:142]
	s_wait_loadcnt_dscnt 0x900
	v_mul_f64_e32 v[161:162], v[2:3], v[20:21]
	v_mul_f64_e32 v[20:21], v[4:5], v[20:21]
	ds_load_b128 v[139:142], v1 offset:1024
	v_fma_f64 v[149:150], v[149:150], v[14:15], v[155:156]
	v_fma_f64 v[147:148], v[147:148], v[14:15], -v[16:17]
	scratch_load_b128 v[14:17], off, off offset:432
	v_add_f64_e32 v[151:152], v[151:152], v[159:160]
	v_add_f64_e32 v[153:154], v[153:154], v[157:158]
	v_fma_f64 v[157:158], v[4:5], v[18:19], v[161:162]
	v_fma_f64 v[159:160], v[2:3], v[18:19], -v[20:21]
	ds_load_b128 v[2:5], v1 offset:1040
	s_wait_loadcnt_dscnt 0x901
	v_mul_f64_e32 v[155:156], v[139:140], v[24:25]
	v_mul_f64_e32 v[24:25], v[141:142], v[24:25]
	scratch_load_b128 v[18:21], off, off offset:448
	s_wait_loadcnt_dscnt 0x900
	v_mul_f64_e32 v[161:162], v[2:3], v[28:29]
	v_mul_f64_e32 v[28:29], v[4:5], v[28:29]
	v_add_f64_e32 v[151:152], v[151:152], v[147:148]
	v_add_f64_e32 v[153:154], v[153:154], v[149:150]
	ds_load_b128 v[147:150], v1 offset:1056
	v_fma_f64 v[141:142], v[141:142], v[22:23], v[155:156]
	v_fma_f64 v[139:140], v[139:140], v[22:23], -v[24:25]
	scratch_load_b128 v[22:25], off, off offset:464
	v_add_f64_e32 v[151:152], v[151:152], v[159:160]
	v_add_f64_e32 v[153:154], v[153:154], v[157:158]
	v_fma_f64 v[157:158], v[4:5], v[26:27], v[161:162]
	v_fma_f64 v[159:160], v[2:3], v[26:27], -v[28:29]
	ds_load_b128 v[2:5], v1 offset:1072
	s_wait_loadcnt_dscnt 0x901
	v_mul_f64_e32 v[155:156], v[147:148], v[32:33]
	v_mul_f64_e32 v[32:33], v[149:150], v[32:33]
	scratch_load_b128 v[26:29], off, off offset:480
	s_wait_loadcnt_dscnt 0x900
	v_mul_f64_e32 v[161:162], v[2:3], v[40:41]
	v_mul_f64_e32 v[40:41], v[4:5], v[40:41]
	v_add_f64_e32 v[151:152], v[151:152], v[139:140]
	v_add_f64_e32 v[153:154], v[153:154], v[141:142]
	ds_load_b128 v[139:142], v1 offset:1088
	v_fma_f64 v[149:150], v[149:150], v[30:31], v[155:156]
	v_fma_f64 v[147:148], v[147:148], v[30:31], -v[32:33]
	scratch_load_b128 v[30:33], off, off offset:496
	v_add_f64_e32 v[151:152], v[151:152], v[159:160]
	v_add_f64_e32 v[153:154], v[153:154], v[157:158]
	v_fma_f64 v[159:160], v[4:5], v[38:39], v[161:162]
	v_fma_f64 v[161:162], v[2:3], v[38:39], -v[40:41]
	ds_load_b128 v[2:5], v1 offset:1104
	s_wait_loadcnt_dscnt 0x801
	v_mul_f64_e32 v[155:156], v[139:140], v[145:146]
	v_mul_f64_e32 v[157:158], v[141:142], v[145:146]
	scratch_load_b128 v[38:41], off, off offset:512
	v_add_f64_e32 v[151:152], v[151:152], v[147:148]
	v_add_f64_e32 v[149:150], v[153:154], v[149:150]
	ds_load_b128 v[145:148], v1 offset:1120
	v_fma_f64 v[155:156], v[141:142], v[143:144], v[155:156]
	v_fma_f64 v[143:144], v[139:140], v[143:144], -v[157:158]
	scratch_load_b128 v[139:142], off, off offset:528
	s_wait_loadcnt_dscnt 0x901
	v_mul_f64_e32 v[153:154], v[2:3], v[36:37]
	v_mul_f64_e32 v[36:37], v[4:5], v[36:37]
	v_add_f64_e32 v[151:152], v[151:152], v[161:162]
	v_add_f64_e32 v[149:150], v[149:150], v[159:160]
	s_delay_alu instid0(VALU_DEP_4) | instskip(NEXT) | instid1(VALU_DEP_4)
	v_fma_f64 v[153:154], v[4:5], v[34:35], v[153:154]
	v_fma_f64 v[159:160], v[2:3], v[34:35], -v[36:37]
	ds_load_b128 v[2:5], v1 offset:1136
	s_wait_loadcnt_dscnt 0x801
	v_mul_f64_e32 v[157:158], v[145:146], v[8:9]
	v_mul_f64_e32 v[8:9], v[147:148], v[8:9]
	scratch_load_b128 v[34:37], off, off offset:544
	s_wait_loadcnt_dscnt 0x800
	v_mul_f64_e32 v[161:162], v[2:3], v[12:13]
	v_add_f64_e32 v[143:144], v[151:152], v[143:144]
	v_add_f64_e32 v[155:156], v[149:150], v[155:156]
	v_mul_f64_e32 v[12:13], v[4:5], v[12:13]
	ds_load_b128 v[149:152], v1 offset:1152
	v_fma_f64 v[147:148], v[147:148], v[6:7], v[157:158]
	v_fma_f64 v[145:146], v[145:146], v[6:7], -v[8:9]
	scratch_load_b128 v[6:9], off, off offset:560
	v_fma_f64 v[157:158], v[4:5], v[10:11], v[161:162]
	v_add_f64_e32 v[143:144], v[143:144], v[159:160]
	v_add_f64_e32 v[153:154], v[155:156], v[153:154]
	v_fma_f64 v[159:160], v[2:3], v[10:11], -v[12:13]
	ds_load_b128 v[2:5], v1 offset:1168
	s_wait_loadcnt_dscnt 0x801
	v_mul_f64_e32 v[155:156], v[149:150], v[16:17]
	v_mul_f64_e32 v[16:17], v[151:152], v[16:17]
	scratch_load_b128 v[10:13], off, off offset:576
	v_add_f64_e32 v[161:162], v[143:144], v[145:146]
	v_add_f64_e32 v[147:148], v[153:154], v[147:148]
	s_wait_loadcnt_dscnt 0x800
	v_mul_f64_e32 v[153:154], v[2:3], v[20:21]
	v_mul_f64_e32 v[20:21], v[4:5], v[20:21]
	v_fma_f64 v[151:152], v[151:152], v[14:15], v[155:156]
	v_fma_f64 v[149:150], v[149:150], v[14:15], -v[16:17]
	ds_load_b128 v[143:146], v1 offset:1184
	scratch_load_b128 v[14:17], off, off offset:592
	v_add_f64_e32 v[155:156], v[161:162], v[159:160]
	v_add_f64_e32 v[147:148], v[147:148], v[157:158]
	v_fma_f64 v[153:154], v[4:5], v[18:19], v[153:154]
	v_fma_f64 v[159:160], v[2:3], v[18:19], -v[20:21]
	ds_load_b128 v[2:5], v1 offset:1200
	s_wait_loadcnt_dscnt 0x801
	v_mul_f64_e32 v[157:158], v[143:144], v[24:25]
	v_mul_f64_e32 v[24:25], v[145:146], v[24:25]
	scratch_load_b128 v[18:21], off, off offset:608
	s_wait_loadcnt_dscnt 0x800
	v_mul_f64_e32 v[161:162], v[2:3], v[28:29]
	v_mul_f64_e32 v[28:29], v[4:5], v[28:29]
	v_add_f64_e32 v[155:156], v[155:156], v[149:150]
	v_add_f64_e32 v[151:152], v[147:148], v[151:152]
	ds_load_b128 v[147:150], v1 offset:1216
	v_fma_f64 v[145:146], v[145:146], v[22:23], v[157:158]
	v_fma_f64 v[143:144], v[143:144], v[22:23], -v[24:25]
	scratch_load_b128 v[22:25], off, off offset:624
	v_fma_f64 v[157:158], v[4:5], v[26:27], v[161:162]
	v_add_f64_e32 v[155:156], v[155:156], v[159:160]
	v_add_f64_e32 v[151:152], v[151:152], v[153:154]
	v_fma_f64 v[159:160], v[2:3], v[26:27], -v[28:29]
	ds_load_b128 v[2:5], v1 offset:1232
	s_wait_loadcnt_dscnt 0x801
	v_mul_f64_e32 v[153:154], v[147:148], v[32:33]
	v_mul_f64_e32 v[32:33], v[149:150], v[32:33]
	scratch_load_b128 v[26:29], off, off offset:640
	s_wait_loadcnt_dscnt 0x800
	v_mul_f64_e32 v[161:162], v[2:3], v[40:41]
	v_mul_f64_e32 v[40:41], v[4:5], v[40:41]
	v_add_f64_e32 v[155:156], v[155:156], v[143:144]
	v_add_f64_e32 v[151:152], v[151:152], v[145:146]
	ds_load_b128 v[143:146], v1 offset:1248
	v_fma_f64 v[149:150], v[149:150], v[30:31], v[153:154]
	v_fma_f64 v[147:148], v[147:148], v[30:31], -v[32:33]
	scratch_load_b128 v[30:33], off, off offset:656
	v_add_f64_e32 v[153:154], v[155:156], v[159:160]
	v_add_f64_e32 v[151:152], v[151:152], v[157:158]
	v_fma_f64 v[157:158], v[4:5], v[38:39], v[161:162]
	v_fma_f64 v[159:160], v[2:3], v[38:39], -v[40:41]
	ds_load_b128 v[2:5], v1 offset:1264
	s_wait_loadcnt_dscnt 0x801
	v_mul_f64_e32 v[155:156], v[143:144], v[141:142]
	v_mul_f64_e32 v[141:142], v[145:146], v[141:142]
	scratch_load_b128 v[38:41], off, off offset:672
	s_wait_loadcnt_dscnt 0x800
	v_mul_f64_e32 v[161:162], v[2:3], v[36:37]
	v_mul_f64_e32 v[36:37], v[4:5], v[36:37]
	v_add_f64_e32 v[153:154], v[153:154], v[147:148]
	v_add_f64_e32 v[151:152], v[151:152], v[149:150]
	ds_load_b128 v[147:150], v1 offset:1280
	v_fma_f64 v[145:146], v[145:146], v[139:140], v[155:156]
	v_fma_f64 v[143:144], v[143:144], v[139:140], -v[141:142]
	scratch_load_b128 v[139:142], off, off offset:688
	v_add_f64_e32 v[153:154], v[153:154], v[159:160]
	v_add_f64_e32 v[151:152], v[151:152], v[157:158]
	v_fma_f64 v[157:158], v[4:5], v[34:35], v[161:162]
	;; [unrolled: 18-line block ×3, first 2 shown]
	v_fma_f64 v[159:160], v[2:3], v[10:11], -v[12:13]
	ds_load_b128 v[2:5], v1 offset:1328
	s_wait_loadcnt_dscnt 0x801
	v_mul_f64_e32 v[155:156], v[143:144], v[16:17]
	v_mul_f64_e32 v[16:17], v[145:146], v[16:17]
	scratch_load_b128 v[10:13], off, off offset:736
	s_wait_loadcnt_dscnt 0x800
	v_mul_f64_e32 v[161:162], v[2:3], v[20:21]
	v_mul_f64_e32 v[20:21], v[4:5], v[20:21]
	v_add_f64_e32 v[153:154], v[153:154], v[147:148]
	v_add_f64_e32 v[151:152], v[151:152], v[149:150]
	ds_load_b128 v[147:150], v1 offset:1344
	v_fma_f64 v[145:146], v[145:146], v[14:15], v[155:156]
	v_fma_f64 v[14:15], v[143:144], v[14:15], -v[16:17]
	v_add_f64_e32 v[16:17], v[153:154], v[159:160]
	v_add_f64_e32 v[143:144], v[151:152], v[157:158]
	s_wait_loadcnt_dscnt 0x700
	v_mul_f64_e32 v[151:152], v[147:148], v[24:25]
	v_mul_f64_e32 v[24:25], v[149:150], v[24:25]
	v_fma_f64 v[153:154], v[4:5], v[18:19], v[161:162]
	v_fma_f64 v[18:19], v[2:3], v[18:19], -v[20:21]
	v_add_f64_e32 v[20:21], v[16:17], v[14:15]
	v_add_f64_e32 v[143:144], v[143:144], v[145:146]
	ds_load_b128 v[2:5], v1 offset:1360
	ds_load_b128 v[14:17], v1 offset:1376
	v_fma_f64 v[149:150], v[149:150], v[22:23], v[151:152]
	v_fma_f64 v[22:23], v[147:148], v[22:23], -v[24:25]
	s_wait_loadcnt_dscnt 0x601
	v_mul_f64_e32 v[145:146], v[2:3], v[28:29]
	v_mul_f64_e32 v[28:29], v[4:5], v[28:29]
	s_wait_loadcnt_dscnt 0x500
	v_mul_f64_e32 v[24:25], v[14:15], v[32:33]
	v_mul_f64_e32 v[32:33], v[16:17], v[32:33]
	v_add_f64_e32 v[18:19], v[20:21], v[18:19]
	v_add_f64_e32 v[20:21], v[143:144], v[153:154]
	v_fma_f64 v[143:144], v[4:5], v[26:27], v[145:146]
	v_fma_f64 v[26:27], v[2:3], v[26:27], -v[28:29]
	v_fma_f64 v[16:17], v[16:17], v[30:31], v[24:25]
	v_fma_f64 v[14:15], v[14:15], v[30:31], -v[32:33]
	v_add_f64_e32 v[22:23], v[18:19], v[22:23]
	v_add_f64_e32 v[28:29], v[20:21], v[149:150]
	ds_load_b128 v[2:5], v1 offset:1392
	ds_load_b128 v[18:21], v1 offset:1408
	s_wait_loadcnt_dscnt 0x401
	v_mul_f64_e32 v[145:146], v[2:3], v[40:41]
	v_mul_f64_e32 v[40:41], v[4:5], v[40:41]
	v_add_f64_e32 v[22:23], v[22:23], v[26:27]
	v_add_f64_e32 v[24:25], v[28:29], v[143:144]
	s_wait_loadcnt_dscnt 0x300
	v_mul_f64_e32 v[26:27], v[18:19], v[141:142]
	v_mul_f64_e32 v[28:29], v[20:21], v[141:142]
	v_fma_f64 v[30:31], v[4:5], v[38:39], v[145:146]
	v_fma_f64 v[32:33], v[2:3], v[38:39], -v[40:41]
	v_add_f64_e32 v[22:23], v[22:23], v[14:15]
	v_add_f64_e32 v[24:25], v[24:25], v[16:17]
	ds_load_b128 v[2:5], v1 offset:1424
	ds_load_b128 v[14:17], v1 offset:1440
	v_fma_f64 v[20:21], v[20:21], v[139:140], v[26:27]
	v_fma_f64 v[18:19], v[18:19], v[139:140], -v[28:29]
	s_wait_loadcnt_dscnt 0x201
	v_mul_f64_e32 v[38:39], v[2:3], v[36:37]
	v_mul_f64_e32 v[36:37], v[4:5], v[36:37]
	s_wait_loadcnt_dscnt 0x100
	v_mul_f64_e32 v[26:27], v[14:15], v[8:9]
	v_mul_f64_e32 v[8:9], v[16:17], v[8:9]
	v_add_f64_e32 v[22:23], v[22:23], v[32:33]
	v_add_f64_e32 v[24:25], v[24:25], v[30:31]
	v_fma_f64 v[28:29], v[4:5], v[34:35], v[38:39]
	v_fma_f64 v[30:31], v[2:3], v[34:35], -v[36:37]
	ds_load_b128 v[2:5], v1 offset:1456
	v_fma_f64 v[16:17], v[16:17], v[6:7], v[26:27]
	v_fma_f64 v[6:7], v[14:15], v[6:7], -v[8:9]
	v_add_f64_e32 v[18:19], v[22:23], v[18:19]
	v_add_f64_e32 v[20:21], v[24:25], v[20:21]
	s_wait_loadcnt_dscnt 0x0
	v_mul_f64_e32 v[22:23], v[2:3], v[12:13]
	v_mul_f64_e32 v[12:13], v[4:5], v[12:13]
	s_delay_alu instid0(VALU_DEP_4) | instskip(NEXT) | instid1(VALU_DEP_4)
	v_add_f64_e32 v[8:9], v[18:19], v[30:31]
	v_add_f64_e32 v[14:15], v[20:21], v[28:29]
	s_delay_alu instid0(VALU_DEP_4) | instskip(NEXT) | instid1(VALU_DEP_4)
	v_fma_f64 v[4:5], v[4:5], v[10:11], v[22:23]
	v_fma_f64 v[2:3], v[2:3], v[10:11], -v[12:13]
	s_delay_alu instid0(VALU_DEP_4) | instskip(NEXT) | instid1(VALU_DEP_4)
	v_add_f64_e32 v[6:7], v[8:9], v[6:7]
	v_add_f64_e32 v[8:9], v[14:15], v[16:17]
	s_delay_alu instid0(VALU_DEP_2) | instskip(NEXT) | instid1(VALU_DEP_2)
	v_add_f64_e32 v[2:3], v[6:7], v[2:3]
	v_add_f64_e32 v[4:5], v[8:9], v[4:5]
	s_delay_alu instid0(VALU_DEP_2) | instskip(NEXT) | instid1(VALU_DEP_2)
	v_add_f64_e64 v[2:3], v[42:43], -v[2:3]
	v_add_f64_e64 v[4:5], v[44:45], -v[4:5]
	scratch_store_b128 off, v[2:5], off offset:208
	v_cmpx_lt_u32_e32 11, v0
	s_cbranch_execz .LBB109_267
; %bb.266:
	scratch_load_b128 v[5:8], off, s48
	v_dual_mov_b32 v2, v1 :: v_dual_mov_b32 v3, v1
	v_mov_b32_e32 v4, v1
	scratch_store_b128 off, v[1:4], off offset:192
	s_wait_loadcnt 0x0
	ds_store_b128 v138, v[5:8]
.LBB109_267:
	s_wait_alu 0xfffe
	s_or_b32 exec_lo, exec_lo, s0
	s_wait_storecnt_dscnt 0x0
	s_barrier_signal -1
	s_barrier_wait -1
	global_inv scope:SCOPE_SE
	s_clause 0x8
	scratch_load_b128 v[2:5], off, off offset:208
	scratch_load_b128 v[6:9], off, off offset:224
	;; [unrolled: 1-line block ×9, first 2 shown]
	ds_load_b128 v[38:41], v1 offset:928
	ds_load_b128 v[42:45], v1 offset:944
	s_clause 0x1
	scratch_load_b128 v[139:142], off, off offset:192
	scratch_load_b128 v[143:146], off, off offset:352
	s_mov_b32 s0, exec_lo
	s_wait_loadcnt_dscnt 0xa01
	v_mul_f64_e32 v[147:148], v[40:41], v[4:5]
	v_mul_f64_e32 v[4:5], v[38:39], v[4:5]
	s_wait_loadcnt_dscnt 0x900
	v_mul_f64_e32 v[151:152], v[42:43], v[8:9]
	v_mul_f64_e32 v[8:9], v[44:45], v[8:9]
	s_delay_alu instid0(VALU_DEP_4) | instskip(NEXT) | instid1(VALU_DEP_4)
	v_fma_f64 v[153:154], v[38:39], v[2:3], -v[147:148]
	v_fma_f64 v[155:156], v[40:41], v[2:3], v[4:5]
	ds_load_b128 v[2:5], v1 offset:960
	ds_load_b128 v[147:150], v1 offset:976
	scratch_load_b128 v[38:41], off, off offset:368
	v_fma_f64 v[44:45], v[44:45], v[6:7], v[151:152]
	v_fma_f64 v[42:43], v[42:43], v[6:7], -v[8:9]
	scratch_load_b128 v[6:9], off, off offset:384
	s_wait_loadcnt_dscnt 0xa01
	v_mul_f64_e32 v[157:158], v[2:3], v[12:13]
	v_mul_f64_e32 v[12:13], v[4:5], v[12:13]
	v_add_f64_e32 v[151:152], 0, v[153:154]
	v_add_f64_e32 v[153:154], 0, v[155:156]
	s_wait_loadcnt_dscnt 0x900
	v_mul_f64_e32 v[155:156], v[147:148], v[16:17]
	v_mul_f64_e32 v[16:17], v[149:150], v[16:17]
	v_fma_f64 v[157:158], v[4:5], v[10:11], v[157:158]
	v_fma_f64 v[159:160], v[2:3], v[10:11], -v[12:13]
	ds_load_b128 v[2:5], v1 offset:992
	scratch_load_b128 v[10:13], off, off offset:400
	v_add_f64_e32 v[151:152], v[151:152], v[42:43]
	v_add_f64_e32 v[153:154], v[153:154], v[44:45]
	ds_load_b128 v[42:45], v1 offset:1008
	v_fma_f64 v[149:150], v[149:150], v[14:15], v[155:156]
	v_fma_f64 v[147:148], v[147:148], v[14:15], -v[16:17]
	scratch_load_b128 v[14:17], off, off offset:416
	s_wait_loadcnt_dscnt 0xa01
	v_mul_f64_e32 v[161:162], v[2:3], v[20:21]
	v_mul_f64_e32 v[20:21], v[4:5], v[20:21]
	s_wait_loadcnt_dscnt 0x900
	v_mul_f64_e32 v[155:156], v[42:43], v[24:25]
	v_mul_f64_e32 v[24:25], v[44:45], v[24:25]
	v_add_f64_e32 v[151:152], v[151:152], v[159:160]
	v_add_f64_e32 v[153:154], v[153:154], v[157:158]
	v_fma_f64 v[157:158], v[4:5], v[18:19], v[161:162]
	v_fma_f64 v[159:160], v[2:3], v[18:19], -v[20:21]
	ds_load_b128 v[2:5], v1 offset:1024
	scratch_load_b128 v[18:21], off, off offset:432
	v_fma_f64 v[44:45], v[44:45], v[22:23], v[155:156]
	v_fma_f64 v[42:43], v[42:43], v[22:23], -v[24:25]
	scratch_load_b128 v[22:25], off, off offset:448
	v_add_f64_e32 v[151:152], v[151:152], v[147:148]
	v_add_f64_e32 v[153:154], v[153:154], v[149:150]
	ds_load_b128 v[147:150], v1 offset:1040
	s_wait_loadcnt_dscnt 0xa01
	v_mul_f64_e32 v[161:162], v[2:3], v[28:29]
	v_mul_f64_e32 v[28:29], v[4:5], v[28:29]
	s_wait_loadcnt_dscnt 0x900
	v_mul_f64_e32 v[155:156], v[147:148], v[32:33]
	v_mul_f64_e32 v[32:33], v[149:150], v[32:33]
	v_add_f64_e32 v[151:152], v[151:152], v[159:160]
	v_add_f64_e32 v[153:154], v[153:154], v[157:158]
	v_fma_f64 v[157:158], v[4:5], v[26:27], v[161:162]
	v_fma_f64 v[159:160], v[2:3], v[26:27], -v[28:29]
	ds_load_b128 v[2:5], v1 offset:1056
	scratch_load_b128 v[26:29], off, off offset:464
	v_fma_f64 v[149:150], v[149:150], v[30:31], v[155:156]
	v_fma_f64 v[147:148], v[147:148], v[30:31], -v[32:33]
	scratch_load_b128 v[30:33], off, off offset:480
	v_add_f64_e32 v[151:152], v[151:152], v[42:43]
	v_add_f64_e32 v[153:154], v[153:154], v[44:45]
	ds_load_b128 v[42:45], v1 offset:1072
	s_wait_loadcnt_dscnt 0xa01
	v_mul_f64_e32 v[161:162], v[2:3], v[36:37]
	v_mul_f64_e32 v[36:37], v[4:5], v[36:37]
	s_wait_loadcnt_dscnt 0x800
	v_mul_f64_e32 v[155:156], v[42:43], v[145:146]
	v_add_f64_e32 v[151:152], v[151:152], v[159:160]
	v_add_f64_e32 v[153:154], v[153:154], v[157:158]
	v_mul_f64_e32 v[157:158], v[44:45], v[145:146]
	v_fma_f64 v[159:160], v[4:5], v[34:35], v[161:162]
	v_fma_f64 v[161:162], v[2:3], v[34:35], -v[36:37]
	ds_load_b128 v[2:5], v1 offset:1088
	scratch_load_b128 v[34:37], off, off offset:496
	v_fma_f64 v[44:45], v[44:45], v[143:144], v[155:156]
	v_add_f64_e32 v[151:152], v[151:152], v[147:148]
	v_add_f64_e32 v[149:150], v[153:154], v[149:150]
	ds_load_b128 v[145:148], v1 offset:1104
	v_fma_f64 v[143:144], v[42:43], v[143:144], -v[157:158]
	s_wait_loadcnt_dscnt 0x801
	v_mul_f64_e32 v[153:154], v[2:3], v[40:41]
	v_mul_f64_e32 v[163:164], v[4:5], v[40:41]
	scratch_load_b128 v[40:43], off, off offset:512
	s_wait_loadcnt_dscnt 0x800
	v_mul_f64_e32 v[157:158], v[145:146], v[8:9]
	v_mul_f64_e32 v[8:9], v[147:148], v[8:9]
	v_add_f64_e32 v[151:152], v[151:152], v[161:162]
	v_add_f64_e32 v[149:150], v[149:150], v[159:160]
	v_fma_f64 v[159:160], v[4:5], v[38:39], v[153:154]
	v_fma_f64 v[38:39], v[2:3], v[38:39], -v[163:164]
	ds_load_b128 v[2:5], v1 offset:1120
	ds_load_b128 v[153:156], v1 offset:1136
	v_fma_f64 v[147:148], v[147:148], v[6:7], v[157:158]
	v_fma_f64 v[145:146], v[145:146], v[6:7], -v[8:9]
	scratch_load_b128 v[6:9], off, off offset:544
	v_add_f64_e32 v[143:144], v[151:152], v[143:144]
	v_add_f64_e32 v[44:45], v[149:150], v[44:45]
	scratch_load_b128 v[149:152], off, off offset:528
	s_wait_loadcnt_dscnt 0x901
	v_mul_f64_e32 v[161:162], v[2:3], v[12:13]
	v_mul_f64_e32 v[12:13], v[4:5], v[12:13]
	s_wait_loadcnt_dscnt 0x800
	v_mul_f64_e32 v[157:158], v[153:154], v[16:17]
	v_mul_f64_e32 v[16:17], v[155:156], v[16:17]
	v_add_f64_e32 v[38:39], v[143:144], v[38:39]
	v_add_f64_e32 v[44:45], v[44:45], v[159:160]
	v_fma_f64 v[159:160], v[4:5], v[10:11], v[161:162]
	v_fma_f64 v[161:162], v[2:3], v[10:11], -v[12:13]
	ds_load_b128 v[2:5], v1 offset:1152
	scratch_load_b128 v[10:13], off, off offset:560
	v_fma_f64 v[155:156], v[155:156], v[14:15], v[157:158]
	v_fma_f64 v[153:154], v[153:154], v[14:15], -v[16:17]
	scratch_load_b128 v[14:17], off, off offset:576
	v_add_f64_e32 v[38:39], v[38:39], v[145:146]
	v_add_f64_e32 v[44:45], v[44:45], v[147:148]
	ds_load_b128 v[143:146], v1 offset:1168
	s_wait_loadcnt_dscnt 0x901
	v_mul_f64_e32 v[147:148], v[2:3], v[20:21]
	v_mul_f64_e32 v[20:21], v[4:5], v[20:21]
	s_wait_loadcnt_dscnt 0x800
	v_mul_f64_e32 v[157:158], v[143:144], v[24:25]
	v_mul_f64_e32 v[24:25], v[145:146], v[24:25]
	v_add_f64_e32 v[38:39], v[38:39], v[161:162]
	v_add_f64_e32 v[44:45], v[44:45], v[159:160]
	v_fma_f64 v[147:148], v[4:5], v[18:19], v[147:148]
	v_fma_f64 v[159:160], v[2:3], v[18:19], -v[20:21]
	ds_load_b128 v[2:5], v1 offset:1184
	scratch_load_b128 v[18:21], off, off offset:592
	v_fma_f64 v[145:146], v[145:146], v[22:23], v[157:158]
	v_fma_f64 v[143:144], v[143:144], v[22:23], -v[24:25]
	scratch_load_b128 v[22:25], off, off offset:608
	v_add_f64_e32 v[38:39], v[38:39], v[153:154]
	v_add_f64_e32 v[44:45], v[44:45], v[155:156]
	ds_load_b128 v[153:156], v1 offset:1200
	s_wait_loadcnt_dscnt 0x901
	v_mul_f64_e32 v[161:162], v[2:3], v[28:29]
	v_mul_f64_e32 v[28:29], v[4:5], v[28:29]
	v_add_f64_e32 v[38:39], v[38:39], v[159:160]
	v_add_f64_e32 v[44:45], v[44:45], v[147:148]
	s_wait_loadcnt_dscnt 0x800
	v_mul_f64_e32 v[147:148], v[153:154], v[32:33]
	v_mul_f64_e32 v[32:33], v[155:156], v[32:33]
	v_fma_f64 v[157:158], v[4:5], v[26:27], v[161:162]
	v_fma_f64 v[159:160], v[2:3], v[26:27], -v[28:29]
	ds_load_b128 v[2:5], v1 offset:1216
	scratch_load_b128 v[26:29], off, off offset:624
	v_add_f64_e32 v[38:39], v[38:39], v[143:144]
	v_add_f64_e32 v[44:45], v[44:45], v[145:146]
	ds_load_b128 v[143:146], v1 offset:1232
	s_wait_loadcnt_dscnt 0x801
	v_mul_f64_e32 v[161:162], v[2:3], v[36:37]
	v_mul_f64_e32 v[36:37], v[4:5], v[36:37]
	v_fma_f64 v[147:148], v[155:156], v[30:31], v[147:148]
	v_fma_f64 v[153:154], v[153:154], v[30:31], -v[32:33]
	scratch_load_b128 v[30:33], off, off offset:640
	s_wait_loadcnt_dscnt 0x800
	v_mul_f64_e32 v[155:156], v[143:144], v[42:43]
	v_add_f64_e32 v[38:39], v[38:39], v[159:160]
	v_add_f64_e32 v[44:45], v[44:45], v[157:158]
	v_mul_f64_e32 v[157:158], v[145:146], v[42:43]
	v_fma_f64 v[159:160], v[4:5], v[34:35], v[161:162]
	v_fma_f64 v[161:162], v[2:3], v[34:35], -v[36:37]
	ds_load_b128 v[2:5], v1 offset:1248
	scratch_load_b128 v[34:37], off, off offset:656
	v_fma_f64 v[145:146], v[145:146], v[40:41], v[155:156]
	v_add_f64_e32 v[38:39], v[38:39], v[153:154]
	v_add_f64_e32 v[147:148], v[44:45], v[147:148]
	ds_load_b128 v[42:45], v1 offset:1264
	v_fma_f64 v[143:144], v[143:144], v[40:41], -v[157:158]
	s_wait_loadcnt_dscnt 0x701
	v_mul_f64_e32 v[153:154], v[2:3], v[151:152]
	v_mul_f64_e32 v[151:152], v[4:5], v[151:152]
	s_wait_dscnt 0x0
	v_mul_f64_e32 v[157:158], v[42:43], v[8:9]
	v_mul_f64_e32 v[8:9], v[44:45], v[8:9]
	v_add_f64_e32 v[155:156], v[38:39], v[161:162]
	v_add_f64_e32 v[147:148], v[147:148], v[159:160]
	scratch_load_b128 v[38:41], off, off offset:672
	v_fma_f64 v[153:154], v[4:5], v[149:150], v[153:154]
	v_fma_f64 v[151:152], v[2:3], v[149:150], -v[151:152]
	ds_load_b128 v[2:5], v1 offset:1280
	v_fma_f64 v[44:45], v[44:45], v[6:7], v[157:158]
	v_fma_f64 v[42:43], v[42:43], v[6:7], -v[8:9]
	scratch_load_b128 v[6:9], off, off offset:704
	v_add_f64_e32 v[155:156], v[155:156], v[143:144]
	v_add_f64_e32 v[159:160], v[147:148], v[145:146]
	scratch_load_b128 v[143:146], off, off offset:688
	ds_load_b128 v[147:150], v1 offset:1296
	s_wait_loadcnt_dscnt 0x901
	v_mul_f64_e32 v[161:162], v[2:3], v[12:13]
	v_mul_f64_e32 v[12:13], v[4:5], v[12:13]
	v_add_f64_e32 v[151:152], v[155:156], v[151:152]
	v_add_f64_e32 v[153:154], v[159:160], v[153:154]
	s_wait_loadcnt_dscnt 0x800
	v_mul_f64_e32 v[155:156], v[147:148], v[16:17]
	v_mul_f64_e32 v[16:17], v[149:150], v[16:17]
	v_fma_f64 v[157:158], v[4:5], v[10:11], v[161:162]
	v_fma_f64 v[159:160], v[2:3], v[10:11], -v[12:13]
	ds_load_b128 v[2:5], v1 offset:1312
	scratch_load_b128 v[10:13], off, off offset:720
	v_add_f64_e32 v[151:152], v[151:152], v[42:43]
	v_add_f64_e32 v[153:154], v[153:154], v[44:45]
	ds_load_b128 v[42:45], v1 offset:1328
	s_wait_loadcnt_dscnt 0x801
	v_mul_f64_e32 v[161:162], v[2:3], v[20:21]
	v_mul_f64_e32 v[20:21], v[4:5], v[20:21]
	v_fma_f64 v[149:150], v[149:150], v[14:15], v[155:156]
	v_fma_f64 v[147:148], v[147:148], v[14:15], -v[16:17]
	scratch_load_b128 v[14:17], off, off offset:736
	s_wait_loadcnt_dscnt 0x800
	v_mul_f64_e32 v[155:156], v[42:43], v[24:25]
	v_mul_f64_e32 v[24:25], v[44:45], v[24:25]
	v_add_f64_e32 v[151:152], v[151:152], v[159:160]
	v_add_f64_e32 v[153:154], v[153:154], v[157:158]
	v_fma_f64 v[157:158], v[4:5], v[18:19], v[161:162]
	v_fma_f64 v[159:160], v[2:3], v[18:19], -v[20:21]
	ds_load_b128 v[2:5], v1 offset:1344
	ds_load_b128 v[18:21], v1 offset:1360
	v_fma_f64 v[44:45], v[44:45], v[22:23], v[155:156]
	v_fma_f64 v[22:23], v[42:43], v[22:23], -v[24:25]
	v_add_f64_e32 v[147:148], v[151:152], v[147:148]
	v_add_f64_e32 v[149:150], v[153:154], v[149:150]
	s_wait_loadcnt_dscnt 0x701
	v_mul_f64_e32 v[151:152], v[2:3], v[28:29]
	v_mul_f64_e32 v[28:29], v[4:5], v[28:29]
	s_delay_alu instid0(VALU_DEP_4) | instskip(NEXT) | instid1(VALU_DEP_4)
	v_add_f64_e32 v[24:25], v[147:148], v[159:160]
	v_add_f64_e32 v[42:43], v[149:150], v[157:158]
	s_wait_loadcnt_dscnt 0x600
	v_mul_f64_e32 v[147:148], v[18:19], v[32:33]
	v_mul_f64_e32 v[32:33], v[20:21], v[32:33]
	v_fma_f64 v[149:150], v[4:5], v[26:27], v[151:152]
	v_fma_f64 v[26:27], v[2:3], v[26:27], -v[28:29]
	v_add_f64_e32 v[28:29], v[24:25], v[22:23]
	v_add_f64_e32 v[42:43], v[42:43], v[44:45]
	ds_load_b128 v[2:5], v1 offset:1376
	ds_load_b128 v[22:25], v1 offset:1392
	v_fma_f64 v[20:21], v[20:21], v[30:31], v[147:148]
	v_fma_f64 v[18:19], v[18:19], v[30:31], -v[32:33]
	s_wait_loadcnt_dscnt 0x501
	v_mul_f64_e32 v[44:45], v[2:3], v[36:37]
	v_mul_f64_e32 v[36:37], v[4:5], v[36:37]
	v_add_f64_e32 v[26:27], v[28:29], v[26:27]
	v_add_f64_e32 v[28:29], v[42:43], v[149:150]
	s_wait_loadcnt_dscnt 0x400
	v_mul_f64_e32 v[30:31], v[22:23], v[40:41]
	v_mul_f64_e32 v[32:33], v[24:25], v[40:41]
	v_fma_f64 v[40:41], v[4:5], v[34:35], v[44:45]
	v_fma_f64 v[34:35], v[2:3], v[34:35], -v[36:37]
	v_add_f64_e32 v[26:27], v[26:27], v[18:19]
	v_add_f64_e32 v[28:29], v[28:29], v[20:21]
	ds_load_b128 v[2:5], v1 offset:1408
	ds_load_b128 v[18:21], v1 offset:1424
	v_fma_f64 v[24:25], v[24:25], v[38:39], v[30:31]
	v_fma_f64 v[22:23], v[22:23], v[38:39], -v[32:33]
	s_wait_loadcnt_dscnt 0x201
	v_mul_f64_e32 v[36:37], v[2:3], v[145:146]
	v_mul_f64_e32 v[42:43], v[4:5], v[145:146]
	s_wait_dscnt 0x0
	v_mul_f64_e32 v[30:31], v[18:19], v[8:9]
	v_mul_f64_e32 v[8:9], v[20:21], v[8:9]
	v_add_f64_e32 v[26:27], v[26:27], v[34:35]
	v_add_f64_e32 v[28:29], v[28:29], v[40:41]
	v_fma_f64 v[32:33], v[4:5], v[143:144], v[36:37]
	v_fma_f64 v[34:35], v[2:3], v[143:144], -v[42:43]
	v_fma_f64 v[20:21], v[20:21], v[6:7], v[30:31]
	v_fma_f64 v[6:7], v[18:19], v[6:7], -v[8:9]
	v_add_f64_e32 v[26:27], v[26:27], v[22:23]
	v_add_f64_e32 v[28:29], v[28:29], v[24:25]
	ds_load_b128 v[2:5], v1 offset:1440
	ds_load_b128 v[22:25], v1 offset:1456
	s_wait_loadcnt_dscnt 0x101
	v_mul_f64_e32 v[36:37], v[2:3], v[12:13]
	v_mul_f64_e32 v[12:13], v[4:5], v[12:13]
	v_add_f64_e32 v[8:9], v[26:27], v[34:35]
	v_add_f64_e32 v[18:19], v[28:29], v[32:33]
	s_wait_loadcnt_dscnt 0x0
	v_mul_f64_e32 v[26:27], v[22:23], v[16:17]
	v_mul_f64_e32 v[16:17], v[24:25], v[16:17]
	v_fma_f64 v[4:5], v[4:5], v[10:11], v[36:37]
	v_fma_f64 v[1:2], v[2:3], v[10:11], -v[12:13]
	v_add_f64_e32 v[6:7], v[8:9], v[6:7]
	v_add_f64_e32 v[8:9], v[18:19], v[20:21]
	v_fma_f64 v[10:11], v[24:25], v[14:15], v[26:27]
	v_fma_f64 v[12:13], v[22:23], v[14:15], -v[16:17]
	s_delay_alu instid0(VALU_DEP_4) | instskip(NEXT) | instid1(VALU_DEP_4)
	v_add_f64_e32 v[1:2], v[6:7], v[1:2]
	v_add_f64_e32 v[3:4], v[8:9], v[4:5]
	s_delay_alu instid0(VALU_DEP_2) | instskip(NEXT) | instid1(VALU_DEP_2)
	v_add_f64_e32 v[1:2], v[1:2], v[12:13]
	v_add_f64_e32 v[3:4], v[3:4], v[10:11]
	s_delay_alu instid0(VALU_DEP_2) | instskip(NEXT) | instid1(VALU_DEP_2)
	v_add_f64_e64 v[1:2], v[139:140], -v[1:2]
	v_add_f64_e64 v[3:4], v[141:142], -v[3:4]
	scratch_store_b128 off, v[1:4], off offset:192
	v_cmpx_lt_u32_e32 10, v0
	s_cbranch_execz .LBB109_269
; %bb.268:
	scratch_load_b128 v[1:4], off, s49
	v_mov_b32_e32 v5, 0
	s_delay_alu instid0(VALU_DEP_1)
	v_dual_mov_b32 v6, v5 :: v_dual_mov_b32 v7, v5
	v_mov_b32_e32 v8, v5
	scratch_store_b128 off, v[5:8], off offset:176
	s_wait_loadcnt 0x0
	ds_store_b128 v138, v[1:4]
.LBB109_269:
	s_wait_alu 0xfffe
	s_or_b32 exec_lo, exec_lo, s0
	s_wait_storecnt_dscnt 0x0
	s_barrier_signal -1
	s_barrier_wait -1
	global_inv scope:SCOPE_SE
	s_clause 0x7
	scratch_load_b128 v[2:5], off, off offset:192
	scratch_load_b128 v[6:9], off, off offset:208
	;; [unrolled: 1-line block ×8, first 2 shown]
	v_mov_b32_e32 v1, 0
	s_mov_b32 s0, exec_lo
	ds_load_b128 v[38:41], v1 offset:912
	s_clause 0x1
	scratch_load_b128 v[34:37], off, off offset:320
	scratch_load_b128 v[42:45], off, off offset:176
	ds_load_b128 v[139:142], v1 offset:928
	scratch_load_b128 v[143:146], off, off offset:336
	s_wait_loadcnt_dscnt 0xa01
	v_mul_f64_e32 v[147:148], v[40:41], v[4:5]
	v_mul_f64_e32 v[4:5], v[38:39], v[4:5]
	s_delay_alu instid0(VALU_DEP_2) | instskip(NEXT) | instid1(VALU_DEP_2)
	v_fma_f64 v[153:154], v[38:39], v[2:3], -v[147:148]
	v_fma_f64 v[155:156], v[40:41], v[2:3], v[4:5]
	ds_load_b128 v[2:5], v1 offset:944
	s_wait_loadcnt_dscnt 0x901
	v_mul_f64_e32 v[151:152], v[139:140], v[8:9]
	v_mul_f64_e32 v[8:9], v[141:142], v[8:9]
	scratch_load_b128 v[38:41], off, off offset:352
	ds_load_b128 v[147:150], v1 offset:960
	s_wait_loadcnt_dscnt 0x901
	v_mul_f64_e32 v[157:158], v[2:3], v[12:13]
	v_mul_f64_e32 v[12:13], v[4:5], v[12:13]
	v_fma_f64 v[141:142], v[141:142], v[6:7], v[151:152]
	v_fma_f64 v[139:140], v[139:140], v[6:7], -v[8:9]
	v_add_f64_e32 v[151:152], 0, v[153:154]
	v_add_f64_e32 v[153:154], 0, v[155:156]
	scratch_load_b128 v[6:9], off, off offset:368
	v_fma_f64 v[157:158], v[4:5], v[10:11], v[157:158]
	v_fma_f64 v[159:160], v[2:3], v[10:11], -v[12:13]
	ds_load_b128 v[2:5], v1 offset:976
	s_wait_loadcnt_dscnt 0x901
	v_mul_f64_e32 v[155:156], v[147:148], v[16:17]
	v_mul_f64_e32 v[16:17], v[149:150], v[16:17]
	scratch_load_b128 v[10:13], off, off offset:384
	v_add_f64_e32 v[151:152], v[151:152], v[139:140]
	v_add_f64_e32 v[153:154], v[153:154], v[141:142]
	s_wait_loadcnt_dscnt 0x900
	v_mul_f64_e32 v[161:162], v[2:3], v[20:21]
	v_mul_f64_e32 v[20:21], v[4:5], v[20:21]
	ds_load_b128 v[139:142], v1 offset:992
	v_fma_f64 v[149:150], v[149:150], v[14:15], v[155:156]
	v_fma_f64 v[147:148], v[147:148], v[14:15], -v[16:17]
	scratch_load_b128 v[14:17], off, off offset:400
	v_add_f64_e32 v[151:152], v[151:152], v[159:160]
	v_add_f64_e32 v[153:154], v[153:154], v[157:158]
	v_fma_f64 v[157:158], v[4:5], v[18:19], v[161:162]
	v_fma_f64 v[159:160], v[2:3], v[18:19], -v[20:21]
	ds_load_b128 v[2:5], v1 offset:1008
	s_wait_loadcnt_dscnt 0x901
	v_mul_f64_e32 v[155:156], v[139:140], v[24:25]
	v_mul_f64_e32 v[24:25], v[141:142], v[24:25]
	scratch_load_b128 v[18:21], off, off offset:416
	s_wait_loadcnt_dscnt 0x900
	v_mul_f64_e32 v[161:162], v[2:3], v[28:29]
	v_mul_f64_e32 v[28:29], v[4:5], v[28:29]
	v_add_f64_e32 v[151:152], v[151:152], v[147:148]
	v_add_f64_e32 v[153:154], v[153:154], v[149:150]
	ds_load_b128 v[147:150], v1 offset:1024
	v_fma_f64 v[141:142], v[141:142], v[22:23], v[155:156]
	v_fma_f64 v[139:140], v[139:140], v[22:23], -v[24:25]
	scratch_load_b128 v[22:25], off, off offset:432
	v_add_f64_e32 v[151:152], v[151:152], v[159:160]
	v_add_f64_e32 v[153:154], v[153:154], v[157:158]
	v_fma_f64 v[157:158], v[4:5], v[26:27], v[161:162]
	v_fma_f64 v[159:160], v[2:3], v[26:27], -v[28:29]
	ds_load_b128 v[2:5], v1 offset:1040
	s_wait_loadcnt_dscnt 0x901
	v_mul_f64_e32 v[155:156], v[147:148], v[32:33]
	v_mul_f64_e32 v[32:33], v[149:150], v[32:33]
	scratch_load_b128 v[26:29], off, off offset:448
	s_wait_loadcnt_dscnt 0x900
	v_mul_f64_e32 v[161:162], v[2:3], v[36:37]
	v_mul_f64_e32 v[36:37], v[4:5], v[36:37]
	v_add_f64_e32 v[151:152], v[151:152], v[139:140]
	v_add_f64_e32 v[153:154], v[153:154], v[141:142]
	ds_load_b128 v[139:142], v1 offset:1056
	v_fma_f64 v[149:150], v[149:150], v[30:31], v[155:156]
	v_fma_f64 v[147:148], v[147:148], v[30:31], -v[32:33]
	scratch_load_b128 v[30:33], off, off offset:464
	v_add_f64_e32 v[151:152], v[151:152], v[159:160]
	v_add_f64_e32 v[153:154], v[153:154], v[157:158]
	v_fma_f64 v[159:160], v[4:5], v[34:35], v[161:162]
	v_fma_f64 v[161:162], v[2:3], v[34:35], -v[36:37]
	ds_load_b128 v[2:5], v1 offset:1072
	s_wait_loadcnt_dscnt 0x801
	v_mul_f64_e32 v[155:156], v[139:140], v[145:146]
	v_mul_f64_e32 v[157:158], v[141:142], v[145:146]
	scratch_load_b128 v[34:37], off, off offset:480
	v_add_f64_e32 v[151:152], v[151:152], v[147:148]
	v_add_f64_e32 v[149:150], v[153:154], v[149:150]
	ds_load_b128 v[145:148], v1 offset:1088
	v_fma_f64 v[155:156], v[141:142], v[143:144], v[155:156]
	v_fma_f64 v[143:144], v[139:140], v[143:144], -v[157:158]
	scratch_load_b128 v[139:142], off, off offset:496
	s_wait_loadcnt_dscnt 0x901
	v_mul_f64_e32 v[153:154], v[2:3], v[40:41]
	v_mul_f64_e32 v[40:41], v[4:5], v[40:41]
	v_add_f64_e32 v[151:152], v[151:152], v[161:162]
	v_add_f64_e32 v[149:150], v[149:150], v[159:160]
	s_delay_alu instid0(VALU_DEP_4) | instskip(NEXT) | instid1(VALU_DEP_4)
	v_fma_f64 v[153:154], v[4:5], v[38:39], v[153:154]
	v_fma_f64 v[159:160], v[2:3], v[38:39], -v[40:41]
	ds_load_b128 v[2:5], v1 offset:1104
	s_wait_loadcnt_dscnt 0x801
	v_mul_f64_e32 v[157:158], v[145:146], v[8:9]
	v_mul_f64_e32 v[8:9], v[147:148], v[8:9]
	scratch_load_b128 v[38:41], off, off offset:512
	s_wait_loadcnt_dscnt 0x800
	v_mul_f64_e32 v[161:162], v[2:3], v[12:13]
	v_add_f64_e32 v[143:144], v[151:152], v[143:144]
	v_add_f64_e32 v[155:156], v[149:150], v[155:156]
	v_mul_f64_e32 v[12:13], v[4:5], v[12:13]
	ds_load_b128 v[149:152], v1 offset:1120
	v_fma_f64 v[147:148], v[147:148], v[6:7], v[157:158]
	v_fma_f64 v[145:146], v[145:146], v[6:7], -v[8:9]
	scratch_load_b128 v[6:9], off, off offset:528
	v_fma_f64 v[157:158], v[4:5], v[10:11], v[161:162]
	v_add_f64_e32 v[143:144], v[143:144], v[159:160]
	v_add_f64_e32 v[153:154], v[155:156], v[153:154]
	v_fma_f64 v[159:160], v[2:3], v[10:11], -v[12:13]
	ds_load_b128 v[2:5], v1 offset:1136
	s_wait_loadcnt_dscnt 0x801
	v_mul_f64_e32 v[155:156], v[149:150], v[16:17]
	v_mul_f64_e32 v[16:17], v[151:152], v[16:17]
	scratch_load_b128 v[10:13], off, off offset:544
	v_add_f64_e32 v[161:162], v[143:144], v[145:146]
	v_add_f64_e32 v[147:148], v[153:154], v[147:148]
	s_wait_loadcnt_dscnt 0x800
	v_mul_f64_e32 v[153:154], v[2:3], v[20:21]
	v_mul_f64_e32 v[20:21], v[4:5], v[20:21]
	v_fma_f64 v[151:152], v[151:152], v[14:15], v[155:156]
	v_fma_f64 v[149:150], v[149:150], v[14:15], -v[16:17]
	ds_load_b128 v[143:146], v1 offset:1152
	scratch_load_b128 v[14:17], off, off offset:560
	v_add_f64_e32 v[155:156], v[161:162], v[159:160]
	v_add_f64_e32 v[147:148], v[147:148], v[157:158]
	v_fma_f64 v[153:154], v[4:5], v[18:19], v[153:154]
	v_fma_f64 v[159:160], v[2:3], v[18:19], -v[20:21]
	ds_load_b128 v[2:5], v1 offset:1168
	s_wait_loadcnt_dscnt 0x801
	v_mul_f64_e32 v[157:158], v[143:144], v[24:25]
	v_mul_f64_e32 v[24:25], v[145:146], v[24:25]
	scratch_load_b128 v[18:21], off, off offset:576
	s_wait_loadcnt_dscnt 0x800
	v_mul_f64_e32 v[161:162], v[2:3], v[28:29]
	v_mul_f64_e32 v[28:29], v[4:5], v[28:29]
	v_add_f64_e32 v[155:156], v[155:156], v[149:150]
	v_add_f64_e32 v[151:152], v[147:148], v[151:152]
	ds_load_b128 v[147:150], v1 offset:1184
	v_fma_f64 v[145:146], v[145:146], v[22:23], v[157:158]
	v_fma_f64 v[143:144], v[143:144], v[22:23], -v[24:25]
	scratch_load_b128 v[22:25], off, off offset:592
	v_fma_f64 v[157:158], v[4:5], v[26:27], v[161:162]
	v_add_f64_e32 v[155:156], v[155:156], v[159:160]
	v_add_f64_e32 v[151:152], v[151:152], v[153:154]
	v_fma_f64 v[159:160], v[2:3], v[26:27], -v[28:29]
	ds_load_b128 v[2:5], v1 offset:1200
	s_wait_loadcnt_dscnt 0x801
	v_mul_f64_e32 v[153:154], v[147:148], v[32:33]
	v_mul_f64_e32 v[32:33], v[149:150], v[32:33]
	scratch_load_b128 v[26:29], off, off offset:608
	s_wait_loadcnt_dscnt 0x800
	v_mul_f64_e32 v[161:162], v[2:3], v[36:37]
	v_mul_f64_e32 v[36:37], v[4:5], v[36:37]
	v_add_f64_e32 v[155:156], v[155:156], v[143:144]
	v_add_f64_e32 v[151:152], v[151:152], v[145:146]
	ds_load_b128 v[143:146], v1 offset:1216
	v_fma_f64 v[149:150], v[149:150], v[30:31], v[153:154]
	v_fma_f64 v[147:148], v[147:148], v[30:31], -v[32:33]
	scratch_load_b128 v[30:33], off, off offset:624
	v_add_f64_e32 v[153:154], v[155:156], v[159:160]
	v_add_f64_e32 v[151:152], v[151:152], v[157:158]
	v_fma_f64 v[157:158], v[4:5], v[34:35], v[161:162]
	v_fma_f64 v[159:160], v[2:3], v[34:35], -v[36:37]
	ds_load_b128 v[2:5], v1 offset:1232
	s_wait_loadcnt_dscnt 0x801
	v_mul_f64_e32 v[155:156], v[143:144], v[141:142]
	v_mul_f64_e32 v[141:142], v[145:146], v[141:142]
	scratch_load_b128 v[34:37], off, off offset:640
	s_wait_loadcnt_dscnt 0x800
	v_mul_f64_e32 v[161:162], v[2:3], v[40:41]
	v_mul_f64_e32 v[40:41], v[4:5], v[40:41]
	v_add_f64_e32 v[153:154], v[153:154], v[147:148]
	v_add_f64_e32 v[151:152], v[151:152], v[149:150]
	ds_load_b128 v[147:150], v1 offset:1248
	v_fma_f64 v[145:146], v[145:146], v[139:140], v[155:156]
	v_fma_f64 v[143:144], v[143:144], v[139:140], -v[141:142]
	scratch_load_b128 v[139:142], off, off offset:656
	v_add_f64_e32 v[153:154], v[153:154], v[159:160]
	v_add_f64_e32 v[151:152], v[151:152], v[157:158]
	v_fma_f64 v[157:158], v[4:5], v[38:39], v[161:162]
	;; [unrolled: 18-line block ×4, first 2 shown]
	v_fma_f64 v[159:160], v[2:3], v[18:19], -v[20:21]
	ds_load_b128 v[2:5], v1 offset:1328
	s_wait_loadcnt_dscnt 0x801
	v_mul_f64_e32 v[155:156], v[147:148], v[24:25]
	v_mul_f64_e32 v[24:25], v[149:150], v[24:25]
	scratch_load_b128 v[18:21], off, off offset:736
	s_wait_loadcnt_dscnt 0x800
	v_mul_f64_e32 v[161:162], v[2:3], v[28:29]
	v_mul_f64_e32 v[28:29], v[4:5], v[28:29]
	v_add_f64_e32 v[153:154], v[153:154], v[143:144]
	v_add_f64_e32 v[151:152], v[151:152], v[145:146]
	ds_load_b128 v[143:146], v1 offset:1344
	v_fma_f64 v[149:150], v[149:150], v[22:23], v[155:156]
	v_fma_f64 v[22:23], v[147:148], v[22:23], -v[24:25]
	v_add_f64_e32 v[24:25], v[153:154], v[159:160]
	v_add_f64_e32 v[147:148], v[151:152], v[157:158]
	s_wait_loadcnt_dscnt 0x700
	v_mul_f64_e32 v[151:152], v[143:144], v[32:33]
	v_mul_f64_e32 v[32:33], v[145:146], v[32:33]
	v_fma_f64 v[153:154], v[4:5], v[26:27], v[161:162]
	v_fma_f64 v[26:27], v[2:3], v[26:27], -v[28:29]
	v_add_f64_e32 v[28:29], v[24:25], v[22:23]
	v_add_f64_e32 v[147:148], v[147:148], v[149:150]
	ds_load_b128 v[2:5], v1 offset:1360
	ds_load_b128 v[22:25], v1 offset:1376
	v_fma_f64 v[145:146], v[145:146], v[30:31], v[151:152]
	v_fma_f64 v[30:31], v[143:144], v[30:31], -v[32:33]
	s_wait_loadcnt_dscnt 0x601
	v_mul_f64_e32 v[149:150], v[2:3], v[36:37]
	v_mul_f64_e32 v[36:37], v[4:5], v[36:37]
	s_wait_loadcnt_dscnt 0x500
	v_mul_f64_e32 v[32:33], v[22:23], v[141:142]
	v_mul_f64_e32 v[141:142], v[24:25], v[141:142]
	v_add_f64_e32 v[26:27], v[28:29], v[26:27]
	v_add_f64_e32 v[28:29], v[147:148], v[153:154]
	v_fma_f64 v[143:144], v[4:5], v[34:35], v[149:150]
	v_fma_f64 v[34:35], v[2:3], v[34:35], -v[36:37]
	v_fma_f64 v[24:25], v[24:25], v[139:140], v[32:33]
	v_fma_f64 v[22:23], v[22:23], v[139:140], -v[141:142]
	v_add_f64_e32 v[30:31], v[26:27], v[30:31]
	v_add_f64_e32 v[36:37], v[28:29], v[145:146]
	ds_load_b128 v[2:5], v1 offset:1392
	ds_load_b128 v[26:29], v1 offset:1408
	s_wait_loadcnt_dscnt 0x401
	v_mul_f64_e32 v[145:146], v[2:3], v[40:41]
	v_mul_f64_e32 v[40:41], v[4:5], v[40:41]
	v_add_f64_e32 v[30:31], v[30:31], v[34:35]
	v_add_f64_e32 v[32:33], v[36:37], v[143:144]
	s_wait_loadcnt_dscnt 0x300
	v_mul_f64_e32 v[34:35], v[26:27], v[8:9]
	v_mul_f64_e32 v[8:9], v[28:29], v[8:9]
	v_fma_f64 v[36:37], v[4:5], v[38:39], v[145:146]
	v_fma_f64 v[38:39], v[2:3], v[38:39], -v[40:41]
	v_add_f64_e32 v[30:31], v[30:31], v[22:23]
	v_add_f64_e32 v[32:33], v[32:33], v[24:25]
	ds_load_b128 v[2:5], v1 offset:1424
	ds_load_b128 v[22:25], v1 offset:1440
	v_fma_f64 v[28:29], v[28:29], v[6:7], v[34:35]
	v_fma_f64 v[6:7], v[26:27], v[6:7], -v[8:9]
	s_wait_loadcnt_dscnt 0x201
	v_mul_f64_e32 v[40:41], v[2:3], v[12:13]
	v_mul_f64_e32 v[12:13], v[4:5], v[12:13]
	v_add_f64_e32 v[8:9], v[30:31], v[38:39]
	v_add_f64_e32 v[26:27], v[32:33], v[36:37]
	s_wait_loadcnt_dscnt 0x100
	v_mul_f64_e32 v[30:31], v[22:23], v[16:17]
	v_mul_f64_e32 v[16:17], v[24:25], v[16:17]
	v_fma_f64 v[32:33], v[4:5], v[10:11], v[40:41]
	v_fma_f64 v[10:11], v[2:3], v[10:11], -v[12:13]
	ds_load_b128 v[2:5], v1 offset:1456
	v_add_f64_e32 v[6:7], v[8:9], v[6:7]
	v_add_f64_e32 v[8:9], v[26:27], v[28:29]
	v_fma_f64 v[24:25], v[24:25], v[14:15], v[30:31]
	v_fma_f64 v[14:15], v[22:23], v[14:15], -v[16:17]
	s_wait_loadcnt_dscnt 0x0
	v_mul_f64_e32 v[12:13], v[2:3], v[20:21]
	v_mul_f64_e32 v[20:21], v[4:5], v[20:21]
	v_add_f64_e32 v[6:7], v[6:7], v[10:11]
	v_add_f64_e32 v[8:9], v[8:9], v[32:33]
	s_delay_alu instid0(VALU_DEP_4) | instskip(NEXT) | instid1(VALU_DEP_4)
	v_fma_f64 v[4:5], v[4:5], v[18:19], v[12:13]
	v_fma_f64 v[2:3], v[2:3], v[18:19], -v[20:21]
	s_delay_alu instid0(VALU_DEP_4) | instskip(NEXT) | instid1(VALU_DEP_4)
	v_add_f64_e32 v[6:7], v[6:7], v[14:15]
	v_add_f64_e32 v[8:9], v[8:9], v[24:25]
	s_delay_alu instid0(VALU_DEP_2) | instskip(NEXT) | instid1(VALU_DEP_2)
	v_add_f64_e32 v[2:3], v[6:7], v[2:3]
	v_add_f64_e32 v[4:5], v[8:9], v[4:5]
	s_delay_alu instid0(VALU_DEP_2) | instskip(NEXT) | instid1(VALU_DEP_2)
	v_add_f64_e64 v[2:3], v[42:43], -v[2:3]
	v_add_f64_e64 v[4:5], v[44:45], -v[4:5]
	scratch_store_b128 off, v[2:5], off offset:176
	v_cmpx_lt_u32_e32 9, v0
	s_cbranch_execz .LBB109_271
; %bb.270:
	scratch_load_b128 v[5:8], off, s50
	v_dual_mov_b32 v2, v1 :: v_dual_mov_b32 v3, v1
	v_mov_b32_e32 v4, v1
	scratch_store_b128 off, v[1:4], off offset:160
	s_wait_loadcnt 0x0
	ds_store_b128 v138, v[5:8]
.LBB109_271:
	s_wait_alu 0xfffe
	s_or_b32 exec_lo, exec_lo, s0
	s_wait_storecnt_dscnt 0x0
	s_barrier_signal -1
	s_barrier_wait -1
	global_inv scope:SCOPE_SE
	s_clause 0x8
	scratch_load_b128 v[2:5], off, off offset:176
	scratch_load_b128 v[6:9], off, off offset:192
	;; [unrolled: 1-line block ×9, first 2 shown]
	ds_load_b128 v[38:41], v1 offset:896
	ds_load_b128 v[42:45], v1 offset:912
	s_clause 0x1
	scratch_load_b128 v[139:142], off, off offset:160
	scratch_load_b128 v[143:146], off, off offset:320
	s_mov_b32 s0, exec_lo
	s_wait_loadcnt_dscnt 0xa01
	v_mul_f64_e32 v[147:148], v[40:41], v[4:5]
	v_mul_f64_e32 v[4:5], v[38:39], v[4:5]
	s_wait_loadcnt_dscnt 0x900
	v_mul_f64_e32 v[151:152], v[42:43], v[8:9]
	v_mul_f64_e32 v[8:9], v[44:45], v[8:9]
	s_delay_alu instid0(VALU_DEP_4) | instskip(NEXT) | instid1(VALU_DEP_4)
	v_fma_f64 v[153:154], v[38:39], v[2:3], -v[147:148]
	v_fma_f64 v[155:156], v[40:41], v[2:3], v[4:5]
	ds_load_b128 v[2:5], v1 offset:928
	ds_load_b128 v[147:150], v1 offset:944
	scratch_load_b128 v[38:41], off, off offset:336
	v_fma_f64 v[44:45], v[44:45], v[6:7], v[151:152]
	v_fma_f64 v[42:43], v[42:43], v[6:7], -v[8:9]
	scratch_load_b128 v[6:9], off, off offset:352
	s_wait_loadcnt_dscnt 0xa01
	v_mul_f64_e32 v[157:158], v[2:3], v[12:13]
	v_mul_f64_e32 v[12:13], v[4:5], v[12:13]
	v_add_f64_e32 v[151:152], 0, v[153:154]
	v_add_f64_e32 v[153:154], 0, v[155:156]
	s_wait_loadcnt_dscnt 0x900
	v_mul_f64_e32 v[155:156], v[147:148], v[16:17]
	v_mul_f64_e32 v[16:17], v[149:150], v[16:17]
	v_fma_f64 v[157:158], v[4:5], v[10:11], v[157:158]
	v_fma_f64 v[159:160], v[2:3], v[10:11], -v[12:13]
	ds_load_b128 v[2:5], v1 offset:960
	scratch_load_b128 v[10:13], off, off offset:368
	v_add_f64_e32 v[151:152], v[151:152], v[42:43]
	v_add_f64_e32 v[153:154], v[153:154], v[44:45]
	ds_load_b128 v[42:45], v1 offset:976
	v_fma_f64 v[149:150], v[149:150], v[14:15], v[155:156]
	v_fma_f64 v[147:148], v[147:148], v[14:15], -v[16:17]
	scratch_load_b128 v[14:17], off, off offset:384
	s_wait_loadcnt_dscnt 0xa01
	v_mul_f64_e32 v[161:162], v[2:3], v[20:21]
	v_mul_f64_e32 v[20:21], v[4:5], v[20:21]
	s_wait_loadcnt_dscnt 0x900
	v_mul_f64_e32 v[155:156], v[42:43], v[24:25]
	v_mul_f64_e32 v[24:25], v[44:45], v[24:25]
	v_add_f64_e32 v[151:152], v[151:152], v[159:160]
	v_add_f64_e32 v[153:154], v[153:154], v[157:158]
	v_fma_f64 v[157:158], v[4:5], v[18:19], v[161:162]
	v_fma_f64 v[159:160], v[2:3], v[18:19], -v[20:21]
	ds_load_b128 v[2:5], v1 offset:992
	scratch_load_b128 v[18:21], off, off offset:400
	v_fma_f64 v[44:45], v[44:45], v[22:23], v[155:156]
	v_fma_f64 v[42:43], v[42:43], v[22:23], -v[24:25]
	scratch_load_b128 v[22:25], off, off offset:416
	v_add_f64_e32 v[151:152], v[151:152], v[147:148]
	v_add_f64_e32 v[153:154], v[153:154], v[149:150]
	ds_load_b128 v[147:150], v1 offset:1008
	s_wait_loadcnt_dscnt 0xa01
	v_mul_f64_e32 v[161:162], v[2:3], v[28:29]
	v_mul_f64_e32 v[28:29], v[4:5], v[28:29]
	s_wait_loadcnt_dscnt 0x900
	v_mul_f64_e32 v[155:156], v[147:148], v[32:33]
	v_mul_f64_e32 v[32:33], v[149:150], v[32:33]
	v_add_f64_e32 v[151:152], v[151:152], v[159:160]
	v_add_f64_e32 v[153:154], v[153:154], v[157:158]
	v_fma_f64 v[157:158], v[4:5], v[26:27], v[161:162]
	v_fma_f64 v[159:160], v[2:3], v[26:27], -v[28:29]
	ds_load_b128 v[2:5], v1 offset:1024
	scratch_load_b128 v[26:29], off, off offset:432
	v_fma_f64 v[149:150], v[149:150], v[30:31], v[155:156]
	v_fma_f64 v[147:148], v[147:148], v[30:31], -v[32:33]
	scratch_load_b128 v[30:33], off, off offset:448
	v_add_f64_e32 v[151:152], v[151:152], v[42:43]
	v_add_f64_e32 v[153:154], v[153:154], v[44:45]
	ds_load_b128 v[42:45], v1 offset:1040
	s_wait_loadcnt_dscnt 0xa01
	v_mul_f64_e32 v[161:162], v[2:3], v[36:37]
	v_mul_f64_e32 v[36:37], v[4:5], v[36:37]
	s_wait_loadcnt_dscnt 0x800
	v_mul_f64_e32 v[155:156], v[42:43], v[145:146]
	v_add_f64_e32 v[151:152], v[151:152], v[159:160]
	v_add_f64_e32 v[153:154], v[153:154], v[157:158]
	v_mul_f64_e32 v[157:158], v[44:45], v[145:146]
	v_fma_f64 v[159:160], v[4:5], v[34:35], v[161:162]
	v_fma_f64 v[161:162], v[2:3], v[34:35], -v[36:37]
	ds_load_b128 v[2:5], v1 offset:1056
	scratch_load_b128 v[34:37], off, off offset:464
	v_fma_f64 v[44:45], v[44:45], v[143:144], v[155:156]
	v_add_f64_e32 v[151:152], v[151:152], v[147:148]
	v_add_f64_e32 v[149:150], v[153:154], v[149:150]
	ds_load_b128 v[145:148], v1 offset:1072
	v_fma_f64 v[143:144], v[42:43], v[143:144], -v[157:158]
	s_wait_loadcnt_dscnt 0x801
	v_mul_f64_e32 v[153:154], v[2:3], v[40:41]
	v_mul_f64_e32 v[163:164], v[4:5], v[40:41]
	scratch_load_b128 v[40:43], off, off offset:480
	s_wait_loadcnt_dscnt 0x800
	v_mul_f64_e32 v[157:158], v[145:146], v[8:9]
	v_mul_f64_e32 v[8:9], v[147:148], v[8:9]
	v_add_f64_e32 v[151:152], v[151:152], v[161:162]
	v_add_f64_e32 v[149:150], v[149:150], v[159:160]
	v_fma_f64 v[159:160], v[4:5], v[38:39], v[153:154]
	v_fma_f64 v[38:39], v[2:3], v[38:39], -v[163:164]
	ds_load_b128 v[2:5], v1 offset:1088
	ds_load_b128 v[153:156], v1 offset:1104
	v_fma_f64 v[147:148], v[147:148], v[6:7], v[157:158]
	v_fma_f64 v[145:146], v[145:146], v[6:7], -v[8:9]
	scratch_load_b128 v[6:9], off, off offset:512
	v_add_f64_e32 v[143:144], v[151:152], v[143:144]
	v_add_f64_e32 v[44:45], v[149:150], v[44:45]
	scratch_load_b128 v[149:152], off, off offset:496
	s_wait_loadcnt_dscnt 0x901
	v_mul_f64_e32 v[161:162], v[2:3], v[12:13]
	v_mul_f64_e32 v[12:13], v[4:5], v[12:13]
	s_wait_loadcnt_dscnt 0x800
	v_mul_f64_e32 v[157:158], v[153:154], v[16:17]
	v_mul_f64_e32 v[16:17], v[155:156], v[16:17]
	v_add_f64_e32 v[38:39], v[143:144], v[38:39]
	v_add_f64_e32 v[44:45], v[44:45], v[159:160]
	v_fma_f64 v[159:160], v[4:5], v[10:11], v[161:162]
	v_fma_f64 v[161:162], v[2:3], v[10:11], -v[12:13]
	ds_load_b128 v[2:5], v1 offset:1120
	scratch_load_b128 v[10:13], off, off offset:528
	v_fma_f64 v[155:156], v[155:156], v[14:15], v[157:158]
	v_fma_f64 v[153:154], v[153:154], v[14:15], -v[16:17]
	scratch_load_b128 v[14:17], off, off offset:544
	v_add_f64_e32 v[38:39], v[38:39], v[145:146]
	v_add_f64_e32 v[44:45], v[44:45], v[147:148]
	ds_load_b128 v[143:146], v1 offset:1136
	s_wait_loadcnt_dscnt 0x901
	v_mul_f64_e32 v[147:148], v[2:3], v[20:21]
	v_mul_f64_e32 v[20:21], v[4:5], v[20:21]
	s_wait_loadcnt_dscnt 0x800
	v_mul_f64_e32 v[157:158], v[143:144], v[24:25]
	v_mul_f64_e32 v[24:25], v[145:146], v[24:25]
	v_add_f64_e32 v[38:39], v[38:39], v[161:162]
	v_add_f64_e32 v[44:45], v[44:45], v[159:160]
	v_fma_f64 v[147:148], v[4:5], v[18:19], v[147:148]
	v_fma_f64 v[159:160], v[2:3], v[18:19], -v[20:21]
	ds_load_b128 v[2:5], v1 offset:1152
	scratch_load_b128 v[18:21], off, off offset:560
	v_fma_f64 v[145:146], v[145:146], v[22:23], v[157:158]
	v_fma_f64 v[143:144], v[143:144], v[22:23], -v[24:25]
	scratch_load_b128 v[22:25], off, off offset:576
	v_add_f64_e32 v[38:39], v[38:39], v[153:154]
	v_add_f64_e32 v[44:45], v[44:45], v[155:156]
	ds_load_b128 v[153:156], v1 offset:1168
	s_wait_loadcnt_dscnt 0x901
	v_mul_f64_e32 v[161:162], v[2:3], v[28:29]
	v_mul_f64_e32 v[28:29], v[4:5], v[28:29]
	v_add_f64_e32 v[38:39], v[38:39], v[159:160]
	v_add_f64_e32 v[44:45], v[44:45], v[147:148]
	s_wait_loadcnt_dscnt 0x800
	v_mul_f64_e32 v[147:148], v[153:154], v[32:33]
	v_mul_f64_e32 v[32:33], v[155:156], v[32:33]
	v_fma_f64 v[157:158], v[4:5], v[26:27], v[161:162]
	v_fma_f64 v[159:160], v[2:3], v[26:27], -v[28:29]
	ds_load_b128 v[2:5], v1 offset:1184
	scratch_load_b128 v[26:29], off, off offset:592
	v_add_f64_e32 v[38:39], v[38:39], v[143:144]
	v_add_f64_e32 v[44:45], v[44:45], v[145:146]
	ds_load_b128 v[143:146], v1 offset:1200
	s_wait_loadcnt_dscnt 0x801
	v_mul_f64_e32 v[161:162], v[2:3], v[36:37]
	v_mul_f64_e32 v[36:37], v[4:5], v[36:37]
	v_fma_f64 v[147:148], v[155:156], v[30:31], v[147:148]
	v_fma_f64 v[153:154], v[153:154], v[30:31], -v[32:33]
	scratch_load_b128 v[30:33], off, off offset:608
	s_wait_loadcnt_dscnt 0x800
	v_mul_f64_e32 v[155:156], v[143:144], v[42:43]
	v_add_f64_e32 v[38:39], v[38:39], v[159:160]
	v_add_f64_e32 v[44:45], v[44:45], v[157:158]
	v_mul_f64_e32 v[157:158], v[145:146], v[42:43]
	v_fma_f64 v[159:160], v[4:5], v[34:35], v[161:162]
	v_fma_f64 v[161:162], v[2:3], v[34:35], -v[36:37]
	ds_load_b128 v[2:5], v1 offset:1216
	scratch_load_b128 v[34:37], off, off offset:624
	v_fma_f64 v[145:146], v[145:146], v[40:41], v[155:156]
	v_add_f64_e32 v[38:39], v[38:39], v[153:154]
	v_add_f64_e32 v[147:148], v[44:45], v[147:148]
	ds_load_b128 v[42:45], v1 offset:1232
	v_fma_f64 v[143:144], v[143:144], v[40:41], -v[157:158]
	s_wait_loadcnt_dscnt 0x701
	v_mul_f64_e32 v[153:154], v[2:3], v[151:152]
	v_mul_f64_e32 v[151:152], v[4:5], v[151:152]
	s_wait_dscnt 0x0
	v_mul_f64_e32 v[157:158], v[42:43], v[8:9]
	v_mul_f64_e32 v[8:9], v[44:45], v[8:9]
	v_add_f64_e32 v[155:156], v[38:39], v[161:162]
	v_add_f64_e32 v[147:148], v[147:148], v[159:160]
	scratch_load_b128 v[38:41], off, off offset:640
	v_fma_f64 v[153:154], v[4:5], v[149:150], v[153:154]
	v_fma_f64 v[151:152], v[2:3], v[149:150], -v[151:152]
	ds_load_b128 v[2:5], v1 offset:1248
	v_fma_f64 v[44:45], v[44:45], v[6:7], v[157:158]
	v_fma_f64 v[42:43], v[42:43], v[6:7], -v[8:9]
	scratch_load_b128 v[6:9], off, off offset:672
	v_add_f64_e32 v[155:156], v[155:156], v[143:144]
	v_add_f64_e32 v[159:160], v[147:148], v[145:146]
	scratch_load_b128 v[143:146], off, off offset:656
	ds_load_b128 v[147:150], v1 offset:1264
	s_wait_loadcnt_dscnt 0x901
	v_mul_f64_e32 v[161:162], v[2:3], v[12:13]
	v_mul_f64_e32 v[12:13], v[4:5], v[12:13]
	v_add_f64_e32 v[151:152], v[155:156], v[151:152]
	v_add_f64_e32 v[153:154], v[159:160], v[153:154]
	s_wait_loadcnt_dscnt 0x800
	v_mul_f64_e32 v[155:156], v[147:148], v[16:17]
	v_mul_f64_e32 v[16:17], v[149:150], v[16:17]
	v_fma_f64 v[157:158], v[4:5], v[10:11], v[161:162]
	v_fma_f64 v[159:160], v[2:3], v[10:11], -v[12:13]
	ds_load_b128 v[2:5], v1 offset:1280
	scratch_load_b128 v[10:13], off, off offset:688
	v_add_f64_e32 v[151:152], v[151:152], v[42:43]
	v_add_f64_e32 v[153:154], v[153:154], v[44:45]
	ds_load_b128 v[42:45], v1 offset:1296
	s_wait_loadcnt_dscnt 0x801
	v_mul_f64_e32 v[161:162], v[2:3], v[20:21]
	v_mul_f64_e32 v[20:21], v[4:5], v[20:21]
	v_fma_f64 v[149:150], v[149:150], v[14:15], v[155:156]
	v_fma_f64 v[147:148], v[147:148], v[14:15], -v[16:17]
	scratch_load_b128 v[14:17], off, off offset:704
	s_wait_loadcnt_dscnt 0x800
	v_mul_f64_e32 v[155:156], v[42:43], v[24:25]
	v_mul_f64_e32 v[24:25], v[44:45], v[24:25]
	v_add_f64_e32 v[151:152], v[151:152], v[159:160]
	v_add_f64_e32 v[153:154], v[153:154], v[157:158]
	v_fma_f64 v[157:158], v[4:5], v[18:19], v[161:162]
	v_fma_f64 v[159:160], v[2:3], v[18:19], -v[20:21]
	ds_load_b128 v[2:5], v1 offset:1312
	scratch_load_b128 v[18:21], off, off offset:720
	v_fma_f64 v[44:45], v[44:45], v[22:23], v[155:156]
	v_fma_f64 v[42:43], v[42:43], v[22:23], -v[24:25]
	scratch_load_b128 v[22:25], off, off offset:736
	v_add_f64_e32 v[151:152], v[151:152], v[147:148]
	v_add_f64_e32 v[153:154], v[153:154], v[149:150]
	ds_load_b128 v[147:150], v1 offset:1328
	s_wait_loadcnt_dscnt 0x901
	v_mul_f64_e32 v[161:162], v[2:3], v[28:29]
	v_mul_f64_e32 v[28:29], v[4:5], v[28:29]
	s_wait_loadcnt_dscnt 0x800
	v_mul_f64_e32 v[155:156], v[147:148], v[32:33]
	v_mul_f64_e32 v[32:33], v[149:150], v[32:33]
	v_add_f64_e32 v[151:152], v[151:152], v[159:160]
	v_add_f64_e32 v[153:154], v[153:154], v[157:158]
	v_fma_f64 v[157:158], v[4:5], v[26:27], v[161:162]
	v_fma_f64 v[159:160], v[2:3], v[26:27], -v[28:29]
	ds_load_b128 v[2:5], v1 offset:1344
	ds_load_b128 v[26:29], v1 offset:1360
	v_fma_f64 v[149:150], v[149:150], v[30:31], v[155:156]
	v_fma_f64 v[30:31], v[147:148], v[30:31], -v[32:33]
	v_add_f64_e32 v[42:43], v[151:152], v[42:43]
	v_add_f64_e32 v[44:45], v[153:154], v[44:45]
	s_wait_loadcnt_dscnt 0x701
	v_mul_f64_e32 v[151:152], v[2:3], v[36:37]
	v_mul_f64_e32 v[36:37], v[4:5], v[36:37]
	s_delay_alu instid0(VALU_DEP_4) | instskip(NEXT) | instid1(VALU_DEP_4)
	v_add_f64_e32 v[32:33], v[42:43], v[159:160]
	v_add_f64_e32 v[42:43], v[44:45], v[157:158]
	s_delay_alu instid0(VALU_DEP_4) | instskip(NEXT) | instid1(VALU_DEP_4)
	v_fma_f64 v[147:148], v[4:5], v[34:35], v[151:152]
	v_fma_f64 v[34:35], v[2:3], v[34:35], -v[36:37]
	s_wait_loadcnt_dscnt 0x600
	v_mul_f64_e32 v[44:45], v[26:27], v[40:41]
	v_mul_f64_e32 v[40:41], v[28:29], v[40:41]
	v_add_f64_e32 v[36:37], v[32:33], v[30:31]
	v_add_f64_e32 v[42:43], v[42:43], v[149:150]
	ds_load_b128 v[2:5], v1 offset:1376
	ds_load_b128 v[30:33], v1 offset:1392
	v_fma_f64 v[28:29], v[28:29], v[38:39], v[44:45]
	v_fma_f64 v[26:27], v[26:27], v[38:39], -v[40:41]
	s_wait_loadcnt_dscnt 0x401
	v_mul_f64_e32 v[149:150], v[2:3], v[145:146]
	v_mul_f64_e32 v[145:146], v[4:5], v[145:146]
	s_wait_dscnt 0x0
	v_mul_f64_e32 v[38:39], v[30:31], v[8:9]
	v_mul_f64_e32 v[8:9], v[32:33], v[8:9]
	v_add_f64_e32 v[34:35], v[36:37], v[34:35]
	v_add_f64_e32 v[36:37], v[42:43], v[147:148]
	v_fma_f64 v[40:41], v[4:5], v[143:144], v[149:150]
	v_fma_f64 v[42:43], v[2:3], v[143:144], -v[145:146]
	v_fma_f64 v[32:33], v[32:33], v[6:7], v[38:39]
	v_fma_f64 v[6:7], v[30:31], v[6:7], -v[8:9]
	v_add_f64_e32 v[34:35], v[34:35], v[26:27]
	v_add_f64_e32 v[36:37], v[36:37], v[28:29]
	ds_load_b128 v[2:5], v1 offset:1408
	ds_load_b128 v[26:29], v1 offset:1424
	s_wait_loadcnt_dscnt 0x301
	v_mul_f64_e32 v[44:45], v[2:3], v[12:13]
	v_mul_f64_e32 v[12:13], v[4:5], v[12:13]
	v_add_f64_e32 v[8:9], v[34:35], v[42:43]
	v_add_f64_e32 v[30:31], v[36:37], v[40:41]
	s_wait_loadcnt_dscnt 0x200
	v_mul_f64_e32 v[34:35], v[26:27], v[16:17]
	v_mul_f64_e32 v[16:17], v[28:29], v[16:17]
	v_fma_f64 v[36:37], v[4:5], v[10:11], v[44:45]
	v_fma_f64 v[10:11], v[2:3], v[10:11], -v[12:13]
	v_add_f64_e32 v[12:13], v[8:9], v[6:7]
	v_add_f64_e32 v[30:31], v[30:31], v[32:33]
	ds_load_b128 v[2:5], v1 offset:1440
	ds_load_b128 v[6:9], v1 offset:1456
	v_fma_f64 v[28:29], v[28:29], v[14:15], v[34:35]
	v_fma_f64 v[14:15], v[26:27], v[14:15], -v[16:17]
	s_wait_loadcnt_dscnt 0x101
	v_mul_f64_e32 v[32:33], v[2:3], v[20:21]
	v_mul_f64_e32 v[20:21], v[4:5], v[20:21]
	s_wait_loadcnt_dscnt 0x0
	v_mul_f64_e32 v[16:17], v[6:7], v[24:25]
	v_mul_f64_e32 v[24:25], v[8:9], v[24:25]
	v_add_f64_e32 v[10:11], v[12:13], v[10:11]
	v_add_f64_e32 v[12:13], v[30:31], v[36:37]
	v_fma_f64 v[4:5], v[4:5], v[18:19], v[32:33]
	v_fma_f64 v[1:2], v[2:3], v[18:19], -v[20:21]
	v_fma_f64 v[8:9], v[8:9], v[22:23], v[16:17]
	v_fma_f64 v[6:7], v[6:7], v[22:23], -v[24:25]
	v_add_f64_e32 v[10:11], v[10:11], v[14:15]
	v_add_f64_e32 v[12:13], v[12:13], v[28:29]
	s_delay_alu instid0(VALU_DEP_2) | instskip(NEXT) | instid1(VALU_DEP_2)
	v_add_f64_e32 v[1:2], v[10:11], v[1:2]
	v_add_f64_e32 v[3:4], v[12:13], v[4:5]
	s_delay_alu instid0(VALU_DEP_2) | instskip(NEXT) | instid1(VALU_DEP_2)
	;; [unrolled: 3-line block ×3, first 2 shown]
	v_add_f64_e64 v[1:2], v[139:140], -v[1:2]
	v_add_f64_e64 v[3:4], v[141:142], -v[3:4]
	scratch_store_b128 off, v[1:4], off offset:160
	v_cmpx_lt_u32_e32 8, v0
	s_cbranch_execz .LBB109_273
; %bb.272:
	scratch_load_b128 v[1:4], off, s51
	v_mov_b32_e32 v5, 0
	s_delay_alu instid0(VALU_DEP_1)
	v_dual_mov_b32 v6, v5 :: v_dual_mov_b32 v7, v5
	v_mov_b32_e32 v8, v5
	scratch_store_b128 off, v[5:8], off offset:144
	s_wait_loadcnt 0x0
	ds_store_b128 v138, v[1:4]
.LBB109_273:
	s_wait_alu 0xfffe
	s_or_b32 exec_lo, exec_lo, s0
	s_wait_storecnt_dscnt 0x0
	s_barrier_signal -1
	s_barrier_wait -1
	global_inv scope:SCOPE_SE
	s_clause 0x7
	scratch_load_b128 v[2:5], off, off offset:160
	scratch_load_b128 v[6:9], off, off offset:176
	scratch_load_b128 v[10:13], off, off offset:192
	scratch_load_b128 v[14:17], off, off offset:208
	scratch_load_b128 v[18:21], off, off offset:224
	scratch_load_b128 v[22:25], off, off offset:240
	scratch_load_b128 v[26:29], off, off offset:256
	scratch_load_b128 v[30:33], off, off offset:272
	v_mov_b32_e32 v1, 0
	s_mov_b32 s0, exec_lo
	ds_load_b128 v[38:41], v1 offset:880
	s_clause 0x1
	scratch_load_b128 v[34:37], off, off offset:288
	scratch_load_b128 v[42:45], off, off offset:144
	ds_load_b128 v[139:142], v1 offset:896
	scratch_load_b128 v[143:146], off, off offset:304
	s_wait_loadcnt_dscnt 0xa01
	v_mul_f64_e32 v[147:148], v[40:41], v[4:5]
	v_mul_f64_e32 v[4:5], v[38:39], v[4:5]
	s_delay_alu instid0(VALU_DEP_2) | instskip(NEXT) | instid1(VALU_DEP_2)
	v_fma_f64 v[153:154], v[38:39], v[2:3], -v[147:148]
	v_fma_f64 v[155:156], v[40:41], v[2:3], v[4:5]
	ds_load_b128 v[2:5], v1 offset:912
	s_wait_loadcnt_dscnt 0x901
	v_mul_f64_e32 v[151:152], v[139:140], v[8:9]
	v_mul_f64_e32 v[8:9], v[141:142], v[8:9]
	scratch_load_b128 v[38:41], off, off offset:320
	ds_load_b128 v[147:150], v1 offset:928
	s_wait_loadcnt_dscnt 0x901
	v_mul_f64_e32 v[157:158], v[2:3], v[12:13]
	v_mul_f64_e32 v[12:13], v[4:5], v[12:13]
	v_fma_f64 v[141:142], v[141:142], v[6:7], v[151:152]
	v_fma_f64 v[139:140], v[139:140], v[6:7], -v[8:9]
	v_add_f64_e32 v[151:152], 0, v[153:154]
	v_add_f64_e32 v[153:154], 0, v[155:156]
	scratch_load_b128 v[6:9], off, off offset:336
	v_fma_f64 v[157:158], v[4:5], v[10:11], v[157:158]
	v_fma_f64 v[159:160], v[2:3], v[10:11], -v[12:13]
	ds_load_b128 v[2:5], v1 offset:944
	s_wait_loadcnt_dscnt 0x901
	v_mul_f64_e32 v[155:156], v[147:148], v[16:17]
	v_mul_f64_e32 v[16:17], v[149:150], v[16:17]
	scratch_load_b128 v[10:13], off, off offset:352
	v_add_f64_e32 v[151:152], v[151:152], v[139:140]
	v_add_f64_e32 v[153:154], v[153:154], v[141:142]
	s_wait_loadcnt_dscnt 0x900
	v_mul_f64_e32 v[161:162], v[2:3], v[20:21]
	v_mul_f64_e32 v[20:21], v[4:5], v[20:21]
	ds_load_b128 v[139:142], v1 offset:960
	v_fma_f64 v[149:150], v[149:150], v[14:15], v[155:156]
	v_fma_f64 v[147:148], v[147:148], v[14:15], -v[16:17]
	scratch_load_b128 v[14:17], off, off offset:368
	v_add_f64_e32 v[151:152], v[151:152], v[159:160]
	v_add_f64_e32 v[153:154], v[153:154], v[157:158]
	v_fma_f64 v[157:158], v[4:5], v[18:19], v[161:162]
	v_fma_f64 v[159:160], v[2:3], v[18:19], -v[20:21]
	ds_load_b128 v[2:5], v1 offset:976
	s_wait_loadcnt_dscnt 0x901
	v_mul_f64_e32 v[155:156], v[139:140], v[24:25]
	v_mul_f64_e32 v[24:25], v[141:142], v[24:25]
	scratch_load_b128 v[18:21], off, off offset:384
	s_wait_loadcnt_dscnt 0x900
	v_mul_f64_e32 v[161:162], v[2:3], v[28:29]
	v_mul_f64_e32 v[28:29], v[4:5], v[28:29]
	v_add_f64_e32 v[151:152], v[151:152], v[147:148]
	v_add_f64_e32 v[153:154], v[153:154], v[149:150]
	ds_load_b128 v[147:150], v1 offset:992
	v_fma_f64 v[141:142], v[141:142], v[22:23], v[155:156]
	v_fma_f64 v[139:140], v[139:140], v[22:23], -v[24:25]
	scratch_load_b128 v[22:25], off, off offset:400
	v_add_f64_e32 v[151:152], v[151:152], v[159:160]
	v_add_f64_e32 v[153:154], v[153:154], v[157:158]
	v_fma_f64 v[157:158], v[4:5], v[26:27], v[161:162]
	v_fma_f64 v[159:160], v[2:3], v[26:27], -v[28:29]
	ds_load_b128 v[2:5], v1 offset:1008
	s_wait_loadcnt_dscnt 0x901
	v_mul_f64_e32 v[155:156], v[147:148], v[32:33]
	v_mul_f64_e32 v[32:33], v[149:150], v[32:33]
	scratch_load_b128 v[26:29], off, off offset:416
	s_wait_loadcnt_dscnt 0x900
	v_mul_f64_e32 v[161:162], v[2:3], v[36:37]
	v_mul_f64_e32 v[36:37], v[4:5], v[36:37]
	v_add_f64_e32 v[151:152], v[151:152], v[139:140]
	v_add_f64_e32 v[153:154], v[153:154], v[141:142]
	ds_load_b128 v[139:142], v1 offset:1024
	v_fma_f64 v[149:150], v[149:150], v[30:31], v[155:156]
	v_fma_f64 v[147:148], v[147:148], v[30:31], -v[32:33]
	scratch_load_b128 v[30:33], off, off offset:432
	v_add_f64_e32 v[151:152], v[151:152], v[159:160]
	v_add_f64_e32 v[153:154], v[153:154], v[157:158]
	v_fma_f64 v[159:160], v[4:5], v[34:35], v[161:162]
	v_fma_f64 v[161:162], v[2:3], v[34:35], -v[36:37]
	ds_load_b128 v[2:5], v1 offset:1040
	s_wait_loadcnt_dscnt 0x801
	v_mul_f64_e32 v[155:156], v[139:140], v[145:146]
	v_mul_f64_e32 v[157:158], v[141:142], v[145:146]
	scratch_load_b128 v[34:37], off, off offset:448
	v_add_f64_e32 v[151:152], v[151:152], v[147:148]
	v_add_f64_e32 v[149:150], v[153:154], v[149:150]
	ds_load_b128 v[145:148], v1 offset:1056
	v_fma_f64 v[155:156], v[141:142], v[143:144], v[155:156]
	v_fma_f64 v[143:144], v[139:140], v[143:144], -v[157:158]
	scratch_load_b128 v[139:142], off, off offset:464
	s_wait_loadcnt_dscnt 0x901
	v_mul_f64_e32 v[153:154], v[2:3], v[40:41]
	v_mul_f64_e32 v[40:41], v[4:5], v[40:41]
	v_add_f64_e32 v[151:152], v[151:152], v[161:162]
	v_add_f64_e32 v[149:150], v[149:150], v[159:160]
	s_delay_alu instid0(VALU_DEP_4) | instskip(NEXT) | instid1(VALU_DEP_4)
	v_fma_f64 v[153:154], v[4:5], v[38:39], v[153:154]
	v_fma_f64 v[159:160], v[2:3], v[38:39], -v[40:41]
	ds_load_b128 v[2:5], v1 offset:1072
	s_wait_loadcnt_dscnt 0x801
	v_mul_f64_e32 v[157:158], v[145:146], v[8:9]
	v_mul_f64_e32 v[8:9], v[147:148], v[8:9]
	scratch_load_b128 v[38:41], off, off offset:480
	s_wait_loadcnt_dscnt 0x800
	v_mul_f64_e32 v[161:162], v[2:3], v[12:13]
	v_add_f64_e32 v[143:144], v[151:152], v[143:144]
	v_add_f64_e32 v[155:156], v[149:150], v[155:156]
	v_mul_f64_e32 v[12:13], v[4:5], v[12:13]
	ds_load_b128 v[149:152], v1 offset:1088
	v_fma_f64 v[147:148], v[147:148], v[6:7], v[157:158]
	v_fma_f64 v[145:146], v[145:146], v[6:7], -v[8:9]
	scratch_load_b128 v[6:9], off, off offset:496
	v_fma_f64 v[157:158], v[4:5], v[10:11], v[161:162]
	v_add_f64_e32 v[143:144], v[143:144], v[159:160]
	v_add_f64_e32 v[153:154], v[155:156], v[153:154]
	v_fma_f64 v[159:160], v[2:3], v[10:11], -v[12:13]
	ds_load_b128 v[2:5], v1 offset:1104
	s_wait_loadcnt_dscnt 0x801
	v_mul_f64_e32 v[155:156], v[149:150], v[16:17]
	v_mul_f64_e32 v[16:17], v[151:152], v[16:17]
	scratch_load_b128 v[10:13], off, off offset:512
	v_add_f64_e32 v[161:162], v[143:144], v[145:146]
	v_add_f64_e32 v[147:148], v[153:154], v[147:148]
	s_wait_loadcnt_dscnt 0x800
	v_mul_f64_e32 v[153:154], v[2:3], v[20:21]
	v_mul_f64_e32 v[20:21], v[4:5], v[20:21]
	v_fma_f64 v[151:152], v[151:152], v[14:15], v[155:156]
	v_fma_f64 v[149:150], v[149:150], v[14:15], -v[16:17]
	ds_load_b128 v[143:146], v1 offset:1120
	scratch_load_b128 v[14:17], off, off offset:528
	v_add_f64_e32 v[155:156], v[161:162], v[159:160]
	v_add_f64_e32 v[147:148], v[147:148], v[157:158]
	v_fma_f64 v[153:154], v[4:5], v[18:19], v[153:154]
	v_fma_f64 v[159:160], v[2:3], v[18:19], -v[20:21]
	ds_load_b128 v[2:5], v1 offset:1136
	s_wait_loadcnt_dscnt 0x801
	v_mul_f64_e32 v[157:158], v[143:144], v[24:25]
	v_mul_f64_e32 v[24:25], v[145:146], v[24:25]
	scratch_load_b128 v[18:21], off, off offset:544
	s_wait_loadcnt_dscnt 0x800
	v_mul_f64_e32 v[161:162], v[2:3], v[28:29]
	v_mul_f64_e32 v[28:29], v[4:5], v[28:29]
	v_add_f64_e32 v[155:156], v[155:156], v[149:150]
	v_add_f64_e32 v[151:152], v[147:148], v[151:152]
	ds_load_b128 v[147:150], v1 offset:1152
	v_fma_f64 v[145:146], v[145:146], v[22:23], v[157:158]
	v_fma_f64 v[143:144], v[143:144], v[22:23], -v[24:25]
	scratch_load_b128 v[22:25], off, off offset:560
	v_fma_f64 v[157:158], v[4:5], v[26:27], v[161:162]
	v_add_f64_e32 v[155:156], v[155:156], v[159:160]
	v_add_f64_e32 v[151:152], v[151:152], v[153:154]
	v_fma_f64 v[159:160], v[2:3], v[26:27], -v[28:29]
	ds_load_b128 v[2:5], v1 offset:1168
	s_wait_loadcnt_dscnt 0x801
	v_mul_f64_e32 v[153:154], v[147:148], v[32:33]
	v_mul_f64_e32 v[32:33], v[149:150], v[32:33]
	scratch_load_b128 v[26:29], off, off offset:576
	s_wait_loadcnt_dscnt 0x800
	v_mul_f64_e32 v[161:162], v[2:3], v[36:37]
	v_mul_f64_e32 v[36:37], v[4:5], v[36:37]
	v_add_f64_e32 v[155:156], v[155:156], v[143:144]
	v_add_f64_e32 v[151:152], v[151:152], v[145:146]
	ds_load_b128 v[143:146], v1 offset:1184
	v_fma_f64 v[149:150], v[149:150], v[30:31], v[153:154]
	v_fma_f64 v[147:148], v[147:148], v[30:31], -v[32:33]
	scratch_load_b128 v[30:33], off, off offset:592
	v_add_f64_e32 v[153:154], v[155:156], v[159:160]
	v_add_f64_e32 v[151:152], v[151:152], v[157:158]
	v_fma_f64 v[157:158], v[4:5], v[34:35], v[161:162]
	v_fma_f64 v[159:160], v[2:3], v[34:35], -v[36:37]
	ds_load_b128 v[2:5], v1 offset:1200
	s_wait_loadcnt_dscnt 0x801
	v_mul_f64_e32 v[155:156], v[143:144], v[141:142]
	v_mul_f64_e32 v[141:142], v[145:146], v[141:142]
	scratch_load_b128 v[34:37], off, off offset:608
	s_wait_loadcnt_dscnt 0x800
	v_mul_f64_e32 v[161:162], v[2:3], v[40:41]
	v_mul_f64_e32 v[40:41], v[4:5], v[40:41]
	v_add_f64_e32 v[153:154], v[153:154], v[147:148]
	v_add_f64_e32 v[151:152], v[151:152], v[149:150]
	ds_load_b128 v[147:150], v1 offset:1216
	v_fma_f64 v[145:146], v[145:146], v[139:140], v[155:156]
	v_fma_f64 v[143:144], v[143:144], v[139:140], -v[141:142]
	scratch_load_b128 v[139:142], off, off offset:624
	v_add_f64_e32 v[153:154], v[153:154], v[159:160]
	v_add_f64_e32 v[151:152], v[151:152], v[157:158]
	v_fma_f64 v[157:158], v[4:5], v[38:39], v[161:162]
	;; [unrolled: 18-line block ×5, first 2 shown]
	v_fma_f64 v[159:160], v[2:3], v[26:27], -v[28:29]
	ds_load_b128 v[2:5], v1 offset:1328
	s_wait_loadcnt_dscnt 0x801
	v_mul_f64_e32 v[155:156], v[143:144], v[32:33]
	v_mul_f64_e32 v[32:33], v[145:146], v[32:33]
	scratch_load_b128 v[26:29], off, off offset:736
	s_wait_loadcnt_dscnt 0x800
	v_mul_f64_e32 v[161:162], v[2:3], v[36:37]
	v_mul_f64_e32 v[36:37], v[4:5], v[36:37]
	v_add_f64_e32 v[153:154], v[153:154], v[147:148]
	v_add_f64_e32 v[151:152], v[151:152], v[149:150]
	ds_load_b128 v[147:150], v1 offset:1344
	v_fma_f64 v[145:146], v[145:146], v[30:31], v[155:156]
	v_fma_f64 v[30:31], v[143:144], v[30:31], -v[32:33]
	v_add_f64_e32 v[32:33], v[153:154], v[159:160]
	v_add_f64_e32 v[143:144], v[151:152], v[157:158]
	s_wait_loadcnt_dscnt 0x700
	v_mul_f64_e32 v[151:152], v[147:148], v[141:142]
	v_mul_f64_e32 v[141:142], v[149:150], v[141:142]
	v_fma_f64 v[153:154], v[4:5], v[34:35], v[161:162]
	v_fma_f64 v[34:35], v[2:3], v[34:35], -v[36:37]
	v_add_f64_e32 v[36:37], v[32:33], v[30:31]
	v_add_f64_e32 v[143:144], v[143:144], v[145:146]
	ds_load_b128 v[2:5], v1 offset:1360
	ds_load_b128 v[30:33], v1 offset:1376
	v_fma_f64 v[149:150], v[149:150], v[139:140], v[151:152]
	v_fma_f64 v[139:140], v[147:148], v[139:140], -v[141:142]
	s_wait_loadcnt_dscnt 0x601
	v_mul_f64_e32 v[145:146], v[2:3], v[40:41]
	v_mul_f64_e32 v[40:41], v[4:5], v[40:41]
	s_wait_loadcnt_dscnt 0x500
	v_mul_f64_e32 v[141:142], v[30:31], v[8:9]
	v_mul_f64_e32 v[8:9], v[32:33], v[8:9]
	v_add_f64_e32 v[34:35], v[36:37], v[34:35]
	v_add_f64_e32 v[36:37], v[143:144], v[153:154]
	v_fma_f64 v[143:144], v[4:5], v[38:39], v[145:146]
	v_fma_f64 v[38:39], v[2:3], v[38:39], -v[40:41]
	v_fma_f64 v[32:33], v[32:33], v[6:7], v[141:142]
	v_fma_f64 v[6:7], v[30:31], v[6:7], -v[8:9]
	v_add_f64_e32 v[40:41], v[34:35], v[139:140]
	v_add_f64_e32 v[139:140], v[36:37], v[149:150]
	ds_load_b128 v[2:5], v1 offset:1392
	ds_load_b128 v[34:37], v1 offset:1408
	s_wait_loadcnt_dscnt 0x401
	v_mul_f64_e32 v[145:146], v[2:3], v[12:13]
	v_mul_f64_e32 v[12:13], v[4:5], v[12:13]
	v_add_f64_e32 v[8:9], v[40:41], v[38:39]
	v_add_f64_e32 v[30:31], v[139:140], v[143:144]
	s_wait_loadcnt_dscnt 0x300
	v_mul_f64_e32 v[38:39], v[34:35], v[16:17]
	v_mul_f64_e32 v[16:17], v[36:37], v[16:17]
	v_fma_f64 v[40:41], v[4:5], v[10:11], v[145:146]
	v_fma_f64 v[10:11], v[2:3], v[10:11], -v[12:13]
	v_add_f64_e32 v[12:13], v[8:9], v[6:7]
	v_add_f64_e32 v[30:31], v[30:31], v[32:33]
	ds_load_b128 v[2:5], v1 offset:1424
	ds_load_b128 v[6:9], v1 offset:1440
	v_fma_f64 v[36:37], v[36:37], v[14:15], v[38:39]
	v_fma_f64 v[14:15], v[34:35], v[14:15], -v[16:17]
	s_wait_loadcnt_dscnt 0x201
	v_mul_f64_e32 v[32:33], v[2:3], v[20:21]
	v_mul_f64_e32 v[20:21], v[4:5], v[20:21]
	s_wait_loadcnt_dscnt 0x100
	v_mul_f64_e32 v[16:17], v[6:7], v[24:25]
	v_mul_f64_e32 v[24:25], v[8:9], v[24:25]
	v_add_f64_e32 v[10:11], v[12:13], v[10:11]
	v_add_f64_e32 v[12:13], v[30:31], v[40:41]
	v_fma_f64 v[30:31], v[4:5], v[18:19], v[32:33]
	v_fma_f64 v[18:19], v[2:3], v[18:19], -v[20:21]
	ds_load_b128 v[2:5], v1 offset:1456
	v_fma_f64 v[8:9], v[8:9], v[22:23], v[16:17]
	v_fma_f64 v[6:7], v[6:7], v[22:23], -v[24:25]
	v_add_f64_e32 v[10:11], v[10:11], v[14:15]
	v_add_f64_e32 v[12:13], v[12:13], v[36:37]
	s_wait_loadcnt_dscnt 0x0
	v_mul_f64_e32 v[14:15], v[2:3], v[28:29]
	v_mul_f64_e32 v[20:21], v[4:5], v[28:29]
	s_delay_alu instid0(VALU_DEP_4) | instskip(NEXT) | instid1(VALU_DEP_4)
	v_add_f64_e32 v[10:11], v[10:11], v[18:19]
	v_add_f64_e32 v[12:13], v[12:13], v[30:31]
	s_delay_alu instid0(VALU_DEP_4) | instskip(NEXT) | instid1(VALU_DEP_4)
	v_fma_f64 v[4:5], v[4:5], v[26:27], v[14:15]
	v_fma_f64 v[2:3], v[2:3], v[26:27], -v[20:21]
	s_delay_alu instid0(VALU_DEP_4) | instskip(NEXT) | instid1(VALU_DEP_4)
	v_add_f64_e32 v[6:7], v[10:11], v[6:7]
	v_add_f64_e32 v[8:9], v[12:13], v[8:9]
	s_delay_alu instid0(VALU_DEP_2) | instskip(NEXT) | instid1(VALU_DEP_2)
	v_add_f64_e32 v[2:3], v[6:7], v[2:3]
	v_add_f64_e32 v[4:5], v[8:9], v[4:5]
	s_delay_alu instid0(VALU_DEP_2) | instskip(NEXT) | instid1(VALU_DEP_2)
	v_add_f64_e64 v[2:3], v[42:43], -v[2:3]
	v_add_f64_e64 v[4:5], v[44:45], -v[4:5]
	scratch_store_b128 off, v[2:5], off offset:144
	v_cmpx_lt_u32_e32 7, v0
	s_cbranch_execz .LBB109_275
; %bb.274:
	scratch_load_b128 v[5:8], off, s52
	v_dual_mov_b32 v2, v1 :: v_dual_mov_b32 v3, v1
	v_mov_b32_e32 v4, v1
	scratch_store_b128 off, v[1:4], off offset:128
	s_wait_loadcnt 0x0
	ds_store_b128 v138, v[5:8]
.LBB109_275:
	s_wait_alu 0xfffe
	s_or_b32 exec_lo, exec_lo, s0
	s_wait_storecnt_dscnt 0x0
	s_barrier_signal -1
	s_barrier_wait -1
	global_inv scope:SCOPE_SE
	s_clause 0x8
	scratch_load_b128 v[2:5], off, off offset:144
	scratch_load_b128 v[6:9], off, off offset:160
	;; [unrolled: 1-line block ×9, first 2 shown]
	ds_load_b128 v[42:45], v1 offset:864
	ds_load_b128 v[38:41], v1 offset:880
	s_clause 0x1
	scratch_load_b128 v[139:142], off, off offset:128
	scratch_load_b128 v[143:146], off, off offset:288
	s_mov_b32 s0, exec_lo
	s_wait_loadcnt_dscnt 0xa01
	v_mul_f64_e32 v[147:148], v[44:45], v[4:5]
	v_mul_f64_e32 v[4:5], v[42:43], v[4:5]
	s_wait_loadcnt_dscnt 0x900
	v_mul_f64_e32 v[151:152], v[38:39], v[8:9]
	v_mul_f64_e32 v[8:9], v[40:41], v[8:9]
	s_delay_alu instid0(VALU_DEP_4) | instskip(NEXT) | instid1(VALU_DEP_4)
	v_fma_f64 v[153:154], v[42:43], v[2:3], -v[147:148]
	v_fma_f64 v[155:156], v[44:45], v[2:3], v[4:5]
	ds_load_b128 v[2:5], v1 offset:896
	ds_load_b128 v[147:150], v1 offset:912
	scratch_load_b128 v[42:45], off, off offset:304
	v_fma_f64 v[40:41], v[40:41], v[6:7], v[151:152]
	v_fma_f64 v[38:39], v[38:39], v[6:7], -v[8:9]
	scratch_load_b128 v[6:9], off, off offset:320
	s_wait_loadcnt_dscnt 0xa01
	v_mul_f64_e32 v[157:158], v[2:3], v[12:13]
	v_mul_f64_e32 v[12:13], v[4:5], v[12:13]
	v_add_f64_e32 v[151:152], 0, v[153:154]
	v_add_f64_e32 v[153:154], 0, v[155:156]
	s_wait_loadcnt_dscnt 0x900
	v_mul_f64_e32 v[155:156], v[147:148], v[16:17]
	v_mul_f64_e32 v[16:17], v[149:150], v[16:17]
	v_fma_f64 v[157:158], v[4:5], v[10:11], v[157:158]
	v_fma_f64 v[159:160], v[2:3], v[10:11], -v[12:13]
	ds_load_b128 v[2:5], v1 offset:928
	scratch_load_b128 v[10:13], off, off offset:336
	v_add_f64_e32 v[151:152], v[151:152], v[38:39]
	v_add_f64_e32 v[153:154], v[153:154], v[40:41]
	ds_load_b128 v[38:41], v1 offset:944
	v_fma_f64 v[149:150], v[149:150], v[14:15], v[155:156]
	v_fma_f64 v[147:148], v[147:148], v[14:15], -v[16:17]
	scratch_load_b128 v[14:17], off, off offset:352
	s_wait_loadcnt_dscnt 0xa01
	v_mul_f64_e32 v[161:162], v[2:3], v[20:21]
	v_mul_f64_e32 v[20:21], v[4:5], v[20:21]
	s_wait_loadcnt_dscnt 0x900
	v_mul_f64_e32 v[155:156], v[38:39], v[24:25]
	v_mul_f64_e32 v[24:25], v[40:41], v[24:25]
	v_add_f64_e32 v[151:152], v[151:152], v[159:160]
	v_add_f64_e32 v[153:154], v[153:154], v[157:158]
	v_fma_f64 v[157:158], v[4:5], v[18:19], v[161:162]
	v_fma_f64 v[159:160], v[2:3], v[18:19], -v[20:21]
	ds_load_b128 v[2:5], v1 offset:960
	scratch_load_b128 v[18:21], off, off offset:368
	v_fma_f64 v[40:41], v[40:41], v[22:23], v[155:156]
	v_fma_f64 v[38:39], v[38:39], v[22:23], -v[24:25]
	scratch_load_b128 v[22:25], off, off offset:384
	v_add_f64_e32 v[151:152], v[151:152], v[147:148]
	v_add_f64_e32 v[153:154], v[153:154], v[149:150]
	ds_load_b128 v[147:150], v1 offset:976
	s_wait_loadcnt_dscnt 0xa01
	v_mul_f64_e32 v[161:162], v[2:3], v[28:29]
	v_mul_f64_e32 v[28:29], v[4:5], v[28:29]
	s_wait_loadcnt_dscnt 0x900
	v_mul_f64_e32 v[155:156], v[147:148], v[32:33]
	v_mul_f64_e32 v[32:33], v[149:150], v[32:33]
	v_add_f64_e32 v[151:152], v[151:152], v[159:160]
	v_add_f64_e32 v[153:154], v[153:154], v[157:158]
	v_fma_f64 v[157:158], v[4:5], v[26:27], v[161:162]
	v_fma_f64 v[159:160], v[2:3], v[26:27], -v[28:29]
	ds_load_b128 v[2:5], v1 offset:992
	scratch_load_b128 v[26:29], off, off offset:400
	v_fma_f64 v[149:150], v[149:150], v[30:31], v[155:156]
	v_fma_f64 v[147:148], v[147:148], v[30:31], -v[32:33]
	scratch_load_b128 v[30:33], off, off offset:416
	v_add_f64_e32 v[151:152], v[151:152], v[38:39]
	v_add_f64_e32 v[153:154], v[153:154], v[40:41]
	ds_load_b128 v[38:41], v1 offset:1008
	s_wait_loadcnt_dscnt 0xa01
	v_mul_f64_e32 v[161:162], v[2:3], v[36:37]
	v_mul_f64_e32 v[36:37], v[4:5], v[36:37]
	s_wait_loadcnt_dscnt 0x800
	v_mul_f64_e32 v[155:156], v[38:39], v[145:146]
	v_add_f64_e32 v[151:152], v[151:152], v[159:160]
	v_add_f64_e32 v[153:154], v[153:154], v[157:158]
	v_mul_f64_e32 v[157:158], v[40:41], v[145:146]
	v_fma_f64 v[159:160], v[4:5], v[34:35], v[161:162]
	v_fma_f64 v[161:162], v[2:3], v[34:35], -v[36:37]
	ds_load_b128 v[2:5], v1 offset:1024
	scratch_load_b128 v[34:37], off, off offset:432
	v_fma_f64 v[155:156], v[40:41], v[143:144], v[155:156]
	v_add_f64_e32 v[151:152], v[151:152], v[147:148]
	v_add_f64_e32 v[149:150], v[153:154], v[149:150]
	ds_load_b128 v[145:148], v1 offset:1040
	v_fma_f64 v[143:144], v[38:39], v[143:144], -v[157:158]
	scratch_load_b128 v[38:41], off, off offset:448
	s_wait_loadcnt_dscnt 0x901
	v_mul_f64_e32 v[153:154], v[2:3], v[44:45]
	v_mul_f64_e32 v[44:45], v[4:5], v[44:45]
	s_wait_loadcnt_dscnt 0x800
	v_mul_f64_e32 v[157:158], v[145:146], v[8:9]
	v_mul_f64_e32 v[8:9], v[147:148], v[8:9]
	v_add_f64_e32 v[151:152], v[151:152], v[161:162]
	v_add_f64_e32 v[149:150], v[149:150], v[159:160]
	v_fma_f64 v[153:154], v[4:5], v[42:43], v[153:154]
	v_fma_f64 v[159:160], v[2:3], v[42:43], -v[44:45]
	ds_load_b128 v[2:5], v1 offset:1056
	scratch_load_b128 v[42:45], off, off offset:464
	v_fma_f64 v[147:148], v[147:148], v[6:7], v[157:158]
	v_fma_f64 v[145:146], v[145:146], v[6:7], -v[8:9]
	scratch_load_b128 v[6:9], off, off offset:480
	v_add_f64_e32 v[143:144], v[151:152], v[143:144]
	v_add_f64_e32 v[155:156], v[149:150], v[155:156]
	ds_load_b128 v[149:152], v1 offset:1072
	s_wait_loadcnt_dscnt 0x901
	v_mul_f64_e32 v[161:162], v[2:3], v[12:13]
	v_mul_f64_e32 v[12:13], v[4:5], v[12:13]
	v_add_f64_e32 v[143:144], v[143:144], v[159:160]
	v_add_f64_e32 v[153:154], v[155:156], v[153:154]
	s_wait_loadcnt_dscnt 0x800
	v_mul_f64_e32 v[155:156], v[149:150], v[16:17]
	v_mul_f64_e32 v[16:17], v[151:152], v[16:17]
	v_fma_f64 v[157:158], v[4:5], v[10:11], v[161:162]
	v_fma_f64 v[159:160], v[2:3], v[10:11], -v[12:13]
	ds_load_b128 v[2:5], v1 offset:1088
	scratch_load_b128 v[10:13], off, off offset:496
	v_add_f64_e32 v[161:162], v[143:144], v[145:146]
	v_add_f64_e32 v[147:148], v[153:154], v[147:148]
	ds_load_b128 v[143:146], v1 offset:1104
	s_wait_loadcnt_dscnt 0x801
	v_mul_f64_e32 v[153:154], v[2:3], v[20:21]
	v_mul_f64_e32 v[20:21], v[4:5], v[20:21]
	v_fma_f64 v[151:152], v[151:152], v[14:15], v[155:156]
	v_fma_f64 v[149:150], v[149:150], v[14:15], -v[16:17]
	scratch_load_b128 v[14:17], off, off offset:512
	v_add_f64_e32 v[155:156], v[161:162], v[159:160]
	v_add_f64_e32 v[147:148], v[147:148], v[157:158]
	s_wait_loadcnt_dscnt 0x800
	v_mul_f64_e32 v[157:158], v[143:144], v[24:25]
	v_mul_f64_e32 v[24:25], v[145:146], v[24:25]
	v_fma_f64 v[153:154], v[4:5], v[18:19], v[153:154]
	v_fma_f64 v[159:160], v[2:3], v[18:19], -v[20:21]
	ds_load_b128 v[2:5], v1 offset:1120
	scratch_load_b128 v[18:21], off, off offset:528
	v_add_f64_e32 v[155:156], v[155:156], v[149:150]
	v_add_f64_e32 v[151:152], v[147:148], v[151:152]
	ds_load_b128 v[147:150], v1 offset:1136
	s_wait_loadcnt_dscnt 0x801
	v_mul_f64_e32 v[161:162], v[2:3], v[28:29]
	v_mul_f64_e32 v[28:29], v[4:5], v[28:29]
	v_fma_f64 v[145:146], v[145:146], v[22:23], v[157:158]
	v_fma_f64 v[143:144], v[143:144], v[22:23], -v[24:25]
	scratch_load_b128 v[22:25], off, off offset:544
	;; [unrolled: 18-line block ×4, first 2 shown]
	s_wait_loadcnt_dscnt 0x800
	v_mul_f64_e32 v[155:156], v[147:148], v[8:9]
	v_mul_f64_e32 v[8:9], v[149:150], v[8:9]
	v_add_f64_e32 v[153:154], v[153:154], v[159:160]
	v_add_f64_e32 v[151:152], v[151:152], v[157:158]
	v_fma_f64 v[157:158], v[4:5], v[42:43], v[161:162]
	v_fma_f64 v[159:160], v[2:3], v[42:43], -v[44:45]
	ds_load_b128 v[2:5], v1 offset:1216
	scratch_load_b128 v[42:45], off, off offset:624
	v_fma_f64 v[149:150], v[149:150], v[6:7], v[155:156]
	v_fma_f64 v[147:148], v[147:148], v[6:7], -v[8:9]
	scratch_load_b128 v[6:9], off, off offset:640
	v_add_f64_e32 v[153:154], v[153:154], v[143:144]
	v_add_f64_e32 v[151:152], v[151:152], v[145:146]
	ds_load_b128 v[143:146], v1 offset:1232
	s_wait_loadcnt_dscnt 0x901
	v_mul_f64_e32 v[161:162], v[2:3], v[12:13]
	v_mul_f64_e32 v[12:13], v[4:5], v[12:13]
	s_wait_loadcnt_dscnt 0x800
	v_mul_f64_e32 v[155:156], v[143:144], v[16:17]
	v_mul_f64_e32 v[16:17], v[145:146], v[16:17]
	v_add_f64_e32 v[153:154], v[153:154], v[159:160]
	v_add_f64_e32 v[151:152], v[151:152], v[157:158]
	v_fma_f64 v[157:158], v[4:5], v[10:11], v[161:162]
	v_fma_f64 v[159:160], v[2:3], v[10:11], -v[12:13]
	ds_load_b128 v[2:5], v1 offset:1248
	scratch_load_b128 v[10:13], off, off offset:656
	v_fma_f64 v[145:146], v[145:146], v[14:15], v[155:156]
	v_fma_f64 v[143:144], v[143:144], v[14:15], -v[16:17]
	scratch_load_b128 v[14:17], off, off offset:672
	v_add_f64_e32 v[153:154], v[153:154], v[147:148]
	v_add_f64_e32 v[151:152], v[151:152], v[149:150]
	ds_load_b128 v[147:150], v1 offset:1264
	s_wait_loadcnt_dscnt 0x901
	v_mul_f64_e32 v[161:162], v[2:3], v[20:21]
	v_mul_f64_e32 v[20:21], v[4:5], v[20:21]
	;; [unrolled: 18-line block ×4, first 2 shown]
	s_wait_loadcnt_dscnt 0x800
	v_mul_f64_e32 v[155:156], v[147:148], v[40:41]
	v_mul_f64_e32 v[40:41], v[149:150], v[40:41]
	v_add_f64_e32 v[153:154], v[153:154], v[159:160]
	v_add_f64_e32 v[151:152], v[151:152], v[157:158]
	v_fma_f64 v[157:158], v[4:5], v[34:35], v[161:162]
	v_fma_f64 v[159:160], v[2:3], v[34:35], -v[36:37]
	ds_load_b128 v[2:5], v1 offset:1344
	ds_load_b128 v[34:37], v1 offset:1360
	v_fma_f64 v[149:150], v[149:150], v[38:39], v[155:156]
	v_fma_f64 v[38:39], v[147:148], v[38:39], -v[40:41]
	v_add_f64_e32 v[143:144], v[153:154], v[143:144]
	v_add_f64_e32 v[145:146], v[151:152], v[145:146]
	s_wait_loadcnt_dscnt 0x701
	v_mul_f64_e32 v[151:152], v[2:3], v[44:45]
	v_mul_f64_e32 v[44:45], v[4:5], v[44:45]
	s_delay_alu instid0(VALU_DEP_4) | instskip(NEXT) | instid1(VALU_DEP_4)
	v_add_f64_e32 v[40:41], v[143:144], v[159:160]
	v_add_f64_e32 v[143:144], v[145:146], v[157:158]
	s_wait_loadcnt_dscnt 0x600
	v_mul_f64_e32 v[145:146], v[34:35], v[8:9]
	v_mul_f64_e32 v[8:9], v[36:37], v[8:9]
	v_fma_f64 v[147:148], v[4:5], v[42:43], v[151:152]
	v_fma_f64 v[42:43], v[2:3], v[42:43], -v[44:45]
	v_add_f64_e32 v[44:45], v[40:41], v[38:39]
	v_add_f64_e32 v[143:144], v[143:144], v[149:150]
	ds_load_b128 v[2:5], v1 offset:1376
	ds_load_b128 v[38:41], v1 offset:1392
	v_fma_f64 v[36:37], v[36:37], v[6:7], v[145:146]
	v_fma_f64 v[6:7], v[34:35], v[6:7], -v[8:9]
	s_wait_loadcnt_dscnt 0x501
	v_mul_f64_e32 v[149:150], v[2:3], v[12:13]
	v_mul_f64_e32 v[12:13], v[4:5], v[12:13]
	v_add_f64_e32 v[8:9], v[44:45], v[42:43]
	v_add_f64_e32 v[34:35], v[143:144], v[147:148]
	s_wait_loadcnt_dscnt 0x400
	v_mul_f64_e32 v[42:43], v[38:39], v[16:17]
	v_mul_f64_e32 v[16:17], v[40:41], v[16:17]
	v_fma_f64 v[44:45], v[4:5], v[10:11], v[149:150]
	v_fma_f64 v[10:11], v[2:3], v[10:11], -v[12:13]
	v_add_f64_e32 v[12:13], v[8:9], v[6:7]
	v_add_f64_e32 v[34:35], v[34:35], v[36:37]
	ds_load_b128 v[2:5], v1 offset:1408
	ds_load_b128 v[6:9], v1 offset:1424
	v_fma_f64 v[40:41], v[40:41], v[14:15], v[42:43]
	v_fma_f64 v[14:15], v[38:39], v[14:15], -v[16:17]
	s_wait_loadcnt_dscnt 0x301
	v_mul_f64_e32 v[36:37], v[2:3], v[20:21]
	v_mul_f64_e32 v[20:21], v[4:5], v[20:21]
	s_wait_loadcnt_dscnt 0x200
	v_mul_f64_e32 v[16:17], v[6:7], v[24:25]
	v_mul_f64_e32 v[24:25], v[8:9], v[24:25]
	v_add_f64_e32 v[10:11], v[12:13], v[10:11]
	v_add_f64_e32 v[12:13], v[34:35], v[44:45]
	v_fma_f64 v[34:35], v[4:5], v[18:19], v[36:37]
	v_fma_f64 v[18:19], v[2:3], v[18:19], -v[20:21]
	v_fma_f64 v[8:9], v[8:9], v[22:23], v[16:17]
	v_fma_f64 v[6:7], v[6:7], v[22:23], -v[24:25]
	v_add_f64_e32 v[14:15], v[10:11], v[14:15]
	v_add_f64_e32 v[20:21], v[12:13], v[40:41]
	ds_load_b128 v[2:5], v1 offset:1440
	ds_load_b128 v[10:13], v1 offset:1456
	s_wait_loadcnt_dscnt 0x101
	v_mul_f64_e32 v[36:37], v[2:3], v[28:29]
	v_mul_f64_e32 v[28:29], v[4:5], v[28:29]
	v_add_f64_e32 v[14:15], v[14:15], v[18:19]
	v_add_f64_e32 v[16:17], v[20:21], v[34:35]
	s_wait_loadcnt_dscnt 0x0
	v_mul_f64_e32 v[18:19], v[10:11], v[32:33]
	v_mul_f64_e32 v[20:21], v[12:13], v[32:33]
	v_fma_f64 v[4:5], v[4:5], v[26:27], v[36:37]
	v_fma_f64 v[1:2], v[2:3], v[26:27], -v[28:29]
	v_add_f64_e32 v[6:7], v[14:15], v[6:7]
	v_add_f64_e32 v[8:9], v[16:17], v[8:9]
	v_fma_f64 v[12:13], v[12:13], v[30:31], v[18:19]
	v_fma_f64 v[10:11], v[10:11], v[30:31], -v[20:21]
	s_delay_alu instid0(VALU_DEP_4) | instskip(NEXT) | instid1(VALU_DEP_4)
	v_add_f64_e32 v[1:2], v[6:7], v[1:2]
	v_add_f64_e32 v[3:4], v[8:9], v[4:5]
	s_delay_alu instid0(VALU_DEP_2) | instskip(NEXT) | instid1(VALU_DEP_2)
	v_add_f64_e32 v[1:2], v[1:2], v[10:11]
	v_add_f64_e32 v[3:4], v[3:4], v[12:13]
	s_delay_alu instid0(VALU_DEP_2) | instskip(NEXT) | instid1(VALU_DEP_2)
	v_add_f64_e64 v[1:2], v[139:140], -v[1:2]
	v_add_f64_e64 v[3:4], v[141:142], -v[3:4]
	scratch_store_b128 off, v[1:4], off offset:128
	v_cmpx_lt_u32_e32 6, v0
	s_cbranch_execz .LBB109_277
; %bb.276:
	scratch_load_b128 v[1:4], off, s53
	v_mov_b32_e32 v5, 0
	s_delay_alu instid0(VALU_DEP_1)
	v_dual_mov_b32 v6, v5 :: v_dual_mov_b32 v7, v5
	v_mov_b32_e32 v8, v5
	scratch_store_b128 off, v[5:8], off offset:112
	s_wait_loadcnt 0x0
	ds_store_b128 v138, v[1:4]
.LBB109_277:
	s_wait_alu 0xfffe
	s_or_b32 exec_lo, exec_lo, s0
	s_wait_storecnt_dscnt 0x0
	s_barrier_signal -1
	s_barrier_wait -1
	global_inv scope:SCOPE_SE
	s_clause 0x7
	scratch_load_b128 v[2:5], off, off offset:128
	scratch_load_b128 v[6:9], off, off offset:144
	;; [unrolled: 1-line block ×8, first 2 shown]
	v_mov_b32_e32 v1, 0
	s_mov_b32 s0, exec_lo
	ds_load_b128 v[38:41], v1 offset:848
	s_clause 0x1
	scratch_load_b128 v[34:37], off, off offset:256
	scratch_load_b128 v[42:45], off, off offset:112
	ds_load_b128 v[139:142], v1 offset:864
	scratch_load_b128 v[143:146], off, off offset:272
	s_wait_loadcnt_dscnt 0xa01
	v_mul_f64_e32 v[147:148], v[40:41], v[4:5]
	v_mul_f64_e32 v[4:5], v[38:39], v[4:5]
	s_delay_alu instid0(VALU_DEP_2) | instskip(NEXT) | instid1(VALU_DEP_2)
	v_fma_f64 v[153:154], v[38:39], v[2:3], -v[147:148]
	v_fma_f64 v[155:156], v[40:41], v[2:3], v[4:5]
	ds_load_b128 v[2:5], v1 offset:880
	s_wait_loadcnt_dscnt 0x901
	v_mul_f64_e32 v[151:152], v[139:140], v[8:9]
	v_mul_f64_e32 v[8:9], v[141:142], v[8:9]
	scratch_load_b128 v[38:41], off, off offset:288
	ds_load_b128 v[147:150], v1 offset:896
	s_wait_loadcnt_dscnt 0x901
	v_mul_f64_e32 v[157:158], v[2:3], v[12:13]
	v_mul_f64_e32 v[12:13], v[4:5], v[12:13]
	v_fma_f64 v[141:142], v[141:142], v[6:7], v[151:152]
	v_fma_f64 v[139:140], v[139:140], v[6:7], -v[8:9]
	v_add_f64_e32 v[151:152], 0, v[153:154]
	v_add_f64_e32 v[153:154], 0, v[155:156]
	scratch_load_b128 v[6:9], off, off offset:304
	v_fma_f64 v[157:158], v[4:5], v[10:11], v[157:158]
	v_fma_f64 v[159:160], v[2:3], v[10:11], -v[12:13]
	ds_load_b128 v[2:5], v1 offset:912
	s_wait_loadcnt_dscnt 0x901
	v_mul_f64_e32 v[155:156], v[147:148], v[16:17]
	v_mul_f64_e32 v[16:17], v[149:150], v[16:17]
	scratch_load_b128 v[10:13], off, off offset:320
	v_add_f64_e32 v[151:152], v[151:152], v[139:140]
	v_add_f64_e32 v[153:154], v[153:154], v[141:142]
	s_wait_loadcnt_dscnt 0x900
	v_mul_f64_e32 v[161:162], v[2:3], v[20:21]
	v_mul_f64_e32 v[20:21], v[4:5], v[20:21]
	ds_load_b128 v[139:142], v1 offset:928
	v_fma_f64 v[149:150], v[149:150], v[14:15], v[155:156]
	v_fma_f64 v[147:148], v[147:148], v[14:15], -v[16:17]
	scratch_load_b128 v[14:17], off, off offset:336
	v_add_f64_e32 v[151:152], v[151:152], v[159:160]
	v_add_f64_e32 v[153:154], v[153:154], v[157:158]
	v_fma_f64 v[157:158], v[4:5], v[18:19], v[161:162]
	v_fma_f64 v[159:160], v[2:3], v[18:19], -v[20:21]
	ds_load_b128 v[2:5], v1 offset:944
	s_wait_loadcnt_dscnt 0x901
	v_mul_f64_e32 v[155:156], v[139:140], v[24:25]
	v_mul_f64_e32 v[24:25], v[141:142], v[24:25]
	scratch_load_b128 v[18:21], off, off offset:352
	s_wait_loadcnt_dscnt 0x900
	v_mul_f64_e32 v[161:162], v[2:3], v[28:29]
	v_mul_f64_e32 v[28:29], v[4:5], v[28:29]
	v_add_f64_e32 v[151:152], v[151:152], v[147:148]
	v_add_f64_e32 v[153:154], v[153:154], v[149:150]
	ds_load_b128 v[147:150], v1 offset:960
	v_fma_f64 v[141:142], v[141:142], v[22:23], v[155:156]
	v_fma_f64 v[139:140], v[139:140], v[22:23], -v[24:25]
	scratch_load_b128 v[22:25], off, off offset:368
	v_add_f64_e32 v[151:152], v[151:152], v[159:160]
	v_add_f64_e32 v[153:154], v[153:154], v[157:158]
	v_fma_f64 v[157:158], v[4:5], v[26:27], v[161:162]
	v_fma_f64 v[159:160], v[2:3], v[26:27], -v[28:29]
	ds_load_b128 v[2:5], v1 offset:976
	s_wait_loadcnt_dscnt 0x901
	v_mul_f64_e32 v[155:156], v[147:148], v[32:33]
	v_mul_f64_e32 v[32:33], v[149:150], v[32:33]
	scratch_load_b128 v[26:29], off, off offset:384
	s_wait_loadcnt_dscnt 0x900
	v_mul_f64_e32 v[161:162], v[2:3], v[36:37]
	v_mul_f64_e32 v[36:37], v[4:5], v[36:37]
	v_add_f64_e32 v[151:152], v[151:152], v[139:140]
	v_add_f64_e32 v[153:154], v[153:154], v[141:142]
	ds_load_b128 v[139:142], v1 offset:992
	v_fma_f64 v[149:150], v[149:150], v[30:31], v[155:156]
	v_fma_f64 v[147:148], v[147:148], v[30:31], -v[32:33]
	scratch_load_b128 v[30:33], off, off offset:400
	v_add_f64_e32 v[151:152], v[151:152], v[159:160]
	v_add_f64_e32 v[153:154], v[153:154], v[157:158]
	v_fma_f64 v[159:160], v[4:5], v[34:35], v[161:162]
	v_fma_f64 v[161:162], v[2:3], v[34:35], -v[36:37]
	ds_load_b128 v[2:5], v1 offset:1008
	s_wait_loadcnt_dscnt 0x801
	v_mul_f64_e32 v[155:156], v[139:140], v[145:146]
	v_mul_f64_e32 v[157:158], v[141:142], v[145:146]
	scratch_load_b128 v[34:37], off, off offset:416
	v_add_f64_e32 v[151:152], v[151:152], v[147:148]
	v_add_f64_e32 v[149:150], v[153:154], v[149:150]
	ds_load_b128 v[145:148], v1 offset:1024
	v_fma_f64 v[155:156], v[141:142], v[143:144], v[155:156]
	v_fma_f64 v[143:144], v[139:140], v[143:144], -v[157:158]
	scratch_load_b128 v[139:142], off, off offset:432
	s_wait_loadcnt_dscnt 0x901
	v_mul_f64_e32 v[153:154], v[2:3], v[40:41]
	v_mul_f64_e32 v[40:41], v[4:5], v[40:41]
	v_add_f64_e32 v[151:152], v[151:152], v[161:162]
	v_add_f64_e32 v[149:150], v[149:150], v[159:160]
	s_delay_alu instid0(VALU_DEP_4) | instskip(NEXT) | instid1(VALU_DEP_4)
	v_fma_f64 v[153:154], v[4:5], v[38:39], v[153:154]
	v_fma_f64 v[159:160], v[2:3], v[38:39], -v[40:41]
	ds_load_b128 v[2:5], v1 offset:1040
	s_wait_loadcnt_dscnt 0x801
	v_mul_f64_e32 v[157:158], v[145:146], v[8:9]
	v_mul_f64_e32 v[8:9], v[147:148], v[8:9]
	scratch_load_b128 v[38:41], off, off offset:448
	s_wait_loadcnt_dscnt 0x800
	v_mul_f64_e32 v[161:162], v[2:3], v[12:13]
	v_add_f64_e32 v[143:144], v[151:152], v[143:144]
	v_add_f64_e32 v[155:156], v[149:150], v[155:156]
	v_mul_f64_e32 v[12:13], v[4:5], v[12:13]
	ds_load_b128 v[149:152], v1 offset:1056
	v_fma_f64 v[147:148], v[147:148], v[6:7], v[157:158]
	v_fma_f64 v[145:146], v[145:146], v[6:7], -v[8:9]
	scratch_load_b128 v[6:9], off, off offset:464
	v_fma_f64 v[157:158], v[4:5], v[10:11], v[161:162]
	v_add_f64_e32 v[143:144], v[143:144], v[159:160]
	v_add_f64_e32 v[153:154], v[155:156], v[153:154]
	v_fma_f64 v[159:160], v[2:3], v[10:11], -v[12:13]
	ds_load_b128 v[2:5], v1 offset:1072
	s_wait_loadcnt_dscnt 0x801
	v_mul_f64_e32 v[155:156], v[149:150], v[16:17]
	v_mul_f64_e32 v[16:17], v[151:152], v[16:17]
	scratch_load_b128 v[10:13], off, off offset:480
	v_add_f64_e32 v[161:162], v[143:144], v[145:146]
	v_add_f64_e32 v[147:148], v[153:154], v[147:148]
	s_wait_loadcnt_dscnt 0x800
	v_mul_f64_e32 v[153:154], v[2:3], v[20:21]
	v_mul_f64_e32 v[20:21], v[4:5], v[20:21]
	v_fma_f64 v[151:152], v[151:152], v[14:15], v[155:156]
	v_fma_f64 v[149:150], v[149:150], v[14:15], -v[16:17]
	ds_load_b128 v[143:146], v1 offset:1088
	scratch_load_b128 v[14:17], off, off offset:496
	v_add_f64_e32 v[155:156], v[161:162], v[159:160]
	v_add_f64_e32 v[147:148], v[147:148], v[157:158]
	v_fma_f64 v[153:154], v[4:5], v[18:19], v[153:154]
	v_fma_f64 v[159:160], v[2:3], v[18:19], -v[20:21]
	ds_load_b128 v[2:5], v1 offset:1104
	s_wait_loadcnt_dscnt 0x801
	v_mul_f64_e32 v[157:158], v[143:144], v[24:25]
	v_mul_f64_e32 v[24:25], v[145:146], v[24:25]
	scratch_load_b128 v[18:21], off, off offset:512
	s_wait_loadcnt_dscnt 0x800
	v_mul_f64_e32 v[161:162], v[2:3], v[28:29]
	v_mul_f64_e32 v[28:29], v[4:5], v[28:29]
	v_add_f64_e32 v[155:156], v[155:156], v[149:150]
	v_add_f64_e32 v[151:152], v[147:148], v[151:152]
	ds_load_b128 v[147:150], v1 offset:1120
	v_fma_f64 v[145:146], v[145:146], v[22:23], v[157:158]
	v_fma_f64 v[143:144], v[143:144], v[22:23], -v[24:25]
	scratch_load_b128 v[22:25], off, off offset:528
	v_fma_f64 v[157:158], v[4:5], v[26:27], v[161:162]
	v_add_f64_e32 v[155:156], v[155:156], v[159:160]
	v_add_f64_e32 v[151:152], v[151:152], v[153:154]
	v_fma_f64 v[159:160], v[2:3], v[26:27], -v[28:29]
	ds_load_b128 v[2:5], v1 offset:1136
	s_wait_loadcnt_dscnt 0x801
	v_mul_f64_e32 v[153:154], v[147:148], v[32:33]
	v_mul_f64_e32 v[32:33], v[149:150], v[32:33]
	scratch_load_b128 v[26:29], off, off offset:544
	s_wait_loadcnt_dscnt 0x800
	v_mul_f64_e32 v[161:162], v[2:3], v[36:37]
	v_mul_f64_e32 v[36:37], v[4:5], v[36:37]
	v_add_f64_e32 v[155:156], v[155:156], v[143:144]
	v_add_f64_e32 v[151:152], v[151:152], v[145:146]
	ds_load_b128 v[143:146], v1 offset:1152
	v_fma_f64 v[149:150], v[149:150], v[30:31], v[153:154]
	v_fma_f64 v[147:148], v[147:148], v[30:31], -v[32:33]
	scratch_load_b128 v[30:33], off, off offset:560
	v_add_f64_e32 v[153:154], v[155:156], v[159:160]
	v_add_f64_e32 v[151:152], v[151:152], v[157:158]
	v_fma_f64 v[157:158], v[4:5], v[34:35], v[161:162]
	v_fma_f64 v[159:160], v[2:3], v[34:35], -v[36:37]
	ds_load_b128 v[2:5], v1 offset:1168
	s_wait_loadcnt_dscnt 0x801
	v_mul_f64_e32 v[155:156], v[143:144], v[141:142]
	v_mul_f64_e32 v[141:142], v[145:146], v[141:142]
	scratch_load_b128 v[34:37], off, off offset:576
	s_wait_loadcnt_dscnt 0x800
	v_mul_f64_e32 v[161:162], v[2:3], v[40:41]
	v_mul_f64_e32 v[40:41], v[4:5], v[40:41]
	v_add_f64_e32 v[153:154], v[153:154], v[147:148]
	v_add_f64_e32 v[151:152], v[151:152], v[149:150]
	ds_load_b128 v[147:150], v1 offset:1184
	v_fma_f64 v[145:146], v[145:146], v[139:140], v[155:156]
	v_fma_f64 v[143:144], v[143:144], v[139:140], -v[141:142]
	scratch_load_b128 v[139:142], off, off offset:592
	v_add_f64_e32 v[153:154], v[153:154], v[159:160]
	v_add_f64_e32 v[151:152], v[151:152], v[157:158]
	v_fma_f64 v[157:158], v[4:5], v[38:39], v[161:162]
	;; [unrolled: 18-line block ×6, first 2 shown]
	v_fma_f64 v[161:162], v[2:3], v[34:35], -v[36:37]
	ds_load_b128 v[2:5], v1 offset:1328
	s_wait_loadcnt_dscnt 0x801
	v_mul_f64_e32 v[155:156], v[147:148], v[141:142]
	v_mul_f64_e32 v[157:158], v[149:150], v[141:142]
	scratch_load_b128 v[34:37], off, off offset:736
	v_add_f64_e32 v[153:154], v[153:154], v[143:144]
	v_add_f64_e32 v[145:146], v[151:152], v[145:146]
	s_wait_loadcnt_dscnt 0x800
	v_mul_f64_e32 v[151:152], v[2:3], v[40:41]
	v_mul_f64_e32 v[40:41], v[4:5], v[40:41]
	ds_load_b128 v[141:144], v1 offset:1344
	v_fma_f64 v[149:150], v[149:150], v[139:140], v[155:156]
	v_fma_f64 v[139:140], v[147:148], v[139:140], -v[157:158]
	v_add_f64_e32 v[147:148], v[153:154], v[161:162]
	v_add_f64_e32 v[145:146], v[145:146], v[159:160]
	s_wait_loadcnt_dscnt 0x700
	v_mul_f64_e32 v[153:154], v[141:142], v[8:9]
	v_mul_f64_e32 v[8:9], v[143:144], v[8:9]
	v_fma_f64 v[151:152], v[4:5], v[38:39], v[151:152]
	v_fma_f64 v[155:156], v[2:3], v[38:39], -v[40:41]
	ds_load_b128 v[2:5], v1 offset:1360
	ds_load_b128 v[38:41], v1 offset:1376
	v_add_f64_e32 v[139:140], v[147:148], v[139:140]
	v_add_f64_e32 v[145:146], v[145:146], v[149:150]
	s_wait_loadcnt_dscnt 0x601
	v_mul_f64_e32 v[147:148], v[2:3], v[12:13]
	v_mul_f64_e32 v[12:13], v[4:5], v[12:13]
	v_fma_f64 v[143:144], v[143:144], v[6:7], v[153:154]
	v_fma_f64 v[6:7], v[141:142], v[6:7], -v[8:9]
	s_wait_loadcnt_dscnt 0x500
	v_mul_f64_e32 v[141:142], v[38:39], v[16:17]
	v_mul_f64_e32 v[16:17], v[40:41], v[16:17]
	v_add_f64_e32 v[8:9], v[139:140], v[155:156]
	v_add_f64_e32 v[139:140], v[145:146], v[151:152]
	v_fma_f64 v[145:146], v[4:5], v[10:11], v[147:148]
	v_fma_f64 v[10:11], v[2:3], v[10:11], -v[12:13]
	v_fma_f64 v[40:41], v[40:41], v[14:15], v[141:142]
	v_fma_f64 v[14:15], v[38:39], v[14:15], -v[16:17]
	v_add_f64_e32 v[12:13], v[8:9], v[6:7]
	v_add_f64_e32 v[139:140], v[139:140], v[143:144]
	ds_load_b128 v[2:5], v1 offset:1392
	ds_load_b128 v[6:9], v1 offset:1408
	s_wait_loadcnt_dscnt 0x401
	v_mul_f64_e32 v[143:144], v[2:3], v[20:21]
	v_mul_f64_e32 v[20:21], v[4:5], v[20:21]
	s_wait_loadcnt_dscnt 0x300
	v_mul_f64_e32 v[16:17], v[6:7], v[24:25]
	v_mul_f64_e32 v[24:25], v[8:9], v[24:25]
	v_add_f64_e32 v[10:11], v[12:13], v[10:11]
	v_add_f64_e32 v[12:13], v[139:140], v[145:146]
	v_fma_f64 v[38:39], v[4:5], v[18:19], v[143:144]
	v_fma_f64 v[18:19], v[2:3], v[18:19], -v[20:21]
	v_fma_f64 v[8:9], v[8:9], v[22:23], v[16:17]
	v_fma_f64 v[6:7], v[6:7], v[22:23], -v[24:25]
	v_add_f64_e32 v[14:15], v[10:11], v[14:15]
	v_add_f64_e32 v[20:21], v[12:13], v[40:41]
	ds_load_b128 v[2:5], v1 offset:1424
	ds_load_b128 v[10:13], v1 offset:1440
	s_wait_loadcnt_dscnt 0x201
	v_mul_f64_e32 v[40:41], v[2:3], v[28:29]
	v_mul_f64_e32 v[28:29], v[4:5], v[28:29]
	v_add_f64_e32 v[14:15], v[14:15], v[18:19]
	v_add_f64_e32 v[16:17], v[20:21], v[38:39]
	s_wait_loadcnt_dscnt 0x100
	v_mul_f64_e32 v[18:19], v[10:11], v[32:33]
	v_mul_f64_e32 v[20:21], v[12:13], v[32:33]
	v_fma_f64 v[22:23], v[4:5], v[26:27], v[40:41]
	v_fma_f64 v[24:25], v[2:3], v[26:27], -v[28:29]
	ds_load_b128 v[2:5], v1 offset:1456
	v_add_f64_e32 v[6:7], v[14:15], v[6:7]
	v_add_f64_e32 v[8:9], v[16:17], v[8:9]
	v_fma_f64 v[12:13], v[12:13], v[30:31], v[18:19]
	v_fma_f64 v[10:11], v[10:11], v[30:31], -v[20:21]
	s_wait_loadcnt_dscnt 0x0
	v_mul_f64_e32 v[14:15], v[2:3], v[36:37]
	v_mul_f64_e32 v[16:17], v[4:5], v[36:37]
	v_add_f64_e32 v[6:7], v[6:7], v[24:25]
	v_add_f64_e32 v[8:9], v[8:9], v[22:23]
	s_delay_alu instid0(VALU_DEP_4) | instskip(NEXT) | instid1(VALU_DEP_4)
	v_fma_f64 v[4:5], v[4:5], v[34:35], v[14:15]
	v_fma_f64 v[2:3], v[2:3], v[34:35], -v[16:17]
	s_delay_alu instid0(VALU_DEP_4) | instskip(NEXT) | instid1(VALU_DEP_4)
	v_add_f64_e32 v[6:7], v[6:7], v[10:11]
	v_add_f64_e32 v[8:9], v[8:9], v[12:13]
	s_delay_alu instid0(VALU_DEP_2) | instskip(NEXT) | instid1(VALU_DEP_2)
	v_add_f64_e32 v[2:3], v[6:7], v[2:3]
	v_add_f64_e32 v[4:5], v[8:9], v[4:5]
	s_delay_alu instid0(VALU_DEP_2) | instskip(NEXT) | instid1(VALU_DEP_2)
	v_add_f64_e64 v[2:3], v[42:43], -v[2:3]
	v_add_f64_e64 v[4:5], v[44:45], -v[4:5]
	scratch_store_b128 off, v[2:5], off offset:112
	v_cmpx_lt_u32_e32 5, v0
	s_cbranch_execz .LBB109_279
; %bb.278:
	scratch_load_b128 v[5:8], off, s54
	v_dual_mov_b32 v2, v1 :: v_dual_mov_b32 v3, v1
	v_mov_b32_e32 v4, v1
	scratch_store_b128 off, v[1:4], off offset:96
	s_wait_loadcnt 0x0
	ds_store_b128 v138, v[5:8]
.LBB109_279:
	s_wait_alu 0xfffe
	s_or_b32 exec_lo, exec_lo, s0
	s_wait_storecnt_dscnt 0x0
	s_barrier_signal -1
	s_barrier_wait -1
	global_inv scope:SCOPE_SE
	s_clause 0x8
	scratch_load_b128 v[2:5], off, off offset:112
	scratch_load_b128 v[6:9], off, off offset:128
	;; [unrolled: 1-line block ×9, first 2 shown]
	ds_load_b128 v[42:45], v1 offset:832
	ds_load_b128 v[38:41], v1 offset:848
	s_clause 0x1
	scratch_load_b128 v[139:142], off, off offset:96
	scratch_load_b128 v[143:146], off, off offset:256
	s_mov_b32 s0, exec_lo
	s_wait_loadcnt_dscnt 0xa01
	v_mul_f64_e32 v[147:148], v[44:45], v[4:5]
	v_mul_f64_e32 v[4:5], v[42:43], v[4:5]
	s_wait_loadcnt_dscnt 0x900
	v_mul_f64_e32 v[151:152], v[38:39], v[8:9]
	v_mul_f64_e32 v[8:9], v[40:41], v[8:9]
	s_delay_alu instid0(VALU_DEP_4) | instskip(NEXT) | instid1(VALU_DEP_4)
	v_fma_f64 v[153:154], v[42:43], v[2:3], -v[147:148]
	v_fma_f64 v[155:156], v[44:45], v[2:3], v[4:5]
	ds_load_b128 v[2:5], v1 offset:864
	ds_load_b128 v[147:150], v1 offset:880
	scratch_load_b128 v[42:45], off, off offset:272
	v_fma_f64 v[40:41], v[40:41], v[6:7], v[151:152]
	v_fma_f64 v[38:39], v[38:39], v[6:7], -v[8:9]
	scratch_load_b128 v[6:9], off, off offset:288
	s_wait_loadcnt_dscnt 0xa01
	v_mul_f64_e32 v[157:158], v[2:3], v[12:13]
	v_mul_f64_e32 v[12:13], v[4:5], v[12:13]
	v_add_f64_e32 v[151:152], 0, v[153:154]
	v_add_f64_e32 v[153:154], 0, v[155:156]
	s_wait_loadcnt_dscnt 0x900
	v_mul_f64_e32 v[155:156], v[147:148], v[16:17]
	v_mul_f64_e32 v[16:17], v[149:150], v[16:17]
	v_fma_f64 v[157:158], v[4:5], v[10:11], v[157:158]
	v_fma_f64 v[159:160], v[2:3], v[10:11], -v[12:13]
	ds_load_b128 v[2:5], v1 offset:896
	scratch_load_b128 v[10:13], off, off offset:304
	v_add_f64_e32 v[151:152], v[151:152], v[38:39]
	v_add_f64_e32 v[153:154], v[153:154], v[40:41]
	ds_load_b128 v[38:41], v1 offset:912
	v_fma_f64 v[149:150], v[149:150], v[14:15], v[155:156]
	v_fma_f64 v[147:148], v[147:148], v[14:15], -v[16:17]
	scratch_load_b128 v[14:17], off, off offset:320
	s_wait_loadcnt_dscnt 0xa01
	v_mul_f64_e32 v[161:162], v[2:3], v[20:21]
	v_mul_f64_e32 v[20:21], v[4:5], v[20:21]
	s_wait_loadcnt_dscnt 0x900
	v_mul_f64_e32 v[155:156], v[38:39], v[24:25]
	v_mul_f64_e32 v[24:25], v[40:41], v[24:25]
	v_add_f64_e32 v[151:152], v[151:152], v[159:160]
	v_add_f64_e32 v[153:154], v[153:154], v[157:158]
	v_fma_f64 v[157:158], v[4:5], v[18:19], v[161:162]
	v_fma_f64 v[159:160], v[2:3], v[18:19], -v[20:21]
	ds_load_b128 v[2:5], v1 offset:928
	scratch_load_b128 v[18:21], off, off offset:336
	v_fma_f64 v[40:41], v[40:41], v[22:23], v[155:156]
	v_fma_f64 v[38:39], v[38:39], v[22:23], -v[24:25]
	scratch_load_b128 v[22:25], off, off offset:352
	v_add_f64_e32 v[151:152], v[151:152], v[147:148]
	v_add_f64_e32 v[153:154], v[153:154], v[149:150]
	ds_load_b128 v[147:150], v1 offset:944
	s_wait_loadcnt_dscnt 0xa01
	v_mul_f64_e32 v[161:162], v[2:3], v[28:29]
	v_mul_f64_e32 v[28:29], v[4:5], v[28:29]
	s_wait_loadcnt_dscnt 0x900
	v_mul_f64_e32 v[155:156], v[147:148], v[32:33]
	v_mul_f64_e32 v[32:33], v[149:150], v[32:33]
	v_add_f64_e32 v[151:152], v[151:152], v[159:160]
	v_add_f64_e32 v[153:154], v[153:154], v[157:158]
	v_fma_f64 v[157:158], v[4:5], v[26:27], v[161:162]
	v_fma_f64 v[159:160], v[2:3], v[26:27], -v[28:29]
	ds_load_b128 v[2:5], v1 offset:960
	scratch_load_b128 v[26:29], off, off offset:368
	v_fma_f64 v[149:150], v[149:150], v[30:31], v[155:156]
	v_fma_f64 v[147:148], v[147:148], v[30:31], -v[32:33]
	scratch_load_b128 v[30:33], off, off offset:384
	v_add_f64_e32 v[151:152], v[151:152], v[38:39]
	v_add_f64_e32 v[153:154], v[153:154], v[40:41]
	ds_load_b128 v[38:41], v1 offset:976
	s_wait_loadcnt_dscnt 0xa01
	v_mul_f64_e32 v[161:162], v[2:3], v[36:37]
	v_mul_f64_e32 v[36:37], v[4:5], v[36:37]
	s_wait_loadcnt_dscnt 0x800
	v_mul_f64_e32 v[155:156], v[38:39], v[145:146]
	v_add_f64_e32 v[151:152], v[151:152], v[159:160]
	v_add_f64_e32 v[153:154], v[153:154], v[157:158]
	v_mul_f64_e32 v[157:158], v[40:41], v[145:146]
	v_fma_f64 v[159:160], v[4:5], v[34:35], v[161:162]
	v_fma_f64 v[161:162], v[2:3], v[34:35], -v[36:37]
	ds_load_b128 v[2:5], v1 offset:992
	scratch_load_b128 v[34:37], off, off offset:400
	v_fma_f64 v[155:156], v[40:41], v[143:144], v[155:156]
	v_add_f64_e32 v[151:152], v[151:152], v[147:148]
	v_add_f64_e32 v[149:150], v[153:154], v[149:150]
	ds_load_b128 v[145:148], v1 offset:1008
	v_fma_f64 v[143:144], v[38:39], v[143:144], -v[157:158]
	scratch_load_b128 v[38:41], off, off offset:416
	s_wait_loadcnt_dscnt 0x901
	v_mul_f64_e32 v[153:154], v[2:3], v[44:45]
	v_mul_f64_e32 v[44:45], v[4:5], v[44:45]
	s_wait_loadcnt_dscnt 0x800
	v_mul_f64_e32 v[157:158], v[145:146], v[8:9]
	v_mul_f64_e32 v[8:9], v[147:148], v[8:9]
	v_add_f64_e32 v[151:152], v[151:152], v[161:162]
	v_add_f64_e32 v[149:150], v[149:150], v[159:160]
	v_fma_f64 v[153:154], v[4:5], v[42:43], v[153:154]
	v_fma_f64 v[159:160], v[2:3], v[42:43], -v[44:45]
	ds_load_b128 v[2:5], v1 offset:1024
	scratch_load_b128 v[42:45], off, off offset:432
	v_fma_f64 v[147:148], v[147:148], v[6:7], v[157:158]
	v_fma_f64 v[145:146], v[145:146], v[6:7], -v[8:9]
	scratch_load_b128 v[6:9], off, off offset:448
	v_add_f64_e32 v[143:144], v[151:152], v[143:144]
	v_add_f64_e32 v[155:156], v[149:150], v[155:156]
	ds_load_b128 v[149:152], v1 offset:1040
	s_wait_loadcnt_dscnt 0x901
	v_mul_f64_e32 v[161:162], v[2:3], v[12:13]
	v_mul_f64_e32 v[12:13], v[4:5], v[12:13]
	v_add_f64_e32 v[143:144], v[143:144], v[159:160]
	v_add_f64_e32 v[153:154], v[155:156], v[153:154]
	s_wait_loadcnt_dscnt 0x800
	v_mul_f64_e32 v[155:156], v[149:150], v[16:17]
	v_mul_f64_e32 v[16:17], v[151:152], v[16:17]
	v_fma_f64 v[157:158], v[4:5], v[10:11], v[161:162]
	v_fma_f64 v[159:160], v[2:3], v[10:11], -v[12:13]
	ds_load_b128 v[2:5], v1 offset:1056
	scratch_load_b128 v[10:13], off, off offset:464
	v_add_f64_e32 v[161:162], v[143:144], v[145:146]
	v_add_f64_e32 v[147:148], v[153:154], v[147:148]
	ds_load_b128 v[143:146], v1 offset:1072
	s_wait_loadcnt_dscnt 0x801
	v_mul_f64_e32 v[153:154], v[2:3], v[20:21]
	v_mul_f64_e32 v[20:21], v[4:5], v[20:21]
	v_fma_f64 v[151:152], v[151:152], v[14:15], v[155:156]
	v_fma_f64 v[149:150], v[149:150], v[14:15], -v[16:17]
	scratch_load_b128 v[14:17], off, off offset:480
	v_add_f64_e32 v[155:156], v[161:162], v[159:160]
	v_add_f64_e32 v[147:148], v[147:148], v[157:158]
	s_wait_loadcnt_dscnt 0x800
	v_mul_f64_e32 v[157:158], v[143:144], v[24:25]
	v_mul_f64_e32 v[24:25], v[145:146], v[24:25]
	v_fma_f64 v[153:154], v[4:5], v[18:19], v[153:154]
	v_fma_f64 v[159:160], v[2:3], v[18:19], -v[20:21]
	ds_load_b128 v[2:5], v1 offset:1088
	scratch_load_b128 v[18:21], off, off offset:496
	v_add_f64_e32 v[155:156], v[155:156], v[149:150]
	v_add_f64_e32 v[151:152], v[147:148], v[151:152]
	ds_load_b128 v[147:150], v1 offset:1104
	s_wait_loadcnt_dscnt 0x801
	v_mul_f64_e32 v[161:162], v[2:3], v[28:29]
	v_mul_f64_e32 v[28:29], v[4:5], v[28:29]
	v_fma_f64 v[145:146], v[145:146], v[22:23], v[157:158]
	v_fma_f64 v[143:144], v[143:144], v[22:23], -v[24:25]
	scratch_load_b128 v[22:25], off, off offset:512
	;; [unrolled: 18-line block ×4, first 2 shown]
	s_wait_loadcnt_dscnt 0x800
	v_mul_f64_e32 v[155:156], v[147:148], v[8:9]
	v_mul_f64_e32 v[8:9], v[149:150], v[8:9]
	v_add_f64_e32 v[153:154], v[153:154], v[159:160]
	v_add_f64_e32 v[151:152], v[151:152], v[157:158]
	v_fma_f64 v[157:158], v[4:5], v[42:43], v[161:162]
	v_fma_f64 v[159:160], v[2:3], v[42:43], -v[44:45]
	ds_load_b128 v[2:5], v1 offset:1184
	scratch_load_b128 v[42:45], off, off offset:592
	v_fma_f64 v[149:150], v[149:150], v[6:7], v[155:156]
	v_fma_f64 v[147:148], v[147:148], v[6:7], -v[8:9]
	scratch_load_b128 v[6:9], off, off offset:608
	v_add_f64_e32 v[153:154], v[153:154], v[143:144]
	v_add_f64_e32 v[151:152], v[151:152], v[145:146]
	ds_load_b128 v[143:146], v1 offset:1200
	s_wait_loadcnt_dscnt 0x901
	v_mul_f64_e32 v[161:162], v[2:3], v[12:13]
	v_mul_f64_e32 v[12:13], v[4:5], v[12:13]
	s_wait_loadcnt_dscnt 0x800
	v_mul_f64_e32 v[155:156], v[143:144], v[16:17]
	v_mul_f64_e32 v[16:17], v[145:146], v[16:17]
	v_add_f64_e32 v[153:154], v[153:154], v[159:160]
	v_add_f64_e32 v[151:152], v[151:152], v[157:158]
	v_fma_f64 v[157:158], v[4:5], v[10:11], v[161:162]
	v_fma_f64 v[159:160], v[2:3], v[10:11], -v[12:13]
	ds_load_b128 v[2:5], v1 offset:1216
	scratch_load_b128 v[10:13], off, off offset:624
	v_fma_f64 v[145:146], v[145:146], v[14:15], v[155:156]
	v_fma_f64 v[143:144], v[143:144], v[14:15], -v[16:17]
	scratch_load_b128 v[14:17], off, off offset:640
	v_add_f64_e32 v[153:154], v[153:154], v[147:148]
	v_add_f64_e32 v[151:152], v[151:152], v[149:150]
	ds_load_b128 v[147:150], v1 offset:1232
	s_wait_loadcnt_dscnt 0x901
	v_mul_f64_e32 v[161:162], v[2:3], v[20:21]
	v_mul_f64_e32 v[20:21], v[4:5], v[20:21]
	s_wait_loadcnt_dscnt 0x800
	v_mul_f64_e32 v[155:156], v[147:148], v[24:25]
	v_mul_f64_e32 v[24:25], v[149:150], v[24:25]
	v_add_f64_e32 v[153:154], v[153:154], v[159:160]
	v_add_f64_e32 v[151:152], v[151:152], v[157:158]
	v_fma_f64 v[157:158], v[4:5], v[18:19], v[161:162]
	v_fma_f64 v[159:160], v[2:3], v[18:19], -v[20:21]
	ds_load_b128 v[2:5], v1 offset:1248
	scratch_load_b128 v[18:21], off, off offset:656
	v_fma_f64 v[149:150], v[149:150], v[22:23], v[155:156]
	v_fma_f64 v[147:148], v[147:148], v[22:23], -v[24:25]
	scratch_load_b128 v[22:25], off, off offset:672
	v_add_f64_e32 v[153:154], v[153:154], v[143:144]
	v_add_f64_e32 v[151:152], v[151:152], v[145:146]
	ds_load_b128 v[143:146], v1 offset:1264
	s_wait_loadcnt_dscnt 0x901
	v_mul_f64_e32 v[161:162], v[2:3], v[28:29]
	v_mul_f64_e32 v[28:29], v[4:5], v[28:29]
	s_wait_loadcnt_dscnt 0x800
	v_mul_f64_e32 v[155:156], v[143:144], v[32:33]
	v_mul_f64_e32 v[32:33], v[145:146], v[32:33]
	v_add_f64_e32 v[153:154], v[153:154], v[159:160]
	v_add_f64_e32 v[151:152], v[151:152], v[157:158]
	v_fma_f64 v[157:158], v[4:5], v[26:27], v[161:162]
	v_fma_f64 v[159:160], v[2:3], v[26:27], -v[28:29]
	ds_load_b128 v[2:5], v1 offset:1280
	scratch_load_b128 v[26:29], off, off offset:688
	v_fma_f64 v[145:146], v[145:146], v[30:31], v[155:156]
	v_fma_f64 v[143:144], v[143:144], v[30:31], -v[32:33]
	scratch_load_b128 v[30:33], off, off offset:704
	v_add_f64_e32 v[153:154], v[153:154], v[147:148]
	v_add_f64_e32 v[151:152], v[151:152], v[149:150]
	ds_load_b128 v[147:150], v1 offset:1296
	s_wait_loadcnt_dscnt 0x901
	v_mul_f64_e32 v[161:162], v[2:3], v[36:37]
	v_mul_f64_e32 v[36:37], v[4:5], v[36:37]
	s_wait_loadcnt_dscnt 0x800
	v_mul_f64_e32 v[155:156], v[147:148], v[40:41]
	v_mul_f64_e32 v[40:41], v[149:150], v[40:41]
	v_add_f64_e32 v[153:154], v[153:154], v[159:160]
	v_add_f64_e32 v[151:152], v[151:152], v[157:158]
	v_fma_f64 v[157:158], v[4:5], v[34:35], v[161:162]
	v_fma_f64 v[159:160], v[2:3], v[34:35], -v[36:37]
	ds_load_b128 v[2:5], v1 offset:1312
	scratch_load_b128 v[34:37], off, off offset:720
	v_fma_f64 v[149:150], v[149:150], v[38:39], v[155:156]
	v_fma_f64 v[147:148], v[147:148], v[38:39], -v[40:41]
	scratch_load_b128 v[38:41], off, off offset:736
	v_add_f64_e32 v[153:154], v[153:154], v[143:144]
	v_add_f64_e32 v[151:152], v[151:152], v[145:146]
	ds_load_b128 v[143:146], v1 offset:1328
	s_wait_loadcnt_dscnt 0x901
	v_mul_f64_e32 v[161:162], v[2:3], v[44:45]
	v_mul_f64_e32 v[44:45], v[4:5], v[44:45]
	s_wait_loadcnt_dscnt 0x800
	v_mul_f64_e32 v[155:156], v[143:144], v[8:9]
	v_mul_f64_e32 v[8:9], v[145:146], v[8:9]
	v_add_f64_e32 v[153:154], v[153:154], v[159:160]
	v_add_f64_e32 v[151:152], v[151:152], v[157:158]
	v_fma_f64 v[157:158], v[4:5], v[42:43], v[161:162]
	v_fma_f64 v[159:160], v[2:3], v[42:43], -v[44:45]
	ds_load_b128 v[2:5], v1 offset:1344
	ds_load_b128 v[42:45], v1 offset:1360
	v_fma_f64 v[145:146], v[145:146], v[6:7], v[155:156]
	v_fma_f64 v[6:7], v[143:144], v[6:7], -v[8:9]
	v_add_f64_e32 v[147:148], v[153:154], v[147:148]
	v_add_f64_e32 v[149:150], v[151:152], v[149:150]
	s_wait_loadcnt_dscnt 0x701
	v_mul_f64_e32 v[151:152], v[2:3], v[12:13]
	v_mul_f64_e32 v[12:13], v[4:5], v[12:13]
	s_delay_alu instid0(VALU_DEP_4) | instskip(NEXT) | instid1(VALU_DEP_4)
	v_add_f64_e32 v[8:9], v[147:148], v[159:160]
	v_add_f64_e32 v[143:144], v[149:150], v[157:158]
	s_wait_loadcnt_dscnt 0x600
	v_mul_f64_e32 v[147:148], v[42:43], v[16:17]
	v_mul_f64_e32 v[16:17], v[44:45], v[16:17]
	v_fma_f64 v[149:150], v[4:5], v[10:11], v[151:152]
	v_fma_f64 v[10:11], v[2:3], v[10:11], -v[12:13]
	v_add_f64_e32 v[12:13], v[8:9], v[6:7]
	v_add_f64_e32 v[143:144], v[143:144], v[145:146]
	ds_load_b128 v[2:5], v1 offset:1376
	ds_load_b128 v[6:9], v1 offset:1392
	v_fma_f64 v[44:45], v[44:45], v[14:15], v[147:148]
	v_fma_f64 v[14:15], v[42:43], v[14:15], -v[16:17]
	s_wait_loadcnt_dscnt 0x501
	v_mul_f64_e32 v[145:146], v[2:3], v[20:21]
	v_mul_f64_e32 v[20:21], v[4:5], v[20:21]
	s_wait_loadcnt_dscnt 0x400
	v_mul_f64_e32 v[16:17], v[6:7], v[24:25]
	v_mul_f64_e32 v[24:25], v[8:9], v[24:25]
	v_add_f64_e32 v[10:11], v[12:13], v[10:11]
	v_add_f64_e32 v[12:13], v[143:144], v[149:150]
	v_fma_f64 v[42:43], v[4:5], v[18:19], v[145:146]
	v_fma_f64 v[18:19], v[2:3], v[18:19], -v[20:21]
	v_fma_f64 v[8:9], v[8:9], v[22:23], v[16:17]
	v_fma_f64 v[6:7], v[6:7], v[22:23], -v[24:25]
	v_add_f64_e32 v[14:15], v[10:11], v[14:15]
	v_add_f64_e32 v[20:21], v[12:13], v[44:45]
	ds_load_b128 v[2:5], v1 offset:1408
	ds_load_b128 v[10:13], v1 offset:1424
	s_wait_loadcnt_dscnt 0x301
	v_mul_f64_e32 v[44:45], v[2:3], v[28:29]
	v_mul_f64_e32 v[28:29], v[4:5], v[28:29]
	v_add_f64_e32 v[14:15], v[14:15], v[18:19]
	v_add_f64_e32 v[16:17], v[20:21], v[42:43]
	s_wait_loadcnt_dscnt 0x200
	v_mul_f64_e32 v[18:19], v[10:11], v[32:33]
	v_mul_f64_e32 v[20:21], v[12:13], v[32:33]
	v_fma_f64 v[22:23], v[4:5], v[26:27], v[44:45]
	v_fma_f64 v[24:25], v[2:3], v[26:27], -v[28:29]
	v_add_f64_e32 v[14:15], v[14:15], v[6:7]
	v_add_f64_e32 v[16:17], v[16:17], v[8:9]
	ds_load_b128 v[2:5], v1 offset:1440
	ds_load_b128 v[6:9], v1 offset:1456
	v_fma_f64 v[12:13], v[12:13], v[30:31], v[18:19]
	v_fma_f64 v[10:11], v[10:11], v[30:31], -v[20:21]
	s_wait_loadcnt_dscnt 0x101
	v_mul_f64_e32 v[26:27], v[2:3], v[36:37]
	v_mul_f64_e32 v[28:29], v[4:5], v[36:37]
	s_wait_loadcnt_dscnt 0x0
	v_mul_f64_e32 v[18:19], v[6:7], v[40:41]
	v_mul_f64_e32 v[20:21], v[8:9], v[40:41]
	v_add_f64_e32 v[14:15], v[14:15], v[24:25]
	v_add_f64_e32 v[16:17], v[16:17], v[22:23]
	v_fma_f64 v[4:5], v[4:5], v[34:35], v[26:27]
	v_fma_f64 v[1:2], v[2:3], v[34:35], -v[28:29]
	v_fma_f64 v[8:9], v[8:9], v[38:39], v[18:19]
	v_fma_f64 v[6:7], v[6:7], v[38:39], -v[20:21]
	v_add_f64_e32 v[10:11], v[14:15], v[10:11]
	v_add_f64_e32 v[12:13], v[16:17], v[12:13]
	s_delay_alu instid0(VALU_DEP_2) | instskip(NEXT) | instid1(VALU_DEP_2)
	v_add_f64_e32 v[1:2], v[10:11], v[1:2]
	v_add_f64_e32 v[3:4], v[12:13], v[4:5]
	s_delay_alu instid0(VALU_DEP_2) | instskip(NEXT) | instid1(VALU_DEP_2)
	;; [unrolled: 3-line block ×3, first 2 shown]
	v_add_f64_e64 v[1:2], v[139:140], -v[1:2]
	v_add_f64_e64 v[3:4], v[141:142], -v[3:4]
	scratch_store_b128 off, v[1:4], off offset:96
	v_cmpx_lt_u32_e32 4, v0
	s_cbranch_execz .LBB109_281
; %bb.280:
	scratch_load_b128 v[1:4], off, s4
	v_mov_b32_e32 v5, 0
	s_delay_alu instid0(VALU_DEP_1)
	v_dual_mov_b32 v6, v5 :: v_dual_mov_b32 v7, v5
	v_mov_b32_e32 v8, v5
	scratch_store_b128 off, v[5:8], off offset:80
	s_wait_loadcnt 0x0
	ds_store_b128 v138, v[1:4]
.LBB109_281:
	s_wait_alu 0xfffe
	s_or_b32 exec_lo, exec_lo, s0
	s_wait_storecnt_dscnt 0x0
	s_barrier_signal -1
	s_barrier_wait -1
	global_inv scope:SCOPE_SE
	s_clause 0x7
	scratch_load_b128 v[2:5], off, off offset:96
	scratch_load_b128 v[6:9], off, off offset:112
	;; [unrolled: 1-line block ×8, first 2 shown]
	v_mov_b32_e32 v1, 0
	s_mov_b32 s0, exec_lo
	ds_load_b128 v[38:41], v1 offset:816
	s_clause 0x1
	scratch_load_b128 v[34:37], off, off offset:224
	scratch_load_b128 v[42:45], off, off offset:80
	ds_load_b128 v[139:142], v1 offset:832
	scratch_load_b128 v[143:146], off, off offset:240
	s_wait_loadcnt_dscnt 0xa01
	v_mul_f64_e32 v[147:148], v[40:41], v[4:5]
	v_mul_f64_e32 v[4:5], v[38:39], v[4:5]
	s_delay_alu instid0(VALU_DEP_2) | instskip(NEXT) | instid1(VALU_DEP_2)
	v_fma_f64 v[153:154], v[38:39], v[2:3], -v[147:148]
	v_fma_f64 v[155:156], v[40:41], v[2:3], v[4:5]
	ds_load_b128 v[2:5], v1 offset:848
	s_wait_loadcnt_dscnt 0x901
	v_mul_f64_e32 v[151:152], v[139:140], v[8:9]
	v_mul_f64_e32 v[8:9], v[141:142], v[8:9]
	scratch_load_b128 v[38:41], off, off offset:256
	ds_load_b128 v[147:150], v1 offset:864
	s_wait_loadcnt_dscnt 0x901
	v_mul_f64_e32 v[157:158], v[2:3], v[12:13]
	v_mul_f64_e32 v[12:13], v[4:5], v[12:13]
	v_fma_f64 v[141:142], v[141:142], v[6:7], v[151:152]
	v_fma_f64 v[139:140], v[139:140], v[6:7], -v[8:9]
	v_add_f64_e32 v[151:152], 0, v[153:154]
	v_add_f64_e32 v[153:154], 0, v[155:156]
	scratch_load_b128 v[6:9], off, off offset:272
	v_fma_f64 v[157:158], v[4:5], v[10:11], v[157:158]
	v_fma_f64 v[159:160], v[2:3], v[10:11], -v[12:13]
	ds_load_b128 v[2:5], v1 offset:880
	s_wait_loadcnt_dscnt 0x901
	v_mul_f64_e32 v[155:156], v[147:148], v[16:17]
	v_mul_f64_e32 v[16:17], v[149:150], v[16:17]
	scratch_load_b128 v[10:13], off, off offset:288
	v_add_f64_e32 v[151:152], v[151:152], v[139:140]
	v_add_f64_e32 v[153:154], v[153:154], v[141:142]
	s_wait_loadcnt_dscnt 0x900
	v_mul_f64_e32 v[161:162], v[2:3], v[20:21]
	v_mul_f64_e32 v[20:21], v[4:5], v[20:21]
	ds_load_b128 v[139:142], v1 offset:896
	v_fma_f64 v[149:150], v[149:150], v[14:15], v[155:156]
	v_fma_f64 v[147:148], v[147:148], v[14:15], -v[16:17]
	scratch_load_b128 v[14:17], off, off offset:304
	v_add_f64_e32 v[151:152], v[151:152], v[159:160]
	v_add_f64_e32 v[153:154], v[153:154], v[157:158]
	v_fma_f64 v[157:158], v[4:5], v[18:19], v[161:162]
	v_fma_f64 v[159:160], v[2:3], v[18:19], -v[20:21]
	ds_load_b128 v[2:5], v1 offset:912
	s_wait_loadcnt_dscnt 0x901
	v_mul_f64_e32 v[155:156], v[139:140], v[24:25]
	v_mul_f64_e32 v[24:25], v[141:142], v[24:25]
	scratch_load_b128 v[18:21], off, off offset:320
	s_wait_loadcnt_dscnt 0x900
	v_mul_f64_e32 v[161:162], v[2:3], v[28:29]
	v_mul_f64_e32 v[28:29], v[4:5], v[28:29]
	v_add_f64_e32 v[151:152], v[151:152], v[147:148]
	v_add_f64_e32 v[153:154], v[153:154], v[149:150]
	ds_load_b128 v[147:150], v1 offset:928
	v_fma_f64 v[141:142], v[141:142], v[22:23], v[155:156]
	v_fma_f64 v[139:140], v[139:140], v[22:23], -v[24:25]
	scratch_load_b128 v[22:25], off, off offset:336
	v_add_f64_e32 v[151:152], v[151:152], v[159:160]
	v_add_f64_e32 v[153:154], v[153:154], v[157:158]
	v_fma_f64 v[157:158], v[4:5], v[26:27], v[161:162]
	v_fma_f64 v[159:160], v[2:3], v[26:27], -v[28:29]
	ds_load_b128 v[2:5], v1 offset:944
	s_wait_loadcnt_dscnt 0x901
	v_mul_f64_e32 v[155:156], v[147:148], v[32:33]
	v_mul_f64_e32 v[32:33], v[149:150], v[32:33]
	scratch_load_b128 v[26:29], off, off offset:352
	s_wait_loadcnt_dscnt 0x900
	v_mul_f64_e32 v[161:162], v[2:3], v[36:37]
	v_mul_f64_e32 v[36:37], v[4:5], v[36:37]
	v_add_f64_e32 v[151:152], v[151:152], v[139:140]
	v_add_f64_e32 v[153:154], v[153:154], v[141:142]
	ds_load_b128 v[139:142], v1 offset:960
	v_fma_f64 v[149:150], v[149:150], v[30:31], v[155:156]
	v_fma_f64 v[147:148], v[147:148], v[30:31], -v[32:33]
	scratch_load_b128 v[30:33], off, off offset:368
	v_add_f64_e32 v[151:152], v[151:152], v[159:160]
	v_add_f64_e32 v[153:154], v[153:154], v[157:158]
	v_fma_f64 v[159:160], v[4:5], v[34:35], v[161:162]
	v_fma_f64 v[161:162], v[2:3], v[34:35], -v[36:37]
	ds_load_b128 v[2:5], v1 offset:976
	s_wait_loadcnt_dscnt 0x801
	v_mul_f64_e32 v[155:156], v[139:140], v[145:146]
	v_mul_f64_e32 v[157:158], v[141:142], v[145:146]
	scratch_load_b128 v[34:37], off, off offset:384
	v_add_f64_e32 v[151:152], v[151:152], v[147:148]
	v_add_f64_e32 v[149:150], v[153:154], v[149:150]
	ds_load_b128 v[145:148], v1 offset:992
	v_fma_f64 v[155:156], v[141:142], v[143:144], v[155:156]
	v_fma_f64 v[143:144], v[139:140], v[143:144], -v[157:158]
	scratch_load_b128 v[139:142], off, off offset:400
	s_wait_loadcnt_dscnt 0x901
	v_mul_f64_e32 v[153:154], v[2:3], v[40:41]
	v_mul_f64_e32 v[40:41], v[4:5], v[40:41]
	v_add_f64_e32 v[151:152], v[151:152], v[161:162]
	v_add_f64_e32 v[149:150], v[149:150], v[159:160]
	s_delay_alu instid0(VALU_DEP_4) | instskip(NEXT) | instid1(VALU_DEP_4)
	v_fma_f64 v[153:154], v[4:5], v[38:39], v[153:154]
	v_fma_f64 v[159:160], v[2:3], v[38:39], -v[40:41]
	ds_load_b128 v[2:5], v1 offset:1008
	s_wait_loadcnt_dscnt 0x801
	v_mul_f64_e32 v[157:158], v[145:146], v[8:9]
	v_mul_f64_e32 v[8:9], v[147:148], v[8:9]
	scratch_load_b128 v[38:41], off, off offset:416
	s_wait_loadcnt_dscnt 0x800
	v_mul_f64_e32 v[161:162], v[2:3], v[12:13]
	v_add_f64_e32 v[143:144], v[151:152], v[143:144]
	v_add_f64_e32 v[155:156], v[149:150], v[155:156]
	v_mul_f64_e32 v[12:13], v[4:5], v[12:13]
	ds_load_b128 v[149:152], v1 offset:1024
	v_fma_f64 v[147:148], v[147:148], v[6:7], v[157:158]
	v_fma_f64 v[145:146], v[145:146], v[6:7], -v[8:9]
	scratch_load_b128 v[6:9], off, off offset:432
	v_fma_f64 v[157:158], v[4:5], v[10:11], v[161:162]
	v_add_f64_e32 v[143:144], v[143:144], v[159:160]
	v_add_f64_e32 v[153:154], v[155:156], v[153:154]
	v_fma_f64 v[159:160], v[2:3], v[10:11], -v[12:13]
	ds_load_b128 v[2:5], v1 offset:1040
	s_wait_loadcnt_dscnt 0x801
	v_mul_f64_e32 v[155:156], v[149:150], v[16:17]
	v_mul_f64_e32 v[16:17], v[151:152], v[16:17]
	scratch_load_b128 v[10:13], off, off offset:448
	v_add_f64_e32 v[161:162], v[143:144], v[145:146]
	v_add_f64_e32 v[147:148], v[153:154], v[147:148]
	s_wait_loadcnt_dscnt 0x800
	v_mul_f64_e32 v[153:154], v[2:3], v[20:21]
	v_mul_f64_e32 v[20:21], v[4:5], v[20:21]
	v_fma_f64 v[151:152], v[151:152], v[14:15], v[155:156]
	v_fma_f64 v[149:150], v[149:150], v[14:15], -v[16:17]
	ds_load_b128 v[143:146], v1 offset:1056
	scratch_load_b128 v[14:17], off, off offset:464
	v_add_f64_e32 v[155:156], v[161:162], v[159:160]
	v_add_f64_e32 v[147:148], v[147:148], v[157:158]
	v_fma_f64 v[153:154], v[4:5], v[18:19], v[153:154]
	v_fma_f64 v[159:160], v[2:3], v[18:19], -v[20:21]
	ds_load_b128 v[2:5], v1 offset:1072
	s_wait_loadcnt_dscnt 0x801
	v_mul_f64_e32 v[157:158], v[143:144], v[24:25]
	v_mul_f64_e32 v[24:25], v[145:146], v[24:25]
	scratch_load_b128 v[18:21], off, off offset:480
	s_wait_loadcnt_dscnt 0x800
	v_mul_f64_e32 v[161:162], v[2:3], v[28:29]
	v_mul_f64_e32 v[28:29], v[4:5], v[28:29]
	v_add_f64_e32 v[155:156], v[155:156], v[149:150]
	v_add_f64_e32 v[151:152], v[147:148], v[151:152]
	ds_load_b128 v[147:150], v1 offset:1088
	v_fma_f64 v[145:146], v[145:146], v[22:23], v[157:158]
	v_fma_f64 v[143:144], v[143:144], v[22:23], -v[24:25]
	scratch_load_b128 v[22:25], off, off offset:496
	v_fma_f64 v[157:158], v[4:5], v[26:27], v[161:162]
	v_add_f64_e32 v[155:156], v[155:156], v[159:160]
	v_add_f64_e32 v[151:152], v[151:152], v[153:154]
	v_fma_f64 v[159:160], v[2:3], v[26:27], -v[28:29]
	ds_load_b128 v[2:5], v1 offset:1104
	s_wait_loadcnt_dscnt 0x801
	v_mul_f64_e32 v[153:154], v[147:148], v[32:33]
	v_mul_f64_e32 v[32:33], v[149:150], v[32:33]
	scratch_load_b128 v[26:29], off, off offset:512
	s_wait_loadcnt_dscnt 0x800
	v_mul_f64_e32 v[161:162], v[2:3], v[36:37]
	v_mul_f64_e32 v[36:37], v[4:5], v[36:37]
	v_add_f64_e32 v[155:156], v[155:156], v[143:144]
	v_add_f64_e32 v[151:152], v[151:152], v[145:146]
	ds_load_b128 v[143:146], v1 offset:1120
	v_fma_f64 v[149:150], v[149:150], v[30:31], v[153:154]
	v_fma_f64 v[147:148], v[147:148], v[30:31], -v[32:33]
	scratch_load_b128 v[30:33], off, off offset:528
	v_add_f64_e32 v[153:154], v[155:156], v[159:160]
	v_add_f64_e32 v[151:152], v[151:152], v[157:158]
	v_fma_f64 v[157:158], v[4:5], v[34:35], v[161:162]
	v_fma_f64 v[159:160], v[2:3], v[34:35], -v[36:37]
	ds_load_b128 v[2:5], v1 offset:1136
	s_wait_loadcnt_dscnt 0x801
	v_mul_f64_e32 v[155:156], v[143:144], v[141:142]
	v_mul_f64_e32 v[141:142], v[145:146], v[141:142]
	scratch_load_b128 v[34:37], off, off offset:544
	s_wait_loadcnt_dscnt 0x800
	v_mul_f64_e32 v[161:162], v[2:3], v[40:41]
	v_mul_f64_e32 v[40:41], v[4:5], v[40:41]
	v_add_f64_e32 v[153:154], v[153:154], v[147:148]
	v_add_f64_e32 v[151:152], v[151:152], v[149:150]
	ds_load_b128 v[147:150], v1 offset:1152
	v_fma_f64 v[145:146], v[145:146], v[139:140], v[155:156]
	v_fma_f64 v[143:144], v[143:144], v[139:140], -v[141:142]
	scratch_load_b128 v[139:142], off, off offset:560
	v_add_f64_e32 v[153:154], v[153:154], v[159:160]
	v_add_f64_e32 v[151:152], v[151:152], v[157:158]
	v_fma_f64 v[157:158], v[4:5], v[38:39], v[161:162]
	;; [unrolled: 18-line block ×6, first 2 shown]
	v_fma_f64 v[161:162], v[2:3], v[34:35], -v[36:37]
	ds_load_b128 v[2:5], v1 offset:1296
	s_wait_loadcnt_dscnt 0x801
	v_mul_f64_e32 v[155:156], v[147:148], v[141:142]
	v_mul_f64_e32 v[157:158], v[149:150], v[141:142]
	scratch_load_b128 v[34:37], off, off offset:704
	v_add_f64_e32 v[153:154], v[153:154], v[143:144]
	v_add_f64_e32 v[145:146], v[151:152], v[145:146]
	s_wait_loadcnt_dscnt 0x800
	v_mul_f64_e32 v[151:152], v[2:3], v[40:41]
	v_mul_f64_e32 v[40:41], v[4:5], v[40:41]
	ds_load_b128 v[141:144], v1 offset:1312
	v_fma_f64 v[149:150], v[149:150], v[139:140], v[155:156]
	v_fma_f64 v[139:140], v[147:148], v[139:140], -v[157:158]
	v_add_f64_e32 v[153:154], v[153:154], v[161:162]
	v_add_f64_e32 v[155:156], v[145:146], v[159:160]
	scratch_load_b128 v[145:148], off, off offset:720
	v_fma_f64 v[159:160], v[4:5], v[38:39], v[151:152]
	v_fma_f64 v[161:162], v[2:3], v[38:39], -v[40:41]
	ds_load_b128 v[2:5], v1 offset:1328
	s_wait_loadcnt_dscnt 0x801
	v_mul_f64_e32 v[157:158], v[141:142], v[8:9]
	v_mul_f64_e32 v[8:9], v[143:144], v[8:9]
	scratch_load_b128 v[38:41], off, off offset:736
	v_add_f64_e32 v[139:140], v[153:154], v[139:140]
	v_add_f64_e32 v[153:154], v[155:156], v[149:150]
	s_wait_loadcnt_dscnt 0x800
	v_mul_f64_e32 v[155:156], v[2:3], v[12:13]
	v_mul_f64_e32 v[12:13], v[4:5], v[12:13]
	ds_load_b128 v[149:152], v1 offset:1344
	v_fma_f64 v[143:144], v[143:144], v[6:7], v[157:158]
	v_fma_f64 v[6:7], v[141:142], v[6:7], -v[8:9]
	s_wait_loadcnt_dscnt 0x700
	v_mul_f64_e32 v[141:142], v[149:150], v[16:17]
	v_mul_f64_e32 v[16:17], v[151:152], v[16:17]
	v_add_f64_e32 v[8:9], v[139:140], v[161:162]
	v_add_f64_e32 v[139:140], v[153:154], v[159:160]
	v_fma_f64 v[153:154], v[4:5], v[10:11], v[155:156]
	v_fma_f64 v[10:11], v[2:3], v[10:11], -v[12:13]
	v_fma_f64 v[141:142], v[151:152], v[14:15], v[141:142]
	v_fma_f64 v[14:15], v[149:150], v[14:15], -v[16:17]
	v_add_f64_e32 v[12:13], v[8:9], v[6:7]
	v_add_f64_e32 v[139:140], v[139:140], v[143:144]
	ds_load_b128 v[2:5], v1 offset:1360
	ds_load_b128 v[6:9], v1 offset:1376
	s_wait_loadcnt_dscnt 0x601
	v_mul_f64_e32 v[143:144], v[2:3], v[20:21]
	v_mul_f64_e32 v[20:21], v[4:5], v[20:21]
	s_wait_loadcnt_dscnt 0x500
	v_mul_f64_e32 v[16:17], v[6:7], v[24:25]
	v_mul_f64_e32 v[24:25], v[8:9], v[24:25]
	v_add_f64_e32 v[10:11], v[12:13], v[10:11]
	v_add_f64_e32 v[12:13], v[139:140], v[153:154]
	v_fma_f64 v[139:140], v[4:5], v[18:19], v[143:144]
	v_fma_f64 v[18:19], v[2:3], v[18:19], -v[20:21]
	v_fma_f64 v[8:9], v[8:9], v[22:23], v[16:17]
	v_fma_f64 v[6:7], v[6:7], v[22:23], -v[24:25]
	v_add_f64_e32 v[14:15], v[10:11], v[14:15]
	v_add_f64_e32 v[20:21], v[12:13], v[141:142]
	ds_load_b128 v[2:5], v1 offset:1392
	ds_load_b128 v[10:13], v1 offset:1408
	s_wait_loadcnt_dscnt 0x401
	v_mul_f64_e32 v[141:142], v[2:3], v[28:29]
	v_mul_f64_e32 v[28:29], v[4:5], v[28:29]
	v_add_f64_e32 v[14:15], v[14:15], v[18:19]
	v_add_f64_e32 v[16:17], v[20:21], v[139:140]
	s_wait_loadcnt_dscnt 0x300
	v_mul_f64_e32 v[18:19], v[10:11], v[32:33]
	v_mul_f64_e32 v[20:21], v[12:13], v[32:33]
	v_fma_f64 v[22:23], v[4:5], v[26:27], v[141:142]
	v_fma_f64 v[24:25], v[2:3], v[26:27], -v[28:29]
	v_add_f64_e32 v[14:15], v[14:15], v[6:7]
	v_add_f64_e32 v[16:17], v[16:17], v[8:9]
	ds_load_b128 v[2:5], v1 offset:1424
	ds_load_b128 v[6:9], v1 offset:1440
	v_fma_f64 v[12:13], v[12:13], v[30:31], v[18:19]
	v_fma_f64 v[10:11], v[10:11], v[30:31], -v[20:21]
	s_wait_loadcnt_dscnt 0x201
	v_mul_f64_e32 v[26:27], v[2:3], v[36:37]
	v_mul_f64_e32 v[28:29], v[4:5], v[36:37]
	v_add_f64_e32 v[14:15], v[14:15], v[24:25]
	v_add_f64_e32 v[16:17], v[16:17], v[22:23]
	s_wait_loadcnt_dscnt 0x100
	v_mul_f64_e32 v[18:19], v[6:7], v[147:148]
	v_mul_f64_e32 v[20:21], v[8:9], v[147:148]
	v_fma_f64 v[22:23], v[4:5], v[34:35], v[26:27]
	v_fma_f64 v[24:25], v[2:3], v[34:35], -v[28:29]
	ds_load_b128 v[2:5], v1 offset:1456
	v_add_f64_e32 v[10:11], v[14:15], v[10:11]
	v_add_f64_e32 v[12:13], v[16:17], v[12:13]
	s_wait_loadcnt_dscnt 0x0
	v_mul_f64_e32 v[14:15], v[2:3], v[40:41]
	v_mul_f64_e32 v[16:17], v[4:5], v[40:41]
	v_fma_f64 v[8:9], v[8:9], v[145:146], v[18:19]
	v_fma_f64 v[6:7], v[6:7], v[145:146], -v[20:21]
	v_add_f64_e32 v[10:11], v[10:11], v[24:25]
	v_add_f64_e32 v[12:13], v[12:13], v[22:23]
	v_fma_f64 v[4:5], v[4:5], v[38:39], v[14:15]
	v_fma_f64 v[2:3], v[2:3], v[38:39], -v[16:17]
	s_delay_alu instid0(VALU_DEP_4) | instskip(NEXT) | instid1(VALU_DEP_4)
	v_add_f64_e32 v[6:7], v[10:11], v[6:7]
	v_add_f64_e32 v[8:9], v[12:13], v[8:9]
	s_delay_alu instid0(VALU_DEP_2) | instskip(NEXT) | instid1(VALU_DEP_2)
	v_add_f64_e32 v[2:3], v[6:7], v[2:3]
	v_add_f64_e32 v[4:5], v[8:9], v[4:5]
	s_delay_alu instid0(VALU_DEP_2) | instskip(NEXT) | instid1(VALU_DEP_2)
	v_add_f64_e64 v[2:3], v[42:43], -v[2:3]
	v_add_f64_e64 v[4:5], v[44:45], -v[4:5]
	scratch_store_b128 off, v[2:5], off offset:80
	v_cmpx_lt_u32_e32 3, v0
	s_cbranch_execz .LBB109_283
; %bb.282:
	scratch_load_b128 v[5:8], off, s10
	v_dual_mov_b32 v2, v1 :: v_dual_mov_b32 v3, v1
	v_mov_b32_e32 v4, v1
	scratch_store_b128 off, v[1:4], off offset:64
	s_wait_loadcnt 0x0
	ds_store_b128 v138, v[5:8]
.LBB109_283:
	s_wait_alu 0xfffe
	s_or_b32 exec_lo, exec_lo, s0
	s_wait_storecnt_dscnt 0x0
	s_barrier_signal -1
	s_barrier_wait -1
	global_inv scope:SCOPE_SE
	s_clause 0x8
	scratch_load_b128 v[2:5], off, off offset:80
	scratch_load_b128 v[6:9], off, off offset:96
	;; [unrolled: 1-line block ×9, first 2 shown]
	ds_load_b128 v[42:45], v1 offset:800
	ds_load_b128 v[38:41], v1 offset:816
	s_clause 0x1
	scratch_load_b128 v[139:142], off, off offset:64
	scratch_load_b128 v[143:146], off, off offset:224
	s_mov_b32 s0, exec_lo
	s_wait_loadcnt_dscnt 0xa01
	v_mul_f64_e32 v[147:148], v[44:45], v[4:5]
	v_mul_f64_e32 v[4:5], v[42:43], v[4:5]
	s_wait_loadcnt_dscnt 0x900
	v_mul_f64_e32 v[151:152], v[38:39], v[8:9]
	v_mul_f64_e32 v[8:9], v[40:41], v[8:9]
	s_delay_alu instid0(VALU_DEP_4) | instskip(NEXT) | instid1(VALU_DEP_4)
	v_fma_f64 v[153:154], v[42:43], v[2:3], -v[147:148]
	v_fma_f64 v[155:156], v[44:45], v[2:3], v[4:5]
	ds_load_b128 v[2:5], v1 offset:832
	ds_load_b128 v[147:150], v1 offset:848
	scratch_load_b128 v[42:45], off, off offset:240
	v_fma_f64 v[40:41], v[40:41], v[6:7], v[151:152]
	v_fma_f64 v[38:39], v[38:39], v[6:7], -v[8:9]
	scratch_load_b128 v[6:9], off, off offset:256
	s_wait_loadcnt_dscnt 0xa01
	v_mul_f64_e32 v[157:158], v[2:3], v[12:13]
	v_mul_f64_e32 v[12:13], v[4:5], v[12:13]
	v_add_f64_e32 v[151:152], 0, v[153:154]
	v_add_f64_e32 v[153:154], 0, v[155:156]
	s_wait_loadcnt_dscnt 0x900
	v_mul_f64_e32 v[155:156], v[147:148], v[16:17]
	v_mul_f64_e32 v[16:17], v[149:150], v[16:17]
	v_fma_f64 v[157:158], v[4:5], v[10:11], v[157:158]
	v_fma_f64 v[159:160], v[2:3], v[10:11], -v[12:13]
	ds_load_b128 v[2:5], v1 offset:864
	scratch_load_b128 v[10:13], off, off offset:272
	v_add_f64_e32 v[151:152], v[151:152], v[38:39]
	v_add_f64_e32 v[153:154], v[153:154], v[40:41]
	ds_load_b128 v[38:41], v1 offset:880
	v_fma_f64 v[149:150], v[149:150], v[14:15], v[155:156]
	v_fma_f64 v[147:148], v[147:148], v[14:15], -v[16:17]
	scratch_load_b128 v[14:17], off, off offset:288
	s_wait_loadcnt_dscnt 0xa01
	v_mul_f64_e32 v[161:162], v[2:3], v[20:21]
	v_mul_f64_e32 v[20:21], v[4:5], v[20:21]
	s_wait_loadcnt_dscnt 0x900
	v_mul_f64_e32 v[155:156], v[38:39], v[24:25]
	v_mul_f64_e32 v[24:25], v[40:41], v[24:25]
	v_add_f64_e32 v[151:152], v[151:152], v[159:160]
	v_add_f64_e32 v[153:154], v[153:154], v[157:158]
	v_fma_f64 v[157:158], v[4:5], v[18:19], v[161:162]
	v_fma_f64 v[159:160], v[2:3], v[18:19], -v[20:21]
	ds_load_b128 v[2:5], v1 offset:896
	scratch_load_b128 v[18:21], off, off offset:304
	v_fma_f64 v[40:41], v[40:41], v[22:23], v[155:156]
	v_fma_f64 v[38:39], v[38:39], v[22:23], -v[24:25]
	scratch_load_b128 v[22:25], off, off offset:320
	v_add_f64_e32 v[151:152], v[151:152], v[147:148]
	v_add_f64_e32 v[153:154], v[153:154], v[149:150]
	ds_load_b128 v[147:150], v1 offset:912
	s_wait_loadcnt_dscnt 0xa01
	v_mul_f64_e32 v[161:162], v[2:3], v[28:29]
	v_mul_f64_e32 v[28:29], v[4:5], v[28:29]
	s_wait_loadcnt_dscnt 0x900
	v_mul_f64_e32 v[155:156], v[147:148], v[32:33]
	v_mul_f64_e32 v[32:33], v[149:150], v[32:33]
	v_add_f64_e32 v[151:152], v[151:152], v[159:160]
	v_add_f64_e32 v[153:154], v[153:154], v[157:158]
	v_fma_f64 v[157:158], v[4:5], v[26:27], v[161:162]
	v_fma_f64 v[159:160], v[2:3], v[26:27], -v[28:29]
	ds_load_b128 v[2:5], v1 offset:928
	scratch_load_b128 v[26:29], off, off offset:336
	v_fma_f64 v[149:150], v[149:150], v[30:31], v[155:156]
	v_fma_f64 v[147:148], v[147:148], v[30:31], -v[32:33]
	scratch_load_b128 v[30:33], off, off offset:352
	v_add_f64_e32 v[151:152], v[151:152], v[38:39]
	v_add_f64_e32 v[153:154], v[153:154], v[40:41]
	ds_load_b128 v[38:41], v1 offset:944
	s_wait_loadcnt_dscnt 0xa01
	v_mul_f64_e32 v[161:162], v[2:3], v[36:37]
	v_mul_f64_e32 v[36:37], v[4:5], v[36:37]
	s_wait_loadcnt_dscnt 0x800
	v_mul_f64_e32 v[155:156], v[38:39], v[145:146]
	v_add_f64_e32 v[151:152], v[151:152], v[159:160]
	v_add_f64_e32 v[153:154], v[153:154], v[157:158]
	v_mul_f64_e32 v[157:158], v[40:41], v[145:146]
	v_fma_f64 v[159:160], v[4:5], v[34:35], v[161:162]
	v_fma_f64 v[161:162], v[2:3], v[34:35], -v[36:37]
	ds_load_b128 v[2:5], v1 offset:960
	scratch_load_b128 v[34:37], off, off offset:368
	v_fma_f64 v[155:156], v[40:41], v[143:144], v[155:156]
	v_add_f64_e32 v[151:152], v[151:152], v[147:148]
	v_add_f64_e32 v[149:150], v[153:154], v[149:150]
	ds_load_b128 v[145:148], v1 offset:976
	v_fma_f64 v[143:144], v[38:39], v[143:144], -v[157:158]
	scratch_load_b128 v[38:41], off, off offset:384
	s_wait_loadcnt_dscnt 0x901
	v_mul_f64_e32 v[153:154], v[2:3], v[44:45]
	v_mul_f64_e32 v[44:45], v[4:5], v[44:45]
	s_wait_loadcnt_dscnt 0x800
	v_mul_f64_e32 v[157:158], v[145:146], v[8:9]
	v_mul_f64_e32 v[8:9], v[147:148], v[8:9]
	v_add_f64_e32 v[151:152], v[151:152], v[161:162]
	v_add_f64_e32 v[149:150], v[149:150], v[159:160]
	v_fma_f64 v[153:154], v[4:5], v[42:43], v[153:154]
	v_fma_f64 v[159:160], v[2:3], v[42:43], -v[44:45]
	ds_load_b128 v[2:5], v1 offset:992
	scratch_load_b128 v[42:45], off, off offset:400
	v_fma_f64 v[147:148], v[147:148], v[6:7], v[157:158]
	v_fma_f64 v[145:146], v[145:146], v[6:7], -v[8:9]
	scratch_load_b128 v[6:9], off, off offset:416
	v_add_f64_e32 v[143:144], v[151:152], v[143:144]
	v_add_f64_e32 v[155:156], v[149:150], v[155:156]
	ds_load_b128 v[149:152], v1 offset:1008
	s_wait_loadcnt_dscnt 0x901
	v_mul_f64_e32 v[161:162], v[2:3], v[12:13]
	v_mul_f64_e32 v[12:13], v[4:5], v[12:13]
	v_add_f64_e32 v[143:144], v[143:144], v[159:160]
	v_add_f64_e32 v[153:154], v[155:156], v[153:154]
	s_wait_loadcnt_dscnt 0x800
	v_mul_f64_e32 v[155:156], v[149:150], v[16:17]
	v_mul_f64_e32 v[16:17], v[151:152], v[16:17]
	v_fma_f64 v[157:158], v[4:5], v[10:11], v[161:162]
	v_fma_f64 v[159:160], v[2:3], v[10:11], -v[12:13]
	ds_load_b128 v[2:5], v1 offset:1024
	scratch_load_b128 v[10:13], off, off offset:432
	v_add_f64_e32 v[161:162], v[143:144], v[145:146]
	v_add_f64_e32 v[147:148], v[153:154], v[147:148]
	ds_load_b128 v[143:146], v1 offset:1040
	s_wait_loadcnt_dscnt 0x801
	v_mul_f64_e32 v[153:154], v[2:3], v[20:21]
	v_mul_f64_e32 v[20:21], v[4:5], v[20:21]
	v_fma_f64 v[151:152], v[151:152], v[14:15], v[155:156]
	v_fma_f64 v[149:150], v[149:150], v[14:15], -v[16:17]
	scratch_load_b128 v[14:17], off, off offset:448
	v_add_f64_e32 v[155:156], v[161:162], v[159:160]
	v_add_f64_e32 v[147:148], v[147:148], v[157:158]
	s_wait_loadcnt_dscnt 0x800
	v_mul_f64_e32 v[157:158], v[143:144], v[24:25]
	v_mul_f64_e32 v[24:25], v[145:146], v[24:25]
	v_fma_f64 v[153:154], v[4:5], v[18:19], v[153:154]
	v_fma_f64 v[159:160], v[2:3], v[18:19], -v[20:21]
	ds_load_b128 v[2:5], v1 offset:1056
	scratch_load_b128 v[18:21], off, off offset:464
	v_add_f64_e32 v[155:156], v[155:156], v[149:150]
	v_add_f64_e32 v[151:152], v[147:148], v[151:152]
	ds_load_b128 v[147:150], v1 offset:1072
	s_wait_loadcnt_dscnt 0x801
	v_mul_f64_e32 v[161:162], v[2:3], v[28:29]
	v_mul_f64_e32 v[28:29], v[4:5], v[28:29]
	v_fma_f64 v[145:146], v[145:146], v[22:23], v[157:158]
	v_fma_f64 v[143:144], v[143:144], v[22:23], -v[24:25]
	scratch_load_b128 v[22:25], off, off offset:480
	;; [unrolled: 18-line block ×4, first 2 shown]
	s_wait_loadcnt_dscnt 0x800
	v_mul_f64_e32 v[155:156], v[147:148], v[8:9]
	v_mul_f64_e32 v[8:9], v[149:150], v[8:9]
	v_add_f64_e32 v[153:154], v[153:154], v[159:160]
	v_add_f64_e32 v[151:152], v[151:152], v[157:158]
	v_fma_f64 v[157:158], v[4:5], v[42:43], v[161:162]
	v_fma_f64 v[159:160], v[2:3], v[42:43], -v[44:45]
	ds_load_b128 v[2:5], v1 offset:1152
	scratch_load_b128 v[42:45], off, off offset:560
	v_fma_f64 v[149:150], v[149:150], v[6:7], v[155:156]
	v_fma_f64 v[147:148], v[147:148], v[6:7], -v[8:9]
	scratch_load_b128 v[6:9], off, off offset:576
	v_add_f64_e32 v[153:154], v[153:154], v[143:144]
	v_add_f64_e32 v[151:152], v[151:152], v[145:146]
	ds_load_b128 v[143:146], v1 offset:1168
	s_wait_loadcnt_dscnt 0x901
	v_mul_f64_e32 v[161:162], v[2:3], v[12:13]
	v_mul_f64_e32 v[12:13], v[4:5], v[12:13]
	s_wait_loadcnt_dscnt 0x800
	v_mul_f64_e32 v[155:156], v[143:144], v[16:17]
	v_mul_f64_e32 v[16:17], v[145:146], v[16:17]
	v_add_f64_e32 v[153:154], v[153:154], v[159:160]
	v_add_f64_e32 v[151:152], v[151:152], v[157:158]
	v_fma_f64 v[157:158], v[4:5], v[10:11], v[161:162]
	v_fma_f64 v[159:160], v[2:3], v[10:11], -v[12:13]
	ds_load_b128 v[2:5], v1 offset:1184
	scratch_load_b128 v[10:13], off, off offset:592
	v_fma_f64 v[145:146], v[145:146], v[14:15], v[155:156]
	v_fma_f64 v[143:144], v[143:144], v[14:15], -v[16:17]
	scratch_load_b128 v[14:17], off, off offset:608
	v_add_f64_e32 v[153:154], v[153:154], v[147:148]
	v_add_f64_e32 v[151:152], v[151:152], v[149:150]
	ds_load_b128 v[147:150], v1 offset:1200
	s_wait_loadcnt_dscnt 0x901
	v_mul_f64_e32 v[161:162], v[2:3], v[20:21]
	v_mul_f64_e32 v[20:21], v[4:5], v[20:21]
	;; [unrolled: 18-line block ×6, first 2 shown]
	s_wait_loadcnt_dscnt 0x800
	v_mul_f64_e32 v[155:156], v[147:148], v[16:17]
	v_mul_f64_e32 v[16:17], v[149:150], v[16:17]
	v_add_f64_e32 v[153:154], v[153:154], v[159:160]
	v_add_f64_e32 v[151:152], v[151:152], v[157:158]
	v_fma_f64 v[157:158], v[4:5], v[10:11], v[161:162]
	v_fma_f64 v[159:160], v[2:3], v[10:11], -v[12:13]
	ds_load_b128 v[2:5], v1 offset:1344
	ds_load_b128 v[10:13], v1 offset:1360
	v_fma_f64 v[149:150], v[149:150], v[14:15], v[155:156]
	v_fma_f64 v[14:15], v[147:148], v[14:15], -v[16:17]
	v_add_f64_e32 v[143:144], v[153:154], v[143:144]
	v_add_f64_e32 v[145:146], v[151:152], v[145:146]
	s_wait_loadcnt_dscnt 0x701
	v_mul_f64_e32 v[151:152], v[2:3], v[20:21]
	v_mul_f64_e32 v[20:21], v[4:5], v[20:21]
	s_delay_alu instid0(VALU_DEP_4) | instskip(NEXT) | instid1(VALU_DEP_4)
	v_add_f64_e32 v[16:17], v[143:144], v[159:160]
	v_add_f64_e32 v[143:144], v[145:146], v[157:158]
	s_wait_loadcnt_dscnt 0x600
	v_mul_f64_e32 v[145:146], v[10:11], v[24:25]
	v_mul_f64_e32 v[24:25], v[12:13], v[24:25]
	v_fma_f64 v[147:148], v[4:5], v[18:19], v[151:152]
	v_fma_f64 v[18:19], v[2:3], v[18:19], -v[20:21]
	v_add_f64_e32 v[20:21], v[16:17], v[14:15]
	v_add_f64_e32 v[143:144], v[143:144], v[149:150]
	ds_load_b128 v[2:5], v1 offset:1376
	ds_load_b128 v[14:17], v1 offset:1392
	v_fma_f64 v[12:13], v[12:13], v[22:23], v[145:146]
	v_fma_f64 v[10:11], v[10:11], v[22:23], -v[24:25]
	s_wait_loadcnt_dscnt 0x501
	v_mul_f64_e32 v[149:150], v[2:3], v[28:29]
	v_mul_f64_e32 v[28:29], v[4:5], v[28:29]
	s_wait_loadcnt_dscnt 0x400
	v_mul_f64_e32 v[22:23], v[14:15], v[32:33]
	v_mul_f64_e32 v[24:25], v[16:17], v[32:33]
	v_add_f64_e32 v[18:19], v[20:21], v[18:19]
	v_add_f64_e32 v[20:21], v[143:144], v[147:148]
	v_fma_f64 v[32:33], v[4:5], v[26:27], v[149:150]
	v_fma_f64 v[26:27], v[2:3], v[26:27], -v[28:29]
	v_fma_f64 v[16:17], v[16:17], v[30:31], v[22:23]
	v_fma_f64 v[14:15], v[14:15], v[30:31], -v[24:25]
	v_add_f64_e32 v[18:19], v[18:19], v[10:11]
	v_add_f64_e32 v[20:21], v[20:21], v[12:13]
	ds_load_b128 v[2:5], v1 offset:1408
	ds_load_b128 v[10:13], v1 offset:1424
	s_wait_loadcnt_dscnt 0x301
	v_mul_f64_e32 v[28:29], v[2:3], v[36:37]
	v_mul_f64_e32 v[36:37], v[4:5], v[36:37]
	s_wait_loadcnt_dscnt 0x200
	v_mul_f64_e32 v[22:23], v[10:11], v[40:41]
	v_mul_f64_e32 v[24:25], v[12:13], v[40:41]
	v_add_f64_e32 v[18:19], v[18:19], v[26:27]
	v_add_f64_e32 v[20:21], v[20:21], v[32:33]
	v_fma_f64 v[26:27], v[4:5], v[34:35], v[28:29]
	v_fma_f64 v[28:29], v[2:3], v[34:35], -v[36:37]
	v_fma_f64 v[12:13], v[12:13], v[38:39], v[22:23]
	v_fma_f64 v[10:11], v[10:11], v[38:39], -v[24:25]
	v_add_f64_e32 v[18:19], v[18:19], v[14:15]
	v_add_f64_e32 v[20:21], v[20:21], v[16:17]
	ds_load_b128 v[2:5], v1 offset:1440
	ds_load_b128 v[14:17], v1 offset:1456
	s_wait_loadcnt_dscnt 0x101
	v_mul_f64_e32 v[30:31], v[2:3], v[44:45]
	v_mul_f64_e32 v[32:33], v[4:5], v[44:45]
	s_wait_loadcnt_dscnt 0x0
	v_mul_f64_e32 v[22:23], v[14:15], v[8:9]
	v_mul_f64_e32 v[8:9], v[16:17], v[8:9]
	v_add_f64_e32 v[18:19], v[18:19], v[28:29]
	v_add_f64_e32 v[20:21], v[20:21], v[26:27]
	v_fma_f64 v[4:5], v[4:5], v[42:43], v[30:31]
	v_fma_f64 v[1:2], v[2:3], v[42:43], -v[32:33]
	v_fma_f64 v[16:17], v[16:17], v[6:7], v[22:23]
	v_fma_f64 v[6:7], v[14:15], v[6:7], -v[8:9]
	v_add_f64_e32 v[10:11], v[18:19], v[10:11]
	v_add_f64_e32 v[12:13], v[20:21], v[12:13]
	s_delay_alu instid0(VALU_DEP_2) | instskip(NEXT) | instid1(VALU_DEP_2)
	v_add_f64_e32 v[1:2], v[10:11], v[1:2]
	v_add_f64_e32 v[3:4], v[12:13], v[4:5]
	s_delay_alu instid0(VALU_DEP_2) | instskip(NEXT) | instid1(VALU_DEP_2)
	;; [unrolled: 3-line block ×3, first 2 shown]
	v_add_f64_e64 v[1:2], v[139:140], -v[1:2]
	v_add_f64_e64 v[3:4], v[141:142], -v[3:4]
	scratch_store_b128 off, v[1:4], off offset:64
	v_cmpx_lt_u32_e32 2, v0
	s_cbranch_execz .LBB109_285
; %bb.284:
	scratch_load_b128 v[1:4], off, s13
	v_mov_b32_e32 v5, 0
	s_delay_alu instid0(VALU_DEP_1)
	v_dual_mov_b32 v6, v5 :: v_dual_mov_b32 v7, v5
	v_mov_b32_e32 v8, v5
	scratch_store_b128 off, v[5:8], off offset:48
	s_wait_loadcnt 0x0
	ds_store_b128 v138, v[1:4]
.LBB109_285:
	s_wait_alu 0xfffe
	s_or_b32 exec_lo, exec_lo, s0
	s_wait_storecnt_dscnt 0x0
	s_barrier_signal -1
	s_barrier_wait -1
	global_inv scope:SCOPE_SE
	s_clause 0x7
	scratch_load_b128 v[2:5], off, off offset:64
	scratch_load_b128 v[6:9], off, off offset:80
	;; [unrolled: 1-line block ×8, first 2 shown]
	v_mov_b32_e32 v1, 0
	s_mov_b32 s0, exec_lo
	ds_load_b128 v[38:41], v1 offset:784
	s_clause 0x1
	scratch_load_b128 v[34:37], off, off offset:192
	scratch_load_b128 v[42:45], off, off offset:48
	ds_load_b128 v[139:142], v1 offset:800
	scratch_load_b128 v[143:146], off, off offset:208
	s_wait_loadcnt_dscnt 0xa01
	v_mul_f64_e32 v[147:148], v[40:41], v[4:5]
	v_mul_f64_e32 v[4:5], v[38:39], v[4:5]
	s_delay_alu instid0(VALU_DEP_2) | instskip(NEXT) | instid1(VALU_DEP_2)
	v_fma_f64 v[153:154], v[38:39], v[2:3], -v[147:148]
	v_fma_f64 v[155:156], v[40:41], v[2:3], v[4:5]
	ds_load_b128 v[2:5], v1 offset:816
	s_wait_loadcnt_dscnt 0x901
	v_mul_f64_e32 v[151:152], v[139:140], v[8:9]
	v_mul_f64_e32 v[8:9], v[141:142], v[8:9]
	scratch_load_b128 v[38:41], off, off offset:224
	ds_load_b128 v[147:150], v1 offset:832
	s_wait_loadcnt_dscnt 0x901
	v_mul_f64_e32 v[157:158], v[2:3], v[12:13]
	v_mul_f64_e32 v[12:13], v[4:5], v[12:13]
	v_fma_f64 v[141:142], v[141:142], v[6:7], v[151:152]
	v_fma_f64 v[139:140], v[139:140], v[6:7], -v[8:9]
	v_add_f64_e32 v[151:152], 0, v[153:154]
	v_add_f64_e32 v[153:154], 0, v[155:156]
	scratch_load_b128 v[6:9], off, off offset:240
	v_fma_f64 v[157:158], v[4:5], v[10:11], v[157:158]
	v_fma_f64 v[159:160], v[2:3], v[10:11], -v[12:13]
	ds_load_b128 v[2:5], v1 offset:848
	s_wait_loadcnt_dscnt 0x901
	v_mul_f64_e32 v[155:156], v[147:148], v[16:17]
	v_mul_f64_e32 v[16:17], v[149:150], v[16:17]
	scratch_load_b128 v[10:13], off, off offset:256
	v_add_f64_e32 v[151:152], v[151:152], v[139:140]
	v_add_f64_e32 v[153:154], v[153:154], v[141:142]
	s_wait_loadcnt_dscnt 0x900
	v_mul_f64_e32 v[161:162], v[2:3], v[20:21]
	v_mul_f64_e32 v[20:21], v[4:5], v[20:21]
	ds_load_b128 v[139:142], v1 offset:864
	v_fma_f64 v[149:150], v[149:150], v[14:15], v[155:156]
	v_fma_f64 v[147:148], v[147:148], v[14:15], -v[16:17]
	scratch_load_b128 v[14:17], off, off offset:272
	v_add_f64_e32 v[151:152], v[151:152], v[159:160]
	v_add_f64_e32 v[153:154], v[153:154], v[157:158]
	v_fma_f64 v[157:158], v[4:5], v[18:19], v[161:162]
	v_fma_f64 v[159:160], v[2:3], v[18:19], -v[20:21]
	ds_load_b128 v[2:5], v1 offset:880
	s_wait_loadcnt_dscnt 0x901
	v_mul_f64_e32 v[155:156], v[139:140], v[24:25]
	v_mul_f64_e32 v[24:25], v[141:142], v[24:25]
	scratch_load_b128 v[18:21], off, off offset:288
	s_wait_loadcnt_dscnt 0x900
	v_mul_f64_e32 v[161:162], v[2:3], v[28:29]
	v_mul_f64_e32 v[28:29], v[4:5], v[28:29]
	v_add_f64_e32 v[151:152], v[151:152], v[147:148]
	v_add_f64_e32 v[153:154], v[153:154], v[149:150]
	ds_load_b128 v[147:150], v1 offset:896
	v_fma_f64 v[141:142], v[141:142], v[22:23], v[155:156]
	v_fma_f64 v[139:140], v[139:140], v[22:23], -v[24:25]
	scratch_load_b128 v[22:25], off, off offset:304
	v_add_f64_e32 v[151:152], v[151:152], v[159:160]
	v_add_f64_e32 v[153:154], v[153:154], v[157:158]
	v_fma_f64 v[157:158], v[4:5], v[26:27], v[161:162]
	v_fma_f64 v[159:160], v[2:3], v[26:27], -v[28:29]
	ds_load_b128 v[2:5], v1 offset:912
	s_wait_loadcnt_dscnt 0x901
	v_mul_f64_e32 v[155:156], v[147:148], v[32:33]
	v_mul_f64_e32 v[32:33], v[149:150], v[32:33]
	scratch_load_b128 v[26:29], off, off offset:320
	s_wait_loadcnt_dscnt 0x900
	v_mul_f64_e32 v[161:162], v[2:3], v[36:37]
	v_mul_f64_e32 v[36:37], v[4:5], v[36:37]
	v_add_f64_e32 v[151:152], v[151:152], v[139:140]
	v_add_f64_e32 v[153:154], v[153:154], v[141:142]
	ds_load_b128 v[139:142], v1 offset:928
	v_fma_f64 v[149:150], v[149:150], v[30:31], v[155:156]
	v_fma_f64 v[147:148], v[147:148], v[30:31], -v[32:33]
	scratch_load_b128 v[30:33], off, off offset:336
	v_add_f64_e32 v[151:152], v[151:152], v[159:160]
	v_add_f64_e32 v[153:154], v[153:154], v[157:158]
	v_fma_f64 v[159:160], v[4:5], v[34:35], v[161:162]
	v_fma_f64 v[161:162], v[2:3], v[34:35], -v[36:37]
	ds_load_b128 v[2:5], v1 offset:944
	s_wait_loadcnt_dscnt 0x801
	v_mul_f64_e32 v[155:156], v[139:140], v[145:146]
	v_mul_f64_e32 v[157:158], v[141:142], v[145:146]
	scratch_load_b128 v[34:37], off, off offset:352
	v_add_f64_e32 v[151:152], v[151:152], v[147:148]
	v_add_f64_e32 v[149:150], v[153:154], v[149:150]
	ds_load_b128 v[145:148], v1 offset:960
	v_fma_f64 v[155:156], v[141:142], v[143:144], v[155:156]
	v_fma_f64 v[143:144], v[139:140], v[143:144], -v[157:158]
	scratch_load_b128 v[139:142], off, off offset:368
	s_wait_loadcnt_dscnt 0x901
	v_mul_f64_e32 v[153:154], v[2:3], v[40:41]
	v_mul_f64_e32 v[40:41], v[4:5], v[40:41]
	v_add_f64_e32 v[151:152], v[151:152], v[161:162]
	v_add_f64_e32 v[149:150], v[149:150], v[159:160]
	s_delay_alu instid0(VALU_DEP_4) | instskip(NEXT) | instid1(VALU_DEP_4)
	v_fma_f64 v[153:154], v[4:5], v[38:39], v[153:154]
	v_fma_f64 v[159:160], v[2:3], v[38:39], -v[40:41]
	ds_load_b128 v[2:5], v1 offset:976
	s_wait_loadcnt_dscnt 0x801
	v_mul_f64_e32 v[157:158], v[145:146], v[8:9]
	v_mul_f64_e32 v[8:9], v[147:148], v[8:9]
	scratch_load_b128 v[38:41], off, off offset:384
	s_wait_loadcnt_dscnt 0x800
	v_mul_f64_e32 v[161:162], v[2:3], v[12:13]
	v_add_f64_e32 v[143:144], v[151:152], v[143:144]
	v_add_f64_e32 v[155:156], v[149:150], v[155:156]
	v_mul_f64_e32 v[12:13], v[4:5], v[12:13]
	ds_load_b128 v[149:152], v1 offset:992
	v_fma_f64 v[147:148], v[147:148], v[6:7], v[157:158]
	v_fma_f64 v[145:146], v[145:146], v[6:7], -v[8:9]
	scratch_load_b128 v[6:9], off, off offset:400
	v_fma_f64 v[157:158], v[4:5], v[10:11], v[161:162]
	v_add_f64_e32 v[143:144], v[143:144], v[159:160]
	v_add_f64_e32 v[153:154], v[155:156], v[153:154]
	v_fma_f64 v[159:160], v[2:3], v[10:11], -v[12:13]
	ds_load_b128 v[2:5], v1 offset:1008
	s_wait_loadcnt_dscnt 0x801
	v_mul_f64_e32 v[155:156], v[149:150], v[16:17]
	v_mul_f64_e32 v[16:17], v[151:152], v[16:17]
	scratch_load_b128 v[10:13], off, off offset:416
	v_add_f64_e32 v[161:162], v[143:144], v[145:146]
	v_add_f64_e32 v[147:148], v[153:154], v[147:148]
	s_wait_loadcnt_dscnt 0x800
	v_mul_f64_e32 v[153:154], v[2:3], v[20:21]
	v_mul_f64_e32 v[20:21], v[4:5], v[20:21]
	v_fma_f64 v[151:152], v[151:152], v[14:15], v[155:156]
	v_fma_f64 v[149:150], v[149:150], v[14:15], -v[16:17]
	ds_load_b128 v[143:146], v1 offset:1024
	scratch_load_b128 v[14:17], off, off offset:432
	v_add_f64_e32 v[155:156], v[161:162], v[159:160]
	v_add_f64_e32 v[147:148], v[147:148], v[157:158]
	v_fma_f64 v[153:154], v[4:5], v[18:19], v[153:154]
	v_fma_f64 v[159:160], v[2:3], v[18:19], -v[20:21]
	ds_load_b128 v[2:5], v1 offset:1040
	s_wait_loadcnt_dscnt 0x801
	v_mul_f64_e32 v[157:158], v[143:144], v[24:25]
	v_mul_f64_e32 v[24:25], v[145:146], v[24:25]
	scratch_load_b128 v[18:21], off, off offset:448
	s_wait_loadcnt_dscnt 0x800
	v_mul_f64_e32 v[161:162], v[2:3], v[28:29]
	v_mul_f64_e32 v[28:29], v[4:5], v[28:29]
	v_add_f64_e32 v[155:156], v[155:156], v[149:150]
	v_add_f64_e32 v[151:152], v[147:148], v[151:152]
	ds_load_b128 v[147:150], v1 offset:1056
	v_fma_f64 v[145:146], v[145:146], v[22:23], v[157:158]
	v_fma_f64 v[143:144], v[143:144], v[22:23], -v[24:25]
	scratch_load_b128 v[22:25], off, off offset:464
	v_fma_f64 v[157:158], v[4:5], v[26:27], v[161:162]
	v_add_f64_e32 v[155:156], v[155:156], v[159:160]
	v_add_f64_e32 v[151:152], v[151:152], v[153:154]
	v_fma_f64 v[159:160], v[2:3], v[26:27], -v[28:29]
	ds_load_b128 v[2:5], v1 offset:1072
	s_wait_loadcnt_dscnt 0x801
	v_mul_f64_e32 v[153:154], v[147:148], v[32:33]
	v_mul_f64_e32 v[32:33], v[149:150], v[32:33]
	scratch_load_b128 v[26:29], off, off offset:480
	s_wait_loadcnt_dscnt 0x800
	v_mul_f64_e32 v[161:162], v[2:3], v[36:37]
	v_mul_f64_e32 v[36:37], v[4:5], v[36:37]
	v_add_f64_e32 v[155:156], v[155:156], v[143:144]
	v_add_f64_e32 v[151:152], v[151:152], v[145:146]
	ds_load_b128 v[143:146], v1 offset:1088
	v_fma_f64 v[149:150], v[149:150], v[30:31], v[153:154]
	v_fma_f64 v[147:148], v[147:148], v[30:31], -v[32:33]
	scratch_load_b128 v[30:33], off, off offset:496
	v_add_f64_e32 v[153:154], v[155:156], v[159:160]
	v_add_f64_e32 v[151:152], v[151:152], v[157:158]
	v_fma_f64 v[157:158], v[4:5], v[34:35], v[161:162]
	v_fma_f64 v[159:160], v[2:3], v[34:35], -v[36:37]
	ds_load_b128 v[2:5], v1 offset:1104
	s_wait_loadcnt_dscnt 0x801
	v_mul_f64_e32 v[155:156], v[143:144], v[141:142]
	v_mul_f64_e32 v[141:142], v[145:146], v[141:142]
	scratch_load_b128 v[34:37], off, off offset:512
	s_wait_loadcnt_dscnt 0x800
	v_mul_f64_e32 v[161:162], v[2:3], v[40:41]
	v_mul_f64_e32 v[40:41], v[4:5], v[40:41]
	v_add_f64_e32 v[153:154], v[153:154], v[147:148]
	v_add_f64_e32 v[151:152], v[151:152], v[149:150]
	ds_load_b128 v[147:150], v1 offset:1120
	v_fma_f64 v[145:146], v[145:146], v[139:140], v[155:156]
	v_fma_f64 v[143:144], v[143:144], v[139:140], -v[141:142]
	scratch_load_b128 v[139:142], off, off offset:528
	v_add_f64_e32 v[153:154], v[153:154], v[159:160]
	v_add_f64_e32 v[151:152], v[151:152], v[157:158]
	v_fma_f64 v[157:158], v[4:5], v[38:39], v[161:162]
	;; [unrolled: 18-line block ×6, first 2 shown]
	v_fma_f64 v[161:162], v[2:3], v[34:35], -v[36:37]
	ds_load_b128 v[2:5], v1 offset:1264
	s_wait_loadcnt_dscnt 0x801
	v_mul_f64_e32 v[155:156], v[147:148], v[141:142]
	v_mul_f64_e32 v[157:158], v[149:150], v[141:142]
	scratch_load_b128 v[34:37], off, off offset:672
	v_add_f64_e32 v[153:154], v[153:154], v[143:144]
	v_add_f64_e32 v[145:146], v[151:152], v[145:146]
	s_wait_loadcnt_dscnt 0x800
	v_mul_f64_e32 v[151:152], v[2:3], v[40:41]
	v_mul_f64_e32 v[40:41], v[4:5], v[40:41]
	ds_load_b128 v[141:144], v1 offset:1280
	v_fma_f64 v[149:150], v[149:150], v[139:140], v[155:156]
	v_fma_f64 v[139:140], v[147:148], v[139:140], -v[157:158]
	v_add_f64_e32 v[153:154], v[153:154], v[161:162]
	v_add_f64_e32 v[155:156], v[145:146], v[159:160]
	scratch_load_b128 v[145:148], off, off offset:688
	v_fma_f64 v[159:160], v[4:5], v[38:39], v[151:152]
	v_fma_f64 v[161:162], v[2:3], v[38:39], -v[40:41]
	ds_load_b128 v[2:5], v1 offset:1296
	s_wait_loadcnt_dscnt 0x801
	v_mul_f64_e32 v[157:158], v[141:142], v[8:9]
	v_mul_f64_e32 v[8:9], v[143:144], v[8:9]
	scratch_load_b128 v[38:41], off, off offset:704
	v_add_f64_e32 v[139:140], v[153:154], v[139:140]
	v_add_f64_e32 v[153:154], v[155:156], v[149:150]
	s_wait_loadcnt_dscnt 0x800
	v_mul_f64_e32 v[155:156], v[2:3], v[12:13]
	v_mul_f64_e32 v[12:13], v[4:5], v[12:13]
	ds_load_b128 v[149:152], v1 offset:1312
	v_fma_f64 v[143:144], v[143:144], v[6:7], v[157:158]
	v_fma_f64 v[141:142], v[141:142], v[6:7], -v[8:9]
	scratch_load_b128 v[6:9], off, off offset:720
	v_add_f64_e32 v[139:140], v[139:140], v[161:162]
	v_add_f64_e32 v[153:154], v[153:154], v[159:160]
	v_fma_f64 v[155:156], v[4:5], v[10:11], v[155:156]
	v_fma_f64 v[159:160], v[2:3], v[10:11], -v[12:13]
	ds_load_b128 v[2:5], v1 offset:1328
	s_wait_loadcnt_dscnt 0x801
	v_mul_f64_e32 v[157:158], v[149:150], v[16:17]
	v_mul_f64_e32 v[16:17], v[151:152], v[16:17]
	scratch_load_b128 v[10:13], off, off offset:736
	v_add_f64_e32 v[161:162], v[139:140], v[141:142]
	v_add_f64_e32 v[143:144], v[153:154], v[143:144]
	s_wait_loadcnt_dscnt 0x800
	v_mul_f64_e32 v[153:154], v[2:3], v[20:21]
	v_mul_f64_e32 v[20:21], v[4:5], v[20:21]
	ds_load_b128 v[139:142], v1 offset:1344
	v_fma_f64 v[151:152], v[151:152], v[14:15], v[157:158]
	v_fma_f64 v[14:15], v[149:150], v[14:15], -v[16:17]
	s_wait_loadcnt_dscnt 0x700
	v_mul_f64_e32 v[149:150], v[139:140], v[24:25]
	v_mul_f64_e32 v[24:25], v[141:142], v[24:25]
	v_add_f64_e32 v[16:17], v[161:162], v[159:160]
	v_add_f64_e32 v[143:144], v[143:144], v[155:156]
	v_fma_f64 v[153:154], v[4:5], v[18:19], v[153:154]
	v_fma_f64 v[18:19], v[2:3], v[18:19], -v[20:21]
	v_fma_f64 v[141:142], v[141:142], v[22:23], v[149:150]
	v_fma_f64 v[22:23], v[139:140], v[22:23], -v[24:25]
	v_add_f64_e32 v[20:21], v[16:17], v[14:15]
	v_add_f64_e32 v[143:144], v[143:144], v[151:152]
	ds_load_b128 v[2:5], v1 offset:1360
	ds_load_b128 v[14:17], v1 offset:1376
	s_wait_loadcnt_dscnt 0x601
	v_mul_f64_e32 v[151:152], v[2:3], v[28:29]
	v_mul_f64_e32 v[28:29], v[4:5], v[28:29]
	s_wait_loadcnt_dscnt 0x500
	v_mul_f64_e32 v[24:25], v[14:15], v[32:33]
	v_mul_f64_e32 v[32:33], v[16:17], v[32:33]
	v_add_f64_e32 v[18:19], v[20:21], v[18:19]
	v_add_f64_e32 v[20:21], v[143:144], v[153:154]
	v_fma_f64 v[139:140], v[4:5], v[26:27], v[151:152]
	v_fma_f64 v[26:27], v[2:3], v[26:27], -v[28:29]
	v_fma_f64 v[16:17], v[16:17], v[30:31], v[24:25]
	v_fma_f64 v[14:15], v[14:15], v[30:31], -v[32:33]
	v_add_f64_e32 v[22:23], v[18:19], v[22:23]
	v_add_f64_e32 v[28:29], v[20:21], v[141:142]
	ds_load_b128 v[2:5], v1 offset:1392
	ds_load_b128 v[18:21], v1 offset:1408
	s_wait_loadcnt_dscnt 0x401
	v_mul_f64_e32 v[141:142], v[2:3], v[36:37]
	v_mul_f64_e32 v[36:37], v[4:5], v[36:37]
	v_add_f64_e32 v[22:23], v[22:23], v[26:27]
	v_add_f64_e32 v[24:25], v[28:29], v[139:140]
	s_wait_loadcnt_dscnt 0x300
	v_mul_f64_e32 v[26:27], v[18:19], v[147:148]
	v_mul_f64_e32 v[28:29], v[20:21], v[147:148]
	v_fma_f64 v[30:31], v[4:5], v[34:35], v[141:142]
	v_fma_f64 v[32:33], v[2:3], v[34:35], -v[36:37]
	v_add_f64_e32 v[22:23], v[22:23], v[14:15]
	v_add_f64_e32 v[24:25], v[24:25], v[16:17]
	ds_load_b128 v[2:5], v1 offset:1424
	ds_load_b128 v[14:17], v1 offset:1440
	v_fma_f64 v[20:21], v[20:21], v[145:146], v[26:27]
	v_fma_f64 v[18:19], v[18:19], v[145:146], -v[28:29]
	s_wait_loadcnt_dscnt 0x201
	v_mul_f64_e32 v[34:35], v[2:3], v[40:41]
	v_mul_f64_e32 v[36:37], v[4:5], v[40:41]
	s_wait_loadcnt_dscnt 0x100
	v_mul_f64_e32 v[26:27], v[14:15], v[8:9]
	v_mul_f64_e32 v[8:9], v[16:17], v[8:9]
	v_add_f64_e32 v[22:23], v[22:23], v[32:33]
	v_add_f64_e32 v[24:25], v[24:25], v[30:31]
	v_fma_f64 v[28:29], v[4:5], v[38:39], v[34:35]
	v_fma_f64 v[30:31], v[2:3], v[38:39], -v[36:37]
	ds_load_b128 v[2:5], v1 offset:1456
	v_fma_f64 v[16:17], v[16:17], v[6:7], v[26:27]
	v_fma_f64 v[6:7], v[14:15], v[6:7], -v[8:9]
	v_add_f64_e32 v[18:19], v[22:23], v[18:19]
	v_add_f64_e32 v[20:21], v[24:25], v[20:21]
	s_wait_loadcnt_dscnt 0x0
	v_mul_f64_e32 v[22:23], v[2:3], v[12:13]
	v_mul_f64_e32 v[12:13], v[4:5], v[12:13]
	s_delay_alu instid0(VALU_DEP_4) | instskip(NEXT) | instid1(VALU_DEP_4)
	v_add_f64_e32 v[8:9], v[18:19], v[30:31]
	v_add_f64_e32 v[14:15], v[20:21], v[28:29]
	s_delay_alu instid0(VALU_DEP_4) | instskip(NEXT) | instid1(VALU_DEP_4)
	v_fma_f64 v[4:5], v[4:5], v[10:11], v[22:23]
	v_fma_f64 v[2:3], v[2:3], v[10:11], -v[12:13]
	s_delay_alu instid0(VALU_DEP_4) | instskip(NEXT) | instid1(VALU_DEP_4)
	v_add_f64_e32 v[6:7], v[8:9], v[6:7]
	v_add_f64_e32 v[8:9], v[14:15], v[16:17]
	s_delay_alu instid0(VALU_DEP_2) | instskip(NEXT) | instid1(VALU_DEP_2)
	v_add_f64_e32 v[2:3], v[6:7], v[2:3]
	v_add_f64_e32 v[4:5], v[8:9], v[4:5]
	s_delay_alu instid0(VALU_DEP_2) | instskip(NEXT) | instid1(VALU_DEP_2)
	v_add_f64_e64 v[2:3], v[42:43], -v[2:3]
	v_add_f64_e64 v[4:5], v[44:45], -v[4:5]
	scratch_store_b128 off, v[2:5], off offset:48
	v_cmpx_lt_u32_e32 1, v0
	s_cbranch_execz .LBB109_287
; %bb.286:
	scratch_load_b128 v[5:8], off, s15
	v_dual_mov_b32 v2, v1 :: v_dual_mov_b32 v3, v1
	v_mov_b32_e32 v4, v1
	scratch_store_b128 off, v[1:4], off offset:32
	s_wait_loadcnt 0x0
	ds_store_b128 v138, v[5:8]
.LBB109_287:
	s_wait_alu 0xfffe
	s_or_b32 exec_lo, exec_lo, s0
	s_wait_storecnt_dscnt 0x0
	s_barrier_signal -1
	s_barrier_wait -1
	global_inv scope:SCOPE_SE
	s_clause 0x8
	scratch_load_b128 v[2:5], off, off offset:48
	scratch_load_b128 v[6:9], off, off offset:64
	;; [unrolled: 1-line block ×9, first 2 shown]
	ds_load_b128 v[42:45], v1 offset:768
	ds_load_b128 v[38:41], v1 offset:784
	s_clause 0x1
	scratch_load_b128 v[139:142], off, off offset:32
	scratch_load_b128 v[143:146], off, off offset:192
	s_mov_b32 s0, exec_lo
	s_wait_loadcnt_dscnt 0xa01
	v_mul_f64_e32 v[147:148], v[44:45], v[4:5]
	v_mul_f64_e32 v[4:5], v[42:43], v[4:5]
	s_wait_loadcnt_dscnt 0x900
	v_mul_f64_e32 v[151:152], v[38:39], v[8:9]
	v_mul_f64_e32 v[8:9], v[40:41], v[8:9]
	s_delay_alu instid0(VALU_DEP_4) | instskip(NEXT) | instid1(VALU_DEP_4)
	v_fma_f64 v[153:154], v[42:43], v[2:3], -v[147:148]
	v_fma_f64 v[155:156], v[44:45], v[2:3], v[4:5]
	ds_load_b128 v[2:5], v1 offset:800
	ds_load_b128 v[147:150], v1 offset:816
	scratch_load_b128 v[42:45], off, off offset:208
	v_fma_f64 v[40:41], v[40:41], v[6:7], v[151:152]
	v_fma_f64 v[38:39], v[38:39], v[6:7], -v[8:9]
	scratch_load_b128 v[6:9], off, off offset:224
	s_wait_loadcnt_dscnt 0xa01
	v_mul_f64_e32 v[157:158], v[2:3], v[12:13]
	v_mul_f64_e32 v[12:13], v[4:5], v[12:13]
	v_add_f64_e32 v[151:152], 0, v[153:154]
	v_add_f64_e32 v[153:154], 0, v[155:156]
	s_wait_loadcnt_dscnt 0x900
	v_mul_f64_e32 v[155:156], v[147:148], v[16:17]
	v_mul_f64_e32 v[16:17], v[149:150], v[16:17]
	v_fma_f64 v[157:158], v[4:5], v[10:11], v[157:158]
	v_fma_f64 v[159:160], v[2:3], v[10:11], -v[12:13]
	ds_load_b128 v[2:5], v1 offset:832
	scratch_load_b128 v[10:13], off, off offset:240
	v_add_f64_e32 v[151:152], v[151:152], v[38:39]
	v_add_f64_e32 v[153:154], v[153:154], v[40:41]
	ds_load_b128 v[38:41], v1 offset:848
	v_fma_f64 v[149:150], v[149:150], v[14:15], v[155:156]
	v_fma_f64 v[147:148], v[147:148], v[14:15], -v[16:17]
	scratch_load_b128 v[14:17], off, off offset:256
	s_wait_loadcnt_dscnt 0xa01
	v_mul_f64_e32 v[161:162], v[2:3], v[20:21]
	v_mul_f64_e32 v[20:21], v[4:5], v[20:21]
	s_wait_loadcnt_dscnt 0x900
	v_mul_f64_e32 v[155:156], v[38:39], v[24:25]
	v_mul_f64_e32 v[24:25], v[40:41], v[24:25]
	v_add_f64_e32 v[151:152], v[151:152], v[159:160]
	v_add_f64_e32 v[153:154], v[153:154], v[157:158]
	v_fma_f64 v[157:158], v[4:5], v[18:19], v[161:162]
	v_fma_f64 v[159:160], v[2:3], v[18:19], -v[20:21]
	ds_load_b128 v[2:5], v1 offset:864
	scratch_load_b128 v[18:21], off, off offset:272
	v_fma_f64 v[40:41], v[40:41], v[22:23], v[155:156]
	v_fma_f64 v[38:39], v[38:39], v[22:23], -v[24:25]
	scratch_load_b128 v[22:25], off, off offset:288
	v_add_f64_e32 v[151:152], v[151:152], v[147:148]
	v_add_f64_e32 v[153:154], v[153:154], v[149:150]
	ds_load_b128 v[147:150], v1 offset:880
	s_wait_loadcnt_dscnt 0xa01
	v_mul_f64_e32 v[161:162], v[2:3], v[28:29]
	v_mul_f64_e32 v[28:29], v[4:5], v[28:29]
	s_wait_loadcnt_dscnt 0x900
	v_mul_f64_e32 v[155:156], v[147:148], v[32:33]
	v_mul_f64_e32 v[32:33], v[149:150], v[32:33]
	v_add_f64_e32 v[151:152], v[151:152], v[159:160]
	v_add_f64_e32 v[153:154], v[153:154], v[157:158]
	v_fma_f64 v[157:158], v[4:5], v[26:27], v[161:162]
	v_fma_f64 v[159:160], v[2:3], v[26:27], -v[28:29]
	ds_load_b128 v[2:5], v1 offset:896
	scratch_load_b128 v[26:29], off, off offset:304
	v_fma_f64 v[149:150], v[149:150], v[30:31], v[155:156]
	v_fma_f64 v[147:148], v[147:148], v[30:31], -v[32:33]
	scratch_load_b128 v[30:33], off, off offset:320
	v_add_f64_e32 v[151:152], v[151:152], v[38:39]
	v_add_f64_e32 v[153:154], v[153:154], v[40:41]
	ds_load_b128 v[38:41], v1 offset:912
	s_wait_loadcnt_dscnt 0xa01
	v_mul_f64_e32 v[161:162], v[2:3], v[36:37]
	v_mul_f64_e32 v[36:37], v[4:5], v[36:37]
	s_wait_loadcnt_dscnt 0x800
	v_mul_f64_e32 v[155:156], v[38:39], v[145:146]
	v_add_f64_e32 v[151:152], v[151:152], v[159:160]
	v_add_f64_e32 v[153:154], v[153:154], v[157:158]
	v_mul_f64_e32 v[157:158], v[40:41], v[145:146]
	v_fma_f64 v[159:160], v[4:5], v[34:35], v[161:162]
	v_fma_f64 v[161:162], v[2:3], v[34:35], -v[36:37]
	ds_load_b128 v[2:5], v1 offset:928
	scratch_load_b128 v[34:37], off, off offset:336
	v_fma_f64 v[155:156], v[40:41], v[143:144], v[155:156]
	v_add_f64_e32 v[151:152], v[151:152], v[147:148]
	v_add_f64_e32 v[149:150], v[153:154], v[149:150]
	ds_load_b128 v[145:148], v1 offset:944
	v_fma_f64 v[143:144], v[38:39], v[143:144], -v[157:158]
	scratch_load_b128 v[38:41], off, off offset:352
	s_wait_loadcnt_dscnt 0x901
	v_mul_f64_e32 v[153:154], v[2:3], v[44:45]
	v_mul_f64_e32 v[44:45], v[4:5], v[44:45]
	s_wait_loadcnt_dscnt 0x800
	v_mul_f64_e32 v[157:158], v[145:146], v[8:9]
	v_mul_f64_e32 v[8:9], v[147:148], v[8:9]
	v_add_f64_e32 v[151:152], v[151:152], v[161:162]
	v_add_f64_e32 v[149:150], v[149:150], v[159:160]
	v_fma_f64 v[153:154], v[4:5], v[42:43], v[153:154]
	v_fma_f64 v[159:160], v[2:3], v[42:43], -v[44:45]
	ds_load_b128 v[2:5], v1 offset:960
	scratch_load_b128 v[42:45], off, off offset:368
	v_fma_f64 v[147:148], v[147:148], v[6:7], v[157:158]
	v_fma_f64 v[145:146], v[145:146], v[6:7], -v[8:9]
	scratch_load_b128 v[6:9], off, off offset:384
	v_add_f64_e32 v[143:144], v[151:152], v[143:144]
	v_add_f64_e32 v[155:156], v[149:150], v[155:156]
	ds_load_b128 v[149:152], v1 offset:976
	s_wait_loadcnt_dscnt 0x901
	v_mul_f64_e32 v[161:162], v[2:3], v[12:13]
	v_mul_f64_e32 v[12:13], v[4:5], v[12:13]
	v_add_f64_e32 v[143:144], v[143:144], v[159:160]
	v_add_f64_e32 v[153:154], v[155:156], v[153:154]
	s_wait_loadcnt_dscnt 0x800
	v_mul_f64_e32 v[155:156], v[149:150], v[16:17]
	v_mul_f64_e32 v[16:17], v[151:152], v[16:17]
	v_fma_f64 v[157:158], v[4:5], v[10:11], v[161:162]
	v_fma_f64 v[159:160], v[2:3], v[10:11], -v[12:13]
	ds_load_b128 v[2:5], v1 offset:992
	scratch_load_b128 v[10:13], off, off offset:400
	v_add_f64_e32 v[161:162], v[143:144], v[145:146]
	v_add_f64_e32 v[147:148], v[153:154], v[147:148]
	ds_load_b128 v[143:146], v1 offset:1008
	s_wait_loadcnt_dscnt 0x801
	v_mul_f64_e32 v[153:154], v[2:3], v[20:21]
	v_mul_f64_e32 v[20:21], v[4:5], v[20:21]
	v_fma_f64 v[151:152], v[151:152], v[14:15], v[155:156]
	v_fma_f64 v[149:150], v[149:150], v[14:15], -v[16:17]
	scratch_load_b128 v[14:17], off, off offset:416
	v_add_f64_e32 v[155:156], v[161:162], v[159:160]
	v_add_f64_e32 v[147:148], v[147:148], v[157:158]
	s_wait_loadcnt_dscnt 0x800
	v_mul_f64_e32 v[157:158], v[143:144], v[24:25]
	v_mul_f64_e32 v[24:25], v[145:146], v[24:25]
	v_fma_f64 v[153:154], v[4:5], v[18:19], v[153:154]
	v_fma_f64 v[159:160], v[2:3], v[18:19], -v[20:21]
	ds_load_b128 v[2:5], v1 offset:1024
	scratch_load_b128 v[18:21], off, off offset:432
	v_add_f64_e32 v[155:156], v[155:156], v[149:150]
	v_add_f64_e32 v[151:152], v[147:148], v[151:152]
	ds_load_b128 v[147:150], v1 offset:1040
	s_wait_loadcnt_dscnt 0x801
	v_mul_f64_e32 v[161:162], v[2:3], v[28:29]
	v_mul_f64_e32 v[28:29], v[4:5], v[28:29]
	v_fma_f64 v[145:146], v[145:146], v[22:23], v[157:158]
	v_fma_f64 v[143:144], v[143:144], v[22:23], -v[24:25]
	scratch_load_b128 v[22:25], off, off offset:448
	;; [unrolled: 18-line block ×4, first 2 shown]
	s_wait_loadcnt_dscnt 0x800
	v_mul_f64_e32 v[155:156], v[147:148], v[8:9]
	v_mul_f64_e32 v[8:9], v[149:150], v[8:9]
	v_add_f64_e32 v[153:154], v[153:154], v[159:160]
	v_add_f64_e32 v[151:152], v[151:152], v[157:158]
	v_fma_f64 v[157:158], v[4:5], v[42:43], v[161:162]
	v_fma_f64 v[159:160], v[2:3], v[42:43], -v[44:45]
	ds_load_b128 v[2:5], v1 offset:1120
	scratch_load_b128 v[42:45], off, off offset:528
	v_fma_f64 v[149:150], v[149:150], v[6:7], v[155:156]
	v_fma_f64 v[147:148], v[147:148], v[6:7], -v[8:9]
	scratch_load_b128 v[6:9], off, off offset:544
	v_add_f64_e32 v[153:154], v[153:154], v[143:144]
	v_add_f64_e32 v[151:152], v[151:152], v[145:146]
	ds_load_b128 v[143:146], v1 offset:1136
	s_wait_loadcnt_dscnt 0x901
	v_mul_f64_e32 v[161:162], v[2:3], v[12:13]
	v_mul_f64_e32 v[12:13], v[4:5], v[12:13]
	s_wait_loadcnt_dscnt 0x800
	v_mul_f64_e32 v[155:156], v[143:144], v[16:17]
	v_mul_f64_e32 v[16:17], v[145:146], v[16:17]
	v_add_f64_e32 v[153:154], v[153:154], v[159:160]
	v_add_f64_e32 v[151:152], v[151:152], v[157:158]
	v_fma_f64 v[157:158], v[4:5], v[10:11], v[161:162]
	v_fma_f64 v[159:160], v[2:3], v[10:11], -v[12:13]
	ds_load_b128 v[2:5], v1 offset:1152
	scratch_load_b128 v[10:13], off, off offset:560
	v_fma_f64 v[145:146], v[145:146], v[14:15], v[155:156]
	v_fma_f64 v[143:144], v[143:144], v[14:15], -v[16:17]
	scratch_load_b128 v[14:17], off, off offset:576
	v_add_f64_e32 v[153:154], v[153:154], v[147:148]
	v_add_f64_e32 v[151:152], v[151:152], v[149:150]
	ds_load_b128 v[147:150], v1 offset:1168
	s_wait_loadcnt_dscnt 0x901
	v_mul_f64_e32 v[161:162], v[2:3], v[20:21]
	v_mul_f64_e32 v[20:21], v[4:5], v[20:21]
	;; [unrolled: 18-line block ×7, first 2 shown]
	s_wait_loadcnt_dscnt 0x800
	v_mul_f64_e32 v[155:156], v[143:144], v[24:25]
	v_mul_f64_e32 v[24:25], v[145:146], v[24:25]
	v_add_f64_e32 v[153:154], v[153:154], v[159:160]
	v_add_f64_e32 v[151:152], v[151:152], v[157:158]
	v_fma_f64 v[157:158], v[4:5], v[18:19], v[161:162]
	v_fma_f64 v[159:160], v[2:3], v[18:19], -v[20:21]
	ds_load_b128 v[2:5], v1 offset:1344
	ds_load_b128 v[18:21], v1 offset:1360
	v_fma_f64 v[145:146], v[145:146], v[22:23], v[155:156]
	v_fma_f64 v[22:23], v[143:144], v[22:23], -v[24:25]
	v_add_f64_e32 v[147:148], v[153:154], v[147:148]
	v_add_f64_e32 v[149:150], v[151:152], v[149:150]
	s_wait_loadcnt_dscnt 0x701
	v_mul_f64_e32 v[151:152], v[2:3], v[28:29]
	v_mul_f64_e32 v[28:29], v[4:5], v[28:29]
	s_delay_alu instid0(VALU_DEP_4) | instskip(NEXT) | instid1(VALU_DEP_4)
	v_add_f64_e32 v[24:25], v[147:148], v[159:160]
	v_add_f64_e32 v[143:144], v[149:150], v[157:158]
	s_wait_loadcnt_dscnt 0x600
	v_mul_f64_e32 v[147:148], v[18:19], v[32:33]
	v_mul_f64_e32 v[32:33], v[20:21], v[32:33]
	v_fma_f64 v[149:150], v[4:5], v[26:27], v[151:152]
	v_fma_f64 v[26:27], v[2:3], v[26:27], -v[28:29]
	v_add_f64_e32 v[28:29], v[24:25], v[22:23]
	v_add_f64_e32 v[143:144], v[143:144], v[145:146]
	ds_load_b128 v[2:5], v1 offset:1376
	ds_load_b128 v[22:25], v1 offset:1392
	v_fma_f64 v[20:21], v[20:21], v[30:31], v[147:148]
	v_fma_f64 v[18:19], v[18:19], v[30:31], -v[32:33]
	s_wait_loadcnt_dscnt 0x501
	v_mul_f64_e32 v[145:146], v[2:3], v[36:37]
	v_mul_f64_e32 v[36:37], v[4:5], v[36:37]
	s_wait_loadcnt_dscnt 0x400
	v_mul_f64_e32 v[30:31], v[22:23], v[40:41]
	v_mul_f64_e32 v[32:33], v[24:25], v[40:41]
	v_add_f64_e32 v[26:27], v[28:29], v[26:27]
	v_add_f64_e32 v[28:29], v[143:144], v[149:150]
	v_fma_f64 v[40:41], v[4:5], v[34:35], v[145:146]
	v_fma_f64 v[34:35], v[2:3], v[34:35], -v[36:37]
	v_fma_f64 v[24:25], v[24:25], v[38:39], v[30:31]
	v_fma_f64 v[22:23], v[22:23], v[38:39], -v[32:33]
	v_add_f64_e32 v[26:27], v[26:27], v[18:19]
	v_add_f64_e32 v[28:29], v[28:29], v[20:21]
	ds_load_b128 v[2:5], v1 offset:1408
	ds_load_b128 v[18:21], v1 offset:1424
	s_wait_loadcnt_dscnt 0x301
	v_mul_f64_e32 v[36:37], v[2:3], v[44:45]
	v_mul_f64_e32 v[44:45], v[4:5], v[44:45]
	s_wait_loadcnt_dscnt 0x200
	v_mul_f64_e32 v[30:31], v[18:19], v[8:9]
	v_mul_f64_e32 v[8:9], v[20:21], v[8:9]
	v_add_f64_e32 v[26:27], v[26:27], v[34:35]
	v_add_f64_e32 v[28:29], v[28:29], v[40:41]
	v_fma_f64 v[32:33], v[4:5], v[42:43], v[36:37]
	v_fma_f64 v[34:35], v[2:3], v[42:43], -v[44:45]
	v_fma_f64 v[20:21], v[20:21], v[6:7], v[30:31]
	v_fma_f64 v[6:7], v[18:19], v[6:7], -v[8:9]
	v_add_f64_e32 v[26:27], v[26:27], v[22:23]
	v_add_f64_e32 v[28:29], v[28:29], v[24:25]
	ds_load_b128 v[2:5], v1 offset:1440
	ds_load_b128 v[22:25], v1 offset:1456
	s_wait_loadcnt_dscnt 0x101
	v_mul_f64_e32 v[36:37], v[2:3], v[12:13]
	v_mul_f64_e32 v[12:13], v[4:5], v[12:13]
	v_add_f64_e32 v[8:9], v[26:27], v[34:35]
	v_add_f64_e32 v[18:19], v[28:29], v[32:33]
	s_wait_loadcnt_dscnt 0x0
	v_mul_f64_e32 v[26:27], v[22:23], v[16:17]
	v_mul_f64_e32 v[16:17], v[24:25], v[16:17]
	v_fma_f64 v[4:5], v[4:5], v[10:11], v[36:37]
	v_fma_f64 v[1:2], v[2:3], v[10:11], -v[12:13]
	v_add_f64_e32 v[6:7], v[8:9], v[6:7]
	v_add_f64_e32 v[8:9], v[18:19], v[20:21]
	v_fma_f64 v[10:11], v[24:25], v[14:15], v[26:27]
	v_fma_f64 v[12:13], v[22:23], v[14:15], -v[16:17]
	s_delay_alu instid0(VALU_DEP_4) | instskip(NEXT) | instid1(VALU_DEP_4)
	v_add_f64_e32 v[1:2], v[6:7], v[1:2]
	v_add_f64_e32 v[3:4], v[8:9], v[4:5]
	s_delay_alu instid0(VALU_DEP_2) | instskip(NEXT) | instid1(VALU_DEP_2)
	v_add_f64_e32 v[1:2], v[1:2], v[12:13]
	v_add_f64_e32 v[3:4], v[3:4], v[10:11]
	s_delay_alu instid0(VALU_DEP_2) | instskip(NEXT) | instid1(VALU_DEP_2)
	v_add_f64_e64 v[1:2], v[139:140], -v[1:2]
	v_add_f64_e64 v[3:4], v[141:142], -v[3:4]
	scratch_store_b128 off, v[1:4], off offset:32
	v_cmpx_ne_u32_e32 0, v0
	s_cbranch_execz .LBB109_289
; %bb.288:
	scratch_load_b128 v[0:3], off, off offset:16
	v_mov_b32_e32 v4, 0
	s_delay_alu instid0(VALU_DEP_1)
	v_dual_mov_b32 v5, v4 :: v_dual_mov_b32 v6, v4
	v_mov_b32_e32 v7, v4
	scratch_store_b128 off, v[4:7], off offset:16
	s_wait_loadcnt 0x0
	ds_store_b128 v138, v[0:3]
.LBB109_289:
	s_wait_alu 0xfffe
	s_or_b32 exec_lo, exec_lo, s0
	s_wait_storecnt_dscnt 0x0
	s_barrier_signal -1
	s_barrier_wait -1
	global_inv scope:SCOPE_SE
	s_clause 0x7
	scratch_load_b128 v[0:3], off, off offset:32
	scratch_load_b128 v[4:7], off, off offset:48
	;; [unrolled: 1-line block ×8, first 2 shown]
	v_mov_b32_e32 v40, 0
	s_and_b32 vcc_lo, exec_lo, s12
	ds_load_b128 v[36:39], v40 offset:752
	s_clause 0x1
	scratch_load_b128 v[32:35], off, off offset:160
	scratch_load_b128 v[41:44], off, off offset:16
	ds_load_b128 v[138:141], v40 offset:768
	scratch_load_b128 v[142:145], off, off offset:176
	s_wait_loadcnt_dscnt 0xa01
	v_mul_f64_e32 v[146:147], v[38:39], v[2:3]
	v_mul_f64_e32 v[2:3], v[36:37], v[2:3]
	s_delay_alu instid0(VALU_DEP_2) | instskip(NEXT) | instid1(VALU_DEP_2)
	v_fma_f64 v[152:153], v[36:37], v[0:1], -v[146:147]
	v_fma_f64 v[154:155], v[38:39], v[0:1], v[2:3]
	ds_load_b128 v[0:3], v40 offset:784
	s_wait_loadcnt_dscnt 0x901
	v_mul_f64_e32 v[150:151], v[138:139], v[6:7]
	v_mul_f64_e32 v[6:7], v[140:141], v[6:7]
	scratch_load_b128 v[36:39], off, off offset:192
	ds_load_b128 v[146:149], v40 offset:800
	s_wait_loadcnt_dscnt 0x901
	v_mul_f64_e32 v[156:157], v[0:1], v[10:11]
	v_mul_f64_e32 v[10:11], v[2:3], v[10:11]
	v_fma_f64 v[140:141], v[140:141], v[4:5], v[150:151]
	v_fma_f64 v[138:139], v[138:139], v[4:5], -v[6:7]
	v_add_f64_e32 v[150:151], 0, v[152:153]
	v_add_f64_e32 v[152:153], 0, v[154:155]
	scratch_load_b128 v[4:7], off, off offset:208
	v_fma_f64 v[156:157], v[2:3], v[8:9], v[156:157]
	v_fma_f64 v[158:159], v[0:1], v[8:9], -v[10:11]
	ds_load_b128 v[0:3], v40 offset:816
	s_wait_loadcnt_dscnt 0x901
	v_mul_f64_e32 v[154:155], v[146:147], v[14:15]
	v_mul_f64_e32 v[14:15], v[148:149], v[14:15]
	scratch_load_b128 v[8:11], off, off offset:224
	v_add_f64_e32 v[150:151], v[150:151], v[138:139]
	v_add_f64_e32 v[152:153], v[152:153], v[140:141]
	s_wait_loadcnt_dscnt 0x900
	v_mul_f64_e32 v[160:161], v[0:1], v[18:19]
	v_mul_f64_e32 v[18:19], v[2:3], v[18:19]
	ds_load_b128 v[138:141], v40 offset:832
	v_fma_f64 v[148:149], v[148:149], v[12:13], v[154:155]
	v_fma_f64 v[146:147], v[146:147], v[12:13], -v[14:15]
	scratch_load_b128 v[12:15], off, off offset:240
	v_add_f64_e32 v[150:151], v[150:151], v[158:159]
	v_add_f64_e32 v[152:153], v[152:153], v[156:157]
	v_fma_f64 v[156:157], v[2:3], v[16:17], v[160:161]
	v_fma_f64 v[158:159], v[0:1], v[16:17], -v[18:19]
	ds_load_b128 v[0:3], v40 offset:848
	s_wait_loadcnt_dscnt 0x901
	v_mul_f64_e32 v[154:155], v[138:139], v[22:23]
	v_mul_f64_e32 v[22:23], v[140:141], v[22:23]
	scratch_load_b128 v[16:19], off, off offset:256
	s_wait_loadcnt_dscnt 0x900
	v_mul_f64_e32 v[160:161], v[0:1], v[26:27]
	v_mul_f64_e32 v[26:27], v[2:3], v[26:27]
	v_add_f64_e32 v[150:151], v[150:151], v[146:147]
	v_add_f64_e32 v[152:153], v[152:153], v[148:149]
	ds_load_b128 v[146:149], v40 offset:864
	v_fma_f64 v[140:141], v[140:141], v[20:21], v[154:155]
	v_fma_f64 v[138:139], v[138:139], v[20:21], -v[22:23]
	scratch_load_b128 v[20:23], off, off offset:272
	v_add_f64_e32 v[150:151], v[150:151], v[158:159]
	v_add_f64_e32 v[152:153], v[152:153], v[156:157]
	v_fma_f64 v[156:157], v[2:3], v[24:25], v[160:161]
	v_fma_f64 v[158:159], v[0:1], v[24:25], -v[26:27]
	ds_load_b128 v[0:3], v40 offset:880
	s_wait_loadcnt_dscnt 0x901
	v_mul_f64_e32 v[154:155], v[146:147], v[30:31]
	v_mul_f64_e32 v[30:31], v[148:149], v[30:31]
	scratch_load_b128 v[24:27], off, off offset:288
	s_wait_loadcnt_dscnt 0x900
	v_mul_f64_e32 v[160:161], v[0:1], v[34:35]
	v_mul_f64_e32 v[34:35], v[2:3], v[34:35]
	v_add_f64_e32 v[150:151], v[150:151], v[138:139]
	v_add_f64_e32 v[152:153], v[152:153], v[140:141]
	ds_load_b128 v[138:141], v40 offset:896
	v_fma_f64 v[148:149], v[148:149], v[28:29], v[154:155]
	v_fma_f64 v[146:147], v[146:147], v[28:29], -v[30:31]
	scratch_load_b128 v[28:31], off, off offset:304
	v_add_f64_e32 v[150:151], v[150:151], v[158:159]
	v_add_f64_e32 v[152:153], v[152:153], v[156:157]
	v_fma_f64 v[158:159], v[2:3], v[32:33], v[160:161]
	v_fma_f64 v[160:161], v[0:1], v[32:33], -v[34:35]
	ds_load_b128 v[0:3], v40 offset:912
	s_wait_loadcnt_dscnt 0x801
	v_mul_f64_e32 v[154:155], v[138:139], v[144:145]
	v_mul_f64_e32 v[156:157], v[140:141], v[144:145]
	scratch_load_b128 v[32:35], off, off offset:320
	v_add_f64_e32 v[150:151], v[150:151], v[146:147]
	v_add_f64_e32 v[148:149], v[152:153], v[148:149]
	ds_load_b128 v[144:147], v40 offset:928
	v_fma_f64 v[154:155], v[140:141], v[142:143], v[154:155]
	v_fma_f64 v[142:143], v[138:139], v[142:143], -v[156:157]
	scratch_load_b128 v[138:141], off, off offset:336
	s_wait_loadcnt_dscnt 0x901
	v_mul_f64_e32 v[152:153], v[0:1], v[38:39]
	v_mul_f64_e32 v[38:39], v[2:3], v[38:39]
	v_add_f64_e32 v[150:151], v[150:151], v[160:161]
	v_add_f64_e32 v[148:149], v[148:149], v[158:159]
	s_delay_alu instid0(VALU_DEP_4) | instskip(NEXT) | instid1(VALU_DEP_4)
	v_fma_f64 v[152:153], v[2:3], v[36:37], v[152:153]
	v_fma_f64 v[158:159], v[0:1], v[36:37], -v[38:39]
	ds_load_b128 v[0:3], v40 offset:944
	s_wait_loadcnt_dscnt 0x801
	v_mul_f64_e32 v[156:157], v[144:145], v[6:7]
	v_mul_f64_e32 v[6:7], v[146:147], v[6:7]
	scratch_load_b128 v[36:39], off, off offset:352
	s_wait_loadcnt_dscnt 0x800
	v_mul_f64_e32 v[160:161], v[0:1], v[10:11]
	v_add_f64_e32 v[142:143], v[150:151], v[142:143]
	v_add_f64_e32 v[154:155], v[148:149], v[154:155]
	v_mul_f64_e32 v[10:11], v[2:3], v[10:11]
	ds_load_b128 v[148:151], v40 offset:960
	v_fma_f64 v[146:147], v[146:147], v[4:5], v[156:157]
	v_fma_f64 v[144:145], v[144:145], v[4:5], -v[6:7]
	scratch_load_b128 v[4:7], off, off offset:368
	v_fma_f64 v[156:157], v[2:3], v[8:9], v[160:161]
	v_add_f64_e32 v[142:143], v[142:143], v[158:159]
	v_add_f64_e32 v[152:153], v[154:155], v[152:153]
	v_fma_f64 v[158:159], v[0:1], v[8:9], -v[10:11]
	ds_load_b128 v[0:3], v40 offset:976
	s_wait_loadcnt_dscnt 0x801
	v_mul_f64_e32 v[154:155], v[148:149], v[14:15]
	v_mul_f64_e32 v[14:15], v[150:151], v[14:15]
	scratch_load_b128 v[8:11], off, off offset:384
	v_add_f64_e32 v[160:161], v[142:143], v[144:145]
	v_add_f64_e32 v[146:147], v[152:153], v[146:147]
	s_wait_loadcnt_dscnt 0x800
	v_mul_f64_e32 v[152:153], v[0:1], v[18:19]
	v_mul_f64_e32 v[18:19], v[2:3], v[18:19]
	v_fma_f64 v[150:151], v[150:151], v[12:13], v[154:155]
	v_fma_f64 v[148:149], v[148:149], v[12:13], -v[14:15]
	ds_load_b128 v[142:145], v40 offset:992
	scratch_load_b128 v[12:15], off, off offset:400
	v_add_f64_e32 v[154:155], v[160:161], v[158:159]
	v_add_f64_e32 v[146:147], v[146:147], v[156:157]
	v_fma_f64 v[152:153], v[2:3], v[16:17], v[152:153]
	v_fma_f64 v[158:159], v[0:1], v[16:17], -v[18:19]
	ds_load_b128 v[0:3], v40 offset:1008
	s_wait_loadcnt_dscnt 0x801
	v_mul_f64_e32 v[156:157], v[142:143], v[22:23]
	v_mul_f64_e32 v[22:23], v[144:145], v[22:23]
	scratch_load_b128 v[16:19], off, off offset:416
	s_wait_loadcnt_dscnt 0x800
	v_mul_f64_e32 v[160:161], v[0:1], v[26:27]
	v_mul_f64_e32 v[26:27], v[2:3], v[26:27]
	v_add_f64_e32 v[154:155], v[154:155], v[148:149]
	v_add_f64_e32 v[150:151], v[146:147], v[150:151]
	ds_load_b128 v[146:149], v40 offset:1024
	v_fma_f64 v[144:145], v[144:145], v[20:21], v[156:157]
	v_fma_f64 v[142:143], v[142:143], v[20:21], -v[22:23]
	scratch_load_b128 v[20:23], off, off offset:432
	v_fma_f64 v[156:157], v[2:3], v[24:25], v[160:161]
	v_add_f64_e32 v[154:155], v[154:155], v[158:159]
	v_add_f64_e32 v[150:151], v[150:151], v[152:153]
	v_fma_f64 v[158:159], v[0:1], v[24:25], -v[26:27]
	ds_load_b128 v[0:3], v40 offset:1040
	s_wait_loadcnt_dscnt 0x801
	v_mul_f64_e32 v[152:153], v[146:147], v[30:31]
	v_mul_f64_e32 v[30:31], v[148:149], v[30:31]
	scratch_load_b128 v[24:27], off, off offset:448
	s_wait_loadcnt_dscnt 0x800
	v_mul_f64_e32 v[160:161], v[0:1], v[34:35]
	v_mul_f64_e32 v[34:35], v[2:3], v[34:35]
	v_add_f64_e32 v[154:155], v[154:155], v[142:143]
	v_add_f64_e32 v[150:151], v[150:151], v[144:145]
	ds_load_b128 v[142:145], v40 offset:1056
	v_fma_f64 v[148:149], v[148:149], v[28:29], v[152:153]
	v_fma_f64 v[146:147], v[146:147], v[28:29], -v[30:31]
	scratch_load_b128 v[28:31], off, off offset:464
	v_add_f64_e32 v[152:153], v[154:155], v[158:159]
	v_add_f64_e32 v[150:151], v[150:151], v[156:157]
	v_fma_f64 v[156:157], v[2:3], v[32:33], v[160:161]
	v_fma_f64 v[158:159], v[0:1], v[32:33], -v[34:35]
	ds_load_b128 v[0:3], v40 offset:1072
	s_wait_loadcnt_dscnt 0x801
	v_mul_f64_e32 v[154:155], v[142:143], v[140:141]
	v_mul_f64_e32 v[140:141], v[144:145], v[140:141]
	scratch_load_b128 v[32:35], off, off offset:480
	s_wait_loadcnt_dscnt 0x800
	v_mul_f64_e32 v[160:161], v[0:1], v[38:39]
	v_mul_f64_e32 v[38:39], v[2:3], v[38:39]
	v_add_f64_e32 v[152:153], v[152:153], v[146:147]
	v_add_f64_e32 v[150:151], v[150:151], v[148:149]
	ds_load_b128 v[146:149], v40 offset:1088
	v_fma_f64 v[144:145], v[144:145], v[138:139], v[154:155]
	v_fma_f64 v[142:143], v[142:143], v[138:139], -v[140:141]
	scratch_load_b128 v[138:141], off, off offset:496
	v_add_f64_e32 v[152:153], v[152:153], v[158:159]
	v_add_f64_e32 v[150:151], v[150:151], v[156:157]
	v_fma_f64 v[156:157], v[2:3], v[36:37], v[160:161]
	;; [unrolled: 18-line block ×6, first 2 shown]
	v_fma_f64 v[160:161], v[0:1], v[32:33], -v[34:35]
	ds_load_b128 v[0:3], v40 offset:1232
	s_wait_loadcnt_dscnt 0x801
	v_mul_f64_e32 v[154:155], v[146:147], v[140:141]
	v_mul_f64_e32 v[156:157], v[148:149], v[140:141]
	scratch_load_b128 v[32:35], off, off offset:640
	v_add_f64_e32 v[152:153], v[152:153], v[142:143]
	v_add_f64_e32 v[144:145], v[150:151], v[144:145]
	s_wait_loadcnt_dscnt 0x800
	v_mul_f64_e32 v[150:151], v[0:1], v[38:39]
	v_mul_f64_e32 v[38:39], v[2:3], v[38:39]
	ds_load_b128 v[140:143], v40 offset:1248
	v_fma_f64 v[148:149], v[148:149], v[138:139], v[154:155]
	v_fma_f64 v[138:139], v[146:147], v[138:139], -v[156:157]
	v_add_f64_e32 v[152:153], v[152:153], v[160:161]
	v_add_f64_e32 v[154:155], v[144:145], v[158:159]
	scratch_load_b128 v[144:147], off, off offset:656
	v_fma_f64 v[158:159], v[2:3], v[36:37], v[150:151]
	v_fma_f64 v[160:161], v[0:1], v[36:37], -v[38:39]
	ds_load_b128 v[0:3], v40 offset:1264
	s_wait_loadcnt_dscnt 0x801
	v_mul_f64_e32 v[156:157], v[140:141], v[6:7]
	v_mul_f64_e32 v[6:7], v[142:143], v[6:7]
	scratch_load_b128 v[36:39], off, off offset:672
	v_add_f64_e32 v[138:139], v[152:153], v[138:139]
	v_add_f64_e32 v[152:153], v[154:155], v[148:149]
	s_wait_loadcnt_dscnt 0x800
	v_mul_f64_e32 v[154:155], v[0:1], v[10:11]
	v_mul_f64_e32 v[10:11], v[2:3], v[10:11]
	ds_load_b128 v[148:151], v40 offset:1280
	v_fma_f64 v[142:143], v[142:143], v[4:5], v[156:157]
	v_fma_f64 v[140:141], v[140:141], v[4:5], -v[6:7]
	scratch_load_b128 v[4:7], off, off offset:688
	v_add_f64_e32 v[138:139], v[138:139], v[160:161]
	v_add_f64_e32 v[152:153], v[152:153], v[158:159]
	v_fma_f64 v[154:155], v[2:3], v[8:9], v[154:155]
	v_fma_f64 v[158:159], v[0:1], v[8:9], -v[10:11]
	ds_load_b128 v[0:3], v40 offset:1296
	s_wait_loadcnt_dscnt 0x801
	v_mul_f64_e32 v[156:157], v[148:149], v[14:15]
	v_mul_f64_e32 v[14:15], v[150:151], v[14:15]
	scratch_load_b128 v[8:11], off, off offset:704
	v_add_f64_e32 v[160:161], v[138:139], v[140:141]
	v_add_f64_e32 v[142:143], v[152:153], v[142:143]
	s_wait_loadcnt_dscnt 0x800
	v_mul_f64_e32 v[152:153], v[0:1], v[18:19]
	v_mul_f64_e32 v[18:19], v[2:3], v[18:19]
	ds_load_b128 v[138:141], v40 offset:1312
	v_fma_f64 v[150:151], v[150:151], v[12:13], v[156:157]
	v_fma_f64 v[148:149], v[148:149], v[12:13], -v[14:15]
	scratch_load_b128 v[12:15], off, off offset:720
	v_add_f64_e32 v[156:157], v[160:161], v[158:159]
	v_add_f64_e32 v[142:143], v[142:143], v[154:155]
	v_fma_f64 v[152:153], v[2:3], v[16:17], v[152:153]
	v_fma_f64 v[158:159], v[0:1], v[16:17], -v[18:19]
	ds_load_b128 v[0:3], v40 offset:1328
	s_wait_loadcnt_dscnt 0x801
	v_mul_f64_e32 v[154:155], v[138:139], v[22:23]
	v_mul_f64_e32 v[22:23], v[140:141], v[22:23]
	scratch_load_b128 v[16:19], off, off offset:736
	s_wait_loadcnt_dscnt 0x800
	v_mul_f64_e32 v[160:161], v[0:1], v[26:27]
	v_mul_f64_e32 v[26:27], v[2:3], v[26:27]
	v_add_f64_e32 v[156:157], v[156:157], v[148:149]
	v_add_f64_e32 v[142:143], v[142:143], v[150:151]
	ds_load_b128 v[148:151], v40 offset:1344
	v_fma_f64 v[140:141], v[140:141], v[20:21], v[154:155]
	v_fma_f64 v[20:21], v[138:139], v[20:21], -v[22:23]
	v_add_f64_e32 v[22:23], v[156:157], v[158:159]
	v_add_f64_e32 v[138:139], v[142:143], v[152:153]
	s_wait_loadcnt_dscnt 0x700
	v_mul_f64_e32 v[142:143], v[148:149], v[30:31]
	v_mul_f64_e32 v[30:31], v[150:151], v[30:31]
	v_fma_f64 v[152:153], v[2:3], v[24:25], v[160:161]
	v_fma_f64 v[24:25], v[0:1], v[24:25], -v[26:27]
	v_add_f64_e32 v[26:27], v[22:23], v[20:21]
	v_add_f64_e32 v[138:139], v[138:139], v[140:141]
	ds_load_b128 v[0:3], v40 offset:1360
	ds_load_b128 v[20:23], v40 offset:1376
	v_fma_f64 v[142:143], v[150:151], v[28:29], v[142:143]
	v_fma_f64 v[28:29], v[148:149], v[28:29], -v[30:31]
	s_wait_loadcnt_dscnt 0x601
	v_mul_f64_e32 v[140:141], v[0:1], v[34:35]
	v_mul_f64_e32 v[34:35], v[2:3], v[34:35]
	v_add_f64_e32 v[24:25], v[26:27], v[24:25]
	v_add_f64_e32 v[26:27], v[138:139], v[152:153]
	s_wait_loadcnt_dscnt 0x500
	v_mul_f64_e32 v[30:31], v[20:21], v[146:147]
	v_mul_f64_e32 v[138:139], v[22:23], v[146:147]
	v_fma_f64 v[140:141], v[2:3], v[32:33], v[140:141]
	v_fma_f64 v[32:33], v[0:1], v[32:33], -v[34:35]
	v_add_f64_e32 v[28:29], v[24:25], v[28:29]
	v_add_f64_e32 v[34:35], v[26:27], v[142:143]
	ds_load_b128 v[0:3], v40 offset:1392
	ds_load_b128 v[24:27], v40 offset:1408
	v_fma_f64 v[22:23], v[22:23], v[144:145], v[30:31]
	v_fma_f64 v[20:21], v[20:21], v[144:145], -v[138:139]
	s_wait_loadcnt_dscnt 0x401
	v_mul_f64_e32 v[142:143], v[0:1], v[38:39]
	v_mul_f64_e32 v[38:39], v[2:3], v[38:39]
	v_add_f64_e32 v[28:29], v[28:29], v[32:33]
	v_add_f64_e32 v[30:31], v[34:35], v[140:141]
	s_wait_loadcnt_dscnt 0x300
	v_mul_f64_e32 v[32:33], v[24:25], v[6:7]
	v_mul_f64_e32 v[6:7], v[26:27], v[6:7]
	v_fma_f64 v[34:35], v[2:3], v[36:37], v[142:143]
	v_fma_f64 v[36:37], v[0:1], v[36:37], -v[38:39]
	v_add_f64_e32 v[28:29], v[28:29], v[20:21]
	v_add_f64_e32 v[30:31], v[30:31], v[22:23]
	ds_load_b128 v[0:3], v40 offset:1424
	ds_load_b128 v[20:23], v40 offset:1440
	v_fma_f64 v[26:27], v[26:27], v[4:5], v[32:33]
	v_fma_f64 v[4:5], v[24:25], v[4:5], -v[6:7]
	s_wait_loadcnt_dscnt 0x201
	v_mul_f64_e32 v[38:39], v[0:1], v[10:11]
	v_mul_f64_e32 v[10:11], v[2:3], v[10:11]
	v_add_f64_e32 v[6:7], v[28:29], v[36:37]
	v_add_f64_e32 v[24:25], v[30:31], v[34:35]
	s_wait_loadcnt_dscnt 0x100
	v_mul_f64_e32 v[28:29], v[20:21], v[14:15]
	v_mul_f64_e32 v[14:15], v[22:23], v[14:15]
	v_fma_f64 v[30:31], v[2:3], v[8:9], v[38:39]
	v_fma_f64 v[8:9], v[0:1], v[8:9], -v[10:11]
	ds_load_b128 v[0:3], v40 offset:1456
	v_add_f64_e32 v[4:5], v[6:7], v[4:5]
	v_add_f64_e32 v[6:7], v[24:25], v[26:27]
	v_fma_f64 v[22:23], v[22:23], v[12:13], v[28:29]
	v_fma_f64 v[12:13], v[20:21], v[12:13], -v[14:15]
	s_wait_loadcnt_dscnt 0x0
	v_mul_f64_e32 v[10:11], v[0:1], v[18:19]
	v_mul_f64_e32 v[18:19], v[2:3], v[18:19]
	v_add_f64_e32 v[4:5], v[4:5], v[8:9]
	v_add_f64_e32 v[6:7], v[6:7], v[30:31]
	s_delay_alu instid0(VALU_DEP_4) | instskip(NEXT) | instid1(VALU_DEP_4)
	v_fma_f64 v[2:3], v[2:3], v[16:17], v[10:11]
	v_fma_f64 v[0:1], v[0:1], v[16:17], -v[18:19]
	s_delay_alu instid0(VALU_DEP_4) | instskip(NEXT) | instid1(VALU_DEP_4)
	v_add_f64_e32 v[4:5], v[4:5], v[12:13]
	v_add_f64_e32 v[6:7], v[6:7], v[22:23]
	s_delay_alu instid0(VALU_DEP_2) | instskip(NEXT) | instid1(VALU_DEP_2)
	v_add_f64_e32 v[0:1], v[4:5], v[0:1]
	v_add_f64_e32 v[2:3], v[6:7], v[2:3]
	s_delay_alu instid0(VALU_DEP_2) | instskip(NEXT) | instid1(VALU_DEP_2)
	v_add_f64_e64 v[0:1], v[41:42], -v[0:1]
	v_add_f64_e64 v[2:3], v[43:44], -v[2:3]
	scratch_store_b128 off, v[0:3], off offset:16
	s_wait_alu 0xfffe
	s_cbranch_vccz .LBB109_380
; %bb.290:
	global_load_b32 v0, v40, s[2:3] offset:176
	s_wait_loadcnt 0x0
	v_cmp_ne_u32_e32 vcc_lo, 45, v0
	s_cbranch_vccz .LBB109_292
; %bb.291:
	v_lshlrev_b32_e32 v0, 4, v0
	s_delay_alu instid0(VALU_DEP_1)
	v_add_nc_u32_e32 v8, 16, v0
	s_clause 0x1
	scratch_load_b128 v[0:3], v8, off offset:-16
	scratch_load_b128 v[4:7], off, s11
	s_wait_loadcnt 0x1
	scratch_store_b128 off, v[0:3], s11
	s_wait_loadcnt 0x0
	scratch_store_b128 v8, v[4:7], off offset:-16
.LBB109_292:
	v_mov_b32_e32 v0, 0
	global_load_b32 v1, v0, s[2:3] offset:172
	s_wait_loadcnt 0x0
	v_cmp_eq_u32_e32 vcc_lo, 44, v1
	s_cbranch_vccnz .LBB109_294
; %bb.293:
	v_lshlrev_b32_e32 v1, 4, v1
	s_delay_alu instid0(VALU_DEP_1)
	v_add_nc_u32_e32 v9, 16, v1
	s_clause 0x1
	scratch_load_b128 v[1:4], v9, off offset:-16
	scratch_load_b128 v[5:8], off, s14
	s_wait_loadcnt 0x1
	scratch_store_b128 off, v[1:4], s14
	s_wait_loadcnt 0x0
	scratch_store_b128 v9, v[5:8], off offset:-16
.LBB109_294:
	global_load_b32 v0, v0, s[2:3] offset:168
	s_wait_loadcnt 0x0
	v_cmp_eq_u32_e32 vcc_lo, 43, v0
	s_cbranch_vccnz .LBB109_296
; %bb.295:
	v_lshlrev_b32_e32 v0, 4, v0
	s_delay_alu instid0(VALU_DEP_1)
	v_add_nc_u32_e32 v8, 16, v0
	s_clause 0x1
	scratch_load_b128 v[0:3], v8, off offset:-16
	scratch_load_b128 v[4:7], off, s16
	s_wait_loadcnt 0x1
	scratch_store_b128 off, v[0:3], s16
	s_wait_loadcnt 0x0
	scratch_store_b128 v8, v[4:7], off offset:-16
.LBB109_296:
	v_mov_b32_e32 v0, 0
	global_load_b32 v1, v0, s[2:3] offset:164
	s_wait_loadcnt 0x0
	v_cmp_eq_u32_e32 vcc_lo, 42, v1
	s_cbranch_vccnz .LBB109_298
; %bb.297:
	v_lshlrev_b32_e32 v1, 4, v1
	s_delay_alu instid0(VALU_DEP_1)
	v_add_nc_u32_e32 v9, 16, v1
	s_clause 0x1
	scratch_load_b128 v[1:4], v9, off offset:-16
	scratch_load_b128 v[5:8], off, s17
	s_wait_loadcnt 0x1
	scratch_store_b128 off, v[1:4], s17
	s_wait_loadcnt 0x0
	scratch_store_b128 v9, v[5:8], off offset:-16
.LBB109_298:
	global_load_b32 v0, v0, s[2:3] offset:160
	s_wait_loadcnt 0x0
	v_cmp_eq_u32_e32 vcc_lo, 41, v0
	s_cbranch_vccnz .LBB109_300
; %bb.299:
	v_lshlrev_b32_e32 v0, 4, v0
	s_delay_alu instid0(VALU_DEP_1)
	v_add_nc_u32_e32 v8, 16, v0
	s_clause 0x1
	scratch_load_b128 v[0:3], v8, off offset:-16
	scratch_load_b128 v[4:7], off, s18
	s_wait_loadcnt 0x1
	scratch_store_b128 off, v[0:3], s18
	s_wait_loadcnt 0x0
	scratch_store_b128 v8, v[4:7], off offset:-16
.LBB109_300:
	;; [unrolled: 33-line block ×21, first 2 shown]
	v_mov_b32_e32 v0, 0
	global_load_b32 v1, v0, s[2:3] offset:4
	s_wait_loadcnt 0x0
	v_cmp_eq_u32_e32 vcc_lo, 2, v1
	s_cbranch_vccnz .LBB109_378
; %bb.377:
	v_lshlrev_b32_e32 v1, 4, v1
	s_delay_alu instid0(VALU_DEP_1)
	v_add_nc_u32_e32 v9, 16, v1
	s_clause 0x1
	scratch_load_b128 v[1:4], v9, off offset:-16
	scratch_load_b128 v[5:8], off, s15
	s_wait_loadcnt 0x1
	scratch_store_b128 off, v[1:4], s15
	s_wait_loadcnt 0x0
	scratch_store_b128 v9, v[5:8], off offset:-16
.LBB109_378:
	global_load_b32 v0, v0, s[2:3]
	s_wait_loadcnt 0x0
	v_cmp_eq_u32_e32 vcc_lo, 1, v0
	s_cbranch_vccnz .LBB109_380
; %bb.379:
	v_lshlrev_b32_e32 v0, 4, v0
	s_delay_alu instid0(VALU_DEP_1)
	v_add_nc_u32_e32 v8, 16, v0
	scratch_load_b128 v[0:3], v8, off offset:-16
	scratch_load_b128 v[4:7], off, off offset:16
	s_wait_loadcnt 0x1
	scratch_store_b128 off, v[0:3], off offset:16
	s_wait_loadcnt 0x0
	scratch_store_b128 v8, v[4:7], off offset:-16
.LBB109_380:
	scratch_load_b128 v[0:3], off, off offset:16
	s_wait_loadcnt 0x0
	flat_store_b128 v[46:47], v[0:3]
	scratch_load_b128 v[0:3], off, s15
	s_wait_loadcnt 0x0
	flat_store_b128 v[48:49], v[0:3]
	scratch_load_b128 v[0:3], off, s13
	;; [unrolled: 3-line block ×45, first 2 shown]
	s_wait_loadcnt 0x0
	flat_store_b128 v[136:137], v[0:3]
	s_nop 0
	s_sendmsg sendmsg(MSG_DEALLOC_VGPRS)
	s_endpgm
	.section	.rodata,"a",@progbits
	.p2align	6, 0x0
	.amdhsa_kernel _ZN9rocsolver6v33100L18getri_kernel_smallILi46E19rocblas_complex_numIdEPKPS3_EEvT1_iilPiilS8_bb
		.amdhsa_group_segment_fixed_size 1480
		.amdhsa_private_segment_fixed_size 768
		.amdhsa_kernarg_size 60
		.amdhsa_user_sgpr_count 2
		.amdhsa_user_sgpr_dispatch_ptr 0
		.amdhsa_user_sgpr_queue_ptr 0
		.amdhsa_user_sgpr_kernarg_segment_ptr 1
		.amdhsa_user_sgpr_dispatch_id 0
		.amdhsa_user_sgpr_private_segment_size 0
		.amdhsa_wavefront_size32 1
		.amdhsa_uses_dynamic_stack 0
		.amdhsa_enable_private_segment 1
		.amdhsa_system_sgpr_workgroup_id_x 1
		.amdhsa_system_sgpr_workgroup_id_y 0
		.amdhsa_system_sgpr_workgroup_id_z 0
		.amdhsa_system_sgpr_workgroup_info 0
		.amdhsa_system_vgpr_workitem_id 0
		.amdhsa_next_free_vgpr 165
		.amdhsa_next_free_sgpr 75
		.amdhsa_reserve_vcc 1
		.amdhsa_float_round_mode_32 0
		.amdhsa_float_round_mode_16_64 0
		.amdhsa_float_denorm_mode_32 3
		.amdhsa_float_denorm_mode_16_64 3
		.amdhsa_fp16_overflow 0
		.amdhsa_workgroup_processor_mode 1
		.amdhsa_memory_ordered 1
		.amdhsa_forward_progress 1
		.amdhsa_inst_pref_size 255
		.amdhsa_round_robin_scheduling 0
		.amdhsa_exception_fp_ieee_invalid_op 0
		.amdhsa_exception_fp_denorm_src 0
		.amdhsa_exception_fp_ieee_div_zero 0
		.amdhsa_exception_fp_ieee_overflow 0
		.amdhsa_exception_fp_ieee_underflow 0
		.amdhsa_exception_fp_ieee_inexact 0
		.amdhsa_exception_int_div_zero 0
	.end_amdhsa_kernel
	.section	.text._ZN9rocsolver6v33100L18getri_kernel_smallILi46E19rocblas_complex_numIdEPKPS3_EEvT1_iilPiilS8_bb,"axG",@progbits,_ZN9rocsolver6v33100L18getri_kernel_smallILi46E19rocblas_complex_numIdEPKPS3_EEvT1_iilPiilS8_bb,comdat
.Lfunc_end109:
	.size	_ZN9rocsolver6v33100L18getri_kernel_smallILi46E19rocblas_complex_numIdEPKPS3_EEvT1_iilPiilS8_bb, .Lfunc_end109-_ZN9rocsolver6v33100L18getri_kernel_smallILi46E19rocblas_complex_numIdEPKPS3_EEvT1_iilPiilS8_bb
                                        ; -- End function
	.set _ZN9rocsolver6v33100L18getri_kernel_smallILi46E19rocblas_complex_numIdEPKPS3_EEvT1_iilPiilS8_bb.num_vgpr, 165
	.set _ZN9rocsolver6v33100L18getri_kernel_smallILi46E19rocblas_complex_numIdEPKPS3_EEvT1_iilPiilS8_bb.num_agpr, 0
	.set _ZN9rocsolver6v33100L18getri_kernel_smallILi46E19rocblas_complex_numIdEPKPS3_EEvT1_iilPiilS8_bb.numbered_sgpr, 75
	.set _ZN9rocsolver6v33100L18getri_kernel_smallILi46E19rocblas_complex_numIdEPKPS3_EEvT1_iilPiilS8_bb.num_named_barrier, 0
	.set _ZN9rocsolver6v33100L18getri_kernel_smallILi46E19rocblas_complex_numIdEPKPS3_EEvT1_iilPiilS8_bb.private_seg_size, 768
	.set _ZN9rocsolver6v33100L18getri_kernel_smallILi46E19rocblas_complex_numIdEPKPS3_EEvT1_iilPiilS8_bb.uses_vcc, 1
	.set _ZN9rocsolver6v33100L18getri_kernel_smallILi46E19rocblas_complex_numIdEPKPS3_EEvT1_iilPiilS8_bb.uses_flat_scratch, 1
	.set _ZN9rocsolver6v33100L18getri_kernel_smallILi46E19rocblas_complex_numIdEPKPS3_EEvT1_iilPiilS8_bb.has_dyn_sized_stack, 0
	.set _ZN9rocsolver6v33100L18getri_kernel_smallILi46E19rocblas_complex_numIdEPKPS3_EEvT1_iilPiilS8_bb.has_recursion, 0
	.set _ZN9rocsolver6v33100L18getri_kernel_smallILi46E19rocblas_complex_numIdEPKPS3_EEvT1_iilPiilS8_bb.has_indirect_call, 0
	.section	.AMDGPU.csdata,"",@progbits
; Kernel info:
; codeLenInByte = 89024
; TotalNumSgprs: 77
; NumVgprs: 165
; ScratchSize: 768
; MemoryBound: 0
; FloatMode: 240
; IeeeMode: 1
; LDSByteSize: 1480 bytes/workgroup (compile time only)
; SGPRBlocks: 0
; VGPRBlocks: 20
; NumSGPRsForWavesPerEU: 77
; NumVGPRsForWavesPerEU: 165
; Occupancy: 9
; WaveLimiterHint : 1
; COMPUTE_PGM_RSRC2:SCRATCH_EN: 1
; COMPUTE_PGM_RSRC2:USER_SGPR: 2
; COMPUTE_PGM_RSRC2:TRAP_HANDLER: 0
; COMPUTE_PGM_RSRC2:TGID_X_EN: 1
; COMPUTE_PGM_RSRC2:TGID_Y_EN: 0
; COMPUTE_PGM_RSRC2:TGID_Z_EN: 0
; COMPUTE_PGM_RSRC2:TIDIG_COMP_CNT: 0
	.section	.text._ZN9rocsolver6v33100L18getri_kernel_smallILi47E19rocblas_complex_numIdEPKPS3_EEvT1_iilPiilS8_bb,"axG",@progbits,_ZN9rocsolver6v33100L18getri_kernel_smallILi47E19rocblas_complex_numIdEPKPS3_EEvT1_iilPiilS8_bb,comdat
	.globl	_ZN9rocsolver6v33100L18getri_kernel_smallILi47E19rocblas_complex_numIdEPKPS3_EEvT1_iilPiilS8_bb ; -- Begin function _ZN9rocsolver6v33100L18getri_kernel_smallILi47E19rocblas_complex_numIdEPKPS3_EEvT1_iilPiilS8_bb
	.p2align	8
	.type	_ZN9rocsolver6v33100L18getri_kernel_smallILi47E19rocblas_complex_numIdEPKPS3_EEvT1_iilPiilS8_bb,@function
_ZN9rocsolver6v33100L18getri_kernel_smallILi47E19rocblas_complex_numIdEPKPS3_EEvT1_iilPiilS8_bb: ; @_ZN9rocsolver6v33100L18getri_kernel_smallILi47E19rocblas_complex_numIdEPKPS3_EEvT1_iilPiilS8_bb
; %bb.0:
	s_mov_b32 s2, exec_lo
	v_cmpx_gt_u32_e32 47, v0
	s_cbranch_execz .LBB110_202
; %bb.1:
	s_clause 0x1
	s_load_b32 s13, s[0:1], 0x38
	s_load_b64 s[2:3], s[0:1], 0x0
	s_mov_b32 s8, ttmp9
	s_load_b128 s[4:7], s[0:1], 0x28
	s_wait_kmcnt 0x0
	s_bitcmp1_b32 s13, 8
	s_cselect_b32 s12, -1, 0
	s_ashr_i32 s9, ttmp9, 31
	s_delay_alu instid0(SALU_CYCLE_1) | instskip(NEXT) | instid1(SALU_CYCLE_1)
	s_lshl_b64 s[10:11], s[8:9], 3
	s_add_nc_u64 s[2:3], s[2:3], s[10:11]
	s_load_b64 s[10:11], s[2:3], 0x0
	s_bfe_u32 s2, s13, 0x10008
	s_delay_alu instid0(SALU_CYCLE_1)
	s_cmp_eq_u32 s2, 0
                                        ; implicit-def: $sgpr2_sgpr3
	s_cbranch_scc1 .LBB110_3
; %bb.2:
	s_load_b96 s[16:18], s[0:1], 0x18
	s_mul_u64 s[2:3], s[4:5], s[8:9]
	s_delay_alu instid0(SALU_CYCLE_1)
	s_lshl_b64 s[2:3], s[2:3], 2
	s_wait_kmcnt 0x0
	s_ashr_i32 s5, s18, 31
	s_mov_b32 s4, s18
	s_add_nc_u64 s[2:3], s[16:17], s[2:3]
	s_lshl_b64 s[4:5], s[4:5], 2
	s_delay_alu instid0(SALU_CYCLE_1)
	s_add_nc_u64 s[2:3], s[2:3], s[4:5]
.LBB110_3:
	s_clause 0x1
	s_load_b64 s[4:5], s[0:1], 0x8
	s_load_b32 s56, s[0:1], 0x38
	v_lshlrev_b32_e32 v13, 4, v0
	s_movk_i32 s14, 0x90
	s_movk_i32 s16, 0xa0
	;; [unrolled: 1-line block ×17, first 2 shown]
	s_wait_kmcnt 0x0
	s_ashr_i32 s1, s4, 31
	s_mov_b32 s0, s4
	v_add3_u32 v5, s5, s5, v0
	s_lshl_b64 s[0:1], s[0:1], 4
	s_movk_i32 s33, 0x1a0
	s_add_nc_u64 s[0:1], s[10:11], s[0:1]
	s_ashr_i32 s11, s5, 31
	v_add_co_u32 v46, s4, s0, v13
	s_wait_alu 0xf1ff
	v_add_co_ci_u32_e64 v47, null, s1, 0, s4
	s_mov_b32 s10, s5
	v_ashrrev_i32_e32 v6, 31, v5
	s_lshl_b64 s[10:11], s[10:11], 4
	flat_load_b128 v[1:4], v[46:47]
	v_add_co_u32 v48, vcc_lo, v46, s10
	s_delay_alu instid0(VALU_DEP_1)
	v_add_co_ci_u32_e64 v49, null, s11, v47, vcc_lo
	v_lshlrev_b64_e32 v[6:7], 4, v[5:6]
	v_add_nc_u32_e32 v5, s5, v5
	s_movk_i32 s11, 0x80
	s_movk_i32 s57, 0x1b0
	;; [unrolled: 1-line block ×4, first 2 shown]
	v_add_co_u32 v50, vcc_lo, s0, v6
	s_wait_alu 0xfffd
	v_add_co_ci_u32_e64 v51, null, s1, v7, vcc_lo
	v_ashrrev_i32_e32 v6, 31, v5
	s_movk_i32 s60, 0x1e0
	s_movk_i32 s61, 0x1f0
	;; [unrolled: 1-line block ×4, first 2 shown]
	v_lshlrev_b64_e32 v[6:7], 4, v[5:6]
	v_add_nc_u32_e32 v5, s5, v5
	s_movk_i32 s64, 0x220
	s_movk_i32 s65, 0x230
	;; [unrolled: 1-line block ×4, first 2 shown]
	v_add_co_u32 v52, vcc_lo, s0, v6
	s_wait_alu 0xfffd
	v_add_co_ci_u32_e64 v53, null, s1, v7, vcc_lo
	v_ashrrev_i32_e32 v6, 31, v5
	s_movk_i32 s68, 0x260
	s_movk_i32 s69, 0x270
	;; [unrolled: 1-line block ×4, first 2 shown]
	v_lshlrev_b64_e32 v[6:7], 4, v[5:6]
	v_add_nc_u32_e32 v5, s5, v5
	s_movk_i32 s72, 0x2a0
	s_movk_i32 s73, 0x2b0
	;; [unrolled: 1-line block ×4, first 2 shown]
	v_add_co_u32 v54, vcc_lo, s0, v6
	s_wait_alu 0xfffd
	v_add_co_ci_u32_e64 v55, null, s1, v7, vcc_lo
	v_ashrrev_i32_e32 v6, 31, v5
	s_movk_i32 s76, 0x2e0
	s_wait_alu 0xfffe
	s_add_co_i32 s52, s11, 16
	s_add_co_i32 s51, s14, 16
	s_add_co_i32 s50, s16, 16
	v_lshlrev_b64_e32 v[6:7], 4, v[5:6]
	v_add_nc_u32_e32 v5, s5, v5
	s_add_co_i32 s49, s17, 16
	s_add_co_i32 s48, s18, 16
	s_add_co_i32 s47, s19, 16
	s_add_co_i32 s46, s20, 16
	v_add_co_u32 v56, vcc_lo, s0, v6
	s_wait_alu 0xfffd
	v_add_co_ci_u32_e64 v57, null, s1, v7, vcc_lo
	v_ashrrev_i32_e32 v6, 31, v5
	s_add_co_i32 s45, s21, 16
	s_add_co_i32 s44, s22, 16
	s_add_co_i32 s43, s23, 16
	s_add_co_i32 s42, s24, 16
	v_lshlrev_b64_e32 v[6:7], 4, v[5:6]
	v_add_nc_u32_e32 v5, s5, v5
	s_add_co_i32 s41, s25, 16
	s_add_co_i32 s40, s26, 16
	s_add_co_i32 s39, s27, 16
	s_add_co_i32 s38, s28, 16
	v_add_co_u32 v58, vcc_lo, s0, v6
	s_wait_alu 0xfffd
	v_add_co_ci_u32_e64 v59, null, s1, v7, vcc_lo
	v_ashrrev_i32_e32 v6, 31, v5
	s_add_co_i32 s37, s29, 16
	;; [unrolled: 14-line block ×4, first 2 shown]
	s_add_co_i32 s19, s70, 16
	s_add_co_i32 s18, s71, 16
	;; [unrolled: 1-line block ×3, first 2 shown]
	v_lshlrev_b64_e32 v[6:7], 4, v[5:6]
	v_add_nc_u32_e32 v5, s5, v5
	s_add_co_i32 s16, s73, 16
	s_add_co_i32 s14, s74, 16
	;; [unrolled: 1-line block ×3, first 2 shown]
	s_mov_b32 s15, 32
	v_add_co_u32 v64, vcc_lo, s0, v6
	s_wait_alu 0xfffd
	v_add_co_ci_u32_e64 v65, null, s1, v7, vcc_lo
	v_ashrrev_i32_e32 v6, 31, v5
	s_mov_b32 s13, 48
	s_mov_b32 s10, 64
	s_movk_i32 s4, 0x50
	s_delay_alu instid0(VALU_DEP_1) | instskip(SKIP_1) | instid1(VALU_DEP_2)
	v_lshlrev_b64_e32 v[6:7], 4, v[5:6]
	v_add_nc_u32_e32 v5, s5, v5
	v_add_co_u32 v66, vcc_lo, s0, v6
	s_wait_alu 0xfffd
	s_delay_alu instid0(VALU_DEP_3) | instskip(NEXT) | instid1(VALU_DEP_3)
	v_add_co_ci_u32_e64 v67, null, s1, v7, vcc_lo
	v_ashrrev_i32_e32 v6, 31, v5
	s_delay_alu instid0(VALU_DEP_1) | instskip(SKIP_1) | instid1(VALU_DEP_2)
	v_lshlrev_b64_e32 v[6:7], 4, v[5:6]
	v_add_nc_u32_e32 v5, s5, v5
	v_add_co_u32 v68, vcc_lo, s0, v6
	s_wait_alu 0xfffd
	s_delay_alu instid0(VALU_DEP_3) | instskip(NEXT) | instid1(VALU_DEP_3)
	v_add_co_ci_u32_e64 v69, null, s1, v7, vcc_lo
	v_ashrrev_i32_e32 v6, 31, v5
	;; [unrolled: 8-line block ×13, first 2 shown]
	s_delay_alu instid0(VALU_DEP_1)
	v_lshlrev_b64_e32 v[6:7], 4, v[5:6]
	s_wait_loadcnt_dscnt 0x0
	scratch_store_b128 off, v[1:4], off offset:16
	flat_load_b128 v[1:4], v[48:49]
	v_add_nc_u32_e32 v5, s5, v5
	v_add_co_u32 v92, vcc_lo, s0, v6
	s_wait_alu 0xfffd
	v_add_co_ci_u32_e64 v93, null, s1, v7, vcc_lo
	s_delay_alu instid0(VALU_DEP_3) | instskip(NEXT) | instid1(VALU_DEP_1)
	v_ashrrev_i32_e32 v6, 31, v5
	v_lshlrev_b64_e32 v[6:7], 4, v[5:6]
	v_add_nc_u32_e32 v5, s5, v5
	s_delay_alu instid0(VALU_DEP_2) | instskip(SKIP_1) | instid1(VALU_DEP_3)
	v_add_co_u32 v94, vcc_lo, s0, v6
	s_wait_alu 0xfffd
	v_add_co_ci_u32_e64 v95, null, s1, v7, vcc_lo
	s_delay_alu instid0(VALU_DEP_3) | instskip(NEXT) | instid1(VALU_DEP_1)
	v_ashrrev_i32_e32 v6, 31, v5
	v_lshlrev_b64_e32 v[6:7], 4, v[5:6]
	v_add_nc_u32_e32 v5, s5, v5
	s_delay_alu instid0(VALU_DEP_2) | instskip(SKIP_1) | instid1(VALU_DEP_3)
	;; [unrolled: 8-line block ×20, first 2 shown]
	v_add_co_u32 v132, vcc_lo, s0, v6
	s_wait_alu 0xfffd
	v_add_co_ci_u32_e64 v133, null, s1, v7, vcc_lo
	s_delay_alu instid0(VALU_DEP_3) | instskip(NEXT) | instid1(VALU_DEP_1)
	v_ashrrev_i32_e32 v6, 31, v5
	v_lshlrev_b64_e32 v[6:7], 4, v[5:6]
	v_add_nc_u32_e32 v5, s5, v5
	s_delay_alu instid0(VALU_DEP_2)
	v_add_co_u32 v134, vcc_lo, s0, v6
	s_wait_loadcnt_dscnt 0x0
	scratch_store_b128 off, v[1:4], off offset:32
	flat_load_b128 v[1:4], v[50:51]
	s_wait_alu 0xfffd
	v_add_co_ci_u32_e64 v135, null, s1, v7, vcc_lo
	v_ashrrev_i32_e32 v6, 31, v5
	s_delay_alu instid0(VALU_DEP_1)
	v_lshlrev_b64_e32 v[6:7], 4, v[5:6]
	v_add_nc_u32_e32 v5, s5, v5
	s_movk_i32 s5, 0x70
	s_wait_alu 0xfffe
	s_add_co_i32 s53, s5, 16
	s_add_co_i32 s5, s76, 16
	v_add_co_u32 v136, vcc_lo, s0, v6
	s_wait_alu 0xfffd
	v_add_co_ci_u32_e64 v137, null, s1, v7, vcc_lo
	v_ashrrev_i32_e32 v6, 31, v5
	s_delay_alu instid0(VALU_DEP_1) | instskip(NEXT) | instid1(VALU_DEP_1)
	v_lshlrev_b64_e32 v[5:6], 4, v[5:6]
	v_add_co_u32 v138, vcc_lo, s0, v5
	s_wait_alu 0xfffd
	s_delay_alu instid0(VALU_DEP_2)
	v_add_co_ci_u32_e64 v139, null, s1, v6, vcc_lo
	s_movk_i32 s0, 0x50
	s_movk_i32 s1, 0x60
	s_wait_alu 0xfffe
	s_add_co_i32 s55, s0, 16
	s_add_co_i32 s54, s1, 16
	s_bitcmp0_b32 s56, 0
	s_mov_b32 s1, -1
	s_wait_loadcnt_dscnt 0x0
	scratch_store_b128 off, v[1:4], off offset:48
	flat_load_b128 v[1:4], v[52:53]
	s_wait_loadcnt_dscnt 0x0
	scratch_store_b128 off, v[1:4], off offset:64
	flat_load_b128 v[1:4], v[54:55]
	;; [unrolled: 3-line block ×44, first 2 shown]
	s_wait_loadcnt_dscnt 0x0
	scratch_store_b128 off, v[1:4], off offset:752
	s_cbranch_scc1 .LBB110_200
; %bb.4:
	v_cmp_eq_u32_e64 s0, 0, v0
	s_and_saveexec_b32 s1, s0
; %bb.5:
	v_mov_b32_e32 v1, 0
	ds_store_b32 v1, v1 offset:1504
; %bb.6:
	s_wait_alu 0xfffe
	s_or_b32 exec_lo, exec_lo, s1
	s_wait_storecnt_dscnt 0x0
	s_barrier_signal -1
	s_barrier_wait -1
	global_inv scope:SCOPE_SE
	scratch_load_b128 v[1:4], v13, off offset:16
	s_wait_loadcnt 0x0
	v_cmp_eq_f64_e32 vcc_lo, 0, v[1:2]
	v_cmp_eq_f64_e64 s1, 0, v[3:4]
	s_and_b32 s1, vcc_lo, s1
	s_wait_alu 0xfffe
	s_and_saveexec_b32 s56, s1
	s_cbranch_execz .LBB110_10
; %bb.7:
	v_mov_b32_e32 v1, 0
	s_mov_b32 s57, 0
	ds_load_b32 v2, v1 offset:1504
	s_wait_dscnt 0x0
	v_readfirstlane_b32 s1, v2
	v_add_nc_u32_e32 v2, 1, v0
	s_cmp_eq_u32 s1, 0
	s_delay_alu instid0(VALU_DEP_1) | instskip(SKIP_1) | instid1(SALU_CYCLE_1)
	v_cmp_gt_i32_e32 vcc_lo, s1, v2
	s_cselect_b32 s58, -1, 0
	s_or_b32 s58, s58, vcc_lo
	s_delay_alu instid0(SALU_CYCLE_1)
	s_and_b32 exec_lo, exec_lo, s58
	s_cbranch_execz .LBB110_10
; %bb.8:
	v_mov_b32_e32 v3, s1
.LBB110_9:                              ; =>This Inner Loop Header: Depth=1
	ds_cmpstore_rtn_b32 v3, v1, v2, v3 offset:1504
	s_wait_dscnt 0x0
	v_cmp_ne_u32_e32 vcc_lo, 0, v3
	v_cmp_le_i32_e64 s1, v3, v2
	s_and_b32 s1, vcc_lo, s1
	s_wait_alu 0xfffe
	s_and_b32 s1, exec_lo, s1
	s_wait_alu 0xfffe
	s_or_b32 s57, s1, s57
	s_delay_alu instid0(SALU_CYCLE_1)
	s_and_not1_b32 exec_lo, exec_lo, s57
	s_cbranch_execnz .LBB110_9
.LBB110_10:
	s_or_b32 exec_lo, exec_lo, s56
	v_mov_b32_e32 v1, 0
	s_barrier_signal -1
	s_barrier_wait -1
	global_inv scope:SCOPE_SE
	ds_load_b32 v2, v1 offset:1504
	s_and_saveexec_b32 s1, s0
	s_cbranch_execz .LBB110_12
; %bb.11:
	s_lshl_b64 s[56:57], s[8:9], 2
	s_delay_alu instid0(SALU_CYCLE_1)
	s_add_nc_u64 s[56:57], s[6:7], s[56:57]
	s_wait_dscnt 0x0
	global_store_b32 v1, v2, s[56:57]
.LBB110_12:
	s_wait_alu 0xfffe
	s_or_b32 exec_lo, exec_lo, s1
	s_wait_dscnt 0x0
	v_cmp_ne_u32_e32 vcc_lo, 0, v2
	s_mov_b32 s1, 0
	s_cbranch_vccnz .LBB110_200
; %bb.13:
	v_add_nc_u32_e32 v14, 16, v13
                                        ; implicit-def: $vgpr1_vgpr2
                                        ; implicit-def: $vgpr9_vgpr10
	scratch_load_b128 v[5:8], v14, off
	s_wait_loadcnt 0x0
	v_cmp_ngt_f64_e64 s1, |v[5:6]|, |v[7:8]|
	s_wait_alu 0xfffe
	s_and_saveexec_b32 s56, s1
	s_delay_alu instid0(SALU_CYCLE_1)
	s_xor_b32 s1, exec_lo, s56
	s_cbranch_execz .LBB110_15
; %bb.14:
	v_div_scale_f64 v[1:2], null, v[7:8], v[7:8], v[5:6]
	v_div_scale_f64 v[11:12], vcc_lo, v[5:6], v[7:8], v[5:6]
	s_delay_alu instid0(VALU_DEP_2) | instskip(NEXT) | instid1(TRANS32_DEP_1)
	v_rcp_f64_e32 v[3:4], v[1:2]
	v_fma_f64 v[9:10], -v[1:2], v[3:4], 1.0
	s_delay_alu instid0(VALU_DEP_1) | instskip(NEXT) | instid1(VALU_DEP_1)
	v_fma_f64 v[3:4], v[3:4], v[9:10], v[3:4]
	v_fma_f64 v[9:10], -v[1:2], v[3:4], 1.0
	s_delay_alu instid0(VALU_DEP_1) | instskip(NEXT) | instid1(VALU_DEP_1)
	v_fma_f64 v[3:4], v[3:4], v[9:10], v[3:4]
	v_mul_f64_e32 v[9:10], v[11:12], v[3:4]
	s_delay_alu instid0(VALU_DEP_1) | instskip(SKIP_1) | instid1(VALU_DEP_1)
	v_fma_f64 v[1:2], -v[1:2], v[9:10], v[11:12]
	s_wait_alu 0xfffd
	v_div_fmas_f64 v[1:2], v[1:2], v[3:4], v[9:10]
	s_delay_alu instid0(VALU_DEP_1) | instskip(NEXT) | instid1(VALU_DEP_1)
	v_div_fixup_f64 v[1:2], v[1:2], v[7:8], v[5:6]
	v_fma_f64 v[3:4], v[5:6], v[1:2], v[7:8]
	s_delay_alu instid0(VALU_DEP_1) | instskip(SKIP_1) | instid1(VALU_DEP_2)
	v_div_scale_f64 v[5:6], null, v[3:4], v[3:4], 1.0
	v_div_scale_f64 v[11:12], vcc_lo, 1.0, v[3:4], 1.0
	v_rcp_f64_e32 v[7:8], v[5:6]
	s_delay_alu instid0(TRANS32_DEP_1) | instskip(NEXT) | instid1(VALU_DEP_1)
	v_fma_f64 v[9:10], -v[5:6], v[7:8], 1.0
	v_fma_f64 v[7:8], v[7:8], v[9:10], v[7:8]
	s_delay_alu instid0(VALU_DEP_1) | instskip(NEXT) | instid1(VALU_DEP_1)
	v_fma_f64 v[9:10], -v[5:6], v[7:8], 1.0
	v_fma_f64 v[7:8], v[7:8], v[9:10], v[7:8]
	s_delay_alu instid0(VALU_DEP_1) | instskip(NEXT) | instid1(VALU_DEP_1)
	v_mul_f64_e32 v[9:10], v[11:12], v[7:8]
	v_fma_f64 v[5:6], -v[5:6], v[9:10], v[11:12]
	s_wait_alu 0xfffd
	s_delay_alu instid0(VALU_DEP_1) | instskip(NEXT) | instid1(VALU_DEP_1)
	v_div_fmas_f64 v[5:6], v[5:6], v[7:8], v[9:10]
	v_div_fixup_f64 v[3:4], v[5:6], v[3:4], 1.0
                                        ; implicit-def: $vgpr5_vgpr6
	s_delay_alu instid0(VALU_DEP_1) | instskip(SKIP_1) | instid1(VALU_DEP_2)
	v_mul_f64_e32 v[1:2], v[1:2], v[3:4]
	v_xor_b32_e32 v4, 0x80000000, v4
	v_xor_b32_e32 v10, 0x80000000, v2
	s_delay_alu instid0(VALU_DEP_3)
	v_mov_b32_e32 v9, v1
.LBB110_15:
	s_wait_alu 0xfffe
	s_and_not1_saveexec_b32 s1, s1
	s_cbranch_execz .LBB110_17
; %bb.16:
	v_div_scale_f64 v[1:2], null, v[5:6], v[5:6], v[7:8]
	v_div_scale_f64 v[11:12], vcc_lo, v[7:8], v[5:6], v[7:8]
	s_delay_alu instid0(VALU_DEP_2) | instskip(NEXT) | instid1(TRANS32_DEP_1)
	v_rcp_f64_e32 v[3:4], v[1:2]
	v_fma_f64 v[9:10], -v[1:2], v[3:4], 1.0
	s_delay_alu instid0(VALU_DEP_1) | instskip(NEXT) | instid1(VALU_DEP_1)
	v_fma_f64 v[3:4], v[3:4], v[9:10], v[3:4]
	v_fma_f64 v[9:10], -v[1:2], v[3:4], 1.0
	s_delay_alu instid0(VALU_DEP_1) | instskip(NEXT) | instid1(VALU_DEP_1)
	v_fma_f64 v[3:4], v[3:4], v[9:10], v[3:4]
	v_mul_f64_e32 v[9:10], v[11:12], v[3:4]
	s_delay_alu instid0(VALU_DEP_1) | instskip(SKIP_1) | instid1(VALU_DEP_1)
	v_fma_f64 v[1:2], -v[1:2], v[9:10], v[11:12]
	s_wait_alu 0xfffd
	v_div_fmas_f64 v[1:2], v[1:2], v[3:4], v[9:10]
	s_delay_alu instid0(VALU_DEP_1) | instskip(NEXT) | instid1(VALU_DEP_1)
	v_div_fixup_f64 v[3:4], v[1:2], v[5:6], v[7:8]
	v_fma_f64 v[1:2], v[7:8], v[3:4], v[5:6]
	s_delay_alu instid0(VALU_DEP_1) | instskip(NEXT) | instid1(VALU_DEP_1)
	v_div_scale_f64 v[5:6], null, v[1:2], v[1:2], 1.0
	v_rcp_f64_e32 v[7:8], v[5:6]
	s_delay_alu instid0(TRANS32_DEP_1) | instskip(NEXT) | instid1(VALU_DEP_1)
	v_fma_f64 v[9:10], -v[5:6], v[7:8], 1.0
	v_fma_f64 v[7:8], v[7:8], v[9:10], v[7:8]
	s_delay_alu instid0(VALU_DEP_1) | instskip(NEXT) | instid1(VALU_DEP_1)
	v_fma_f64 v[9:10], -v[5:6], v[7:8], 1.0
	v_fma_f64 v[7:8], v[7:8], v[9:10], v[7:8]
	v_div_scale_f64 v[9:10], vcc_lo, 1.0, v[1:2], 1.0
	s_delay_alu instid0(VALU_DEP_1) | instskip(NEXT) | instid1(VALU_DEP_1)
	v_mul_f64_e32 v[11:12], v[9:10], v[7:8]
	v_fma_f64 v[5:6], -v[5:6], v[11:12], v[9:10]
	s_wait_alu 0xfffd
	s_delay_alu instid0(VALU_DEP_1) | instskip(NEXT) | instid1(VALU_DEP_1)
	v_div_fmas_f64 v[5:6], v[5:6], v[7:8], v[11:12]
	v_div_fixup_f64 v[1:2], v[5:6], v[1:2], 1.0
	s_delay_alu instid0(VALU_DEP_1)
	v_mul_f64_e64 v[3:4], v[3:4], -v[1:2]
	v_xor_b32_e32 v10, 0x80000000, v2
	v_mov_b32_e32 v9, v1
.LBB110_17:
	s_wait_alu 0xfffe
	s_or_b32 exec_lo, exec_lo, s1
	scratch_store_b128 v14, v[1:4], off
	scratch_load_b128 v[15:18], off, s15
	v_xor_b32_e32 v12, 0x80000000, v4
	v_mov_b32_e32 v11, v3
	v_add_nc_u32_e32 v5, 0x2f0, v13
	ds_store_b128 v13, v[9:12]
	s_wait_loadcnt 0x0
	ds_store_b128 v13, v[15:18] offset:752
	s_wait_storecnt_dscnt 0x0
	s_barrier_signal -1
	s_barrier_wait -1
	global_inv scope:SCOPE_SE
	s_and_saveexec_b32 s1, s0
	s_cbranch_execz .LBB110_19
; %bb.18:
	scratch_load_b128 v[1:4], v14, off
	ds_load_b128 v[6:9], v5
	v_mov_b32_e32 v10, 0
	ds_load_b128 v[15:18], v10 offset:16
	s_wait_loadcnt_dscnt 0x1
	v_mul_f64_e32 v[10:11], v[6:7], v[3:4]
	v_mul_f64_e32 v[3:4], v[8:9], v[3:4]
	s_delay_alu instid0(VALU_DEP_2) | instskip(NEXT) | instid1(VALU_DEP_2)
	v_fma_f64 v[8:9], v[8:9], v[1:2], v[10:11]
	v_fma_f64 v[1:2], v[6:7], v[1:2], -v[3:4]
	s_delay_alu instid0(VALU_DEP_2) | instskip(NEXT) | instid1(VALU_DEP_2)
	v_add_f64_e32 v[3:4], 0, v[8:9]
	v_add_f64_e32 v[1:2], 0, v[1:2]
	s_wait_dscnt 0x0
	s_delay_alu instid0(VALU_DEP_2) | instskip(NEXT) | instid1(VALU_DEP_2)
	v_mul_f64_e32 v[6:7], v[3:4], v[17:18]
	v_mul_f64_e32 v[8:9], v[1:2], v[17:18]
	s_delay_alu instid0(VALU_DEP_2) | instskip(NEXT) | instid1(VALU_DEP_2)
	v_fma_f64 v[1:2], v[1:2], v[15:16], -v[6:7]
	v_fma_f64 v[3:4], v[3:4], v[15:16], v[8:9]
	scratch_store_b128 off, v[1:4], off offset:32
.LBB110_19:
	s_wait_alu 0xfffe
	s_or_b32 exec_lo, exec_lo, s1
	s_wait_loadcnt 0x0
	s_wait_storecnt 0x0
	s_barrier_signal -1
	s_barrier_wait -1
	global_inv scope:SCOPE_SE
	scratch_load_b128 v[1:4], off, s13
	s_mov_b32 s1, exec_lo
	s_wait_loadcnt 0x0
	ds_store_b128 v5, v[1:4]
	s_wait_dscnt 0x0
	s_barrier_signal -1
	s_barrier_wait -1
	global_inv scope:SCOPE_SE
	v_cmpx_gt_u32_e32 2, v0
	s_cbranch_execz .LBB110_23
; %bb.20:
	scratch_load_b128 v[1:4], v14, off
	ds_load_b128 v[6:9], v5
	s_wait_loadcnt_dscnt 0x0
	v_mul_f64_e32 v[10:11], v[8:9], v[3:4]
	v_mul_f64_e32 v[3:4], v[6:7], v[3:4]
	s_delay_alu instid0(VALU_DEP_2) | instskip(NEXT) | instid1(VALU_DEP_2)
	v_fma_f64 v[6:7], v[6:7], v[1:2], -v[10:11]
	v_fma_f64 v[3:4], v[8:9], v[1:2], v[3:4]
	s_delay_alu instid0(VALU_DEP_2) | instskip(NEXT) | instid1(VALU_DEP_2)
	v_add_f64_e32 v[1:2], 0, v[6:7]
	v_add_f64_e32 v[3:4], 0, v[3:4]
	s_and_saveexec_b32 s56, s0
	s_cbranch_execz .LBB110_22
; %bb.21:
	scratch_load_b128 v[6:9], off, off offset:32
	v_mov_b32_e32 v10, 0
	ds_load_b128 v[15:18], v10 offset:768
	s_wait_loadcnt_dscnt 0x0
	v_mul_f64_e32 v[10:11], v[15:16], v[8:9]
	v_mul_f64_e32 v[8:9], v[17:18], v[8:9]
	s_delay_alu instid0(VALU_DEP_2) | instskip(NEXT) | instid1(VALU_DEP_2)
	v_fma_f64 v[10:11], v[17:18], v[6:7], v[10:11]
	v_fma_f64 v[6:7], v[15:16], v[6:7], -v[8:9]
	s_delay_alu instid0(VALU_DEP_2) | instskip(NEXT) | instid1(VALU_DEP_2)
	v_add_f64_e32 v[3:4], v[3:4], v[10:11]
	v_add_f64_e32 v[1:2], v[1:2], v[6:7]
.LBB110_22:
	s_or_b32 exec_lo, exec_lo, s56
	v_mov_b32_e32 v6, 0
	ds_load_b128 v[6:9], v6 offset:32
	s_wait_dscnt 0x0
	v_mul_f64_e32 v[10:11], v[3:4], v[8:9]
	v_mul_f64_e32 v[8:9], v[1:2], v[8:9]
	s_delay_alu instid0(VALU_DEP_2) | instskip(NEXT) | instid1(VALU_DEP_2)
	v_fma_f64 v[1:2], v[1:2], v[6:7], -v[10:11]
	v_fma_f64 v[3:4], v[3:4], v[6:7], v[8:9]
	scratch_store_b128 off, v[1:4], off offset:48
.LBB110_23:
	s_wait_alu 0xfffe
	s_or_b32 exec_lo, exec_lo, s1
	s_wait_loadcnt 0x0
	s_wait_storecnt 0x0
	s_barrier_signal -1
	s_barrier_wait -1
	global_inv scope:SCOPE_SE
	scratch_load_b128 v[1:4], off, s10
	v_add_nc_u32_e32 v6, -1, v0
	s_mov_b32 s0, exec_lo
	s_wait_loadcnt 0x0
	ds_store_b128 v5, v[1:4]
	s_wait_dscnt 0x0
	s_barrier_signal -1
	s_barrier_wait -1
	global_inv scope:SCOPE_SE
	v_cmpx_gt_u32_e32 3, v0
	s_cbranch_execz .LBB110_27
; %bb.24:
	v_dual_mov_b32 v1, 0 :: v_dual_add_nc_u32 v8, 0x2f0, v13
	v_mov_b32_e32 v3, 0
	v_dual_mov_b32 v2, 0 :: v_dual_add_nc_u32 v7, -1, v0
	v_mov_b32_e32 v4, 0
	v_or_b32_e32 v9, 8, v14
	s_mov_b32 s1, 0
.LBB110_25:                             ; =>This Inner Loop Header: Depth=1
	scratch_load_b128 v[15:18], v9, off offset:-8
	ds_load_b128 v[19:22], v8
	v_add_nc_u32_e32 v7, 1, v7
	v_add_nc_u32_e32 v8, 16, v8
	v_add_nc_u32_e32 v9, 16, v9
	s_delay_alu instid0(VALU_DEP_3)
	v_cmp_lt_u32_e32 vcc_lo, 1, v7
	s_wait_alu 0xfffe
	s_or_b32 s1, vcc_lo, s1
	s_wait_loadcnt_dscnt 0x0
	v_mul_f64_e32 v[10:11], v[21:22], v[17:18]
	v_mul_f64_e32 v[17:18], v[19:20], v[17:18]
	s_delay_alu instid0(VALU_DEP_2) | instskip(NEXT) | instid1(VALU_DEP_2)
	v_fma_f64 v[10:11], v[19:20], v[15:16], -v[10:11]
	v_fma_f64 v[15:16], v[21:22], v[15:16], v[17:18]
	s_delay_alu instid0(VALU_DEP_2) | instskip(NEXT) | instid1(VALU_DEP_2)
	v_add_f64_e32 v[3:4], v[3:4], v[10:11]
	v_add_f64_e32 v[1:2], v[1:2], v[15:16]
	s_wait_alu 0xfffe
	s_and_not1_b32 exec_lo, exec_lo, s1
	s_cbranch_execnz .LBB110_25
; %bb.26:
	s_or_b32 exec_lo, exec_lo, s1
	v_mov_b32_e32 v7, 0
	ds_load_b128 v[7:10], v7 offset:48
	s_wait_dscnt 0x0
	v_mul_f64_e32 v[11:12], v[1:2], v[9:10]
	v_mul_f64_e32 v[15:16], v[3:4], v[9:10]
	s_delay_alu instid0(VALU_DEP_2) | instskip(NEXT) | instid1(VALU_DEP_2)
	v_fma_f64 v[9:10], v[3:4], v[7:8], -v[11:12]
	v_fma_f64 v[11:12], v[1:2], v[7:8], v[15:16]
	scratch_store_b128 off, v[9:12], off offset:64
.LBB110_27:
	s_wait_alu 0xfffe
	s_or_b32 exec_lo, exec_lo, s0
	s_wait_loadcnt 0x0
	s_wait_storecnt 0x0
	s_barrier_signal -1
	s_barrier_wait -1
	global_inv scope:SCOPE_SE
	scratch_load_b128 v[1:4], off, s4
	s_mov_b32 s0, exec_lo
	s_wait_loadcnt 0x0
	ds_store_b128 v5, v[1:4]
	s_wait_dscnt 0x0
	s_barrier_signal -1
	s_barrier_wait -1
	global_inv scope:SCOPE_SE
	v_cmpx_gt_u32_e32 4, v0
	s_cbranch_execz .LBB110_31
; %bb.28:
	v_dual_mov_b32 v1, 0 :: v_dual_add_nc_u32 v8, 0x2f0, v13
	v_mov_b32_e32 v3, 0
	v_dual_mov_b32 v2, 0 :: v_dual_add_nc_u32 v7, -1, v0
	v_mov_b32_e32 v4, 0
	v_or_b32_e32 v9, 8, v14
	s_mov_b32 s1, 0
.LBB110_29:                             ; =>This Inner Loop Header: Depth=1
	scratch_load_b128 v[15:18], v9, off offset:-8
	ds_load_b128 v[19:22], v8
	v_add_nc_u32_e32 v7, 1, v7
	v_add_nc_u32_e32 v8, 16, v8
	v_add_nc_u32_e32 v9, 16, v9
	s_delay_alu instid0(VALU_DEP_3)
	v_cmp_lt_u32_e32 vcc_lo, 2, v7
	s_wait_alu 0xfffe
	s_or_b32 s1, vcc_lo, s1
	s_wait_loadcnt_dscnt 0x0
	v_mul_f64_e32 v[10:11], v[21:22], v[17:18]
	v_mul_f64_e32 v[17:18], v[19:20], v[17:18]
	s_delay_alu instid0(VALU_DEP_2) | instskip(NEXT) | instid1(VALU_DEP_2)
	v_fma_f64 v[10:11], v[19:20], v[15:16], -v[10:11]
	v_fma_f64 v[15:16], v[21:22], v[15:16], v[17:18]
	s_delay_alu instid0(VALU_DEP_2) | instskip(NEXT) | instid1(VALU_DEP_2)
	v_add_f64_e32 v[3:4], v[3:4], v[10:11]
	v_add_f64_e32 v[1:2], v[1:2], v[15:16]
	s_wait_alu 0xfffe
	s_and_not1_b32 exec_lo, exec_lo, s1
	s_cbranch_execnz .LBB110_29
; %bb.30:
	s_or_b32 exec_lo, exec_lo, s1
	v_mov_b32_e32 v7, 0
	ds_load_b128 v[7:10], v7 offset:64
	s_wait_dscnt 0x0
	v_mul_f64_e32 v[11:12], v[1:2], v[9:10]
	v_mul_f64_e32 v[15:16], v[3:4], v[9:10]
	s_delay_alu instid0(VALU_DEP_2) | instskip(NEXT) | instid1(VALU_DEP_2)
	v_fma_f64 v[9:10], v[3:4], v[7:8], -v[11:12]
	v_fma_f64 v[11:12], v[1:2], v[7:8], v[15:16]
	scratch_store_b128 off, v[9:12], off offset:80
.LBB110_31:
	s_wait_alu 0xfffe
	s_or_b32 exec_lo, exec_lo, s0
	s_wait_loadcnt 0x0
	s_wait_storecnt 0x0
	s_barrier_signal -1
	s_barrier_wait -1
	global_inv scope:SCOPE_SE
	scratch_load_b128 v[1:4], off, s55
	;; [unrolled: 58-line block ×19, first 2 shown]
	s_mov_b32 s0, exec_lo
	s_wait_loadcnt 0x0
	ds_store_b128 v5, v[1:4]
	s_wait_dscnt 0x0
	s_barrier_signal -1
	s_barrier_wait -1
	global_inv scope:SCOPE_SE
	v_cmpx_gt_u32_e32 22, v0
	s_cbranch_execz .LBB110_103
; %bb.100:
	v_dual_mov_b32 v1, 0 :: v_dual_add_nc_u32 v8, 0x2f0, v13
	v_mov_b32_e32 v3, 0
	v_dual_mov_b32 v2, 0 :: v_dual_add_nc_u32 v7, -1, v0
	v_mov_b32_e32 v4, 0
	v_or_b32_e32 v9, 8, v14
	s_mov_b32 s1, 0
.LBB110_101:                            ; =>This Inner Loop Header: Depth=1
	scratch_load_b128 v[15:18], v9, off offset:-8
	ds_load_b128 v[19:22], v8
	v_add_nc_u32_e32 v7, 1, v7
	v_add_nc_u32_e32 v8, 16, v8
	v_add_nc_u32_e32 v9, 16, v9
	s_delay_alu instid0(VALU_DEP_3)
	v_cmp_lt_u32_e32 vcc_lo, 20, v7
	s_wait_alu 0xfffe
	s_or_b32 s1, vcc_lo, s1
	s_wait_loadcnt_dscnt 0x0
	v_mul_f64_e32 v[10:11], v[21:22], v[17:18]
	v_mul_f64_e32 v[17:18], v[19:20], v[17:18]
	s_delay_alu instid0(VALU_DEP_2) | instskip(NEXT) | instid1(VALU_DEP_2)
	v_fma_f64 v[10:11], v[19:20], v[15:16], -v[10:11]
	v_fma_f64 v[15:16], v[21:22], v[15:16], v[17:18]
	s_delay_alu instid0(VALU_DEP_2) | instskip(NEXT) | instid1(VALU_DEP_2)
	v_add_f64_e32 v[3:4], v[3:4], v[10:11]
	v_add_f64_e32 v[1:2], v[1:2], v[15:16]
	s_wait_alu 0xfffe
	s_and_not1_b32 exec_lo, exec_lo, s1
	s_cbranch_execnz .LBB110_101
; %bb.102:
	s_or_b32 exec_lo, exec_lo, s1
	v_mov_b32_e32 v7, 0
	ds_load_b128 v[7:10], v7 offset:352
	s_wait_dscnt 0x0
	v_mul_f64_e32 v[11:12], v[1:2], v[9:10]
	v_mul_f64_e32 v[15:16], v[3:4], v[9:10]
	s_delay_alu instid0(VALU_DEP_2) | instskip(NEXT) | instid1(VALU_DEP_2)
	v_fma_f64 v[9:10], v[3:4], v[7:8], -v[11:12]
	v_fma_f64 v[11:12], v[1:2], v[7:8], v[15:16]
	scratch_store_b128 off, v[9:12], off offset:368
.LBB110_103:
	s_wait_alu 0xfffe
	s_or_b32 exec_lo, exec_lo, s0
	s_wait_loadcnt 0x0
	s_wait_storecnt 0x0
	s_barrier_signal -1
	s_barrier_wait -1
	global_inv scope:SCOPE_SE
	scratch_load_b128 v[1:4], off, s37
	s_mov_b32 s0, exec_lo
	s_wait_loadcnt 0x0
	ds_store_b128 v5, v[1:4]
	s_wait_dscnt 0x0
	s_barrier_signal -1
	s_barrier_wait -1
	global_inv scope:SCOPE_SE
	v_cmpx_gt_u32_e32 23, v0
	s_cbranch_execz .LBB110_107
; %bb.104:
	v_dual_mov_b32 v1, 0 :: v_dual_add_nc_u32 v8, 0x2f0, v13
	v_mov_b32_e32 v3, 0
	v_dual_mov_b32 v2, 0 :: v_dual_add_nc_u32 v7, -1, v0
	v_mov_b32_e32 v4, 0
	v_or_b32_e32 v9, 8, v14
	s_mov_b32 s1, 0
.LBB110_105:                            ; =>This Inner Loop Header: Depth=1
	scratch_load_b128 v[15:18], v9, off offset:-8
	ds_load_b128 v[19:22], v8
	v_add_nc_u32_e32 v7, 1, v7
	v_add_nc_u32_e32 v8, 16, v8
	v_add_nc_u32_e32 v9, 16, v9
	s_delay_alu instid0(VALU_DEP_3)
	v_cmp_lt_u32_e32 vcc_lo, 21, v7
	s_wait_alu 0xfffe
	s_or_b32 s1, vcc_lo, s1
	s_wait_loadcnt_dscnt 0x0
	v_mul_f64_e32 v[10:11], v[21:22], v[17:18]
	v_mul_f64_e32 v[17:18], v[19:20], v[17:18]
	s_delay_alu instid0(VALU_DEP_2) | instskip(NEXT) | instid1(VALU_DEP_2)
	v_fma_f64 v[10:11], v[19:20], v[15:16], -v[10:11]
	v_fma_f64 v[15:16], v[21:22], v[15:16], v[17:18]
	s_delay_alu instid0(VALU_DEP_2) | instskip(NEXT) | instid1(VALU_DEP_2)
	v_add_f64_e32 v[3:4], v[3:4], v[10:11]
	v_add_f64_e32 v[1:2], v[1:2], v[15:16]
	s_wait_alu 0xfffe
	s_and_not1_b32 exec_lo, exec_lo, s1
	s_cbranch_execnz .LBB110_105
; %bb.106:
	s_or_b32 exec_lo, exec_lo, s1
	v_mov_b32_e32 v7, 0
	ds_load_b128 v[7:10], v7 offset:368
	s_wait_dscnt 0x0
	v_mul_f64_e32 v[11:12], v[1:2], v[9:10]
	v_mul_f64_e32 v[15:16], v[3:4], v[9:10]
	s_delay_alu instid0(VALU_DEP_2) | instskip(NEXT) | instid1(VALU_DEP_2)
	v_fma_f64 v[9:10], v[3:4], v[7:8], -v[11:12]
	v_fma_f64 v[11:12], v[1:2], v[7:8], v[15:16]
	scratch_store_b128 off, v[9:12], off offset:384
.LBB110_107:
	s_wait_alu 0xfffe
	s_or_b32 exec_lo, exec_lo, s0
	s_wait_loadcnt 0x0
	s_wait_storecnt 0x0
	s_barrier_signal -1
	s_barrier_wait -1
	global_inv scope:SCOPE_SE
	scratch_load_b128 v[1:4], off, s36
	;; [unrolled: 58-line block ×24, first 2 shown]
	s_mov_b32 s0, exec_lo
	s_wait_loadcnt 0x0
	ds_store_b128 v5, v[1:4]
	s_wait_dscnt 0x0
	s_barrier_signal -1
	s_barrier_wait -1
	global_inv scope:SCOPE_SE
	v_cmpx_ne_u32_e32 46, v0
	s_cbranch_execz .LBB110_199
; %bb.196:
	v_mov_b32_e32 v1, 0
	v_dual_mov_b32 v2, 0 :: v_dual_mov_b32 v3, 0
	v_mov_b32_e32 v4, 0
	v_or_b32_e32 v7, 8, v14
	s_mov_b32 s1, 0
.LBB110_197:                            ; =>This Inner Loop Header: Depth=1
	scratch_load_b128 v[8:11], v7, off offset:-8
	ds_load_b128 v[12:15], v5
	v_add_nc_u32_e32 v6, 1, v6
	v_add_nc_u32_e32 v5, 16, v5
	;; [unrolled: 1-line block ×3, first 2 shown]
	s_delay_alu instid0(VALU_DEP_3)
	v_cmp_lt_u32_e32 vcc_lo, 44, v6
	s_wait_alu 0xfffe
	s_or_b32 s1, vcc_lo, s1
	s_wait_loadcnt_dscnt 0x0
	v_mul_f64_e32 v[16:17], v[14:15], v[10:11]
	v_mul_f64_e32 v[10:11], v[12:13], v[10:11]
	s_delay_alu instid0(VALU_DEP_2) | instskip(NEXT) | instid1(VALU_DEP_2)
	v_fma_f64 v[12:13], v[12:13], v[8:9], -v[16:17]
	v_fma_f64 v[8:9], v[14:15], v[8:9], v[10:11]
	s_delay_alu instid0(VALU_DEP_2) | instskip(NEXT) | instid1(VALU_DEP_2)
	v_add_f64_e32 v[3:4], v[3:4], v[12:13]
	v_add_f64_e32 v[1:2], v[1:2], v[8:9]
	s_wait_alu 0xfffe
	s_and_not1_b32 exec_lo, exec_lo, s1
	s_cbranch_execnz .LBB110_197
; %bb.198:
	s_or_b32 exec_lo, exec_lo, s1
	v_mov_b32_e32 v5, 0
	ds_load_b128 v[5:8], v5 offset:736
	s_wait_dscnt 0x0
	v_mul_f64_e32 v[9:10], v[1:2], v[7:8]
	v_mul_f64_e32 v[7:8], v[3:4], v[7:8]
	s_delay_alu instid0(VALU_DEP_2) | instskip(NEXT) | instid1(VALU_DEP_2)
	v_fma_f64 v[3:4], v[3:4], v[5:6], -v[9:10]
	v_fma_f64 v[5:6], v[1:2], v[5:6], v[7:8]
	scratch_store_b128 off, v[3:6], off offset:752
.LBB110_199:
	s_wait_alu 0xfffe
	s_or_b32 exec_lo, exec_lo, s0
	s_mov_b32 s1, -1
	s_wait_loadcnt 0x0
	s_wait_storecnt 0x0
	s_barrier_signal -1
	s_barrier_wait -1
	global_inv scope:SCOPE_SE
.LBB110_200:
	s_wait_alu 0xfffe
	s_and_b32 vcc_lo, exec_lo, s1
	s_wait_alu 0xfffe
	s_cbranch_vccz .LBB110_202
; %bb.201:
	v_mov_b32_e32 v1, 0
	s_lshl_b64 s[0:1], s[8:9], 2
	s_wait_alu 0xfffe
	s_add_nc_u64 s[0:1], s[6:7], s[0:1]
	global_load_b32 v1, v1, s[0:1]
	s_wait_loadcnt 0x0
	v_cmp_ne_u32_e32 vcc_lo, 0, v1
	s_cbranch_vccz .LBB110_203
.LBB110_202:
	s_nop 0
	s_sendmsg sendmsg(MSG_DEALLOC_VGPRS)
	s_endpgm
.LBB110_203:
	v_lshl_add_u32 v140, v0, 4, 0x2f0
	s_mov_b32 s0, exec_lo
	v_cmpx_eq_u32_e32 46, v0
	s_cbranch_execz .LBB110_205
; %bb.204:
	scratch_load_b128 v[1:4], off, s11
	v_mov_b32_e32 v5, 0
	s_delay_alu instid0(VALU_DEP_1)
	v_dual_mov_b32 v6, v5 :: v_dual_mov_b32 v7, v5
	v_mov_b32_e32 v8, v5
	scratch_store_b128 off, v[5:8], off offset:736
	s_wait_loadcnt 0x0
	ds_store_b128 v140, v[1:4]
.LBB110_205:
	s_wait_alu 0xfffe
	s_or_b32 exec_lo, exec_lo, s0
	s_wait_storecnt_dscnt 0x0
	s_barrier_signal -1
	s_barrier_wait -1
	global_inv scope:SCOPE_SE
	s_clause 0x1
	scratch_load_b128 v[2:5], off, off offset:752
	scratch_load_b128 v[6:9], off, off offset:736
	v_mov_b32_e32 v1, 0
	s_mov_b32 s0, exec_lo
	ds_load_b128 v[10:13], v1 offset:1488
	s_wait_loadcnt_dscnt 0x100
	v_mul_f64_e32 v[14:15], v[12:13], v[4:5]
	v_mul_f64_e32 v[4:5], v[10:11], v[4:5]
	s_delay_alu instid0(VALU_DEP_2) | instskip(NEXT) | instid1(VALU_DEP_2)
	v_fma_f64 v[10:11], v[10:11], v[2:3], -v[14:15]
	v_fma_f64 v[2:3], v[12:13], v[2:3], v[4:5]
	s_delay_alu instid0(VALU_DEP_2) | instskip(NEXT) | instid1(VALU_DEP_2)
	v_add_f64_e32 v[4:5], 0, v[10:11]
	v_add_f64_e32 v[10:11], 0, v[2:3]
	s_wait_loadcnt 0x0
	s_delay_alu instid0(VALU_DEP_2) | instskip(NEXT) | instid1(VALU_DEP_2)
	v_add_f64_e64 v[2:3], v[6:7], -v[4:5]
	v_add_f64_e64 v[4:5], v[8:9], -v[10:11]
	scratch_store_b128 off, v[2:5], off offset:736
	v_cmpx_lt_u32_e32 44, v0
	s_cbranch_execz .LBB110_207
; %bb.206:
	scratch_load_b128 v[5:8], off, s14
	v_dual_mov_b32 v2, v1 :: v_dual_mov_b32 v3, v1
	v_mov_b32_e32 v4, v1
	scratch_store_b128 off, v[1:4], off offset:720
	s_wait_loadcnt 0x0
	ds_store_b128 v140, v[5:8]
.LBB110_207:
	s_wait_alu 0xfffe
	s_or_b32 exec_lo, exec_lo, s0
	s_wait_storecnt_dscnt 0x0
	s_barrier_signal -1
	s_barrier_wait -1
	global_inv scope:SCOPE_SE
	s_clause 0x2
	scratch_load_b128 v[2:5], off, off offset:736
	scratch_load_b128 v[6:9], off, off offset:752
	;; [unrolled: 1-line block ×3, first 2 shown]
	ds_load_b128 v[14:17], v1 offset:1472
	ds_load_b128 v[18:21], v1 offset:1488
	s_mov_b32 s0, exec_lo
	s_wait_loadcnt_dscnt 0x201
	v_mul_f64_e32 v[22:23], v[16:17], v[4:5]
	v_mul_f64_e32 v[4:5], v[14:15], v[4:5]
	s_wait_loadcnt_dscnt 0x100
	v_mul_f64_e32 v[24:25], v[18:19], v[8:9]
	v_mul_f64_e32 v[8:9], v[20:21], v[8:9]
	s_delay_alu instid0(VALU_DEP_4) | instskip(NEXT) | instid1(VALU_DEP_4)
	v_fma_f64 v[14:15], v[14:15], v[2:3], -v[22:23]
	v_fma_f64 v[1:2], v[16:17], v[2:3], v[4:5]
	s_delay_alu instid0(VALU_DEP_4) | instskip(NEXT) | instid1(VALU_DEP_4)
	v_fma_f64 v[3:4], v[20:21], v[6:7], v[24:25]
	v_fma_f64 v[5:6], v[18:19], v[6:7], -v[8:9]
	s_delay_alu instid0(VALU_DEP_4) | instskip(NEXT) | instid1(VALU_DEP_4)
	v_add_f64_e32 v[7:8], 0, v[14:15]
	v_add_f64_e32 v[1:2], 0, v[1:2]
	s_delay_alu instid0(VALU_DEP_2) | instskip(NEXT) | instid1(VALU_DEP_2)
	v_add_f64_e32 v[5:6], v[7:8], v[5:6]
	v_add_f64_e32 v[3:4], v[1:2], v[3:4]
	s_wait_loadcnt 0x0
	s_delay_alu instid0(VALU_DEP_2) | instskip(NEXT) | instid1(VALU_DEP_2)
	v_add_f64_e64 v[1:2], v[10:11], -v[5:6]
	v_add_f64_e64 v[3:4], v[12:13], -v[3:4]
	scratch_store_b128 off, v[1:4], off offset:720
	v_cmpx_lt_u32_e32 43, v0
	s_cbranch_execz .LBB110_209
; %bb.208:
	scratch_load_b128 v[1:4], off, s16
	v_mov_b32_e32 v5, 0
	s_delay_alu instid0(VALU_DEP_1)
	v_dual_mov_b32 v6, v5 :: v_dual_mov_b32 v7, v5
	v_mov_b32_e32 v8, v5
	scratch_store_b128 off, v[5:8], off offset:704
	s_wait_loadcnt 0x0
	ds_store_b128 v140, v[1:4]
.LBB110_209:
	s_wait_alu 0xfffe
	s_or_b32 exec_lo, exec_lo, s0
	s_wait_storecnt_dscnt 0x0
	s_barrier_signal -1
	s_barrier_wait -1
	global_inv scope:SCOPE_SE
	s_clause 0x3
	scratch_load_b128 v[2:5], off, off offset:720
	scratch_load_b128 v[6:9], off, off offset:736
	;; [unrolled: 1-line block ×4, first 2 shown]
	v_mov_b32_e32 v1, 0
	ds_load_b128 v[18:21], v1 offset:1456
	ds_load_b128 v[22:25], v1 offset:1472
	s_mov_b32 s0, exec_lo
	s_wait_loadcnt_dscnt 0x301
	v_mul_f64_e32 v[26:27], v[20:21], v[4:5]
	v_mul_f64_e32 v[4:5], v[18:19], v[4:5]
	s_wait_loadcnt_dscnt 0x200
	v_mul_f64_e32 v[28:29], v[22:23], v[8:9]
	v_mul_f64_e32 v[8:9], v[24:25], v[8:9]
	s_delay_alu instid0(VALU_DEP_4) | instskip(NEXT) | instid1(VALU_DEP_4)
	v_fma_f64 v[18:19], v[18:19], v[2:3], -v[26:27]
	v_fma_f64 v[20:21], v[20:21], v[2:3], v[4:5]
	ds_load_b128 v[2:5], v1 offset:1488
	v_fma_f64 v[24:25], v[24:25], v[6:7], v[28:29]
	v_fma_f64 v[6:7], v[22:23], v[6:7], -v[8:9]
	s_wait_loadcnt_dscnt 0x100
	v_mul_f64_e32 v[26:27], v[2:3], v[12:13]
	v_mul_f64_e32 v[12:13], v[4:5], v[12:13]
	v_add_f64_e32 v[8:9], 0, v[18:19]
	v_add_f64_e32 v[18:19], 0, v[20:21]
	s_delay_alu instid0(VALU_DEP_4) | instskip(NEXT) | instid1(VALU_DEP_4)
	v_fma_f64 v[4:5], v[4:5], v[10:11], v[26:27]
	v_fma_f64 v[2:3], v[2:3], v[10:11], -v[12:13]
	s_delay_alu instid0(VALU_DEP_4) | instskip(NEXT) | instid1(VALU_DEP_4)
	v_add_f64_e32 v[6:7], v[8:9], v[6:7]
	v_add_f64_e32 v[8:9], v[18:19], v[24:25]
	s_delay_alu instid0(VALU_DEP_2) | instskip(NEXT) | instid1(VALU_DEP_2)
	v_add_f64_e32 v[2:3], v[6:7], v[2:3]
	v_add_f64_e32 v[4:5], v[8:9], v[4:5]
	s_wait_loadcnt 0x0
	s_delay_alu instid0(VALU_DEP_2) | instskip(NEXT) | instid1(VALU_DEP_2)
	v_add_f64_e64 v[2:3], v[14:15], -v[2:3]
	v_add_f64_e64 v[4:5], v[16:17], -v[4:5]
	scratch_store_b128 off, v[2:5], off offset:704
	v_cmpx_lt_u32_e32 42, v0
	s_cbranch_execz .LBB110_211
; %bb.210:
	scratch_load_b128 v[5:8], off, s17
	v_dual_mov_b32 v2, v1 :: v_dual_mov_b32 v3, v1
	v_mov_b32_e32 v4, v1
	scratch_store_b128 off, v[1:4], off offset:688
	s_wait_loadcnt 0x0
	ds_store_b128 v140, v[5:8]
.LBB110_211:
	s_wait_alu 0xfffe
	s_or_b32 exec_lo, exec_lo, s0
	s_wait_storecnt_dscnt 0x0
	s_barrier_signal -1
	s_barrier_wait -1
	global_inv scope:SCOPE_SE
	s_clause 0x4
	scratch_load_b128 v[2:5], off, off offset:704
	scratch_load_b128 v[6:9], off, off offset:720
	scratch_load_b128 v[10:13], off, off offset:736
	scratch_load_b128 v[14:17], off, off offset:752
	scratch_load_b128 v[18:21], off, off offset:688
	ds_load_b128 v[22:25], v1 offset:1440
	ds_load_b128 v[26:29], v1 offset:1456
	s_mov_b32 s0, exec_lo
	s_wait_loadcnt_dscnt 0x401
	v_mul_f64_e32 v[30:31], v[24:25], v[4:5]
	v_mul_f64_e32 v[4:5], v[22:23], v[4:5]
	s_wait_loadcnt_dscnt 0x300
	v_mul_f64_e32 v[32:33], v[26:27], v[8:9]
	v_mul_f64_e32 v[8:9], v[28:29], v[8:9]
	s_delay_alu instid0(VALU_DEP_4) | instskip(NEXT) | instid1(VALU_DEP_4)
	v_fma_f64 v[30:31], v[22:23], v[2:3], -v[30:31]
	v_fma_f64 v[34:35], v[24:25], v[2:3], v[4:5]
	ds_load_b128 v[2:5], v1 offset:1472
	ds_load_b128 v[22:25], v1 offset:1488
	v_fma_f64 v[28:29], v[28:29], v[6:7], v[32:33]
	v_fma_f64 v[6:7], v[26:27], v[6:7], -v[8:9]
	s_wait_loadcnt_dscnt 0x201
	v_mul_f64_e32 v[36:37], v[2:3], v[12:13]
	v_mul_f64_e32 v[12:13], v[4:5], v[12:13]
	v_add_f64_e32 v[8:9], 0, v[30:31]
	v_add_f64_e32 v[26:27], 0, v[34:35]
	s_wait_loadcnt_dscnt 0x100
	v_mul_f64_e32 v[30:31], v[22:23], v[16:17]
	v_mul_f64_e32 v[16:17], v[24:25], v[16:17]
	v_fma_f64 v[4:5], v[4:5], v[10:11], v[36:37]
	v_fma_f64 v[1:2], v[2:3], v[10:11], -v[12:13]
	v_add_f64_e32 v[6:7], v[8:9], v[6:7]
	v_add_f64_e32 v[8:9], v[26:27], v[28:29]
	v_fma_f64 v[10:11], v[24:25], v[14:15], v[30:31]
	v_fma_f64 v[12:13], v[22:23], v[14:15], -v[16:17]
	s_delay_alu instid0(VALU_DEP_4) | instskip(NEXT) | instid1(VALU_DEP_4)
	v_add_f64_e32 v[1:2], v[6:7], v[1:2]
	v_add_f64_e32 v[3:4], v[8:9], v[4:5]
	s_delay_alu instid0(VALU_DEP_2) | instskip(NEXT) | instid1(VALU_DEP_2)
	v_add_f64_e32 v[1:2], v[1:2], v[12:13]
	v_add_f64_e32 v[3:4], v[3:4], v[10:11]
	s_wait_loadcnt 0x0
	s_delay_alu instid0(VALU_DEP_2) | instskip(NEXT) | instid1(VALU_DEP_2)
	v_add_f64_e64 v[1:2], v[18:19], -v[1:2]
	v_add_f64_e64 v[3:4], v[20:21], -v[3:4]
	scratch_store_b128 off, v[1:4], off offset:688
	v_cmpx_lt_u32_e32 41, v0
	s_cbranch_execz .LBB110_213
; %bb.212:
	scratch_load_b128 v[1:4], off, s18
	v_mov_b32_e32 v5, 0
	s_delay_alu instid0(VALU_DEP_1)
	v_dual_mov_b32 v6, v5 :: v_dual_mov_b32 v7, v5
	v_mov_b32_e32 v8, v5
	scratch_store_b128 off, v[5:8], off offset:672
	s_wait_loadcnt 0x0
	ds_store_b128 v140, v[1:4]
.LBB110_213:
	s_wait_alu 0xfffe
	s_or_b32 exec_lo, exec_lo, s0
	s_wait_storecnt_dscnt 0x0
	s_barrier_signal -1
	s_barrier_wait -1
	global_inv scope:SCOPE_SE
	s_clause 0x5
	scratch_load_b128 v[2:5], off, off offset:688
	scratch_load_b128 v[6:9], off, off offset:704
	;; [unrolled: 1-line block ×6, first 2 shown]
	v_mov_b32_e32 v1, 0
	ds_load_b128 v[26:29], v1 offset:1424
	ds_load_b128 v[30:33], v1 offset:1440
	s_mov_b32 s0, exec_lo
	s_wait_loadcnt_dscnt 0x501
	v_mul_f64_e32 v[34:35], v[28:29], v[4:5]
	v_mul_f64_e32 v[4:5], v[26:27], v[4:5]
	s_wait_loadcnt_dscnt 0x400
	v_mul_f64_e32 v[36:37], v[30:31], v[8:9]
	v_mul_f64_e32 v[8:9], v[32:33], v[8:9]
	s_delay_alu instid0(VALU_DEP_4) | instskip(NEXT) | instid1(VALU_DEP_4)
	v_fma_f64 v[34:35], v[26:27], v[2:3], -v[34:35]
	v_fma_f64 v[38:39], v[28:29], v[2:3], v[4:5]
	ds_load_b128 v[2:5], v1 offset:1456
	ds_load_b128 v[26:29], v1 offset:1472
	v_fma_f64 v[32:33], v[32:33], v[6:7], v[36:37]
	v_fma_f64 v[6:7], v[30:31], v[6:7], -v[8:9]
	s_wait_loadcnt_dscnt 0x301
	v_mul_f64_e32 v[40:41], v[2:3], v[12:13]
	v_mul_f64_e32 v[12:13], v[4:5], v[12:13]
	v_add_f64_e32 v[8:9], 0, v[34:35]
	v_add_f64_e32 v[30:31], 0, v[38:39]
	s_wait_loadcnt_dscnt 0x200
	v_mul_f64_e32 v[34:35], v[26:27], v[16:17]
	v_mul_f64_e32 v[16:17], v[28:29], v[16:17]
	v_fma_f64 v[36:37], v[4:5], v[10:11], v[40:41]
	v_fma_f64 v[10:11], v[2:3], v[10:11], -v[12:13]
	ds_load_b128 v[2:5], v1 offset:1488
	v_add_f64_e32 v[6:7], v[8:9], v[6:7]
	v_add_f64_e32 v[8:9], v[30:31], v[32:33]
	v_fma_f64 v[28:29], v[28:29], v[14:15], v[34:35]
	v_fma_f64 v[14:15], v[26:27], v[14:15], -v[16:17]
	s_wait_loadcnt_dscnt 0x100
	v_mul_f64_e32 v[12:13], v[2:3], v[20:21]
	v_mul_f64_e32 v[20:21], v[4:5], v[20:21]
	v_add_f64_e32 v[6:7], v[6:7], v[10:11]
	v_add_f64_e32 v[8:9], v[8:9], v[36:37]
	s_delay_alu instid0(VALU_DEP_4) | instskip(NEXT) | instid1(VALU_DEP_4)
	v_fma_f64 v[4:5], v[4:5], v[18:19], v[12:13]
	v_fma_f64 v[2:3], v[2:3], v[18:19], -v[20:21]
	s_delay_alu instid0(VALU_DEP_4) | instskip(NEXT) | instid1(VALU_DEP_4)
	v_add_f64_e32 v[6:7], v[6:7], v[14:15]
	v_add_f64_e32 v[8:9], v[8:9], v[28:29]
	s_delay_alu instid0(VALU_DEP_2) | instskip(NEXT) | instid1(VALU_DEP_2)
	v_add_f64_e32 v[2:3], v[6:7], v[2:3]
	v_add_f64_e32 v[4:5], v[8:9], v[4:5]
	s_wait_loadcnt 0x0
	s_delay_alu instid0(VALU_DEP_2) | instskip(NEXT) | instid1(VALU_DEP_2)
	v_add_f64_e64 v[2:3], v[22:23], -v[2:3]
	v_add_f64_e64 v[4:5], v[24:25], -v[4:5]
	scratch_store_b128 off, v[2:5], off offset:672
	v_cmpx_lt_u32_e32 40, v0
	s_cbranch_execz .LBB110_215
; %bb.214:
	scratch_load_b128 v[5:8], off, s19
	v_dual_mov_b32 v2, v1 :: v_dual_mov_b32 v3, v1
	v_mov_b32_e32 v4, v1
	scratch_store_b128 off, v[1:4], off offset:656
	s_wait_loadcnt 0x0
	ds_store_b128 v140, v[5:8]
.LBB110_215:
	s_wait_alu 0xfffe
	s_or_b32 exec_lo, exec_lo, s0
	s_wait_storecnt_dscnt 0x0
	s_barrier_signal -1
	s_barrier_wait -1
	global_inv scope:SCOPE_SE
	s_clause 0x5
	scratch_load_b128 v[2:5], off, off offset:672
	scratch_load_b128 v[6:9], off, off offset:688
	scratch_load_b128 v[10:13], off, off offset:704
	scratch_load_b128 v[14:17], off, off offset:720
	scratch_load_b128 v[18:21], off, off offset:736
	scratch_load_b128 v[22:25], off, off offset:752
	ds_load_b128 v[26:29], v1 offset:1408
	ds_load_b128 v[34:37], v1 offset:1424
	scratch_load_b128 v[30:33], off, off offset:656
	s_mov_b32 s0, exec_lo
	s_wait_loadcnt_dscnt 0x601
	v_mul_f64_e32 v[38:39], v[28:29], v[4:5]
	v_mul_f64_e32 v[4:5], v[26:27], v[4:5]
	s_wait_loadcnt_dscnt 0x500
	v_mul_f64_e32 v[40:41], v[34:35], v[8:9]
	v_mul_f64_e32 v[8:9], v[36:37], v[8:9]
	s_delay_alu instid0(VALU_DEP_4) | instskip(NEXT) | instid1(VALU_DEP_4)
	v_fma_f64 v[38:39], v[26:27], v[2:3], -v[38:39]
	v_fma_f64 v[42:43], v[28:29], v[2:3], v[4:5]
	ds_load_b128 v[2:5], v1 offset:1440
	ds_load_b128 v[26:29], v1 offset:1456
	v_fma_f64 v[36:37], v[36:37], v[6:7], v[40:41]
	v_fma_f64 v[6:7], v[34:35], v[6:7], -v[8:9]
	s_wait_loadcnt_dscnt 0x401
	v_mul_f64_e32 v[44:45], v[2:3], v[12:13]
	v_mul_f64_e32 v[12:13], v[4:5], v[12:13]
	v_add_f64_e32 v[8:9], 0, v[38:39]
	v_add_f64_e32 v[34:35], 0, v[42:43]
	s_wait_loadcnt_dscnt 0x300
	v_mul_f64_e32 v[38:39], v[26:27], v[16:17]
	v_mul_f64_e32 v[16:17], v[28:29], v[16:17]
	v_fma_f64 v[40:41], v[4:5], v[10:11], v[44:45]
	v_fma_f64 v[10:11], v[2:3], v[10:11], -v[12:13]
	v_add_f64_e32 v[12:13], v[8:9], v[6:7]
	v_add_f64_e32 v[34:35], v[34:35], v[36:37]
	ds_load_b128 v[2:5], v1 offset:1472
	ds_load_b128 v[6:9], v1 offset:1488
	v_fma_f64 v[28:29], v[28:29], v[14:15], v[38:39]
	v_fma_f64 v[14:15], v[26:27], v[14:15], -v[16:17]
	s_wait_loadcnt_dscnt 0x201
	v_mul_f64_e32 v[36:37], v[2:3], v[20:21]
	v_mul_f64_e32 v[20:21], v[4:5], v[20:21]
	s_wait_loadcnt_dscnt 0x100
	v_mul_f64_e32 v[16:17], v[6:7], v[24:25]
	v_mul_f64_e32 v[24:25], v[8:9], v[24:25]
	v_add_f64_e32 v[10:11], v[12:13], v[10:11]
	v_add_f64_e32 v[12:13], v[34:35], v[40:41]
	v_fma_f64 v[4:5], v[4:5], v[18:19], v[36:37]
	v_fma_f64 v[1:2], v[2:3], v[18:19], -v[20:21]
	v_fma_f64 v[8:9], v[8:9], v[22:23], v[16:17]
	v_fma_f64 v[6:7], v[6:7], v[22:23], -v[24:25]
	v_add_f64_e32 v[10:11], v[10:11], v[14:15]
	v_add_f64_e32 v[12:13], v[12:13], v[28:29]
	s_delay_alu instid0(VALU_DEP_2) | instskip(NEXT) | instid1(VALU_DEP_2)
	v_add_f64_e32 v[1:2], v[10:11], v[1:2]
	v_add_f64_e32 v[3:4], v[12:13], v[4:5]
	s_delay_alu instid0(VALU_DEP_2) | instskip(NEXT) | instid1(VALU_DEP_2)
	v_add_f64_e32 v[1:2], v[1:2], v[6:7]
	v_add_f64_e32 v[3:4], v[3:4], v[8:9]
	s_wait_loadcnt 0x0
	s_delay_alu instid0(VALU_DEP_2) | instskip(NEXT) | instid1(VALU_DEP_2)
	v_add_f64_e64 v[1:2], v[30:31], -v[1:2]
	v_add_f64_e64 v[3:4], v[32:33], -v[3:4]
	scratch_store_b128 off, v[1:4], off offset:656
	v_cmpx_lt_u32_e32 39, v0
	s_cbranch_execz .LBB110_217
; %bb.216:
	scratch_load_b128 v[1:4], off, s20
	v_mov_b32_e32 v5, 0
	s_delay_alu instid0(VALU_DEP_1)
	v_dual_mov_b32 v6, v5 :: v_dual_mov_b32 v7, v5
	v_mov_b32_e32 v8, v5
	scratch_store_b128 off, v[5:8], off offset:640
	s_wait_loadcnt 0x0
	ds_store_b128 v140, v[1:4]
.LBB110_217:
	s_wait_alu 0xfffe
	s_or_b32 exec_lo, exec_lo, s0
	s_wait_storecnt_dscnt 0x0
	s_barrier_signal -1
	s_barrier_wait -1
	global_inv scope:SCOPE_SE
	s_clause 0x6
	scratch_load_b128 v[2:5], off, off offset:656
	scratch_load_b128 v[6:9], off, off offset:672
	;; [unrolled: 1-line block ×7, first 2 shown]
	v_mov_b32_e32 v1, 0
	scratch_load_b128 v[38:41], off, off offset:640
	s_mov_b32 s0, exec_lo
	ds_load_b128 v[30:33], v1 offset:1392
	ds_load_b128 v[34:37], v1 offset:1408
	s_wait_loadcnt_dscnt 0x701
	v_mul_f64_e32 v[42:43], v[32:33], v[4:5]
	v_mul_f64_e32 v[4:5], v[30:31], v[4:5]
	s_wait_loadcnt_dscnt 0x600
	v_mul_f64_e32 v[44:45], v[34:35], v[8:9]
	v_mul_f64_e32 v[8:9], v[36:37], v[8:9]
	s_delay_alu instid0(VALU_DEP_4) | instskip(NEXT) | instid1(VALU_DEP_4)
	v_fma_f64 v[30:31], v[30:31], v[2:3], -v[42:43]
	v_fma_f64 v[32:33], v[32:33], v[2:3], v[4:5]
	ds_load_b128 v[2:5], v1 offset:1424
	v_fma_f64 v[36:37], v[36:37], v[6:7], v[44:45]
	v_fma_f64 v[34:35], v[34:35], v[6:7], -v[8:9]
	ds_load_b128 v[6:9], v1 offset:1440
	s_wait_loadcnt_dscnt 0x501
	v_mul_f64_e32 v[42:43], v[2:3], v[12:13]
	v_mul_f64_e32 v[12:13], v[4:5], v[12:13]
	s_wait_loadcnt_dscnt 0x400
	v_mul_f64_e32 v[44:45], v[6:7], v[16:17]
	v_mul_f64_e32 v[16:17], v[8:9], v[16:17]
	v_add_f64_e32 v[30:31], 0, v[30:31]
	v_add_f64_e32 v[32:33], 0, v[32:33]
	v_fma_f64 v[42:43], v[4:5], v[10:11], v[42:43]
	v_fma_f64 v[10:11], v[2:3], v[10:11], -v[12:13]
	ds_load_b128 v[2:5], v1 offset:1456
	v_add_f64_e32 v[12:13], v[30:31], v[34:35]
	v_add_f64_e32 v[30:31], v[32:33], v[36:37]
	v_fma_f64 v[34:35], v[8:9], v[14:15], v[44:45]
	v_fma_f64 v[14:15], v[6:7], v[14:15], -v[16:17]
	ds_load_b128 v[6:9], v1 offset:1472
	s_wait_loadcnt_dscnt 0x301
	v_mul_f64_e32 v[32:33], v[2:3], v[20:21]
	v_mul_f64_e32 v[20:21], v[4:5], v[20:21]
	s_wait_loadcnt_dscnt 0x200
	v_mul_f64_e32 v[16:17], v[6:7], v[24:25]
	v_mul_f64_e32 v[24:25], v[8:9], v[24:25]
	v_add_f64_e32 v[10:11], v[12:13], v[10:11]
	v_add_f64_e32 v[12:13], v[30:31], v[42:43]
	v_fma_f64 v[30:31], v[4:5], v[18:19], v[32:33]
	v_fma_f64 v[18:19], v[2:3], v[18:19], -v[20:21]
	ds_load_b128 v[2:5], v1 offset:1488
	v_fma_f64 v[8:9], v[8:9], v[22:23], v[16:17]
	v_fma_f64 v[6:7], v[6:7], v[22:23], -v[24:25]
	s_wait_loadcnt_dscnt 0x100
	v_mul_f64_e32 v[20:21], v[4:5], v[28:29]
	v_add_f64_e32 v[10:11], v[10:11], v[14:15]
	v_add_f64_e32 v[12:13], v[12:13], v[34:35]
	v_mul_f64_e32 v[14:15], v[2:3], v[28:29]
	s_delay_alu instid0(VALU_DEP_4) | instskip(NEXT) | instid1(VALU_DEP_4)
	v_fma_f64 v[2:3], v[2:3], v[26:27], -v[20:21]
	v_add_f64_e32 v[10:11], v[10:11], v[18:19]
	s_delay_alu instid0(VALU_DEP_4) | instskip(NEXT) | instid1(VALU_DEP_4)
	v_add_f64_e32 v[12:13], v[12:13], v[30:31]
	v_fma_f64 v[4:5], v[4:5], v[26:27], v[14:15]
	s_delay_alu instid0(VALU_DEP_3) | instskip(NEXT) | instid1(VALU_DEP_3)
	v_add_f64_e32 v[6:7], v[10:11], v[6:7]
	v_add_f64_e32 v[8:9], v[12:13], v[8:9]
	s_delay_alu instid0(VALU_DEP_2) | instskip(NEXT) | instid1(VALU_DEP_2)
	v_add_f64_e32 v[2:3], v[6:7], v[2:3]
	v_add_f64_e32 v[4:5], v[8:9], v[4:5]
	s_wait_loadcnt 0x0
	s_delay_alu instid0(VALU_DEP_2) | instskip(NEXT) | instid1(VALU_DEP_2)
	v_add_f64_e64 v[2:3], v[38:39], -v[2:3]
	v_add_f64_e64 v[4:5], v[40:41], -v[4:5]
	scratch_store_b128 off, v[2:5], off offset:640
	v_cmpx_lt_u32_e32 38, v0
	s_cbranch_execz .LBB110_219
; %bb.218:
	scratch_load_b128 v[5:8], off, s21
	v_dual_mov_b32 v2, v1 :: v_dual_mov_b32 v3, v1
	v_mov_b32_e32 v4, v1
	scratch_store_b128 off, v[1:4], off offset:624
	s_wait_loadcnt 0x0
	ds_store_b128 v140, v[5:8]
.LBB110_219:
	s_wait_alu 0xfffe
	s_or_b32 exec_lo, exec_lo, s0
	s_wait_storecnt_dscnt 0x0
	s_barrier_signal -1
	s_barrier_wait -1
	global_inv scope:SCOPE_SE
	s_clause 0x7
	scratch_load_b128 v[2:5], off, off offset:640
	scratch_load_b128 v[6:9], off, off offset:656
	;; [unrolled: 1-line block ×8, first 2 shown]
	ds_load_b128 v[34:37], v1 offset:1376
	ds_load_b128 v[38:41], v1 offset:1392
	s_mov_b32 s0, exec_lo
	s_wait_loadcnt_dscnt 0x701
	v_mul_f64_e32 v[42:43], v[36:37], v[4:5]
	v_mul_f64_e32 v[4:5], v[34:35], v[4:5]
	s_wait_loadcnt_dscnt 0x600
	v_mul_f64_e32 v[44:45], v[38:39], v[8:9]
	v_mul_f64_e32 v[8:9], v[40:41], v[8:9]
	s_delay_alu instid0(VALU_DEP_4) | instskip(NEXT) | instid1(VALU_DEP_4)
	v_fma_f64 v[42:43], v[34:35], v[2:3], -v[42:43]
	v_fma_f64 v[141:142], v[36:37], v[2:3], v[4:5]
	ds_load_b128 v[2:5], v1 offset:1408
	scratch_load_b128 v[34:37], off, off offset:624
	v_fma_f64 v[40:41], v[40:41], v[6:7], v[44:45]
	v_fma_f64 v[38:39], v[38:39], v[6:7], -v[8:9]
	ds_load_b128 v[6:9], v1 offset:1424
	s_wait_loadcnt_dscnt 0x601
	v_mul_f64_e32 v[143:144], v[2:3], v[12:13]
	v_mul_f64_e32 v[12:13], v[4:5], v[12:13]
	v_add_f64_e32 v[42:43], 0, v[42:43]
	v_add_f64_e32 v[44:45], 0, v[141:142]
	s_wait_loadcnt_dscnt 0x500
	v_mul_f64_e32 v[141:142], v[6:7], v[16:17]
	v_mul_f64_e32 v[16:17], v[8:9], v[16:17]
	v_fma_f64 v[143:144], v[4:5], v[10:11], v[143:144]
	v_fma_f64 v[10:11], v[2:3], v[10:11], -v[12:13]
	ds_load_b128 v[2:5], v1 offset:1440
	v_add_f64_e32 v[12:13], v[42:43], v[38:39]
	v_add_f64_e32 v[38:39], v[44:45], v[40:41]
	v_fma_f64 v[42:43], v[8:9], v[14:15], v[141:142]
	v_fma_f64 v[14:15], v[6:7], v[14:15], -v[16:17]
	ds_load_b128 v[6:9], v1 offset:1456
	s_wait_loadcnt_dscnt 0x401
	v_mul_f64_e32 v[40:41], v[2:3], v[20:21]
	v_mul_f64_e32 v[20:21], v[4:5], v[20:21]
	s_wait_loadcnt_dscnt 0x300
	v_mul_f64_e32 v[16:17], v[6:7], v[24:25]
	v_mul_f64_e32 v[24:25], v[8:9], v[24:25]
	v_add_f64_e32 v[10:11], v[12:13], v[10:11]
	v_add_f64_e32 v[12:13], v[38:39], v[143:144]
	v_fma_f64 v[38:39], v[4:5], v[18:19], v[40:41]
	v_fma_f64 v[18:19], v[2:3], v[18:19], -v[20:21]
	ds_load_b128 v[2:5], v1 offset:1472
	v_fma_f64 v[16:17], v[8:9], v[22:23], v[16:17]
	v_fma_f64 v[22:23], v[6:7], v[22:23], -v[24:25]
	ds_load_b128 v[6:9], v1 offset:1488
	s_wait_loadcnt_dscnt 0x201
	v_mul_f64_e32 v[20:21], v[4:5], v[28:29]
	v_add_f64_e32 v[10:11], v[10:11], v[14:15]
	v_add_f64_e32 v[12:13], v[12:13], v[42:43]
	v_mul_f64_e32 v[14:15], v[2:3], v[28:29]
	s_wait_loadcnt_dscnt 0x100
	v_mul_f64_e32 v[24:25], v[8:9], v[32:33]
	v_fma_f64 v[1:2], v[2:3], v[26:27], -v[20:21]
	v_add_f64_e32 v[10:11], v[10:11], v[18:19]
	v_add_f64_e32 v[12:13], v[12:13], v[38:39]
	v_mul_f64_e32 v[18:19], v[6:7], v[32:33]
	v_fma_f64 v[4:5], v[4:5], v[26:27], v[14:15]
	v_fma_f64 v[6:7], v[6:7], v[30:31], -v[24:25]
	v_add_f64_e32 v[10:11], v[10:11], v[22:23]
	v_add_f64_e32 v[12:13], v[12:13], v[16:17]
	v_fma_f64 v[8:9], v[8:9], v[30:31], v[18:19]
	s_delay_alu instid0(VALU_DEP_3) | instskip(NEXT) | instid1(VALU_DEP_3)
	v_add_f64_e32 v[1:2], v[10:11], v[1:2]
	v_add_f64_e32 v[3:4], v[12:13], v[4:5]
	s_delay_alu instid0(VALU_DEP_2) | instskip(NEXT) | instid1(VALU_DEP_2)
	v_add_f64_e32 v[1:2], v[1:2], v[6:7]
	v_add_f64_e32 v[3:4], v[3:4], v[8:9]
	s_wait_loadcnt 0x0
	s_delay_alu instid0(VALU_DEP_2) | instskip(NEXT) | instid1(VALU_DEP_2)
	v_add_f64_e64 v[1:2], v[34:35], -v[1:2]
	v_add_f64_e64 v[3:4], v[36:37], -v[3:4]
	scratch_store_b128 off, v[1:4], off offset:624
	v_cmpx_lt_u32_e32 37, v0
	s_cbranch_execz .LBB110_221
; %bb.220:
	scratch_load_b128 v[1:4], off, s22
	v_mov_b32_e32 v5, 0
	s_delay_alu instid0(VALU_DEP_1)
	v_dual_mov_b32 v6, v5 :: v_dual_mov_b32 v7, v5
	v_mov_b32_e32 v8, v5
	scratch_store_b128 off, v[5:8], off offset:608
	s_wait_loadcnt 0x0
	ds_store_b128 v140, v[1:4]
.LBB110_221:
	s_wait_alu 0xfffe
	s_or_b32 exec_lo, exec_lo, s0
	s_wait_storecnt_dscnt 0x0
	s_barrier_signal -1
	s_barrier_wait -1
	global_inv scope:SCOPE_SE
	s_clause 0x7
	scratch_load_b128 v[2:5], off, off offset:624
	scratch_load_b128 v[6:9], off, off offset:640
	;; [unrolled: 1-line block ×8, first 2 shown]
	v_mov_b32_e32 v1, 0
	s_mov_b32 s0, exec_lo
	ds_load_b128 v[34:37], v1 offset:1360
	s_clause 0x1
	scratch_load_b128 v[38:41], off, off offset:752
	scratch_load_b128 v[42:45], off, off offset:608
	ds_load_b128 v[141:144], v1 offset:1376
	s_wait_loadcnt_dscnt 0x901
	v_mul_f64_e32 v[145:146], v[36:37], v[4:5]
	v_mul_f64_e32 v[4:5], v[34:35], v[4:5]
	s_wait_loadcnt_dscnt 0x800
	v_mul_f64_e32 v[147:148], v[141:142], v[8:9]
	v_mul_f64_e32 v[8:9], v[143:144], v[8:9]
	s_delay_alu instid0(VALU_DEP_4) | instskip(NEXT) | instid1(VALU_DEP_4)
	v_fma_f64 v[145:146], v[34:35], v[2:3], -v[145:146]
	v_fma_f64 v[149:150], v[36:37], v[2:3], v[4:5]
	ds_load_b128 v[2:5], v1 offset:1392
	ds_load_b128 v[34:37], v1 offset:1408
	v_fma_f64 v[143:144], v[143:144], v[6:7], v[147:148]
	v_fma_f64 v[6:7], v[141:142], v[6:7], -v[8:9]
	s_wait_loadcnt_dscnt 0x701
	v_mul_f64_e32 v[151:152], v[2:3], v[12:13]
	v_mul_f64_e32 v[12:13], v[4:5], v[12:13]
	v_add_f64_e32 v[8:9], 0, v[145:146]
	v_add_f64_e32 v[141:142], 0, v[149:150]
	s_wait_loadcnt_dscnt 0x600
	v_mul_f64_e32 v[145:146], v[34:35], v[16:17]
	v_mul_f64_e32 v[16:17], v[36:37], v[16:17]
	v_fma_f64 v[147:148], v[4:5], v[10:11], v[151:152]
	v_fma_f64 v[10:11], v[2:3], v[10:11], -v[12:13]
	v_add_f64_e32 v[12:13], v[8:9], v[6:7]
	v_add_f64_e32 v[141:142], v[141:142], v[143:144]
	ds_load_b128 v[2:5], v1 offset:1424
	ds_load_b128 v[6:9], v1 offset:1440
	v_fma_f64 v[36:37], v[36:37], v[14:15], v[145:146]
	v_fma_f64 v[14:15], v[34:35], v[14:15], -v[16:17]
	s_wait_loadcnt_dscnt 0x501
	v_mul_f64_e32 v[143:144], v[2:3], v[20:21]
	v_mul_f64_e32 v[20:21], v[4:5], v[20:21]
	s_wait_loadcnt_dscnt 0x400
	v_mul_f64_e32 v[16:17], v[6:7], v[24:25]
	v_mul_f64_e32 v[24:25], v[8:9], v[24:25]
	v_add_f64_e32 v[10:11], v[12:13], v[10:11]
	v_add_f64_e32 v[12:13], v[141:142], v[147:148]
	v_fma_f64 v[34:35], v[4:5], v[18:19], v[143:144]
	v_fma_f64 v[18:19], v[2:3], v[18:19], -v[20:21]
	v_fma_f64 v[8:9], v[8:9], v[22:23], v[16:17]
	v_fma_f64 v[6:7], v[6:7], v[22:23], -v[24:25]
	v_add_f64_e32 v[14:15], v[10:11], v[14:15]
	v_add_f64_e32 v[20:21], v[12:13], v[36:37]
	ds_load_b128 v[2:5], v1 offset:1456
	ds_load_b128 v[10:13], v1 offset:1472
	s_wait_loadcnt_dscnt 0x301
	v_mul_f64_e32 v[36:37], v[2:3], v[28:29]
	v_mul_f64_e32 v[28:29], v[4:5], v[28:29]
	v_add_f64_e32 v[14:15], v[14:15], v[18:19]
	v_add_f64_e32 v[16:17], v[20:21], v[34:35]
	s_wait_loadcnt_dscnt 0x200
	v_mul_f64_e32 v[18:19], v[10:11], v[32:33]
	v_mul_f64_e32 v[20:21], v[12:13], v[32:33]
	v_fma_f64 v[22:23], v[4:5], v[26:27], v[36:37]
	v_fma_f64 v[24:25], v[2:3], v[26:27], -v[28:29]
	ds_load_b128 v[2:5], v1 offset:1488
	v_add_f64_e32 v[6:7], v[14:15], v[6:7]
	v_add_f64_e32 v[8:9], v[16:17], v[8:9]
	v_fma_f64 v[12:13], v[12:13], v[30:31], v[18:19]
	v_fma_f64 v[10:11], v[10:11], v[30:31], -v[20:21]
	s_wait_loadcnt_dscnt 0x100
	v_mul_f64_e32 v[14:15], v[2:3], v[40:41]
	v_mul_f64_e32 v[16:17], v[4:5], v[40:41]
	v_add_f64_e32 v[6:7], v[6:7], v[24:25]
	v_add_f64_e32 v[8:9], v[8:9], v[22:23]
	s_delay_alu instid0(VALU_DEP_4) | instskip(NEXT) | instid1(VALU_DEP_4)
	v_fma_f64 v[4:5], v[4:5], v[38:39], v[14:15]
	v_fma_f64 v[2:3], v[2:3], v[38:39], -v[16:17]
	s_delay_alu instid0(VALU_DEP_4) | instskip(NEXT) | instid1(VALU_DEP_4)
	v_add_f64_e32 v[6:7], v[6:7], v[10:11]
	v_add_f64_e32 v[8:9], v[8:9], v[12:13]
	s_delay_alu instid0(VALU_DEP_2) | instskip(NEXT) | instid1(VALU_DEP_2)
	v_add_f64_e32 v[2:3], v[6:7], v[2:3]
	v_add_f64_e32 v[4:5], v[8:9], v[4:5]
	s_wait_loadcnt 0x0
	s_delay_alu instid0(VALU_DEP_2) | instskip(NEXT) | instid1(VALU_DEP_2)
	v_add_f64_e64 v[2:3], v[42:43], -v[2:3]
	v_add_f64_e64 v[4:5], v[44:45], -v[4:5]
	scratch_store_b128 off, v[2:5], off offset:608
	v_cmpx_lt_u32_e32 36, v0
	s_cbranch_execz .LBB110_223
; %bb.222:
	scratch_load_b128 v[5:8], off, s23
	v_dual_mov_b32 v2, v1 :: v_dual_mov_b32 v3, v1
	v_mov_b32_e32 v4, v1
	scratch_store_b128 off, v[1:4], off offset:592
	s_wait_loadcnt 0x0
	ds_store_b128 v140, v[5:8]
.LBB110_223:
	s_wait_alu 0xfffe
	s_or_b32 exec_lo, exec_lo, s0
	s_wait_storecnt_dscnt 0x0
	s_barrier_signal -1
	s_barrier_wait -1
	global_inv scope:SCOPE_SE
	s_clause 0x8
	scratch_load_b128 v[2:5], off, off offset:608
	scratch_load_b128 v[6:9], off, off offset:624
	;; [unrolled: 1-line block ×9, first 2 shown]
	ds_load_b128 v[38:41], v1 offset:1344
	ds_load_b128 v[42:45], v1 offset:1360
	s_clause 0x1
	scratch_load_b128 v[141:144], off, off offset:592
	scratch_load_b128 v[145:148], off, off offset:752
	s_mov_b32 s0, exec_lo
	s_wait_loadcnt_dscnt 0xa01
	v_mul_f64_e32 v[149:150], v[40:41], v[4:5]
	v_mul_f64_e32 v[4:5], v[38:39], v[4:5]
	s_wait_loadcnt_dscnt 0x900
	v_mul_f64_e32 v[151:152], v[42:43], v[8:9]
	v_mul_f64_e32 v[8:9], v[44:45], v[8:9]
	s_delay_alu instid0(VALU_DEP_4) | instskip(NEXT) | instid1(VALU_DEP_4)
	v_fma_f64 v[149:150], v[38:39], v[2:3], -v[149:150]
	v_fma_f64 v[153:154], v[40:41], v[2:3], v[4:5]
	ds_load_b128 v[2:5], v1 offset:1376
	ds_load_b128 v[38:41], v1 offset:1392
	v_fma_f64 v[44:45], v[44:45], v[6:7], v[151:152]
	v_fma_f64 v[6:7], v[42:43], v[6:7], -v[8:9]
	s_wait_loadcnt_dscnt 0x801
	v_mul_f64_e32 v[155:156], v[2:3], v[12:13]
	v_mul_f64_e32 v[12:13], v[4:5], v[12:13]
	v_add_f64_e32 v[8:9], 0, v[149:150]
	v_add_f64_e32 v[42:43], 0, v[153:154]
	s_wait_loadcnt_dscnt 0x700
	v_mul_f64_e32 v[149:150], v[38:39], v[16:17]
	v_mul_f64_e32 v[16:17], v[40:41], v[16:17]
	v_fma_f64 v[151:152], v[4:5], v[10:11], v[155:156]
	v_fma_f64 v[10:11], v[2:3], v[10:11], -v[12:13]
	v_add_f64_e32 v[12:13], v[8:9], v[6:7]
	v_add_f64_e32 v[42:43], v[42:43], v[44:45]
	ds_load_b128 v[2:5], v1 offset:1408
	ds_load_b128 v[6:9], v1 offset:1424
	v_fma_f64 v[40:41], v[40:41], v[14:15], v[149:150]
	v_fma_f64 v[14:15], v[38:39], v[14:15], -v[16:17]
	s_wait_loadcnt_dscnt 0x601
	v_mul_f64_e32 v[44:45], v[2:3], v[20:21]
	v_mul_f64_e32 v[20:21], v[4:5], v[20:21]
	s_wait_loadcnt_dscnt 0x500
	v_mul_f64_e32 v[16:17], v[6:7], v[24:25]
	v_mul_f64_e32 v[24:25], v[8:9], v[24:25]
	v_add_f64_e32 v[10:11], v[12:13], v[10:11]
	v_add_f64_e32 v[12:13], v[42:43], v[151:152]
	v_fma_f64 v[38:39], v[4:5], v[18:19], v[44:45]
	v_fma_f64 v[18:19], v[2:3], v[18:19], -v[20:21]
	v_fma_f64 v[8:9], v[8:9], v[22:23], v[16:17]
	v_fma_f64 v[6:7], v[6:7], v[22:23], -v[24:25]
	v_add_f64_e32 v[14:15], v[10:11], v[14:15]
	v_add_f64_e32 v[20:21], v[12:13], v[40:41]
	ds_load_b128 v[2:5], v1 offset:1440
	ds_load_b128 v[10:13], v1 offset:1456
	s_wait_loadcnt_dscnt 0x401
	v_mul_f64_e32 v[40:41], v[2:3], v[28:29]
	v_mul_f64_e32 v[28:29], v[4:5], v[28:29]
	v_add_f64_e32 v[14:15], v[14:15], v[18:19]
	v_add_f64_e32 v[16:17], v[20:21], v[38:39]
	s_wait_loadcnt_dscnt 0x300
	v_mul_f64_e32 v[18:19], v[10:11], v[32:33]
	v_mul_f64_e32 v[20:21], v[12:13], v[32:33]
	v_fma_f64 v[22:23], v[4:5], v[26:27], v[40:41]
	v_fma_f64 v[24:25], v[2:3], v[26:27], -v[28:29]
	v_add_f64_e32 v[14:15], v[14:15], v[6:7]
	v_add_f64_e32 v[16:17], v[16:17], v[8:9]
	ds_load_b128 v[2:5], v1 offset:1472
	ds_load_b128 v[6:9], v1 offset:1488
	v_fma_f64 v[12:13], v[12:13], v[30:31], v[18:19]
	v_fma_f64 v[10:11], v[10:11], v[30:31], -v[20:21]
	s_wait_loadcnt_dscnt 0x201
	v_mul_f64_e32 v[26:27], v[2:3], v[36:37]
	v_mul_f64_e32 v[28:29], v[4:5], v[36:37]
	s_wait_loadcnt_dscnt 0x0
	v_mul_f64_e32 v[18:19], v[6:7], v[147:148]
	v_mul_f64_e32 v[20:21], v[8:9], v[147:148]
	v_add_f64_e32 v[14:15], v[14:15], v[24:25]
	v_add_f64_e32 v[16:17], v[16:17], v[22:23]
	v_fma_f64 v[4:5], v[4:5], v[34:35], v[26:27]
	v_fma_f64 v[1:2], v[2:3], v[34:35], -v[28:29]
	v_fma_f64 v[8:9], v[8:9], v[145:146], v[18:19]
	v_fma_f64 v[6:7], v[6:7], v[145:146], -v[20:21]
	v_add_f64_e32 v[10:11], v[14:15], v[10:11]
	v_add_f64_e32 v[12:13], v[16:17], v[12:13]
	s_delay_alu instid0(VALU_DEP_2) | instskip(NEXT) | instid1(VALU_DEP_2)
	v_add_f64_e32 v[1:2], v[10:11], v[1:2]
	v_add_f64_e32 v[3:4], v[12:13], v[4:5]
	s_delay_alu instid0(VALU_DEP_2) | instskip(NEXT) | instid1(VALU_DEP_2)
	;; [unrolled: 3-line block ×3, first 2 shown]
	v_add_f64_e64 v[1:2], v[141:142], -v[1:2]
	v_add_f64_e64 v[3:4], v[143:144], -v[3:4]
	scratch_store_b128 off, v[1:4], off offset:592
	v_cmpx_lt_u32_e32 35, v0
	s_cbranch_execz .LBB110_225
; %bb.224:
	scratch_load_b128 v[1:4], off, s24
	v_mov_b32_e32 v5, 0
	s_delay_alu instid0(VALU_DEP_1)
	v_dual_mov_b32 v6, v5 :: v_dual_mov_b32 v7, v5
	v_mov_b32_e32 v8, v5
	scratch_store_b128 off, v[5:8], off offset:576
	s_wait_loadcnt 0x0
	ds_store_b128 v140, v[1:4]
.LBB110_225:
	s_wait_alu 0xfffe
	s_or_b32 exec_lo, exec_lo, s0
	s_wait_storecnt_dscnt 0x0
	s_barrier_signal -1
	s_barrier_wait -1
	global_inv scope:SCOPE_SE
	s_clause 0x7
	scratch_load_b128 v[2:5], off, off offset:592
	scratch_load_b128 v[6:9], off, off offset:608
	;; [unrolled: 1-line block ×8, first 2 shown]
	v_mov_b32_e32 v1, 0
	s_mov_b32 s0, exec_lo
	ds_load_b128 v[34:37], v1 offset:1328
	s_clause 0x1
	scratch_load_b128 v[38:41], off, off offset:720
	scratch_load_b128 v[42:45], off, off offset:576
	ds_load_b128 v[141:144], v1 offset:1344
	scratch_load_b128 v[145:148], off, off offset:736
	s_wait_loadcnt_dscnt 0xa01
	v_mul_f64_e32 v[149:150], v[36:37], v[4:5]
	v_mul_f64_e32 v[4:5], v[34:35], v[4:5]
	s_delay_alu instid0(VALU_DEP_2) | instskip(NEXT) | instid1(VALU_DEP_2)
	v_fma_f64 v[155:156], v[34:35], v[2:3], -v[149:150]
	v_fma_f64 v[157:158], v[36:37], v[2:3], v[4:5]
	ds_load_b128 v[2:5], v1 offset:1360
	s_wait_loadcnt_dscnt 0x901
	v_mul_f64_e32 v[153:154], v[141:142], v[8:9]
	v_mul_f64_e32 v[8:9], v[143:144], v[8:9]
	scratch_load_b128 v[34:37], off, off offset:752
	ds_load_b128 v[149:152], v1 offset:1376
	s_wait_loadcnt_dscnt 0x901
	v_mul_f64_e32 v[159:160], v[2:3], v[12:13]
	v_mul_f64_e32 v[12:13], v[4:5], v[12:13]
	v_fma_f64 v[143:144], v[143:144], v[6:7], v[153:154]
	v_fma_f64 v[6:7], v[141:142], v[6:7], -v[8:9]
	v_add_f64_e32 v[8:9], 0, v[155:156]
	v_add_f64_e32 v[141:142], 0, v[157:158]
	s_wait_loadcnt_dscnt 0x800
	v_mul_f64_e32 v[153:154], v[149:150], v[16:17]
	v_mul_f64_e32 v[16:17], v[151:152], v[16:17]
	v_fma_f64 v[155:156], v[4:5], v[10:11], v[159:160]
	v_fma_f64 v[10:11], v[2:3], v[10:11], -v[12:13]
	v_add_f64_e32 v[12:13], v[8:9], v[6:7]
	v_add_f64_e32 v[141:142], v[141:142], v[143:144]
	ds_load_b128 v[2:5], v1 offset:1392
	ds_load_b128 v[6:9], v1 offset:1408
	v_fma_f64 v[151:152], v[151:152], v[14:15], v[153:154]
	v_fma_f64 v[14:15], v[149:150], v[14:15], -v[16:17]
	s_wait_loadcnt_dscnt 0x701
	v_mul_f64_e32 v[143:144], v[2:3], v[20:21]
	v_mul_f64_e32 v[20:21], v[4:5], v[20:21]
	s_wait_loadcnt_dscnt 0x600
	v_mul_f64_e32 v[16:17], v[6:7], v[24:25]
	v_mul_f64_e32 v[24:25], v[8:9], v[24:25]
	v_add_f64_e32 v[10:11], v[12:13], v[10:11]
	v_add_f64_e32 v[12:13], v[141:142], v[155:156]
	v_fma_f64 v[141:142], v[4:5], v[18:19], v[143:144]
	v_fma_f64 v[18:19], v[2:3], v[18:19], -v[20:21]
	v_fma_f64 v[8:9], v[8:9], v[22:23], v[16:17]
	v_fma_f64 v[6:7], v[6:7], v[22:23], -v[24:25]
	v_add_f64_e32 v[14:15], v[10:11], v[14:15]
	v_add_f64_e32 v[20:21], v[12:13], v[151:152]
	ds_load_b128 v[2:5], v1 offset:1424
	ds_load_b128 v[10:13], v1 offset:1440
	s_wait_loadcnt_dscnt 0x501
	v_mul_f64_e32 v[143:144], v[2:3], v[28:29]
	v_mul_f64_e32 v[28:29], v[4:5], v[28:29]
	v_add_f64_e32 v[14:15], v[14:15], v[18:19]
	v_add_f64_e32 v[16:17], v[20:21], v[141:142]
	s_wait_loadcnt_dscnt 0x400
	v_mul_f64_e32 v[18:19], v[10:11], v[32:33]
	v_mul_f64_e32 v[20:21], v[12:13], v[32:33]
	v_fma_f64 v[22:23], v[4:5], v[26:27], v[143:144]
	v_fma_f64 v[24:25], v[2:3], v[26:27], -v[28:29]
	v_add_f64_e32 v[14:15], v[14:15], v[6:7]
	v_add_f64_e32 v[16:17], v[16:17], v[8:9]
	ds_load_b128 v[2:5], v1 offset:1456
	ds_load_b128 v[6:9], v1 offset:1472
	v_fma_f64 v[12:13], v[12:13], v[30:31], v[18:19]
	v_fma_f64 v[10:11], v[10:11], v[30:31], -v[20:21]
	s_wait_loadcnt_dscnt 0x301
	v_mul_f64_e32 v[26:27], v[2:3], v[40:41]
	v_mul_f64_e32 v[28:29], v[4:5], v[40:41]
	s_wait_loadcnt_dscnt 0x100
	v_mul_f64_e32 v[18:19], v[6:7], v[147:148]
	v_mul_f64_e32 v[20:21], v[8:9], v[147:148]
	v_add_f64_e32 v[14:15], v[14:15], v[24:25]
	v_add_f64_e32 v[16:17], v[16:17], v[22:23]
	v_fma_f64 v[22:23], v[4:5], v[38:39], v[26:27]
	v_fma_f64 v[24:25], v[2:3], v[38:39], -v[28:29]
	ds_load_b128 v[2:5], v1 offset:1488
	v_fma_f64 v[8:9], v[8:9], v[145:146], v[18:19]
	v_fma_f64 v[6:7], v[6:7], v[145:146], -v[20:21]
	v_add_f64_e32 v[10:11], v[14:15], v[10:11]
	v_add_f64_e32 v[12:13], v[16:17], v[12:13]
	s_wait_loadcnt_dscnt 0x0
	v_mul_f64_e32 v[14:15], v[2:3], v[36:37]
	v_mul_f64_e32 v[16:17], v[4:5], v[36:37]
	s_delay_alu instid0(VALU_DEP_4) | instskip(NEXT) | instid1(VALU_DEP_4)
	v_add_f64_e32 v[10:11], v[10:11], v[24:25]
	v_add_f64_e32 v[12:13], v[12:13], v[22:23]
	s_delay_alu instid0(VALU_DEP_4) | instskip(NEXT) | instid1(VALU_DEP_4)
	v_fma_f64 v[4:5], v[4:5], v[34:35], v[14:15]
	v_fma_f64 v[2:3], v[2:3], v[34:35], -v[16:17]
	s_delay_alu instid0(VALU_DEP_4) | instskip(NEXT) | instid1(VALU_DEP_4)
	v_add_f64_e32 v[6:7], v[10:11], v[6:7]
	v_add_f64_e32 v[8:9], v[12:13], v[8:9]
	s_delay_alu instid0(VALU_DEP_2) | instskip(NEXT) | instid1(VALU_DEP_2)
	v_add_f64_e32 v[2:3], v[6:7], v[2:3]
	v_add_f64_e32 v[4:5], v[8:9], v[4:5]
	s_delay_alu instid0(VALU_DEP_2) | instskip(NEXT) | instid1(VALU_DEP_2)
	v_add_f64_e64 v[2:3], v[42:43], -v[2:3]
	v_add_f64_e64 v[4:5], v[44:45], -v[4:5]
	scratch_store_b128 off, v[2:5], off offset:576
	v_cmpx_lt_u32_e32 34, v0
	s_cbranch_execz .LBB110_227
; %bb.226:
	scratch_load_b128 v[5:8], off, s25
	v_dual_mov_b32 v2, v1 :: v_dual_mov_b32 v3, v1
	v_mov_b32_e32 v4, v1
	scratch_store_b128 off, v[1:4], off offset:560
	s_wait_loadcnt 0x0
	ds_store_b128 v140, v[5:8]
.LBB110_227:
	s_wait_alu 0xfffe
	s_or_b32 exec_lo, exec_lo, s0
	s_wait_storecnt_dscnt 0x0
	s_barrier_signal -1
	s_barrier_wait -1
	global_inv scope:SCOPE_SE
	s_clause 0x8
	scratch_load_b128 v[2:5], off, off offset:576
	scratch_load_b128 v[6:9], off, off offset:592
	;; [unrolled: 1-line block ×9, first 2 shown]
	ds_load_b128 v[38:41], v1 offset:1312
	ds_load_b128 v[42:45], v1 offset:1328
	s_clause 0x1
	scratch_load_b128 v[141:144], off, off offset:560
	scratch_load_b128 v[145:148], off, off offset:720
	s_mov_b32 s0, exec_lo
	s_wait_loadcnt_dscnt 0xa01
	v_mul_f64_e32 v[149:150], v[40:41], v[4:5]
	v_mul_f64_e32 v[4:5], v[38:39], v[4:5]
	s_wait_loadcnt_dscnt 0x900
	v_mul_f64_e32 v[153:154], v[42:43], v[8:9]
	v_mul_f64_e32 v[8:9], v[44:45], v[8:9]
	s_delay_alu instid0(VALU_DEP_4) | instskip(NEXT) | instid1(VALU_DEP_4)
	v_fma_f64 v[155:156], v[38:39], v[2:3], -v[149:150]
	v_fma_f64 v[157:158], v[40:41], v[2:3], v[4:5]
	ds_load_b128 v[2:5], v1 offset:1344
	ds_load_b128 v[149:152], v1 offset:1360
	scratch_load_b128 v[38:41], off, off offset:736
	v_fma_f64 v[44:45], v[44:45], v[6:7], v[153:154]
	v_fma_f64 v[42:43], v[42:43], v[6:7], -v[8:9]
	scratch_load_b128 v[6:9], off, off offset:752
	s_wait_loadcnt_dscnt 0xa01
	v_mul_f64_e32 v[159:160], v[2:3], v[12:13]
	v_mul_f64_e32 v[12:13], v[4:5], v[12:13]
	v_add_f64_e32 v[153:154], 0, v[155:156]
	v_add_f64_e32 v[155:156], 0, v[157:158]
	s_wait_loadcnt_dscnt 0x900
	v_mul_f64_e32 v[157:158], v[149:150], v[16:17]
	v_mul_f64_e32 v[16:17], v[151:152], v[16:17]
	v_fma_f64 v[159:160], v[4:5], v[10:11], v[159:160]
	v_fma_f64 v[161:162], v[2:3], v[10:11], -v[12:13]
	ds_load_b128 v[2:5], v1 offset:1376
	ds_load_b128 v[10:13], v1 offset:1392
	v_add_f64_e32 v[42:43], v[153:154], v[42:43]
	v_add_f64_e32 v[44:45], v[155:156], v[44:45]
	v_fma_f64 v[151:152], v[151:152], v[14:15], v[157:158]
	v_fma_f64 v[14:15], v[149:150], v[14:15], -v[16:17]
	s_wait_loadcnt_dscnt 0x801
	v_mul_f64_e32 v[153:154], v[2:3], v[20:21]
	v_mul_f64_e32 v[20:21], v[4:5], v[20:21]
	v_add_f64_e32 v[16:17], v[42:43], v[161:162]
	v_add_f64_e32 v[42:43], v[44:45], v[159:160]
	s_wait_loadcnt_dscnt 0x700
	v_mul_f64_e32 v[44:45], v[10:11], v[24:25]
	v_mul_f64_e32 v[24:25], v[12:13], v[24:25]
	v_fma_f64 v[149:150], v[4:5], v[18:19], v[153:154]
	v_fma_f64 v[18:19], v[2:3], v[18:19], -v[20:21]
	v_add_f64_e32 v[20:21], v[16:17], v[14:15]
	v_add_f64_e32 v[42:43], v[42:43], v[151:152]
	ds_load_b128 v[2:5], v1 offset:1408
	ds_load_b128 v[14:17], v1 offset:1424
	v_fma_f64 v[12:13], v[12:13], v[22:23], v[44:45]
	v_fma_f64 v[10:11], v[10:11], v[22:23], -v[24:25]
	s_wait_loadcnt_dscnt 0x601
	v_mul_f64_e32 v[151:152], v[2:3], v[28:29]
	v_mul_f64_e32 v[28:29], v[4:5], v[28:29]
	s_wait_loadcnt_dscnt 0x500
	v_mul_f64_e32 v[22:23], v[14:15], v[32:33]
	v_mul_f64_e32 v[24:25], v[16:17], v[32:33]
	v_add_f64_e32 v[18:19], v[20:21], v[18:19]
	v_add_f64_e32 v[20:21], v[42:43], v[149:150]
	v_fma_f64 v[32:33], v[4:5], v[26:27], v[151:152]
	v_fma_f64 v[26:27], v[2:3], v[26:27], -v[28:29]
	v_fma_f64 v[16:17], v[16:17], v[30:31], v[22:23]
	v_fma_f64 v[14:15], v[14:15], v[30:31], -v[24:25]
	v_add_f64_e32 v[18:19], v[18:19], v[10:11]
	v_add_f64_e32 v[20:21], v[20:21], v[12:13]
	ds_load_b128 v[2:5], v1 offset:1440
	ds_load_b128 v[10:13], v1 offset:1456
	s_wait_loadcnt_dscnt 0x401
	v_mul_f64_e32 v[28:29], v[2:3], v[36:37]
	v_mul_f64_e32 v[36:37], v[4:5], v[36:37]
	s_wait_loadcnt_dscnt 0x200
	v_mul_f64_e32 v[22:23], v[10:11], v[147:148]
	v_mul_f64_e32 v[24:25], v[12:13], v[147:148]
	v_add_f64_e32 v[18:19], v[18:19], v[26:27]
	v_add_f64_e32 v[20:21], v[20:21], v[32:33]
	v_fma_f64 v[26:27], v[4:5], v[34:35], v[28:29]
	v_fma_f64 v[28:29], v[2:3], v[34:35], -v[36:37]
	v_fma_f64 v[12:13], v[12:13], v[145:146], v[22:23]
	v_fma_f64 v[10:11], v[10:11], v[145:146], -v[24:25]
	v_add_f64_e32 v[18:19], v[18:19], v[14:15]
	v_add_f64_e32 v[20:21], v[20:21], v[16:17]
	ds_load_b128 v[2:5], v1 offset:1472
	ds_load_b128 v[14:17], v1 offset:1488
	s_wait_loadcnt_dscnt 0x101
	v_mul_f64_e32 v[30:31], v[2:3], v[40:41]
	v_mul_f64_e32 v[32:33], v[4:5], v[40:41]
	s_wait_loadcnt_dscnt 0x0
	v_mul_f64_e32 v[22:23], v[14:15], v[8:9]
	v_mul_f64_e32 v[8:9], v[16:17], v[8:9]
	v_add_f64_e32 v[18:19], v[18:19], v[28:29]
	v_add_f64_e32 v[20:21], v[20:21], v[26:27]
	v_fma_f64 v[4:5], v[4:5], v[38:39], v[30:31]
	v_fma_f64 v[1:2], v[2:3], v[38:39], -v[32:33]
	v_fma_f64 v[16:17], v[16:17], v[6:7], v[22:23]
	v_fma_f64 v[6:7], v[14:15], v[6:7], -v[8:9]
	v_add_f64_e32 v[10:11], v[18:19], v[10:11]
	v_add_f64_e32 v[12:13], v[20:21], v[12:13]
	s_delay_alu instid0(VALU_DEP_2) | instskip(NEXT) | instid1(VALU_DEP_2)
	v_add_f64_e32 v[1:2], v[10:11], v[1:2]
	v_add_f64_e32 v[3:4], v[12:13], v[4:5]
	s_delay_alu instid0(VALU_DEP_2) | instskip(NEXT) | instid1(VALU_DEP_2)
	;; [unrolled: 3-line block ×3, first 2 shown]
	v_add_f64_e64 v[1:2], v[141:142], -v[1:2]
	v_add_f64_e64 v[3:4], v[143:144], -v[3:4]
	scratch_store_b128 off, v[1:4], off offset:560
	v_cmpx_lt_u32_e32 33, v0
	s_cbranch_execz .LBB110_229
; %bb.228:
	scratch_load_b128 v[1:4], off, s26
	v_mov_b32_e32 v5, 0
	s_delay_alu instid0(VALU_DEP_1)
	v_dual_mov_b32 v6, v5 :: v_dual_mov_b32 v7, v5
	v_mov_b32_e32 v8, v5
	scratch_store_b128 off, v[5:8], off offset:544
	s_wait_loadcnt 0x0
	ds_store_b128 v140, v[1:4]
.LBB110_229:
	s_wait_alu 0xfffe
	s_or_b32 exec_lo, exec_lo, s0
	s_wait_storecnt_dscnt 0x0
	s_barrier_signal -1
	s_barrier_wait -1
	global_inv scope:SCOPE_SE
	s_clause 0x7
	scratch_load_b128 v[2:5], off, off offset:560
	scratch_load_b128 v[6:9], off, off offset:576
	;; [unrolled: 1-line block ×8, first 2 shown]
	v_mov_b32_e32 v1, 0
	s_mov_b32 s0, exec_lo
	ds_load_b128 v[34:37], v1 offset:1296
	s_clause 0x1
	scratch_load_b128 v[38:41], off, off offset:688
	scratch_load_b128 v[42:45], off, off offset:544
	ds_load_b128 v[141:144], v1 offset:1312
	scratch_load_b128 v[145:148], off, off offset:704
	s_wait_loadcnt_dscnt 0xa01
	v_mul_f64_e32 v[149:150], v[36:37], v[4:5]
	v_mul_f64_e32 v[4:5], v[34:35], v[4:5]
	s_delay_alu instid0(VALU_DEP_2) | instskip(NEXT) | instid1(VALU_DEP_2)
	v_fma_f64 v[155:156], v[34:35], v[2:3], -v[149:150]
	v_fma_f64 v[157:158], v[36:37], v[2:3], v[4:5]
	ds_load_b128 v[2:5], v1 offset:1328
	s_wait_loadcnt_dscnt 0x901
	v_mul_f64_e32 v[153:154], v[141:142], v[8:9]
	v_mul_f64_e32 v[8:9], v[143:144], v[8:9]
	scratch_load_b128 v[34:37], off, off offset:720
	ds_load_b128 v[149:152], v1 offset:1344
	s_wait_loadcnt_dscnt 0x901
	v_mul_f64_e32 v[159:160], v[2:3], v[12:13]
	v_mul_f64_e32 v[12:13], v[4:5], v[12:13]
	v_fma_f64 v[143:144], v[143:144], v[6:7], v[153:154]
	v_fma_f64 v[141:142], v[141:142], v[6:7], -v[8:9]
	v_add_f64_e32 v[153:154], 0, v[155:156]
	v_add_f64_e32 v[155:156], 0, v[157:158]
	scratch_load_b128 v[6:9], off, off offset:736
	v_fma_f64 v[159:160], v[4:5], v[10:11], v[159:160]
	v_fma_f64 v[161:162], v[2:3], v[10:11], -v[12:13]
	ds_load_b128 v[2:5], v1 offset:1360
	s_wait_loadcnt_dscnt 0x901
	v_mul_f64_e32 v[157:158], v[149:150], v[16:17]
	v_mul_f64_e32 v[16:17], v[151:152], v[16:17]
	scratch_load_b128 v[10:13], off, off offset:752
	v_add_f64_e32 v[153:154], v[153:154], v[141:142]
	v_add_f64_e32 v[155:156], v[155:156], v[143:144]
	s_wait_loadcnt_dscnt 0x900
	v_mul_f64_e32 v[163:164], v[2:3], v[20:21]
	v_mul_f64_e32 v[20:21], v[4:5], v[20:21]
	ds_load_b128 v[141:144], v1 offset:1376
	v_fma_f64 v[151:152], v[151:152], v[14:15], v[157:158]
	v_fma_f64 v[14:15], v[149:150], v[14:15], -v[16:17]
	v_add_f64_e32 v[16:17], v[153:154], v[161:162]
	v_add_f64_e32 v[149:150], v[155:156], v[159:160]
	s_wait_loadcnt_dscnt 0x800
	v_mul_f64_e32 v[153:154], v[141:142], v[24:25]
	v_mul_f64_e32 v[24:25], v[143:144], v[24:25]
	v_fma_f64 v[155:156], v[4:5], v[18:19], v[163:164]
	v_fma_f64 v[18:19], v[2:3], v[18:19], -v[20:21]
	v_add_f64_e32 v[20:21], v[16:17], v[14:15]
	v_add_f64_e32 v[149:150], v[149:150], v[151:152]
	ds_load_b128 v[2:5], v1 offset:1392
	ds_load_b128 v[14:17], v1 offset:1408
	v_fma_f64 v[143:144], v[143:144], v[22:23], v[153:154]
	v_fma_f64 v[22:23], v[141:142], v[22:23], -v[24:25]
	s_wait_loadcnt_dscnt 0x701
	v_mul_f64_e32 v[151:152], v[2:3], v[28:29]
	v_mul_f64_e32 v[28:29], v[4:5], v[28:29]
	s_wait_loadcnt_dscnt 0x600
	v_mul_f64_e32 v[24:25], v[14:15], v[32:33]
	v_mul_f64_e32 v[32:33], v[16:17], v[32:33]
	v_add_f64_e32 v[18:19], v[20:21], v[18:19]
	v_add_f64_e32 v[20:21], v[149:150], v[155:156]
	v_fma_f64 v[141:142], v[4:5], v[26:27], v[151:152]
	v_fma_f64 v[26:27], v[2:3], v[26:27], -v[28:29]
	v_fma_f64 v[16:17], v[16:17], v[30:31], v[24:25]
	v_fma_f64 v[14:15], v[14:15], v[30:31], -v[32:33]
	v_add_f64_e32 v[22:23], v[18:19], v[22:23]
	v_add_f64_e32 v[28:29], v[20:21], v[143:144]
	ds_load_b128 v[2:5], v1 offset:1424
	ds_load_b128 v[18:21], v1 offset:1440
	s_wait_loadcnt_dscnt 0x501
	v_mul_f64_e32 v[143:144], v[2:3], v[40:41]
	v_mul_f64_e32 v[40:41], v[4:5], v[40:41]
	v_add_f64_e32 v[22:23], v[22:23], v[26:27]
	v_add_f64_e32 v[24:25], v[28:29], v[141:142]
	s_wait_loadcnt_dscnt 0x300
	v_mul_f64_e32 v[26:27], v[18:19], v[147:148]
	v_mul_f64_e32 v[28:29], v[20:21], v[147:148]
	v_fma_f64 v[30:31], v[4:5], v[38:39], v[143:144]
	v_fma_f64 v[32:33], v[2:3], v[38:39], -v[40:41]
	v_add_f64_e32 v[22:23], v[22:23], v[14:15]
	v_add_f64_e32 v[24:25], v[24:25], v[16:17]
	ds_load_b128 v[2:5], v1 offset:1456
	ds_load_b128 v[14:17], v1 offset:1472
	v_fma_f64 v[20:21], v[20:21], v[145:146], v[26:27]
	v_fma_f64 v[18:19], v[18:19], v[145:146], -v[28:29]
	s_wait_loadcnt_dscnt 0x201
	v_mul_f64_e32 v[38:39], v[2:3], v[36:37]
	v_mul_f64_e32 v[36:37], v[4:5], v[36:37]
	v_add_f64_e32 v[22:23], v[22:23], v[32:33]
	v_add_f64_e32 v[24:25], v[24:25], v[30:31]
	s_wait_loadcnt_dscnt 0x100
	v_mul_f64_e32 v[26:27], v[14:15], v[8:9]
	v_mul_f64_e32 v[8:9], v[16:17], v[8:9]
	v_fma_f64 v[28:29], v[4:5], v[34:35], v[38:39]
	v_fma_f64 v[30:31], v[2:3], v[34:35], -v[36:37]
	ds_load_b128 v[2:5], v1 offset:1488
	v_add_f64_e32 v[18:19], v[22:23], v[18:19]
	v_add_f64_e32 v[20:21], v[24:25], v[20:21]
	s_wait_loadcnt_dscnt 0x0
	v_mul_f64_e32 v[22:23], v[2:3], v[12:13]
	v_mul_f64_e32 v[12:13], v[4:5], v[12:13]
	v_fma_f64 v[16:17], v[16:17], v[6:7], v[26:27]
	v_fma_f64 v[6:7], v[14:15], v[6:7], -v[8:9]
	v_add_f64_e32 v[8:9], v[18:19], v[30:31]
	v_add_f64_e32 v[14:15], v[20:21], v[28:29]
	v_fma_f64 v[4:5], v[4:5], v[10:11], v[22:23]
	v_fma_f64 v[2:3], v[2:3], v[10:11], -v[12:13]
	s_delay_alu instid0(VALU_DEP_4) | instskip(NEXT) | instid1(VALU_DEP_4)
	v_add_f64_e32 v[6:7], v[8:9], v[6:7]
	v_add_f64_e32 v[8:9], v[14:15], v[16:17]
	s_delay_alu instid0(VALU_DEP_2) | instskip(NEXT) | instid1(VALU_DEP_2)
	v_add_f64_e32 v[2:3], v[6:7], v[2:3]
	v_add_f64_e32 v[4:5], v[8:9], v[4:5]
	s_delay_alu instid0(VALU_DEP_2) | instskip(NEXT) | instid1(VALU_DEP_2)
	v_add_f64_e64 v[2:3], v[42:43], -v[2:3]
	v_add_f64_e64 v[4:5], v[44:45], -v[4:5]
	scratch_store_b128 off, v[2:5], off offset:544
	v_cmpx_lt_u32_e32 32, v0
	s_cbranch_execz .LBB110_231
; %bb.230:
	scratch_load_b128 v[5:8], off, s27
	v_dual_mov_b32 v2, v1 :: v_dual_mov_b32 v3, v1
	v_mov_b32_e32 v4, v1
	scratch_store_b128 off, v[1:4], off offset:528
	s_wait_loadcnt 0x0
	ds_store_b128 v140, v[5:8]
.LBB110_231:
	s_wait_alu 0xfffe
	s_or_b32 exec_lo, exec_lo, s0
	s_wait_storecnt_dscnt 0x0
	s_barrier_signal -1
	s_barrier_wait -1
	global_inv scope:SCOPE_SE
	s_clause 0x8
	scratch_load_b128 v[2:5], off, off offset:544
	scratch_load_b128 v[6:9], off, off offset:560
	;; [unrolled: 1-line block ×9, first 2 shown]
	ds_load_b128 v[38:41], v1 offset:1280
	ds_load_b128 v[42:45], v1 offset:1296
	s_clause 0x1
	scratch_load_b128 v[141:144], off, off offset:528
	scratch_load_b128 v[145:148], off, off offset:688
	s_mov_b32 s0, exec_lo
	s_wait_loadcnt_dscnt 0xa01
	v_mul_f64_e32 v[149:150], v[40:41], v[4:5]
	v_mul_f64_e32 v[4:5], v[38:39], v[4:5]
	s_wait_loadcnt_dscnt 0x900
	v_mul_f64_e32 v[153:154], v[42:43], v[8:9]
	v_mul_f64_e32 v[8:9], v[44:45], v[8:9]
	s_delay_alu instid0(VALU_DEP_4) | instskip(NEXT) | instid1(VALU_DEP_4)
	v_fma_f64 v[155:156], v[38:39], v[2:3], -v[149:150]
	v_fma_f64 v[157:158], v[40:41], v[2:3], v[4:5]
	ds_load_b128 v[2:5], v1 offset:1312
	ds_load_b128 v[149:152], v1 offset:1328
	scratch_load_b128 v[38:41], off, off offset:704
	v_fma_f64 v[44:45], v[44:45], v[6:7], v[153:154]
	v_fma_f64 v[42:43], v[42:43], v[6:7], -v[8:9]
	scratch_load_b128 v[6:9], off, off offset:720
	s_wait_loadcnt_dscnt 0xa01
	v_mul_f64_e32 v[159:160], v[2:3], v[12:13]
	v_mul_f64_e32 v[12:13], v[4:5], v[12:13]
	v_add_f64_e32 v[153:154], 0, v[155:156]
	v_add_f64_e32 v[155:156], 0, v[157:158]
	s_wait_loadcnt_dscnt 0x900
	v_mul_f64_e32 v[157:158], v[149:150], v[16:17]
	v_mul_f64_e32 v[16:17], v[151:152], v[16:17]
	v_fma_f64 v[159:160], v[4:5], v[10:11], v[159:160]
	v_fma_f64 v[161:162], v[2:3], v[10:11], -v[12:13]
	ds_load_b128 v[2:5], v1 offset:1344
	scratch_load_b128 v[10:13], off, off offset:736
	v_add_f64_e32 v[153:154], v[153:154], v[42:43]
	v_add_f64_e32 v[155:156], v[155:156], v[44:45]
	ds_load_b128 v[42:45], v1 offset:1360
	v_fma_f64 v[151:152], v[151:152], v[14:15], v[157:158]
	v_fma_f64 v[149:150], v[149:150], v[14:15], -v[16:17]
	scratch_load_b128 v[14:17], off, off offset:752
	s_wait_loadcnt_dscnt 0xa01
	v_mul_f64_e32 v[163:164], v[2:3], v[20:21]
	v_mul_f64_e32 v[20:21], v[4:5], v[20:21]
	s_wait_loadcnt_dscnt 0x900
	v_mul_f64_e32 v[157:158], v[42:43], v[24:25]
	v_mul_f64_e32 v[24:25], v[44:45], v[24:25]
	v_add_f64_e32 v[153:154], v[153:154], v[161:162]
	v_add_f64_e32 v[155:156], v[155:156], v[159:160]
	v_fma_f64 v[159:160], v[4:5], v[18:19], v[163:164]
	v_fma_f64 v[161:162], v[2:3], v[18:19], -v[20:21]
	ds_load_b128 v[2:5], v1 offset:1376
	ds_load_b128 v[18:21], v1 offset:1392
	v_fma_f64 v[44:45], v[44:45], v[22:23], v[157:158]
	v_fma_f64 v[22:23], v[42:43], v[22:23], -v[24:25]
	v_add_f64_e32 v[149:150], v[153:154], v[149:150]
	v_add_f64_e32 v[151:152], v[155:156], v[151:152]
	s_wait_loadcnt_dscnt 0x801
	v_mul_f64_e32 v[153:154], v[2:3], v[28:29]
	v_mul_f64_e32 v[28:29], v[4:5], v[28:29]
	s_delay_alu instid0(VALU_DEP_4) | instskip(NEXT) | instid1(VALU_DEP_4)
	v_add_f64_e32 v[24:25], v[149:150], v[161:162]
	v_add_f64_e32 v[42:43], v[151:152], v[159:160]
	s_wait_loadcnt_dscnt 0x700
	v_mul_f64_e32 v[149:150], v[18:19], v[32:33]
	v_mul_f64_e32 v[32:33], v[20:21], v[32:33]
	v_fma_f64 v[151:152], v[4:5], v[26:27], v[153:154]
	v_fma_f64 v[26:27], v[2:3], v[26:27], -v[28:29]
	v_add_f64_e32 v[28:29], v[24:25], v[22:23]
	v_add_f64_e32 v[42:43], v[42:43], v[44:45]
	ds_load_b128 v[2:5], v1 offset:1408
	ds_load_b128 v[22:25], v1 offset:1424
	v_fma_f64 v[20:21], v[20:21], v[30:31], v[149:150]
	v_fma_f64 v[18:19], v[18:19], v[30:31], -v[32:33]
	s_wait_loadcnt_dscnt 0x601
	v_mul_f64_e32 v[44:45], v[2:3], v[36:37]
	v_mul_f64_e32 v[36:37], v[4:5], v[36:37]
	s_wait_loadcnt_dscnt 0x400
	v_mul_f64_e32 v[30:31], v[22:23], v[147:148]
	v_mul_f64_e32 v[32:33], v[24:25], v[147:148]
	v_add_f64_e32 v[26:27], v[28:29], v[26:27]
	v_add_f64_e32 v[28:29], v[42:43], v[151:152]
	v_fma_f64 v[42:43], v[4:5], v[34:35], v[44:45]
	v_fma_f64 v[34:35], v[2:3], v[34:35], -v[36:37]
	v_fma_f64 v[24:25], v[24:25], v[145:146], v[30:31]
	v_fma_f64 v[22:23], v[22:23], v[145:146], -v[32:33]
	v_add_f64_e32 v[26:27], v[26:27], v[18:19]
	v_add_f64_e32 v[28:29], v[28:29], v[20:21]
	ds_load_b128 v[2:5], v1 offset:1440
	ds_load_b128 v[18:21], v1 offset:1456
	s_wait_loadcnt_dscnt 0x301
	v_mul_f64_e32 v[36:37], v[2:3], v[40:41]
	v_mul_f64_e32 v[40:41], v[4:5], v[40:41]
	s_wait_loadcnt_dscnt 0x200
	v_mul_f64_e32 v[30:31], v[18:19], v[8:9]
	v_mul_f64_e32 v[8:9], v[20:21], v[8:9]
	v_add_f64_e32 v[26:27], v[26:27], v[34:35]
	v_add_f64_e32 v[28:29], v[28:29], v[42:43]
	v_fma_f64 v[32:33], v[4:5], v[38:39], v[36:37]
	v_fma_f64 v[34:35], v[2:3], v[38:39], -v[40:41]
	v_fma_f64 v[20:21], v[20:21], v[6:7], v[30:31]
	v_fma_f64 v[6:7], v[18:19], v[6:7], -v[8:9]
	v_add_f64_e32 v[26:27], v[26:27], v[22:23]
	v_add_f64_e32 v[28:29], v[28:29], v[24:25]
	ds_load_b128 v[2:5], v1 offset:1472
	ds_load_b128 v[22:25], v1 offset:1488
	s_wait_loadcnt_dscnt 0x101
	v_mul_f64_e32 v[36:37], v[2:3], v[12:13]
	v_mul_f64_e32 v[12:13], v[4:5], v[12:13]
	v_add_f64_e32 v[8:9], v[26:27], v[34:35]
	v_add_f64_e32 v[18:19], v[28:29], v[32:33]
	s_wait_loadcnt_dscnt 0x0
	v_mul_f64_e32 v[26:27], v[22:23], v[16:17]
	v_mul_f64_e32 v[16:17], v[24:25], v[16:17]
	v_fma_f64 v[4:5], v[4:5], v[10:11], v[36:37]
	v_fma_f64 v[1:2], v[2:3], v[10:11], -v[12:13]
	v_add_f64_e32 v[6:7], v[8:9], v[6:7]
	v_add_f64_e32 v[8:9], v[18:19], v[20:21]
	v_fma_f64 v[10:11], v[24:25], v[14:15], v[26:27]
	v_fma_f64 v[12:13], v[22:23], v[14:15], -v[16:17]
	s_delay_alu instid0(VALU_DEP_4) | instskip(NEXT) | instid1(VALU_DEP_4)
	v_add_f64_e32 v[1:2], v[6:7], v[1:2]
	v_add_f64_e32 v[3:4], v[8:9], v[4:5]
	s_delay_alu instid0(VALU_DEP_2) | instskip(NEXT) | instid1(VALU_DEP_2)
	v_add_f64_e32 v[1:2], v[1:2], v[12:13]
	v_add_f64_e32 v[3:4], v[3:4], v[10:11]
	s_delay_alu instid0(VALU_DEP_2) | instskip(NEXT) | instid1(VALU_DEP_2)
	v_add_f64_e64 v[1:2], v[141:142], -v[1:2]
	v_add_f64_e64 v[3:4], v[143:144], -v[3:4]
	scratch_store_b128 off, v[1:4], off offset:528
	v_cmpx_lt_u32_e32 31, v0
	s_cbranch_execz .LBB110_233
; %bb.232:
	scratch_load_b128 v[1:4], off, s28
	v_mov_b32_e32 v5, 0
	s_delay_alu instid0(VALU_DEP_1)
	v_dual_mov_b32 v6, v5 :: v_dual_mov_b32 v7, v5
	v_mov_b32_e32 v8, v5
	scratch_store_b128 off, v[5:8], off offset:512
	s_wait_loadcnt 0x0
	ds_store_b128 v140, v[1:4]
.LBB110_233:
	s_wait_alu 0xfffe
	s_or_b32 exec_lo, exec_lo, s0
	s_wait_storecnt_dscnt 0x0
	s_barrier_signal -1
	s_barrier_wait -1
	global_inv scope:SCOPE_SE
	s_clause 0x7
	scratch_load_b128 v[2:5], off, off offset:528
	scratch_load_b128 v[6:9], off, off offset:544
	;; [unrolled: 1-line block ×8, first 2 shown]
	v_mov_b32_e32 v1, 0
	s_mov_b32 s0, exec_lo
	ds_load_b128 v[34:37], v1 offset:1264
	s_clause 0x1
	scratch_load_b128 v[38:41], off, off offset:656
	scratch_load_b128 v[42:45], off, off offset:512
	ds_load_b128 v[141:144], v1 offset:1280
	scratch_load_b128 v[145:148], off, off offset:672
	s_wait_loadcnt_dscnt 0xa01
	v_mul_f64_e32 v[149:150], v[36:37], v[4:5]
	v_mul_f64_e32 v[4:5], v[34:35], v[4:5]
	s_delay_alu instid0(VALU_DEP_2) | instskip(NEXT) | instid1(VALU_DEP_2)
	v_fma_f64 v[155:156], v[34:35], v[2:3], -v[149:150]
	v_fma_f64 v[157:158], v[36:37], v[2:3], v[4:5]
	ds_load_b128 v[2:5], v1 offset:1296
	s_wait_loadcnt_dscnt 0x901
	v_mul_f64_e32 v[153:154], v[141:142], v[8:9]
	v_mul_f64_e32 v[8:9], v[143:144], v[8:9]
	scratch_load_b128 v[34:37], off, off offset:688
	ds_load_b128 v[149:152], v1 offset:1312
	s_wait_loadcnt_dscnt 0x901
	v_mul_f64_e32 v[159:160], v[2:3], v[12:13]
	v_mul_f64_e32 v[12:13], v[4:5], v[12:13]
	v_fma_f64 v[143:144], v[143:144], v[6:7], v[153:154]
	v_fma_f64 v[141:142], v[141:142], v[6:7], -v[8:9]
	v_add_f64_e32 v[153:154], 0, v[155:156]
	v_add_f64_e32 v[155:156], 0, v[157:158]
	scratch_load_b128 v[6:9], off, off offset:704
	v_fma_f64 v[159:160], v[4:5], v[10:11], v[159:160]
	v_fma_f64 v[161:162], v[2:3], v[10:11], -v[12:13]
	ds_load_b128 v[2:5], v1 offset:1328
	s_wait_loadcnt_dscnt 0x901
	v_mul_f64_e32 v[157:158], v[149:150], v[16:17]
	v_mul_f64_e32 v[16:17], v[151:152], v[16:17]
	scratch_load_b128 v[10:13], off, off offset:720
	v_add_f64_e32 v[153:154], v[153:154], v[141:142]
	v_add_f64_e32 v[155:156], v[155:156], v[143:144]
	s_wait_loadcnt_dscnt 0x900
	v_mul_f64_e32 v[163:164], v[2:3], v[20:21]
	v_mul_f64_e32 v[20:21], v[4:5], v[20:21]
	ds_load_b128 v[141:144], v1 offset:1344
	v_fma_f64 v[151:152], v[151:152], v[14:15], v[157:158]
	v_fma_f64 v[149:150], v[149:150], v[14:15], -v[16:17]
	scratch_load_b128 v[14:17], off, off offset:736
	v_add_f64_e32 v[153:154], v[153:154], v[161:162]
	v_add_f64_e32 v[155:156], v[155:156], v[159:160]
	v_fma_f64 v[159:160], v[4:5], v[18:19], v[163:164]
	v_fma_f64 v[161:162], v[2:3], v[18:19], -v[20:21]
	ds_load_b128 v[2:5], v1 offset:1360
	s_wait_loadcnt_dscnt 0x901
	v_mul_f64_e32 v[157:158], v[141:142], v[24:25]
	v_mul_f64_e32 v[24:25], v[143:144], v[24:25]
	scratch_load_b128 v[18:21], off, off offset:752
	s_wait_loadcnt_dscnt 0x900
	v_mul_f64_e32 v[163:164], v[2:3], v[28:29]
	v_mul_f64_e32 v[28:29], v[4:5], v[28:29]
	v_add_f64_e32 v[153:154], v[153:154], v[149:150]
	v_add_f64_e32 v[155:156], v[155:156], v[151:152]
	ds_load_b128 v[149:152], v1 offset:1376
	v_fma_f64 v[143:144], v[143:144], v[22:23], v[157:158]
	v_fma_f64 v[22:23], v[141:142], v[22:23], -v[24:25]
	v_add_f64_e32 v[24:25], v[153:154], v[161:162]
	v_add_f64_e32 v[141:142], v[155:156], v[159:160]
	s_wait_loadcnt_dscnt 0x800
	v_mul_f64_e32 v[153:154], v[149:150], v[32:33]
	v_mul_f64_e32 v[32:33], v[151:152], v[32:33]
	v_fma_f64 v[155:156], v[4:5], v[26:27], v[163:164]
	v_fma_f64 v[26:27], v[2:3], v[26:27], -v[28:29]
	v_add_f64_e32 v[28:29], v[24:25], v[22:23]
	v_add_f64_e32 v[141:142], v[141:142], v[143:144]
	ds_load_b128 v[2:5], v1 offset:1392
	ds_load_b128 v[22:25], v1 offset:1408
	v_fma_f64 v[151:152], v[151:152], v[30:31], v[153:154]
	v_fma_f64 v[30:31], v[149:150], v[30:31], -v[32:33]
	s_wait_loadcnt_dscnt 0x701
	v_mul_f64_e32 v[143:144], v[2:3], v[40:41]
	v_mul_f64_e32 v[40:41], v[4:5], v[40:41]
	s_wait_loadcnt_dscnt 0x500
	v_mul_f64_e32 v[32:33], v[22:23], v[147:148]
	v_add_f64_e32 v[26:27], v[28:29], v[26:27]
	v_add_f64_e32 v[28:29], v[141:142], v[155:156]
	v_mul_f64_e32 v[141:142], v[24:25], v[147:148]
	v_fma_f64 v[143:144], v[4:5], v[38:39], v[143:144]
	v_fma_f64 v[38:39], v[2:3], v[38:39], -v[40:41]
	v_fma_f64 v[24:25], v[24:25], v[145:146], v[32:33]
	v_add_f64_e32 v[30:31], v[26:27], v[30:31]
	v_add_f64_e32 v[40:41], v[28:29], v[151:152]
	ds_load_b128 v[2:5], v1 offset:1424
	ds_load_b128 v[26:29], v1 offset:1440
	v_fma_f64 v[22:23], v[22:23], v[145:146], -v[141:142]
	s_wait_loadcnt_dscnt 0x401
	v_mul_f64_e32 v[147:148], v[2:3], v[36:37]
	v_mul_f64_e32 v[36:37], v[4:5], v[36:37]
	v_add_f64_e32 v[30:31], v[30:31], v[38:39]
	v_add_f64_e32 v[32:33], v[40:41], v[143:144]
	s_wait_loadcnt_dscnt 0x300
	v_mul_f64_e32 v[38:39], v[26:27], v[8:9]
	v_mul_f64_e32 v[8:9], v[28:29], v[8:9]
	v_fma_f64 v[40:41], v[4:5], v[34:35], v[147:148]
	v_fma_f64 v[34:35], v[2:3], v[34:35], -v[36:37]
	v_add_f64_e32 v[30:31], v[30:31], v[22:23]
	v_add_f64_e32 v[32:33], v[32:33], v[24:25]
	ds_load_b128 v[2:5], v1 offset:1456
	ds_load_b128 v[22:25], v1 offset:1472
	v_fma_f64 v[28:29], v[28:29], v[6:7], v[38:39]
	v_fma_f64 v[6:7], v[26:27], v[6:7], -v[8:9]
	s_wait_loadcnt_dscnt 0x201
	v_mul_f64_e32 v[36:37], v[2:3], v[12:13]
	v_mul_f64_e32 v[12:13], v[4:5], v[12:13]
	v_add_f64_e32 v[8:9], v[30:31], v[34:35]
	v_add_f64_e32 v[26:27], v[32:33], v[40:41]
	s_wait_loadcnt_dscnt 0x100
	v_mul_f64_e32 v[30:31], v[22:23], v[16:17]
	v_mul_f64_e32 v[16:17], v[24:25], v[16:17]
	v_fma_f64 v[32:33], v[4:5], v[10:11], v[36:37]
	v_fma_f64 v[10:11], v[2:3], v[10:11], -v[12:13]
	ds_load_b128 v[2:5], v1 offset:1488
	v_add_f64_e32 v[6:7], v[8:9], v[6:7]
	v_add_f64_e32 v[8:9], v[26:27], v[28:29]
	v_fma_f64 v[24:25], v[24:25], v[14:15], v[30:31]
	v_fma_f64 v[14:15], v[22:23], v[14:15], -v[16:17]
	s_wait_loadcnt_dscnt 0x0
	v_mul_f64_e32 v[12:13], v[2:3], v[20:21]
	v_mul_f64_e32 v[20:21], v[4:5], v[20:21]
	v_add_f64_e32 v[6:7], v[6:7], v[10:11]
	v_add_f64_e32 v[8:9], v[8:9], v[32:33]
	s_delay_alu instid0(VALU_DEP_4) | instskip(NEXT) | instid1(VALU_DEP_4)
	v_fma_f64 v[4:5], v[4:5], v[18:19], v[12:13]
	v_fma_f64 v[2:3], v[2:3], v[18:19], -v[20:21]
	s_delay_alu instid0(VALU_DEP_4) | instskip(NEXT) | instid1(VALU_DEP_4)
	v_add_f64_e32 v[6:7], v[6:7], v[14:15]
	v_add_f64_e32 v[8:9], v[8:9], v[24:25]
	s_delay_alu instid0(VALU_DEP_2) | instskip(NEXT) | instid1(VALU_DEP_2)
	v_add_f64_e32 v[2:3], v[6:7], v[2:3]
	v_add_f64_e32 v[4:5], v[8:9], v[4:5]
	s_delay_alu instid0(VALU_DEP_2) | instskip(NEXT) | instid1(VALU_DEP_2)
	v_add_f64_e64 v[2:3], v[42:43], -v[2:3]
	v_add_f64_e64 v[4:5], v[44:45], -v[4:5]
	scratch_store_b128 off, v[2:5], off offset:512
	v_cmpx_lt_u32_e32 30, v0
	s_cbranch_execz .LBB110_235
; %bb.234:
	scratch_load_b128 v[5:8], off, s29
	v_dual_mov_b32 v2, v1 :: v_dual_mov_b32 v3, v1
	v_mov_b32_e32 v4, v1
	scratch_store_b128 off, v[1:4], off offset:496
	s_wait_loadcnt 0x0
	ds_store_b128 v140, v[5:8]
.LBB110_235:
	s_wait_alu 0xfffe
	s_or_b32 exec_lo, exec_lo, s0
	s_wait_storecnt_dscnt 0x0
	s_barrier_signal -1
	s_barrier_wait -1
	global_inv scope:SCOPE_SE
	s_clause 0x8
	scratch_load_b128 v[2:5], off, off offset:512
	scratch_load_b128 v[6:9], off, off offset:528
	;; [unrolled: 1-line block ×9, first 2 shown]
	ds_load_b128 v[38:41], v1 offset:1248
	ds_load_b128 v[42:45], v1 offset:1264
	s_clause 0x1
	scratch_load_b128 v[141:144], off, off offset:496
	scratch_load_b128 v[145:148], off, off offset:656
	s_mov_b32 s0, exec_lo
	s_wait_loadcnt_dscnt 0xa01
	v_mul_f64_e32 v[149:150], v[40:41], v[4:5]
	v_mul_f64_e32 v[4:5], v[38:39], v[4:5]
	s_wait_loadcnt_dscnt 0x900
	v_mul_f64_e32 v[153:154], v[42:43], v[8:9]
	v_mul_f64_e32 v[8:9], v[44:45], v[8:9]
	s_delay_alu instid0(VALU_DEP_4) | instskip(NEXT) | instid1(VALU_DEP_4)
	v_fma_f64 v[155:156], v[38:39], v[2:3], -v[149:150]
	v_fma_f64 v[157:158], v[40:41], v[2:3], v[4:5]
	ds_load_b128 v[2:5], v1 offset:1280
	ds_load_b128 v[149:152], v1 offset:1296
	scratch_load_b128 v[38:41], off, off offset:672
	v_fma_f64 v[44:45], v[44:45], v[6:7], v[153:154]
	v_fma_f64 v[42:43], v[42:43], v[6:7], -v[8:9]
	scratch_load_b128 v[6:9], off, off offset:688
	s_wait_loadcnt_dscnt 0xa01
	v_mul_f64_e32 v[159:160], v[2:3], v[12:13]
	v_mul_f64_e32 v[12:13], v[4:5], v[12:13]
	v_add_f64_e32 v[153:154], 0, v[155:156]
	v_add_f64_e32 v[155:156], 0, v[157:158]
	s_wait_loadcnt_dscnt 0x900
	v_mul_f64_e32 v[157:158], v[149:150], v[16:17]
	v_mul_f64_e32 v[16:17], v[151:152], v[16:17]
	v_fma_f64 v[159:160], v[4:5], v[10:11], v[159:160]
	v_fma_f64 v[161:162], v[2:3], v[10:11], -v[12:13]
	ds_load_b128 v[2:5], v1 offset:1312
	scratch_load_b128 v[10:13], off, off offset:704
	v_add_f64_e32 v[153:154], v[153:154], v[42:43]
	v_add_f64_e32 v[155:156], v[155:156], v[44:45]
	ds_load_b128 v[42:45], v1 offset:1328
	v_fma_f64 v[151:152], v[151:152], v[14:15], v[157:158]
	v_fma_f64 v[149:150], v[149:150], v[14:15], -v[16:17]
	scratch_load_b128 v[14:17], off, off offset:720
	s_wait_loadcnt_dscnt 0xa01
	v_mul_f64_e32 v[163:164], v[2:3], v[20:21]
	v_mul_f64_e32 v[20:21], v[4:5], v[20:21]
	s_wait_loadcnt_dscnt 0x900
	v_mul_f64_e32 v[157:158], v[42:43], v[24:25]
	v_mul_f64_e32 v[24:25], v[44:45], v[24:25]
	v_add_f64_e32 v[153:154], v[153:154], v[161:162]
	v_add_f64_e32 v[155:156], v[155:156], v[159:160]
	v_fma_f64 v[159:160], v[4:5], v[18:19], v[163:164]
	v_fma_f64 v[161:162], v[2:3], v[18:19], -v[20:21]
	ds_load_b128 v[2:5], v1 offset:1344
	scratch_load_b128 v[18:21], off, off offset:736
	v_fma_f64 v[44:45], v[44:45], v[22:23], v[157:158]
	v_fma_f64 v[42:43], v[42:43], v[22:23], -v[24:25]
	scratch_load_b128 v[22:25], off, off offset:752
	v_add_f64_e32 v[153:154], v[153:154], v[149:150]
	v_add_f64_e32 v[155:156], v[155:156], v[151:152]
	ds_load_b128 v[149:152], v1 offset:1360
	s_wait_loadcnt_dscnt 0xa01
	v_mul_f64_e32 v[163:164], v[2:3], v[28:29]
	v_mul_f64_e32 v[28:29], v[4:5], v[28:29]
	s_wait_loadcnt_dscnt 0x900
	v_mul_f64_e32 v[157:158], v[149:150], v[32:33]
	v_mul_f64_e32 v[32:33], v[151:152], v[32:33]
	v_add_f64_e32 v[153:154], v[153:154], v[161:162]
	v_add_f64_e32 v[155:156], v[155:156], v[159:160]
	v_fma_f64 v[159:160], v[4:5], v[26:27], v[163:164]
	v_fma_f64 v[161:162], v[2:3], v[26:27], -v[28:29]
	ds_load_b128 v[2:5], v1 offset:1376
	ds_load_b128 v[26:29], v1 offset:1392
	v_fma_f64 v[151:152], v[151:152], v[30:31], v[157:158]
	v_fma_f64 v[30:31], v[149:150], v[30:31], -v[32:33]
	v_add_f64_e32 v[42:43], v[153:154], v[42:43]
	v_add_f64_e32 v[44:45], v[155:156], v[44:45]
	s_wait_loadcnt_dscnt 0x801
	v_mul_f64_e32 v[153:154], v[2:3], v[36:37]
	v_mul_f64_e32 v[36:37], v[4:5], v[36:37]
	s_delay_alu instid0(VALU_DEP_4) | instskip(NEXT) | instid1(VALU_DEP_4)
	v_add_f64_e32 v[32:33], v[42:43], v[161:162]
	v_add_f64_e32 v[42:43], v[44:45], v[159:160]
	s_wait_loadcnt_dscnt 0x600
	v_mul_f64_e32 v[44:45], v[26:27], v[147:148]
	v_mul_f64_e32 v[147:148], v[28:29], v[147:148]
	v_fma_f64 v[149:150], v[4:5], v[34:35], v[153:154]
	v_fma_f64 v[34:35], v[2:3], v[34:35], -v[36:37]
	v_add_f64_e32 v[36:37], v[32:33], v[30:31]
	v_add_f64_e32 v[42:43], v[42:43], v[151:152]
	ds_load_b128 v[2:5], v1 offset:1408
	ds_load_b128 v[30:33], v1 offset:1424
	v_fma_f64 v[28:29], v[28:29], v[145:146], v[44:45]
	v_fma_f64 v[26:27], v[26:27], v[145:146], -v[147:148]
	s_wait_loadcnt_dscnt 0x501
	v_mul_f64_e32 v[151:152], v[2:3], v[40:41]
	v_mul_f64_e32 v[40:41], v[4:5], v[40:41]
	v_add_f64_e32 v[34:35], v[36:37], v[34:35]
	v_add_f64_e32 v[36:37], v[42:43], v[149:150]
	s_wait_loadcnt_dscnt 0x400
	v_mul_f64_e32 v[42:43], v[30:31], v[8:9]
	v_mul_f64_e32 v[8:9], v[32:33], v[8:9]
	v_fma_f64 v[44:45], v[4:5], v[38:39], v[151:152]
	v_fma_f64 v[38:39], v[2:3], v[38:39], -v[40:41]
	v_add_f64_e32 v[34:35], v[34:35], v[26:27]
	v_add_f64_e32 v[36:37], v[36:37], v[28:29]
	ds_load_b128 v[2:5], v1 offset:1440
	ds_load_b128 v[26:29], v1 offset:1456
	v_fma_f64 v[32:33], v[32:33], v[6:7], v[42:43]
	v_fma_f64 v[6:7], v[30:31], v[6:7], -v[8:9]
	s_wait_loadcnt_dscnt 0x301
	v_mul_f64_e32 v[40:41], v[2:3], v[12:13]
	v_mul_f64_e32 v[12:13], v[4:5], v[12:13]
	;; [unrolled: 16-line block ×3, first 2 shown]
	s_wait_loadcnt_dscnt 0x0
	v_mul_f64_e32 v[16:17], v[6:7], v[24:25]
	v_mul_f64_e32 v[24:25], v[8:9], v[24:25]
	v_add_f64_e32 v[10:11], v[12:13], v[10:11]
	v_add_f64_e32 v[12:13], v[30:31], v[36:37]
	v_fma_f64 v[4:5], v[4:5], v[18:19], v[32:33]
	v_fma_f64 v[1:2], v[2:3], v[18:19], -v[20:21]
	v_fma_f64 v[8:9], v[8:9], v[22:23], v[16:17]
	v_fma_f64 v[6:7], v[6:7], v[22:23], -v[24:25]
	v_add_f64_e32 v[10:11], v[10:11], v[14:15]
	v_add_f64_e32 v[12:13], v[12:13], v[28:29]
	s_delay_alu instid0(VALU_DEP_2) | instskip(NEXT) | instid1(VALU_DEP_2)
	v_add_f64_e32 v[1:2], v[10:11], v[1:2]
	v_add_f64_e32 v[3:4], v[12:13], v[4:5]
	s_delay_alu instid0(VALU_DEP_2) | instskip(NEXT) | instid1(VALU_DEP_2)
	;; [unrolled: 3-line block ×3, first 2 shown]
	v_add_f64_e64 v[1:2], v[141:142], -v[1:2]
	v_add_f64_e64 v[3:4], v[143:144], -v[3:4]
	scratch_store_b128 off, v[1:4], off offset:496
	v_cmpx_lt_u32_e32 29, v0
	s_cbranch_execz .LBB110_237
; %bb.236:
	scratch_load_b128 v[1:4], off, s30
	v_mov_b32_e32 v5, 0
	s_delay_alu instid0(VALU_DEP_1)
	v_dual_mov_b32 v6, v5 :: v_dual_mov_b32 v7, v5
	v_mov_b32_e32 v8, v5
	scratch_store_b128 off, v[5:8], off offset:480
	s_wait_loadcnt 0x0
	ds_store_b128 v140, v[1:4]
.LBB110_237:
	s_wait_alu 0xfffe
	s_or_b32 exec_lo, exec_lo, s0
	s_wait_storecnt_dscnt 0x0
	s_barrier_signal -1
	s_barrier_wait -1
	global_inv scope:SCOPE_SE
	s_clause 0x7
	scratch_load_b128 v[2:5], off, off offset:496
	scratch_load_b128 v[6:9], off, off offset:512
	;; [unrolled: 1-line block ×8, first 2 shown]
	v_mov_b32_e32 v1, 0
	s_mov_b32 s0, exec_lo
	ds_load_b128 v[34:37], v1 offset:1232
	s_clause 0x1
	scratch_load_b128 v[38:41], off, off offset:624
	scratch_load_b128 v[42:45], off, off offset:480
	ds_load_b128 v[141:144], v1 offset:1248
	scratch_load_b128 v[145:148], off, off offset:640
	s_wait_loadcnt_dscnt 0xa01
	v_mul_f64_e32 v[149:150], v[36:37], v[4:5]
	v_mul_f64_e32 v[4:5], v[34:35], v[4:5]
	s_delay_alu instid0(VALU_DEP_2) | instskip(NEXT) | instid1(VALU_DEP_2)
	v_fma_f64 v[155:156], v[34:35], v[2:3], -v[149:150]
	v_fma_f64 v[157:158], v[36:37], v[2:3], v[4:5]
	ds_load_b128 v[2:5], v1 offset:1264
	s_wait_loadcnt_dscnt 0x901
	v_mul_f64_e32 v[153:154], v[141:142], v[8:9]
	v_mul_f64_e32 v[8:9], v[143:144], v[8:9]
	scratch_load_b128 v[34:37], off, off offset:656
	ds_load_b128 v[149:152], v1 offset:1280
	s_wait_loadcnt_dscnt 0x901
	v_mul_f64_e32 v[159:160], v[2:3], v[12:13]
	v_mul_f64_e32 v[12:13], v[4:5], v[12:13]
	v_fma_f64 v[143:144], v[143:144], v[6:7], v[153:154]
	v_fma_f64 v[141:142], v[141:142], v[6:7], -v[8:9]
	v_add_f64_e32 v[153:154], 0, v[155:156]
	v_add_f64_e32 v[155:156], 0, v[157:158]
	scratch_load_b128 v[6:9], off, off offset:672
	v_fma_f64 v[159:160], v[4:5], v[10:11], v[159:160]
	v_fma_f64 v[161:162], v[2:3], v[10:11], -v[12:13]
	ds_load_b128 v[2:5], v1 offset:1296
	s_wait_loadcnt_dscnt 0x901
	v_mul_f64_e32 v[157:158], v[149:150], v[16:17]
	v_mul_f64_e32 v[16:17], v[151:152], v[16:17]
	scratch_load_b128 v[10:13], off, off offset:688
	v_add_f64_e32 v[153:154], v[153:154], v[141:142]
	v_add_f64_e32 v[155:156], v[155:156], v[143:144]
	s_wait_loadcnt_dscnt 0x900
	v_mul_f64_e32 v[163:164], v[2:3], v[20:21]
	v_mul_f64_e32 v[20:21], v[4:5], v[20:21]
	ds_load_b128 v[141:144], v1 offset:1312
	v_fma_f64 v[151:152], v[151:152], v[14:15], v[157:158]
	v_fma_f64 v[149:150], v[149:150], v[14:15], -v[16:17]
	scratch_load_b128 v[14:17], off, off offset:704
	v_add_f64_e32 v[153:154], v[153:154], v[161:162]
	v_add_f64_e32 v[155:156], v[155:156], v[159:160]
	v_fma_f64 v[159:160], v[4:5], v[18:19], v[163:164]
	v_fma_f64 v[161:162], v[2:3], v[18:19], -v[20:21]
	ds_load_b128 v[2:5], v1 offset:1328
	s_wait_loadcnt_dscnt 0x901
	v_mul_f64_e32 v[157:158], v[141:142], v[24:25]
	v_mul_f64_e32 v[24:25], v[143:144], v[24:25]
	scratch_load_b128 v[18:21], off, off offset:720
	s_wait_loadcnt_dscnt 0x900
	v_mul_f64_e32 v[163:164], v[2:3], v[28:29]
	v_mul_f64_e32 v[28:29], v[4:5], v[28:29]
	v_add_f64_e32 v[153:154], v[153:154], v[149:150]
	v_add_f64_e32 v[155:156], v[155:156], v[151:152]
	ds_load_b128 v[149:152], v1 offset:1344
	v_fma_f64 v[143:144], v[143:144], v[22:23], v[157:158]
	v_fma_f64 v[141:142], v[141:142], v[22:23], -v[24:25]
	scratch_load_b128 v[22:25], off, off offset:736
	v_add_f64_e32 v[153:154], v[153:154], v[161:162]
	v_add_f64_e32 v[155:156], v[155:156], v[159:160]
	v_fma_f64 v[159:160], v[4:5], v[26:27], v[163:164]
	v_fma_f64 v[161:162], v[2:3], v[26:27], -v[28:29]
	ds_load_b128 v[2:5], v1 offset:1360
	s_wait_loadcnt_dscnt 0x901
	v_mul_f64_e32 v[157:158], v[149:150], v[32:33]
	v_mul_f64_e32 v[32:33], v[151:152], v[32:33]
	scratch_load_b128 v[26:29], off, off offset:752
	s_wait_loadcnt_dscnt 0x900
	v_mul_f64_e32 v[163:164], v[2:3], v[40:41]
	v_mul_f64_e32 v[40:41], v[4:5], v[40:41]
	v_add_f64_e32 v[153:154], v[153:154], v[141:142]
	v_add_f64_e32 v[155:156], v[155:156], v[143:144]
	ds_load_b128 v[141:144], v1 offset:1376
	v_fma_f64 v[151:152], v[151:152], v[30:31], v[157:158]
	v_fma_f64 v[30:31], v[149:150], v[30:31], -v[32:33]
	v_add_f64_e32 v[32:33], v[153:154], v[161:162]
	v_add_f64_e32 v[149:150], v[155:156], v[159:160]
	s_wait_loadcnt_dscnt 0x700
	v_mul_f64_e32 v[153:154], v[141:142], v[147:148]
	v_mul_f64_e32 v[147:148], v[143:144], v[147:148]
	v_fma_f64 v[155:156], v[4:5], v[38:39], v[163:164]
	v_fma_f64 v[38:39], v[2:3], v[38:39], -v[40:41]
	v_add_f64_e32 v[40:41], v[32:33], v[30:31]
	v_add_f64_e32 v[149:150], v[149:150], v[151:152]
	ds_load_b128 v[2:5], v1 offset:1392
	ds_load_b128 v[30:33], v1 offset:1408
	v_fma_f64 v[143:144], v[143:144], v[145:146], v[153:154]
	v_fma_f64 v[141:142], v[141:142], v[145:146], -v[147:148]
	s_wait_loadcnt_dscnt 0x601
	v_mul_f64_e32 v[151:152], v[2:3], v[36:37]
	v_mul_f64_e32 v[36:37], v[4:5], v[36:37]
	v_add_f64_e32 v[38:39], v[40:41], v[38:39]
	v_add_f64_e32 v[40:41], v[149:150], v[155:156]
	s_wait_loadcnt_dscnt 0x500
	v_mul_f64_e32 v[145:146], v[30:31], v[8:9]
	v_mul_f64_e32 v[8:9], v[32:33], v[8:9]
	v_fma_f64 v[147:148], v[4:5], v[34:35], v[151:152]
	v_fma_f64 v[149:150], v[2:3], v[34:35], -v[36:37]
	ds_load_b128 v[2:5], v1 offset:1424
	ds_load_b128 v[34:37], v1 offset:1440
	v_add_f64_e32 v[38:39], v[38:39], v[141:142]
	v_add_f64_e32 v[40:41], v[40:41], v[143:144]
	s_wait_loadcnt_dscnt 0x401
	v_mul_f64_e32 v[141:142], v[2:3], v[12:13]
	v_mul_f64_e32 v[12:13], v[4:5], v[12:13]
	v_fma_f64 v[32:33], v[32:33], v[6:7], v[145:146]
	v_fma_f64 v[6:7], v[30:31], v[6:7], -v[8:9]
	v_add_f64_e32 v[8:9], v[38:39], v[149:150]
	v_add_f64_e32 v[30:31], v[40:41], v[147:148]
	s_wait_loadcnt_dscnt 0x300
	v_mul_f64_e32 v[38:39], v[34:35], v[16:17]
	v_mul_f64_e32 v[16:17], v[36:37], v[16:17]
	v_fma_f64 v[40:41], v[4:5], v[10:11], v[141:142]
	v_fma_f64 v[10:11], v[2:3], v[10:11], -v[12:13]
	v_add_f64_e32 v[12:13], v[8:9], v[6:7]
	v_add_f64_e32 v[30:31], v[30:31], v[32:33]
	ds_load_b128 v[2:5], v1 offset:1456
	ds_load_b128 v[6:9], v1 offset:1472
	v_fma_f64 v[36:37], v[36:37], v[14:15], v[38:39]
	v_fma_f64 v[14:15], v[34:35], v[14:15], -v[16:17]
	s_wait_loadcnt_dscnt 0x201
	v_mul_f64_e32 v[32:33], v[2:3], v[20:21]
	v_mul_f64_e32 v[20:21], v[4:5], v[20:21]
	s_wait_loadcnt_dscnt 0x100
	v_mul_f64_e32 v[16:17], v[6:7], v[24:25]
	v_mul_f64_e32 v[24:25], v[8:9], v[24:25]
	v_add_f64_e32 v[10:11], v[12:13], v[10:11]
	v_add_f64_e32 v[12:13], v[30:31], v[40:41]
	v_fma_f64 v[30:31], v[4:5], v[18:19], v[32:33]
	v_fma_f64 v[18:19], v[2:3], v[18:19], -v[20:21]
	ds_load_b128 v[2:5], v1 offset:1488
	v_fma_f64 v[8:9], v[8:9], v[22:23], v[16:17]
	v_fma_f64 v[6:7], v[6:7], v[22:23], -v[24:25]
	v_add_f64_e32 v[10:11], v[10:11], v[14:15]
	v_add_f64_e32 v[12:13], v[12:13], v[36:37]
	s_wait_loadcnt_dscnt 0x0
	v_mul_f64_e32 v[14:15], v[2:3], v[28:29]
	v_mul_f64_e32 v[20:21], v[4:5], v[28:29]
	s_delay_alu instid0(VALU_DEP_4) | instskip(NEXT) | instid1(VALU_DEP_4)
	v_add_f64_e32 v[10:11], v[10:11], v[18:19]
	v_add_f64_e32 v[12:13], v[12:13], v[30:31]
	s_delay_alu instid0(VALU_DEP_4) | instskip(NEXT) | instid1(VALU_DEP_4)
	v_fma_f64 v[4:5], v[4:5], v[26:27], v[14:15]
	v_fma_f64 v[2:3], v[2:3], v[26:27], -v[20:21]
	s_delay_alu instid0(VALU_DEP_4) | instskip(NEXT) | instid1(VALU_DEP_4)
	v_add_f64_e32 v[6:7], v[10:11], v[6:7]
	v_add_f64_e32 v[8:9], v[12:13], v[8:9]
	s_delay_alu instid0(VALU_DEP_2) | instskip(NEXT) | instid1(VALU_DEP_2)
	v_add_f64_e32 v[2:3], v[6:7], v[2:3]
	v_add_f64_e32 v[4:5], v[8:9], v[4:5]
	s_delay_alu instid0(VALU_DEP_2) | instskip(NEXT) | instid1(VALU_DEP_2)
	v_add_f64_e64 v[2:3], v[42:43], -v[2:3]
	v_add_f64_e64 v[4:5], v[44:45], -v[4:5]
	scratch_store_b128 off, v[2:5], off offset:480
	v_cmpx_lt_u32_e32 28, v0
	s_cbranch_execz .LBB110_239
; %bb.238:
	scratch_load_b128 v[5:8], off, s31
	v_dual_mov_b32 v2, v1 :: v_dual_mov_b32 v3, v1
	v_mov_b32_e32 v4, v1
	scratch_store_b128 off, v[1:4], off offset:464
	s_wait_loadcnt 0x0
	ds_store_b128 v140, v[5:8]
.LBB110_239:
	s_wait_alu 0xfffe
	s_or_b32 exec_lo, exec_lo, s0
	s_wait_storecnt_dscnt 0x0
	s_barrier_signal -1
	s_barrier_wait -1
	global_inv scope:SCOPE_SE
	s_clause 0x8
	scratch_load_b128 v[2:5], off, off offset:480
	scratch_load_b128 v[6:9], off, off offset:496
	scratch_load_b128 v[10:13], off, off offset:512
	scratch_load_b128 v[14:17], off, off offset:528
	scratch_load_b128 v[18:21], off, off offset:544
	scratch_load_b128 v[22:25], off, off offset:560
	scratch_load_b128 v[26:29], off, off offset:576
	scratch_load_b128 v[30:33], off, off offset:592
	scratch_load_b128 v[34:37], off, off offset:608
	ds_load_b128 v[38:41], v1 offset:1216
	ds_load_b128 v[42:45], v1 offset:1232
	s_clause 0x1
	scratch_load_b128 v[141:144], off, off offset:464
	scratch_load_b128 v[145:148], off, off offset:624
	s_mov_b32 s0, exec_lo
	s_wait_loadcnt_dscnt 0xa01
	v_mul_f64_e32 v[149:150], v[40:41], v[4:5]
	v_mul_f64_e32 v[4:5], v[38:39], v[4:5]
	s_wait_loadcnt_dscnt 0x900
	v_mul_f64_e32 v[153:154], v[42:43], v[8:9]
	v_mul_f64_e32 v[8:9], v[44:45], v[8:9]
	s_delay_alu instid0(VALU_DEP_4) | instskip(NEXT) | instid1(VALU_DEP_4)
	v_fma_f64 v[155:156], v[38:39], v[2:3], -v[149:150]
	v_fma_f64 v[157:158], v[40:41], v[2:3], v[4:5]
	ds_load_b128 v[2:5], v1 offset:1248
	ds_load_b128 v[149:152], v1 offset:1264
	scratch_load_b128 v[38:41], off, off offset:640
	v_fma_f64 v[44:45], v[44:45], v[6:7], v[153:154]
	v_fma_f64 v[42:43], v[42:43], v[6:7], -v[8:9]
	scratch_load_b128 v[6:9], off, off offset:656
	s_wait_loadcnt_dscnt 0xa01
	v_mul_f64_e32 v[159:160], v[2:3], v[12:13]
	v_mul_f64_e32 v[12:13], v[4:5], v[12:13]
	v_add_f64_e32 v[153:154], 0, v[155:156]
	v_add_f64_e32 v[155:156], 0, v[157:158]
	s_wait_loadcnt_dscnt 0x900
	v_mul_f64_e32 v[157:158], v[149:150], v[16:17]
	v_mul_f64_e32 v[16:17], v[151:152], v[16:17]
	v_fma_f64 v[159:160], v[4:5], v[10:11], v[159:160]
	v_fma_f64 v[161:162], v[2:3], v[10:11], -v[12:13]
	ds_load_b128 v[2:5], v1 offset:1280
	scratch_load_b128 v[10:13], off, off offset:672
	v_add_f64_e32 v[153:154], v[153:154], v[42:43]
	v_add_f64_e32 v[155:156], v[155:156], v[44:45]
	ds_load_b128 v[42:45], v1 offset:1296
	v_fma_f64 v[151:152], v[151:152], v[14:15], v[157:158]
	v_fma_f64 v[149:150], v[149:150], v[14:15], -v[16:17]
	scratch_load_b128 v[14:17], off, off offset:688
	s_wait_loadcnt_dscnt 0xa01
	v_mul_f64_e32 v[163:164], v[2:3], v[20:21]
	v_mul_f64_e32 v[20:21], v[4:5], v[20:21]
	s_wait_loadcnt_dscnt 0x900
	v_mul_f64_e32 v[157:158], v[42:43], v[24:25]
	v_mul_f64_e32 v[24:25], v[44:45], v[24:25]
	v_add_f64_e32 v[153:154], v[153:154], v[161:162]
	v_add_f64_e32 v[155:156], v[155:156], v[159:160]
	v_fma_f64 v[159:160], v[4:5], v[18:19], v[163:164]
	v_fma_f64 v[161:162], v[2:3], v[18:19], -v[20:21]
	ds_load_b128 v[2:5], v1 offset:1312
	scratch_load_b128 v[18:21], off, off offset:704
	v_fma_f64 v[44:45], v[44:45], v[22:23], v[157:158]
	v_fma_f64 v[42:43], v[42:43], v[22:23], -v[24:25]
	scratch_load_b128 v[22:25], off, off offset:720
	v_add_f64_e32 v[153:154], v[153:154], v[149:150]
	v_add_f64_e32 v[155:156], v[155:156], v[151:152]
	ds_load_b128 v[149:152], v1 offset:1328
	s_wait_loadcnt_dscnt 0xa01
	v_mul_f64_e32 v[163:164], v[2:3], v[28:29]
	v_mul_f64_e32 v[28:29], v[4:5], v[28:29]
	s_wait_loadcnt_dscnt 0x900
	v_mul_f64_e32 v[157:158], v[149:150], v[32:33]
	v_mul_f64_e32 v[32:33], v[151:152], v[32:33]
	v_add_f64_e32 v[153:154], v[153:154], v[161:162]
	v_add_f64_e32 v[155:156], v[155:156], v[159:160]
	v_fma_f64 v[159:160], v[4:5], v[26:27], v[163:164]
	v_fma_f64 v[161:162], v[2:3], v[26:27], -v[28:29]
	ds_load_b128 v[2:5], v1 offset:1344
	scratch_load_b128 v[26:29], off, off offset:736
	v_fma_f64 v[151:152], v[151:152], v[30:31], v[157:158]
	v_fma_f64 v[149:150], v[149:150], v[30:31], -v[32:33]
	scratch_load_b128 v[30:33], off, off offset:752
	v_add_f64_e32 v[153:154], v[153:154], v[42:43]
	v_add_f64_e32 v[155:156], v[155:156], v[44:45]
	ds_load_b128 v[42:45], v1 offset:1360
	s_wait_loadcnt_dscnt 0xa01
	v_mul_f64_e32 v[163:164], v[2:3], v[36:37]
	v_mul_f64_e32 v[36:37], v[4:5], v[36:37]
	s_wait_loadcnt_dscnt 0x800
	v_mul_f64_e32 v[157:158], v[42:43], v[147:148]
	v_mul_f64_e32 v[147:148], v[44:45], v[147:148]
	v_add_f64_e32 v[153:154], v[153:154], v[161:162]
	v_add_f64_e32 v[155:156], v[155:156], v[159:160]
	v_fma_f64 v[159:160], v[4:5], v[34:35], v[163:164]
	v_fma_f64 v[161:162], v[2:3], v[34:35], -v[36:37]
	ds_load_b128 v[2:5], v1 offset:1376
	ds_load_b128 v[34:37], v1 offset:1392
	v_fma_f64 v[44:45], v[44:45], v[145:146], v[157:158]
	v_fma_f64 v[42:43], v[42:43], v[145:146], -v[147:148]
	v_add_f64_e32 v[149:150], v[153:154], v[149:150]
	v_add_f64_e32 v[151:152], v[155:156], v[151:152]
	s_wait_loadcnt_dscnt 0x701
	v_mul_f64_e32 v[153:154], v[2:3], v[40:41]
	v_mul_f64_e32 v[40:41], v[4:5], v[40:41]
	s_delay_alu instid0(VALU_DEP_4) | instskip(NEXT) | instid1(VALU_DEP_4)
	v_add_f64_e32 v[145:146], v[149:150], v[161:162]
	v_add_f64_e32 v[147:148], v[151:152], v[159:160]
	s_wait_loadcnt_dscnt 0x600
	v_mul_f64_e32 v[149:150], v[34:35], v[8:9]
	v_mul_f64_e32 v[8:9], v[36:37], v[8:9]
	v_fma_f64 v[151:152], v[4:5], v[38:39], v[153:154]
	v_fma_f64 v[153:154], v[2:3], v[38:39], -v[40:41]
	ds_load_b128 v[2:5], v1 offset:1408
	ds_load_b128 v[38:41], v1 offset:1424
	v_add_f64_e32 v[42:43], v[145:146], v[42:43]
	v_add_f64_e32 v[44:45], v[147:148], v[44:45]
	v_fma_f64 v[36:37], v[36:37], v[6:7], v[149:150]
	s_wait_loadcnt_dscnt 0x501
	v_mul_f64_e32 v[145:146], v[2:3], v[12:13]
	v_mul_f64_e32 v[12:13], v[4:5], v[12:13]
	v_fma_f64 v[6:7], v[34:35], v[6:7], -v[8:9]
	v_add_f64_e32 v[8:9], v[42:43], v[153:154]
	v_add_f64_e32 v[34:35], v[44:45], v[151:152]
	s_wait_loadcnt_dscnt 0x400
	v_mul_f64_e32 v[42:43], v[38:39], v[16:17]
	v_mul_f64_e32 v[16:17], v[40:41], v[16:17]
	v_fma_f64 v[44:45], v[4:5], v[10:11], v[145:146]
	v_fma_f64 v[10:11], v[2:3], v[10:11], -v[12:13]
	v_add_f64_e32 v[12:13], v[8:9], v[6:7]
	v_add_f64_e32 v[34:35], v[34:35], v[36:37]
	ds_load_b128 v[2:5], v1 offset:1440
	ds_load_b128 v[6:9], v1 offset:1456
	v_fma_f64 v[40:41], v[40:41], v[14:15], v[42:43]
	v_fma_f64 v[14:15], v[38:39], v[14:15], -v[16:17]
	s_wait_loadcnt_dscnt 0x301
	v_mul_f64_e32 v[36:37], v[2:3], v[20:21]
	v_mul_f64_e32 v[20:21], v[4:5], v[20:21]
	s_wait_loadcnt_dscnt 0x200
	v_mul_f64_e32 v[16:17], v[6:7], v[24:25]
	v_mul_f64_e32 v[24:25], v[8:9], v[24:25]
	v_add_f64_e32 v[10:11], v[12:13], v[10:11]
	v_add_f64_e32 v[12:13], v[34:35], v[44:45]
	v_fma_f64 v[34:35], v[4:5], v[18:19], v[36:37]
	v_fma_f64 v[18:19], v[2:3], v[18:19], -v[20:21]
	v_fma_f64 v[8:9], v[8:9], v[22:23], v[16:17]
	v_fma_f64 v[6:7], v[6:7], v[22:23], -v[24:25]
	v_add_f64_e32 v[14:15], v[10:11], v[14:15]
	v_add_f64_e32 v[20:21], v[12:13], v[40:41]
	ds_load_b128 v[2:5], v1 offset:1472
	ds_load_b128 v[10:13], v1 offset:1488
	s_wait_loadcnt_dscnt 0x101
	v_mul_f64_e32 v[36:37], v[2:3], v[28:29]
	v_mul_f64_e32 v[28:29], v[4:5], v[28:29]
	v_add_f64_e32 v[14:15], v[14:15], v[18:19]
	v_add_f64_e32 v[16:17], v[20:21], v[34:35]
	s_wait_loadcnt_dscnt 0x0
	v_mul_f64_e32 v[18:19], v[10:11], v[32:33]
	v_mul_f64_e32 v[20:21], v[12:13], v[32:33]
	v_fma_f64 v[4:5], v[4:5], v[26:27], v[36:37]
	v_fma_f64 v[1:2], v[2:3], v[26:27], -v[28:29]
	v_add_f64_e32 v[6:7], v[14:15], v[6:7]
	v_add_f64_e32 v[8:9], v[16:17], v[8:9]
	v_fma_f64 v[12:13], v[12:13], v[30:31], v[18:19]
	v_fma_f64 v[10:11], v[10:11], v[30:31], -v[20:21]
	s_delay_alu instid0(VALU_DEP_4) | instskip(NEXT) | instid1(VALU_DEP_4)
	v_add_f64_e32 v[1:2], v[6:7], v[1:2]
	v_add_f64_e32 v[3:4], v[8:9], v[4:5]
	s_delay_alu instid0(VALU_DEP_2) | instskip(NEXT) | instid1(VALU_DEP_2)
	v_add_f64_e32 v[1:2], v[1:2], v[10:11]
	v_add_f64_e32 v[3:4], v[3:4], v[12:13]
	s_delay_alu instid0(VALU_DEP_2) | instskip(NEXT) | instid1(VALU_DEP_2)
	v_add_f64_e64 v[1:2], v[141:142], -v[1:2]
	v_add_f64_e64 v[3:4], v[143:144], -v[3:4]
	scratch_store_b128 off, v[1:4], off offset:464
	v_cmpx_lt_u32_e32 27, v0
	s_cbranch_execz .LBB110_241
; %bb.240:
	scratch_load_b128 v[1:4], off, s33
	v_mov_b32_e32 v5, 0
	s_delay_alu instid0(VALU_DEP_1)
	v_dual_mov_b32 v6, v5 :: v_dual_mov_b32 v7, v5
	v_mov_b32_e32 v8, v5
	scratch_store_b128 off, v[5:8], off offset:448
	s_wait_loadcnt 0x0
	ds_store_b128 v140, v[1:4]
.LBB110_241:
	s_wait_alu 0xfffe
	s_or_b32 exec_lo, exec_lo, s0
	s_wait_storecnt_dscnt 0x0
	s_barrier_signal -1
	s_barrier_wait -1
	global_inv scope:SCOPE_SE
	s_clause 0x7
	scratch_load_b128 v[2:5], off, off offset:464
	scratch_load_b128 v[6:9], off, off offset:480
	;; [unrolled: 1-line block ×8, first 2 shown]
	v_mov_b32_e32 v1, 0
	s_mov_b32 s0, exec_lo
	ds_load_b128 v[34:37], v1 offset:1200
	s_clause 0x1
	scratch_load_b128 v[38:41], off, off offset:592
	scratch_load_b128 v[42:45], off, off offset:448
	ds_load_b128 v[141:144], v1 offset:1216
	scratch_load_b128 v[145:148], off, off offset:608
	s_wait_loadcnt_dscnt 0xa01
	v_mul_f64_e32 v[149:150], v[36:37], v[4:5]
	v_mul_f64_e32 v[4:5], v[34:35], v[4:5]
	s_delay_alu instid0(VALU_DEP_2) | instskip(NEXT) | instid1(VALU_DEP_2)
	v_fma_f64 v[155:156], v[34:35], v[2:3], -v[149:150]
	v_fma_f64 v[157:158], v[36:37], v[2:3], v[4:5]
	ds_load_b128 v[2:5], v1 offset:1232
	s_wait_loadcnt_dscnt 0x901
	v_mul_f64_e32 v[153:154], v[141:142], v[8:9]
	v_mul_f64_e32 v[8:9], v[143:144], v[8:9]
	scratch_load_b128 v[34:37], off, off offset:624
	ds_load_b128 v[149:152], v1 offset:1248
	s_wait_loadcnt_dscnt 0x901
	v_mul_f64_e32 v[159:160], v[2:3], v[12:13]
	v_mul_f64_e32 v[12:13], v[4:5], v[12:13]
	v_fma_f64 v[143:144], v[143:144], v[6:7], v[153:154]
	v_fma_f64 v[141:142], v[141:142], v[6:7], -v[8:9]
	v_add_f64_e32 v[153:154], 0, v[155:156]
	v_add_f64_e32 v[155:156], 0, v[157:158]
	scratch_load_b128 v[6:9], off, off offset:640
	v_fma_f64 v[159:160], v[4:5], v[10:11], v[159:160]
	v_fma_f64 v[161:162], v[2:3], v[10:11], -v[12:13]
	ds_load_b128 v[2:5], v1 offset:1264
	s_wait_loadcnt_dscnt 0x901
	v_mul_f64_e32 v[157:158], v[149:150], v[16:17]
	v_mul_f64_e32 v[16:17], v[151:152], v[16:17]
	scratch_load_b128 v[10:13], off, off offset:656
	v_add_f64_e32 v[153:154], v[153:154], v[141:142]
	v_add_f64_e32 v[155:156], v[155:156], v[143:144]
	s_wait_loadcnt_dscnt 0x900
	v_mul_f64_e32 v[163:164], v[2:3], v[20:21]
	v_mul_f64_e32 v[20:21], v[4:5], v[20:21]
	ds_load_b128 v[141:144], v1 offset:1280
	v_fma_f64 v[151:152], v[151:152], v[14:15], v[157:158]
	v_fma_f64 v[149:150], v[149:150], v[14:15], -v[16:17]
	scratch_load_b128 v[14:17], off, off offset:672
	v_add_f64_e32 v[153:154], v[153:154], v[161:162]
	v_add_f64_e32 v[155:156], v[155:156], v[159:160]
	v_fma_f64 v[159:160], v[4:5], v[18:19], v[163:164]
	v_fma_f64 v[161:162], v[2:3], v[18:19], -v[20:21]
	ds_load_b128 v[2:5], v1 offset:1296
	s_wait_loadcnt_dscnt 0x901
	v_mul_f64_e32 v[157:158], v[141:142], v[24:25]
	v_mul_f64_e32 v[24:25], v[143:144], v[24:25]
	scratch_load_b128 v[18:21], off, off offset:688
	s_wait_loadcnt_dscnt 0x900
	v_mul_f64_e32 v[163:164], v[2:3], v[28:29]
	v_mul_f64_e32 v[28:29], v[4:5], v[28:29]
	v_add_f64_e32 v[153:154], v[153:154], v[149:150]
	v_add_f64_e32 v[155:156], v[155:156], v[151:152]
	ds_load_b128 v[149:152], v1 offset:1312
	v_fma_f64 v[143:144], v[143:144], v[22:23], v[157:158]
	v_fma_f64 v[141:142], v[141:142], v[22:23], -v[24:25]
	scratch_load_b128 v[22:25], off, off offset:704
	v_add_f64_e32 v[153:154], v[153:154], v[161:162]
	v_add_f64_e32 v[155:156], v[155:156], v[159:160]
	v_fma_f64 v[159:160], v[4:5], v[26:27], v[163:164]
	v_fma_f64 v[161:162], v[2:3], v[26:27], -v[28:29]
	ds_load_b128 v[2:5], v1 offset:1328
	s_wait_loadcnt_dscnt 0x901
	v_mul_f64_e32 v[157:158], v[149:150], v[32:33]
	v_mul_f64_e32 v[32:33], v[151:152], v[32:33]
	scratch_load_b128 v[26:29], off, off offset:720
	s_wait_loadcnt_dscnt 0x900
	v_mul_f64_e32 v[163:164], v[2:3], v[40:41]
	v_mul_f64_e32 v[40:41], v[4:5], v[40:41]
	v_add_f64_e32 v[153:154], v[153:154], v[141:142]
	v_add_f64_e32 v[155:156], v[155:156], v[143:144]
	ds_load_b128 v[141:144], v1 offset:1344
	v_fma_f64 v[151:152], v[151:152], v[30:31], v[157:158]
	v_fma_f64 v[149:150], v[149:150], v[30:31], -v[32:33]
	scratch_load_b128 v[30:33], off, off offset:736
	v_add_f64_e32 v[153:154], v[153:154], v[161:162]
	v_add_f64_e32 v[155:156], v[155:156], v[159:160]
	v_fma_f64 v[161:162], v[4:5], v[38:39], v[163:164]
	v_fma_f64 v[163:164], v[2:3], v[38:39], -v[40:41]
	ds_load_b128 v[2:5], v1 offset:1360
	s_wait_loadcnt_dscnt 0x801
	v_mul_f64_e32 v[157:158], v[141:142], v[147:148]
	v_mul_f64_e32 v[159:160], v[143:144], v[147:148]
	scratch_load_b128 v[38:41], off, off offset:752
	v_add_f64_e32 v[153:154], v[153:154], v[149:150]
	v_add_f64_e32 v[151:152], v[155:156], v[151:152]
	ds_load_b128 v[147:150], v1 offset:1376
	v_fma_f64 v[143:144], v[143:144], v[145:146], v[157:158]
	v_fma_f64 v[141:142], v[141:142], v[145:146], -v[159:160]
	s_wait_loadcnt_dscnt 0x801
	v_mul_f64_e32 v[155:156], v[2:3], v[36:37]
	v_mul_f64_e32 v[36:37], v[4:5], v[36:37]
	v_add_f64_e32 v[145:146], v[153:154], v[163:164]
	v_add_f64_e32 v[151:152], v[151:152], v[161:162]
	s_delay_alu instid0(VALU_DEP_4) | instskip(NEXT) | instid1(VALU_DEP_4)
	v_fma_f64 v[155:156], v[4:5], v[34:35], v[155:156]
	v_fma_f64 v[157:158], v[2:3], v[34:35], -v[36:37]
	s_wait_loadcnt_dscnt 0x700
	v_mul_f64_e32 v[153:154], v[147:148], v[8:9]
	v_mul_f64_e32 v[8:9], v[149:150], v[8:9]
	ds_load_b128 v[2:5], v1 offset:1392
	ds_load_b128 v[34:37], v1 offset:1408
	v_add_f64_e32 v[141:142], v[145:146], v[141:142]
	v_add_f64_e32 v[143:144], v[151:152], v[143:144]
	s_wait_loadcnt_dscnt 0x601
	v_mul_f64_e32 v[145:146], v[2:3], v[12:13]
	v_mul_f64_e32 v[12:13], v[4:5], v[12:13]
	v_fma_f64 v[149:150], v[149:150], v[6:7], v[153:154]
	v_fma_f64 v[6:7], v[147:148], v[6:7], -v[8:9]
	v_add_f64_e32 v[8:9], v[141:142], v[157:158]
	v_add_f64_e32 v[141:142], v[143:144], v[155:156]
	s_wait_loadcnt_dscnt 0x500
	v_mul_f64_e32 v[143:144], v[34:35], v[16:17]
	v_mul_f64_e32 v[16:17], v[36:37], v[16:17]
	v_fma_f64 v[145:146], v[4:5], v[10:11], v[145:146]
	v_fma_f64 v[10:11], v[2:3], v[10:11], -v[12:13]
	v_add_f64_e32 v[12:13], v[8:9], v[6:7]
	v_add_f64_e32 v[141:142], v[141:142], v[149:150]
	ds_load_b128 v[2:5], v1 offset:1424
	ds_load_b128 v[6:9], v1 offset:1440
	v_fma_f64 v[36:37], v[36:37], v[14:15], v[143:144]
	v_fma_f64 v[14:15], v[34:35], v[14:15], -v[16:17]
	s_wait_loadcnt_dscnt 0x401
	v_mul_f64_e32 v[147:148], v[2:3], v[20:21]
	v_mul_f64_e32 v[20:21], v[4:5], v[20:21]
	s_wait_loadcnt_dscnt 0x300
	v_mul_f64_e32 v[16:17], v[6:7], v[24:25]
	v_mul_f64_e32 v[24:25], v[8:9], v[24:25]
	v_add_f64_e32 v[10:11], v[12:13], v[10:11]
	v_add_f64_e32 v[12:13], v[141:142], v[145:146]
	v_fma_f64 v[34:35], v[4:5], v[18:19], v[147:148]
	v_fma_f64 v[18:19], v[2:3], v[18:19], -v[20:21]
	v_fma_f64 v[8:9], v[8:9], v[22:23], v[16:17]
	v_fma_f64 v[6:7], v[6:7], v[22:23], -v[24:25]
	v_add_f64_e32 v[14:15], v[10:11], v[14:15]
	v_add_f64_e32 v[20:21], v[12:13], v[36:37]
	ds_load_b128 v[2:5], v1 offset:1456
	ds_load_b128 v[10:13], v1 offset:1472
	s_wait_loadcnt_dscnt 0x201
	v_mul_f64_e32 v[36:37], v[2:3], v[28:29]
	v_mul_f64_e32 v[28:29], v[4:5], v[28:29]
	v_add_f64_e32 v[14:15], v[14:15], v[18:19]
	v_add_f64_e32 v[16:17], v[20:21], v[34:35]
	s_wait_loadcnt_dscnt 0x100
	v_mul_f64_e32 v[18:19], v[10:11], v[32:33]
	v_mul_f64_e32 v[20:21], v[12:13], v[32:33]
	v_fma_f64 v[22:23], v[4:5], v[26:27], v[36:37]
	v_fma_f64 v[24:25], v[2:3], v[26:27], -v[28:29]
	ds_load_b128 v[2:5], v1 offset:1488
	v_add_f64_e32 v[6:7], v[14:15], v[6:7]
	v_add_f64_e32 v[8:9], v[16:17], v[8:9]
	v_fma_f64 v[12:13], v[12:13], v[30:31], v[18:19]
	v_fma_f64 v[10:11], v[10:11], v[30:31], -v[20:21]
	s_wait_loadcnt_dscnt 0x0
	v_mul_f64_e32 v[14:15], v[2:3], v[40:41]
	v_mul_f64_e32 v[16:17], v[4:5], v[40:41]
	v_add_f64_e32 v[6:7], v[6:7], v[24:25]
	v_add_f64_e32 v[8:9], v[8:9], v[22:23]
	s_delay_alu instid0(VALU_DEP_4) | instskip(NEXT) | instid1(VALU_DEP_4)
	v_fma_f64 v[4:5], v[4:5], v[38:39], v[14:15]
	v_fma_f64 v[2:3], v[2:3], v[38:39], -v[16:17]
	s_delay_alu instid0(VALU_DEP_4) | instskip(NEXT) | instid1(VALU_DEP_4)
	v_add_f64_e32 v[6:7], v[6:7], v[10:11]
	v_add_f64_e32 v[8:9], v[8:9], v[12:13]
	s_delay_alu instid0(VALU_DEP_2) | instskip(NEXT) | instid1(VALU_DEP_2)
	v_add_f64_e32 v[2:3], v[6:7], v[2:3]
	v_add_f64_e32 v[4:5], v[8:9], v[4:5]
	s_delay_alu instid0(VALU_DEP_2) | instskip(NEXT) | instid1(VALU_DEP_2)
	v_add_f64_e64 v[2:3], v[42:43], -v[2:3]
	v_add_f64_e64 v[4:5], v[44:45], -v[4:5]
	scratch_store_b128 off, v[2:5], off offset:448
	v_cmpx_lt_u32_e32 26, v0
	s_cbranch_execz .LBB110_243
; %bb.242:
	scratch_load_b128 v[5:8], off, s34
	v_dual_mov_b32 v2, v1 :: v_dual_mov_b32 v3, v1
	v_mov_b32_e32 v4, v1
	scratch_store_b128 off, v[1:4], off offset:432
	s_wait_loadcnt 0x0
	ds_store_b128 v140, v[5:8]
.LBB110_243:
	s_wait_alu 0xfffe
	s_or_b32 exec_lo, exec_lo, s0
	s_wait_storecnt_dscnt 0x0
	s_barrier_signal -1
	s_barrier_wait -1
	global_inv scope:SCOPE_SE
	s_clause 0x8
	scratch_load_b128 v[2:5], off, off offset:448
	scratch_load_b128 v[6:9], off, off offset:464
	;; [unrolled: 1-line block ×9, first 2 shown]
	ds_load_b128 v[38:41], v1 offset:1184
	ds_load_b128 v[42:45], v1 offset:1200
	s_clause 0x1
	scratch_load_b128 v[141:144], off, off offset:432
	scratch_load_b128 v[145:148], off, off offset:592
	s_mov_b32 s0, exec_lo
	s_wait_loadcnt_dscnt 0xa01
	v_mul_f64_e32 v[149:150], v[40:41], v[4:5]
	v_mul_f64_e32 v[4:5], v[38:39], v[4:5]
	s_wait_loadcnt_dscnt 0x900
	v_mul_f64_e32 v[153:154], v[42:43], v[8:9]
	v_mul_f64_e32 v[8:9], v[44:45], v[8:9]
	s_delay_alu instid0(VALU_DEP_4) | instskip(NEXT) | instid1(VALU_DEP_4)
	v_fma_f64 v[155:156], v[38:39], v[2:3], -v[149:150]
	v_fma_f64 v[157:158], v[40:41], v[2:3], v[4:5]
	ds_load_b128 v[2:5], v1 offset:1216
	ds_load_b128 v[149:152], v1 offset:1232
	scratch_load_b128 v[38:41], off, off offset:608
	v_fma_f64 v[44:45], v[44:45], v[6:7], v[153:154]
	v_fma_f64 v[42:43], v[42:43], v[6:7], -v[8:9]
	scratch_load_b128 v[6:9], off, off offset:624
	s_wait_loadcnt_dscnt 0xa01
	v_mul_f64_e32 v[159:160], v[2:3], v[12:13]
	v_mul_f64_e32 v[12:13], v[4:5], v[12:13]
	v_add_f64_e32 v[153:154], 0, v[155:156]
	v_add_f64_e32 v[155:156], 0, v[157:158]
	s_wait_loadcnt_dscnt 0x900
	v_mul_f64_e32 v[157:158], v[149:150], v[16:17]
	v_mul_f64_e32 v[16:17], v[151:152], v[16:17]
	v_fma_f64 v[159:160], v[4:5], v[10:11], v[159:160]
	v_fma_f64 v[161:162], v[2:3], v[10:11], -v[12:13]
	ds_load_b128 v[2:5], v1 offset:1248
	scratch_load_b128 v[10:13], off, off offset:640
	v_add_f64_e32 v[153:154], v[153:154], v[42:43]
	v_add_f64_e32 v[155:156], v[155:156], v[44:45]
	ds_load_b128 v[42:45], v1 offset:1264
	v_fma_f64 v[151:152], v[151:152], v[14:15], v[157:158]
	v_fma_f64 v[149:150], v[149:150], v[14:15], -v[16:17]
	scratch_load_b128 v[14:17], off, off offset:656
	s_wait_loadcnt_dscnt 0xa01
	v_mul_f64_e32 v[163:164], v[2:3], v[20:21]
	v_mul_f64_e32 v[20:21], v[4:5], v[20:21]
	s_wait_loadcnt_dscnt 0x900
	v_mul_f64_e32 v[157:158], v[42:43], v[24:25]
	v_mul_f64_e32 v[24:25], v[44:45], v[24:25]
	v_add_f64_e32 v[153:154], v[153:154], v[161:162]
	v_add_f64_e32 v[155:156], v[155:156], v[159:160]
	v_fma_f64 v[159:160], v[4:5], v[18:19], v[163:164]
	v_fma_f64 v[161:162], v[2:3], v[18:19], -v[20:21]
	ds_load_b128 v[2:5], v1 offset:1280
	scratch_load_b128 v[18:21], off, off offset:672
	v_fma_f64 v[44:45], v[44:45], v[22:23], v[157:158]
	v_fma_f64 v[42:43], v[42:43], v[22:23], -v[24:25]
	scratch_load_b128 v[22:25], off, off offset:688
	v_add_f64_e32 v[153:154], v[153:154], v[149:150]
	v_add_f64_e32 v[155:156], v[155:156], v[151:152]
	ds_load_b128 v[149:152], v1 offset:1296
	s_wait_loadcnt_dscnt 0xa01
	v_mul_f64_e32 v[163:164], v[2:3], v[28:29]
	v_mul_f64_e32 v[28:29], v[4:5], v[28:29]
	s_wait_loadcnt_dscnt 0x900
	v_mul_f64_e32 v[157:158], v[149:150], v[32:33]
	v_mul_f64_e32 v[32:33], v[151:152], v[32:33]
	v_add_f64_e32 v[153:154], v[153:154], v[161:162]
	v_add_f64_e32 v[155:156], v[155:156], v[159:160]
	v_fma_f64 v[159:160], v[4:5], v[26:27], v[163:164]
	v_fma_f64 v[161:162], v[2:3], v[26:27], -v[28:29]
	ds_load_b128 v[2:5], v1 offset:1312
	scratch_load_b128 v[26:29], off, off offset:704
	v_fma_f64 v[151:152], v[151:152], v[30:31], v[157:158]
	v_fma_f64 v[149:150], v[149:150], v[30:31], -v[32:33]
	scratch_load_b128 v[30:33], off, off offset:720
	v_add_f64_e32 v[153:154], v[153:154], v[42:43]
	v_add_f64_e32 v[155:156], v[155:156], v[44:45]
	ds_load_b128 v[42:45], v1 offset:1328
	s_wait_loadcnt_dscnt 0xa01
	v_mul_f64_e32 v[163:164], v[2:3], v[36:37]
	v_mul_f64_e32 v[36:37], v[4:5], v[36:37]
	s_wait_loadcnt_dscnt 0x800
	v_mul_f64_e32 v[157:158], v[42:43], v[147:148]
	v_add_f64_e32 v[153:154], v[153:154], v[161:162]
	v_add_f64_e32 v[155:156], v[155:156], v[159:160]
	v_mul_f64_e32 v[159:160], v[44:45], v[147:148]
	v_fma_f64 v[161:162], v[4:5], v[34:35], v[163:164]
	v_fma_f64 v[163:164], v[2:3], v[34:35], -v[36:37]
	ds_load_b128 v[2:5], v1 offset:1344
	scratch_load_b128 v[34:37], off, off offset:736
	v_fma_f64 v[44:45], v[44:45], v[145:146], v[157:158]
	v_add_f64_e32 v[153:154], v[153:154], v[149:150]
	v_add_f64_e32 v[151:152], v[155:156], v[151:152]
	ds_load_b128 v[147:150], v1 offset:1360
	v_fma_f64 v[145:146], v[42:43], v[145:146], -v[159:160]
	s_wait_loadcnt_dscnt 0x801
	v_mul_f64_e32 v[155:156], v[2:3], v[40:41]
	v_mul_f64_e32 v[165:166], v[4:5], v[40:41]
	scratch_load_b128 v[40:43], off, off offset:752
	s_wait_loadcnt_dscnt 0x800
	v_mul_f64_e32 v[157:158], v[147:148], v[8:9]
	v_mul_f64_e32 v[8:9], v[149:150], v[8:9]
	v_add_f64_e32 v[153:154], v[153:154], v[163:164]
	v_add_f64_e32 v[151:152], v[151:152], v[161:162]
	v_fma_f64 v[155:156], v[4:5], v[38:39], v[155:156]
	v_fma_f64 v[38:39], v[2:3], v[38:39], -v[165:166]
	v_fma_f64 v[149:150], v[149:150], v[6:7], v[157:158]
	v_fma_f64 v[6:7], v[147:148], v[6:7], -v[8:9]
	v_add_f64_e32 v[145:146], v[153:154], v[145:146]
	v_add_f64_e32 v[44:45], v[151:152], v[44:45]
	ds_load_b128 v[2:5], v1 offset:1376
	ds_load_b128 v[151:154], v1 offset:1392
	s_wait_loadcnt_dscnt 0x701
	v_mul_f64_e32 v[159:160], v[2:3], v[12:13]
	v_mul_f64_e32 v[12:13], v[4:5], v[12:13]
	v_add_f64_e32 v[8:9], v[145:146], v[38:39]
	v_add_f64_e32 v[38:39], v[44:45], v[155:156]
	s_wait_loadcnt_dscnt 0x600
	v_mul_f64_e32 v[44:45], v[151:152], v[16:17]
	v_mul_f64_e32 v[16:17], v[153:154], v[16:17]
	v_fma_f64 v[145:146], v[4:5], v[10:11], v[159:160]
	v_fma_f64 v[10:11], v[2:3], v[10:11], -v[12:13]
	v_add_f64_e32 v[12:13], v[8:9], v[6:7]
	v_add_f64_e32 v[38:39], v[38:39], v[149:150]
	ds_load_b128 v[2:5], v1 offset:1408
	ds_load_b128 v[6:9], v1 offset:1424
	v_fma_f64 v[44:45], v[153:154], v[14:15], v[44:45]
	v_fma_f64 v[14:15], v[151:152], v[14:15], -v[16:17]
	s_wait_loadcnt_dscnt 0x501
	v_mul_f64_e32 v[147:148], v[2:3], v[20:21]
	v_mul_f64_e32 v[20:21], v[4:5], v[20:21]
	s_wait_loadcnt_dscnt 0x400
	v_mul_f64_e32 v[16:17], v[6:7], v[24:25]
	v_mul_f64_e32 v[24:25], v[8:9], v[24:25]
	v_add_f64_e32 v[10:11], v[12:13], v[10:11]
	v_add_f64_e32 v[12:13], v[38:39], v[145:146]
	v_fma_f64 v[38:39], v[4:5], v[18:19], v[147:148]
	v_fma_f64 v[18:19], v[2:3], v[18:19], -v[20:21]
	v_fma_f64 v[8:9], v[8:9], v[22:23], v[16:17]
	v_fma_f64 v[6:7], v[6:7], v[22:23], -v[24:25]
	v_add_f64_e32 v[14:15], v[10:11], v[14:15]
	v_add_f64_e32 v[20:21], v[12:13], v[44:45]
	ds_load_b128 v[2:5], v1 offset:1440
	ds_load_b128 v[10:13], v1 offset:1456
	s_wait_loadcnt_dscnt 0x301
	v_mul_f64_e32 v[44:45], v[2:3], v[28:29]
	v_mul_f64_e32 v[28:29], v[4:5], v[28:29]
	v_add_f64_e32 v[14:15], v[14:15], v[18:19]
	v_add_f64_e32 v[16:17], v[20:21], v[38:39]
	s_wait_loadcnt_dscnt 0x200
	v_mul_f64_e32 v[18:19], v[10:11], v[32:33]
	v_mul_f64_e32 v[20:21], v[12:13], v[32:33]
	v_fma_f64 v[22:23], v[4:5], v[26:27], v[44:45]
	v_fma_f64 v[24:25], v[2:3], v[26:27], -v[28:29]
	v_add_f64_e32 v[14:15], v[14:15], v[6:7]
	v_add_f64_e32 v[16:17], v[16:17], v[8:9]
	ds_load_b128 v[2:5], v1 offset:1472
	ds_load_b128 v[6:9], v1 offset:1488
	v_fma_f64 v[12:13], v[12:13], v[30:31], v[18:19]
	v_fma_f64 v[10:11], v[10:11], v[30:31], -v[20:21]
	s_wait_loadcnt_dscnt 0x101
	v_mul_f64_e32 v[26:27], v[2:3], v[36:37]
	v_mul_f64_e32 v[28:29], v[4:5], v[36:37]
	s_wait_loadcnt_dscnt 0x0
	v_mul_f64_e32 v[18:19], v[6:7], v[42:43]
	v_add_f64_e32 v[14:15], v[14:15], v[24:25]
	v_add_f64_e32 v[16:17], v[16:17], v[22:23]
	v_mul_f64_e32 v[20:21], v[8:9], v[42:43]
	v_fma_f64 v[4:5], v[4:5], v[34:35], v[26:27]
	v_fma_f64 v[1:2], v[2:3], v[34:35], -v[28:29]
	v_fma_f64 v[8:9], v[8:9], v[40:41], v[18:19]
	v_add_f64_e32 v[10:11], v[14:15], v[10:11]
	v_add_f64_e32 v[12:13], v[16:17], v[12:13]
	v_fma_f64 v[6:7], v[6:7], v[40:41], -v[20:21]
	s_delay_alu instid0(VALU_DEP_3) | instskip(NEXT) | instid1(VALU_DEP_3)
	v_add_f64_e32 v[1:2], v[10:11], v[1:2]
	v_add_f64_e32 v[3:4], v[12:13], v[4:5]
	s_delay_alu instid0(VALU_DEP_2) | instskip(NEXT) | instid1(VALU_DEP_2)
	v_add_f64_e32 v[1:2], v[1:2], v[6:7]
	v_add_f64_e32 v[3:4], v[3:4], v[8:9]
	s_delay_alu instid0(VALU_DEP_2) | instskip(NEXT) | instid1(VALU_DEP_2)
	v_add_f64_e64 v[1:2], v[141:142], -v[1:2]
	v_add_f64_e64 v[3:4], v[143:144], -v[3:4]
	scratch_store_b128 off, v[1:4], off offset:432
	v_cmpx_lt_u32_e32 25, v0
	s_cbranch_execz .LBB110_245
; %bb.244:
	scratch_load_b128 v[1:4], off, s35
	v_mov_b32_e32 v5, 0
	s_delay_alu instid0(VALU_DEP_1)
	v_dual_mov_b32 v6, v5 :: v_dual_mov_b32 v7, v5
	v_mov_b32_e32 v8, v5
	scratch_store_b128 off, v[5:8], off offset:416
	s_wait_loadcnt 0x0
	ds_store_b128 v140, v[1:4]
.LBB110_245:
	s_wait_alu 0xfffe
	s_or_b32 exec_lo, exec_lo, s0
	s_wait_storecnt_dscnt 0x0
	s_barrier_signal -1
	s_barrier_wait -1
	global_inv scope:SCOPE_SE
	s_clause 0x7
	scratch_load_b128 v[2:5], off, off offset:432
	scratch_load_b128 v[6:9], off, off offset:448
	;; [unrolled: 1-line block ×8, first 2 shown]
	v_mov_b32_e32 v1, 0
	s_mov_b32 s0, exec_lo
	ds_load_b128 v[34:37], v1 offset:1168
	s_clause 0x1
	scratch_load_b128 v[38:41], off, off offset:560
	scratch_load_b128 v[42:45], off, off offset:416
	ds_load_b128 v[141:144], v1 offset:1184
	scratch_load_b128 v[145:148], off, off offset:576
	s_wait_loadcnt_dscnt 0xa01
	v_mul_f64_e32 v[149:150], v[36:37], v[4:5]
	v_mul_f64_e32 v[4:5], v[34:35], v[4:5]
	s_delay_alu instid0(VALU_DEP_2) | instskip(NEXT) | instid1(VALU_DEP_2)
	v_fma_f64 v[155:156], v[34:35], v[2:3], -v[149:150]
	v_fma_f64 v[157:158], v[36:37], v[2:3], v[4:5]
	ds_load_b128 v[2:5], v1 offset:1200
	s_wait_loadcnt_dscnt 0x901
	v_mul_f64_e32 v[153:154], v[141:142], v[8:9]
	v_mul_f64_e32 v[8:9], v[143:144], v[8:9]
	scratch_load_b128 v[34:37], off, off offset:592
	ds_load_b128 v[149:152], v1 offset:1216
	s_wait_loadcnt_dscnt 0x901
	v_mul_f64_e32 v[159:160], v[2:3], v[12:13]
	v_mul_f64_e32 v[12:13], v[4:5], v[12:13]
	v_fma_f64 v[143:144], v[143:144], v[6:7], v[153:154]
	v_fma_f64 v[141:142], v[141:142], v[6:7], -v[8:9]
	v_add_f64_e32 v[153:154], 0, v[155:156]
	v_add_f64_e32 v[155:156], 0, v[157:158]
	scratch_load_b128 v[6:9], off, off offset:608
	v_fma_f64 v[159:160], v[4:5], v[10:11], v[159:160]
	v_fma_f64 v[161:162], v[2:3], v[10:11], -v[12:13]
	ds_load_b128 v[2:5], v1 offset:1232
	s_wait_loadcnt_dscnt 0x901
	v_mul_f64_e32 v[157:158], v[149:150], v[16:17]
	v_mul_f64_e32 v[16:17], v[151:152], v[16:17]
	scratch_load_b128 v[10:13], off, off offset:624
	v_add_f64_e32 v[153:154], v[153:154], v[141:142]
	v_add_f64_e32 v[155:156], v[155:156], v[143:144]
	s_wait_loadcnt_dscnt 0x900
	v_mul_f64_e32 v[163:164], v[2:3], v[20:21]
	v_mul_f64_e32 v[20:21], v[4:5], v[20:21]
	ds_load_b128 v[141:144], v1 offset:1248
	v_fma_f64 v[151:152], v[151:152], v[14:15], v[157:158]
	v_fma_f64 v[149:150], v[149:150], v[14:15], -v[16:17]
	scratch_load_b128 v[14:17], off, off offset:640
	v_add_f64_e32 v[153:154], v[153:154], v[161:162]
	v_add_f64_e32 v[155:156], v[155:156], v[159:160]
	v_fma_f64 v[159:160], v[4:5], v[18:19], v[163:164]
	v_fma_f64 v[161:162], v[2:3], v[18:19], -v[20:21]
	ds_load_b128 v[2:5], v1 offset:1264
	s_wait_loadcnt_dscnt 0x901
	v_mul_f64_e32 v[157:158], v[141:142], v[24:25]
	v_mul_f64_e32 v[24:25], v[143:144], v[24:25]
	scratch_load_b128 v[18:21], off, off offset:656
	s_wait_loadcnt_dscnt 0x900
	v_mul_f64_e32 v[163:164], v[2:3], v[28:29]
	v_mul_f64_e32 v[28:29], v[4:5], v[28:29]
	v_add_f64_e32 v[153:154], v[153:154], v[149:150]
	v_add_f64_e32 v[155:156], v[155:156], v[151:152]
	ds_load_b128 v[149:152], v1 offset:1280
	v_fma_f64 v[143:144], v[143:144], v[22:23], v[157:158]
	v_fma_f64 v[141:142], v[141:142], v[22:23], -v[24:25]
	scratch_load_b128 v[22:25], off, off offset:672
	v_add_f64_e32 v[153:154], v[153:154], v[161:162]
	v_add_f64_e32 v[155:156], v[155:156], v[159:160]
	v_fma_f64 v[159:160], v[4:5], v[26:27], v[163:164]
	v_fma_f64 v[161:162], v[2:3], v[26:27], -v[28:29]
	ds_load_b128 v[2:5], v1 offset:1296
	s_wait_loadcnt_dscnt 0x901
	v_mul_f64_e32 v[157:158], v[149:150], v[32:33]
	v_mul_f64_e32 v[32:33], v[151:152], v[32:33]
	scratch_load_b128 v[26:29], off, off offset:688
	s_wait_loadcnt_dscnt 0x900
	v_mul_f64_e32 v[163:164], v[2:3], v[40:41]
	v_mul_f64_e32 v[40:41], v[4:5], v[40:41]
	v_add_f64_e32 v[153:154], v[153:154], v[141:142]
	v_add_f64_e32 v[155:156], v[155:156], v[143:144]
	ds_load_b128 v[141:144], v1 offset:1312
	v_fma_f64 v[151:152], v[151:152], v[30:31], v[157:158]
	v_fma_f64 v[149:150], v[149:150], v[30:31], -v[32:33]
	scratch_load_b128 v[30:33], off, off offset:704
	v_add_f64_e32 v[153:154], v[153:154], v[161:162]
	v_add_f64_e32 v[155:156], v[155:156], v[159:160]
	v_fma_f64 v[161:162], v[4:5], v[38:39], v[163:164]
	v_fma_f64 v[163:164], v[2:3], v[38:39], -v[40:41]
	ds_load_b128 v[2:5], v1 offset:1328
	s_wait_loadcnt_dscnt 0x801
	v_mul_f64_e32 v[157:158], v[141:142], v[147:148]
	v_mul_f64_e32 v[159:160], v[143:144], v[147:148]
	scratch_load_b128 v[38:41], off, off offset:720
	v_add_f64_e32 v[153:154], v[153:154], v[149:150]
	v_add_f64_e32 v[151:152], v[155:156], v[151:152]
	ds_load_b128 v[147:150], v1 offset:1344
	v_fma_f64 v[157:158], v[143:144], v[145:146], v[157:158]
	v_fma_f64 v[145:146], v[141:142], v[145:146], -v[159:160]
	scratch_load_b128 v[141:144], off, off offset:736
	s_wait_loadcnt_dscnt 0x901
	v_mul_f64_e32 v[155:156], v[2:3], v[36:37]
	v_mul_f64_e32 v[36:37], v[4:5], v[36:37]
	v_add_f64_e32 v[153:154], v[153:154], v[163:164]
	v_add_f64_e32 v[151:152], v[151:152], v[161:162]
	s_delay_alu instid0(VALU_DEP_4) | instskip(NEXT) | instid1(VALU_DEP_4)
	v_fma_f64 v[155:156], v[4:5], v[34:35], v[155:156]
	v_fma_f64 v[161:162], v[2:3], v[34:35], -v[36:37]
	ds_load_b128 v[2:5], v1 offset:1360
	s_wait_loadcnt_dscnt 0x801
	v_mul_f64_e32 v[159:160], v[147:148], v[8:9]
	v_mul_f64_e32 v[8:9], v[149:150], v[8:9]
	scratch_load_b128 v[34:37], off, off offset:752
	s_wait_loadcnt_dscnt 0x800
	v_mul_f64_e32 v[163:164], v[2:3], v[12:13]
	v_add_f64_e32 v[145:146], v[153:154], v[145:146]
	v_add_f64_e32 v[157:158], v[151:152], v[157:158]
	v_mul_f64_e32 v[12:13], v[4:5], v[12:13]
	ds_load_b128 v[151:154], v1 offset:1376
	v_fma_f64 v[149:150], v[149:150], v[6:7], v[159:160]
	v_fma_f64 v[6:7], v[147:148], v[6:7], -v[8:9]
	s_wait_loadcnt_dscnt 0x700
	v_mul_f64_e32 v[147:148], v[151:152], v[16:17]
	v_add_f64_e32 v[8:9], v[145:146], v[161:162]
	v_add_f64_e32 v[145:146], v[157:158], v[155:156]
	v_mul_f64_e32 v[16:17], v[153:154], v[16:17]
	v_fma_f64 v[155:156], v[4:5], v[10:11], v[163:164]
	v_fma_f64 v[10:11], v[2:3], v[10:11], -v[12:13]
	v_fma_f64 v[147:148], v[153:154], v[14:15], v[147:148]
	v_add_f64_e32 v[12:13], v[8:9], v[6:7]
	v_add_f64_e32 v[145:146], v[145:146], v[149:150]
	ds_load_b128 v[2:5], v1 offset:1392
	ds_load_b128 v[6:9], v1 offset:1408
	v_fma_f64 v[14:15], v[151:152], v[14:15], -v[16:17]
	s_wait_loadcnt_dscnt 0x601
	v_mul_f64_e32 v[149:150], v[2:3], v[20:21]
	v_mul_f64_e32 v[20:21], v[4:5], v[20:21]
	s_wait_loadcnt_dscnt 0x500
	v_mul_f64_e32 v[16:17], v[6:7], v[24:25]
	v_mul_f64_e32 v[24:25], v[8:9], v[24:25]
	v_add_f64_e32 v[10:11], v[12:13], v[10:11]
	v_add_f64_e32 v[12:13], v[145:146], v[155:156]
	v_fma_f64 v[145:146], v[4:5], v[18:19], v[149:150]
	v_fma_f64 v[18:19], v[2:3], v[18:19], -v[20:21]
	v_fma_f64 v[8:9], v[8:9], v[22:23], v[16:17]
	v_fma_f64 v[6:7], v[6:7], v[22:23], -v[24:25]
	v_add_f64_e32 v[14:15], v[10:11], v[14:15]
	v_add_f64_e32 v[20:21], v[12:13], v[147:148]
	ds_load_b128 v[2:5], v1 offset:1424
	ds_load_b128 v[10:13], v1 offset:1440
	s_wait_loadcnt_dscnt 0x401
	v_mul_f64_e32 v[147:148], v[2:3], v[28:29]
	v_mul_f64_e32 v[28:29], v[4:5], v[28:29]
	v_add_f64_e32 v[14:15], v[14:15], v[18:19]
	v_add_f64_e32 v[16:17], v[20:21], v[145:146]
	s_wait_loadcnt_dscnt 0x300
	v_mul_f64_e32 v[18:19], v[10:11], v[32:33]
	v_mul_f64_e32 v[20:21], v[12:13], v[32:33]
	v_fma_f64 v[22:23], v[4:5], v[26:27], v[147:148]
	v_fma_f64 v[24:25], v[2:3], v[26:27], -v[28:29]
	v_add_f64_e32 v[14:15], v[14:15], v[6:7]
	v_add_f64_e32 v[16:17], v[16:17], v[8:9]
	ds_load_b128 v[2:5], v1 offset:1456
	ds_load_b128 v[6:9], v1 offset:1472
	v_fma_f64 v[12:13], v[12:13], v[30:31], v[18:19]
	v_fma_f64 v[10:11], v[10:11], v[30:31], -v[20:21]
	s_wait_loadcnt_dscnt 0x201
	v_mul_f64_e32 v[26:27], v[2:3], v[40:41]
	v_mul_f64_e32 v[28:29], v[4:5], v[40:41]
	s_wait_loadcnt_dscnt 0x100
	v_mul_f64_e32 v[18:19], v[6:7], v[143:144]
	v_mul_f64_e32 v[20:21], v[8:9], v[143:144]
	v_add_f64_e32 v[14:15], v[14:15], v[24:25]
	v_add_f64_e32 v[16:17], v[16:17], v[22:23]
	v_fma_f64 v[22:23], v[4:5], v[38:39], v[26:27]
	v_fma_f64 v[24:25], v[2:3], v[38:39], -v[28:29]
	ds_load_b128 v[2:5], v1 offset:1488
	v_fma_f64 v[8:9], v[8:9], v[141:142], v[18:19]
	v_fma_f64 v[6:7], v[6:7], v[141:142], -v[20:21]
	v_add_f64_e32 v[10:11], v[14:15], v[10:11]
	v_add_f64_e32 v[12:13], v[16:17], v[12:13]
	s_wait_loadcnt_dscnt 0x0
	v_mul_f64_e32 v[14:15], v[2:3], v[36:37]
	v_mul_f64_e32 v[16:17], v[4:5], v[36:37]
	s_delay_alu instid0(VALU_DEP_4) | instskip(NEXT) | instid1(VALU_DEP_4)
	v_add_f64_e32 v[10:11], v[10:11], v[24:25]
	v_add_f64_e32 v[12:13], v[12:13], v[22:23]
	s_delay_alu instid0(VALU_DEP_4) | instskip(NEXT) | instid1(VALU_DEP_4)
	v_fma_f64 v[4:5], v[4:5], v[34:35], v[14:15]
	v_fma_f64 v[2:3], v[2:3], v[34:35], -v[16:17]
	s_delay_alu instid0(VALU_DEP_4) | instskip(NEXT) | instid1(VALU_DEP_4)
	v_add_f64_e32 v[6:7], v[10:11], v[6:7]
	v_add_f64_e32 v[8:9], v[12:13], v[8:9]
	s_delay_alu instid0(VALU_DEP_2) | instskip(NEXT) | instid1(VALU_DEP_2)
	v_add_f64_e32 v[2:3], v[6:7], v[2:3]
	v_add_f64_e32 v[4:5], v[8:9], v[4:5]
	s_delay_alu instid0(VALU_DEP_2) | instskip(NEXT) | instid1(VALU_DEP_2)
	v_add_f64_e64 v[2:3], v[42:43], -v[2:3]
	v_add_f64_e64 v[4:5], v[44:45], -v[4:5]
	scratch_store_b128 off, v[2:5], off offset:416
	v_cmpx_lt_u32_e32 24, v0
	s_cbranch_execz .LBB110_247
; %bb.246:
	scratch_load_b128 v[5:8], off, s36
	v_dual_mov_b32 v2, v1 :: v_dual_mov_b32 v3, v1
	v_mov_b32_e32 v4, v1
	scratch_store_b128 off, v[1:4], off offset:400
	s_wait_loadcnt 0x0
	ds_store_b128 v140, v[5:8]
.LBB110_247:
	s_wait_alu 0xfffe
	s_or_b32 exec_lo, exec_lo, s0
	s_wait_storecnt_dscnt 0x0
	s_barrier_signal -1
	s_barrier_wait -1
	global_inv scope:SCOPE_SE
	s_clause 0x8
	scratch_load_b128 v[2:5], off, off offset:416
	scratch_load_b128 v[6:9], off, off offset:432
	;; [unrolled: 1-line block ×9, first 2 shown]
	ds_load_b128 v[38:41], v1 offset:1152
	ds_load_b128 v[42:45], v1 offset:1168
	s_clause 0x1
	scratch_load_b128 v[141:144], off, off offset:400
	scratch_load_b128 v[145:148], off, off offset:560
	s_mov_b32 s0, exec_lo
	s_wait_loadcnt_dscnt 0xa01
	v_mul_f64_e32 v[149:150], v[40:41], v[4:5]
	v_mul_f64_e32 v[4:5], v[38:39], v[4:5]
	s_wait_loadcnt_dscnt 0x900
	v_mul_f64_e32 v[153:154], v[42:43], v[8:9]
	v_mul_f64_e32 v[8:9], v[44:45], v[8:9]
	s_delay_alu instid0(VALU_DEP_4) | instskip(NEXT) | instid1(VALU_DEP_4)
	v_fma_f64 v[155:156], v[38:39], v[2:3], -v[149:150]
	v_fma_f64 v[157:158], v[40:41], v[2:3], v[4:5]
	ds_load_b128 v[2:5], v1 offset:1184
	ds_load_b128 v[149:152], v1 offset:1200
	scratch_load_b128 v[38:41], off, off offset:576
	v_fma_f64 v[44:45], v[44:45], v[6:7], v[153:154]
	v_fma_f64 v[42:43], v[42:43], v[6:7], -v[8:9]
	scratch_load_b128 v[6:9], off, off offset:592
	s_wait_loadcnt_dscnt 0xa01
	v_mul_f64_e32 v[159:160], v[2:3], v[12:13]
	v_mul_f64_e32 v[12:13], v[4:5], v[12:13]
	v_add_f64_e32 v[153:154], 0, v[155:156]
	v_add_f64_e32 v[155:156], 0, v[157:158]
	s_wait_loadcnt_dscnt 0x900
	v_mul_f64_e32 v[157:158], v[149:150], v[16:17]
	v_mul_f64_e32 v[16:17], v[151:152], v[16:17]
	v_fma_f64 v[159:160], v[4:5], v[10:11], v[159:160]
	v_fma_f64 v[161:162], v[2:3], v[10:11], -v[12:13]
	ds_load_b128 v[2:5], v1 offset:1216
	scratch_load_b128 v[10:13], off, off offset:608
	v_add_f64_e32 v[153:154], v[153:154], v[42:43]
	v_add_f64_e32 v[155:156], v[155:156], v[44:45]
	ds_load_b128 v[42:45], v1 offset:1232
	v_fma_f64 v[151:152], v[151:152], v[14:15], v[157:158]
	v_fma_f64 v[149:150], v[149:150], v[14:15], -v[16:17]
	scratch_load_b128 v[14:17], off, off offset:624
	s_wait_loadcnt_dscnt 0xa01
	v_mul_f64_e32 v[163:164], v[2:3], v[20:21]
	v_mul_f64_e32 v[20:21], v[4:5], v[20:21]
	s_wait_loadcnt_dscnt 0x900
	v_mul_f64_e32 v[157:158], v[42:43], v[24:25]
	v_mul_f64_e32 v[24:25], v[44:45], v[24:25]
	v_add_f64_e32 v[153:154], v[153:154], v[161:162]
	v_add_f64_e32 v[155:156], v[155:156], v[159:160]
	v_fma_f64 v[159:160], v[4:5], v[18:19], v[163:164]
	v_fma_f64 v[161:162], v[2:3], v[18:19], -v[20:21]
	ds_load_b128 v[2:5], v1 offset:1248
	scratch_load_b128 v[18:21], off, off offset:640
	v_fma_f64 v[44:45], v[44:45], v[22:23], v[157:158]
	v_fma_f64 v[42:43], v[42:43], v[22:23], -v[24:25]
	scratch_load_b128 v[22:25], off, off offset:656
	v_add_f64_e32 v[153:154], v[153:154], v[149:150]
	v_add_f64_e32 v[155:156], v[155:156], v[151:152]
	ds_load_b128 v[149:152], v1 offset:1264
	s_wait_loadcnt_dscnt 0xa01
	v_mul_f64_e32 v[163:164], v[2:3], v[28:29]
	v_mul_f64_e32 v[28:29], v[4:5], v[28:29]
	s_wait_loadcnt_dscnt 0x900
	v_mul_f64_e32 v[157:158], v[149:150], v[32:33]
	v_mul_f64_e32 v[32:33], v[151:152], v[32:33]
	v_add_f64_e32 v[153:154], v[153:154], v[161:162]
	v_add_f64_e32 v[155:156], v[155:156], v[159:160]
	v_fma_f64 v[159:160], v[4:5], v[26:27], v[163:164]
	v_fma_f64 v[161:162], v[2:3], v[26:27], -v[28:29]
	ds_load_b128 v[2:5], v1 offset:1280
	scratch_load_b128 v[26:29], off, off offset:672
	v_fma_f64 v[151:152], v[151:152], v[30:31], v[157:158]
	v_fma_f64 v[149:150], v[149:150], v[30:31], -v[32:33]
	scratch_load_b128 v[30:33], off, off offset:688
	v_add_f64_e32 v[153:154], v[153:154], v[42:43]
	v_add_f64_e32 v[155:156], v[155:156], v[44:45]
	ds_load_b128 v[42:45], v1 offset:1296
	s_wait_loadcnt_dscnt 0xa01
	v_mul_f64_e32 v[163:164], v[2:3], v[36:37]
	v_mul_f64_e32 v[36:37], v[4:5], v[36:37]
	s_wait_loadcnt_dscnt 0x800
	v_mul_f64_e32 v[157:158], v[42:43], v[147:148]
	v_add_f64_e32 v[153:154], v[153:154], v[161:162]
	v_add_f64_e32 v[155:156], v[155:156], v[159:160]
	v_mul_f64_e32 v[159:160], v[44:45], v[147:148]
	v_fma_f64 v[161:162], v[4:5], v[34:35], v[163:164]
	v_fma_f64 v[163:164], v[2:3], v[34:35], -v[36:37]
	ds_load_b128 v[2:5], v1 offset:1312
	scratch_load_b128 v[34:37], off, off offset:704
	v_fma_f64 v[44:45], v[44:45], v[145:146], v[157:158]
	v_add_f64_e32 v[153:154], v[153:154], v[149:150]
	v_add_f64_e32 v[151:152], v[155:156], v[151:152]
	ds_load_b128 v[147:150], v1 offset:1328
	v_fma_f64 v[145:146], v[42:43], v[145:146], -v[159:160]
	s_wait_loadcnt_dscnt 0x801
	v_mul_f64_e32 v[155:156], v[2:3], v[40:41]
	v_mul_f64_e32 v[165:166], v[4:5], v[40:41]
	scratch_load_b128 v[40:43], off, off offset:720
	s_wait_loadcnt_dscnt 0x800
	v_mul_f64_e32 v[159:160], v[147:148], v[8:9]
	v_mul_f64_e32 v[8:9], v[149:150], v[8:9]
	v_add_f64_e32 v[153:154], v[153:154], v[163:164]
	v_add_f64_e32 v[151:152], v[151:152], v[161:162]
	v_fma_f64 v[161:162], v[4:5], v[38:39], v[155:156]
	v_fma_f64 v[38:39], v[2:3], v[38:39], -v[165:166]
	ds_load_b128 v[2:5], v1 offset:1344
	ds_load_b128 v[155:158], v1 offset:1360
	v_fma_f64 v[149:150], v[149:150], v[6:7], v[159:160]
	v_fma_f64 v[147:148], v[147:148], v[6:7], -v[8:9]
	scratch_load_b128 v[6:9], off, off offset:752
	v_add_f64_e32 v[145:146], v[153:154], v[145:146]
	v_add_f64_e32 v[44:45], v[151:152], v[44:45]
	scratch_load_b128 v[151:154], off, off offset:736
	s_wait_loadcnt_dscnt 0x901
	v_mul_f64_e32 v[163:164], v[2:3], v[12:13]
	v_mul_f64_e32 v[12:13], v[4:5], v[12:13]
	v_add_f64_e32 v[38:39], v[145:146], v[38:39]
	v_add_f64_e32 v[44:45], v[44:45], v[161:162]
	s_wait_loadcnt_dscnt 0x800
	v_mul_f64_e32 v[145:146], v[155:156], v[16:17]
	v_mul_f64_e32 v[16:17], v[157:158], v[16:17]
	v_fma_f64 v[159:160], v[4:5], v[10:11], v[163:164]
	v_fma_f64 v[161:162], v[2:3], v[10:11], -v[12:13]
	ds_load_b128 v[2:5], v1 offset:1376
	ds_load_b128 v[10:13], v1 offset:1392
	v_add_f64_e32 v[38:39], v[38:39], v[147:148]
	v_add_f64_e32 v[44:45], v[44:45], v[149:150]
	s_wait_loadcnt_dscnt 0x701
	v_mul_f64_e32 v[147:148], v[2:3], v[20:21]
	v_mul_f64_e32 v[20:21], v[4:5], v[20:21]
	v_fma_f64 v[145:146], v[157:158], v[14:15], v[145:146]
	v_fma_f64 v[14:15], v[155:156], v[14:15], -v[16:17]
	v_add_f64_e32 v[16:17], v[38:39], v[161:162]
	v_add_f64_e32 v[38:39], v[44:45], v[159:160]
	s_wait_loadcnt_dscnt 0x600
	v_mul_f64_e32 v[44:45], v[10:11], v[24:25]
	v_mul_f64_e32 v[24:25], v[12:13], v[24:25]
	v_fma_f64 v[147:148], v[4:5], v[18:19], v[147:148]
	v_fma_f64 v[18:19], v[2:3], v[18:19], -v[20:21]
	v_add_f64_e32 v[20:21], v[16:17], v[14:15]
	v_add_f64_e32 v[38:39], v[38:39], v[145:146]
	ds_load_b128 v[2:5], v1 offset:1408
	ds_load_b128 v[14:17], v1 offset:1424
	v_fma_f64 v[12:13], v[12:13], v[22:23], v[44:45]
	v_fma_f64 v[10:11], v[10:11], v[22:23], -v[24:25]
	s_wait_loadcnt_dscnt 0x501
	v_mul_f64_e32 v[145:146], v[2:3], v[28:29]
	v_mul_f64_e32 v[28:29], v[4:5], v[28:29]
	s_wait_loadcnt_dscnt 0x400
	v_mul_f64_e32 v[22:23], v[14:15], v[32:33]
	v_mul_f64_e32 v[24:25], v[16:17], v[32:33]
	v_add_f64_e32 v[18:19], v[20:21], v[18:19]
	v_add_f64_e32 v[20:21], v[38:39], v[147:148]
	v_fma_f64 v[32:33], v[4:5], v[26:27], v[145:146]
	v_fma_f64 v[26:27], v[2:3], v[26:27], -v[28:29]
	v_fma_f64 v[16:17], v[16:17], v[30:31], v[22:23]
	v_fma_f64 v[14:15], v[14:15], v[30:31], -v[24:25]
	v_add_f64_e32 v[18:19], v[18:19], v[10:11]
	v_add_f64_e32 v[20:21], v[20:21], v[12:13]
	ds_load_b128 v[2:5], v1 offset:1440
	ds_load_b128 v[10:13], v1 offset:1456
	s_wait_loadcnt_dscnt 0x301
	v_mul_f64_e32 v[28:29], v[2:3], v[36:37]
	v_mul_f64_e32 v[36:37], v[4:5], v[36:37]
	s_wait_loadcnt_dscnt 0x200
	v_mul_f64_e32 v[22:23], v[10:11], v[42:43]
	v_add_f64_e32 v[18:19], v[18:19], v[26:27]
	v_add_f64_e32 v[20:21], v[20:21], v[32:33]
	v_mul_f64_e32 v[24:25], v[12:13], v[42:43]
	v_fma_f64 v[26:27], v[4:5], v[34:35], v[28:29]
	v_fma_f64 v[28:29], v[2:3], v[34:35], -v[36:37]
	v_fma_f64 v[12:13], v[12:13], v[40:41], v[22:23]
	v_add_f64_e32 v[18:19], v[18:19], v[14:15]
	v_add_f64_e32 v[20:21], v[20:21], v[16:17]
	ds_load_b128 v[2:5], v1 offset:1472
	ds_load_b128 v[14:17], v1 offset:1488
	v_fma_f64 v[10:11], v[10:11], v[40:41], -v[24:25]
	s_wait_loadcnt_dscnt 0x1
	v_mul_f64_e32 v[30:31], v[2:3], v[153:154]
	v_mul_f64_e32 v[32:33], v[4:5], v[153:154]
	s_wait_dscnt 0x0
	v_mul_f64_e32 v[22:23], v[14:15], v[8:9]
	v_mul_f64_e32 v[8:9], v[16:17], v[8:9]
	v_add_f64_e32 v[18:19], v[18:19], v[28:29]
	v_add_f64_e32 v[20:21], v[20:21], v[26:27]
	v_fma_f64 v[4:5], v[4:5], v[151:152], v[30:31]
	v_fma_f64 v[1:2], v[2:3], v[151:152], -v[32:33]
	v_fma_f64 v[16:17], v[16:17], v[6:7], v[22:23]
	v_fma_f64 v[6:7], v[14:15], v[6:7], -v[8:9]
	v_add_f64_e32 v[10:11], v[18:19], v[10:11]
	v_add_f64_e32 v[12:13], v[20:21], v[12:13]
	s_delay_alu instid0(VALU_DEP_2) | instskip(NEXT) | instid1(VALU_DEP_2)
	v_add_f64_e32 v[1:2], v[10:11], v[1:2]
	v_add_f64_e32 v[3:4], v[12:13], v[4:5]
	s_delay_alu instid0(VALU_DEP_2) | instskip(NEXT) | instid1(VALU_DEP_2)
	;; [unrolled: 3-line block ×3, first 2 shown]
	v_add_f64_e64 v[1:2], v[141:142], -v[1:2]
	v_add_f64_e64 v[3:4], v[143:144], -v[3:4]
	scratch_store_b128 off, v[1:4], off offset:400
	v_cmpx_lt_u32_e32 23, v0
	s_cbranch_execz .LBB110_249
; %bb.248:
	scratch_load_b128 v[1:4], off, s37
	v_mov_b32_e32 v5, 0
	s_delay_alu instid0(VALU_DEP_1)
	v_dual_mov_b32 v6, v5 :: v_dual_mov_b32 v7, v5
	v_mov_b32_e32 v8, v5
	scratch_store_b128 off, v[5:8], off offset:384
	s_wait_loadcnt 0x0
	ds_store_b128 v140, v[1:4]
.LBB110_249:
	s_wait_alu 0xfffe
	s_or_b32 exec_lo, exec_lo, s0
	s_wait_storecnt_dscnt 0x0
	s_barrier_signal -1
	s_barrier_wait -1
	global_inv scope:SCOPE_SE
	s_clause 0x7
	scratch_load_b128 v[2:5], off, off offset:400
	scratch_load_b128 v[6:9], off, off offset:416
	;; [unrolled: 1-line block ×8, first 2 shown]
	v_mov_b32_e32 v1, 0
	s_mov_b32 s0, exec_lo
	ds_load_b128 v[34:37], v1 offset:1136
	s_clause 0x1
	scratch_load_b128 v[38:41], off, off offset:528
	scratch_load_b128 v[42:45], off, off offset:384
	ds_load_b128 v[141:144], v1 offset:1152
	scratch_load_b128 v[145:148], off, off offset:544
	s_wait_loadcnt_dscnt 0xa01
	v_mul_f64_e32 v[149:150], v[36:37], v[4:5]
	v_mul_f64_e32 v[4:5], v[34:35], v[4:5]
	s_delay_alu instid0(VALU_DEP_2) | instskip(NEXT) | instid1(VALU_DEP_2)
	v_fma_f64 v[155:156], v[34:35], v[2:3], -v[149:150]
	v_fma_f64 v[157:158], v[36:37], v[2:3], v[4:5]
	ds_load_b128 v[2:5], v1 offset:1168
	s_wait_loadcnt_dscnt 0x901
	v_mul_f64_e32 v[153:154], v[141:142], v[8:9]
	v_mul_f64_e32 v[8:9], v[143:144], v[8:9]
	scratch_load_b128 v[34:37], off, off offset:560
	ds_load_b128 v[149:152], v1 offset:1184
	s_wait_loadcnt_dscnt 0x901
	v_mul_f64_e32 v[159:160], v[2:3], v[12:13]
	v_mul_f64_e32 v[12:13], v[4:5], v[12:13]
	v_fma_f64 v[143:144], v[143:144], v[6:7], v[153:154]
	v_fma_f64 v[141:142], v[141:142], v[6:7], -v[8:9]
	v_add_f64_e32 v[153:154], 0, v[155:156]
	v_add_f64_e32 v[155:156], 0, v[157:158]
	scratch_load_b128 v[6:9], off, off offset:576
	v_fma_f64 v[159:160], v[4:5], v[10:11], v[159:160]
	v_fma_f64 v[161:162], v[2:3], v[10:11], -v[12:13]
	ds_load_b128 v[2:5], v1 offset:1200
	s_wait_loadcnt_dscnt 0x901
	v_mul_f64_e32 v[157:158], v[149:150], v[16:17]
	v_mul_f64_e32 v[16:17], v[151:152], v[16:17]
	scratch_load_b128 v[10:13], off, off offset:592
	v_add_f64_e32 v[153:154], v[153:154], v[141:142]
	v_add_f64_e32 v[155:156], v[155:156], v[143:144]
	s_wait_loadcnt_dscnt 0x900
	v_mul_f64_e32 v[163:164], v[2:3], v[20:21]
	v_mul_f64_e32 v[20:21], v[4:5], v[20:21]
	ds_load_b128 v[141:144], v1 offset:1216
	v_fma_f64 v[151:152], v[151:152], v[14:15], v[157:158]
	v_fma_f64 v[149:150], v[149:150], v[14:15], -v[16:17]
	scratch_load_b128 v[14:17], off, off offset:608
	v_add_f64_e32 v[153:154], v[153:154], v[161:162]
	v_add_f64_e32 v[155:156], v[155:156], v[159:160]
	v_fma_f64 v[159:160], v[4:5], v[18:19], v[163:164]
	v_fma_f64 v[161:162], v[2:3], v[18:19], -v[20:21]
	ds_load_b128 v[2:5], v1 offset:1232
	s_wait_loadcnt_dscnt 0x901
	v_mul_f64_e32 v[157:158], v[141:142], v[24:25]
	v_mul_f64_e32 v[24:25], v[143:144], v[24:25]
	scratch_load_b128 v[18:21], off, off offset:624
	s_wait_loadcnt_dscnt 0x900
	v_mul_f64_e32 v[163:164], v[2:3], v[28:29]
	v_mul_f64_e32 v[28:29], v[4:5], v[28:29]
	v_add_f64_e32 v[153:154], v[153:154], v[149:150]
	v_add_f64_e32 v[155:156], v[155:156], v[151:152]
	ds_load_b128 v[149:152], v1 offset:1248
	v_fma_f64 v[143:144], v[143:144], v[22:23], v[157:158]
	v_fma_f64 v[141:142], v[141:142], v[22:23], -v[24:25]
	scratch_load_b128 v[22:25], off, off offset:640
	v_add_f64_e32 v[153:154], v[153:154], v[161:162]
	v_add_f64_e32 v[155:156], v[155:156], v[159:160]
	v_fma_f64 v[159:160], v[4:5], v[26:27], v[163:164]
	v_fma_f64 v[161:162], v[2:3], v[26:27], -v[28:29]
	ds_load_b128 v[2:5], v1 offset:1264
	s_wait_loadcnt_dscnt 0x901
	v_mul_f64_e32 v[157:158], v[149:150], v[32:33]
	v_mul_f64_e32 v[32:33], v[151:152], v[32:33]
	scratch_load_b128 v[26:29], off, off offset:656
	s_wait_loadcnt_dscnt 0x900
	v_mul_f64_e32 v[163:164], v[2:3], v[40:41]
	v_mul_f64_e32 v[40:41], v[4:5], v[40:41]
	v_add_f64_e32 v[153:154], v[153:154], v[141:142]
	v_add_f64_e32 v[155:156], v[155:156], v[143:144]
	ds_load_b128 v[141:144], v1 offset:1280
	v_fma_f64 v[151:152], v[151:152], v[30:31], v[157:158]
	v_fma_f64 v[149:150], v[149:150], v[30:31], -v[32:33]
	scratch_load_b128 v[30:33], off, off offset:672
	v_add_f64_e32 v[153:154], v[153:154], v[161:162]
	v_add_f64_e32 v[155:156], v[155:156], v[159:160]
	v_fma_f64 v[161:162], v[4:5], v[38:39], v[163:164]
	v_fma_f64 v[163:164], v[2:3], v[38:39], -v[40:41]
	ds_load_b128 v[2:5], v1 offset:1296
	s_wait_loadcnt_dscnt 0x801
	v_mul_f64_e32 v[157:158], v[141:142], v[147:148]
	v_mul_f64_e32 v[159:160], v[143:144], v[147:148]
	scratch_load_b128 v[38:41], off, off offset:688
	v_add_f64_e32 v[153:154], v[153:154], v[149:150]
	v_add_f64_e32 v[151:152], v[155:156], v[151:152]
	ds_load_b128 v[147:150], v1 offset:1312
	v_fma_f64 v[157:158], v[143:144], v[145:146], v[157:158]
	v_fma_f64 v[145:146], v[141:142], v[145:146], -v[159:160]
	scratch_load_b128 v[141:144], off, off offset:704
	s_wait_loadcnt_dscnt 0x901
	v_mul_f64_e32 v[155:156], v[2:3], v[36:37]
	v_mul_f64_e32 v[36:37], v[4:5], v[36:37]
	v_add_f64_e32 v[153:154], v[153:154], v[163:164]
	v_add_f64_e32 v[151:152], v[151:152], v[161:162]
	s_delay_alu instid0(VALU_DEP_4) | instskip(NEXT) | instid1(VALU_DEP_4)
	v_fma_f64 v[155:156], v[4:5], v[34:35], v[155:156]
	v_fma_f64 v[161:162], v[2:3], v[34:35], -v[36:37]
	ds_load_b128 v[2:5], v1 offset:1328
	s_wait_loadcnt_dscnt 0x801
	v_mul_f64_e32 v[159:160], v[147:148], v[8:9]
	v_mul_f64_e32 v[8:9], v[149:150], v[8:9]
	scratch_load_b128 v[34:37], off, off offset:720
	s_wait_loadcnt_dscnt 0x800
	v_mul_f64_e32 v[163:164], v[2:3], v[12:13]
	v_add_f64_e32 v[145:146], v[153:154], v[145:146]
	v_add_f64_e32 v[157:158], v[151:152], v[157:158]
	v_mul_f64_e32 v[12:13], v[4:5], v[12:13]
	ds_load_b128 v[151:154], v1 offset:1344
	v_fma_f64 v[149:150], v[149:150], v[6:7], v[159:160]
	v_fma_f64 v[147:148], v[147:148], v[6:7], -v[8:9]
	scratch_load_b128 v[6:9], off, off offset:736
	v_fma_f64 v[159:160], v[4:5], v[10:11], v[163:164]
	v_add_f64_e32 v[145:146], v[145:146], v[161:162]
	v_add_f64_e32 v[155:156], v[157:158], v[155:156]
	v_fma_f64 v[161:162], v[2:3], v[10:11], -v[12:13]
	ds_load_b128 v[2:5], v1 offset:1360
	s_wait_loadcnt_dscnt 0x801
	v_mul_f64_e32 v[157:158], v[151:152], v[16:17]
	v_mul_f64_e32 v[16:17], v[153:154], v[16:17]
	scratch_load_b128 v[10:13], off, off offset:752
	v_add_f64_e32 v[163:164], v[145:146], v[147:148]
	v_add_f64_e32 v[149:150], v[155:156], v[149:150]
	s_wait_loadcnt_dscnt 0x800
	v_mul_f64_e32 v[155:156], v[2:3], v[20:21]
	v_mul_f64_e32 v[20:21], v[4:5], v[20:21]
	v_fma_f64 v[153:154], v[153:154], v[14:15], v[157:158]
	v_fma_f64 v[14:15], v[151:152], v[14:15], -v[16:17]
	ds_load_b128 v[145:148], v1 offset:1376
	s_wait_loadcnt_dscnt 0x700
	v_mul_f64_e32 v[151:152], v[145:146], v[24:25]
	v_mul_f64_e32 v[24:25], v[147:148], v[24:25]
	v_add_f64_e32 v[16:17], v[163:164], v[161:162]
	v_add_f64_e32 v[149:150], v[149:150], v[159:160]
	v_fma_f64 v[155:156], v[4:5], v[18:19], v[155:156]
	v_fma_f64 v[18:19], v[2:3], v[18:19], -v[20:21]
	v_fma_f64 v[147:148], v[147:148], v[22:23], v[151:152]
	v_fma_f64 v[22:23], v[145:146], v[22:23], -v[24:25]
	v_add_f64_e32 v[20:21], v[16:17], v[14:15]
	v_add_f64_e32 v[149:150], v[149:150], v[153:154]
	ds_load_b128 v[2:5], v1 offset:1392
	ds_load_b128 v[14:17], v1 offset:1408
	s_wait_loadcnt_dscnt 0x601
	v_mul_f64_e32 v[153:154], v[2:3], v[28:29]
	v_mul_f64_e32 v[28:29], v[4:5], v[28:29]
	s_wait_loadcnt_dscnt 0x500
	v_mul_f64_e32 v[24:25], v[14:15], v[32:33]
	v_mul_f64_e32 v[32:33], v[16:17], v[32:33]
	v_add_f64_e32 v[18:19], v[20:21], v[18:19]
	v_add_f64_e32 v[20:21], v[149:150], v[155:156]
	v_fma_f64 v[145:146], v[4:5], v[26:27], v[153:154]
	v_fma_f64 v[26:27], v[2:3], v[26:27], -v[28:29]
	v_fma_f64 v[16:17], v[16:17], v[30:31], v[24:25]
	v_fma_f64 v[14:15], v[14:15], v[30:31], -v[32:33]
	v_add_f64_e32 v[22:23], v[18:19], v[22:23]
	v_add_f64_e32 v[28:29], v[20:21], v[147:148]
	ds_load_b128 v[2:5], v1 offset:1424
	ds_load_b128 v[18:21], v1 offset:1440
	s_wait_loadcnt_dscnt 0x401
	v_mul_f64_e32 v[147:148], v[2:3], v[40:41]
	v_mul_f64_e32 v[40:41], v[4:5], v[40:41]
	v_add_f64_e32 v[22:23], v[22:23], v[26:27]
	v_add_f64_e32 v[24:25], v[28:29], v[145:146]
	s_wait_loadcnt_dscnt 0x300
	v_mul_f64_e32 v[26:27], v[18:19], v[143:144]
	v_mul_f64_e32 v[28:29], v[20:21], v[143:144]
	v_fma_f64 v[30:31], v[4:5], v[38:39], v[147:148]
	v_fma_f64 v[32:33], v[2:3], v[38:39], -v[40:41]
	v_add_f64_e32 v[22:23], v[22:23], v[14:15]
	v_add_f64_e32 v[24:25], v[24:25], v[16:17]
	ds_load_b128 v[2:5], v1 offset:1456
	ds_load_b128 v[14:17], v1 offset:1472
	v_fma_f64 v[20:21], v[20:21], v[141:142], v[26:27]
	v_fma_f64 v[18:19], v[18:19], v[141:142], -v[28:29]
	s_wait_loadcnt_dscnt 0x201
	v_mul_f64_e32 v[38:39], v[2:3], v[36:37]
	v_mul_f64_e32 v[36:37], v[4:5], v[36:37]
	s_wait_loadcnt_dscnt 0x100
	v_mul_f64_e32 v[26:27], v[14:15], v[8:9]
	v_mul_f64_e32 v[8:9], v[16:17], v[8:9]
	v_add_f64_e32 v[22:23], v[22:23], v[32:33]
	v_add_f64_e32 v[24:25], v[24:25], v[30:31]
	v_fma_f64 v[28:29], v[4:5], v[34:35], v[38:39]
	v_fma_f64 v[30:31], v[2:3], v[34:35], -v[36:37]
	ds_load_b128 v[2:5], v1 offset:1488
	v_fma_f64 v[16:17], v[16:17], v[6:7], v[26:27]
	v_fma_f64 v[6:7], v[14:15], v[6:7], -v[8:9]
	v_add_f64_e32 v[18:19], v[22:23], v[18:19]
	v_add_f64_e32 v[20:21], v[24:25], v[20:21]
	s_wait_loadcnt_dscnt 0x0
	v_mul_f64_e32 v[22:23], v[2:3], v[12:13]
	v_mul_f64_e32 v[12:13], v[4:5], v[12:13]
	s_delay_alu instid0(VALU_DEP_4) | instskip(NEXT) | instid1(VALU_DEP_4)
	v_add_f64_e32 v[8:9], v[18:19], v[30:31]
	v_add_f64_e32 v[14:15], v[20:21], v[28:29]
	s_delay_alu instid0(VALU_DEP_4) | instskip(NEXT) | instid1(VALU_DEP_4)
	v_fma_f64 v[4:5], v[4:5], v[10:11], v[22:23]
	v_fma_f64 v[2:3], v[2:3], v[10:11], -v[12:13]
	s_delay_alu instid0(VALU_DEP_4) | instskip(NEXT) | instid1(VALU_DEP_4)
	v_add_f64_e32 v[6:7], v[8:9], v[6:7]
	v_add_f64_e32 v[8:9], v[14:15], v[16:17]
	s_delay_alu instid0(VALU_DEP_2) | instskip(NEXT) | instid1(VALU_DEP_2)
	v_add_f64_e32 v[2:3], v[6:7], v[2:3]
	v_add_f64_e32 v[4:5], v[8:9], v[4:5]
	s_delay_alu instid0(VALU_DEP_2) | instskip(NEXT) | instid1(VALU_DEP_2)
	v_add_f64_e64 v[2:3], v[42:43], -v[2:3]
	v_add_f64_e64 v[4:5], v[44:45], -v[4:5]
	scratch_store_b128 off, v[2:5], off offset:384
	v_cmpx_lt_u32_e32 22, v0
	s_cbranch_execz .LBB110_251
; %bb.250:
	scratch_load_b128 v[5:8], off, s38
	v_dual_mov_b32 v2, v1 :: v_dual_mov_b32 v3, v1
	v_mov_b32_e32 v4, v1
	scratch_store_b128 off, v[1:4], off offset:368
	s_wait_loadcnt 0x0
	ds_store_b128 v140, v[5:8]
.LBB110_251:
	s_wait_alu 0xfffe
	s_or_b32 exec_lo, exec_lo, s0
	s_wait_storecnt_dscnt 0x0
	s_barrier_signal -1
	s_barrier_wait -1
	global_inv scope:SCOPE_SE
	s_clause 0x8
	scratch_load_b128 v[2:5], off, off offset:384
	scratch_load_b128 v[6:9], off, off offset:400
	scratch_load_b128 v[10:13], off, off offset:416
	scratch_load_b128 v[14:17], off, off offset:432
	scratch_load_b128 v[18:21], off, off offset:448
	scratch_load_b128 v[22:25], off, off offset:464
	scratch_load_b128 v[26:29], off, off offset:480
	scratch_load_b128 v[30:33], off, off offset:496
	scratch_load_b128 v[34:37], off, off offset:512
	ds_load_b128 v[38:41], v1 offset:1120
	ds_load_b128 v[42:45], v1 offset:1136
	s_clause 0x1
	scratch_load_b128 v[141:144], off, off offset:368
	scratch_load_b128 v[145:148], off, off offset:528
	s_mov_b32 s0, exec_lo
	s_wait_loadcnt_dscnt 0xa01
	v_mul_f64_e32 v[149:150], v[40:41], v[4:5]
	v_mul_f64_e32 v[4:5], v[38:39], v[4:5]
	s_wait_loadcnt_dscnt 0x900
	v_mul_f64_e32 v[153:154], v[42:43], v[8:9]
	v_mul_f64_e32 v[8:9], v[44:45], v[8:9]
	s_delay_alu instid0(VALU_DEP_4) | instskip(NEXT) | instid1(VALU_DEP_4)
	v_fma_f64 v[155:156], v[38:39], v[2:3], -v[149:150]
	v_fma_f64 v[157:158], v[40:41], v[2:3], v[4:5]
	ds_load_b128 v[2:5], v1 offset:1152
	ds_load_b128 v[149:152], v1 offset:1168
	scratch_load_b128 v[38:41], off, off offset:544
	v_fma_f64 v[44:45], v[44:45], v[6:7], v[153:154]
	v_fma_f64 v[42:43], v[42:43], v[6:7], -v[8:9]
	scratch_load_b128 v[6:9], off, off offset:560
	s_wait_loadcnt_dscnt 0xa01
	v_mul_f64_e32 v[159:160], v[2:3], v[12:13]
	v_mul_f64_e32 v[12:13], v[4:5], v[12:13]
	v_add_f64_e32 v[153:154], 0, v[155:156]
	v_add_f64_e32 v[155:156], 0, v[157:158]
	s_wait_loadcnt_dscnt 0x900
	v_mul_f64_e32 v[157:158], v[149:150], v[16:17]
	v_mul_f64_e32 v[16:17], v[151:152], v[16:17]
	v_fma_f64 v[159:160], v[4:5], v[10:11], v[159:160]
	v_fma_f64 v[161:162], v[2:3], v[10:11], -v[12:13]
	ds_load_b128 v[2:5], v1 offset:1184
	scratch_load_b128 v[10:13], off, off offset:576
	v_add_f64_e32 v[153:154], v[153:154], v[42:43]
	v_add_f64_e32 v[155:156], v[155:156], v[44:45]
	ds_load_b128 v[42:45], v1 offset:1200
	v_fma_f64 v[151:152], v[151:152], v[14:15], v[157:158]
	v_fma_f64 v[149:150], v[149:150], v[14:15], -v[16:17]
	scratch_load_b128 v[14:17], off, off offset:592
	s_wait_loadcnt_dscnt 0xa01
	v_mul_f64_e32 v[163:164], v[2:3], v[20:21]
	v_mul_f64_e32 v[20:21], v[4:5], v[20:21]
	s_wait_loadcnt_dscnt 0x900
	v_mul_f64_e32 v[157:158], v[42:43], v[24:25]
	v_mul_f64_e32 v[24:25], v[44:45], v[24:25]
	v_add_f64_e32 v[153:154], v[153:154], v[161:162]
	v_add_f64_e32 v[155:156], v[155:156], v[159:160]
	v_fma_f64 v[159:160], v[4:5], v[18:19], v[163:164]
	v_fma_f64 v[161:162], v[2:3], v[18:19], -v[20:21]
	ds_load_b128 v[2:5], v1 offset:1216
	scratch_load_b128 v[18:21], off, off offset:608
	v_fma_f64 v[44:45], v[44:45], v[22:23], v[157:158]
	v_fma_f64 v[42:43], v[42:43], v[22:23], -v[24:25]
	scratch_load_b128 v[22:25], off, off offset:624
	v_add_f64_e32 v[153:154], v[153:154], v[149:150]
	v_add_f64_e32 v[155:156], v[155:156], v[151:152]
	ds_load_b128 v[149:152], v1 offset:1232
	s_wait_loadcnt_dscnt 0xa01
	v_mul_f64_e32 v[163:164], v[2:3], v[28:29]
	v_mul_f64_e32 v[28:29], v[4:5], v[28:29]
	s_wait_loadcnt_dscnt 0x900
	v_mul_f64_e32 v[157:158], v[149:150], v[32:33]
	v_mul_f64_e32 v[32:33], v[151:152], v[32:33]
	v_add_f64_e32 v[153:154], v[153:154], v[161:162]
	v_add_f64_e32 v[155:156], v[155:156], v[159:160]
	v_fma_f64 v[159:160], v[4:5], v[26:27], v[163:164]
	v_fma_f64 v[161:162], v[2:3], v[26:27], -v[28:29]
	ds_load_b128 v[2:5], v1 offset:1248
	scratch_load_b128 v[26:29], off, off offset:640
	v_fma_f64 v[151:152], v[151:152], v[30:31], v[157:158]
	v_fma_f64 v[149:150], v[149:150], v[30:31], -v[32:33]
	scratch_load_b128 v[30:33], off, off offset:656
	v_add_f64_e32 v[153:154], v[153:154], v[42:43]
	v_add_f64_e32 v[155:156], v[155:156], v[44:45]
	ds_load_b128 v[42:45], v1 offset:1264
	s_wait_loadcnt_dscnt 0xa01
	v_mul_f64_e32 v[163:164], v[2:3], v[36:37]
	v_mul_f64_e32 v[36:37], v[4:5], v[36:37]
	s_wait_loadcnt_dscnt 0x800
	v_mul_f64_e32 v[157:158], v[42:43], v[147:148]
	v_add_f64_e32 v[153:154], v[153:154], v[161:162]
	v_add_f64_e32 v[155:156], v[155:156], v[159:160]
	v_mul_f64_e32 v[159:160], v[44:45], v[147:148]
	v_fma_f64 v[161:162], v[4:5], v[34:35], v[163:164]
	v_fma_f64 v[163:164], v[2:3], v[34:35], -v[36:37]
	ds_load_b128 v[2:5], v1 offset:1280
	scratch_load_b128 v[34:37], off, off offset:672
	v_fma_f64 v[44:45], v[44:45], v[145:146], v[157:158]
	v_add_f64_e32 v[153:154], v[153:154], v[149:150]
	v_add_f64_e32 v[151:152], v[155:156], v[151:152]
	ds_load_b128 v[147:150], v1 offset:1296
	v_fma_f64 v[145:146], v[42:43], v[145:146], -v[159:160]
	s_wait_loadcnt_dscnt 0x801
	v_mul_f64_e32 v[155:156], v[2:3], v[40:41]
	v_mul_f64_e32 v[165:166], v[4:5], v[40:41]
	scratch_load_b128 v[40:43], off, off offset:688
	s_wait_loadcnt_dscnt 0x800
	v_mul_f64_e32 v[159:160], v[147:148], v[8:9]
	v_mul_f64_e32 v[8:9], v[149:150], v[8:9]
	v_add_f64_e32 v[153:154], v[153:154], v[163:164]
	v_add_f64_e32 v[151:152], v[151:152], v[161:162]
	v_fma_f64 v[161:162], v[4:5], v[38:39], v[155:156]
	v_fma_f64 v[38:39], v[2:3], v[38:39], -v[165:166]
	ds_load_b128 v[2:5], v1 offset:1312
	ds_load_b128 v[155:158], v1 offset:1328
	v_fma_f64 v[149:150], v[149:150], v[6:7], v[159:160]
	v_fma_f64 v[147:148], v[147:148], v[6:7], -v[8:9]
	scratch_load_b128 v[6:9], off, off offset:720
	v_add_f64_e32 v[145:146], v[153:154], v[145:146]
	v_add_f64_e32 v[44:45], v[151:152], v[44:45]
	scratch_load_b128 v[151:154], off, off offset:704
	s_wait_loadcnt_dscnt 0x901
	v_mul_f64_e32 v[163:164], v[2:3], v[12:13]
	v_mul_f64_e32 v[12:13], v[4:5], v[12:13]
	s_wait_loadcnt_dscnt 0x800
	v_mul_f64_e32 v[159:160], v[155:156], v[16:17]
	v_mul_f64_e32 v[16:17], v[157:158], v[16:17]
	v_add_f64_e32 v[38:39], v[145:146], v[38:39]
	v_add_f64_e32 v[44:45], v[44:45], v[161:162]
	v_fma_f64 v[161:162], v[4:5], v[10:11], v[163:164]
	v_fma_f64 v[163:164], v[2:3], v[10:11], -v[12:13]
	ds_load_b128 v[2:5], v1 offset:1344
	scratch_load_b128 v[10:13], off, off offset:736
	v_fma_f64 v[157:158], v[157:158], v[14:15], v[159:160]
	v_fma_f64 v[155:156], v[155:156], v[14:15], -v[16:17]
	scratch_load_b128 v[14:17], off, off offset:752
	v_add_f64_e32 v[38:39], v[38:39], v[147:148]
	v_add_f64_e32 v[44:45], v[44:45], v[149:150]
	ds_load_b128 v[145:148], v1 offset:1360
	s_wait_loadcnt_dscnt 0x901
	v_mul_f64_e32 v[149:150], v[2:3], v[20:21]
	v_mul_f64_e32 v[20:21], v[4:5], v[20:21]
	s_wait_loadcnt_dscnt 0x800
	v_mul_f64_e32 v[159:160], v[145:146], v[24:25]
	v_mul_f64_e32 v[24:25], v[147:148], v[24:25]
	v_add_f64_e32 v[38:39], v[38:39], v[163:164]
	v_add_f64_e32 v[44:45], v[44:45], v[161:162]
	v_fma_f64 v[149:150], v[4:5], v[18:19], v[149:150]
	v_fma_f64 v[161:162], v[2:3], v[18:19], -v[20:21]
	ds_load_b128 v[2:5], v1 offset:1376
	ds_load_b128 v[18:21], v1 offset:1392
	v_fma_f64 v[147:148], v[147:148], v[22:23], v[159:160]
	v_fma_f64 v[22:23], v[145:146], v[22:23], -v[24:25]
	v_add_f64_e32 v[38:39], v[38:39], v[155:156]
	v_add_f64_e32 v[44:45], v[44:45], v[157:158]
	s_wait_loadcnt_dscnt 0x701
	v_mul_f64_e32 v[155:156], v[2:3], v[28:29]
	v_mul_f64_e32 v[28:29], v[4:5], v[28:29]
	s_delay_alu instid0(VALU_DEP_4) | instskip(NEXT) | instid1(VALU_DEP_4)
	v_add_f64_e32 v[24:25], v[38:39], v[161:162]
	v_add_f64_e32 v[38:39], v[44:45], v[149:150]
	s_wait_loadcnt_dscnt 0x600
	v_mul_f64_e32 v[44:45], v[18:19], v[32:33]
	v_mul_f64_e32 v[32:33], v[20:21], v[32:33]
	v_fma_f64 v[145:146], v[4:5], v[26:27], v[155:156]
	v_fma_f64 v[26:27], v[2:3], v[26:27], -v[28:29]
	v_add_f64_e32 v[28:29], v[24:25], v[22:23]
	v_add_f64_e32 v[38:39], v[38:39], v[147:148]
	ds_load_b128 v[2:5], v1 offset:1408
	ds_load_b128 v[22:25], v1 offset:1424
	v_fma_f64 v[20:21], v[20:21], v[30:31], v[44:45]
	v_fma_f64 v[18:19], v[18:19], v[30:31], -v[32:33]
	s_wait_loadcnt_dscnt 0x501
	v_mul_f64_e32 v[147:148], v[2:3], v[36:37]
	v_mul_f64_e32 v[36:37], v[4:5], v[36:37]
	s_wait_loadcnt_dscnt 0x400
	v_mul_f64_e32 v[30:31], v[22:23], v[42:43]
	v_add_f64_e32 v[26:27], v[28:29], v[26:27]
	v_add_f64_e32 v[28:29], v[38:39], v[145:146]
	v_mul_f64_e32 v[32:33], v[24:25], v[42:43]
	v_fma_f64 v[38:39], v[4:5], v[34:35], v[147:148]
	v_fma_f64 v[34:35], v[2:3], v[34:35], -v[36:37]
	v_fma_f64 v[24:25], v[24:25], v[40:41], v[30:31]
	v_add_f64_e32 v[26:27], v[26:27], v[18:19]
	v_add_f64_e32 v[28:29], v[28:29], v[20:21]
	ds_load_b128 v[2:5], v1 offset:1440
	ds_load_b128 v[18:21], v1 offset:1456
	v_fma_f64 v[22:23], v[22:23], v[40:41], -v[32:33]
	s_wait_loadcnt_dscnt 0x201
	v_mul_f64_e32 v[36:37], v[2:3], v[153:154]
	v_mul_f64_e32 v[42:43], v[4:5], v[153:154]
	s_wait_dscnt 0x0
	v_mul_f64_e32 v[30:31], v[18:19], v[8:9]
	v_mul_f64_e32 v[8:9], v[20:21], v[8:9]
	v_add_f64_e32 v[26:27], v[26:27], v[34:35]
	v_add_f64_e32 v[28:29], v[28:29], v[38:39]
	v_fma_f64 v[32:33], v[4:5], v[151:152], v[36:37]
	v_fma_f64 v[34:35], v[2:3], v[151:152], -v[42:43]
	v_fma_f64 v[20:21], v[20:21], v[6:7], v[30:31]
	v_fma_f64 v[6:7], v[18:19], v[6:7], -v[8:9]
	v_add_f64_e32 v[26:27], v[26:27], v[22:23]
	v_add_f64_e32 v[28:29], v[28:29], v[24:25]
	ds_load_b128 v[2:5], v1 offset:1472
	ds_load_b128 v[22:25], v1 offset:1488
	s_wait_loadcnt_dscnt 0x101
	v_mul_f64_e32 v[36:37], v[2:3], v[12:13]
	v_mul_f64_e32 v[12:13], v[4:5], v[12:13]
	v_add_f64_e32 v[8:9], v[26:27], v[34:35]
	v_add_f64_e32 v[18:19], v[28:29], v[32:33]
	s_wait_loadcnt_dscnt 0x0
	v_mul_f64_e32 v[26:27], v[22:23], v[16:17]
	v_mul_f64_e32 v[16:17], v[24:25], v[16:17]
	v_fma_f64 v[4:5], v[4:5], v[10:11], v[36:37]
	v_fma_f64 v[1:2], v[2:3], v[10:11], -v[12:13]
	v_add_f64_e32 v[6:7], v[8:9], v[6:7]
	v_add_f64_e32 v[8:9], v[18:19], v[20:21]
	v_fma_f64 v[10:11], v[24:25], v[14:15], v[26:27]
	v_fma_f64 v[12:13], v[22:23], v[14:15], -v[16:17]
	s_delay_alu instid0(VALU_DEP_4) | instskip(NEXT) | instid1(VALU_DEP_4)
	v_add_f64_e32 v[1:2], v[6:7], v[1:2]
	v_add_f64_e32 v[3:4], v[8:9], v[4:5]
	s_delay_alu instid0(VALU_DEP_2) | instskip(NEXT) | instid1(VALU_DEP_2)
	v_add_f64_e32 v[1:2], v[1:2], v[12:13]
	v_add_f64_e32 v[3:4], v[3:4], v[10:11]
	s_delay_alu instid0(VALU_DEP_2) | instskip(NEXT) | instid1(VALU_DEP_2)
	v_add_f64_e64 v[1:2], v[141:142], -v[1:2]
	v_add_f64_e64 v[3:4], v[143:144], -v[3:4]
	scratch_store_b128 off, v[1:4], off offset:368
	v_cmpx_lt_u32_e32 21, v0
	s_cbranch_execz .LBB110_253
; %bb.252:
	scratch_load_b128 v[1:4], off, s39
	v_mov_b32_e32 v5, 0
	s_delay_alu instid0(VALU_DEP_1)
	v_dual_mov_b32 v6, v5 :: v_dual_mov_b32 v7, v5
	v_mov_b32_e32 v8, v5
	scratch_store_b128 off, v[5:8], off offset:352
	s_wait_loadcnt 0x0
	ds_store_b128 v140, v[1:4]
.LBB110_253:
	s_wait_alu 0xfffe
	s_or_b32 exec_lo, exec_lo, s0
	s_wait_storecnt_dscnt 0x0
	s_barrier_signal -1
	s_barrier_wait -1
	global_inv scope:SCOPE_SE
	s_clause 0x7
	scratch_load_b128 v[2:5], off, off offset:368
	scratch_load_b128 v[6:9], off, off offset:384
	;; [unrolled: 1-line block ×8, first 2 shown]
	v_mov_b32_e32 v1, 0
	s_mov_b32 s0, exec_lo
	ds_load_b128 v[34:37], v1 offset:1104
	s_clause 0x1
	scratch_load_b128 v[38:41], off, off offset:496
	scratch_load_b128 v[42:45], off, off offset:352
	ds_load_b128 v[141:144], v1 offset:1120
	scratch_load_b128 v[145:148], off, off offset:512
	s_wait_loadcnt_dscnt 0xa01
	v_mul_f64_e32 v[149:150], v[36:37], v[4:5]
	v_mul_f64_e32 v[4:5], v[34:35], v[4:5]
	s_delay_alu instid0(VALU_DEP_2) | instskip(NEXT) | instid1(VALU_DEP_2)
	v_fma_f64 v[155:156], v[34:35], v[2:3], -v[149:150]
	v_fma_f64 v[157:158], v[36:37], v[2:3], v[4:5]
	ds_load_b128 v[2:5], v1 offset:1136
	s_wait_loadcnt_dscnt 0x901
	v_mul_f64_e32 v[153:154], v[141:142], v[8:9]
	v_mul_f64_e32 v[8:9], v[143:144], v[8:9]
	scratch_load_b128 v[34:37], off, off offset:528
	ds_load_b128 v[149:152], v1 offset:1152
	s_wait_loadcnt_dscnt 0x901
	v_mul_f64_e32 v[159:160], v[2:3], v[12:13]
	v_mul_f64_e32 v[12:13], v[4:5], v[12:13]
	v_fma_f64 v[143:144], v[143:144], v[6:7], v[153:154]
	v_fma_f64 v[141:142], v[141:142], v[6:7], -v[8:9]
	v_add_f64_e32 v[153:154], 0, v[155:156]
	v_add_f64_e32 v[155:156], 0, v[157:158]
	scratch_load_b128 v[6:9], off, off offset:544
	v_fma_f64 v[159:160], v[4:5], v[10:11], v[159:160]
	v_fma_f64 v[161:162], v[2:3], v[10:11], -v[12:13]
	ds_load_b128 v[2:5], v1 offset:1168
	s_wait_loadcnt_dscnt 0x901
	v_mul_f64_e32 v[157:158], v[149:150], v[16:17]
	v_mul_f64_e32 v[16:17], v[151:152], v[16:17]
	scratch_load_b128 v[10:13], off, off offset:560
	v_add_f64_e32 v[153:154], v[153:154], v[141:142]
	v_add_f64_e32 v[155:156], v[155:156], v[143:144]
	s_wait_loadcnt_dscnt 0x900
	v_mul_f64_e32 v[163:164], v[2:3], v[20:21]
	v_mul_f64_e32 v[20:21], v[4:5], v[20:21]
	ds_load_b128 v[141:144], v1 offset:1184
	v_fma_f64 v[151:152], v[151:152], v[14:15], v[157:158]
	v_fma_f64 v[149:150], v[149:150], v[14:15], -v[16:17]
	scratch_load_b128 v[14:17], off, off offset:576
	v_add_f64_e32 v[153:154], v[153:154], v[161:162]
	v_add_f64_e32 v[155:156], v[155:156], v[159:160]
	v_fma_f64 v[159:160], v[4:5], v[18:19], v[163:164]
	v_fma_f64 v[161:162], v[2:3], v[18:19], -v[20:21]
	ds_load_b128 v[2:5], v1 offset:1200
	s_wait_loadcnt_dscnt 0x901
	v_mul_f64_e32 v[157:158], v[141:142], v[24:25]
	v_mul_f64_e32 v[24:25], v[143:144], v[24:25]
	scratch_load_b128 v[18:21], off, off offset:592
	s_wait_loadcnt_dscnt 0x900
	v_mul_f64_e32 v[163:164], v[2:3], v[28:29]
	v_mul_f64_e32 v[28:29], v[4:5], v[28:29]
	v_add_f64_e32 v[153:154], v[153:154], v[149:150]
	v_add_f64_e32 v[155:156], v[155:156], v[151:152]
	ds_load_b128 v[149:152], v1 offset:1216
	v_fma_f64 v[143:144], v[143:144], v[22:23], v[157:158]
	v_fma_f64 v[141:142], v[141:142], v[22:23], -v[24:25]
	scratch_load_b128 v[22:25], off, off offset:608
	v_add_f64_e32 v[153:154], v[153:154], v[161:162]
	v_add_f64_e32 v[155:156], v[155:156], v[159:160]
	v_fma_f64 v[159:160], v[4:5], v[26:27], v[163:164]
	v_fma_f64 v[161:162], v[2:3], v[26:27], -v[28:29]
	ds_load_b128 v[2:5], v1 offset:1232
	s_wait_loadcnt_dscnt 0x901
	v_mul_f64_e32 v[157:158], v[149:150], v[32:33]
	v_mul_f64_e32 v[32:33], v[151:152], v[32:33]
	scratch_load_b128 v[26:29], off, off offset:624
	s_wait_loadcnt_dscnt 0x900
	v_mul_f64_e32 v[163:164], v[2:3], v[40:41]
	v_mul_f64_e32 v[40:41], v[4:5], v[40:41]
	v_add_f64_e32 v[153:154], v[153:154], v[141:142]
	v_add_f64_e32 v[155:156], v[155:156], v[143:144]
	ds_load_b128 v[141:144], v1 offset:1248
	v_fma_f64 v[151:152], v[151:152], v[30:31], v[157:158]
	v_fma_f64 v[149:150], v[149:150], v[30:31], -v[32:33]
	scratch_load_b128 v[30:33], off, off offset:640
	v_add_f64_e32 v[153:154], v[153:154], v[161:162]
	v_add_f64_e32 v[155:156], v[155:156], v[159:160]
	v_fma_f64 v[161:162], v[4:5], v[38:39], v[163:164]
	v_fma_f64 v[163:164], v[2:3], v[38:39], -v[40:41]
	ds_load_b128 v[2:5], v1 offset:1264
	s_wait_loadcnt_dscnt 0x801
	v_mul_f64_e32 v[157:158], v[141:142], v[147:148]
	v_mul_f64_e32 v[159:160], v[143:144], v[147:148]
	scratch_load_b128 v[38:41], off, off offset:656
	v_add_f64_e32 v[153:154], v[153:154], v[149:150]
	v_add_f64_e32 v[151:152], v[155:156], v[151:152]
	ds_load_b128 v[147:150], v1 offset:1280
	v_fma_f64 v[157:158], v[143:144], v[145:146], v[157:158]
	v_fma_f64 v[145:146], v[141:142], v[145:146], -v[159:160]
	scratch_load_b128 v[141:144], off, off offset:672
	s_wait_loadcnt_dscnt 0x901
	v_mul_f64_e32 v[155:156], v[2:3], v[36:37]
	v_mul_f64_e32 v[36:37], v[4:5], v[36:37]
	v_add_f64_e32 v[153:154], v[153:154], v[163:164]
	v_add_f64_e32 v[151:152], v[151:152], v[161:162]
	s_delay_alu instid0(VALU_DEP_4) | instskip(NEXT) | instid1(VALU_DEP_4)
	v_fma_f64 v[155:156], v[4:5], v[34:35], v[155:156]
	v_fma_f64 v[161:162], v[2:3], v[34:35], -v[36:37]
	ds_load_b128 v[2:5], v1 offset:1296
	s_wait_loadcnt_dscnt 0x801
	v_mul_f64_e32 v[159:160], v[147:148], v[8:9]
	v_mul_f64_e32 v[8:9], v[149:150], v[8:9]
	scratch_load_b128 v[34:37], off, off offset:688
	s_wait_loadcnt_dscnt 0x800
	v_mul_f64_e32 v[163:164], v[2:3], v[12:13]
	v_add_f64_e32 v[145:146], v[153:154], v[145:146]
	v_add_f64_e32 v[157:158], v[151:152], v[157:158]
	v_mul_f64_e32 v[12:13], v[4:5], v[12:13]
	ds_load_b128 v[151:154], v1 offset:1312
	v_fma_f64 v[149:150], v[149:150], v[6:7], v[159:160]
	v_fma_f64 v[147:148], v[147:148], v[6:7], -v[8:9]
	scratch_load_b128 v[6:9], off, off offset:704
	v_fma_f64 v[159:160], v[4:5], v[10:11], v[163:164]
	v_add_f64_e32 v[145:146], v[145:146], v[161:162]
	v_add_f64_e32 v[155:156], v[157:158], v[155:156]
	v_fma_f64 v[161:162], v[2:3], v[10:11], -v[12:13]
	ds_load_b128 v[2:5], v1 offset:1328
	s_wait_loadcnt_dscnt 0x801
	v_mul_f64_e32 v[157:158], v[151:152], v[16:17]
	v_mul_f64_e32 v[16:17], v[153:154], v[16:17]
	scratch_load_b128 v[10:13], off, off offset:720
	v_add_f64_e32 v[163:164], v[145:146], v[147:148]
	v_add_f64_e32 v[149:150], v[155:156], v[149:150]
	s_wait_loadcnt_dscnt 0x800
	v_mul_f64_e32 v[155:156], v[2:3], v[20:21]
	v_mul_f64_e32 v[20:21], v[4:5], v[20:21]
	v_fma_f64 v[153:154], v[153:154], v[14:15], v[157:158]
	v_fma_f64 v[151:152], v[151:152], v[14:15], -v[16:17]
	ds_load_b128 v[145:148], v1 offset:1344
	scratch_load_b128 v[14:17], off, off offset:736
	v_add_f64_e32 v[157:158], v[163:164], v[161:162]
	v_add_f64_e32 v[149:150], v[149:150], v[159:160]
	v_fma_f64 v[155:156], v[4:5], v[18:19], v[155:156]
	v_fma_f64 v[161:162], v[2:3], v[18:19], -v[20:21]
	ds_load_b128 v[2:5], v1 offset:1360
	s_wait_loadcnt_dscnt 0x801
	v_mul_f64_e32 v[159:160], v[145:146], v[24:25]
	v_mul_f64_e32 v[24:25], v[147:148], v[24:25]
	scratch_load_b128 v[18:21], off, off offset:752
	s_wait_loadcnt_dscnt 0x800
	v_mul_f64_e32 v[163:164], v[2:3], v[28:29]
	v_mul_f64_e32 v[28:29], v[4:5], v[28:29]
	v_add_f64_e32 v[157:158], v[157:158], v[151:152]
	v_add_f64_e32 v[153:154], v[149:150], v[153:154]
	ds_load_b128 v[149:152], v1 offset:1376
	v_fma_f64 v[147:148], v[147:148], v[22:23], v[159:160]
	v_fma_f64 v[22:23], v[145:146], v[22:23], -v[24:25]
	v_add_f64_e32 v[24:25], v[157:158], v[161:162]
	v_add_f64_e32 v[145:146], v[153:154], v[155:156]
	s_wait_loadcnt_dscnt 0x700
	v_mul_f64_e32 v[153:154], v[149:150], v[32:33]
	v_mul_f64_e32 v[32:33], v[151:152], v[32:33]
	v_fma_f64 v[155:156], v[4:5], v[26:27], v[163:164]
	v_fma_f64 v[26:27], v[2:3], v[26:27], -v[28:29]
	v_add_f64_e32 v[28:29], v[24:25], v[22:23]
	v_add_f64_e32 v[145:146], v[145:146], v[147:148]
	ds_load_b128 v[2:5], v1 offset:1392
	ds_load_b128 v[22:25], v1 offset:1408
	v_fma_f64 v[151:152], v[151:152], v[30:31], v[153:154]
	v_fma_f64 v[30:31], v[149:150], v[30:31], -v[32:33]
	s_wait_loadcnt_dscnt 0x601
	v_mul_f64_e32 v[147:148], v[2:3], v[40:41]
	v_mul_f64_e32 v[40:41], v[4:5], v[40:41]
	s_wait_loadcnt_dscnt 0x500
	v_mul_f64_e32 v[32:33], v[22:23], v[143:144]
	v_mul_f64_e32 v[143:144], v[24:25], v[143:144]
	v_add_f64_e32 v[26:27], v[28:29], v[26:27]
	v_add_f64_e32 v[28:29], v[145:146], v[155:156]
	v_fma_f64 v[145:146], v[4:5], v[38:39], v[147:148]
	v_fma_f64 v[38:39], v[2:3], v[38:39], -v[40:41]
	v_fma_f64 v[24:25], v[24:25], v[141:142], v[32:33]
	v_fma_f64 v[22:23], v[22:23], v[141:142], -v[143:144]
	v_add_f64_e32 v[30:31], v[26:27], v[30:31]
	v_add_f64_e32 v[40:41], v[28:29], v[151:152]
	ds_load_b128 v[2:5], v1 offset:1424
	ds_load_b128 v[26:29], v1 offset:1440
	s_wait_loadcnt_dscnt 0x401
	v_mul_f64_e32 v[147:148], v[2:3], v[36:37]
	v_mul_f64_e32 v[36:37], v[4:5], v[36:37]
	v_add_f64_e32 v[30:31], v[30:31], v[38:39]
	v_add_f64_e32 v[32:33], v[40:41], v[145:146]
	s_wait_loadcnt_dscnt 0x300
	v_mul_f64_e32 v[38:39], v[26:27], v[8:9]
	v_mul_f64_e32 v[8:9], v[28:29], v[8:9]
	v_fma_f64 v[40:41], v[4:5], v[34:35], v[147:148]
	v_fma_f64 v[34:35], v[2:3], v[34:35], -v[36:37]
	v_add_f64_e32 v[30:31], v[30:31], v[22:23]
	v_add_f64_e32 v[32:33], v[32:33], v[24:25]
	ds_load_b128 v[2:5], v1 offset:1456
	ds_load_b128 v[22:25], v1 offset:1472
	v_fma_f64 v[28:29], v[28:29], v[6:7], v[38:39]
	v_fma_f64 v[6:7], v[26:27], v[6:7], -v[8:9]
	s_wait_loadcnt_dscnt 0x201
	v_mul_f64_e32 v[36:37], v[2:3], v[12:13]
	v_mul_f64_e32 v[12:13], v[4:5], v[12:13]
	v_add_f64_e32 v[8:9], v[30:31], v[34:35]
	v_add_f64_e32 v[26:27], v[32:33], v[40:41]
	s_wait_loadcnt_dscnt 0x100
	v_mul_f64_e32 v[30:31], v[22:23], v[16:17]
	v_mul_f64_e32 v[16:17], v[24:25], v[16:17]
	v_fma_f64 v[32:33], v[4:5], v[10:11], v[36:37]
	v_fma_f64 v[10:11], v[2:3], v[10:11], -v[12:13]
	ds_load_b128 v[2:5], v1 offset:1488
	v_add_f64_e32 v[6:7], v[8:9], v[6:7]
	v_add_f64_e32 v[8:9], v[26:27], v[28:29]
	v_fma_f64 v[24:25], v[24:25], v[14:15], v[30:31]
	v_fma_f64 v[14:15], v[22:23], v[14:15], -v[16:17]
	s_wait_loadcnt_dscnt 0x0
	v_mul_f64_e32 v[12:13], v[2:3], v[20:21]
	v_mul_f64_e32 v[20:21], v[4:5], v[20:21]
	v_add_f64_e32 v[6:7], v[6:7], v[10:11]
	v_add_f64_e32 v[8:9], v[8:9], v[32:33]
	s_delay_alu instid0(VALU_DEP_4) | instskip(NEXT) | instid1(VALU_DEP_4)
	v_fma_f64 v[4:5], v[4:5], v[18:19], v[12:13]
	v_fma_f64 v[2:3], v[2:3], v[18:19], -v[20:21]
	s_delay_alu instid0(VALU_DEP_4) | instskip(NEXT) | instid1(VALU_DEP_4)
	v_add_f64_e32 v[6:7], v[6:7], v[14:15]
	v_add_f64_e32 v[8:9], v[8:9], v[24:25]
	s_delay_alu instid0(VALU_DEP_2) | instskip(NEXT) | instid1(VALU_DEP_2)
	v_add_f64_e32 v[2:3], v[6:7], v[2:3]
	v_add_f64_e32 v[4:5], v[8:9], v[4:5]
	s_delay_alu instid0(VALU_DEP_2) | instskip(NEXT) | instid1(VALU_DEP_2)
	v_add_f64_e64 v[2:3], v[42:43], -v[2:3]
	v_add_f64_e64 v[4:5], v[44:45], -v[4:5]
	scratch_store_b128 off, v[2:5], off offset:352
	v_cmpx_lt_u32_e32 20, v0
	s_cbranch_execz .LBB110_255
; %bb.254:
	scratch_load_b128 v[5:8], off, s40
	v_dual_mov_b32 v2, v1 :: v_dual_mov_b32 v3, v1
	v_mov_b32_e32 v4, v1
	scratch_store_b128 off, v[1:4], off offset:336
	s_wait_loadcnt 0x0
	ds_store_b128 v140, v[5:8]
.LBB110_255:
	s_wait_alu 0xfffe
	s_or_b32 exec_lo, exec_lo, s0
	s_wait_storecnt_dscnt 0x0
	s_barrier_signal -1
	s_barrier_wait -1
	global_inv scope:SCOPE_SE
	s_clause 0x8
	scratch_load_b128 v[2:5], off, off offset:352
	scratch_load_b128 v[6:9], off, off offset:368
	scratch_load_b128 v[10:13], off, off offset:384
	scratch_load_b128 v[14:17], off, off offset:400
	scratch_load_b128 v[18:21], off, off offset:416
	scratch_load_b128 v[22:25], off, off offset:432
	scratch_load_b128 v[26:29], off, off offset:448
	scratch_load_b128 v[30:33], off, off offset:464
	scratch_load_b128 v[34:37], off, off offset:480
	ds_load_b128 v[38:41], v1 offset:1088
	ds_load_b128 v[42:45], v1 offset:1104
	s_clause 0x1
	scratch_load_b128 v[141:144], off, off offset:336
	scratch_load_b128 v[145:148], off, off offset:496
	s_mov_b32 s0, exec_lo
	s_wait_loadcnt_dscnt 0xa01
	v_mul_f64_e32 v[149:150], v[40:41], v[4:5]
	v_mul_f64_e32 v[4:5], v[38:39], v[4:5]
	s_wait_loadcnt_dscnt 0x900
	v_mul_f64_e32 v[153:154], v[42:43], v[8:9]
	v_mul_f64_e32 v[8:9], v[44:45], v[8:9]
	s_delay_alu instid0(VALU_DEP_4) | instskip(NEXT) | instid1(VALU_DEP_4)
	v_fma_f64 v[155:156], v[38:39], v[2:3], -v[149:150]
	v_fma_f64 v[157:158], v[40:41], v[2:3], v[4:5]
	ds_load_b128 v[2:5], v1 offset:1120
	ds_load_b128 v[149:152], v1 offset:1136
	scratch_load_b128 v[38:41], off, off offset:512
	v_fma_f64 v[44:45], v[44:45], v[6:7], v[153:154]
	v_fma_f64 v[42:43], v[42:43], v[6:7], -v[8:9]
	scratch_load_b128 v[6:9], off, off offset:528
	s_wait_loadcnt_dscnt 0xa01
	v_mul_f64_e32 v[159:160], v[2:3], v[12:13]
	v_mul_f64_e32 v[12:13], v[4:5], v[12:13]
	v_add_f64_e32 v[153:154], 0, v[155:156]
	v_add_f64_e32 v[155:156], 0, v[157:158]
	s_wait_loadcnt_dscnt 0x900
	v_mul_f64_e32 v[157:158], v[149:150], v[16:17]
	v_mul_f64_e32 v[16:17], v[151:152], v[16:17]
	v_fma_f64 v[159:160], v[4:5], v[10:11], v[159:160]
	v_fma_f64 v[161:162], v[2:3], v[10:11], -v[12:13]
	ds_load_b128 v[2:5], v1 offset:1152
	scratch_load_b128 v[10:13], off, off offset:544
	v_add_f64_e32 v[153:154], v[153:154], v[42:43]
	v_add_f64_e32 v[155:156], v[155:156], v[44:45]
	ds_load_b128 v[42:45], v1 offset:1168
	v_fma_f64 v[151:152], v[151:152], v[14:15], v[157:158]
	v_fma_f64 v[149:150], v[149:150], v[14:15], -v[16:17]
	scratch_load_b128 v[14:17], off, off offset:560
	s_wait_loadcnt_dscnt 0xa01
	v_mul_f64_e32 v[163:164], v[2:3], v[20:21]
	v_mul_f64_e32 v[20:21], v[4:5], v[20:21]
	s_wait_loadcnt_dscnt 0x900
	v_mul_f64_e32 v[157:158], v[42:43], v[24:25]
	v_mul_f64_e32 v[24:25], v[44:45], v[24:25]
	v_add_f64_e32 v[153:154], v[153:154], v[161:162]
	v_add_f64_e32 v[155:156], v[155:156], v[159:160]
	v_fma_f64 v[159:160], v[4:5], v[18:19], v[163:164]
	v_fma_f64 v[161:162], v[2:3], v[18:19], -v[20:21]
	ds_load_b128 v[2:5], v1 offset:1184
	scratch_load_b128 v[18:21], off, off offset:576
	v_fma_f64 v[44:45], v[44:45], v[22:23], v[157:158]
	v_fma_f64 v[42:43], v[42:43], v[22:23], -v[24:25]
	scratch_load_b128 v[22:25], off, off offset:592
	v_add_f64_e32 v[153:154], v[153:154], v[149:150]
	v_add_f64_e32 v[155:156], v[155:156], v[151:152]
	ds_load_b128 v[149:152], v1 offset:1200
	s_wait_loadcnt_dscnt 0xa01
	v_mul_f64_e32 v[163:164], v[2:3], v[28:29]
	v_mul_f64_e32 v[28:29], v[4:5], v[28:29]
	s_wait_loadcnt_dscnt 0x900
	v_mul_f64_e32 v[157:158], v[149:150], v[32:33]
	v_mul_f64_e32 v[32:33], v[151:152], v[32:33]
	v_add_f64_e32 v[153:154], v[153:154], v[161:162]
	v_add_f64_e32 v[155:156], v[155:156], v[159:160]
	v_fma_f64 v[159:160], v[4:5], v[26:27], v[163:164]
	v_fma_f64 v[161:162], v[2:3], v[26:27], -v[28:29]
	ds_load_b128 v[2:5], v1 offset:1216
	scratch_load_b128 v[26:29], off, off offset:608
	v_fma_f64 v[151:152], v[151:152], v[30:31], v[157:158]
	v_fma_f64 v[149:150], v[149:150], v[30:31], -v[32:33]
	scratch_load_b128 v[30:33], off, off offset:624
	v_add_f64_e32 v[153:154], v[153:154], v[42:43]
	v_add_f64_e32 v[155:156], v[155:156], v[44:45]
	ds_load_b128 v[42:45], v1 offset:1232
	s_wait_loadcnt_dscnt 0xa01
	v_mul_f64_e32 v[163:164], v[2:3], v[36:37]
	v_mul_f64_e32 v[36:37], v[4:5], v[36:37]
	s_wait_loadcnt_dscnt 0x800
	v_mul_f64_e32 v[157:158], v[42:43], v[147:148]
	v_add_f64_e32 v[153:154], v[153:154], v[161:162]
	v_add_f64_e32 v[155:156], v[155:156], v[159:160]
	v_mul_f64_e32 v[159:160], v[44:45], v[147:148]
	v_fma_f64 v[161:162], v[4:5], v[34:35], v[163:164]
	v_fma_f64 v[163:164], v[2:3], v[34:35], -v[36:37]
	ds_load_b128 v[2:5], v1 offset:1248
	scratch_load_b128 v[34:37], off, off offset:640
	v_fma_f64 v[44:45], v[44:45], v[145:146], v[157:158]
	v_add_f64_e32 v[153:154], v[153:154], v[149:150]
	v_add_f64_e32 v[151:152], v[155:156], v[151:152]
	ds_load_b128 v[147:150], v1 offset:1264
	v_fma_f64 v[145:146], v[42:43], v[145:146], -v[159:160]
	s_wait_loadcnt_dscnt 0x801
	v_mul_f64_e32 v[155:156], v[2:3], v[40:41]
	v_mul_f64_e32 v[165:166], v[4:5], v[40:41]
	scratch_load_b128 v[40:43], off, off offset:656
	s_wait_loadcnt_dscnt 0x800
	v_mul_f64_e32 v[159:160], v[147:148], v[8:9]
	v_mul_f64_e32 v[8:9], v[149:150], v[8:9]
	v_add_f64_e32 v[153:154], v[153:154], v[163:164]
	v_add_f64_e32 v[151:152], v[151:152], v[161:162]
	v_fma_f64 v[161:162], v[4:5], v[38:39], v[155:156]
	v_fma_f64 v[38:39], v[2:3], v[38:39], -v[165:166]
	ds_load_b128 v[2:5], v1 offset:1280
	ds_load_b128 v[155:158], v1 offset:1296
	v_fma_f64 v[149:150], v[149:150], v[6:7], v[159:160]
	v_fma_f64 v[147:148], v[147:148], v[6:7], -v[8:9]
	scratch_load_b128 v[6:9], off, off offset:688
	v_add_f64_e32 v[145:146], v[153:154], v[145:146]
	v_add_f64_e32 v[44:45], v[151:152], v[44:45]
	scratch_load_b128 v[151:154], off, off offset:672
	s_wait_loadcnt_dscnt 0x901
	v_mul_f64_e32 v[163:164], v[2:3], v[12:13]
	v_mul_f64_e32 v[12:13], v[4:5], v[12:13]
	s_wait_loadcnt_dscnt 0x800
	v_mul_f64_e32 v[159:160], v[155:156], v[16:17]
	v_mul_f64_e32 v[16:17], v[157:158], v[16:17]
	v_add_f64_e32 v[38:39], v[145:146], v[38:39]
	v_add_f64_e32 v[44:45], v[44:45], v[161:162]
	v_fma_f64 v[161:162], v[4:5], v[10:11], v[163:164]
	v_fma_f64 v[163:164], v[2:3], v[10:11], -v[12:13]
	ds_load_b128 v[2:5], v1 offset:1312
	scratch_load_b128 v[10:13], off, off offset:704
	v_fma_f64 v[157:158], v[157:158], v[14:15], v[159:160]
	v_fma_f64 v[155:156], v[155:156], v[14:15], -v[16:17]
	scratch_load_b128 v[14:17], off, off offset:720
	v_add_f64_e32 v[38:39], v[38:39], v[147:148]
	v_add_f64_e32 v[44:45], v[44:45], v[149:150]
	ds_load_b128 v[145:148], v1 offset:1328
	s_wait_loadcnt_dscnt 0x901
	v_mul_f64_e32 v[149:150], v[2:3], v[20:21]
	v_mul_f64_e32 v[20:21], v[4:5], v[20:21]
	s_wait_loadcnt_dscnt 0x800
	v_mul_f64_e32 v[159:160], v[145:146], v[24:25]
	v_mul_f64_e32 v[24:25], v[147:148], v[24:25]
	v_add_f64_e32 v[38:39], v[38:39], v[163:164]
	v_add_f64_e32 v[44:45], v[44:45], v[161:162]
	v_fma_f64 v[149:150], v[4:5], v[18:19], v[149:150]
	v_fma_f64 v[161:162], v[2:3], v[18:19], -v[20:21]
	ds_load_b128 v[2:5], v1 offset:1344
	scratch_load_b128 v[18:21], off, off offset:736
	v_fma_f64 v[147:148], v[147:148], v[22:23], v[159:160]
	v_fma_f64 v[145:146], v[145:146], v[22:23], -v[24:25]
	scratch_load_b128 v[22:25], off, off offset:752
	v_add_f64_e32 v[38:39], v[38:39], v[155:156]
	v_add_f64_e32 v[44:45], v[44:45], v[157:158]
	ds_load_b128 v[155:158], v1 offset:1360
	s_wait_loadcnt_dscnt 0x901
	v_mul_f64_e32 v[163:164], v[2:3], v[28:29]
	v_mul_f64_e32 v[28:29], v[4:5], v[28:29]
	v_add_f64_e32 v[38:39], v[38:39], v[161:162]
	v_add_f64_e32 v[44:45], v[44:45], v[149:150]
	s_wait_loadcnt_dscnt 0x800
	v_mul_f64_e32 v[149:150], v[155:156], v[32:33]
	v_mul_f64_e32 v[32:33], v[157:158], v[32:33]
	v_fma_f64 v[159:160], v[4:5], v[26:27], v[163:164]
	v_fma_f64 v[161:162], v[2:3], v[26:27], -v[28:29]
	ds_load_b128 v[2:5], v1 offset:1376
	ds_load_b128 v[26:29], v1 offset:1392
	v_add_f64_e32 v[38:39], v[38:39], v[145:146]
	v_add_f64_e32 v[44:45], v[44:45], v[147:148]
	s_wait_loadcnt_dscnt 0x701
	v_mul_f64_e32 v[145:146], v[2:3], v[36:37]
	v_mul_f64_e32 v[36:37], v[4:5], v[36:37]
	v_fma_f64 v[147:148], v[157:158], v[30:31], v[149:150]
	v_fma_f64 v[30:31], v[155:156], v[30:31], -v[32:33]
	v_add_f64_e32 v[32:33], v[38:39], v[161:162]
	v_add_f64_e32 v[38:39], v[44:45], v[159:160]
	s_wait_loadcnt_dscnt 0x600
	v_mul_f64_e32 v[44:45], v[26:27], v[42:43]
	v_mul_f64_e32 v[42:43], v[28:29], v[42:43]
	v_fma_f64 v[145:146], v[4:5], v[34:35], v[145:146]
	v_fma_f64 v[34:35], v[2:3], v[34:35], -v[36:37]
	v_add_f64_e32 v[36:37], v[32:33], v[30:31]
	v_add_f64_e32 v[38:39], v[38:39], v[147:148]
	ds_load_b128 v[2:5], v1 offset:1408
	ds_load_b128 v[30:33], v1 offset:1424
	v_fma_f64 v[28:29], v[28:29], v[40:41], v[44:45]
	v_fma_f64 v[26:27], v[26:27], v[40:41], -v[42:43]
	s_wait_loadcnt_dscnt 0x401
	v_mul_f64_e32 v[147:148], v[2:3], v[153:154]
	v_mul_f64_e32 v[149:150], v[4:5], v[153:154]
	v_add_f64_e32 v[34:35], v[36:37], v[34:35]
	v_add_f64_e32 v[36:37], v[38:39], v[145:146]
	s_wait_dscnt 0x0
	v_mul_f64_e32 v[38:39], v[30:31], v[8:9]
	v_mul_f64_e32 v[8:9], v[32:33], v[8:9]
	v_fma_f64 v[40:41], v[4:5], v[151:152], v[147:148]
	v_fma_f64 v[42:43], v[2:3], v[151:152], -v[149:150]
	v_add_f64_e32 v[34:35], v[34:35], v[26:27]
	v_add_f64_e32 v[36:37], v[36:37], v[28:29]
	ds_load_b128 v[2:5], v1 offset:1440
	ds_load_b128 v[26:29], v1 offset:1456
	v_fma_f64 v[32:33], v[32:33], v[6:7], v[38:39]
	v_fma_f64 v[6:7], v[30:31], v[6:7], -v[8:9]
	s_wait_loadcnt_dscnt 0x301
	v_mul_f64_e32 v[44:45], v[2:3], v[12:13]
	v_mul_f64_e32 v[12:13], v[4:5], v[12:13]
	v_add_f64_e32 v[8:9], v[34:35], v[42:43]
	v_add_f64_e32 v[30:31], v[36:37], v[40:41]
	s_wait_loadcnt_dscnt 0x200
	v_mul_f64_e32 v[34:35], v[26:27], v[16:17]
	v_mul_f64_e32 v[16:17], v[28:29], v[16:17]
	v_fma_f64 v[36:37], v[4:5], v[10:11], v[44:45]
	v_fma_f64 v[10:11], v[2:3], v[10:11], -v[12:13]
	v_add_f64_e32 v[12:13], v[8:9], v[6:7]
	v_add_f64_e32 v[30:31], v[30:31], v[32:33]
	ds_load_b128 v[2:5], v1 offset:1472
	ds_load_b128 v[6:9], v1 offset:1488
	v_fma_f64 v[28:29], v[28:29], v[14:15], v[34:35]
	v_fma_f64 v[14:15], v[26:27], v[14:15], -v[16:17]
	s_wait_loadcnt_dscnt 0x101
	v_mul_f64_e32 v[32:33], v[2:3], v[20:21]
	v_mul_f64_e32 v[20:21], v[4:5], v[20:21]
	s_wait_loadcnt_dscnt 0x0
	v_mul_f64_e32 v[16:17], v[6:7], v[24:25]
	v_mul_f64_e32 v[24:25], v[8:9], v[24:25]
	v_add_f64_e32 v[10:11], v[12:13], v[10:11]
	v_add_f64_e32 v[12:13], v[30:31], v[36:37]
	v_fma_f64 v[4:5], v[4:5], v[18:19], v[32:33]
	v_fma_f64 v[1:2], v[2:3], v[18:19], -v[20:21]
	v_fma_f64 v[8:9], v[8:9], v[22:23], v[16:17]
	v_fma_f64 v[6:7], v[6:7], v[22:23], -v[24:25]
	v_add_f64_e32 v[10:11], v[10:11], v[14:15]
	v_add_f64_e32 v[12:13], v[12:13], v[28:29]
	s_delay_alu instid0(VALU_DEP_2) | instskip(NEXT) | instid1(VALU_DEP_2)
	v_add_f64_e32 v[1:2], v[10:11], v[1:2]
	v_add_f64_e32 v[3:4], v[12:13], v[4:5]
	s_delay_alu instid0(VALU_DEP_2) | instskip(NEXT) | instid1(VALU_DEP_2)
	;; [unrolled: 3-line block ×3, first 2 shown]
	v_add_f64_e64 v[1:2], v[141:142], -v[1:2]
	v_add_f64_e64 v[3:4], v[143:144], -v[3:4]
	scratch_store_b128 off, v[1:4], off offset:336
	v_cmpx_lt_u32_e32 19, v0
	s_cbranch_execz .LBB110_257
; %bb.256:
	scratch_load_b128 v[1:4], off, s41
	v_mov_b32_e32 v5, 0
	s_delay_alu instid0(VALU_DEP_1)
	v_dual_mov_b32 v6, v5 :: v_dual_mov_b32 v7, v5
	v_mov_b32_e32 v8, v5
	scratch_store_b128 off, v[5:8], off offset:320
	s_wait_loadcnt 0x0
	ds_store_b128 v140, v[1:4]
.LBB110_257:
	s_wait_alu 0xfffe
	s_or_b32 exec_lo, exec_lo, s0
	s_wait_storecnt_dscnt 0x0
	s_barrier_signal -1
	s_barrier_wait -1
	global_inv scope:SCOPE_SE
	s_clause 0x7
	scratch_load_b128 v[2:5], off, off offset:336
	scratch_load_b128 v[6:9], off, off offset:352
	;; [unrolled: 1-line block ×8, first 2 shown]
	v_mov_b32_e32 v1, 0
	s_mov_b32 s0, exec_lo
	ds_load_b128 v[34:37], v1 offset:1072
	s_clause 0x1
	scratch_load_b128 v[38:41], off, off offset:464
	scratch_load_b128 v[42:45], off, off offset:320
	ds_load_b128 v[141:144], v1 offset:1088
	scratch_load_b128 v[145:148], off, off offset:480
	s_wait_loadcnt_dscnt 0xa01
	v_mul_f64_e32 v[149:150], v[36:37], v[4:5]
	v_mul_f64_e32 v[4:5], v[34:35], v[4:5]
	s_delay_alu instid0(VALU_DEP_2) | instskip(NEXT) | instid1(VALU_DEP_2)
	v_fma_f64 v[155:156], v[34:35], v[2:3], -v[149:150]
	v_fma_f64 v[157:158], v[36:37], v[2:3], v[4:5]
	ds_load_b128 v[2:5], v1 offset:1104
	s_wait_loadcnt_dscnt 0x901
	v_mul_f64_e32 v[153:154], v[141:142], v[8:9]
	v_mul_f64_e32 v[8:9], v[143:144], v[8:9]
	scratch_load_b128 v[34:37], off, off offset:496
	ds_load_b128 v[149:152], v1 offset:1120
	s_wait_loadcnt_dscnt 0x901
	v_mul_f64_e32 v[159:160], v[2:3], v[12:13]
	v_mul_f64_e32 v[12:13], v[4:5], v[12:13]
	v_fma_f64 v[143:144], v[143:144], v[6:7], v[153:154]
	v_fma_f64 v[141:142], v[141:142], v[6:7], -v[8:9]
	v_add_f64_e32 v[153:154], 0, v[155:156]
	v_add_f64_e32 v[155:156], 0, v[157:158]
	scratch_load_b128 v[6:9], off, off offset:512
	v_fma_f64 v[159:160], v[4:5], v[10:11], v[159:160]
	v_fma_f64 v[161:162], v[2:3], v[10:11], -v[12:13]
	ds_load_b128 v[2:5], v1 offset:1136
	s_wait_loadcnt_dscnt 0x901
	v_mul_f64_e32 v[157:158], v[149:150], v[16:17]
	v_mul_f64_e32 v[16:17], v[151:152], v[16:17]
	scratch_load_b128 v[10:13], off, off offset:528
	v_add_f64_e32 v[153:154], v[153:154], v[141:142]
	v_add_f64_e32 v[155:156], v[155:156], v[143:144]
	s_wait_loadcnt_dscnt 0x900
	v_mul_f64_e32 v[163:164], v[2:3], v[20:21]
	v_mul_f64_e32 v[20:21], v[4:5], v[20:21]
	ds_load_b128 v[141:144], v1 offset:1152
	v_fma_f64 v[151:152], v[151:152], v[14:15], v[157:158]
	v_fma_f64 v[149:150], v[149:150], v[14:15], -v[16:17]
	scratch_load_b128 v[14:17], off, off offset:544
	v_add_f64_e32 v[153:154], v[153:154], v[161:162]
	v_add_f64_e32 v[155:156], v[155:156], v[159:160]
	v_fma_f64 v[159:160], v[4:5], v[18:19], v[163:164]
	v_fma_f64 v[161:162], v[2:3], v[18:19], -v[20:21]
	ds_load_b128 v[2:5], v1 offset:1168
	s_wait_loadcnt_dscnt 0x901
	v_mul_f64_e32 v[157:158], v[141:142], v[24:25]
	v_mul_f64_e32 v[24:25], v[143:144], v[24:25]
	scratch_load_b128 v[18:21], off, off offset:560
	s_wait_loadcnt_dscnt 0x900
	v_mul_f64_e32 v[163:164], v[2:3], v[28:29]
	v_mul_f64_e32 v[28:29], v[4:5], v[28:29]
	v_add_f64_e32 v[153:154], v[153:154], v[149:150]
	v_add_f64_e32 v[155:156], v[155:156], v[151:152]
	ds_load_b128 v[149:152], v1 offset:1184
	v_fma_f64 v[143:144], v[143:144], v[22:23], v[157:158]
	v_fma_f64 v[141:142], v[141:142], v[22:23], -v[24:25]
	scratch_load_b128 v[22:25], off, off offset:576
	v_add_f64_e32 v[153:154], v[153:154], v[161:162]
	v_add_f64_e32 v[155:156], v[155:156], v[159:160]
	v_fma_f64 v[159:160], v[4:5], v[26:27], v[163:164]
	v_fma_f64 v[161:162], v[2:3], v[26:27], -v[28:29]
	ds_load_b128 v[2:5], v1 offset:1200
	s_wait_loadcnt_dscnt 0x901
	v_mul_f64_e32 v[157:158], v[149:150], v[32:33]
	v_mul_f64_e32 v[32:33], v[151:152], v[32:33]
	scratch_load_b128 v[26:29], off, off offset:592
	s_wait_loadcnt_dscnt 0x900
	v_mul_f64_e32 v[163:164], v[2:3], v[40:41]
	v_mul_f64_e32 v[40:41], v[4:5], v[40:41]
	v_add_f64_e32 v[153:154], v[153:154], v[141:142]
	v_add_f64_e32 v[155:156], v[155:156], v[143:144]
	ds_load_b128 v[141:144], v1 offset:1216
	v_fma_f64 v[151:152], v[151:152], v[30:31], v[157:158]
	v_fma_f64 v[149:150], v[149:150], v[30:31], -v[32:33]
	scratch_load_b128 v[30:33], off, off offset:608
	v_add_f64_e32 v[153:154], v[153:154], v[161:162]
	v_add_f64_e32 v[155:156], v[155:156], v[159:160]
	v_fma_f64 v[161:162], v[4:5], v[38:39], v[163:164]
	v_fma_f64 v[163:164], v[2:3], v[38:39], -v[40:41]
	ds_load_b128 v[2:5], v1 offset:1232
	s_wait_loadcnt_dscnt 0x801
	v_mul_f64_e32 v[157:158], v[141:142], v[147:148]
	v_mul_f64_e32 v[159:160], v[143:144], v[147:148]
	scratch_load_b128 v[38:41], off, off offset:624
	v_add_f64_e32 v[153:154], v[153:154], v[149:150]
	v_add_f64_e32 v[151:152], v[155:156], v[151:152]
	ds_load_b128 v[147:150], v1 offset:1248
	v_fma_f64 v[157:158], v[143:144], v[145:146], v[157:158]
	v_fma_f64 v[145:146], v[141:142], v[145:146], -v[159:160]
	scratch_load_b128 v[141:144], off, off offset:640
	s_wait_loadcnt_dscnt 0x901
	v_mul_f64_e32 v[155:156], v[2:3], v[36:37]
	v_mul_f64_e32 v[36:37], v[4:5], v[36:37]
	v_add_f64_e32 v[153:154], v[153:154], v[163:164]
	v_add_f64_e32 v[151:152], v[151:152], v[161:162]
	s_delay_alu instid0(VALU_DEP_4) | instskip(NEXT) | instid1(VALU_DEP_4)
	v_fma_f64 v[155:156], v[4:5], v[34:35], v[155:156]
	v_fma_f64 v[161:162], v[2:3], v[34:35], -v[36:37]
	ds_load_b128 v[2:5], v1 offset:1264
	s_wait_loadcnt_dscnt 0x801
	v_mul_f64_e32 v[159:160], v[147:148], v[8:9]
	v_mul_f64_e32 v[8:9], v[149:150], v[8:9]
	scratch_load_b128 v[34:37], off, off offset:656
	s_wait_loadcnt_dscnt 0x800
	v_mul_f64_e32 v[163:164], v[2:3], v[12:13]
	v_add_f64_e32 v[145:146], v[153:154], v[145:146]
	v_add_f64_e32 v[157:158], v[151:152], v[157:158]
	v_mul_f64_e32 v[12:13], v[4:5], v[12:13]
	ds_load_b128 v[151:154], v1 offset:1280
	v_fma_f64 v[149:150], v[149:150], v[6:7], v[159:160]
	v_fma_f64 v[147:148], v[147:148], v[6:7], -v[8:9]
	scratch_load_b128 v[6:9], off, off offset:672
	v_fma_f64 v[159:160], v[4:5], v[10:11], v[163:164]
	v_add_f64_e32 v[145:146], v[145:146], v[161:162]
	v_add_f64_e32 v[155:156], v[157:158], v[155:156]
	v_fma_f64 v[161:162], v[2:3], v[10:11], -v[12:13]
	ds_load_b128 v[2:5], v1 offset:1296
	s_wait_loadcnt_dscnt 0x801
	v_mul_f64_e32 v[157:158], v[151:152], v[16:17]
	v_mul_f64_e32 v[16:17], v[153:154], v[16:17]
	scratch_load_b128 v[10:13], off, off offset:688
	v_add_f64_e32 v[163:164], v[145:146], v[147:148]
	v_add_f64_e32 v[149:150], v[155:156], v[149:150]
	s_wait_loadcnt_dscnt 0x800
	v_mul_f64_e32 v[155:156], v[2:3], v[20:21]
	v_mul_f64_e32 v[20:21], v[4:5], v[20:21]
	v_fma_f64 v[153:154], v[153:154], v[14:15], v[157:158]
	v_fma_f64 v[151:152], v[151:152], v[14:15], -v[16:17]
	ds_load_b128 v[145:148], v1 offset:1312
	scratch_load_b128 v[14:17], off, off offset:704
	v_add_f64_e32 v[157:158], v[163:164], v[161:162]
	v_add_f64_e32 v[149:150], v[149:150], v[159:160]
	v_fma_f64 v[155:156], v[4:5], v[18:19], v[155:156]
	v_fma_f64 v[161:162], v[2:3], v[18:19], -v[20:21]
	ds_load_b128 v[2:5], v1 offset:1328
	s_wait_loadcnt_dscnt 0x801
	v_mul_f64_e32 v[159:160], v[145:146], v[24:25]
	v_mul_f64_e32 v[24:25], v[147:148], v[24:25]
	scratch_load_b128 v[18:21], off, off offset:720
	s_wait_loadcnt_dscnt 0x800
	v_mul_f64_e32 v[163:164], v[2:3], v[28:29]
	v_mul_f64_e32 v[28:29], v[4:5], v[28:29]
	v_add_f64_e32 v[157:158], v[157:158], v[151:152]
	v_add_f64_e32 v[153:154], v[149:150], v[153:154]
	ds_load_b128 v[149:152], v1 offset:1344
	v_fma_f64 v[147:148], v[147:148], v[22:23], v[159:160]
	v_fma_f64 v[145:146], v[145:146], v[22:23], -v[24:25]
	scratch_load_b128 v[22:25], off, off offset:736
	v_fma_f64 v[159:160], v[4:5], v[26:27], v[163:164]
	v_add_f64_e32 v[157:158], v[157:158], v[161:162]
	v_add_f64_e32 v[153:154], v[153:154], v[155:156]
	v_fma_f64 v[161:162], v[2:3], v[26:27], -v[28:29]
	ds_load_b128 v[2:5], v1 offset:1360
	s_wait_loadcnt_dscnt 0x801
	v_mul_f64_e32 v[155:156], v[149:150], v[32:33]
	v_mul_f64_e32 v[32:33], v[151:152], v[32:33]
	scratch_load_b128 v[26:29], off, off offset:752
	s_wait_loadcnt_dscnt 0x800
	v_mul_f64_e32 v[163:164], v[2:3], v[40:41]
	v_mul_f64_e32 v[40:41], v[4:5], v[40:41]
	v_add_f64_e32 v[157:158], v[157:158], v[145:146]
	v_add_f64_e32 v[153:154], v[153:154], v[147:148]
	ds_load_b128 v[145:148], v1 offset:1376
	v_fma_f64 v[151:152], v[151:152], v[30:31], v[155:156]
	v_fma_f64 v[30:31], v[149:150], v[30:31], -v[32:33]
	v_fma_f64 v[155:156], v[4:5], v[38:39], v[163:164]
	v_fma_f64 v[38:39], v[2:3], v[38:39], -v[40:41]
	v_add_f64_e32 v[32:33], v[157:158], v[161:162]
	v_add_f64_e32 v[149:150], v[153:154], v[159:160]
	s_wait_loadcnt_dscnt 0x700
	v_mul_f64_e32 v[153:154], v[145:146], v[143:144]
	v_mul_f64_e32 v[143:144], v[147:148], v[143:144]
	s_delay_alu instid0(VALU_DEP_4) | instskip(NEXT) | instid1(VALU_DEP_4)
	v_add_f64_e32 v[40:41], v[32:33], v[30:31]
	v_add_f64_e32 v[149:150], v[149:150], v[151:152]
	ds_load_b128 v[2:5], v1 offset:1392
	ds_load_b128 v[30:33], v1 offset:1408
	v_fma_f64 v[147:148], v[147:148], v[141:142], v[153:154]
	v_fma_f64 v[141:142], v[145:146], v[141:142], -v[143:144]
	s_wait_loadcnt_dscnt 0x601
	v_mul_f64_e32 v[151:152], v[2:3], v[36:37]
	v_mul_f64_e32 v[36:37], v[4:5], v[36:37]
	s_wait_loadcnt_dscnt 0x500
	v_mul_f64_e32 v[143:144], v[30:31], v[8:9]
	v_mul_f64_e32 v[8:9], v[32:33], v[8:9]
	v_add_f64_e32 v[38:39], v[40:41], v[38:39]
	v_add_f64_e32 v[40:41], v[149:150], v[155:156]
	v_fma_f64 v[145:146], v[4:5], v[34:35], v[151:152]
	v_fma_f64 v[149:150], v[2:3], v[34:35], -v[36:37]
	ds_load_b128 v[2:5], v1 offset:1424
	ds_load_b128 v[34:37], v1 offset:1440
	v_fma_f64 v[32:33], v[32:33], v[6:7], v[143:144]
	v_fma_f64 v[6:7], v[30:31], v[6:7], -v[8:9]
	v_add_f64_e32 v[38:39], v[38:39], v[141:142]
	v_add_f64_e32 v[40:41], v[40:41], v[147:148]
	s_wait_loadcnt_dscnt 0x401
	v_mul_f64_e32 v[141:142], v[2:3], v[12:13]
	v_mul_f64_e32 v[12:13], v[4:5], v[12:13]
	s_delay_alu instid0(VALU_DEP_4) | instskip(NEXT) | instid1(VALU_DEP_4)
	v_add_f64_e32 v[8:9], v[38:39], v[149:150]
	v_add_f64_e32 v[30:31], v[40:41], v[145:146]
	s_wait_loadcnt_dscnt 0x300
	v_mul_f64_e32 v[38:39], v[34:35], v[16:17]
	v_mul_f64_e32 v[16:17], v[36:37], v[16:17]
	v_fma_f64 v[40:41], v[4:5], v[10:11], v[141:142]
	v_fma_f64 v[10:11], v[2:3], v[10:11], -v[12:13]
	v_add_f64_e32 v[12:13], v[8:9], v[6:7]
	v_add_f64_e32 v[30:31], v[30:31], v[32:33]
	ds_load_b128 v[2:5], v1 offset:1456
	ds_load_b128 v[6:9], v1 offset:1472
	v_fma_f64 v[36:37], v[36:37], v[14:15], v[38:39]
	v_fma_f64 v[14:15], v[34:35], v[14:15], -v[16:17]
	s_wait_loadcnt_dscnt 0x201
	v_mul_f64_e32 v[32:33], v[2:3], v[20:21]
	v_mul_f64_e32 v[20:21], v[4:5], v[20:21]
	s_wait_loadcnt_dscnt 0x100
	v_mul_f64_e32 v[16:17], v[6:7], v[24:25]
	v_mul_f64_e32 v[24:25], v[8:9], v[24:25]
	v_add_f64_e32 v[10:11], v[12:13], v[10:11]
	v_add_f64_e32 v[12:13], v[30:31], v[40:41]
	v_fma_f64 v[30:31], v[4:5], v[18:19], v[32:33]
	v_fma_f64 v[18:19], v[2:3], v[18:19], -v[20:21]
	ds_load_b128 v[2:5], v1 offset:1488
	v_fma_f64 v[8:9], v[8:9], v[22:23], v[16:17]
	v_fma_f64 v[6:7], v[6:7], v[22:23], -v[24:25]
	v_add_f64_e32 v[10:11], v[10:11], v[14:15]
	v_add_f64_e32 v[12:13], v[12:13], v[36:37]
	s_wait_loadcnt_dscnt 0x0
	v_mul_f64_e32 v[14:15], v[2:3], v[28:29]
	v_mul_f64_e32 v[20:21], v[4:5], v[28:29]
	s_delay_alu instid0(VALU_DEP_4) | instskip(NEXT) | instid1(VALU_DEP_4)
	v_add_f64_e32 v[10:11], v[10:11], v[18:19]
	v_add_f64_e32 v[12:13], v[12:13], v[30:31]
	s_delay_alu instid0(VALU_DEP_4) | instskip(NEXT) | instid1(VALU_DEP_4)
	v_fma_f64 v[4:5], v[4:5], v[26:27], v[14:15]
	v_fma_f64 v[2:3], v[2:3], v[26:27], -v[20:21]
	s_delay_alu instid0(VALU_DEP_4) | instskip(NEXT) | instid1(VALU_DEP_4)
	v_add_f64_e32 v[6:7], v[10:11], v[6:7]
	v_add_f64_e32 v[8:9], v[12:13], v[8:9]
	s_delay_alu instid0(VALU_DEP_2) | instskip(NEXT) | instid1(VALU_DEP_2)
	v_add_f64_e32 v[2:3], v[6:7], v[2:3]
	v_add_f64_e32 v[4:5], v[8:9], v[4:5]
	s_delay_alu instid0(VALU_DEP_2) | instskip(NEXT) | instid1(VALU_DEP_2)
	v_add_f64_e64 v[2:3], v[42:43], -v[2:3]
	v_add_f64_e64 v[4:5], v[44:45], -v[4:5]
	scratch_store_b128 off, v[2:5], off offset:320
	v_cmpx_lt_u32_e32 18, v0
	s_cbranch_execz .LBB110_259
; %bb.258:
	scratch_load_b128 v[5:8], off, s42
	v_dual_mov_b32 v2, v1 :: v_dual_mov_b32 v3, v1
	v_mov_b32_e32 v4, v1
	scratch_store_b128 off, v[1:4], off offset:304
	s_wait_loadcnt 0x0
	ds_store_b128 v140, v[5:8]
.LBB110_259:
	s_wait_alu 0xfffe
	s_or_b32 exec_lo, exec_lo, s0
	s_wait_storecnt_dscnt 0x0
	s_barrier_signal -1
	s_barrier_wait -1
	global_inv scope:SCOPE_SE
	s_clause 0x8
	scratch_load_b128 v[2:5], off, off offset:320
	scratch_load_b128 v[6:9], off, off offset:336
	;; [unrolled: 1-line block ×9, first 2 shown]
	ds_load_b128 v[38:41], v1 offset:1056
	ds_load_b128 v[42:45], v1 offset:1072
	s_clause 0x1
	scratch_load_b128 v[141:144], off, off offset:304
	scratch_load_b128 v[145:148], off, off offset:464
	s_mov_b32 s0, exec_lo
	s_wait_loadcnt_dscnt 0xa01
	v_mul_f64_e32 v[149:150], v[40:41], v[4:5]
	v_mul_f64_e32 v[4:5], v[38:39], v[4:5]
	s_wait_loadcnt_dscnt 0x900
	v_mul_f64_e32 v[153:154], v[42:43], v[8:9]
	v_mul_f64_e32 v[8:9], v[44:45], v[8:9]
	s_delay_alu instid0(VALU_DEP_4) | instskip(NEXT) | instid1(VALU_DEP_4)
	v_fma_f64 v[155:156], v[38:39], v[2:3], -v[149:150]
	v_fma_f64 v[157:158], v[40:41], v[2:3], v[4:5]
	ds_load_b128 v[2:5], v1 offset:1088
	ds_load_b128 v[149:152], v1 offset:1104
	scratch_load_b128 v[38:41], off, off offset:480
	v_fma_f64 v[44:45], v[44:45], v[6:7], v[153:154]
	v_fma_f64 v[42:43], v[42:43], v[6:7], -v[8:9]
	scratch_load_b128 v[6:9], off, off offset:496
	s_wait_loadcnt_dscnt 0xa01
	v_mul_f64_e32 v[159:160], v[2:3], v[12:13]
	v_mul_f64_e32 v[12:13], v[4:5], v[12:13]
	v_add_f64_e32 v[153:154], 0, v[155:156]
	v_add_f64_e32 v[155:156], 0, v[157:158]
	s_wait_loadcnt_dscnt 0x900
	v_mul_f64_e32 v[157:158], v[149:150], v[16:17]
	v_mul_f64_e32 v[16:17], v[151:152], v[16:17]
	v_fma_f64 v[159:160], v[4:5], v[10:11], v[159:160]
	v_fma_f64 v[161:162], v[2:3], v[10:11], -v[12:13]
	ds_load_b128 v[2:5], v1 offset:1120
	scratch_load_b128 v[10:13], off, off offset:512
	v_add_f64_e32 v[153:154], v[153:154], v[42:43]
	v_add_f64_e32 v[155:156], v[155:156], v[44:45]
	ds_load_b128 v[42:45], v1 offset:1136
	v_fma_f64 v[151:152], v[151:152], v[14:15], v[157:158]
	v_fma_f64 v[149:150], v[149:150], v[14:15], -v[16:17]
	scratch_load_b128 v[14:17], off, off offset:528
	s_wait_loadcnt_dscnt 0xa01
	v_mul_f64_e32 v[163:164], v[2:3], v[20:21]
	v_mul_f64_e32 v[20:21], v[4:5], v[20:21]
	s_wait_loadcnt_dscnt 0x900
	v_mul_f64_e32 v[157:158], v[42:43], v[24:25]
	v_mul_f64_e32 v[24:25], v[44:45], v[24:25]
	v_add_f64_e32 v[153:154], v[153:154], v[161:162]
	v_add_f64_e32 v[155:156], v[155:156], v[159:160]
	v_fma_f64 v[159:160], v[4:5], v[18:19], v[163:164]
	v_fma_f64 v[161:162], v[2:3], v[18:19], -v[20:21]
	ds_load_b128 v[2:5], v1 offset:1152
	scratch_load_b128 v[18:21], off, off offset:544
	v_fma_f64 v[44:45], v[44:45], v[22:23], v[157:158]
	v_fma_f64 v[42:43], v[42:43], v[22:23], -v[24:25]
	scratch_load_b128 v[22:25], off, off offset:560
	v_add_f64_e32 v[153:154], v[153:154], v[149:150]
	v_add_f64_e32 v[155:156], v[155:156], v[151:152]
	ds_load_b128 v[149:152], v1 offset:1168
	s_wait_loadcnt_dscnt 0xa01
	v_mul_f64_e32 v[163:164], v[2:3], v[28:29]
	v_mul_f64_e32 v[28:29], v[4:5], v[28:29]
	s_wait_loadcnt_dscnt 0x900
	v_mul_f64_e32 v[157:158], v[149:150], v[32:33]
	v_mul_f64_e32 v[32:33], v[151:152], v[32:33]
	v_add_f64_e32 v[153:154], v[153:154], v[161:162]
	v_add_f64_e32 v[155:156], v[155:156], v[159:160]
	v_fma_f64 v[159:160], v[4:5], v[26:27], v[163:164]
	v_fma_f64 v[161:162], v[2:3], v[26:27], -v[28:29]
	ds_load_b128 v[2:5], v1 offset:1184
	scratch_load_b128 v[26:29], off, off offset:576
	v_fma_f64 v[151:152], v[151:152], v[30:31], v[157:158]
	v_fma_f64 v[149:150], v[149:150], v[30:31], -v[32:33]
	scratch_load_b128 v[30:33], off, off offset:592
	v_add_f64_e32 v[153:154], v[153:154], v[42:43]
	v_add_f64_e32 v[155:156], v[155:156], v[44:45]
	ds_load_b128 v[42:45], v1 offset:1200
	s_wait_loadcnt_dscnt 0xa01
	v_mul_f64_e32 v[163:164], v[2:3], v[36:37]
	v_mul_f64_e32 v[36:37], v[4:5], v[36:37]
	s_wait_loadcnt_dscnt 0x800
	v_mul_f64_e32 v[157:158], v[42:43], v[147:148]
	v_add_f64_e32 v[153:154], v[153:154], v[161:162]
	v_add_f64_e32 v[155:156], v[155:156], v[159:160]
	v_mul_f64_e32 v[159:160], v[44:45], v[147:148]
	v_fma_f64 v[161:162], v[4:5], v[34:35], v[163:164]
	v_fma_f64 v[163:164], v[2:3], v[34:35], -v[36:37]
	ds_load_b128 v[2:5], v1 offset:1216
	scratch_load_b128 v[34:37], off, off offset:608
	v_fma_f64 v[44:45], v[44:45], v[145:146], v[157:158]
	v_add_f64_e32 v[153:154], v[153:154], v[149:150]
	v_add_f64_e32 v[151:152], v[155:156], v[151:152]
	ds_load_b128 v[147:150], v1 offset:1232
	v_fma_f64 v[145:146], v[42:43], v[145:146], -v[159:160]
	s_wait_loadcnt_dscnt 0x801
	v_mul_f64_e32 v[155:156], v[2:3], v[40:41]
	v_mul_f64_e32 v[165:166], v[4:5], v[40:41]
	scratch_load_b128 v[40:43], off, off offset:624
	s_wait_loadcnt_dscnt 0x800
	v_mul_f64_e32 v[159:160], v[147:148], v[8:9]
	v_mul_f64_e32 v[8:9], v[149:150], v[8:9]
	v_add_f64_e32 v[153:154], v[153:154], v[163:164]
	v_add_f64_e32 v[151:152], v[151:152], v[161:162]
	v_fma_f64 v[161:162], v[4:5], v[38:39], v[155:156]
	v_fma_f64 v[38:39], v[2:3], v[38:39], -v[165:166]
	ds_load_b128 v[2:5], v1 offset:1248
	ds_load_b128 v[155:158], v1 offset:1264
	v_fma_f64 v[149:150], v[149:150], v[6:7], v[159:160]
	v_fma_f64 v[147:148], v[147:148], v[6:7], -v[8:9]
	scratch_load_b128 v[6:9], off, off offset:656
	v_add_f64_e32 v[145:146], v[153:154], v[145:146]
	v_add_f64_e32 v[44:45], v[151:152], v[44:45]
	scratch_load_b128 v[151:154], off, off offset:640
	s_wait_loadcnt_dscnt 0x901
	v_mul_f64_e32 v[163:164], v[2:3], v[12:13]
	v_mul_f64_e32 v[12:13], v[4:5], v[12:13]
	s_wait_loadcnt_dscnt 0x800
	v_mul_f64_e32 v[159:160], v[155:156], v[16:17]
	v_mul_f64_e32 v[16:17], v[157:158], v[16:17]
	v_add_f64_e32 v[38:39], v[145:146], v[38:39]
	v_add_f64_e32 v[44:45], v[44:45], v[161:162]
	v_fma_f64 v[161:162], v[4:5], v[10:11], v[163:164]
	v_fma_f64 v[163:164], v[2:3], v[10:11], -v[12:13]
	ds_load_b128 v[2:5], v1 offset:1280
	scratch_load_b128 v[10:13], off, off offset:672
	v_fma_f64 v[157:158], v[157:158], v[14:15], v[159:160]
	v_fma_f64 v[155:156], v[155:156], v[14:15], -v[16:17]
	scratch_load_b128 v[14:17], off, off offset:688
	v_add_f64_e32 v[38:39], v[38:39], v[147:148]
	v_add_f64_e32 v[44:45], v[44:45], v[149:150]
	ds_load_b128 v[145:148], v1 offset:1296
	s_wait_loadcnt_dscnt 0x901
	v_mul_f64_e32 v[149:150], v[2:3], v[20:21]
	v_mul_f64_e32 v[20:21], v[4:5], v[20:21]
	s_wait_loadcnt_dscnt 0x800
	v_mul_f64_e32 v[159:160], v[145:146], v[24:25]
	v_mul_f64_e32 v[24:25], v[147:148], v[24:25]
	v_add_f64_e32 v[38:39], v[38:39], v[163:164]
	v_add_f64_e32 v[44:45], v[44:45], v[161:162]
	v_fma_f64 v[149:150], v[4:5], v[18:19], v[149:150]
	v_fma_f64 v[161:162], v[2:3], v[18:19], -v[20:21]
	ds_load_b128 v[2:5], v1 offset:1312
	scratch_load_b128 v[18:21], off, off offset:704
	v_fma_f64 v[147:148], v[147:148], v[22:23], v[159:160]
	v_fma_f64 v[145:146], v[145:146], v[22:23], -v[24:25]
	scratch_load_b128 v[22:25], off, off offset:720
	v_add_f64_e32 v[38:39], v[38:39], v[155:156]
	v_add_f64_e32 v[44:45], v[44:45], v[157:158]
	ds_load_b128 v[155:158], v1 offset:1328
	s_wait_loadcnt_dscnt 0x901
	v_mul_f64_e32 v[163:164], v[2:3], v[28:29]
	v_mul_f64_e32 v[28:29], v[4:5], v[28:29]
	v_add_f64_e32 v[38:39], v[38:39], v[161:162]
	v_add_f64_e32 v[44:45], v[44:45], v[149:150]
	s_wait_loadcnt_dscnt 0x800
	v_mul_f64_e32 v[149:150], v[155:156], v[32:33]
	v_mul_f64_e32 v[32:33], v[157:158], v[32:33]
	v_fma_f64 v[159:160], v[4:5], v[26:27], v[163:164]
	v_fma_f64 v[161:162], v[2:3], v[26:27], -v[28:29]
	ds_load_b128 v[2:5], v1 offset:1344
	scratch_load_b128 v[26:29], off, off offset:736
	v_add_f64_e32 v[38:39], v[38:39], v[145:146]
	v_add_f64_e32 v[44:45], v[44:45], v[147:148]
	ds_load_b128 v[145:148], v1 offset:1360
	s_wait_loadcnt_dscnt 0x801
	v_mul_f64_e32 v[163:164], v[2:3], v[36:37]
	v_mul_f64_e32 v[36:37], v[4:5], v[36:37]
	v_fma_f64 v[149:150], v[157:158], v[30:31], v[149:150]
	v_fma_f64 v[155:156], v[155:156], v[30:31], -v[32:33]
	scratch_load_b128 v[30:33], off, off offset:752
	s_wait_loadcnt_dscnt 0x800
	v_mul_f64_e32 v[157:158], v[145:146], v[42:43]
	v_add_f64_e32 v[38:39], v[38:39], v[161:162]
	v_add_f64_e32 v[44:45], v[44:45], v[159:160]
	v_mul_f64_e32 v[42:43], v[147:148], v[42:43]
	v_fma_f64 v[159:160], v[4:5], v[34:35], v[163:164]
	v_fma_f64 v[161:162], v[2:3], v[34:35], -v[36:37]
	ds_load_b128 v[2:5], v1 offset:1376
	ds_load_b128 v[34:37], v1 offset:1392
	v_fma_f64 v[147:148], v[147:148], v[40:41], v[157:158]
	v_add_f64_e32 v[38:39], v[38:39], v[155:156]
	v_add_f64_e32 v[44:45], v[44:45], v[149:150]
	v_fma_f64 v[40:41], v[145:146], v[40:41], -v[42:43]
	s_wait_loadcnt_dscnt 0x601
	v_mul_f64_e32 v[149:150], v[2:3], v[153:154]
	v_mul_f64_e32 v[153:154], v[4:5], v[153:154]
	v_add_f64_e32 v[38:39], v[38:39], v[161:162]
	v_add_f64_e32 v[42:43], v[44:45], v[159:160]
	s_wait_dscnt 0x0
	v_mul_f64_e32 v[44:45], v[34:35], v[8:9]
	v_mul_f64_e32 v[8:9], v[36:37], v[8:9]
	v_fma_f64 v[145:146], v[4:5], v[151:152], v[149:150]
	v_fma_f64 v[149:150], v[2:3], v[151:152], -v[153:154]
	v_add_f64_e32 v[151:152], v[38:39], v[40:41]
	v_add_f64_e32 v[42:43], v[42:43], v[147:148]
	ds_load_b128 v[2:5], v1 offset:1408
	ds_load_b128 v[38:41], v1 offset:1424
	v_fma_f64 v[36:37], v[36:37], v[6:7], v[44:45]
	v_fma_f64 v[6:7], v[34:35], v[6:7], -v[8:9]
	s_wait_loadcnt_dscnt 0x501
	v_mul_f64_e32 v[147:148], v[2:3], v[12:13]
	v_mul_f64_e32 v[12:13], v[4:5], v[12:13]
	v_add_f64_e32 v[8:9], v[151:152], v[149:150]
	v_add_f64_e32 v[34:35], v[42:43], v[145:146]
	s_wait_loadcnt_dscnt 0x400
	v_mul_f64_e32 v[42:43], v[38:39], v[16:17]
	v_mul_f64_e32 v[16:17], v[40:41], v[16:17]
	v_fma_f64 v[44:45], v[4:5], v[10:11], v[147:148]
	v_fma_f64 v[10:11], v[2:3], v[10:11], -v[12:13]
	v_add_f64_e32 v[12:13], v[8:9], v[6:7]
	v_add_f64_e32 v[34:35], v[34:35], v[36:37]
	ds_load_b128 v[2:5], v1 offset:1440
	ds_load_b128 v[6:9], v1 offset:1456
	v_fma_f64 v[40:41], v[40:41], v[14:15], v[42:43]
	v_fma_f64 v[14:15], v[38:39], v[14:15], -v[16:17]
	s_wait_loadcnt_dscnt 0x301
	v_mul_f64_e32 v[36:37], v[2:3], v[20:21]
	v_mul_f64_e32 v[20:21], v[4:5], v[20:21]
	s_wait_loadcnt_dscnt 0x200
	v_mul_f64_e32 v[16:17], v[6:7], v[24:25]
	v_mul_f64_e32 v[24:25], v[8:9], v[24:25]
	v_add_f64_e32 v[10:11], v[12:13], v[10:11]
	v_add_f64_e32 v[12:13], v[34:35], v[44:45]
	v_fma_f64 v[34:35], v[4:5], v[18:19], v[36:37]
	v_fma_f64 v[18:19], v[2:3], v[18:19], -v[20:21]
	v_fma_f64 v[8:9], v[8:9], v[22:23], v[16:17]
	v_fma_f64 v[6:7], v[6:7], v[22:23], -v[24:25]
	v_add_f64_e32 v[14:15], v[10:11], v[14:15]
	v_add_f64_e32 v[20:21], v[12:13], v[40:41]
	ds_load_b128 v[2:5], v1 offset:1472
	ds_load_b128 v[10:13], v1 offset:1488
	s_wait_loadcnt_dscnt 0x101
	v_mul_f64_e32 v[36:37], v[2:3], v[28:29]
	v_mul_f64_e32 v[28:29], v[4:5], v[28:29]
	v_add_f64_e32 v[14:15], v[14:15], v[18:19]
	v_add_f64_e32 v[16:17], v[20:21], v[34:35]
	s_wait_loadcnt_dscnt 0x0
	v_mul_f64_e32 v[18:19], v[10:11], v[32:33]
	v_mul_f64_e32 v[20:21], v[12:13], v[32:33]
	v_fma_f64 v[4:5], v[4:5], v[26:27], v[36:37]
	v_fma_f64 v[1:2], v[2:3], v[26:27], -v[28:29]
	v_add_f64_e32 v[6:7], v[14:15], v[6:7]
	v_add_f64_e32 v[8:9], v[16:17], v[8:9]
	v_fma_f64 v[12:13], v[12:13], v[30:31], v[18:19]
	v_fma_f64 v[10:11], v[10:11], v[30:31], -v[20:21]
	s_delay_alu instid0(VALU_DEP_4) | instskip(NEXT) | instid1(VALU_DEP_4)
	v_add_f64_e32 v[1:2], v[6:7], v[1:2]
	v_add_f64_e32 v[3:4], v[8:9], v[4:5]
	s_delay_alu instid0(VALU_DEP_2) | instskip(NEXT) | instid1(VALU_DEP_2)
	v_add_f64_e32 v[1:2], v[1:2], v[10:11]
	v_add_f64_e32 v[3:4], v[3:4], v[12:13]
	s_delay_alu instid0(VALU_DEP_2) | instskip(NEXT) | instid1(VALU_DEP_2)
	v_add_f64_e64 v[1:2], v[141:142], -v[1:2]
	v_add_f64_e64 v[3:4], v[143:144], -v[3:4]
	scratch_store_b128 off, v[1:4], off offset:304
	v_cmpx_lt_u32_e32 17, v0
	s_cbranch_execz .LBB110_261
; %bb.260:
	scratch_load_b128 v[1:4], off, s43
	v_mov_b32_e32 v5, 0
	s_delay_alu instid0(VALU_DEP_1)
	v_dual_mov_b32 v6, v5 :: v_dual_mov_b32 v7, v5
	v_mov_b32_e32 v8, v5
	scratch_store_b128 off, v[5:8], off offset:288
	s_wait_loadcnt 0x0
	ds_store_b128 v140, v[1:4]
.LBB110_261:
	s_wait_alu 0xfffe
	s_or_b32 exec_lo, exec_lo, s0
	s_wait_storecnt_dscnt 0x0
	s_barrier_signal -1
	s_barrier_wait -1
	global_inv scope:SCOPE_SE
	s_clause 0x7
	scratch_load_b128 v[2:5], off, off offset:304
	scratch_load_b128 v[6:9], off, off offset:320
	;; [unrolled: 1-line block ×8, first 2 shown]
	v_mov_b32_e32 v1, 0
	s_mov_b32 s0, exec_lo
	ds_load_b128 v[34:37], v1 offset:1040
	s_clause 0x1
	scratch_load_b128 v[38:41], off, off offset:432
	scratch_load_b128 v[42:45], off, off offset:288
	ds_load_b128 v[141:144], v1 offset:1056
	scratch_load_b128 v[145:148], off, off offset:448
	s_wait_loadcnt_dscnt 0xa01
	v_mul_f64_e32 v[149:150], v[36:37], v[4:5]
	v_mul_f64_e32 v[4:5], v[34:35], v[4:5]
	s_delay_alu instid0(VALU_DEP_2) | instskip(NEXT) | instid1(VALU_DEP_2)
	v_fma_f64 v[155:156], v[34:35], v[2:3], -v[149:150]
	v_fma_f64 v[157:158], v[36:37], v[2:3], v[4:5]
	ds_load_b128 v[2:5], v1 offset:1072
	s_wait_loadcnt_dscnt 0x901
	v_mul_f64_e32 v[153:154], v[141:142], v[8:9]
	v_mul_f64_e32 v[8:9], v[143:144], v[8:9]
	scratch_load_b128 v[34:37], off, off offset:464
	ds_load_b128 v[149:152], v1 offset:1088
	s_wait_loadcnt_dscnt 0x901
	v_mul_f64_e32 v[159:160], v[2:3], v[12:13]
	v_mul_f64_e32 v[12:13], v[4:5], v[12:13]
	v_fma_f64 v[143:144], v[143:144], v[6:7], v[153:154]
	v_fma_f64 v[141:142], v[141:142], v[6:7], -v[8:9]
	v_add_f64_e32 v[153:154], 0, v[155:156]
	v_add_f64_e32 v[155:156], 0, v[157:158]
	scratch_load_b128 v[6:9], off, off offset:480
	v_fma_f64 v[159:160], v[4:5], v[10:11], v[159:160]
	v_fma_f64 v[161:162], v[2:3], v[10:11], -v[12:13]
	ds_load_b128 v[2:5], v1 offset:1104
	s_wait_loadcnt_dscnt 0x901
	v_mul_f64_e32 v[157:158], v[149:150], v[16:17]
	v_mul_f64_e32 v[16:17], v[151:152], v[16:17]
	scratch_load_b128 v[10:13], off, off offset:496
	v_add_f64_e32 v[153:154], v[153:154], v[141:142]
	v_add_f64_e32 v[155:156], v[155:156], v[143:144]
	s_wait_loadcnt_dscnt 0x900
	v_mul_f64_e32 v[163:164], v[2:3], v[20:21]
	v_mul_f64_e32 v[20:21], v[4:5], v[20:21]
	ds_load_b128 v[141:144], v1 offset:1120
	v_fma_f64 v[151:152], v[151:152], v[14:15], v[157:158]
	v_fma_f64 v[149:150], v[149:150], v[14:15], -v[16:17]
	scratch_load_b128 v[14:17], off, off offset:512
	v_add_f64_e32 v[153:154], v[153:154], v[161:162]
	v_add_f64_e32 v[155:156], v[155:156], v[159:160]
	v_fma_f64 v[159:160], v[4:5], v[18:19], v[163:164]
	v_fma_f64 v[161:162], v[2:3], v[18:19], -v[20:21]
	ds_load_b128 v[2:5], v1 offset:1136
	s_wait_loadcnt_dscnt 0x901
	v_mul_f64_e32 v[157:158], v[141:142], v[24:25]
	v_mul_f64_e32 v[24:25], v[143:144], v[24:25]
	scratch_load_b128 v[18:21], off, off offset:528
	s_wait_loadcnt_dscnt 0x900
	v_mul_f64_e32 v[163:164], v[2:3], v[28:29]
	v_mul_f64_e32 v[28:29], v[4:5], v[28:29]
	v_add_f64_e32 v[153:154], v[153:154], v[149:150]
	v_add_f64_e32 v[155:156], v[155:156], v[151:152]
	ds_load_b128 v[149:152], v1 offset:1152
	v_fma_f64 v[143:144], v[143:144], v[22:23], v[157:158]
	v_fma_f64 v[141:142], v[141:142], v[22:23], -v[24:25]
	scratch_load_b128 v[22:25], off, off offset:544
	v_add_f64_e32 v[153:154], v[153:154], v[161:162]
	v_add_f64_e32 v[155:156], v[155:156], v[159:160]
	v_fma_f64 v[159:160], v[4:5], v[26:27], v[163:164]
	v_fma_f64 v[161:162], v[2:3], v[26:27], -v[28:29]
	ds_load_b128 v[2:5], v1 offset:1168
	s_wait_loadcnt_dscnt 0x901
	v_mul_f64_e32 v[157:158], v[149:150], v[32:33]
	v_mul_f64_e32 v[32:33], v[151:152], v[32:33]
	scratch_load_b128 v[26:29], off, off offset:560
	s_wait_loadcnt_dscnt 0x900
	v_mul_f64_e32 v[163:164], v[2:3], v[40:41]
	v_mul_f64_e32 v[40:41], v[4:5], v[40:41]
	v_add_f64_e32 v[153:154], v[153:154], v[141:142]
	v_add_f64_e32 v[155:156], v[155:156], v[143:144]
	ds_load_b128 v[141:144], v1 offset:1184
	v_fma_f64 v[151:152], v[151:152], v[30:31], v[157:158]
	v_fma_f64 v[149:150], v[149:150], v[30:31], -v[32:33]
	scratch_load_b128 v[30:33], off, off offset:576
	v_add_f64_e32 v[153:154], v[153:154], v[161:162]
	v_add_f64_e32 v[155:156], v[155:156], v[159:160]
	v_fma_f64 v[161:162], v[4:5], v[38:39], v[163:164]
	v_fma_f64 v[163:164], v[2:3], v[38:39], -v[40:41]
	ds_load_b128 v[2:5], v1 offset:1200
	s_wait_loadcnt_dscnt 0x801
	v_mul_f64_e32 v[157:158], v[141:142], v[147:148]
	v_mul_f64_e32 v[159:160], v[143:144], v[147:148]
	scratch_load_b128 v[38:41], off, off offset:592
	v_add_f64_e32 v[153:154], v[153:154], v[149:150]
	v_add_f64_e32 v[151:152], v[155:156], v[151:152]
	ds_load_b128 v[147:150], v1 offset:1216
	v_fma_f64 v[157:158], v[143:144], v[145:146], v[157:158]
	v_fma_f64 v[145:146], v[141:142], v[145:146], -v[159:160]
	scratch_load_b128 v[141:144], off, off offset:608
	s_wait_loadcnt_dscnt 0x901
	v_mul_f64_e32 v[155:156], v[2:3], v[36:37]
	v_mul_f64_e32 v[36:37], v[4:5], v[36:37]
	v_add_f64_e32 v[153:154], v[153:154], v[163:164]
	v_add_f64_e32 v[151:152], v[151:152], v[161:162]
	s_delay_alu instid0(VALU_DEP_4) | instskip(NEXT) | instid1(VALU_DEP_4)
	v_fma_f64 v[155:156], v[4:5], v[34:35], v[155:156]
	v_fma_f64 v[161:162], v[2:3], v[34:35], -v[36:37]
	ds_load_b128 v[2:5], v1 offset:1232
	s_wait_loadcnt_dscnt 0x801
	v_mul_f64_e32 v[159:160], v[147:148], v[8:9]
	v_mul_f64_e32 v[8:9], v[149:150], v[8:9]
	scratch_load_b128 v[34:37], off, off offset:624
	s_wait_loadcnt_dscnt 0x800
	v_mul_f64_e32 v[163:164], v[2:3], v[12:13]
	v_add_f64_e32 v[145:146], v[153:154], v[145:146]
	v_add_f64_e32 v[157:158], v[151:152], v[157:158]
	v_mul_f64_e32 v[12:13], v[4:5], v[12:13]
	ds_load_b128 v[151:154], v1 offset:1248
	v_fma_f64 v[149:150], v[149:150], v[6:7], v[159:160]
	v_fma_f64 v[147:148], v[147:148], v[6:7], -v[8:9]
	scratch_load_b128 v[6:9], off, off offset:640
	v_fma_f64 v[159:160], v[4:5], v[10:11], v[163:164]
	v_add_f64_e32 v[145:146], v[145:146], v[161:162]
	v_add_f64_e32 v[155:156], v[157:158], v[155:156]
	v_fma_f64 v[161:162], v[2:3], v[10:11], -v[12:13]
	ds_load_b128 v[2:5], v1 offset:1264
	s_wait_loadcnt_dscnt 0x801
	v_mul_f64_e32 v[157:158], v[151:152], v[16:17]
	v_mul_f64_e32 v[16:17], v[153:154], v[16:17]
	scratch_load_b128 v[10:13], off, off offset:656
	v_add_f64_e32 v[163:164], v[145:146], v[147:148]
	v_add_f64_e32 v[149:150], v[155:156], v[149:150]
	s_wait_loadcnt_dscnt 0x800
	v_mul_f64_e32 v[155:156], v[2:3], v[20:21]
	v_mul_f64_e32 v[20:21], v[4:5], v[20:21]
	v_fma_f64 v[153:154], v[153:154], v[14:15], v[157:158]
	v_fma_f64 v[151:152], v[151:152], v[14:15], -v[16:17]
	ds_load_b128 v[145:148], v1 offset:1280
	scratch_load_b128 v[14:17], off, off offset:672
	v_add_f64_e32 v[157:158], v[163:164], v[161:162]
	v_add_f64_e32 v[149:150], v[149:150], v[159:160]
	v_fma_f64 v[155:156], v[4:5], v[18:19], v[155:156]
	v_fma_f64 v[161:162], v[2:3], v[18:19], -v[20:21]
	ds_load_b128 v[2:5], v1 offset:1296
	s_wait_loadcnt_dscnt 0x801
	v_mul_f64_e32 v[159:160], v[145:146], v[24:25]
	v_mul_f64_e32 v[24:25], v[147:148], v[24:25]
	scratch_load_b128 v[18:21], off, off offset:688
	s_wait_loadcnt_dscnt 0x800
	v_mul_f64_e32 v[163:164], v[2:3], v[28:29]
	v_mul_f64_e32 v[28:29], v[4:5], v[28:29]
	v_add_f64_e32 v[157:158], v[157:158], v[151:152]
	v_add_f64_e32 v[153:154], v[149:150], v[153:154]
	ds_load_b128 v[149:152], v1 offset:1312
	v_fma_f64 v[147:148], v[147:148], v[22:23], v[159:160]
	v_fma_f64 v[145:146], v[145:146], v[22:23], -v[24:25]
	scratch_load_b128 v[22:25], off, off offset:704
	v_fma_f64 v[159:160], v[4:5], v[26:27], v[163:164]
	v_add_f64_e32 v[157:158], v[157:158], v[161:162]
	v_add_f64_e32 v[153:154], v[153:154], v[155:156]
	v_fma_f64 v[161:162], v[2:3], v[26:27], -v[28:29]
	ds_load_b128 v[2:5], v1 offset:1328
	s_wait_loadcnt_dscnt 0x801
	v_mul_f64_e32 v[155:156], v[149:150], v[32:33]
	v_mul_f64_e32 v[32:33], v[151:152], v[32:33]
	scratch_load_b128 v[26:29], off, off offset:720
	s_wait_loadcnt_dscnt 0x800
	v_mul_f64_e32 v[163:164], v[2:3], v[40:41]
	v_mul_f64_e32 v[40:41], v[4:5], v[40:41]
	v_add_f64_e32 v[157:158], v[157:158], v[145:146]
	v_add_f64_e32 v[153:154], v[153:154], v[147:148]
	ds_load_b128 v[145:148], v1 offset:1344
	v_fma_f64 v[151:152], v[151:152], v[30:31], v[155:156]
	v_fma_f64 v[149:150], v[149:150], v[30:31], -v[32:33]
	scratch_load_b128 v[30:33], off, off offset:736
	v_add_f64_e32 v[155:156], v[157:158], v[161:162]
	v_add_f64_e32 v[153:154], v[153:154], v[159:160]
	v_fma_f64 v[159:160], v[4:5], v[38:39], v[163:164]
	v_fma_f64 v[161:162], v[2:3], v[38:39], -v[40:41]
	ds_load_b128 v[2:5], v1 offset:1360
	s_wait_loadcnt_dscnt 0x801
	v_mul_f64_e32 v[157:158], v[145:146], v[143:144]
	v_mul_f64_e32 v[143:144], v[147:148], v[143:144]
	scratch_load_b128 v[38:41], off, off offset:752
	s_wait_loadcnt_dscnt 0x800
	v_mul_f64_e32 v[163:164], v[2:3], v[36:37]
	v_mul_f64_e32 v[36:37], v[4:5], v[36:37]
	v_add_f64_e32 v[155:156], v[155:156], v[149:150]
	v_add_f64_e32 v[153:154], v[153:154], v[151:152]
	ds_load_b128 v[149:152], v1 offset:1376
	v_fma_f64 v[147:148], v[147:148], v[141:142], v[157:158]
	v_fma_f64 v[141:142], v[145:146], v[141:142], -v[143:144]
	v_fma_f64 v[157:158], v[2:3], v[34:35], -v[36:37]
	v_add_f64_e32 v[143:144], v[155:156], v[161:162]
	v_add_f64_e32 v[145:146], v[153:154], v[159:160]
	s_wait_loadcnt_dscnt 0x700
	v_mul_f64_e32 v[153:154], v[149:150], v[8:9]
	v_mul_f64_e32 v[8:9], v[151:152], v[8:9]
	v_fma_f64 v[155:156], v[4:5], v[34:35], v[163:164]
	ds_load_b128 v[2:5], v1 offset:1392
	ds_load_b128 v[34:37], v1 offset:1408
	v_add_f64_e32 v[141:142], v[143:144], v[141:142]
	v_add_f64_e32 v[143:144], v[145:146], v[147:148]
	s_wait_loadcnt_dscnt 0x601
	v_mul_f64_e32 v[145:146], v[2:3], v[12:13]
	v_mul_f64_e32 v[12:13], v[4:5], v[12:13]
	v_fma_f64 v[147:148], v[151:152], v[6:7], v[153:154]
	v_fma_f64 v[6:7], v[149:150], v[6:7], -v[8:9]
	v_add_f64_e32 v[8:9], v[141:142], v[157:158]
	v_add_f64_e32 v[141:142], v[143:144], v[155:156]
	s_wait_loadcnt_dscnt 0x500
	v_mul_f64_e32 v[143:144], v[34:35], v[16:17]
	v_mul_f64_e32 v[16:17], v[36:37], v[16:17]
	v_fma_f64 v[145:146], v[4:5], v[10:11], v[145:146]
	v_fma_f64 v[10:11], v[2:3], v[10:11], -v[12:13]
	v_add_f64_e32 v[12:13], v[8:9], v[6:7]
	v_add_f64_e32 v[141:142], v[141:142], v[147:148]
	ds_load_b128 v[2:5], v1 offset:1424
	ds_load_b128 v[6:9], v1 offset:1440
	v_fma_f64 v[36:37], v[36:37], v[14:15], v[143:144]
	v_fma_f64 v[14:15], v[34:35], v[14:15], -v[16:17]
	s_wait_loadcnt_dscnt 0x401
	v_mul_f64_e32 v[147:148], v[2:3], v[20:21]
	v_mul_f64_e32 v[20:21], v[4:5], v[20:21]
	s_wait_loadcnt_dscnt 0x300
	v_mul_f64_e32 v[16:17], v[6:7], v[24:25]
	v_mul_f64_e32 v[24:25], v[8:9], v[24:25]
	v_add_f64_e32 v[10:11], v[12:13], v[10:11]
	v_add_f64_e32 v[12:13], v[141:142], v[145:146]
	v_fma_f64 v[34:35], v[4:5], v[18:19], v[147:148]
	v_fma_f64 v[18:19], v[2:3], v[18:19], -v[20:21]
	v_fma_f64 v[8:9], v[8:9], v[22:23], v[16:17]
	v_fma_f64 v[6:7], v[6:7], v[22:23], -v[24:25]
	v_add_f64_e32 v[14:15], v[10:11], v[14:15]
	v_add_f64_e32 v[20:21], v[12:13], v[36:37]
	ds_load_b128 v[2:5], v1 offset:1456
	ds_load_b128 v[10:13], v1 offset:1472
	s_wait_loadcnt_dscnt 0x201
	v_mul_f64_e32 v[36:37], v[2:3], v[28:29]
	v_mul_f64_e32 v[28:29], v[4:5], v[28:29]
	v_add_f64_e32 v[14:15], v[14:15], v[18:19]
	v_add_f64_e32 v[16:17], v[20:21], v[34:35]
	s_wait_loadcnt_dscnt 0x100
	v_mul_f64_e32 v[18:19], v[10:11], v[32:33]
	v_mul_f64_e32 v[20:21], v[12:13], v[32:33]
	v_fma_f64 v[22:23], v[4:5], v[26:27], v[36:37]
	v_fma_f64 v[24:25], v[2:3], v[26:27], -v[28:29]
	ds_load_b128 v[2:5], v1 offset:1488
	v_add_f64_e32 v[6:7], v[14:15], v[6:7]
	v_add_f64_e32 v[8:9], v[16:17], v[8:9]
	v_fma_f64 v[12:13], v[12:13], v[30:31], v[18:19]
	v_fma_f64 v[10:11], v[10:11], v[30:31], -v[20:21]
	s_wait_loadcnt_dscnt 0x0
	v_mul_f64_e32 v[14:15], v[2:3], v[40:41]
	v_mul_f64_e32 v[16:17], v[4:5], v[40:41]
	v_add_f64_e32 v[6:7], v[6:7], v[24:25]
	v_add_f64_e32 v[8:9], v[8:9], v[22:23]
	s_delay_alu instid0(VALU_DEP_4) | instskip(NEXT) | instid1(VALU_DEP_4)
	v_fma_f64 v[4:5], v[4:5], v[38:39], v[14:15]
	v_fma_f64 v[2:3], v[2:3], v[38:39], -v[16:17]
	s_delay_alu instid0(VALU_DEP_4) | instskip(NEXT) | instid1(VALU_DEP_4)
	v_add_f64_e32 v[6:7], v[6:7], v[10:11]
	v_add_f64_e32 v[8:9], v[8:9], v[12:13]
	s_delay_alu instid0(VALU_DEP_2) | instskip(NEXT) | instid1(VALU_DEP_2)
	v_add_f64_e32 v[2:3], v[6:7], v[2:3]
	v_add_f64_e32 v[4:5], v[8:9], v[4:5]
	s_delay_alu instid0(VALU_DEP_2) | instskip(NEXT) | instid1(VALU_DEP_2)
	v_add_f64_e64 v[2:3], v[42:43], -v[2:3]
	v_add_f64_e64 v[4:5], v[44:45], -v[4:5]
	scratch_store_b128 off, v[2:5], off offset:288
	v_cmpx_lt_u32_e32 16, v0
	s_cbranch_execz .LBB110_263
; %bb.262:
	scratch_load_b128 v[5:8], off, s44
	v_dual_mov_b32 v2, v1 :: v_dual_mov_b32 v3, v1
	v_mov_b32_e32 v4, v1
	scratch_store_b128 off, v[1:4], off offset:272
	s_wait_loadcnt 0x0
	ds_store_b128 v140, v[5:8]
.LBB110_263:
	s_wait_alu 0xfffe
	s_or_b32 exec_lo, exec_lo, s0
	s_wait_storecnt_dscnt 0x0
	s_barrier_signal -1
	s_barrier_wait -1
	global_inv scope:SCOPE_SE
	s_clause 0x8
	scratch_load_b128 v[2:5], off, off offset:288
	scratch_load_b128 v[6:9], off, off offset:304
	;; [unrolled: 1-line block ×9, first 2 shown]
	ds_load_b128 v[38:41], v1 offset:1024
	ds_load_b128 v[42:45], v1 offset:1040
	s_clause 0x1
	scratch_load_b128 v[141:144], off, off offset:272
	scratch_load_b128 v[145:148], off, off offset:432
	s_mov_b32 s0, exec_lo
	s_wait_loadcnt_dscnt 0xa01
	v_mul_f64_e32 v[149:150], v[40:41], v[4:5]
	v_mul_f64_e32 v[4:5], v[38:39], v[4:5]
	s_wait_loadcnt_dscnt 0x900
	v_mul_f64_e32 v[153:154], v[42:43], v[8:9]
	v_mul_f64_e32 v[8:9], v[44:45], v[8:9]
	s_delay_alu instid0(VALU_DEP_4) | instskip(NEXT) | instid1(VALU_DEP_4)
	v_fma_f64 v[155:156], v[38:39], v[2:3], -v[149:150]
	v_fma_f64 v[157:158], v[40:41], v[2:3], v[4:5]
	ds_load_b128 v[2:5], v1 offset:1056
	ds_load_b128 v[149:152], v1 offset:1072
	scratch_load_b128 v[38:41], off, off offset:448
	v_fma_f64 v[44:45], v[44:45], v[6:7], v[153:154]
	v_fma_f64 v[42:43], v[42:43], v[6:7], -v[8:9]
	scratch_load_b128 v[6:9], off, off offset:464
	s_wait_loadcnt_dscnt 0xa01
	v_mul_f64_e32 v[159:160], v[2:3], v[12:13]
	v_mul_f64_e32 v[12:13], v[4:5], v[12:13]
	v_add_f64_e32 v[153:154], 0, v[155:156]
	v_add_f64_e32 v[155:156], 0, v[157:158]
	s_wait_loadcnt_dscnt 0x900
	v_mul_f64_e32 v[157:158], v[149:150], v[16:17]
	v_mul_f64_e32 v[16:17], v[151:152], v[16:17]
	v_fma_f64 v[159:160], v[4:5], v[10:11], v[159:160]
	v_fma_f64 v[161:162], v[2:3], v[10:11], -v[12:13]
	ds_load_b128 v[2:5], v1 offset:1088
	scratch_load_b128 v[10:13], off, off offset:480
	v_add_f64_e32 v[153:154], v[153:154], v[42:43]
	v_add_f64_e32 v[155:156], v[155:156], v[44:45]
	ds_load_b128 v[42:45], v1 offset:1104
	v_fma_f64 v[151:152], v[151:152], v[14:15], v[157:158]
	v_fma_f64 v[149:150], v[149:150], v[14:15], -v[16:17]
	scratch_load_b128 v[14:17], off, off offset:496
	s_wait_loadcnt_dscnt 0xa01
	v_mul_f64_e32 v[163:164], v[2:3], v[20:21]
	v_mul_f64_e32 v[20:21], v[4:5], v[20:21]
	s_wait_loadcnt_dscnt 0x900
	v_mul_f64_e32 v[157:158], v[42:43], v[24:25]
	v_mul_f64_e32 v[24:25], v[44:45], v[24:25]
	v_add_f64_e32 v[153:154], v[153:154], v[161:162]
	v_add_f64_e32 v[155:156], v[155:156], v[159:160]
	v_fma_f64 v[159:160], v[4:5], v[18:19], v[163:164]
	v_fma_f64 v[161:162], v[2:3], v[18:19], -v[20:21]
	ds_load_b128 v[2:5], v1 offset:1120
	scratch_load_b128 v[18:21], off, off offset:512
	v_fma_f64 v[44:45], v[44:45], v[22:23], v[157:158]
	v_fma_f64 v[42:43], v[42:43], v[22:23], -v[24:25]
	scratch_load_b128 v[22:25], off, off offset:528
	v_add_f64_e32 v[153:154], v[153:154], v[149:150]
	v_add_f64_e32 v[155:156], v[155:156], v[151:152]
	ds_load_b128 v[149:152], v1 offset:1136
	s_wait_loadcnt_dscnt 0xa01
	v_mul_f64_e32 v[163:164], v[2:3], v[28:29]
	v_mul_f64_e32 v[28:29], v[4:5], v[28:29]
	s_wait_loadcnt_dscnt 0x900
	v_mul_f64_e32 v[157:158], v[149:150], v[32:33]
	v_mul_f64_e32 v[32:33], v[151:152], v[32:33]
	v_add_f64_e32 v[153:154], v[153:154], v[161:162]
	v_add_f64_e32 v[155:156], v[155:156], v[159:160]
	v_fma_f64 v[159:160], v[4:5], v[26:27], v[163:164]
	v_fma_f64 v[161:162], v[2:3], v[26:27], -v[28:29]
	ds_load_b128 v[2:5], v1 offset:1152
	scratch_load_b128 v[26:29], off, off offset:544
	v_fma_f64 v[151:152], v[151:152], v[30:31], v[157:158]
	v_fma_f64 v[149:150], v[149:150], v[30:31], -v[32:33]
	scratch_load_b128 v[30:33], off, off offset:560
	v_add_f64_e32 v[153:154], v[153:154], v[42:43]
	v_add_f64_e32 v[155:156], v[155:156], v[44:45]
	ds_load_b128 v[42:45], v1 offset:1168
	s_wait_loadcnt_dscnt 0xa01
	v_mul_f64_e32 v[163:164], v[2:3], v[36:37]
	v_mul_f64_e32 v[36:37], v[4:5], v[36:37]
	s_wait_loadcnt_dscnt 0x800
	v_mul_f64_e32 v[157:158], v[42:43], v[147:148]
	v_add_f64_e32 v[153:154], v[153:154], v[161:162]
	v_add_f64_e32 v[155:156], v[155:156], v[159:160]
	v_mul_f64_e32 v[159:160], v[44:45], v[147:148]
	v_fma_f64 v[161:162], v[4:5], v[34:35], v[163:164]
	v_fma_f64 v[163:164], v[2:3], v[34:35], -v[36:37]
	ds_load_b128 v[2:5], v1 offset:1184
	scratch_load_b128 v[34:37], off, off offset:576
	v_fma_f64 v[44:45], v[44:45], v[145:146], v[157:158]
	v_add_f64_e32 v[153:154], v[153:154], v[149:150]
	v_add_f64_e32 v[151:152], v[155:156], v[151:152]
	ds_load_b128 v[147:150], v1 offset:1200
	v_fma_f64 v[145:146], v[42:43], v[145:146], -v[159:160]
	s_wait_loadcnt_dscnt 0x801
	v_mul_f64_e32 v[155:156], v[2:3], v[40:41]
	v_mul_f64_e32 v[165:166], v[4:5], v[40:41]
	scratch_load_b128 v[40:43], off, off offset:592
	s_wait_loadcnt_dscnt 0x800
	v_mul_f64_e32 v[159:160], v[147:148], v[8:9]
	v_mul_f64_e32 v[8:9], v[149:150], v[8:9]
	v_add_f64_e32 v[153:154], v[153:154], v[163:164]
	v_add_f64_e32 v[151:152], v[151:152], v[161:162]
	v_fma_f64 v[161:162], v[4:5], v[38:39], v[155:156]
	v_fma_f64 v[38:39], v[2:3], v[38:39], -v[165:166]
	ds_load_b128 v[2:5], v1 offset:1216
	ds_load_b128 v[155:158], v1 offset:1232
	v_fma_f64 v[149:150], v[149:150], v[6:7], v[159:160]
	v_fma_f64 v[147:148], v[147:148], v[6:7], -v[8:9]
	scratch_load_b128 v[6:9], off, off offset:624
	v_add_f64_e32 v[145:146], v[153:154], v[145:146]
	v_add_f64_e32 v[44:45], v[151:152], v[44:45]
	scratch_load_b128 v[151:154], off, off offset:608
	s_wait_loadcnt_dscnt 0x901
	v_mul_f64_e32 v[163:164], v[2:3], v[12:13]
	v_mul_f64_e32 v[12:13], v[4:5], v[12:13]
	s_wait_loadcnt_dscnt 0x800
	v_mul_f64_e32 v[159:160], v[155:156], v[16:17]
	v_mul_f64_e32 v[16:17], v[157:158], v[16:17]
	v_add_f64_e32 v[38:39], v[145:146], v[38:39]
	v_add_f64_e32 v[44:45], v[44:45], v[161:162]
	v_fma_f64 v[161:162], v[4:5], v[10:11], v[163:164]
	v_fma_f64 v[163:164], v[2:3], v[10:11], -v[12:13]
	ds_load_b128 v[2:5], v1 offset:1248
	scratch_load_b128 v[10:13], off, off offset:640
	v_fma_f64 v[157:158], v[157:158], v[14:15], v[159:160]
	v_fma_f64 v[155:156], v[155:156], v[14:15], -v[16:17]
	scratch_load_b128 v[14:17], off, off offset:656
	v_add_f64_e32 v[38:39], v[38:39], v[147:148]
	v_add_f64_e32 v[44:45], v[44:45], v[149:150]
	ds_load_b128 v[145:148], v1 offset:1264
	s_wait_loadcnt_dscnt 0x901
	v_mul_f64_e32 v[149:150], v[2:3], v[20:21]
	v_mul_f64_e32 v[20:21], v[4:5], v[20:21]
	s_wait_loadcnt_dscnt 0x800
	v_mul_f64_e32 v[159:160], v[145:146], v[24:25]
	v_mul_f64_e32 v[24:25], v[147:148], v[24:25]
	v_add_f64_e32 v[38:39], v[38:39], v[163:164]
	v_add_f64_e32 v[44:45], v[44:45], v[161:162]
	v_fma_f64 v[149:150], v[4:5], v[18:19], v[149:150]
	v_fma_f64 v[161:162], v[2:3], v[18:19], -v[20:21]
	ds_load_b128 v[2:5], v1 offset:1280
	scratch_load_b128 v[18:21], off, off offset:672
	v_fma_f64 v[147:148], v[147:148], v[22:23], v[159:160]
	v_fma_f64 v[145:146], v[145:146], v[22:23], -v[24:25]
	scratch_load_b128 v[22:25], off, off offset:688
	v_add_f64_e32 v[38:39], v[38:39], v[155:156]
	v_add_f64_e32 v[44:45], v[44:45], v[157:158]
	ds_load_b128 v[155:158], v1 offset:1296
	s_wait_loadcnt_dscnt 0x901
	v_mul_f64_e32 v[163:164], v[2:3], v[28:29]
	v_mul_f64_e32 v[28:29], v[4:5], v[28:29]
	v_add_f64_e32 v[38:39], v[38:39], v[161:162]
	v_add_f64_e32 v[44:45], v[44:45], v[149:150]
	s_wait_loadcnt_dscnt 0x800
	v_mul_f64_e32 v[149:150], v[155:156], v[32:33]
	v_mul_f64_e32 v[32:33], v[157:158], v[32:33]
	v_fma_f64 v[159:160], v[4:5], v[26:27], v[163:164]
	v_fma_f64 v[161:162], v[2:3], v[26:27], -v[28:29]
	ds_load_b128 v[2:5], v1 offset:1312
	scratch_load_b128 v[26:29], off, off offset:704
	v_add_f64_e32 v[38:39], v[38:39], v[145:146]
	v_add_f64_e32 v[44:45], v[44:45], v[147:148]
	ds_load_b128 v[145:148], v1 offset:1328
	s_wait_loadcnt_dscnt 0x801
	v_mul_f64_e32 v[163:164], v[2:3], v[36:37]
	v_mul_f64_e32 v[36:37], v[4:5], v[36:37]
	v_fma_f64 v[149:150], v[157:158], v[30:31], v[149:150]
	v_fma_f64 v[155:156], v[155:156], v[30:31], -v[32:33]
	scratch_load_b128 v[30:33], off, off offset:720
	s_wait_loadcnt_dscnt 0x800
	v_mul_f64_e32 v[157:158], v[145:146], v[42:43]
	v_add_f64_e32 v[38:39], v[38:39], v[161:162]
	v_add_f64_e32 v[44:45], v[44:45], v[159:160]
	v_mul_f64_e32 v[159:160], v[147:148], v[42:43]
	v_fma_f64 v[161:162], v[4:5], v[34:35], v[163:164]
	v_fma_f64 v[163:164], v[2:3], v[34:35], -v[36:37]
	ds_load_b128 v[2:5], v1 offset:1344
	scratch_load_b128 v[34:37], off, off offset:736
	v_fma_f64 v[147:148], v[147:148], v[40:41], v[157:158]
	v_add_f64_e32 v[38:39], v[38:39], v[155:156]
	v_add_f64_e32 v[149:150], v[44:45], v[149:150]
	ds_load_b128 v[42:45], v1 offset:1360
	v_fma_f64 v[145:146], v[145:146], v[40:41], -v[159:160]
	s_wait_loadcnt_dscnt 0x701
	v_mul_f64_e32 v[155:156], v[2:3], v[153:154]
	v_mul_f64_e32 v[153:154], v[4:5], v[153:154]
	s_wait_dscnt 0x0
	v_mul_f64_e32 v[159:160], v[42:43], v[8:9]
	v_mul_f64_e32 v[8:9], v[44:45], v[8:9]
	v_add_f64_e32 v[157:158], v[38:39], v[163:164]
	v_add_f64_e32 v[149:150], v[149:150], v[161:162]
	scratch_load_b128 v[38:41], off, off offset:752
	v_fma_f64 v[155:156], v[4:5], v[151:152], v[155:156]
	v_fma_f64 v[151:152], v[2:3], v[151:152], -v[153:154]
	v_fma_f64 v[44:45], v[44:45], v[6:7], v[159:160]
	v_fma_f64 v[6:7], v[42:43], v[6:7], -v[8:9]
	v_add_f64_e32 v[153:154], v[157:158], v[145:146]
	v_add_f64_e32 v[149:150], v[149:150], v[147:148]
	ds_load_b128 v[2:5], v1 offset:1376
	ds_load_b128 v[145:148], v1 offset:1392
	s_wait_loadcnt_dscnt 0x701
	v_mul_f64_e32 v[157:158], v[2:3], v[12:13]
	v_mul_f64_e32 v[12:13], v[4:5], v[12:13]
	v_add_f64_e32 v[8:9], v[153:154], v[151:152]
	v_add_f64_e32 v[42:43], v[149:150], v[155:156]
	s_wait_loadcnt_dscnt 0x600
	v_mul_f64_e32 v[149:150], v[145:146], v[16:17]
	v_mul_f64_e32 v[16:17], v[147:148], v[16:17]
	v_fma_f64 v[151:152], v[4:5], v[10:11], v[157:158]
	v_fma_f64 v[10:11], v[2:3], v[10:11], -v[12:13]
	v_add_f64_e32 v[12:13], v[8:9], v[6:7]
	v_add_f64_e32 v[42:43], v[42:43], v[44:45]
	ds_load_b128 v[2:5], v1 offset:1408
	ds_load_b128 v[6:9], v1 offset:1424
	v_fma_f64 v[147:148], v[147:148], v[14:15], v[149:150]
	v_fma_f64 v[14:15], v[145:146], v[14:15], -v[16:17]
	s_wait_loadcnt_dscnt 0x501
	v_mul_f64_e32 v[44:45], v[2:3], v[20:21]
	v_mul_f64_e32 v[20:21], v[4:5], v[20:21]
	s_wait_loadcnt_dscnt 0x400
	v_mul_f64_e32 v[16:17], v[6:7], v[24:25]
	v_mul_f64_e32 v[24:25], v[8:9], v[24:25]
	v_add_f64_e32 v[10:11], v[12:13], v[10:11]
	v_add_f64_e32 v[12:13], v[42:43], v[151:152]
	v_fma_f64 v[42:43], v[4:5], v[18:19], v[44:45]
	v_fma_f64 v[18:19], v[2:3], v[18:19], -v[20:21]
	v_fma_f64 v[8:9], v[8:9], v[22:23], v[16:17]
	v_fma_f64 v[6:7], v[6:7], v[22:23], -v[24:25]
	v_add_f64_e32 v[14:15], v[10:11], v[14:15]
	v_add_f64_e32 v[20:21], v[12:13], v[147:148]
	ds_load_b128 v[2:5], v1 offset:1440
	ds_load_b128 v[10:13], v1 offset:1456
	s_wait_loadcnt_dscnt 0x301
	v_mul_f64_e32 v[44:45], v[2:3], v[28:29]
	v_mul_f64_e32 v[28:29], v[4:5], v[28:29]
	v_add_f64_e32 v[14:15], v[14:15], v[18:19]
	v_add_f64_e32 v[16:17], v[20:21], v[42:43]
	s_wait_loadcnt_dscnt 0x200
	v_mul_f64_e32 v[18:19], v[10:11], v[32:33]
	v_mul_f64_e32 v[20:21], v[12:13], v[32:33]
	v_fma_f64 v[22:23], v[4:5], v[26:27], v[44:45]
	v_fma_f64 v[24:25], v[2:3], v[26:27], -v[28:29]
	v_add_f64_e32 v[14:15], v[14:15], v[6:7]
	v_add_f64_e32 v[16:17], v[16:17], v[8:9]
	ds_load_b128 v[2:5], v1 offset:1472
	ds_load_b128 v[6:9], v1 offset:1488
	v_fma_f64 v[12:13], v[12:13], v[30:31], v[18:19]
	v_fma_f64 v[10:11], v[10:11], v[30:31], -v[20:21]
	s_wait_loadcnt_dscnt 0x101
	v_mul_f64_e32 v[26:27], v[2:3], v[36:37]
	v_mul_f64_e32 v[28:29], v[4:5], v[36:37]
	v_add_f64_e32 v[14:15], v[14:15], v[24:25]
	v_add_f64_e32 v[16:17], v[16:17], v[22:23]
	s_wait_loadcnt_dscnt 0x0
	v_mul_f64_e32 v[18:19], v[6:7], v[40:41]
	v_mul_f64_e32 v[20:21], v[8:9], v[40:41]
	v_fma_f64 v[4:5], v[4:5], v[34:35], v[26:27]
	v_fma_f64 v[1:2], v[2:3], v[34:35], -v[28:29]
	v_add_f64_e32 v[10:11], v[14:15], v[10:11]
	v_add_f64_e32 v[12:13], v[16:17], v[12:13]
	v_fma_f64 v[8:9], v[8:9], v[38:39], v[18:19]
	v_fma_f64 v[6:7], v[6:7], v[38:39], -v[20:21]
	s_delay_alu instid0(VALU_DEP_4) | instskip(NEXT) | instid1(VALU_DEP_4)
	v_add_f64_e32 v[1:2], v[10:11], v[1:2]
	v_add_f64_e32 v[3:4], v[12:13], v[4:5]
	s_delay_alu instid0(VALU_DEP_2) | instskip(NEXT) | instid1(VALU_DEP_2)
	v_add_f64_e32 v[1:2], v[1:2], v[6:7]
	v_add_f64_e32 v[3:4], v[3:4], v[8:9]
	s_delay_alu instid0(VALU_DEP_2) | instskip(NEXT) | instid1(VALU_DEP_2)
	v_add_f64_e64 v[1:2], v[141:142], -v[1:2]
	v_add_f64_e64 v[3:4], v[143:144], -v[3:4]
	scratch_store_b128 off, v[1:4], off offset:272
	v_cmpx_lt_u32_e32 15, v0
	s_cbranch_execz .LBB110_265
; %bb.264:
	scratch_load_b128 v[1:4], off, s45
	v_mov_b32_e32 v5, 0
	s_delay_alu instid0(VALU_DEP_1)
	v_dual_mov_b32 v6, v5 :: v_dual_mov_b32 v7, v5
	v_mov_b32_e32 v8, v5
	scratch_store_b128 off, v[5:8], off offset:256
	s_wait_loadcnt 0x0
	ds_store_b128 v140, v[1:4]
.LBB110_265:
	s_wait_alu 0xfffe
	s_or_b32 exec_lo, exec_lo, s0
	s_wait_storecnt_dscnt 0x0
	s_barrier_signal -1
	s_barrier_wait -1
	global_inv scope:SCOPE_SE
	s_clause 0x7
	scratch_load_b128 v[2:5], off, off offset:272
	scratch_load_b128 v[6:9], off, off offset:288
	;; [unrolled: 1-line block ×8, first 2 shown]
	v_mov_b32_e32 v1, 0
	s_mov_b32 s0, exec_lo
	ds_load_b128 v[34:37], v1 offset:1008
	s_clause 0x1
	scratch_load_b128 v[38:41], off, off offset:400
	scratch_load_b128 v[42:45], off, off offset:256
	ds_load_b128 v[141:144], v1 offset:1024
	scratch_load_b128 v[145:148], off, off offset:416
	s_wait_loadcnt_dscnt 0xa01
	v_mul_f64_e32 v[149:150], v[36:37], v[4:5]
	v_mul_f64_e32 v[4:5], v[34:35], v[4:5]
	s_delay_alu instid0(VALU_DEP_2) | instskip(NEXT) | instid1(VALU_DEP_2)
	v_fma_f64 v[155:156], v[34:35], v[2:3], -v[149:150]
	v_fma_f64 v[157:158], v[36:37], v[2:3], v[4:5]
	ds_load_b128 v[2:5], v1 offset:1040
	s_wait_loadcnt_dscnt 0x901
	v_mul_f64_e32 v[153:154], v[141:142], v[8:9]
	v_mul_f64_e32 v[8:9], v[143:144], v[8:9]
	scratch_load_b128 v[34:37], off, off offset:432
	ds_load_b128 v[149:152], v1 offset:1056
	s_wait_loadcnt_dscnt 0x901
	v_mul_f64_e32 v[159:160], v[2:3], v[12:13]
	v_mul_f64_e32 v[12:13], v[4:5], v[12:13]
	v_fma_f64 v[143:144], v[143:144], v[6:7], v[153:154]
	v_fma_f64 v[141:142], v[141:142], v[6:7], -v[8:9]
	v_add_f64_e32 v[153:154], 0, v[155:156]
	v_add_f64_e32 v[155:156], 0, v[157:158]
	scratch_load_b128 v[6:9], off, off offset:448
	v_fma_f64 v[159:160], v[4:5], v[10:11], v[159:160]
	v_fma_f64 v[161:162], v[2:3], v[10:11], -v[12:13]
	ds_load_b128 v[2:5], v1 offset:1072
	s_wait_loadcnt_dscnt 0x901
	v_mul_f64_e32 v[157:158], v[149:150], v[16:17]
	v_mul_f64_e32 v[16:17], v[151:152], v[16:17]
	scratch_load_b128 v[10:13], off, off offset:464
	v_add_f64_e32 v[153:154], v[153:154], v[141:142]
	v_add_f64_e32 v[155:156], v[155:156], v[143:144]
	s_wait_loadcnt_dscnt 0x900
	v_mul_f64_e32 v[163:164], v[2:3], v[20:21]
	v_mul_f64_e32 v[20:21], v[4:5], v[20:21]
	ds_load_b128 v[141:144], v1 offset:1088
	v_fma_f64 v[151:152], v[151:152], v[14:15], v[157:158]
	v_fma_f64 v[149:150], v[149:150], v[14:15], -v[16:17]
	scratch_load_b128 v[14:17], off, off offset:480
	v_add_f64_e32 v[153:154], v[153:154], v[161:162]
	v_add_f64_e32 v[155:156], v[155:156], v[159:160]
	v_fma_f64 v[159:160], v[4:5], v[18:19], v[163:164]
	v_fma_f64 v[161:162], v[2:3], v[18:19], -v[20:21]
	ds_load_b128 v[2:5], v1 offset:1104
	s_wait_loadcnt_dscnt 0x901
	v_mul_f64_e32 v[157:158], v[141:142], v[24:25]
	v_mul_f64_e32 v[24:25], v[143:144], v[24:25]
	scratch_load_b128 v[18:21], off, off offset:496
	s_wait_loadcnt_dscnt 0x900
	v_mul_f64_e32 v[163:164], v[2:3], v[28:29]
	v_mul_f64_e32 v[28:29], v[4:5], v[28:29]
	v_add_f64_e32 v[153:154], v[153:154], v[149:150]
	v_add_f64_e32 v[155:156], v[155:156], v[151:152]
	ds_load_b128 v[149:152], v1 offset:1120
	v_fma_f64 v[143:144], v[143:144], v[22:23], v[157:158]
	v_fma_f64 v[141:142], v[141:142], v[22:23], -v[24:25]
	scratch_load_b128 v[22:25], off, off offset:512
	v_add_f64_e32 v[153:154], v[153:154], v[161:162]
	v_add_f64_e32 v[155:156], v[155:156], v[159:160]
	v_fma_f64 v[159:160], v[4:5], v[26:27], v[163:164]
	v_fma_f64 v[161:162], v[2:3], v[26:27], -v[28:29]
	ds_load_b128 v[2:5], v1 offset:1136
	s_wait_loadcnt_dscnt 0x901
	v_mul_f64_e32 v[157:158], v[149:150], v[32:33]
	v_mul_f64_e32 v[32:33], v[151:152], v[32:33]
	scratch_load_b128 v[26:29], off, off offset:528
	s_wait_loadcnt_dscnt 0x900
	v_mul_f64_e32 v[163:164], v[2:3], v[40:41]
	v_mul_f64_e32 v[40:41], v[4:5], v[40:41]
	v_add_f64_e32 v[153:154], v[153:154], v[141:142]
	v_add_f64_e32 v[155:156], v[155:156], v[143:144]
	ds_load_b128 v[141:144], v1 offset:1152
	v_fma_f64 v[151:152], v[151:152], v[30:31], v[157:158]
	v_fma_f64 v[149:150], v[149:150], v[30:31], -v[32:33]
	scratch_load_b128 v[30:33], off, off offset:544
	v_add_f64_e32 v[153:154], v[153:154], v[161:162]
	v_add_f64_e32 v[155:156], v[155:156], v[159:160]
	v_fma_f64 v[161:162], v[4:5], v[38:39], v[163:164]
	v_fma_f64 v[163:164], v[2:3], v[38:39], -v[40:41]
	ds_load_b128 v[2:5], v1 offset:1168
	s_wait_loadcnt_dscnt 0x801
	v_mul_f64_e32 v[157:158], v[141:142], v[147:148]
	v_mul_f64_e32 v[159:160], v[143:144], v[147:148]
	scratch_load_b128 v[38:41], off, off offset:560
	v_add_f64_e32 v[153:154], v[153:154], v[149:150]
	v_add_f64_e32 v[151:152], v[155:156], v[151:152]
	ds_load_b128 v[147:150], v1 offset:1184
	v_fma_f64 v[157:158], v[143:144], v[145:146], v[157:158]
	v_fma_f64 v[145:146], v[141:142], v[145:146], -v[159:160]
	scratch_load_b128 v[141:144], off, off offset:576
	s_wait_loadcnt_dscnt 0x901
	v_mul_f64_e32 v[155:156], v[2:3], v[36:37]
	v_mul_f64_e32 v[36:37], v[4:5], v[36:37]
	v_add_f64_e32 v[153:154], v[153:154], v[163:164]
	v_add_f64_e32 v[151:152], v[151:152], v[161:162]
	s_delay_alu instid0(VALU_DEP_4) | instskip(NEXT) | instid1(VALU_DEP_4)
	v_fma_f64 v[155:156], v[4:5], v[34:35], v[155:156]
	v_fma_f64 v[161:162], v[2:3], v[34:35], -v[36:37]
	ds_load_b128 v[2:5], v1 offset:1200
	s_wait_loadcnt_dscnt 0x801
	v_mul_f64_e32 v[159:160], v[147:148], v[8:9]
	v_mul_f64_e32 v[8:9], v[149:150], v[8:9]
	scratch_load_b128 v[34:37], off, off offset:592
	s_wait_loadcnt_dscnt 0x800
	v_mul_f64_e32 v[163:164], v[2:3], v[12:13]
	v_add_f64_e32 v[145:146], v[153:154], v[145:146]
	v_add_f64_e32 v[157:158], v[151:152], v[157:158]
	v_mul_f64_e32 v[12:13], v[4:5], v[12:13]
	ds_load_b128 v[151:154], v1 offset:1216
	v_fma_f64 v[149:150], v[149:150], v[6:7], v[159:160]
	v_fma_f64 v[147:148], v[147:148], v[6:7], -v[8:9]
	scratch_load_b128 v[6:9], off, off offset:608
	v_fma_f64 v[159:160], v[4:5], v[10:11], v[163:164]
	v_add_f64_e32 v[145:146], v[145:146], v[161:162]
	v_add_f64_e32 v[155:156], v[157:158], v[155:156]
	v_fma_f64 v[161:162], v[2:3], v[10:11], -v[12:13]
	ds_load_b128 v[2:5], v1 offset:1232
	s_wait_loadcnt_dscnt 0x801
	v_mul_f64_e32 v[157:158], v[151:152], v[16:17]
	v_mul_f64_e32 v[16:17], v[153:154], v[16:17]
	scratch_load_b128 v[10:13], off, off offset:624
	v_add_f64_e32 v[163:164], v[145:146], v[147:148]
	v_add_f64_e32 v[149:150], v[155:156], v[149:150]
	s_wait_loadcnt_dscnt 0x800
	v_mul_f64_e32 v[155:156], v[2:3], v[20:21]
	v_mul_f64_e32 v[20:21], v[4:5], v[20:21]
	v_fma_f64 v[153:154], v[153:154], v[14:15], v[157:158]
	v_fma_f64 v[151:152], v[151:152], v[14:15], -v[16:17]
	ds_load_b128 v[145:148], v1 offset:1248
	scratch_load_b128 v[14:17], off, off offset:640
	v_add_f64_e32 v[157:158], v[163:164], v[161:162]
	v_add_f64_e32 v[149:150], v[149:150], v[159:160]
	v_fma_f64 v[155:156], v[4:5], v[18:19], v[155:156]
	v_fma_f64 v[161:162], v[2:3], v[18:19], -v[20:21]
	ds_load_b128 v[2:5], v1 offset:1264
	s_wait_loadcnt_dscnt 0x801
	v_mul_f64_e32 v[159:160], v[145:146], v[24:25]
	v_mul_f64_e32 v[24:25], v[147:148], v[24:25]
	scratch_load_b128 v[18:21], off, off offset:656
	s_wait_loadcnt_dscnt 0x800
	v_mul_f64_e32 v[163:164], v[2:3], v[28:29]
	v_mul_f64_e32 v[28:29], v[4:5], v[28:29]
	v_add_f64_e32 v[157:158], v[157:158], v[151:152]
	v_add_f64_e32 v[153:154], v[149:150], v[153:154]
	ds_load_b128 v[149:152], v1 offset:1280
	v_fma_f64 v[147:148], v[147:148], v[22:23], v[159:160]
	v_fma_f64 v[145:146], v[145:146], v[22:23], -v[24:25]
	scratch_load_b128 v[22:25], off, off offset:672
	v_fma_f64 v[159:160], v[4:5], v[26:27], v[163:164]
	v_add_f64_e32 v[157:158], v[157:158], v[161:162]
	v_add_f64_e32 v[153:154], v[153:154], v[155:156]
	v_fma_f64 v[161:162], v[2:3], v[26:27], -v[28:29]
	ds_load_b128 v[2:5], v1 offset:1296
	s_wait_loadcnt_dscnt 0x801
	v_mul_f64_e32 v[155:156], v[149:150], v[32:33]
	v_mul_f64_e32 v[32:33], v[151:152], v[32:33]
	scratch_load_b128 v[26:29], off, off offset:688
	s_wait_loadcnt_dscnt 0x800
	v_mul_f64_e32 v[163:164], v[2:3], v[40:41]
	v_mul_f64_e32 v[40:41], v[4:5], v[40:41]
	v_add_f64_e32 v[157:158], v[157:158], v[145:146]
	v_add_f64_e32 v[153:154], v[153:154], v[147:148]
	ds_load_b128 v[145:148], v1 offset:1312
	v_fma_f64 v[151:152], v[151:152], v[30:31], v[155:156]
	v_fma_f64 v[149:150], v[149:150], v[30:31], -v[32:33]
	scratch_load_b128 v[30:33], off, off offset:704
	v_add_f64_e32 v[155:156], v[157:158], v[161:162]
	v_add_f64_e32 v[153:154], v[153:154], v[159:160]
	v_fma_f64 v[159:160], v[4:5], v[38:39], v[163:164]
	v_fma_f64 v[161:162], v[2:3], v[38:39], -v[40:41]
	ds_load_b128 v[2:5], v1 offset:1328
	s_wait_loadcnt_dscnt 0x801
	v_mul_f64_e32 v[157:158], v[145:146], v[143:144]
	v_mul_f64_e32 v[143:144], v[147:148], v[143:144]
	scratch_load_b128 v[38:41], off, off offset:720
	s_wait_loadcnt_dscnt 0x800
	v_mul_f64_e32 v[163:164], v[2:3], v[36:37]
	v_mul_f64_e32 v[36:37], v[4:5], v[36:37]
	v_add_f64_e32 v[155:156], v[155:156], v[149:150]
	v_add_f64_e32 v[153:154], v[153:154], v[151:152]
	ds_load_b128 v[149:152], v1 offset:1344
	v_fma_f64 v[147:148], v[147:148], v[141:142], v[157:158]
	v_fma_f64 v[145:146], v[145:146], v[141:142], -v[143:144]
	scratch_load_b128 v[141:144], off, off offset:736
	v_add_f64_e32 v[155:156], v[155:156], v[161:162]
	v_add_f64_e32 v[153:154], v[153:154], v[159:160]
	v_fma_f64 v[159:160], v[4:5], v[34:35], v[163:164]
	v_fma_f64 v[161:162], v[2:3], v[34:35], -v[36:37]
	ds_load_b128 v[2:5], v1 offset:1360
	s_wait_loadcnt_dscnt 0x801
	v_mul_f64_e32 v[157:158], v[149:150], v[8:9]
	v_mul_f64_e32 v[8:9], v[151:152], v[8:9]
	scratch_load_b128 v[34:37], off, off offset:752
	s_wait_loadcnt_dscnt 0x800
	v_mul_f64_e32 v[163:164], v[2:3], v[12:13]
	v_mul_f64_e32 v[12:13], v[4:5], v[12:13]
	v_add_f64_e32 v[155:156], v[155:156], v[145:146]
	v_add_f64_e32 v[153:154], v[153:154], v[147:148]
	ds_load_b128 v[145:148], v1 offset:1376
	v_fma_f64 v[151:152], v[151:152], v[6:7], v[157:158]
	v_fma_f64 v[6:7], v[149:150], v[6:7], -v[8:9]
	v_add_f64_e32 v[8:9], v[155:156], v[161:162]
	v_add_f64_e32 v[149:150], v[153:154], v[159:160]
	s_wait_loadcnt_dscnt 0x700
	v_mul_f64_e32 v[153:154], v[145:146], v[16:17]
	v_mul_f64_e32 v[16:17], v[147:148], v[16:17]
	v_fma_f64 v[155:156], v[4:5], v[10:11], v[163:164]
	v_fma_f64 v[10:11], v[2:3], v[10:11], -v[12:13]
	v_add_f64_e32 v[12:13], v[8:9], v[6:7]
	v_add_f64_e32 v[149:150], v[149:150], v[151:152]
	ds_load_b128 v[2:5], v1 offset:1392
	ds_load_b128 v[6:9], v1 offset:1408
	v_fma_f64 v[147:148], v[147:148], v[14:15], v[153:154]
	v_fma_f64 v[14:15], v[145:146], v[14:15], -v[16:17]
	s_wait_loadcnt_dscnt 0x601
	v_mul_f64_e32 v[151:152], v[2:3], v[20:21]
	v_mul_f64_e32 v[20:21], v[4:5], v[20:21]
	s_wait_loadcnt_dscnt 0x500
	v_mul_f64_e32 v[16:17], v[6:7], v[24:25]
	v_mul_f64_e32 v[24:25], v[8:9], v[24:25]
	v_add_f64_e32 v[10:11], v[12:13], v[10:11]
	v_add_f64_e32 v[12:13], v[149:150], v[155:156]
	v_fma_f64 v[145:146], v[4:5], v[18:19], v[151:152]
	v_fma_f64 v[18:19], v[2:3], v[18:19], -v[20:21]
	v_fma_f64 v[8:9], v[8:9], v[22:23], v[16:17]
	v_fma_f64 v[6:7], v[6:7], v[22:23], -v[24:25]
	v_add_f64_e32 v[14:15], v[10:11], v[14:15]
	v_add_f64_e32 v[20:21], v[12:13], v[147:148]
	ds_load_b128 v[2:5], v1 offset:1424
	ds_load_b128 v[10:13], v1 offset:1440
	s_wait_loadcnt_dscnt 0x401
	v_mul_f64_e32 v[147:148], v[2:3], v[28:29]
	v_mul_f64_e32 v[28:29], v[4:5], v[28:29]
	v_add_f64_e32 v[14:15], v[14:15], v[18:19]
	v_add_f64_e32 v[16:17], v[20:21], v[145:146]
	s_wait_loadcnt_dscnt 0x300
	v_mul_f64_e32 v[18:19], v[10:11], v[32:33]
	v_mul_f64_e32 v[20:21], v[12:13], v[32:33]
	v_fma_f64 v[22:23], v[4:5], v[26:27], v[147:148]
	v_fma_f64 v[24:25], v[2:3], v[26:27], -v[28:29]
	v_add_f64_e32 v[14:15], v[14:15], v[6:7]
	v_add_f64_e32 v[16:17], v[16:17], v[8:9]
	ds_load_b128 v[2:5], v1 offset:1456
	ds_load_b128 v[6:9], v1 offset:1472
	v_fma_f64 v[12:13], v[12:13], v[30:31], v[18:19]
	v_fma_f64 v[10:11], v[10:11], v[30:31], -v[20:21]
	s_wait_loadcnt_dscnt 0x201
	v_mul_f64_e32 v[26:27], v[2:3], v[40:41]
	v_mul_f64_e32 v[28:29], v[4:5], v[40:41]
	s_wait_loadcnt_dscnt 0x100
	v_mul_f64_e32 v[18:19], v[6:7], v[143:144]
	v_mul_f64_e32 v[20:21], v[8:9], v[143:144]
	v_add_f64_e32 v[14:15], v[14:15], v[24:25]
	v_add_f64_e32 v[16:17], v[16:17], v[22:23]
	v_fma_f64 v[22:23], v[4:5], v[38:39], v[26:27]
	v_fma_f64 v[24:25], v[2:3], v[38:39], -v[28:29]
	ds_load_b128 v[2:5], v1 offset:1488
	v_fma_f64 v[8:9], v[8:9], v[141:142], v[18:19]
	v_fma_f64 v[6:7], v[6:7], v[141:142], -v[20:21]
	v_add_f64_e32 v[10:11], v[14:15], v[10:11]
	v_add_f64_e32 v[12:13], v[16:17], v[12:13]
	s_wait_loadcnt_dscnt 0x0
	v_mul_f64_e32 v[14:15], v[2:3], v[36:37]
	v_mul_f64_e32 v[16:17], v[4:5], v[36:37]
	s_delay_alu instid0(VALU_DEP_4) | instskip(NEXT) | instid1(VALU_DEP_4)
	v_add_f64_e32 v[10:11], v[10:11], v[24:25]
	v_add_f64_e32 v[12:13], v[12:13], v[22:23]
	s_delay_alu instid0(VALU_DEP_4) | instskip(NEXT) | instid1(VALU_DEP_4)
	v_fma_f64 v[4:5], v[4:5], v[34:35], v[14:15]
	v_fma_f64 v[2:3], v[2:3], v[34:35], -v[16:17]
	s_delay_alu instid0(VALU_DEP_4) | instskip(NEXT) | instid1(VALU_DEP_4)
	v_add_f64_e32 v[6:7], v[10:11], v[6:7]
	v_add_f64_e32 v[8:9], v[12:13], v[8:9]
	s_delay_alu instid0(VALU_DEP_2) | instskip(NEXT) | instid1(VALU_DEP_2)
	v_add_f64_e32 v[2:3], v[6:7], v[2:3]
	v_add_f64_e32 v[4:5], v[8:9], v[4:5]
	s_delay_alu instid0(VALU_DEP_2) | instskip(NEXT) | instid1(VALU_DEP_2)
	v_add_f64_e64 v[2:3], v[42:43], -v[2:3]
	v_add_f64_e64 v[4:5], v[44:45], -v[4:5]
	scratch_store_b128 off, v[2:5], off offset:256
	v_cmpx_lt_u32_e32 14, v0
	s_cbranch_execz .LBB110_267
; %bb.266:
	scratch_load_b128 v[5:8], off, s46
	v_dual_mov_b32 v2, v1 :: v_dual_mov_b32 v3, v1
	v_mov_b32_e32 v4, v1
	scratch_store_b128 off, v[1:4], off offset:240
	s_wait_loadcnt 0x0
	ds_store_b128 v140, v[5:8]
.LBB110_267:
	s_wait_alu 0xfffe
	s_or_b32 exec_lo, exec_lo, s0
	s_wait_storecnt_dscnt 0x0
	s_barrier_signal -1
	s_barrier_wait -1
	global_inv scope:SCOPE_SE
	s_clause 0x8
	scratch_load_b128 v[2:5], off, off offset:256
	scratch_load_b128 v[6:9], off, off offset:272
	;; [unrolled: 1-line block ×9, first 2 shown]
	ds_load_b128 v[38:41], v1 offset:992
	ds_load_b128 v[42:45], v1 offset:1008
	s_clause 0x1
	scratch_load_b128 v[141:144], off, off offset:240
	scratch_load_b128 v[145:148], off, off offset:400
	s_mov_b32 s0, exec_lo
	s_wait_loadcnt_dscnt 0xa01
	v_mul_f64_e32 v[149:150], v[40:41], v[4:5]
	v_mul_f64_e32 v[4:5], v[38:39], v[4:5]
	s_wait_loadcnt_dscnt 0x900
	v_mul_f64_e32 v[153:154], v[42:43], v[8:9]
	v_mul_f64_e32 v[8:9], v[44:45], v[8:9]
	s_delay_alu instid0(VALU_DEP_4) | instskip(NEXT) | instid1(VALU_DEP_4)
	v_fma_f64 v[155:156], v[38:39], v[2:3], -v[149:150]
	v_fma_f64 v[157:158], v[40:41], v[2:3], v[4:5]
	ds_load_b128 v[2:5], v1 offset:1024
	ds_load_b128 v[149:152], v1 offset:1040
	scratch_load_b128 v[38:41], off, off offset:416
	v_fma_f64 v[44:45], v[44:45], v[6:7], v[153:154]
	v_fma_f64 v[42:43], v[42:43], v[6:7], -v[8:9]
	scratch_load_b128 v[6:9], off, off offset:432
	s_wait_loadcnt_dscnt 0xa01
	v_mul_f64_e32 v[159:160], v[2:3], v[12:13]
	v_mul_f64_e32 v[12:13], v[4:5], v[12:13]
	v_add_f64_e32 v[153:154], 0, v[155:156]
	v_add_f64_e32 v[155:156], 0, v[157:158]
	s_wait_loadcnt_dscnt 0x900
	v_mul_f64_e32 v[157:158], v[149:150], v[16:17]
	v_mul_f64_e32 v[16:17], v[151:152], v[16:17]
	v_fma_f64 v[159:160], v[4:5], v[10:11], v[159:160]
	v_fma_f64 v[161:162], v[2:3], v[10:11], -v[12:13]
	ds_load_b128 v[2:5], v1 offset:1056
	scratch_load_b128 v[10:13], off, off offset:448
	v_add_f64_e32 v[153:154], v[153:154], v[42:43]
	v_add_f64_e32 v[155:156], v[155:156], v[44:45]
	ds_load_b128 v[42:45], v1 offset:1072
	v_fma_f64 v[151:152], v[151:152], v[14:15], v[157:158]
	v_fma_f64 v[149:150], v[149:150], v[14:15], -v[16:17]
	scratch_load_b128 v[14:17], off, off offset:464
	s_wait_loadcnt_dscnt 0xa01
	v_mul_f64_e32 v[163:164], v[2:3], v[20:21]
	v_mul_f64_e32 v[20:21], v[4:5], v[20:21]
	s_wait_loadcnt_dscnt 0x900
	v_mul_f64_e32 v[157:158], v[42:43], v[24:25]
	v_mul_f64_e32 v[24:25], v[44:45], v[24:25]
	v_add_f64_e32 v[153:154], v[153:154], v[161:162]
	v_add_f64_e32 v[155:156], v[155:156], v[159:160]
	v_fma_f64 v[159:160], v[4:5], v[18:19], v[163:164]
	v_fma_f64 v[161:162], v[2:3], v[18:19], -v[20:21]
	ds_load_b128 v[2:5], v1 offset:1088
	scratch_load_b128 v[18:21], off, off offset:480
	v_fma_f64 v[44:45], v[44:45], v[22:23], v[157:158]
	v_fma_f64 v[42:43], v[42:43], v[22:23], -v[24:25]
	scratch_load_b128 v[22:25], off, off offset:496
	v_add_f64_e32 v[153:154], v[153:154], v[149:150]
	v_add_f64_e32 v[155:156], v[155:156], v[151:152]
	ds_load_b128 v[149:152], v1 offset:1104
	s_wait_loadcnt_dscnt 0xa01
	v_mul_f64_e32 v[163:164], v[2:3], v[28:29]
	v_mul_f64_e32 v[28:29], v[4:5], v[28:29]
	s_wait_loadcnt_dscnt 0x900
	v_mul_f64_e32 v[157:158], v[149:150], v[32:33]
	v_mul_f64_e32 v[32:33], v[151:152], v[32:33]
	v_add_f64_e32 v[153:154], v[153:154], v[161:162]
	v_add_f64_e32 v[155:156], v[155:156], v[159:160]
	v_fma_f64 v[159:160], v[4:5], v[26:27], v[163:164]
	v_fma_f64 v[161:162], v[2:3], v[26:27], -v[28:29]
	ds_load_b128 v[2:5], v1 offset:1120
	scratch_load_b128 v[26:29], off, off offset:512
	v_fma_f64 v[151:152], v[151:152], v[30:31], v[157:158]
	v_fma_f64 v[149:150], v[149:150], v[30:31], -v[32:33]
	scratch_load_b128 v[30:33], off, off offset:528
	v_add_f64_e32 v[153:154], v[153:154], v[42:43]
	v_add_f64_e32 v[155:156], v[155:156], v[44:45]
	ds_load_b128 v[42:45], v1 offset:1136
	s_wait_loadcnt_dscnt 0xa01
	v_mul_f64_e32 v[163:164], v[2:3], v[36:37]
	v_mul_f64_e32 v[36:37], v[4:5], v[36:37]
	s_wait_loadcnt_dscnt 0x800
	v_mul_f64_e32 v[157:158], v[42:43], v[147:148]
	v_add_f64_e32 v[153:154], v[153:154], v[161:162]
	v_add_f64_e32 v[155:156], v[155:156], v[159:160]
	v_mul_f64_e32 v[159:160], v[44:45], v[147:148]
	v_fma_f64 v[161:162], v[4:5], v[34:35], v[163:164]
	v_fma_f64 v[163:164], v[2:3], v[34:35], -v[36:37]
	ds_load_b128 v[2:5], v1 offset:1152
	scratch_load_b128 v[34:37], off, off offset:544
	v_fma_f64 v[44:45], v[44:45], v[145:146], v[157:158]
	v_add_f64_e32 v[153:154], v[153:154], v[149:150]
	v_add_f64_e32 v[151:152], v[155:156], v[151:152]
	ds_load_b128 v[147:150], v1 offset:1168
	v_fma_f64 v[145:146], v[42:43], v[145:146], -v[159:160]
	s_wait_loadcnt_dscnt 0x801
	v_mul_f64_e32 v[155:156], v[2:3], v[40:41]
	v_mul_f64_e32 v[165:166], v[4:5], v[40:41]
	scratch_load_b128 v[40:43], off, off offset:560
	s_wait_loadcnt_dscnt 0x800
	v_mul_f64_e32 v[159:160], v[147:148], v[8:9]
	v_mul_f64_e32 v[8:9], v[149:150], v[8:9]
	v_add_f64_e32 v[153:154], v[153:154], v[163:164]
	v_add_f64_e32 v[151:152], v[151:152], v[161:162]
	v_fma_f64 v[161:162], v[4:5], v[38:39], v[155:156]
	v_fma_f64 v[38:39], v[2:3], v[38:39], -v[165:166]
	ds_load_b128 v[2:5], v1 offset:1184
	ds_load_b128 v[155:158], v1 offset:1200
	v_fma_f64 v[149:150], v[149:150], v[6:7], v[159:160]
	v_fma_f64 v[147:148], v[147:148], v[6:7], -v[8:9]
	scratch_load_b128 v[6:9], off, off offset:592
	v_add_f64_e32 v[145:146], v[153:154], v[145:146]
	v_add_f64_e32 v[44:45], v[151:152], v[44:45]
	scratch_load_b128 v[151:154], off, off offset:576
	s_wait_loadcnt_dscnt 0x901
	v_mul_f64_e32 v[163:164], v[2:3], v[12:13]
	v_mul_f64_e32 v[12:13], v[4:5], v[12:13]
	s_wait_loadcnt_dscnt 0x800
	v_mul_f64_e32 v[159:160], v[155:156], v[16:17]
	v_mul_f64_e32 v[16:17], v[157:158], v[16:17]
	v_add_f64_e32 v[38:39], v[145:146], v[38:39]
	v_add_f64_e32 v[44:45], v[44:45], v[161:162]
	v_fma_f64 v[161:162], v[4:5], v[10:11], v[163:164]
	v_fma_f64 v[163:164], v[2:3], v[10:11], -v[12:13]
	ds_load_b128 v[2:5], v1 offset:1216
	scratch_load_b128 v[10:13], off, off offset:608
	v_fma_f64 v[157:158], v[157:158], v[14:15], v[159:160]
	v_fma_f64 v[155:156], v[155:156], v[14:15], -v[16:17]
	scratch_load_b128 v[14:17], off, off offset:624
	v_add_f64_e32 v[38:39], v[38:39], v[147:148]
	v_add_f64_e32 v[44:45], v[44:45], v[149:150]
	ds_load_b128 v[145:148], v1 offset:1232
	s_wait_loadcnt_dscnt 0x901
	v_mul_f64_e32 v[149:150], v[2:3], v[20:21]
	v_mul_f64_e32 v[20:21], v[4:5], v[20:21]
	s_wait_loadcnt_dscnt 0x800
	v_mul_f64_e32 v[159:160], v[145:146], v[24:25]
	v_mul_f64_e32 v[24:25], v[147:148], v[24:25]
	v_add_f64_e32 v[38:39], v[38:39], v[163:164]
	v_add_f64_e32 v[44:45], v[44:45], v[161:162]
	v_fma_f64 v[149:150], v[4:5], v[18:19], v[149:150]
	v_fma_f64 v[161:162], v[2:3], v[18:19], -v[20:21]
	ds_load_b128 v[2:5], v1 offset:1248
	scratch_load_b128 v[18:21], off, off offset:640
	v_fma_f64 v[147:148], v[147:148], v[22:23], v[159:160]
	v_fma_f64 v[145:146], v[145:146], v[22:23], -v[24:25]
	scratch_load_b128 v[22:25], off, off offset:656
	v_add_f64_e32 v[38:39], v[38:39], v[155:156]
	v_add_f64_e32 v[44:45], v[44:45], v[157:158]
	ds_load_b128 v[155:158], v1 offset:1264
	s_wait_loadcnt_dscnt 0x901
	v_mul_f64_e32 v[163:164], v[2:3], v[28:29]
	v_mul_f64_e32 v[28:29], v[4:5], v[28:29]
	v_add_f64_e32 v[38:39], v[38:39], v[161:162]
	v_add_f64_e32 v[44:45], v[44:45], v[149:150]
	s_wait_loadcnt_dscnt 0x800
	v_mul_f64_e32 v[149:150], v[155:156], v[32:33]
	v_mul_f64_e32 v[32:33], v[157:158], v[32:33]
	v_fma_f64 v[159:160], v[4:5], v[26:27], v[163:164]
	v_fma_f64 v[161:162], v[2:3], v[26:27], -v[28:29]
	ds_load_b128 v[2:5], v1 offset:1280
	scratch_load_b128 v[26:29], off, off offset:672
	v_add_f64_e32 v[38:39], v[38:39], v[145:146]
	v_add_f64_e32 v[44:45], v[44:45], v[147:148]
	ds_load_b128 v[145:148], v1 offset:1296
	s_wait_loadcnt_dscnt 0x801
	v_mul_f64_e32 v[163:164], v[2:3], v[36:37]
	v_mul_f64_e32 v[36:37], v[4:5], v[36:37]
	v_fma_f64 v[149:150], v[157:158], v[30:31], v[149:150]
	v_fma_f64 v[155:156], v[155:156], v[30:31], -v[32:33]
	scratch_load_b128 v[30:33], off, off offset:688
	s_wait_loadcnt_dscnt 0x800
	v_mul_f64_e32 v[157:158], v[145:146], v[42:43]
	v_add_f64_e32 v[38:39], v[38:39], v[161:162]
	v_add_f64_e32 v[44:45], v[44:45], v[159:160]
	v_mul_f64_e32 v[159:160], v[147:148], v[42:43]
	v_fma_f64 v[161:162], v[4:5], v[34:35], v[163:164]
	v_fma_f64 v[163:164], v[2:3], v[34:35], -v[36:37]
	ds_load_b128 v[2:5], v1 offset:1312
	scratch_load_b128 v[34:37], off, off offset:704
	v_fma_f64 v[147:148], v[147:148], v[40:41], v[157:158]
	v_add_f64_e32 v[38:39], v[38:39], v[155:156]
	v_add_f64_e32 v[149:150], v[44:45], v[149:150]
	ds_load_b128 v[42:45], v1 offset:1328
	v_fma_f64 v[145:146], v[145:146], v[40:41], -v[159:160]
	s_wait_loadcnt_dscnt 0x701
	v_mul_f64_e32 v[155:156], v[2:3], v[153:154]
	v_mul_f64_e32 v[153:154], v[4:5], v[153:154]
	s_wait_dscnt 0x0
	v_mul_f64_e32 v[159:160], v[42:43], v[8:9]
	v_mul_f64_e32 v[8:9], v[44:45], v[8:9]
	v_add_f64_e32 v[157:158], v[38:39], v[163:164]
	v_add_f64_e32 v[149:150], v[149:150], v[161:162]
	scratch_load_b128 v[38:41], off, off offset:720
	v_fma_f64 v[155:156], v[4:5], v[151:152], v[155:156]
	v_fma_f64 v[153:154], v[2:3], v[151:152], -v[153:154]
	ds_load_b128 v[2:5], v1 offset:1344
	v_fma_f64 v[44:45], v[44:45], v[6:7], v[159:160]
	v_fma_f64 v[42:43], v[42:43], v[6:7], -v[8:9]
	scratch_load_b128 v[6:9], off, off offset:752
	v_add_f64_e32 v[157:158], v[157:158], v[145:146]
	v_add_f64_e32 v[161:162], v[149:150], v[147:148]
	scratch_load_b128 v[145:148], off, off offset:736
	ds_load_b128 v[149:152], v1 offset:1360
	s_wait_loadcnt_dscnt 0x901
	v_mul_f64_e32 v[163:164], v[2:3], v[12:13]
	v_mul_f64_e32 v[12:13], v[4:5], v[12:13]
	v_add_f64_e32 v[153:154], v[157:158], v[153:154]
	v_add_f64_e32 v[155:156], v[161:162], v[155:156]
	s_wait_loadcnt_dscnt 0x800
	v_mul_f64_e32 v[157:158], v[149:150], v[16:17]
	v_mul_f64_e32 v[16:17], v[151:152], v[16:17]
	v_fma_f64 v[159:160], v[4:5], v[10:11], v[163:164]
	v_fma_f64 v[161:162], v[2:3], v[10:11], -v[12:13]
	ds_load_b128 v[2:5], v1 offset:1376
	ds_load_b128 v[10:13], v1 offset:1392
	v_add_f64_e32 v[42:43], v[153:154], v[42:43]
	v_add_f64_e32 v[44:45], v[155:156], v[44:45]
	s_wait_loadcnt_dscnt 0x701
	v_mul_f64_e32 v[153:154], v[2:3], v[20:21]
	v_mul_f64_e32 v[20:21], v[4:5], v[20:21]
	v_fma_f64 v[151:152], v[151:152], v[14:15], v[157:158]
	v_fma_f64 v[14:15], v[149:150], v[14:15], -v[16:17]
	v_add_f64_e32 v[16:17], v[42:43], v[161:162]
	v_add_f64_e32 v[42:43], v[44:45], v[159:160]
	s_wait_loadcnt_dscnt 0x600
	v_mul_f64_e32 v[44:45], v[10:11], v[24:25]
	v_mul_f64_e32 v[24:25], v[12:13], v[24:25]
	v_fma_f64 v[149:150], v[4:5], v[18:19], v[153:154]
	v_fma_f64 v[18:19], v[2:3], v[18:19], -v[20:21]
	v_add_f64_e32 v[20:21], v[16:17], v[14:15]
	v_add_f64_e32 v[42:43], v[42:43], v[151:152]
	ds_load_b128 v[2:5], v1 offset:1408
	ds_load_b128 v[14:17], v1 offset:1424
	v_fma_f64 v[12:13], v[12:13], v[22:23], v[44:45]
	v_fma_f64 v[10:11], v[10:11], v[22:23], -v[24:25]
	s_wait_loadcnt_dscnt 0x501
	v_mul_f64_e32 v[151:152], v[2:3], v[28:29]
	v_mul_f64_e32 v[28:29], v[4:5], v[28:29]
	s_wait_loadcnt_dscnt 0x400
	v_mul_f64_e32 v[22:23], v[14:15], v[32:33]
	v_mul_f64_e32 v[24:25], v[16:17], v[32:33]
	v_add_f64_e32 v[18:19], v[20:21], v[18:19]
	v_add_f64_e32 v[20:21], v[42:43], v[149:150]
	v_fma_f64 v[32:33], v[4:5], v[26:27], v[151:152]
	v_fma_f64 v[26:27], v[2:3], v[26:27], -v[28:29]
	v_fma_f64 v[16:17], v[16:17], v[30:31], v[22:23]
	v_fma_f64 v[14:15], v[14:15], v[30:31], -v[24:25]
	v_add_f64_e32 v[18:19], v[18:19], v[10:11]
	v_add_f64_e32 v[20:21], v[20:21], v[12:13]
	ds_load_b128 v[2:5], v1 offset:1440
	ds_load_b128 v[10:13], v1 offset:1456
	s_wait_loadcnt_dscnt 0x301
	v_mul_f64_e32 v[28:29], v[2:3], v[36:37]
	v_mul_f64_e32 v[36:37], v[4:5], v[36:37]
	v_add_f64_e32 v[18:19], v[18:19], v[26:27]
	v_add_f64_e32 v[20:21], v[20:21], v[32:33]
	s_wait_loadcnt_dscnt 0x200
	v_mul_f64_e32 v[22:23], v[10:11], v[40:41]
	v_mul_f64_e32 v[24:25], v[12:13], v[40:41]
	v_fma_f64 v[26:27], v[4:5], v[34:35], v[28:29]
	v_fma_f64 v[28:29], v[2:3], v[34:35], -v[36:37]
	v_add_f64_e32 v[18:19], v[18:19], v[14:15]
	v_add_f64_e32 v[20:21], v[20:21], v[16:17]
	ds_load_b128 v[2:5], v1 offset:1472
	ds_load_b128 v[14:17], v1 offset:1488
	v_fma_f64 v[12:13], v[12:13], v[38:39], v[22:23]
	v_fma_f64 v[10:11], v[10:11], v[38:39], -v[24:25]
	s_wait_loadcnt_dscnt 0x1
	v_mul_f64_e32 v[30:31], v[2:3], v[147:148]
	v_mul_f64_e32 v[32:33], v[4:5], v[147:148]
	s_wait_dscnt 0x0
	v_mul_f64_e32 v[22:23], v[14:15], v[8:9]
	v_mul_f64_e32 v[8:9], v[16:17], v[8:9]
	v_add_f64_e32 v[18:19], v[18:19], v[28:29]
	v_add_f64_e32 v[20:21], v[20:21], v[26:27]
	v_fma_f64 v[4:5], v[4:5], v[145:146], v[30:31]
	v_fma_f64 v[1:2], v[2:3], v[145:146], -v[32:33]
	v_fma_f64 v[16:17], v[16:17], v[6:7], v[22:23]
	v_fma_f64 v[6:7], v[14:15], v[6:7], -v[8:9]
	v_add_f64_e32 v[10:11], v[18:19], v[10:11]
	v_add_f64_e32 v[12:13], v[20:21], v[12:13]
	s_delay_alu instid0(VALU_DEP_2) | instskip(NEXT) | instid1(VALU_DEP_2)
	v_add_f64_e32 v[1:2], v[10:11], v[1:2]
	v_add_f64_e32 v[3:4], v[12:13], v[4:5]
	s_delay_alu instid0(VALU_DEP_2) | instskip(NEXT) | instid1(VALU_DEP_2)
	;; [unrolled: 3-line block ×3, first 2 shown]
	v_add_f64_e64 v[1:2], v[141:142], -v[1:2]
	v_add_f64_e64 v[3:4], v[143:144], -v[3:4]
	scratch_store_b128 off, v[1:4], off offset:240
	v_cmpx_lt_u32_e32 13, v0
	s_cbranch_execz .LBB110_269
; %bb.268:
	scratch_load_b128 v[1:4], off, s47
	v_mov_b32_e32 v5, 0
	s_delay_alu instid0(VALU_DEP_1)
	v_dual_mov_b32 v6, v5 :: v_dual_mov_b32 v7, v5
	v_mov_b32_e32 v8, v5
	scratch_store_b128 off, v[5:8], off offset:224
	s_wait_loadcnt 0x0
	ds_store_b128 v140, v[1:4]
.LBB110_269:
	s_wait_alu 0xfffe
	s_or_b32 exec_lo, exec_lo, s0
	s_wait_storecnt_dscnt 0x0
	s_barrier_signal -1
	s_barrier_wait -1
	global_inv scope:SCOPE_SE
	s_clause 0x7
	scratch_load_b128 v[2:5], off, off offset:240
	scratch_load_b128 v[6:9], off, off offset:256
	;; [unrolled: 1-line block ×8, first 2 shown]
	v_mov_b32_e32 v1, 0
	s_mov_b32 s0, exec_lo
	ds_load_b128 v[34:37], v1 offset:976
	s_clause 0x1
	scratch_load_b128 v[38:41], off, off offset:368
	scratch_load_b128 v[42:45], off, off offset:224
	ds_load_b128 v[141:144], v1 offset:992
	scratch_load_b128 v[145:148], off, off offset:384
	s_wait_loadcnt_dscnt 0xa01
	v_mul_f64_e32 v[149:150], v[36:37], v[4:5]
	v_mul_f64_e32 v[4:5], v[34:35], v[4:5]
	s_delay_alu instid0(VALU_DEP_2) | instskip(NEXT) | instid1(VALU_DEP_2)
	v_fma_f64 v[155:156], v[34:35], v[2:3], -v[149:150]
	v_fma_f64 v[157:158], v[36:37], v[2:3], v[4:5]
	ds_load_b128 v[2:5], v1 offset:1008
	s_wait_loadcnt_dscnt 0x901
	v_mul_f64_e32 v[153:154], v[141:142], v[8:9]
	v_mul_f64_e32 v[8:9], v[143:144], v[8:9]
	scratch_load_b128 v[34:37], off, off offset:400
	ds_load_b128 v[149:152], v1 offset:1024
	s_wait_loadcnt_dscnt 0x901
	v_mul_f64_e32 v[159:160], v[2:3], v[12:13]
	v_mul_f64_e32 v[12:13], v[4:5], v[12:13]
	v_fma_f64 v[143:144], v[143:144], v[6:7], v[153:154]
	v_fma_f64 v[141:142], v[141:142], v[6:7], -v[8:9]
	v_add_f64_e32 v[153:154], 0, v[155:156]
	v_add_f64_e32 v[155:156], 0, v[157:158]
	scratch_load_b128 v[6:9], off, off offset:416
	v_fma_f64 v[159:160], v[4:5], v[10:11], v[159:160]
	v_fma_f64 v[161:162], v[2:3], v[10:11], -v[12:13]
	ds_load_b128 v[2:5], v1 offset:1040
	s_wait_loadcnt_dscnt 0x901
	v_mul_f64_e32 v[157:158], v[149:150], v[16:17]
	v_mul_f64_e32 v[16:17], v[151:152], v[16:17]
	scratch_load_b128 v[10:13], off, off offset:432
	v_add_f64_e32 v[153:154], v[153:154], v[141:142]
	v_add_f64_e32 v[155:156], v[155:156], v[143:144]
	s_wait_loadcnt_dscnt 0x900
	v_mul_f64_e32 v[163:164], v[2:3], v[20:21]
	v_mul_f64_e32 v[20:21], v[4:5], v[20:21]
	ds_load_b128 v[141:144], v1 offset:1056
	v_fma_f64 v[151:152], v[151:152], v[14:15], v[157:158]
	v_fma_f64 v[149:150], v[149:150], v[14:15], -v[16:17]
	scratch_load_b128 v[14:17], off, off offset:448
	v_add_f64_e32 v[153:154], v[153:154], v[161:162]
	v_add_f64_e32 v[155:156], v[155:156], v[159:160]
	v_fma_f64 v[159:160], v[4:5], v[18:19], v[163:164]
	v_fma_f64 v[161:162], v[2:3], v[18:19], -v[20:21]
	ds_load_b128 v[2:5], v1 offset:1072
	s_wait_loadcnt_dscnt 0x901
	v_mul_f64_e32 v[157:158], v[141:142], v[24:25]
	v_mul_f64_e32 v[24:25], v[143:144], v[24:25]
	scratch_load_b128 v[18:21], off, off offset:464
	s_wait_loadcnt_dscnt 0x900
	v_mul_f64_e32 v[163:164], v[2:3], v[28:29]
	v_mul_f64_e32 v[28:29], v[4:5], v[28:29]
	v_add_f64_e32 v[153:154], v[153:154], v[149:150]
	v_add_f64_e32 v[155:156], v[155:156], v[151:152]
	ds_load_b128 v[149:152], v1 offset:1088
	v_fma_f64 v[143:144], v[143:144], v[22:23], v[157:158]
	v_fma_f64 v[141:142], v[141:142], v[22:23], -v[24:25]
	scratch_load_b128 v[22:25], off, off offset:480
	v_add_f64_e32 v[153:154], v[153:154], v[161:162]
	v_add_f64_e32 v[155:156], v[155:156], v[159:160]
	v_fma_f64 v[159:160], v[4:5], v[26:27], v[163:164]
	v_fma_f64 v[161:162], v[2:3], v[26:27], -v[28:29]
	ds_load_b128 v[2:5], v1 offset:1104
	s_wait_loadcnt_dscnt 0x901
	v_mul_f64_e32 v[157:158], v[149:150], v[32:33]
	v_mul_f64_e32 v[32:33], v[151:152], v[32:33]
	scratch_load_b128 v[26:29], off, off offset:496
	s_wait_loadcnt_dscnt 0x900
	v_mul_f64_e32 v[163:164], v[2:3], v[40:41]
	v_mul_f64_e32 v[40:41], v[4:5], v[40:41]
	v_add_f64_e32 v[153:154], v[153:154], v[141:142]
	v_add_f64_e32 v[155:156], v[155:156], v[143:144]
	ds_load_b128 v[141:144], v1 offset:1120
	v_fma_f64 v[151:152], v[151:152], v[30:31], v[157:158]
	v_fma_f64 v[149:150], v[149:150], v[30:31], -v[32:33]
	scratch_load_b128 v[30:33], off, off offset:512
	v_add_f64_e32 v[153:154], v[153:154], v[161:162]
	v_add_f64_e32 v[155:156], v[155:156], v[159:160]
	v_fma_f64 v[161:162], v[4:5], v[38:39], v[163:164]
	v_fma_f64 v[163:164], v[2:3], v[38:39], -v[40:41]
	ds_load_b128 v[2:5], v1 offset:1136
	s_wait_loadcnt_dscnt 0x801
	v_mul_f64_e32 v[157:158], v[141:142], v[147:148]
	v_mul_f64_e32 v[159:160], v[143:144], v[147:148]
	scratch_load_b128 v[38:41], off, off offset:528
	v_add_f64_e32 v[153:154], v[153:154], v[149:150]
	v_add_f64_e32 v[151:152], v[155:156], v[151:152]
	ds_load_b128 v[147:150], v1 offset:1152
	v_fma_f64 v[157:158], v[143:144], v[145:146], v[157:158]
	v_fma_f64 v[145:146], v[141:142], v[145:146], -v[159:160]
	scratch_load_b128 v[141:144], off, off offset:544
	s_wait_loadcnt_dscnt 0x901
	v_mul_f64_e32 v[155:156], v[2:3], v[36:37]
	v_mul_f64_e32 v[36:37], v[4:5], v[36:37]
	v_add_f64_e32 v[153:154], v[153:154], v[163:164]
	v_add_f64_e32 v[151:152], v[151:152], v[161:162]
	s_delay_alu instid0(VALU_DEP_4) | instskip(NEXT) | instid1(VALU_DEP_4)
	v_fma_f64 v[155:156], v[4:5], v[34:35], v[155:156]
	v_fma_f64 v[161:162], v[2:3], v[34:35], -v[36:37]
	ds_load_b128 v[2:5], v1 offset:1168
	s_wait_loadcnt_dscnt 0x801
	v_mul_f64_e32 v[159:160], v[147:148], v[8:9]
	v_mul_f64_e32 v[8:9], v[149:150], v[8:9]
	scratch_load_b128 v[34:37], off, off offset:560
	s_wait_loadcnt_dscnt 0x800
	v_mul_f64_e32 v[163:164], v[2:3], v[12:13]
	v_add_f64_e32 v[145:146], v[153:154], v[145:146]
	v_add_f64_e32 v[157:158], v[151:152], v[157:158]
	v_mul_f64_e32 v[12:13], v[4:5], v[12:13]
	ds_load_b128 v[151:154], v1 offset:1184
	v_fma_f64 v[149:150], v[149:150], v[6:7], v[159:160]
	v_fma_f64 v[147:148], v[147:148], v[6:7], -v[8:9]
	scratch_load_b128 v[6:9], off, off offset:576
	v_fma_f64 v[159:160], v[4:5], v[10:11], v[163:164]
	v_add_f64_e32 v[145:146], v[145:146], v[161:162]
	v_add_f64_e32 v[155:156], v[157:158], v[155:156]
	v_fma_f64 v[161:162], v[2:3], v[10:11], -v[12:13]
	ds_load_b128 v[2:5], v1 offset:1200
	s_wait_loadcnt_dscnt 0x801
	v_mul_f64_e32 v[157:158], v[151:152], v[16:17]
	v_mul_f64_e32 v[16:17], v[153:154], v[16:17]
	scratch_load_b128 v[10:13], off, off offset:592
	v_add_f64_e32 v[163:164], v[145:146], v[147:148]
	v_add_f64_e32 v[149:150], v[155:156], v[149:150]
	s_wait_loadcnt_dscnt 0x800
	v_mul_f64_e32 v[155:156], v[2:3], v[20:21]
	v_mul_f64_e32 v[20:21], v[4:5], v[20:21]
	v_fma_f64 v[153:154], v[153:154], v[14:15], v[157:158]
	v_fma_f64 v[151:152], v[151:152], v[14:15], -v[16:17]
	ds_load_b128 v[145:148], v1 offset:1216
	scratch_load_b128 v[14:17], off, off offset:608
	v_add_f64_e32 v[157:158], v[163:164], v[161:162]
	v_add_f64_e32 v[149:150], v[149:150], v[159:160]
	v_fma_f64 v[155:156], v[4:5], v[18:19], v[155:156]
	v_fma_f64 v[161:162], v[2:3], v[18:19], -v[20:21]
	ds_load_b128 v[2:5], v1 offset:1232
	s_wait_loadcnt_dscnt 0x801
	v_mul_f64_e32 v[159:160], v[145:146], v[24:25]
	v_mul_f64_e32 v[24:25], v[147:148], v[24:25]
	scratch_load_b128 v[18:21], off, off offset:624
	s_wait_loadcnt_dscnt 0x800
	v_mul_f64_e32 v[163:164], v[2:3], v[28:29]
	v_mul_f64_e32 v[28:29], v[4:5], v[28:29]
	v_add_f64_e32 v[157:158], v[157:158], v[151:152]
	v_add_f64_e32 v[153:154], v[149:150], v[153:154]
	ds_load_b128 v[149:152], v1 offset:1248
	v_fma_f64 v[147:148], v[147:148], v[22:23], v[159:160]
	v_fma_f64 v[145:146], v[145:146], v[22:23], -v[24:25]
	scratch_load_b128 v[22:25], off, off offset:640
	v_fma_f64 v[159:160], v[4:5], v[26:27], v[163:164]
	v_add_f64_e32 v[157:158], v[157:158], v[161:162]
	v_add_f64_e32 v[153:154], v[153:154], v[155:156]
	v_fma_f64 v[161:162], v[2:3], v[26:27], -v[28:29]
	ds_load_b128 v[2:5], v1 offset:1264
	s_wait_loadcnt_dscnt 0x801
	v_mul_f64_e32 v[155:156], v[149:150], v[32:33]
	v_mul_f64_e32 v[32:33], v[151:152], v[32:33]
	scratch_load_b128 v[26:29], off, off offset:656
	s_wait_loadcnt_dscnt 0x800
	v_mul_f64_e32 v[163:164], v[2:3], v[40:41]
	v_mul_f64_e32 v[40:41], v[4:5], v[40:41]
	v_add_f64_e32 v[157:158], v[157:158], v[145:146]
	v_add_f64_e32 v[153:154], v[153:154], v[147:148]
	ds_load_b128 v[145:148], v1 offset:1280
	v_fma_f64 v[151:152], v[151:152], v[30:31], v[155:156]
	v_fma_f64 v[149:150], v[149:150], v[30:31], -v[32:33]
	scratch_load_b128 v[30:33], off, off offset:672
	v_add_f64_e32 v[155:156], v[157:158], v[161:162]
	v_add_f64_e32 v[153:154], v[153:154], v[159:160]
	v_fma_f64 v[159:160], v[4:5], v[38:39], v[163:164]
	v_fma_f64 v[161:162], v[2:3], v[38:39], -v[40:41]
	ds_load_b128 v[2:5], v1 offset:1296
	s_wait_loadcnt_dscnt 0x801
	v_mul_f64_e32 v[157:158], v[145:146], v[143:144]
	v_mul_f64_e32 v[143:144], v[147:148], v[143:144]
	scratch_load_b128 v[38:41], off, off offset:688
	s_wait_loadcnt_dscnt 0x800
	v_mul_f64_e32 v[163:164], v[2:3], v[36:37]
	v_mul_f64_e32 v[36:37], v[4:5], v[36:37]
	v_add_f64_e32 v[155:156], v[155:156], v[149:150]
	v_add_f64_e32 v[153:154], v[153:154], v[151:152]
	ds_load_b128 v[149:152], v1 offset:1312
	v_fma_f64 v[147:148], v[147:148], v[141:142], v[157:158]
	v_fma_f64 v[145:146], v[145:146], v[141:142], -v[143:144]
	scratch_load_b128 v[141:144], off, off offset:704
	v_add_f64_e32 v[155:156], v[155:156], v[161:162]
	v_add_f64_e32 v[153:154], v[153:154], v[159:160]
	v_fma_f64 v[159:160], v[4:5], v[34:35], v[163:164]
	;; [unrolled: 18-line block ×3, first 2 shown]
	v_fma_f64 v[161:162], v[2:3], v[10:11], -v[12:13]
	ds_load_b128 v[2:5], v1 offset:1360
	s_wait_loadcnt_dscnt 0x801
	v_mul_f64_e32 v[157:158], v[145:146], v[16:17]
	v_mul_f64_e32 v[16:17], v[147:148], v[16:17]
	scratch_load_b128 v[10:13], off, off offset:752
	s_wait_loadcnt_dscnt 0x800
	v_mul_f64_e32 v[163:164], v[2:3], v[20:21]
	v_mul_f64_e32 v[20:21], v[4:5], v[20:21]
	v_add_f64_e32 v[155:156], v[155:156], v[149:150]
	v_add_f64_e32 v[153:154], v[153:154], v[151:152]
	ds_load_b128 v[149:152], v1 offset:1376
	v_fma_f64 v[147:148], v[147:148], v[14:15], v[157:158]
	v_fma_f64 v[14:15], v[145:146], v[14:15], -v[16:17]
	v_add_f64_e32 v[16:17], v[155:156], v[161:162]
	v_add_f64_e32 v[145:146], v[153:154], v[159:160]
	s_wait_loadcnt_dscnt 0x700
	v_mul_f64_e32 v[153:154], v[149:150], v[24:25]
	v_mul_f64_e32 v[24:25], v[151:152], v[24:25]
	v_fma_f64 v[155:156], v[4:5], v[18:19], v[163:164]
	v_fma_f64 v[18:19], v[2:3], v[18:19], -v[20:21]
	v_add_f64_e32 v[20:21], v[16:17], v[14:15]
	v_add_f64_e32 v[145:146], v[145:146], v[147:148]
	ds_load_b128 v[2:5], v1 offset:1392
	ds_load_b128 v[14:17], v1 offset:1408
	v_fma_f64 v[151:152], v[151:152], v[22:23], v[153:154]
	v_fma_f64 v[22:23], v[149:150], v[22:23], -v[24:25]
	s_wait_loadcnt_dscnt 0x601
	v_mul_f64_e32 v[147:148], v[2:3], v[28:29]
	v_mul_f64_e32 v[28:29], v[4:5], v[28:29]
	s_wait_loadcnt_dscnt 0x500
	v_mul_f64_e32 v[24:25], v[14:15], v[32:33]
	v_mul_f64_e32 v[32:33], v[16:17], v[32:33]
	v_add_f64_e32 v[18:19], v[20:21], v[18:19]
	v_add_f64_e32 v[20:21], v[145:146], v[155:156]
	v_fma_f64 v[145:146], v[4:5], v[26:27], v[147:148]
	v_fma_f64 v[26:27], v[2:3], v[26:27], -v[28:29]
	v_fma_f64 v[16:17], v[16:17], v[30:31], v[24:25]
	v_fma_f64 v[14:15], v[14:15], v[30:31], -v[32:33]
	v_add_f64_e32 v[22:23], v[18:19], v[22:23]
	v_add_f64_e32 v[28:29], v[20:21], v[151:152]
	ds_load_b128 v[2:5], v1 offset:1424
	ds_load_b128 v[18:21], v1 offset:1440
	s_wait_loadcnt_dscnt 0x401
	v_mul_f64_e32 v[147:148], v[2:3], v[40:41]
	v_mul_f64_e32 v[40:41], v[4:5], v[40:41]
	v_add_f64_e32 v[22:23], v[22:23], v[26:27]
	v_add_f64_e32 v[24:25], v[28:29], v[145:146]
	s_wait_loadcnt_dscnt 0x300
	v_mul_f64_e32 v[26:27], v[18:19], v[143:144]
	v_mul_f64_e32 v[28:29], v[20:21], v[143:144]
	v_fma_f64 v[30:31], v[4:5], v[38:39], v[147:148]
	v_fma_f64 v[32:33], v[2:3], v[38:39], -v[40:41]
	v_add_f64_e32 v[22:23], v[22:23], v[14:15]
	v_add_f64_e32 v[24:25], v[24:25], v[16:17]
	ds_load_b128 v[2:5], v1 offset:1456
	ds_load_b128 v[14:17], v1 offset:1472
	v_fma_f64 v[20:21], v[20:21], v[141:142], v[26:27]
	v_fma_f64 v[18:19], v[18:19], v[141:142], -v[28:29]
	s_wait_loadcnt_dscnt 0x201
	v_mul_f64_e32 v[38:39], v[2:3], v[36:37]
	v_mul_f64_e32 v[36:37], v[4:5], v[36:37]
	s_wait_loadcnt_dscnt 0x100
	v_mul_f64_e32 v[26:27], v[14:15], v[8:9]
	v_mul_f64_e32 v[8:9], v[16:17], v[8:9]
	v_add_f64_e32 v[22:23], v[22:23], v[32:33]
	v_add_f64_e32 v[24:25], v[24:25], v[30:31]
	v_fma_f64 v[28:29], v[4:5], v[34:35], v[38:39]
	v_fma_f64 v[30:31], v[2:3], v[34:35], -v[36:37]
	ds_load_b128 v[2:5], v1 offset:1488
	v_fma_f64 v[16:17], v[16:17], v[6:7], v[26:27]
	v_fma_f64 v[6:7], v[14:15], v[6:7], -v[8:9]
	v_add_f64_e32 v[18:19], v[22:23], v[18:19]
	v_add_f64_e32 v[20:21], v[24:25], v[20:21]
	s_wait_loadcnt_dscnt 0x0
	v_mul_f64_e32 v[22:23], v[2:3], v[12:13]
	v_mul_f64_e32 v[12:13], v[4:5], v[12:13]
	s_delay_alu instid0(VALU_DEP_4) | instskip(NEXT) | instid1(VALU_DEP_4)
	v_add_f64_e32 v[8:9], v[18:19], v[30:31]
	v_add_f64_e32 v[14:15], v[20:21], v[28:29]
	s_delay_alu instid0(VALU_DEP_4) | instskip(NEXT) | instid1(VALU_DEP_4)
	v_fma_f64 v[4:5], v[4:5], v[10:11], v[22:23]
	v_fma_f64 v[2:3], v[2:3], v[10:11], -v[12:13]
	s_delay_alu instid0(VALU_DEP_4) | instskip(NEXT) | instid1(VALU_DEP_4)
	v_add_f64_e32 v[6:7], v[8:9], v[6:7]
	v_add_f64_e32 v[8:9], v[14:15], v[16:17]
	s_delay_alu instid0(VALU_DEP_2) | instskip(NEXT) | instid1(VALU_DEP_2)
	v_add_f64_e32 v[2:3], v[6:7], v[2:3]
	v_add_f64_e32 v[4:5], v[8:9], v[4:5]
	s_delay_alu instid0(VALU_DEP_2) | instskip(NEXT) | instid1(VALU_DEP_2)
	v_add_f64_e64 v[2:3], v[42:43], -v[2:3]
	v_add_f64_e64 v[4:5], v[44:45], -v[4:5]
	scratch_store_b128 off, v[2:5], off offset:224
	v_cmpx_lt_u32_e32 12, v0
	s_cbranch_execz .LBB110_271
; %bb.270:
	scratch_load_b128 v[5:8], off, s48
	v_dual_mov_b32 v2, v1 :: v_dual_mov_b32 v3, v1
	v_mov_b32_e32 v4, v1
	scratch_store_b128 off, v[1:4], off offset:208
	s_wait_loadcnt 0x0
	ds_store_b128 v140, v[5:8]
.LBB110_271:
	s_wait_alu 0xfffe
	s_or_b32 exec_lo, exec_lo, s0
	s_wait_storecnt_dscnt 0x0
	s_barrier_signal -1
	s_barrier_wait -1
	global_inv scope:SCOPE_SE
	s_clause 0x8
	scratch_load_b128 v[2:5], off, off offset:224
	scratch_load_b128 v[6:9], off, off offset:240
	;; [unrolled: 1-line block ×9, first 2 shown]
	ds_load_b128 v[38:41], v1 offset:960
	ds_load_b128 v[42:45], v1 offset:976
	s_clause 0x1
	scratch_load_b128 v[141:144], off, off offset:208
	scratch_load_b128 v[145:148], off, off offset:368
	s_mov_b32 s0, exec_lo
	s_wait_loadcnt_dscnt 0xa01
	v_mul_f64_e32 v[149:150], v[40:41], v[4:5]
	v_mul_f64_e32 v[4:5], v[38:39], v[4:5]
	s_wait_loadcnt_dscnt 0x900
	v_mul_f64_e32 v[153:154], v[42:43], v[8:9]
	v_mul_f64_e32 v[8:9], v[44:45], v[8:9]
	s_delay_alu instid0(VALU_DEP_4) | instskip(NEXT) | instid1(VALU_DEP_4)
	v_fma_f64 v[155:156], v[38:39], v[2:3], -v[149:150]
	v_fma_f64 v[157:158], v[40:41], v[2:3], v[4:5]
	ds_load_b128 v[2:5], v1 offset:992
	ds_load_b128 v[149:152], v1 offset:1008
	scratch_load_b128 v[38:41], off, off offset:384
	v_fma_f64 v[44:45], v[44:45], v[6:7], v[153:154]
	v_fma_f64 v[42:43], v[42:43], v[6:7], -v[8:9]
	scratch_load_b128 v[6:9], off, off offset:400
	s_wait_loadcnt_dscnt 0xa01
	v_mul_f64_e32 v[159:160], v[2:3], v[12:13]
	v_mul_f64_e32 v[12:13], v[4:5], v[12:13]
	v_add_f64_e32 v[153:154], 0, v[155:156]
	v_add_f64_e32 v[155:156], 0, v[157:158]
	s_wait_loadcnt_dscnt 0x900
	v_mul_f64_e32 v[157:158], v[149:150], v[16:17]
	v_mul_f64_e32 v[16:17], v[151:152], v[16:17]
	v_fma_f64 v[159:160], v[4:5], v[10:11], v[159:160]
	v_fma_f64 v[161:162], v[2:3], v[10:11], -v[12:13]
	ds_load_b128 v[2:5], v1 offset:1024
	scratch_load_b128 v[10:13], off, off offset:416
	v_add_f64_e32 v[153:154], v[153:154], v[42:43]
	v_add_f64_e32 v[155:156], v[155:156], v[44:45]
	ds_load_b128 v[42:45], v1 offset:1040
	v_fma_f64 v[151:152], v[151:152], v[14:15], v[157:158]
	v_fma_f64 v[149:150], v[149:150], v[14:15], -v[16:17]
	scratch_load_b128 v[14:17], off, off offset:432
	s_wait_loadcnt_dscnt 0xa01
	v_mul_f64_e32 v[163:164], v[2:3], v[20:21]
	v_mul_f64_e32 v[20:21], v[4:5], v[20:21]
	s_wait_loadcnt_dscnt 0x900
	v_mul_f64_e32 v[157:158], v[42:43], v[24:25]
	v_mul_f64_e32 v[24:25], v[44:45], v[24:25]
	v_add_f64_e32 v[153:154], v[153:154], v[161:162]
	v_add_f64_e32 v[155:156], v[155:156], v[159:160]
	v_fma_f64 v[159:160], v[4:5], v[18:19], v[163:164]
	v_fma_f64 v[161:162], v[2:3], v[18:19], -v[20:21]
	ds_load_b128 v[2:5], v1 offset:1056
	scratch_load_b128 v[18:21], off, off offset:448
	v_fma_f64 v[44:45], v[44:45], v[22:23], v[157:158]
	v_fma_f64 v[42:43], v[42:43], v[22:23], -v[24:25]
	scratch_load_b128 v[22:25], off, off offset:464
	v_add_f64_e32 v[153:154], v[153:154], v[149:150]
	v_add_f64_e32 v[155:156], v[155:156], v[151:152]
	ds_load_b128 v[149:152], v1 offset:1072
	s_wait_loadcnt_dscnt 0xa01
	v_mul_f64_e32 v[163:164], v[2:3], v[28:29]
	v_mul_f64_e32 v[28:29], v[4:5], v[28:29]
	s_wait_loadcnt_dscnt 0x900
	v_mul_f64_e32 v[157:158], v[149:150], v[32:33]
	v_mul_f64_e32 v[32:33], v[151:152], v[32:33]
	v_add_f64_e32 v[153:154], v[153:154], v[161:162]
	v_add_f64_e32 v[155:156], v[155:156], v[159:160]
	v_fma_f64 v[159:160], v[4:5], v[26:27], v[163:164]
	v_fma_f64 v[161:162], v[2:3], v[26:27], -v[28:29]
	ds_load_b128 v[2:5], v1 offset:1088
	scratch_load_b128 v[26:29], off, off offset:480
	v_fma_f64 v[151:152], v[151:152], v[30:31], v[157:158]
	v_fma_f64 v[149:150], v[149:150], v[30:31], -v[32:33]
	scratch_load_b128 v[30:33], off, off offset:496
	v_add_f64_e32 v[153:154], v[153:154], v[42:43]
	v_add_f64_e32 v[155:156], v[155:156], v[44:45]
	ds_load_b128 v[42:45], v1 offset:1104
	s_wait_loadcnt_dscnt 0xa01
	v_mul_f64_e32 v[163:164], v[2:3], v[36:37]
	v_mul_f64_e32 v[36:37], v[4:5], v[36:37]
	s_wait_loadcnt_dscnt 0x800
	v_mul_f64_e32 v[157:158], v[42:43], v[147:148]
	v_add_f64_e32 v[153:154], v[153:154], v[161:162]
	v_add_f64_e32 v[155:156], v[155:156], v[159:160]
	v_mul_f64_e32 v[159:160], v[44:45], v[147:148]
	v_fma_f64 v[161:162], v[4:5], v[34:35], v[163:164]
	v_fma_f64 v[163:164], v[2:3], v[34:35], -v[36:37]
	ds_load_b128 v[2:5], v1 offset:1120
	scratch_load_b128 v[34:37], off, off offset:512
	v_fma_f64 v[44:45], v[44:45], v[145:146], v[157:158]
	v_add_f64_e32 v[153:154], v[153:154], v[149:150]
	v_add_f64_e32 v[151:152], v[155:156], v[151:152]
	ds_load_b128 v[147:150], v1 offset:1136
	v_fma_f64 v[145:146], v[42:43], v[145:146], -v[159:160]
	s_wait_loadcnt_dscnt 0x801
	v_mul_f64_e32 v[155:156], v[2:3], v[40:41]
	v_mul_f64_e32 v[165:166], v[4:5], v[40:41]
	scratch_load_b128 v[40:43], off, off offset:528
	s_wait_loadcnt_dscnt 0x800
	v_mul_f64_e32 v[159:160], v[147:148], v[8:9]
	v_mul_f64_e32 v[8:9], v[149:150], v[8:9]
	v_add_f64_e32 v[153:154], v[153:154], v[163:164]
	v_add_f64_e32 v[151:152], v[151:152], v[161:162]
	v_fma_f64 v[161:162], v[4:5], v[38:39], v[155:156]
	v_fma_f64 v[38:39], v[2:3], v[38:39], -v[165:166]
	ds_load_b128 v[2:5], v1 offset:1152
	ds_load_b128 v[155:158], v1 offset:1168
	v_fma_f64 v[149:150], v[149:150], v[6:7], v[159:160]
	v_fma_f64 v[147:148], v[147:148], v[6:7], -v[8:9]
	scratch_load_b128 v[6:9], off, off offset:560
	v_add_f64_e32 v[145:146], v[153:154], v[145:146]
	v_add_f64_e32 v[44:45], v[151:152], v[44:45]
	scratch_load_b128 v[151:154], off, off offset:544
	s_wait_loadcnt_dscnt 0x901
	v_mul_f64_e32 v[163:164], v[2:3], v[12:13]
	v_mul_f64_e32 v[12:13], v[4:5], v[12:13]
	s_wait_loadcnt_dscnt 0x800
	v_mul_f64_e32 v[159:160], v[155:156], v[16:17]
	v_mul_f64_e32 v[16:17], v[157:158], v[16:17]
	v_add_f64_e32 v[38:39], v[145:146], v[38:39]
	v_add_f64_e32 v[44:45], v[44:45], v[161:162]
	v_fma_f64 v[161:162], v[4:5], v[10:11], v[163:164]
	v_fma_f64 v[163:164], v[2:3], v[10:11], -v[12:13]
	ds_load_b128 v[2:5], v1 offset:1184
	scratch_load_b128 v[10:13], off, off offset:576
	v_fma_f64 v[157:158], v[157:158], v[14:15], v[159:160]
	v_fma_f64 v[155:156], v[155:156], v[14:15], -v[16:17]
	scratch_load_b128 v[14:17], off, off offset:592
	v_add_f64_e32 v[38:39], v[38:39], v[147:148]
	v_add_f64_e32 v[44:45], v[44:45], v[149:150]
	ds_load_b128 v[145:148], v1 offset:1200
	s_wait_loadcnt_dscnt 0x901
	v_mul_f64_e32 v[149:150], v[2:3], v[20:21]
	v_mul_f64_e32 v[20:21], v[4:5], v[20:21]
	s_wait_loadcnt_dscnt 0x800
	v_mul_f64_e32 v[159:160], v[145:146], v[24:25]
	v_mul_f64_e32 v[24:25], v[147:148], v[24:25]
	v_add_f64_e32 v[38:39], v[38:39], v[163:164]
	v_add_f64_e32 v[44:45], v[44:45], v[161:162]
	v_fma_f64 v[149:150], v[4:5], v[18:19], v[149:150]
	v_fma_f64 v[161:162], v[2:3], v[18:19], -v[20:21]
	ds_load_b128 v[2:5], v1 offset:1216
	scratch_load_b128 v[18:21], off, off offset:608
	v_fma_f64 v[147:148], v[147:148], v[22:23], v[159:160]
	v_fma_f64 v[145:146], v[145:146], v[22:23], -v[24:25]
	scratch_load_b128 v[22:25], off, off offset:624
	v_add_f64_e32 v[38:39], v[38:39], v[155:156]
	v_add_f64_e32 v[44:45], v[44:45], v[157:158]
	ds_load_b128 v[155:158], v1 offset:1232
	s_wait_loadcnt_dscnt 0x901
	v_mul_f64_e32 v[163:164], v[2:3], v[28:29]
	v_mul_f64_e32 v[28:29], v[4:5], v[28:29]
	v_add_f64_e32 v[38:39], v[38:39], v[161:162]
	v_add_f64_e32 v[44:45], v[44:45], v[149:150]
	s_wait_loadcnt_dscnt 0x800
	v_mul_f64_e32 v[149:150], v[155:156], v[32:33]
	v_mul_f64_e32 v[32:33], v[157:158], v[32:33]
	v_fma_f64 v[159:160], v[4:5], v[26:27], v[163:164]
	v_fma_f64 v[161:162], v[2:3], v[26:27], -v[28:29]
	ds_load_b128 v[2:5], v1 offset:1248
	scratch_load_b128 v[26:29], off, off offset:640
	v_add_f64_e32 v[38:39], v[38:39], v[145:146]
	v_add_f64_e32 v[44:45], v[44:45], v[147:148]
	ds_load_b128 v[145:148], v1 offset:1264
	s_wait_loadcnt_dscnt 0x801
	v_mul_f64_e32 v[163:164], v[2:3], v[36:37]
	v_mul_f64_e32 v[36:37], v[4:5], v[36:37]
	v_fma_f64 v[149:150], v[157:158], v[30:31], v[149:150]
	v_fma_f64 v[155:156], v[155:156], v[30:31], -v[32:33]
	scratch_load_b128 v[30:33], off, off offset:656
	s_wait_loadcnt_dscnt 0x800
	v_mul_f64_e32 v[157:158], v[145:146], v[42:43]
	v_add_f64_e32 v[38:39], v[38:39], v[161:162]
	v_add_f64_e32 v[44:45], v[44:45], v[159:160]
	v_mul_f64_e32 v[159:160], v[147:148], v[42:43]
	v_fma_f64 v[161:162], v[4:5], v[34:35], v[163:164]
	v_fma_f64 v[163:164], v[2:3], v[34:35], -v[36:37]
	ds_load_b128 v[2:5], v1 offset:1280
	scratch_load_b128 v[34:37], off, off offset:672
	v_fma_f64 v[147:148], v[147:148], v[40:41], v[157:158]
	v_add_f64_e32 v[38:39], v[38:39], v[155:156]
	v_add_f64_e32 v[149:150], v[44:45], v[149:150]
	ds_load_b128 v[42:45], v1 offset:1296
	v_fma_f64 v[145:146], v[145:146], v[40:41], -v[159:160]
	s_wait_loadcnt_dscnt 0x701
	v_mul_f64_e32 v[155:156], v[2:3], v[153:154]
	v_mul_f64_e32 v[153:154], v[4:5], v[153:154]
	s_wait_dscnt 0x0
	v_mul_f64_e32 v[159:160], v[42:43], v[8:9]
	v_mul_f64_e32 v[8:9], v[44:45], v[8:9]
	v_add_f64_e32 v[157:158], v[38:39], v[163:164]
	v_add_f64_e32 v[149:150], v[149:150], v[161:162]
	scratch_load_b128 v[38:41], off, off offset:688
	v_fma_f64 v[155:156], v[4:5], v[151:152], v[155:156]
	v_fma_f64 v[153:154], v[2:3], v[151:152], -v[153:154]
	ds_load_b128 v[2:5], v1 offset:1312
	v_fma_f64 v[44:45], v[44:45], v[6:7], v[159:160]
	v_fma_f64 v[42:43], v[42:43], v[6:7], -v[8:9]
	scratch_load_b128 v[6:9], off, off offset:720
	v_add_f64_e32 v[157:158], v[157:158], v[145:146]
	v_add_f64_e32 v[161:162], v[149:150], v[147:148]
	scratch_load_b128 v[145:148], off, off offset:704
	ds_load_b128 v[149:152], v1 offset:1328
	s_wait_loadcnt_dscnt 0x901
	v_mul_f64_e32 v[163:164], v[2:3], v[12:13]
	v_mul_f64_e32 v[12:13], v[4:5], v[12:13]
	v_add_f64_e32 v[153:154], v[157:158], v[153:154]
	v_add_f64_e32 v[155:156], v[161:162], v[155:156]
	s_wait_loadcnt_dscnt 0x800
	v_mul_f64_e32 v[157:158], v[149:150], v[16:17]
	v_mul_f64_e32 v[16:17], v[151:152], v[16:17]
	v_fma_f64 v[159:160], v[4:5], v[10:11], v[163:164]
	v_fma_f64 v[161:162], v[2:3], v[10:11], -v[12:13]
	ds_load_b128 v[2:5], v1 offset:1344
	scratch_load_b128 v[10:13], off, off offset:736
	v_add_f64_e32 v[153:154], v[153:154], v[42:43]
	v_add_f64_e32 v[155:156], v[155:156], v[44:45]
	ds_load_b128 v[42:45], v1 offset:1360
	s_wait_loadcnt_dscnt 0x801
	v_mul_f64_e32 v[163:164], v[2:3], v[20:21]
	v_mul_f64_e32 v[20:21], v[4:5], v[20:21]
	v_fma_f64 v[151:152], v[151:152], v[14:15], v[157:158]
	v_fma_f64 v[149:150], v[149:150], v[14:15], -v[16:17]
	scratch_load_b128 v[14:17], off, off offset:752
	s_wait_loadcnt_dscnt 0x800
	v_mul_f64_e32 v[157:158], v[42:43], v[24:25]
	v_mul_f64_e32 v[24:25], v[44:45], v[24:25]
	v_add_f64_e32 v[153:154], v[153:154], v[161:162]
	v_add_f64_e32 v[155:156], v[155:156], v[159:160]
	v_fma_f64 v[159:160], v[4:5], v[18:19], v[163:164]
	v_fma_f64 v[161:162], v[2:3], v[18:19], -v[20:21]
	ds_load_b128 v[2:5], v1 offset:1376
	ds_load_b128 v[18:21], v1 offset:1392
	v_fma_f64 v[44:45], v[44:45], v[22:23], v[157:158]
	v_fma_f64 v[22:23], v[42:43], v[22:23], -v[24:25]
	v_add_f64_e32 v[149:150], v[153:154], v[149:150]
	v_add_f64_e32 v[151:152], v[155:156], v[151:152]
	s_wait_loadcnt_dscnt 0x701
	v_mul_f64_e32 v[153:154], v[2:3], v[28:29]
	v_mul_f64_e32 v[28:29], v[4:5], v[28:29]
	s_delay_alu instid0(VALU_DEP_4) | instskip(NEXT) | instid1(VALU_DEP_4)
	v_add_f64_e32 v[24:25], v[149:150], v[161:162]
	v_add_f64_e32 v[42:43], v[151:152], v[159:160]
	s_wait_loadcnt_dscnt 0x600
	v_mul_f64_e32 v[149:150], v[18:19], v[32:33]
	v_mul_f64_e32 v[32:33], v[20:21], v[32:33]
	v_fma_f64 v[151:152], v[4:5], v[26:27], v[153:154]
	v_fma_f64 v[26:27], v[2:3], v[26:27], -v[28:29]
	v_add_f64_e32 v[28:29], v[24:25], v[22:23]
	v_add_f64_e32 v[42:43], v[42:43], v[44:45]
	ds_load_b128 v[2:5], v1 offset:1408
	ds_load_b128 v[22:25], v1 offset:1424
	v_fma_f64 v[20:21], v[20:21], v[30:31], v[149:150]
	v_fma_f64 v[18:19], v[18:19], v[30:31], -v[32:33]
	s_wait_loadcnt_dscnt 0x501
	v_mul_f64_e32 v[44:45], v[2:3], v[36:37]
	v_mul_f64_e32 v[36:37], v[4:5], v[36:37]
	v_add_f64_e32 v[26:27], v[28:29], v[26:27]
	v_add_f64_e32 v[28:29], v[42:43], v[151:152]
	s_wait_loadcnt_dscnt 0x400
	v_mul_f64_e32 v[30:31], v[22:23], v[40:41]
	v_mul_f64_e32 v[32:33], v[24:25], v[40:41]
	v_fma_f64 v[40:41], v[4:5], v[34:35], v[44:45]
	v_fma_f64 v[34:35], v[2:3], v[34:35], -v[36:37]
	v_add_f64_e32 v[26:27], v[26:27], v[18:19]
	v_add_f64_e32 v[28:29], v[28:29], v[20:21]
	ds_load_b128 v[2:5], v1 offset:1440
	ds_load_b128 v[18:21], v1 offset:1456
	v_fma_f64 v[24:25], v[24:25], v[38:39], v[30:31]
	v_fma_f64 v[22:23], v[22:23], v[38:39], -v[32:33]
	s_wait_loadcnt_dscnt 0x201
	v_mul_f64_e32 v[36:37], v[2:3], v[147:148]
	v_mul_f64_e32 v[42:43], v[4:5], v[147:148]
	s_wait_dscnt 0x0
	v_mul_f64_e32 v[30:31], v[18:19], v[8:9]
	v_mul_f64_e32 v[8:9], v[20:21], v[8:9]
	v_add_f64_e32 v[26:27], v[26:27], v[34:35]
	v_add_f64_e32 v[28:29], v[28:29], v[40:41]
	v_fma_f64 v[32:33], v[4:5], v[145:146], v[36:37]
	v_fma_f64 v[34:35], v[2:3], v[145:146], -v[42:43]
	v_fma_f64 v[20:21], v[20:21], v[6:7], v[30:31]
	v_fma_f64 v[6:7], v[18:19], v[6:7], -v[8:9]
	v_add_f64_e32 v[26:27], v[26:27], v[22:23]
	v_add_f64_e32 v[28:29], v[28:29], v[24:25]
	ds_load_b128 v[2:5], v1 offset:1472
	ds_load_b128 v[22:25], v1 offset:1488
	s_wait_loadcnt_dscnt 0x101
	v_mul_f64_e32 v[36:37], v[2:3], v[12:13]
	v_mul_f64_e32 v[12:13], v[4:5], v[12:13]
	v_add_f64_e32 v[8:9], v[26:27], v[34:35]
	v_add_f64_e32 v[18:19], v[28:29], v[32:33]
	s_wait_loadcnt_dscnt 0x0
	v_mul_f64_e32 v[26:27], v[22:23], v[16:17]
	v_mul_f64_e32 v[16:17], v[24:25], v[16:17]
	v_fma_f64 v[4:5], v[4:5], v[10:11], v[36:37]
	v_fma_f64 v[1:2], v[2:3], v[10:11], -v[12:13]
	v_add_f64_e32 v[6:7], v[8:9], v[6:7]
	v_add_f64_e32 v[8:9], v[18:19], v[20:21]
	v_fma_f64 v[10:11], v[24:25], v[14:15], v[26:27]
	v_fma_f64 v[12:13], v[22:23], v[14:15], -v[16:17]
	s_delay_alu instid0(VALU_DEP_4) | instskip(NEXT) | instid1(VALU_DEP_4)
	v_add_f64_e32 v[1:2], v[6:7], v[1:2]
	v_add_f64_e32 v[3:4], v[8:9], v[4:5]
	s_delay_alu instid0(VALU_DEP_2) | instskip(NEXT) | instid1(VALU_DEP_2)
	v_add_f64_e32 v[1:2], v[1:2], v[12:13]
	v_add_f64_e32 v[3:4], v[3:4], v[10:11]
	s_delay_alu instid0(VALU_DEP_2) | instskip(NEXT) | instid1(VALU_DEP_2)
	v_add_f64_e64 v[1:2], v[141:142], -v[1:2]
	v_add_f64_e64 v[3:4], v[143:144], -v[3:4]
	scratch_store_b128 off, v[1:4], off offset:208
	v_cmpx_lt_u32_e32 11, v0
	s_cbranch_execz .LBB110_273
; %bb.272:
	scratch_load_b128 v[1:4], off, s49
	v_mov_b32_e32 v5, 0
	s_delay_alu instid0(VALU_DEP_1)
	v_dual_mov_b32 v6, v5 :: v_dual_mov_b32 v7, v5
	v_mov_b32_e32 v8, v5
	scratch_store_b128 off, v[5:8], off offset:192
	s_wait_loadcnt 0x0
	ds_store_b128 v140, v[1:4]
.LBB110_273:
	s_wait_alu 0xfffe
	s_or_b32 exec_lo, exec_lo, s0
	s_wait_storecnt_dscnt 0x0
	s_barrier_signal -1
	s_barrier_wait -1
	global_inv scope:SCOPE_SE
	s_clause 0x7
	scratch_load_b128 v[2:5], off, off offset:208
	scratch_load_b128 v[6:9], off, off offset:224
	;; [unrolled: 1-line block ×8, first 2 shown]
	v_mov_b32_e32 v1, 0
	s_mov_b32 s0, exec_lo
	ds_load_b128 v[38:41], v1 offset:944
	s_clause 0x1
	scratch_load_b128 v[34:37], off, off offset:336
	scratch_load_b128 v[42:45], off, off offset:192
	ds_load_b128 v[141:144], v1 offset:960
	scratch_load_b128 v[145:148], off, off offset:352
	s_wait_loadcnt_dscnt 0xa01
	v_mul_f64_e32 v[149:150], v[40:41], v[4:5]
	v_mul_f64_e32 v[4:5], v[38:39], v[4:5]
	s_delay_alu instid0(VALU_DEP_2) | instskip(NEXT) | instid1(VALU_DEP_2)
	v_fma_f64 v[155:156], v[38:39], v[2:3], -v[149:150]
	v_fma_f64 v[157:158], v[40:41], v[2:3], v[4:5]
	ds_load_b128 v[2:5], v1 offset:976
	s_wait_loadcnt_dscnt 0x901
	v_mul_f64_e32 v[153:154], v[141:142], v[8:9]
	v_mul_f64_e32 v[8:9], v[143:144], v[8:9]
	scratch_load_b128 v[38:41], off, off offset:368
	ds_load_b128 v[149:152], v1 offset:992
	s_wait_loadcnt_dscnt 0x901
	v_mul_f64_e32 v[159:160], v[2:3], v[12:13]
	v_mul_f64_e32 v[12:13], v[4:5], v[12:13]
	v_fma_f64 v[143:144], v[143:144], v[6:7], v[153:154]
	v_fma_f64 v[141:142], v[141:142], v[6:7], -v[8:9]
	v_add_f64_e32 v[153:154], 0, v[155:156]
	v_add_f64_e32 v[155:156], 0, v[157:158]
	scratch_load_b128 v[6:9], off, off offset:384
	v_fma_f64 v[159:160], v[4:5], v[10:11], v[159:160]
	v_fma_f64 v[161:162], v[2:3], v[10:11], -v[12:13]
	ds_load_b128 v[2:5], v1 offset:1008
	s_wait_loadcnt_dscnt 0x901
	v_mul_f64_e32 v[157:158], v[149:150], v[16:17]
	v_mul_f64_e32 v[16:17], v[151:152], v[16:17]
	scratch_load_b128 v[10:13], off, off offset:400
	v_add_f64_e32 v[153:154], v[153:154], v[141:142]
	v_add_f64_e32 v[155:156], v[155:156], v[143:144]
	s_wait_loadcnt_dscnt 0x900
	v_mul_f64_e32 v[163:164], v[2:3], v[20:21]
	v_mul_f64_e32 v[20:21], v[4:5], v[20:21]
	ds_load_b128 v[141:144], v1 offset:1024
	v_fma_f64 v[151:152], v[151:152], v[14:15], v[157:158]
	v_fma_f64 v[149:150], v[149:150], v[14:15], -v[16:17]
	scratch_load_b128 v[14:17], off, off offset:416
	v_add_f64_e32 v[153:154], v[153:154], v[161:162]
	v_add_f64_e32 v[155:156], v[155:156], v[159:160]
	v_fma_f64 v[159:160], v[4:5], v[18:19], v[163:164]
	v_fma_f64 v[161:162], v[2:3], v[18:19], -v[20:21]
	ds_load_b128 v[2:5], v1 offset:1040
	s_wait_loadcnt_dscnt 0x901
	v_mul_f64_e32 v[157:158], v[141:142], v[24:25]
	v_mul_f64_e32 v[24:25], v[143:144], v[24:25]
	scratch_load_b128 v[18:21], off, off offset:432
	s_wait_loadcnt_dscnt 0x900
	v_mul_f64_e32 v[163:164], v[2:3], v[28:29]
	v_mul_f64_e32 v[28:29], v[4:5], v[28:29]
	v_add_f64_e32 v[153:154], v[153:154], v[149:150]
	v_add_f64_e32 v[155:156], v[155:156], v[151:152]
	ds_load_b128 v[149:152], v1 offset:1056
	v_fma_f64 v[143:144], v[143:144], v[22:23], v[157:158]
	v_fma_f64 v[141:142], v[141:142], v[22:23], -v[24:25]
	scratch_load_b128 v[22:25], off, off offset:448
	v_add_f64_e32 v[153:154], v[153:154], v[161:162]
	v_add_f64_e32 v[155:156], v[155:156], v[159:160]
	v_fma_f64 v[159:160], v[4:5], v[26:27], v[163:164]
	v_fma_f64 v[161:162], v[2:3], v[26:27], -v[28:29]
	ds_load_b128 v[2:5], v1 offset:1072
	s_wait_loadcnt_dscnt 0x901
	v_mul_f64_e32 v[157:158], v[149:150], v[32:33]
	v_mul_f64_e32 v[32:33], v[151:152], v[32:33]
	scratch_load_b128 v[26:29], off, off offset:464
	s_wait_loadcnt_dscnt 0x900
	v_mul_f64_e32 v[163:164], v[2:3], v[36:37]
	v_mul_f64_e32 v[36:37], v[4:5], v[36:37]
	v_add_f64_e32 v[153:154], v[153:154], v[141:142]
	v_add_f64_e32 v[155:156], v[155:156], v[143:144]
	ds_load_b128 v[141:144], v1 offset:1088
	v_fma_f64 v[151:152], v[151:152], v[30:31], v[157:158]
	v_fma_f64 v[149:150], v[149:150], v[30:31], -v[32:33]
	scratch_load_b128 v[30:33], off, off offset:480
	v_add_f64_e32 v[153:154], v[153:154], v[161:162]
	v_add_f64_e32 v[155:156], v[155:156], v[159:160]
	v_fma_f64 v[161:162], v[4:5], v[34:35], v[163:164]
	v_fma_f64 v[163:164], v[2:3], v[34:35], -v[36:37]
	ds_load_b128 v[2:5], v1 offset:1104
	s_wait_loadcnt_dscnt 0x801
	v_mul_f64_e32 v[157:158], v[141:142], v[147:148]
	v_mul_f64_e32 v[159:160], v[143:144], v[147:148]
	scratch_load_b128 v[34:37], off, off offset:496
	v_add_f64_e32 v[153:154], v[153:154], v[149:150]
	v_add_f64_e32 v[151:152], v[155:156], v[151:152]
	ds_load_b128 v[147:150], v1 offset:1120
	v_fma_f64 v[157:158], v[143:144], v[145:146], v[157:158]
	v_fma_f64 v[145:146], v[141:142], v[145:146], -v[159:160]
	scratch_load_b128 v[141:144], off, off offset:512
	s_wait_loadcnt_dscnt 0x901
	v_mul_f64_e32 v[155:156], v[2:3], v[40:41]
	v_mul_f64_e32 v[40:41], v[4:5], v[40:41]
	v_add_f64_e32 v[153:154], v[153:154], v[163:164]
	v_add_f64_e32 v[151:152], v[151:152], v[161:162]
	s_delay_alu instid0(VALU_DEP_4) | instskip(NEXT) | instid1(VALU_DEP_4)
	v_fma_f64 v[155:156], v[4:5], v[38:39], v[155:156]
	v_fma_f64 v[161:162], v[2:3], v[38:39], -v[40:41]
	ds_load_b128 v[2:5], v1 offset:1136
	s_wait_loadcnt_dscnt 0x801
	v_mul_f64_e32 v[159:160], v[147:148], v[8:9]
	v_mul_f64_e32 v[8:9], v[149:150], v[8:9]
	scratch_load_b128 v[38:41], off, off offset:528
	s_wait_loadcnt_dscnt 0x800
	v_mul_f64_e32 v[163:164], v[2:3], v[12:13]
	v_add_f64_e32 v[145:146], v[153:154], v[145:146]
	v_add_f64_e32 v[157:158], v[151:152], v[157:158]
	v_mul_f64_e32 v[12:13], v[4:5], v[12:13]
	ds_load_b128 v[151:154], v1 offset:1152
	v_fma_f64 v[149:150], v[149:150], v[6:7], v[159:160]
	v_fma_f64 v[147:148], v[147:148], v[6:7], -v[8:9]
	scratch_load_b128 v[6:9], off, off offset:544
	v_fma_f64 v[159:160], v[4:5], v[10:11], v[163:164]
	v_add_f64_e32 v[145:146], v[145:146], v[161:162]
	v_add_f64_e32 v[155:156], v[157:158], v[155:156]
	v_fma_f64 v[161:162], v[2:3], v[10:11], -v[12:13]
	ds_load_b128 v[2:5], v1 offset:1168
	s_wait_loadcnt_dscnt 0x801
	v_mul_f64_e32 v[157:158], v[151:152], v[16:17]
	v_mul_f64_e32 v[16:17], v[153:154], v[16:17]
	scratch_load_b128 v[10:13], off, off offset:560
	v_add_f64_e32 v[163:164], v[145:146], v[147:148]
	v_add_f64_e32 v[149:150], v[155:156], v[149:150]
	s_wait_loadcnt_dscnt 0x800
	v_mul_f64_e32 v[155:156], v[2:3], v[20:21]
	v_mul_f64_e32 v[20:21], v[4:5], v[20:21]
	v_fma_f64 v[153:154], v[153:154], v[14:15], v[157:158]
	v_fma_f64 v[151:152], v[151:152], v[14:15], -v[16:17]
	ds_load_b128 v[145:148], v1 offset:1184
	scratch_load_b128 v[14:17], off, off offset:576
	v_add_f64_e32 v[157:158], v[163:164], v[161:162]
	v_add_f64_e32 v[149:150], v[149:150], v[159:160]
	v_fma_f64 v[155:156], v[4:5], v[18:19], v[155:156]
	v_fma_f64 v[161:162], v[2:3], v[18:19], -v[20:21]
	ds_load_b128 v[2:5], v1 offset:1200
	s_wait_loadcnt_dscnt 0x801
	v_mul_f64_e32 v[159:160], v[145:146], v[24:25]
	v_mul_f64_e32 v[24:25], v[147:148], v[24:25]
	scratch_load_b128 v[18:21], off, off offset:592
	s_wait_loadcnt_dscnt 0x800
	v_mul_f64_e32 v[163:164], v[2:3], v[28:29]
	v_mul_f64_e32 v[28:29], v[4:5], v[28:29]
	v_add_f64_e32 v[157:158], v[157:158], v[151:152]
	v_add_f64_e32 v[153:154], v[149:150], v[153:154]
	ds_load_b128 v[149:152], v1 offset:1216
	v_fma_f64 v[147:148], v[147:148], v[22:23], v[159:160]
	v_fma_f64 v[145:146], v[145:146], v[22:23], -v[24:25]
	scratch_load_b128 v[22:25], off, off offset:608
	v_fma_f64 v[159:160], v[4:5], v[26:27], v[163:164]
	v_add_f64_e32 v[157:158], v[157:158], v[161:162]
	v_add_f64_e32 v[153:154], v[153:154], v[155:156]
	v_fma_f64 v[161:162], v[2:3], v[26:27], -v[28:29]
	ds_load_b128 v[2:5], v1 offset:1232
	s_wait_loadcnt_dscnt 0x801
	v_mul_f64_e32 v[155:156], v[149:150], v[32:33]
	v_mul_f64_e32 v[32:33], v[151:152], v[32:33]
	scratch_load_b128 v[26:29], off, off offset:624
	s_wait_loadcnt_dscnt 0x800
	v_mul_f64_e32 v[163:164], v[2:3], v[36:37]
	v_mul_f64_e32 v[36:37], v[4:5], v[36:37]
	v_add_f64_e32 v[157:158], v[157:158], v[145:146]
	v_add_f64_e32 v[153:154], v[153:154], v[147:148]
	ds_load_b128 v[145:148], v1 offset:1248
	v_fma_f64 v[151:152], v[151:152], v[30:31], v[155:156]
	v_fma_f64 v[149:150], v[149:150], v[30:31], -v[32:33]
	scratch_load_b128 v[30:33], off, off offset:640
	v_add_f64_e32 v[155:156], v[157:158], v[161:162]
	v_add_f64_e32 v[153:154], v[153:154], v[159:160]
	v_fma_f64 v[159:160], v[4:5], v[34:35], v[163:164]
	v_fma_f64 v[161:162], v[2:3], v[34:35], -v[36:37]
	ds_load_b128 v[2:5], v1 offset:1264
	s_wait_loadcnt_dscnt 0x801
	v_mul_f64_e32 v[157:158], v[145:146], v[143:144]
	v_mul_f64_e32 v[143:144], v[147:148], v[143:144]
	scratch_load_b128 v[34:37], off, off offset:656
	s_wait_loadcnt_dscnt 0x800
	v_mul_f64_e32 v[163:164], v[2:3], v[40:41]
	v_mul_f64_e32 v[40:41], v[4:5], v[40:41]
	v_add_f64_e32 v[155:156], v[155:156], v[149:150]
	v_add_f64_e32 v[153:154], v[153:154], v[151:152]
	ds_load_b128 v[149:152], v1 offset:1280
	v_fma_f64 v[147:148], v[147:148], v[141:142], v[157:158]
	v_fma_f64 v[145:146], v[145:146], v[141:142], -v[143:144]
	scratch_load_b128 v[141:144], off, off offset:672
	v_add_f64_e32 v[155:156], v[155:156], v[161:162]
	v_add_f64_e32 v[153:154], v[153:154], v[159:160]
	v_fma_f64 v[159:160], v[4:5], v[38:39], v[163:164]
	;; [unrolled: 18-line block ×4, first 2 shown]
	v_fma_f64 v[161:162], v[2:3], v[18:19], -v[20:21]
	ds_load_b128 v[2:5], v1 offset:1360
	s_wait_loadcnt_dscnt 0x801
	v_mul_f64_e32 v[157:158], v[149:150], v[24:25]
	v_mul_f64_e32 v[24:25], v[151:152], v[24:25]
	scratch_load_b128 v[18:21], off, off offset:752
	s_wait_loadcnt_dscnt 0x800
	v_mul_f64_e32 v[163:164], v[2:3], v[28:29]
	v_mul_f64_e32 v[28:29], v[4:5], v[28:29]
	v_add_f64_e32 v[155:156], v[155:156], v[145:146]
	v_add_f64_e32 v[153:154], v[153:154], v[147:148]
	ds_load_b128 v[145:148], v1 offset:1376
	v_fma_f64 v[151:152], v[151:152], v[22:23], v[157:158]
	v_fma_f64 v[22:23], v[149:150], v[22:23], -v[24:25]
	v_add_f64_e32 v[24:25], v[155:156], v[161:162]
	v_add_f64_e32 v[149:150], v[153:154], v[159:160]
	s_wait_loadcnt_dscnt 0x700
	v_mul_f64_e32 v[153:154], v[145:146], v[32:33]
	v_mul_f64_e32 v[32:33], v[147:148], v[32:33]
	v_fma_f64 v[155:156], v[4:5], v[26:27], v[163:164]
	v_fma_f64 v[26:27], v[2:3], v[26:27], -v[28:29]
	v_add_f64_e32 v[28:29], v[24:25], v[22:23]
	v_add_f64_e32 v[149:150], v[149:150], v[151:152]
	ds_load_b128 v[2:5], v1 offset:1392
	ds_load_b128 v[22:25], v1 offset:1408
	v_fma_f64 v[147:148], v[147:148], v[30:31], v[153:154]
	v_fma_f64 v[30:31], v[145:146], v[30:31], -v[32:33]
	s_wait_loadcnt_dscnt 0x601
	v_mul_f64_e32 v[151:152], v[2:3], v[36:37]
	v_mul_f64_e32 v[36:37], v[4:5], v[36:37]
	s_wait_loadcnt_dscnt 0x500
	v_mul_f64_e32 v[32:33], v[22:23], v[143:144]
	v_mul_f64_e32 v[143:144], v[24:25], v[143:144]
	v_add_f64_e32 v[26:27], v[28:29], v[26:27]
	v_add_f64_e32 v[28:29], v[149:150], v[155:156]
	v_fma_f64 v[145:146], v[4:5], v[34:35], v[151:152]
	v_fma_f64 v[34:35], v[2:3], v[34:35], -v[36:37]
	v_fma_f64 v[24:25], v[24:25], v[141:142], v[32:33]
	v_fma_f64 v[22:23], v[22:23], v[141:142], -v[143:144]
	v_add_f64_e32 v[30:31], v[26:27], v[30:31]
	v_add_f64_e32 v[36:37], v[28:29], v[147:148]
	ds_load_b128 v[2:5], v1 offset:1424
	ds_load_b128 v[26:29], v1 offset:1440
	s_wait_loadcnt_dscnt 0x401
	v_mul_f64_e32 v[147:148], v[2:3], v[40:41]
	v_mul_f64_e32 v[40:41], v[4:5], v[40:41]
	v_add_f64_e32 v[30:31], v[30:31], v[34:35]
	v_add_f64_e32 v[32:33], v[36:37], v[145:146]
	s_wait_loadcnt_dscnt 0x300
	v_mul_f64_e32 v[34:35], v[26:27], v[8:9]
	v_mul_f64_e32 v[8:9], v[28:29], v[8:9]
	v_fma_f64 v[36:37], v[4:5], v[38:39], v[147:148]
	v_fma_f64 v[38:39], v[2:3], v[38:39], -v[40:41]
	v_add_f64_e32 v[30:31], v[30:31], v[22:23]
	v_add_f64_e32 v[32:33], v[32:33], v[24:25]
	ds_load_b128 v[2:5], v1 offset:1456
	ds_load_b128 v[22:25], v1 offset:1472
	v_fma_f64 v[28:29], v[28:29], v[6:7], v[34:35]
	v_fma_f64 v[6:7], v[26:27], v[6:7], -v[8:9]
	s_wait_loadcnt_dscnt 0x201
	v_mul_f64_e32 v[40:41], v[2:3], v[12:13]
	v_mul_f64_e32 v[12:13], v[4:5], v[12:13]
	v_add_f64_e32 v[8:9], v[30:31], v[38:39]
	v_add_f64_e32 v[26:27], v[32:33], v[36:37]
	s_wait_loadcnt_dscnt 0x100
	v_mul_f64_e32 v[30:31], v[22:23], v[16:17]
	v_mul_f64_e32 v[16:17], v[24:25], v[16:17]
	v_fma_f64 v[32:33], v[4:5], v[10:11], v[40:41]
	v_fma_f64 v[10:11], v[2:3], v[10:11], -v[12:13]
	ds_load_b128 v[2:5], v1 offset:1488
	v_add_f64_e32 v[6:7], v[8:9], v[6:7]
	v_add_f64_e32 v[8:9], v[26:27], v[28:29]
	v_fma_f64 v[24:25], v[24:25], v[14:15], v[30:31]
	v_fma_f64 v[14:15], v[22:23], v[14:15], -v[16:17]
	s_wait_loadcnt_dscnt 0x0
	v_mul_f64_e32 v[12:13], v[2:3], v[20:21]
	v_mul_f64_e32 v[20:21], v[4:5], v[20:21]
	v_add_f64_e32 v[6:7], v[6:7], v[10:11]
	v_add_f64_e32 v[8:9], v[8:9], v[32:33]
	s_delay_alu instid0(VALU_DEP_4) | instskip(NEXT) | instid1(VALU_DEP_4)
	v_fma_f64 v[4:5], v[4:5], v[18:19], v[12:13]
	v_fma_f64 v[2:3], v[2:3], v[18:19], -v[20:21]
	s_delay_alu instid0(VALU_DEP_4) | instskip(NEXT) | instid1(VALU_DEP_4)
	v_add_f64_e32 v[6:7], v[6:7], v[14:15]
	v_add_f64_e32 v[8:9], v[8:9], v[24:25]
	s_delay_alu instid0(VALU_DEP_2) | instskip(NEXT) | instid1(VALU_DEP_2)
	v_add_f64_e32 v[2:3], v[6:7], v[2:3]
	v_add_f64_e32 v[4:5], v[8:9], v[4:5]
	s_delay_alu instid0(VALU_DEP_2) | instskip(NEXT) | instid1(VALU_DEP_2)
	v_add_f64_e64 v[2:3], v[42:43], -v[2:3]
	v_add_f64_e64 v[4:5], v[44:45], -v[4:5]
	scratch_store_b128 off, v[2:5], off offset:192
	v_cmpx_lt_u32_e32 10, v0
	s_cbranch_execz .LBB110_275
; %bb.274:
	scratch_load_b128 v[5:8], off, s50
	v_dual_mov_b32 v2, v1 :: v_dual_mov_b32 v3, v1
	v_mov_b32_e32 v4, v1
	scratch_store_b128 off, v[1:4], off offset:176
	s_wait_loadcnt 0x0
	ds_store_b128 v140, v[5:8]
.LBB110_275:
	s_wait_alu 0xfffe
	s_or_b32 exec_lo, exec_lo, s0
	s_wait_storecnt_dscnt 0x0
	s_barrier_signal -1
	s_barrier_wait -1
	global_inv scope:SCOPE_SE
	s_clause 0x8
	scratch_load_b128 v[2:5], off, off offset:192
	scratch_load_b128 v[6:9], off, off offset:208
	;; [unrolled: 1-line block ×9, first 2 shown]
	ds_load_b128 v[38:41], v1 offset:928
	ds_load_b128 v[42:45], v1 offset:944
	s_clause 0x1
	scratch_load_b128 v[141:144], off, off offset:176
	scratch_load_b128 v[145:148], off, off offset:336
	s_mov_b32 s0, exec_lo
	s_wait_loadcnt_dscnt 0xa01
	v_mul_f64_e32 v[149:150], v[40:41], v[4:5]
	v_mul_f64_e32 v[4:5], v[38:39], v[4:5]
	s_wait_loadcnt_dscnt 0x900
	v_mul_f64_e32 v[153:154], v[42:43], v[8:9]
	v_mul_f64_e32 v[8:9], v[44:45], v[8:9]
	s_delay_alu instid0(VALU_DEP_4) | instskip(NEXT) | instid1(VALU_DEP_4)
	v_fma_f64 v[155:156], v[38:39], v[2:3], -v[149:150]
	v_fma_f64 v[157:158], v[40:41], v[2:3], v[4:5]
	ds_load_b128 v[2:5], v1 offset:960
	ds_load_b128 v[149:152], v1 offset:976
	scratch_load_b128 v[38:41], off, off offset:352
	v_fma_f64 v[44:45], v[44:45], v[6:7], v[153:154]
	v_fma_f64 v[42:43], v[42:43], v[6:7], -v[8:9]
	scratch_load_b128 v[6:9], off, off offset:368
	s_wait_loadcnt_dscnt 0xa01
	v_mul_f64_e32 v[159:160], v[2:3], v[12:13]
	v_mul_f64_e32 v[12:13], v[4:5], v[12:13]
	v_add_f64_e32 v[153:154], 0, v[155:156]
	v_add_f64_e32 v[155:156], 0, v[157:158]
	s_wait_loadcnt_dscnt 0x900
	v_mul_f64_e32 v[157:158], v[149:150], v[16:17]
	v_mul_f64_e32 v[16:17], v[151:152], v[16:17]
	v_fma_f64 v[159:160], v[4:5], v[10:11], v[159:160]
	v_fma_f64 v[161:162], v[2:3], v[10:11], -v[12:13]
	ds_load_b128 v[2:5], v1 offset:992
	scratch_load_b128 v[10:13], off, off offset:384
	v_add_f64_e32 v[153:154], v[153:154], v[42:43]
	v_add_f64_e32 v[155:156], v[155:156], v[44:45]
	ds_load_b128 v[42:45], v1 offset:1008
	v_fma_f64 v[151:152], v[151:152], v[14:15], v[157:158]
	v_fma_f64 v[149:150], v[149:150], v[14:15], -v[16:17]
	scratch_load_b128 v[14:17], off, off offset:400
	s_wait_loadcnt_dscnt 0xa01
	v_mul_f64_e32 v[163:164], v[2:3], v[20:21]
	v_mul_f64_e32 v[20:21], v[4:5], v[20:21]
	s_wait_loadcnt_dscnt 0x900
	v_mul_f64_e32 v[157:158], v[42:43], v[24:25]
	v_mul_f64_e32 v[24:25], v[44:45], v[24:25]
	v_add_f64_e32 v[153:154], v[153:154], v[161:162]
	v_add_f64_e32 v[155:156], v[155:156], v[159:160]
	v_fma_f64 v[159:160], v[4:5], v[18:19], v[163:164]
	v_fma_f64 v[161:162], v[2:3], v[18:19], -v[20:21]
	ds_load_b128 v[2:5], v1 offset:1024
	scratch_load_b128 v[18:21], off, off offset:416
	v_fma_f64 v[44:45], v[44:45], v[22:23], v[157:158]
	v_fma_f64 v[42:43], v[42:43], v[22:23], -v[24:25]
	scratch_load_b128 v[22:25], off, off offset:432
	v_add_f64_e32 v[153:154], v[153:154], v[149:150]
	v_add_f64_e32 v[155:156], v[155:156], v[151:152]
	ds_load_b128 v[149:152], v1 offset:1040
	s_wait_loadcnt_dscnt 0xa01
	v_mul_f64_e32 v[163:164], v[2:3], v[28:29]
	v_mul_f64_e32 v[28:29], v[4:5], v[28:29]
	s_wait_loadcnt_dscnt 0x900
	v_mul_f64_e32 v[157:158], v[149:150], v[32:33]
	v_mul_f64_e32 v[32:33], v[151:152], v[32:33]
	v_add_f64_e32 v[153:154], v[153:154], v[161:162]
	v_add_f64_e32 v[155:156], v[155:156], v[159:160]
	v_fma_f64 v[159:160], v[4:5], v[26:27], v[163:164]
	v_fma_f64 v[161:162], v[2:3], v[26:27], -v[28:29]
	ds_load_b128 v[2:5], v1 offset:1056
	scratch_load_b128 v[26:29], off, off offset:448
	v_fma_f64 v[151:152], v[151:152], v[30:31], v[157:158]
	v_fma_f64 v[149:150], v[149:150], v[30:31], -v[32:33]
	scratch_load_b128 v[30:33], off, off offset:464
	v_add_f64_e32 v[153:154], v[153:154], v[42:43]
	v_add_f64_e32 v[155:156], v[155:156], v[44:45]
	ds_load_b128 v[42:45], v1 offset:1072
	s_wait_loadcnt_dscnt 0xa01
	v_mul_f64_e32 v[163:164], v[2:3], v[36:37]
	v_mul_f64_e32 v[36:37], v[4:5], v[36:37]
	s_wait_loadcnt_dscnt 0x800
	v_mul_f64_e32 v[157:158], v[42:43], v[147:148]
	v_add_f64_e32 v[153:154], v[153:154], v[161:162]
	v_add_f64_e32 v[155:156], v[155:156], v[159:160]
	v_mul_f64_e32 v[159:160], v[44:45], v[147:148]
	v_fma_f64 v[161:162], v[4:5], v[34:35], v[163:164]
	v_fma_f64 v[163:164], v[2:3], v[34:35], -v[36:37]
	ds_load_b128 v[2:5], v1 offset:1088
	scratch_load_b128 v[34:37], off, off offset:480
	v_fma_f64 v[44:45], v[44:45], v[145:146], v[157:158]
	v_add_f64_e32 v[153:154], v[153:154], v[149:150]
	v_add_f64_e32 v[151:152], v[155:156], v[151:152]
	ds_load_b128 v[147:150], v1 offset:1104
	v_fma_f64 v[145:146], v[42:43], v[145:146], -v[159:160]
	s_wait_loadcnt_dscnt 0x801
	v_mul_f64_e32 v[155:156], v[2:3], v[40:41]
	v_mul_f64_e32 v[165:166], v[4:5], v[40:41]
	scratch_load_b128 v[40:43], off, off offset:496
	s_wait_loadcnt_dscnt 0x800
	v_mul_f64_e32 v[159:160], v[147:148], v[8:9]
	v_mul_f64_e32 v[8:9], v[149:150], v[8:9]
	v_add_f64_e32 v[153:154], v[153:154], v[163:164]
	v_add_f64_e32 v[151:152], v[151:152], v[161:162]
	v_fma_f64 v[161:162], v[4:5], v[38:39], v[155:156]
	v_fma_f64 v[38:39], v[2:3], v[38:39], -v[165:166]
	ds_load_b128 v[2:5], v1 offset:1120
	ds_load_b128 v[155:158], v1 offset:1136
	v_fma_f64 v[149:150], v[149:150], v[6:7], v[159:160]
	v_fma_f64 v[147:148], v[147:148], v[6:7], -v[8:9]
	scratch_load_b128 v[6:9], off, off offset:528
	v_add_f64_e32 v[145:146], v[153:154], v[145:146]
	v_add_f64_e32 v[44:45], v[151:152], v[44:45]
	scratch_load_b128 v[151:154], off, off offset:512
	s_wait_loadcnt_dscnt 0x901
	v_mul_f64_e32 v[163:164], v[2:3], v[12:13]
	v_mul_f64_e32 v[12:13], v[4:5], v[12:13]
	s_wait_loadcnt_dscnt 0x800
	v_mul_f64_e32 v[159:160], v[155:156], v[16:17]
	v_mul_f64_e32 v[16:17], v[157:158], v[16:17]
	v_add_f64_e32 v[38:39], v[145:146], v[38:39]
	v_add_f64_e32 v[44:45], v[44:45], v[161:162]
	v_fma_f64 v[161:162], v[4:5], v[10:11], v[163:164]
	v_fma_f64 v[163:164], v[2:3], v[10:11], -v[12:13]
	ds_load_b128 v[2:5], v1 offset:1152
	scratch_load_b128 v[10:13], off, off offset:544
	v_fma_f64 v[157:158], v[157:158], v[14:15], v[159:160]
	v_fma_f64 v[155:156], v[155:156], v[14:15], -v[16:17]
	scratch_load_b128 v[14:17], off, off offset:560
	v_add_f64_e32 v[38:39], v[38:39], v[147:148]
	v_add_f64_e32 v[44:45], v[44:45], v[149:150]
	ds_load_b128 v[145:148], v1 offset:1168
	s_wait_loadcnt_dscnt 0x901
	v_mul_f64_e32 v[149:150], v[2:3], v[20:21]
	v_mul_f64_e32 v[20:21], v[4:5], v[20:21]
	s_wait_loadcnt_dscnt 0x800
	v_mul_f64_e32 v[159:160], v[145:146], v[24:25]
	v_mul_f64_e32 v[24:25], v[147:148], v[24:25]
	v_add_f64_e32 v[38:39], v[38:39], v[163:164]
	v_add_f64_e32 v[44:45], v[44:45], v[161:162]
	v_fma_f64 v[149:150], v[4:5], v[18:19], v[149:150]
	v_fma_f64 v[161:162], v[2:3], v[18:19], -v[20:21]
	ds_load_b128 v[2:5], v1 offset:1184
	scratch_load_b128 v[18:21], off, off offset:576
	v_fma_f64 v[147:148], v[147:148], v[22:23], v[159:160]
	v_fma_f64 v[145:146], v[145:146], v[22:23], -v[24:25]
	scratch_load_b128 v[22:25], off, off offset:592
	v_add_f64_e32 v[38:39], v[38:39], v[155:156]
	v_add_f64_e32 v[44:45], v[44:45], v[157:158]
	ds_load_b128 v[155:158], v1 offset:1200
	s_wait_loadcnt_dscnt 0x901
	v_mul_f64_e32 v[163:164], v[2:3], v[28:29]
	v_mul_f64_e32 v[28:29], v[4:5], v[28:29]
	v_add_f64_e32 v[38:39], v[38:39], v[161:162]
	v_add_f64_e32 v[44:45], v[44:45], v[149:150]
	s_wait_loadcnt_dscnt 0x800
	v_mul_f64_e32 v[149:150], v[155:156], v[32:33]
	v_mul_f64_e32 v[32:33], v[157:158], v[32:33]
	v_fma_f64 v[159:160], v[4:5], v[26:27], v[163:164]
	v_fma_f64 v[161:162], v[2:3], v[26:27], -v[28:29]
	ds_load_b128 v[2:5], v1 offset:1216
	scratch_load_b128 v[26:29], off, off offset:608
	v_add_f64_e32 v[38:39], v[38:39], v[145:146]
	v_add_f64_e32 v[44:45], v[44:45], v[147:148]
	ds_load_b128 v[145:148], v1 offset:1232
	s_wait_loadcnt_dscnt 0x801
	v_mul_f64_e32 v[163:164], v[2:3], v[36:37]
	v_mul_f64_e32 v[36:37], v[4:5], v[36:37]
	v_fma_f64 v[149:150], v[157:158], v[30:31], v[149:150]
	v_fma_f64 v[155:156], v[155:156], v[30:31], -v[32:33]
	scratch_load_b128 v[30:33], off, off offset:624
	s_wait_loadcnt_dscnt 0x800
	v_mul_f64_e32 v[157:158], v[145:146], v[42:43]
	v_add_f64_e32 v[38:39], v[38:39], v[161:162]
	v_add_f64_e32 v[44:45], v[44:45], v[159:160]
	v_mul_f64_e32 v[159:160], v[147:148], v[42:43]
	v_fma_f64 v[161:162], v[4:5], v[34:35], v[163:164]
	v_fma_f64 v[163:164], v[2:3], v[34:35], -v[36:37]
	ds_load_b128 v[2:5], v1 offset:1248
	scratch_load_b128 v[34:37], off, off offset:640
	v_fma_f64 v[147:148], v[147:148], v[40:41], v[157:158]
	v_add_f64_e32 v[38:39], v[38:39], v[155:156]
	v_add_f64_e32 v[149:150], v[44:45], v[149:150]
	ds_load_b128 v[42:45], v1 offset:1264
	v_fma_f64 v[145:146], v[145:146], v[40:41], -v[159:160]
	s_wait_loadcnt_dscnt 0x701
	v_mul_f64_e32 v[155:156], v[2:3], v[153:154]
	v_mul_f64_e32 v[153:154], v[4:5], v[153:154]
	s_wait_dscnt 0x0
	v_mul_f64_e32 v[159:160], v[42:43], v[8:9]
	v_mul_f64_e32 v[8:9], v[44:45], v[8:9]
	v_add_f64_e32 v[157:158], v[38:39], v[163:164]
	v_add_f64_e32 v[149:150], v[149:150], v[161:162]
	scratch_load_b128 v[38:41], off, off offset:656
	v_fma_f64 v[155:156], v[4:5], v[151:152], v[155:156]
	v_fma_f64 v[153:154], v[2:3], v[151:152], -v[153:154]
	ds_load_b128 v[2:5], v1 offset:1280
	v_fma_f64 v[44:45], v[44:45], v[6:7], v[159:160]
	v_fma_f64 v[42:43], v[42:43], v[6:7], -v[8:9]
	scratch_load_b128 v[6:9], off, off offset:688
	v_add_f64_e32 v[157:158], v[157:158], v[145:146]
	v_add_f64_e32 v[161:162], v[149:150], v[147:148]
	scratch_load_b128 v[145:148], off, off offset:672
	ds_load_b128 v[149:152], v1 offset:1296
	s_wait_loadcnt_dscnt 0x901
	v_mul_f64_e32 v[163:164], v[2:3], v[12:13]
	v_mul_f64_e32 v[12:13], v[4:5], v[12:13]
	v_add_f64_e32 v[153:154], v[157:158], v[153:154]
	v_add_f64_e32 v[155:156], v[161:162], v[155:156]
	s_wait_loadcnt_dscnt 0x800
	v_mul_f64_e32 v[157:158], v[149:150], v[16:17]
	v_mul_f64_e32 v[16:17], v[151:152], v[16:17]
	v_fma_f64 v[159:160], v[4:5], v[10:11], v[163:164]
	v_fma_f64 v[161:162], v[2:3], v[10:11], -v[12:13]
	ds_load_b128 v[2:5], v1 offset:1312
	scratch_load_b128 v[10:13], off, off offset:704
	v_add_f64_e32 v[153:154], v[153:154], v[42:43]
	v_add_f64_e32 v[155:156], v[155:156], v[44:45]
	ds_load_b128 v[42:45], v1 offset:1328
	s_wait_loadcnt_dscnt 0x801
	v_mul_f64_e32 v[163:164], v[2:3], v[20:21]
	v_mul_f64_e32 v[20:21], v[4:5], v[20:21]
	v_fma_f64 v[151:152], v[151:152], v[14:15], v[157:158]
	v_fma_f64 v[149:150], v[149:150], v[14:15], -v[16:17]
	scratch_load_b128 v[14:17], off, off offset:720
	s_wait_loadcnt_dscnt 0x800
	v_mul_f64_e32 v[157:158], v[42:43], v[24:25]
	v_mul_f64_e32 v[24:25], v[44:45], v[24:25]
	v_add_f64_e32 v[153:154], v[153:154], v[161:162]
	v_add_f64_e32 v[155:156], v[155:156], v[159:160]
	v_fma_f64 v[159:160], v[4:5], v[18:19], v[163:164]
	v_fma_f64 v[161:162], v[2:3], v[18:19], -v[20:21]
	ds_load_b128 v[2:5], v1 offset:1344
	scratch_load_b128 v[18:21], off, off offset:736
	v_fma_f64 v[44:45], v[44:45], v[22:23], v[157:158]
	v_fma_f64 v[42:43], v[42:43], v[22:23], -v[24:25]
	scratch_load_b128 v[22:25], off, off offset:752
	v_add_f64_e32 v[153:154], v[153:154], v[149:150]
	v_add_f64_e32 v[155:156], v[155:156], v[151:152]
	ds_load_b128 v[149:152], v1 offset:1360
	s_wait_loadcnt_dscnt 0x901
	v_mul_f64_e32 v[163:164], v[2:3], v[28:29]
	v_mul_f64_e32 v[28:29], v[4:5], v[28:29]
	s_wait_loadcnt_dscnt 0x800
	v_mul_f64_e32 v[157:158], v[149:150], v[32:33]
	v_mul_f64_e32 v[32:33], v[151:152], v[32:33]
	v_add_f64_e32 v[153:154], v[153:154], v[161:162]
	v_add_f64_e32 v[155:156], v[155:156], v[159:160]
	v_fma_f64 v[159:160], v[4:5], v[26:27], v[163:164]
	v_fma_f64 v[161:162], v[2:3], v[26:27], -v[28:29]
	ds_load_b128 v[2:5], v1 offset:1376
	ds_load_b128 v[26:29], v1 offset:1392
	v_fma_f64 v[151:152], v[151:152], v[30:31], v[157:158]
	v_fma_f64 v[30:31], v[149:150], v[30:31], -v[32:33]
	v_add_f64_e32 v[42:43], v[153:154], v[42:43]
	v_add_f64_e32 v[44:45], v[155:156], v[44:45]
	s_wait_loadcnt_dscnt 0x701
	v_mul_f64_e32 v[153:154], v[2:3], v[36:37]
	v_mul_f64_e32 v[36:37], v[4:5], v[36:37]
	s_delay_alu instid0(VALU_DEP_4) | instskip(NEXT) | instid1(VALU_DEP_4)
	v_add_f64_e32 v[32:33], v[42:43], v[161:162]
	v_add_f64_e32 v[42:43], v[44:45], v[159:160]
	s_delay_alu instid0(VALU_DEP_4) | instskip(NEXT) | instid1(VALU_DEP_4)
	v_fma_f64 v[149:150], v[4:5], v[34:35], v[153:154]
	v_fma_f64 v[34:35], v[2:3], v[34:35], -v[36:37]
	s_wait_loadcnt_dscnt 0x600
	v_mul_f64_e32 v[44:45], v[26:27], v[40:41]
	v_mul_f64_e32 v[40:41], v[28:29], v[40:41]
	v_add_f64_e32 v[36:37], v[32:33], v[30:31]
	v_add_f64_e32 v[42:43], v[42:43], v[151:152]
	ds_load_b128 v[2:5], v1 offset:1408
	ds_load_b128 v[30:33], v1 offset:1424
	v_fma_f64 v[28:29], v[28:29], v[38:39], v[44:45]
	v_fma_f64 v[26:27], v[26:27], v[38:39], -v[40:41]
	s_wait_loadcnt_dscnt 0x401
	v_mul_f64_e32 v[151:152], v[2:3], v[147:148]
	v_mul_f64_e32 v[147:148], v[4:5], v[147:148]
	s_wait_dscnt 0x0
	v_mul_f64_e32 v[38:39], v[30:31], v[8:9]
	v_mul_f64_e32 v[8:9], v[32:33], v[8:9]
	v_add_f64_e32 v[34:35], v[36:37], v[34:35]
	v_add_f64_e32 v[36:37], v[42:43], v[149:150]
	v_fma_f64 v[40:41], v[4:5], v[145:146], v[151:152]
	v_fma_f64 v[42:43], v[2:3], v[145:146], -v[147:148]
	v_fma_f64 v[32:33], v[32:33], v[6:7], v[38:39]
	v_fma_f64 v[6:7], v[30:31], v[6:7], -v[8:9]
	v_add_f64_e32 v[34:35], v[34:35], v[26:27]
	v_add_f64_e32 v[36:37], v[36:37], v[28:29]
	ds_load_b128 v[2:5], v1 offset:1440
	ds_load_b128 v[26:29], v1 offset:1456
	s_wait_loadcnt_dscnt 0x301
	v_mul_f64_e32 v[44:45], v[2:3], v[12:13]
	v_mul_f64_e32 v[12:13], v[4:5], v[12:13]
	v_add_f64_e32 v[8:9], v[34:35], v[42:43]
	v_add_f64_e32 v[30:31], v[36:37], v[40:41]
	s_wait_loadcnt_dscnt 0x200
	v_mul_f64_e32 v[34:35], v[26:27], v[16:17]
	v_mul_f64_e32 v[16:17], v[28:29], v[16:17]
	v_fma_f64 v[36:37], v[4:5], v[10:11], v[44:45]
	v_fma_f64 v[10:11], v[2:3], v[10:11], -v[12:13]
	v_add_f64_e32 v[12:13], v[8:9], v[6:7]
	v_add_f64_e32 v[30:31], v[30:31], v[32:33]
	ds_load_b128 v[2:5], v1 offset:1472
	ds_load_b128 v[6:9], v1 offset:1488
	v_fma_f64 v[28:29], v[28:29], v[14:15], v[34:35]
	v_fma_f64 v[14:15], v[26:27], v[14:15], -v[16:17]
	s_wait_loadcnt_dscnt 0x101
	v_mul_f64_e32 v[32:33], v[2:3], v[20:21]
	v_mul_f64_e32 v[20:21], v[4:5], v[20:21]
	s_wait_loadcnt_dscnt 0x0
	v_mul_f64_e32 v[16:17], v[6:7], v[24:25]
	v_mul_f64_e32 v[24:25], v[8:9], v[24:25]
	v_add_f64_e32 v[10:11], v[12:13], v[10:11]
	v_add_f64_e32 v[12:13], v[30:31], v[36:37]
	v_fma_f64 v[4:5], v[4:5], v[18:19], v[32:33]
	v_fma_f64 v[1:2], v[2:3], v[18:19], -v[20:21]
	v_fma_f64 v[8:9], v[8:9], v[22:23], v[16:17]
	v_fma_f64 v[6:7], v[6:7], v[22:23], -v[24:25]
	v_add_f64_e32 v[10:11], v[10:11], v[14:15]
	v_add_f64_e32 v[12:13], v[12:13], v[28:29]
	s_delay_alu instid0(VALU_DEP_2) | instskip(NEXT) | instid1(VALU_DEP_2)
	v_add_f64_e32 v[1:2], v[10:11], v[1:2]
	v_add_f64_e32 v[3:4], v[12:13], v[4:5]
	s_delay_alu instid0(VALU_DEP_2) | instskip(NEXT) | instid1(VALU_DEP_2)
	;; [unrolled: 3-line block ×3, first 2 shown]
	v_add_f64_e64 v[1:2], v[141:142], -v[1:2]
	v_add_f64_e64 v[3:4], v[143:144], -v[3:4]
	scratch_store_b128 off, v[1:4], off offset:176
	v_cmpx_lt_u32_e32 9, v0
	s_cbranch_execz .LBB110_277
; %bb.276:
	scratch_load_b128 v[1:4], off, s51
	v_mov_b32_e32 v5, 0
	s_delay_alu instid0(VALU_DEP_1)
	v_dual_mov_b32 v6, v5 :: v_dual_mov_b32 v7, v5
	v_mov_b32_e32 v8, v5
	scratch_store_b128 off, v[5:8], off offset:160
	s_wait_loadcnt 0x0
	ds_store_b128 v140, v[1:4]
.LBB110_277:
	s_wait_alu 0xfffe
	s_or_b32 exec_lo, exec_lo, s0
	s_wait_storecnt_dscnt 0x0
	s_barrier_signal -1
	s_barrier_wait -1
	global_inv scope:SCOPE_SE
	s_clause 0x7
	scratch_load_b128 v[2:5], off, off offset:176
	scratch_load_b128 v[6:9], off, off offset:192
	;; [unrolled: 1-line block ×8, first 2 shown]
	v_mov_b32_e32 v1, 0
	s_mov_b32 s0, exec_lo
	ds_load_b128 v[38:41], v1 offset:912
	s_clause 0x1
	scratch_load_b128 v[34:37], off, off offset:304
	scratch_load_b128 v[42:45], off, off offset:160
	ds_load_b128 v[141:144], v1 offset:928
	scratch_load_b128 v[145:148], off, off offset:320
	s_wait_loadcnt_dscnt 0xa01
	v_mul_f64_e32 v[149:150], v[40:41], v[4:5]
	v_mul_f64_e32 v[4:5], v[38:39], v[4:5]
	s_delay_alu instid0(VALU_DEP_2) | instskip(NEXT) | instid1(VALU_DEP_2)
	v_fma_f64 v[155:156], v[38:39], v[2:3], -v[149:150]
	v_fma_f64 v[157:158], v[40:41], v[2:3], v[4:5]
	ds_load_b128 v[2:5], v1 offset:944
	s_wait_loadcnt_dscnt 0x901
	v_mul_f64_e32 v[153:154], v[141:142], v[8:9]
	v_mul_f64_e32 v[8:9], v[143:144], v[8:9]
	scratch_load_b128 v[38:41], off, off offset:336
	ds_load_b128 v[149:152], v1 offset:960
	s_wait_loadcnt_dscnt 0x901
	v_mul_f64_e32 v[159:160], v[2:3], v[12:13]
	v_mul_f64_e32 v[12:13], v[4:5], v[12:13]
	v_fma_f64 v[143:144], v[143:144], v[6:7], v[153:154]
	v_fma_f64 v[141:142], v[141:142], v[6:7], -v[8:9]
	v_add_f64_e32 v[153:154], 0, v[155:156]
	v_add_f64_e32 v[155:156], 0, v[157:158]
	scratch_load_b128 v[6:9], off, off offset:352
	v_fma_f64 v[159:160], v[4:5], v[10:11], v[159:160]
	v_fma_f64 v[161:162], v[2:3], v[10:11], -v[12:13]
	ds_load_b128 v[2:5], v1 offset:976
	s_wait_loadcnt_dscnt 0x901
	v_mul_f64_e32 v[157:158], v[149:150], v[16:17]
	v_mul_f64_e32 v[16:17], v[151:152], v[16:17]
	scratch_load_b128 v[10:13], off, off offset:368
	v_add_f64_e32 v[153:154], v[153:154], v[141:142]
	v_add_f64_e32 v[155:156], v[155:156], v[143:144]
	s_wait_loadcnt_dscnt 0x900
	v_mul_f64_e32 v[163:164], v[2:3], v[20:21]
	v_mul_f64_e32 v[20:21], v[4:5], v[20:21]
	ds_load_b128 v[141:144], v1 offset:992
	v_fma_f64 v[151:152], v[151:152], v[14:15], v[157:158]
	v_fma_f64 v[149:150], v[149:150], v[14:15], -v[16:17]
	scratch_load_b128 v[14:17], off, off offset:384
	v_add_f64_e32 v[153:154], v[153:154], v[161:162]
	v_add_f64_e32 v[155:156], v[155:156], v[159:160]
	v_fma_f64 v[159:160], v[4:5], v[18:19], v[163:164]
	v_fma_f64 v[161:162], v[2:3], v[18:19], -v[20:21]
	ds_load_b128 v[2:5], v1 offset:1008
	s_wait_loadcnt_dscnt 0x901
	v_mul_f64_e32 v[157:158], v[141:142], v[24:25]
	v_mul_f64_e32 v[24:25], v[143:144], v[24:25]
	scratch_load_b128 v[18:21], off, off offset:400
	s_wait_loadcnt_dscnt 0x900
	v_mul_f64_e32 v[163:164], v[2:3], v[28:29]
	v_mul_f64_e32 v[28:29], v[4:5], v[28:29]
	v_add_f64_e32 v[153:154], v[153:154], v[149:150]
	v_add_f64_e32 v[155:156], v[155:156], v[151:152]
	ds_load_b128 v[149:152], v1 offset:1024
	v_fma_f64 v[143:144], v[143:144], v[22:23], v[157:158]
	v_fma_f64 v[141:142], v[141:142], v[22:23], -v[24:25]
	scratch_load_b128 v[22:25], off, off offset:416
	v_add_f64_e32 v[153:154], v[153:154], v[161:162]
	v_add_f64_e32 v[155:156], v[155:156], v[159:160]
	v_fma_f64 v[159:160], v[4:5], v[26:27], v[163:164]
	v_fma_f64 v[161:162], v[2:3], v[26:27], -v[28:29]
	ds_load_b128 v[2:5], v1 offset:1040
	s_wait_loadcnt_dscnt 0x901
	v_mul_f64_e32 v[157:158], v[149:150], v[32:33]
	v_mul_f64_e32 v[32:33], v[151:152], v[32:33]
	scratch_load_b128 v[26:29], off, off offset:432
	s_wait_loadcnt_dscnt 0x900
	v_mul_f64_e32 v[163:164], v[2:3], v[36:37]
	v_mul_f64_e32 v[36:37], v[4:5], v[36:37]
	v_add_f64_e32 v[153:154], v[153:154], v[141:142]
	v_add_f64_e32 v[155:156], v[155:156], v[143:144]
	ds_load_b128 v[141:144], v1 offset:1056
	v_fma_f64 v[151:152], v[151:152], v[30:31], v[157:158]
	v_fma_f64 v[149:150], v[149:150], v[30:31], -v[32:33]
	scratch_load_b128 v[30:33], off, off offset:448
	v_add_f64_e32 v[153:154], v[153:154], v[161:162]
	v_add_f64_e32 v[155:156], v[155:156], v[159:160]
	v_fma_f64 v[161:162], v[4:5], v[34:35], v[163:164]
	v_fma_f64 v[163:164], v[2:3], v[34:35], -v[36:37]
	ds_load_b128 v[2:5], v1 offset:1072
	s_wait_loadcnt_dscnt 0x801
	v_mul_f64_e32 v[157:158], v[141:142], v[147:148]
	v_mul_f64_e32 v[159:160], v[143:144], v[147:148]
	scratch_load_b128 v[34:37], off, off offset:464
	v_add_f64_e32 v[153:154], v[153:154], v[149:150]
	v_add_f64_e32 v[151:152], v[155:156], v[151:152]
	ds_load_b128 v[147:150], v1 offset:1088
	v_fma_f64 v[157:158], v[143:144], v[145:146], v[157:158]
	v_fma_f64 v[145:146], v[141:142], v[145:146], -v[159:160]
	scratch_load_b128 v[141:144], off, off offset:480
	s_wait_loadcnt_dscnt 0x901
	v_mul_f64_e32 v[155:156], v[2:3], v[40:41]
	v_mul_f64_e32 v[40:41], v[4:5], v[40:41]
	v_add_f64_e32 v[153:154], v[153:154], v[163:164]
	v_add_f64_e32 v[151:152], v[151:152], v[161:162]
	s_delay_alu instid0(VALU_DEP_4) | instskip(NEXT) | instid1(VALU_DEP_4)
	v_fma_f64 v[155:156], v[4:5], v[38:39], v[155:156]
	v_fma_f64 v[161:162], v[2:3], v[38:39], -v[40:41]
	ds_load_b128 v[2:5], v1 offset:1104
	s_wait_loadcnt_dscnt 0x801
	v_mul_f64_e32 v[159:160], v[147:148], v[8:9]
	v_mul_f64_e32 v[8:9], v[149:150], v[8:9]
	scratch_load_b128 v[38:41], off, off offset:496
	s_wait_loadcnt_dscnt 0x800
	v_mul_f64_e32 v[163:164], v[2:3], v[12:13]
	v_add_f64_e32 v[145:146], v[153:154], v[145:146]
	v_add_f64_e32 v[157:158], v[151:152], v[157:158]
	v_mul_f64_e32 v[12:13], v[4:5], v[12:13]
	ds_load_b128 v[151:154], v1 offset:1120
	v_fma_f64 v[149:150], v[149:150], v[6:7], v[159:160]
	v_fma_f64 v[147:148], v[147:148], v[6:7], -v[8:9]
	scratch_load_b128 v[6:9], off, off offset:512
	v_fma_f64 v[159:160], v[4:5], v[10:11], v[163:164]
	v_add_f64_e32 v[145:146], v[145:146], v[161:162]
	v_add_f64_e32 v[155:156], v[157:158], v[155:156]
	v_fma_f64 v[161:162], v[2:3], v[10:11], -v[12:13]
	ds_load_b128 v[2:5], v1 offset:1136
	s_wait_loadcnt_dscnt 0x801
	v_mul_f64_e32 v[157:158], v[151:152], v[16:17]
	v_mul_f64_e32 v[16:17], v[153:154], v[16:17]
	scratch_load_b128 v[10:13], off, off offset:528
	v_add_f64_e32 v[163:164], v[145:146], v[147:148]
	v_add_f64_e32 v[149:150], v[155:156], v[149:150]
	s_wait_loadcnt_dscnt 0x800
	v_mul_f64_e32 v[155:156], v[2:3], v[20:21]
	v_mul_f64_e32 v[20:21], v[4:5], v[20:21]
	v_fma_f64 v[153:154], v[153:154], v[14:15], v[157:158]
	v_fma_f64 v[151:152], v[151:152], v[14:15], -v[16:17]
	ds_load_b128 v[145:148], v1 offset:1152
	scratch_load_b128 v[14:17], off, off offset:544
	v_add_f64_e32 v[157:158], v[163:164], v[161:162]
	v_add_f64_e32 v[149:150], v[149:150], v[159:160]
	v_fma_f64 v[155:156], v[4:5], v[18:19], v[155:156]
	v_fma_f64 v[161:162], v[2:3], v[18:19], -v[20:21]
	ds_load_b128 v[2:5], v1 offset:1168
	s_wait_loadcnt_dscnt 0x801
	v_mul_f64_e32 v[159:160], v[145:146], v[24:25]
	v_mul_f64_e32 v[24:25], v[147:148], v[24:25]
	scratch_load_b128 v[18:21], off, off offset:560
	s_wait_loadcnt_dscnt 0x800
	v_mul_f64_e32 v[163:164], v[2:3], v[28:29]
	v_mul_f64_e32 v[28:29], v[4:5], v[28:29]
	v_add_f64_e32 v[157:158], v[157:158], v[151:152]
	v_add_f64_e32 v[153:154], v[149:150], v[153:154]
	ds_load_b128 v[149:152], v1 offset:1184
	v_fma_f64 v[147:148], v[147:148], v[22:23], v[159:160]
	v_fma_f64 v[145:146], v[145:146], v[22:23], -v[24:25]
	scratch_load_b128 v[22:25], off, off offset:576
	v_fma_f64 v[159:160], v[4:5], v[26:27], v[163:164]
	v_add_f64_e32 v[157:158], v[157:158], v[161:162]
	v_add_f64_e32 v[153:154], v[153:154], v[155:156]
	v_fma_f64 v[161:162], v[2:3], v[26:27], -v[28:29]
	ds_load_b128 v[2:5], v1 offset:1200
	s_wait_loadcnt_dscnt 0x801
	v_mul_f64_e32 v[155:156], v[149:150], v[32:33]
	v_mul_f64_e32 v[32:33], v[151:152], v[32:33]
	scratch_load_b128 v[26:29], off, off offset:592
	s_wait_loadcnt_dscnt 0x800
	v_mul_f64_e32 v[163:164], v[2:3], v[36:37]
	v_mul_f64_e32 v[36:37], v[4:5], v[36:37]
	v_add_f64_e32 v[157:158], v[157:158], v[145:146]
	v_add_f64_e32 v[153:154], v[153:154], v[147:148]
	ds_load_b128 v[145:148], v1 offset:1216
	v_fma_f64 v[151:152], v[151:152], v[30:31], v[155:156]
	v_fma_f64 v[149:150], v[149:150], v[30:31], -v[32:33]
	scratch_load_b128 v[30:33], off, off offset:608
	v_add_f64_e32 v[155:156], v[157:158], v[161:162]
	v_add_f64_e32 v[153:154], v[153:154], v[159:160]
	v_fma_f64 v[159:160], v[4:5], v[34:35], v[163:164]
	v_fma_f64 v[161:162], v[2:3], v[34:35], -v[36:37]
	ds_load_b128 v[2:5], v1 offset:1232
	s_wait_loadcnt_dscnt 0x801
	v_mul_f64_e32 v[157:158], v[145:146], v[143:144]
	v_mul_f64_e32 v[143:144], v[147:148], v[143:144]
	scratch_load_b128 v[34:37], off, off offset:624
	s_wait_loadcnt_dscnt 0x800
	v_mul_f64_e32 v[163:164], v[2:3], v[40:41]
	v_mul_f64_e32 v[40:41], v[4:5], v[40:41]
	v_add_f64_e32 v[155:156], v[155:156], v[149:150]
	v_add_f64_e32 v[153:154], v[153:154], v[151:152]
	ds_load_b128 v[149:152], v1 offset:1248
	v_fma_f64 v[147:148], v[147:148], v[141:142], v[157:158]
	v_fma_f64 v[145:146], v[145:146], v[141:142], -v[143:144]
	scratch_load_b128 v[141:144], off, off offset:640
	v_add_f64_e32 v[155:156], v[155:156], v[161:162]
	v_add_f64_e32 v[153:154], v[153:154], v[159:160]
	v_fma_f64 v[159:160], v[4:5], v[38:39], v[163:164]
	;; [unrolled: 18-line block ×5, first 2 shown]
	v_fma_f64 v[161:162], v[2:3], v[26:27], -v[28:29]
	ds_load_b128 v[2:5], v1 offset:1360
	s_wait_loadcnt_dscnt 0x801
	v_mul_f64_e32 v[157:158], v[145:146], v[32:33]
	v_mul_f64_e32 v[32:33], v[147:148], v[32:33]
	scratch_load_b128 v[26:29], off, off offset:752
	s_wait_loadcnt_dscnt 0x800
	v_mul_f64_e32 v[163:164], v[2:3], v[36:37]
	v_mul_f64_e32 v[36:37], v[4:5], v[36:37]
	v_add_f64_e32 v[155:156], v[155:156], v[149:150]
	v_add_f64_e32 v[153:154], v[153:154], v[151:152]
	ds_load_b128 v[149:152], v1 offset:1376
	v_fma_f64 v[147:148], v[147:148], v[30:31], v[157:158]
	v_fma_f64 v[30:31], v[145:146], v[30:31], -v[32:33]
	v_add_f64_e32 v[32:33], v[155:156], v[161:162]
	v_add_f64_e32 v[145:146], v[153:154], v[159:160]
	s_wait_loadcnt_dscnt 0x700
	v_mul_f64_e32 v[153:154], v[149:150], v[143:144]
	v_mul_f64_e32 v[143:144], v[151:152], v[143:144]
	v_fma_f64 v[155:156], v[4:5], v[34:35], v[163:164]
	v_fma_f64 v[34:35], v[2:3], v[34:35], -v[36:37]
	v_add_f64_e32 v[36:37], v[32:33], v[30:31]
	v_add_f64_e32 v[145:146], v[145:146], v[147:148]
	ds_load_b128 v[2:5], v1 offset:1392
	ds_load_b128 v[30:33], v1 offset:1408
	v_fma_f64 v[151:152], v[151:152], v[141:142], v[153:154]
	v_fma_f64 v[141:142], v[149:150], v[141:142], -v[143:144]
	s_wait_loadcnt_dscnt 0x601
	v_mul_f64_e32 v[147:148], v[2:3], v[40:41]
	v_mul_f64_e32 v[40:41], v[4:5], v[40:41]
	s_wait_loadcnt_dscnt 0x500
	v_mul_f64_e32 v[143:144], v[30:31], v[8:9]
	v_mul_f64_e32 v[8:9], v[32:33], v[8:9]
	v_add_f64_e32 v[34:35], v[36:37], v[34:35]
	v_add_f64_e32 v[36:37], v[145:146], v[155:156]
	v_fma_f64 v[145:146], v[4:5], v[38:39], v[147:148]
	v_fma_f64 v[38:39], v[2:3], v[38:39], -v[40:41]
	v_fma_f64 v[32:33], v[32:33], v[6:7], v[143:144]
	v_fma_f64 v[6:7], v[30:31], v[6:7], -v[8:9]
	v_add_f64_e32 v[40:41], v[34:35], v[141:142]
	v_add_f64_e32 v[141:142], v[36:37], v[151:152]
	ds_load_b128 v[2:5], v1 offset:1424
	ds_load_b128 v[34:37], v1 offset:1440
	s_wait_loadcnt_dscnt 0x401
	v_mul_f64_e32 v[147:148], v[2:3], v[12:13]
	v_mul_f64_e32 v[12:13], v[4:5], v[12:13]
	v_add_f64_e32 v[8:9], v[40:41], v[38:39]
	v_add_f64_e32 v[30:31], v[141:142], v[145:146]
	s_wait_loadcnt_dscnt 0x300
	v_mul_f64_e32 v[38:39], v[34:35], v[16:17]
	v_mul_f64_e32 v[16:17], v[36:37], v[16:17]
	v_fma_f64 v[40:41], v[4:5], v[10:11], v[147:148]
	v_fma_f64 v[10:11], v[2:3], v[10:11], -v[12:13]
	v_add_f64_e32 v[12:13], v[8:9], v[6:7]
	v_add_f64_e32 v[30:31], v[30:31], v[32:33]
	ds_load_b128 v[2:5], v1 offset:1456
	ds_load_b128 v[6:9], v1 offset:1472
	v_fma_f64 v[36:37], v[36:37], v[14:15], v[38:39]
	v_fma_f64 v[14:15], v[34:35], v[14:15], -v[16:17]
	s_wait_loadcnt_dscnt 0x201
	v_mul_f64_e32 v[32:33], v[2:3], v[20:21]
	v_mul_f64_e32 v[20:21], v[4:5], v[20:21]
	s_wait_loadcnt_dscnt 0x100
	v_mul_f64_e32 v[16:17], v[6:7], v[24:25]
	v_mul_f64_e32 v[24:25], v[8:9], v[24:25]
	v_add_f64_e32 v[10:11], v[12:13], v[10:11]
	v_add_f64_e32 v[12:13], v[30:31], v[40:41]
	v_fma_f64 v[30:31], v[4:5], v[18:19], v[32:33]
	v_fma_f64 v[18:19], v[2:3], v[18:19], -v[20:21]
	ds_load_b128 v[2:5], v1 offset:1488
	v_fma_f64 v[8:9], v[8:9], v[22:23], v[16:17]
	v_fma_f64 v[6:7], v[6:7], v[22:23], -v[24:25]
	v_add_f64_e32 v[10:11], v[10:11], v[14:15]
	v_add_f64_e32 v[12:13], v[12:13], v[36:37]
	s_wait_loadcnt_dscnt 0x0
	v_mul_f64_e32 v[14:15], v[2:3], v[28:29]
	v_mul_f64_e32 v[20:21], v[4:5], v[28:29]
	s_delay_alu instid0(VALU_DEP_4) | instskip(NEXT) | instid1(VALU_DEP_4)
	v_add_f64_e32 v[10:11], v[10:11], v[18:19]
	v_add_f64_e32 v[12:13], v[12:13], v[30:31]
	s_delay_alu instid0(VALU_DEP_4) | instskip(NEXT) | instid1(VALU_DEP_4)
	v_fma_f64 v[4:5], v[4:5], v[26:27], v[14:15]
	v_fma_f64 v[2:3], v[2:3], v[26:27], -v[20:21]
	s_delay_alu instid0(VALU_DEP_4) | instskip(NEXT) | instid1(VALU_DEP_4)
	v_add_f64_e32 v[6:7], v[10:11], v[6:7]
	v_add_f64_e32 v[8:9], v[12:13], v[8:9]
	s_delay_alu instid0(VALU_DEP_2) | instskip(NEXT) | instid1(VALU_DEP_2)
	v_add_f64_e32 v[2:3], v[6:7], v[2:3]
	v_add_f64_e32 v[4:5], v[8:9], v[4:5]
	s_delay_alu instid0(VALU_DEP_2) | instskip(NEXT) | instid1(VALU_DEP_2)
	v_add_f64_e64 v[2:3], v[42:43], -v[2:3]
	v_add_f64_e64 v[4:5], v[44:45], -v[4:5]
	scratch_store_b128 off, v[2:5], off offset:160
	v_cmpx_lt_u32_e32 8, v0
	s_cbranch_execz .LBB110_279
; %bb.278:
	scratch_load_b128 v[5:8], off, s52
	v_dual_mov_b32 v2, v1 :: v_dual_mov_b32 v3, v1
	v_mov_b32_e32 v4, v1
	scratch_store_b128 off, v[1:4], off offset:144
	s_wait_loadcnt 0x0
	ds_store_b128 v140, v[5:8]
.LBB110_279:
	s_wait_alu 0xfffe
	s_or_b32 exec_lo, exec_lo, s0
	s_wait_storecnt_dscnt 0x0
	s_barrier_signal -1
	s_barrier_wait -1
	global_inv scope:SCOPE_SE
	s_clause 0x8
	scratch_load_b128 v[2:5], off, off offset:160
	scratch_load_b128 v[6:9], off, off offset:176
	;; [unrolled: 1-line block ×9, first 2 shown]
	ds_load_b128 v[42:45], v1 offset:896
	ds_load_b128 v[38:41], v1 offset:912
	s_clause 0x1
	scratch_load_b128 v[141:144], off, off offset:144
	scratch_load_b128 v[145:148], off, off offset:304
	s_mov_b32 s0, exec_lo
	s_wait_loadcnt_dscnt 0xa01
	v_mul_f64_e32 v[149:150], v[44:45], v[4:5]
	v_mul_f64_e32 v[4:5], v[42:43], v[4:5]
	s_wait_loadcnt_dscnt 0x900
	v_mul_f64_e32 v[153:154], v[38:39], v[8:9]
	v_mul_f64_e32 v[8:9], v[40:41], v[8:9]
	s_delay_alu instid0(VALU_DEP_4) | instskip(NEXT) | instid1(VALU_DEP_4)
	v_fma_f64 v[155:156], v[42:43], v[2:3], -v[149:150]
	v_fma_f64 v[157:158], v[44:45], v[2:3], v[4:5]
	ds_load_b128 v[2:5], v1 offset:928
	ds_load_b128 v[149:152], v1 offset:944
	scratch_load_b128 v[42:45], off, off offset:320
	v_fma_f64 v[40:41], v[40:41], v[6:7], v[153:154]
	v_fma_f64 v[38:39], v[38:39], v[6:7], -v[8:9]
	scratch_load_b128 v[6:9], off, off offset:336
	s_wait_loadcnt_dscnt 0xa01
	v_mul_f64_e32 v[159:160], v[2:3], v[12:13]
	v_mul_f64_e32 v[12:13], v[4:5], v[12:13]
	v_add_f64_e32 v[153:154], 0, v[155:156]
	v_add_f64_e32 v[155:156], 0, v[157:158]
	s_wait_loadcnt_dscnt 0x900
	v_mul_f64_e32 v[157:158], v[149:150], v[16:17]
	v_mul_f64_e32 v[16:17], v[151:152], v[16:17]
	v_fma_f64 v[159:160], v[4:5], v[10:11], v[159:160]
	v_fma_f64 v[161:162], v[2:3], v[10:11], -v[12:13]
	ds_load_b128 v[2:5], v1 offset:960
	scratch_load_b128 v[10:13], off, off offset:352
	v_add_f64_e32 v[153:154], v[153:154], v[38:39]
	v_add_f64_e32 v[155:156], v[155:156], v[40:41]
	ds_load_b128 v[38:41], v1 offset:976
	v_fma_f64 v[151:152], v[151:152], v[14:15], v[157:158]
	v_fma_f64 v[149:150], v[149:150], v[14:15], -v[16:17]
	scratch_load_b128 v[14:17], off, off offset:368
	s_wait_loadcnt_dscnt 0xa01
	v_mul_f64_e32 v[163:164], v[2:3], v[20:21]
	v_mul_f64_e32 v[20:21], v[4:5], v[20:21]
	s_wait_loadcnt_dscnt 0x900
	v_mul_f64_e32 v[157:158], v[38:39], v[24:25]
	v_mul_f64_e32 v[24:25], v[40:41], v[24:25]
	v_add_f64_e32 v[153:154], v[153:154], v[161:162]
	v_add_f64_e32 v[155:156], v[155:156], v[159:160]
	v_fma_f64 v[159:160], v[4:5], v[18:19], v[163:164]
	v_fma_f64 v[161:162], v[2:3], v[18:19], -v[20:21]
	ds_load_b128 v[2:5], v1 offset:992
	scratch_load_b128 v[18:21], off, off offset:384
	v_fma_f64 v[40:41], v[40:41], v[22:23], v[157:158]
	v_fma_f64 v[38:39], v[38:39], v[22:23], -v[24:25]
	scratch_load_b128 v[22:25], off, off offset:400
	v_add_f64_e32 v[153:154], v[153:154], v[149:150]
	v_add_f64_e32 v[155:156], v[155:156], v[151:152]
	ds_load_b128 v[149:152], v1 offset:1008
	s_wait_loadcnt_dscnt 0xa01
	v_mul_f64_e32 v[163:164], v[2:3], v[28:29]
	v_mul_f64_e32 v[28:29], v[4:5], v[28:29]
	s_wait_loadcnt_dscnt 0x900
	v_mul_f64_e32 v[157:158], v[149:150], v[32:33]
	v_mul_f64_e32 v[32:33], v[151:152], v[32:33]
	v_add_f64_e32 v[153:154], v[153:154], v[161:162]
	v_add_f64_e32 v[155:156], v[155:156], v[159:160]
	v_fma_f64 v[159:160], v[4:5], v[26:27], v[163:164]
	v_fma_f64 v[161:162], v[2:3], v[26:27], -v[28:29]
	ds_load_b128 v[2:5], v1 offset:1024
	scratch_load_b128 v[26:29], off, off offset:416
	v_fma_f64 v[151:152], v[151:152], v[30:31], v[157:158]
	v_fma_f64 v[149:150], v[149:150], v[30:31], -v[32:33]
	scratch_load_b128 v[30:33], off, off offset:432
	v_add_f64_e32 v[153:154], v[153:154], v[38:39]
	v_add_f64_e32 v[155:156], v[155:156], v[40:41]
	ds_load_b128 v[38:41], v1 offset:1040
	s_wait_loadcnt_dscnt 0xa01
	v_mul_f64_e32 v[163:164], v[2:3], v[36:37]
	v_mul_f64_e32 v[36:37], v[4:5], v[36:37]
	s_wait_loadcnt_dscnt 0x800
	v_mul_f64_e32 v[157:158], v[38:39], v[147:148]
	v_add_f64_e32 v[153:154], v[153:154], v[161:162]
	v_add_f64_e32 v[155:156], v[155:156], v[159:160]
	v_mul_f64_e32 v[159:160], v[40:41], v[147:148]
	v_fma_f64 v[161:162], v[4:5], v[34:35], v[163:164]
	v_fma_f64 v[163:164], v[2:3], v[34:35], -v[36:37]
	ds_load_b128 v[2:5], v1 offset:1056
	scratch_load_b128 v[34:37], off, off offset:448
	v_fma_f64 v[157:158], v[40:41], v[145:146], v[157:158]
	v_add_f64_e32 v[153:154], v[153:154], v[149:150]
	v_add_f64_e32 v[151:152], v[155:156], v[151:152]
	ds_load_b128 v[147:150], v1 offset:1072
	v_fma_f64 v[145:146], v[38:39], v[145:146], -v[159:160]
	scratch_load_b128 v[38:41], off, off offset:464
	s_wait_loadcnt_dscnt 0x901
	v_mul_f64_e32 v[155:156], v[2:3], v[44:45]
	v_mul_f64_e32 v[44:45], v[4:5], v[44:45]
	s_wait_loadcnt_dscnt 0x800
	v_mul_f64_e32 v[159:160], v[147:148], v[8:9]
	v_mul_f64_e32 v[8:9], v[149:150], v[8:9]
	v_add_f64_e32 v[153:154], v[153:154], v[163:164]
	v_add_f64_e32 v[151:152], v[151:152], v[161:162]
	v_fma_f64 v[155:156], v[4:5], v[42:43], v[155:156]
	v_fma_f64 v[161:162], v[2:3], v[42:43], -v[44:45]
	ds_load_b128 v[2:5], v1 offset:1088
	scratch_load_b128 v[42:45], off, off offset:480
	v_fma_f64 v[149:150], v[149:150], v[6:7], v[159:160]
	v_fma_f64 v[147:148], v[147:148], v[6:7], -v[8:9]
	scratch_load_b128 v[6:9], off, off offset:496
	v_add_f64_e32 v[145:146], v[153:154], v[145:146]
	v_add_f64_e32 v[157:158], v[151:152], v[157:158]
	ds_load_b128 v[151:154], v1 offset:1104
	s_wait_loadcnt_dscnt 0x901
	v_mul_f64_e32 v[163:164], v[2:3], v[12:13]
	v_mul_f64_e32 v[12:13], v[4:5], v[12:13]
	v_add_f64_e32 v[145:146], v[145:146], v[161:162]
	v_add_f64_e32 v[155:156], v[157:158], v[155:156]
	s_wait_loadcnt_dscnt 0x800
	v_mul_f64_e32 v[157:158], v[151:152], v[16:17]
	v_mul_f64_e32 v[16:17], v[153:154], v[16:17]
	v_fma_f64 v[159:160], v[4:5], v[10:11], v[163:164]
	v_fma_f64 v[161:162], v[2:3], v[10:11], -v[12:13]
	ds_load_b128 v[2:5], v1 offset:1120
	scratch_load_b128 v[10:13], off, off offset:512
	v_add_f64_e32 v[163:164], v[145:146], v[147:148]
	v_add_f64_e32 v[149:150], v[155:156], v[149:150]
	ds_load_b128 v[145:148], v1 offset:1136
	s_wait_loadcnt_dscnt 0x801
	v_mul_f64_e32 v[155:156], v[2:3], v[20:21]
	v_mul_f64_e32 v[20:21], v[4:5], v[20:21]
	v_fma_f64 v[153:154], v[153:154], v[14:15], v[157:158]
	v_fma_f64 v[151:152], v[151:152], v[14:15], -v[16:17]
	scratch_load_b128 v[14:17], off, off offset:528
	v_add_f64_e32 v[157:158], v[163:164], v[161:162]
	v_add_f64_e32 v[149:150], v[149:150], v[159:160]
	s_wait_loadcnt_dscnt 0x800
	v_mul_f64_e32 v[159:160], v[145:146], v[24:25]
	v_mul_f64_e32 v[24:25], v[147:148], v[24:25]
	v_fma_f64 v[155:156], v[4:5], v[18:19], v[155:156]
	v_fma_f64 v[161:162], v[2:3], v[18:19], -v[20:21]
	ds_load_b128 v[2:5], v1 offset:1152
	scratch_load_b128 v[18:21], off, off offset:544
	v_add_f64_e32 v[157:158], v[157:158], v[151:152]
	v_add_f64_e32 v[153:154], v[149:150], v[153:154]
	ds_load_b128 v[149:152], v1 offset:1168
	s_wait_loadcnt_dscnt 0x801
	v_mul_f64_e32 v[163:164], v[2:3], v[28:29]
	v_mul_f64_e32 v[28:29], v[4:5], v[28:29]
	v_fma_f64 v[147:148], v[147:148], v[22:23], v[159:160]
	v_fma_f64 v[145:146], v[145:146], v[22:23], -v[24:25]
	scratch_load_b128 v[22:25], off, off offset:560
	;; [unrolled: 18-line block ×4, first 2 shown]
	s_wait_loadcnt_dscnt 0x800
	v_mul_f64_e32 v[157:158], v[149:150], v[8:9]
	v_mul_f64_e32 v[8:9], v[151:152], v[8:9]
	v_add_f64_e32 v[155:156], v[155:156], v[161:162]
	v_add_f64_e32 v[153:154], v[153:154], v[159:160]
	v_fma_f64 v[159:160], v[4:5], v[42:43], v[163:164]
	v_fma_f64 v[161:162], v[2:3], v[42:43], -v[44:45]
	ds_load_b128 v[2:5], v1 offset:1248
	scratch_load_b128 v[42:45], off, off offset:640
	v_fma_f64 v[151:152], v[151:152], v[6:7], v[157:158]
	v_fma_f64 v[149:150], v[149:150], v[6:7], -v[8:9]
	scratch_load_b128 v[6:9], off, off offset:656
	v_add_f64_e32 v[155:156], v[155:156], v[145:146]
	v_add_f64_e32 v[153:154], v[153:154], v[147:148]
	ds_load_b128 v[145:148], v1 offset:1264
	s_wait_loadcnt_dscnt 0x901
	v_mul_f64_e32 v[163:164], v[2:3], v[12:13]
	v_mul_f64_e32 v[12:13], v[4:5], v[12:13]
	s_wait_loadcnt_dscnt 0x800
	v_mul_f64_e32 v[157:158], v[145:146], v[16:17]
	v_mul_f64_e32 v[16:17], v[147:148], v[16:17]
	v_add_f64_e32 v[155:156], v[155:156], v[161:162]
	v_add_f64_e32 v[153:154], v[153:154], v[159:160]
	v_fma_f64 v[159:160], v[4:5], v[10:11], v[163:164]
	v_fma_f64 v[161:162], v[2:3], v[10:11], -v[12:13]
	ds_load_b128 v[2:5], v1 offset:1280
	scratch_load_b128 v[10:13], off, off offset:672
	v_fma_f64 v[147:148], v[147:148], v[14:15], v[157:158]
	v_fma_f64 v[145:146], v[145:146], v[14:15], -v[16:17]
	scratch_load_b128 v[14:17], off, off offset:688
	v_add_f64_e32 v[155:156], v[155:156], v[149:150]
	v_add_f64_e32 v[153:154], v[153:154], v[151:152]
	ds_load_b128 v[149:152], v1 offset:1296
	s_wait_loadcnt_dscnt 0x901
	v_mul_f64_e32 v[163:164], v[2:3], v[20:21]
	v_mul_f64_e32 v[20:21], v[4:5], v[20:21]
	;; [unrolled: 18-line block ×4, first 2 shown]
	s_wait_loadcnt_dscnt 0x800
	v_mul_f64_e32 v[157:158], v[149:150], v[40:41]
	v_mul_f64_e32 v[40:41], v[151:152], v[40:41]
	v_add_f64_e32 v[155:156], v[155:156], v[161:162]
	v_add_f64_e32 v[153:154], v[153:154], v[159:160]
	v_fma_f64 v[159:160], v[4:5], v[34:35], v[163:164]
	v_fma_f64 v[161:162], v[2:3], v[34:35], -v[36:37]
	ds_load_b128 v[2:5], v1 offset:1376
	ds_load_b128 v[34:37], v1 offset:1392
	v_fma_f64 v[151:152], v[151:152], v[38:39], v[157:158]
	v_fma_f64 v[38:39], v[149:150], v[38:39], -v[40:41]
	v_add_f64_e32 v[145:146], v[155:156], v[145:146]
	v_add_f64_e32 v[147:148], v[153:154], v[147:148]
	s_wait_loadcnt_dscnt 0x701
	v_mul_f64_e32 v[153:154], v[2:3], v[44:45]
	v_mul_f64_e32 v[44:45], v[4:5], v[44:45]
	s_delay_alu instid0(VALU_DEP_4) | instskip(NEXT) | instid1(VALU_DEP_4)
	v_add_f64_e32 v[40:41], v[145:146], v[161:162]
	v_add_f64_e32 v[145:146], v[147:148], v[159:160]
	s_wait_loadcnt_dscnt 0x600
	v_mul_f64_e32 v[147:148], v[34:35], v[8:9]
	v_mul_f64_e32 v[8:9], v[36:37], v[8:9]
	v_fma_f64 v[149:150], v[4:5], v[42:43], v[153:154]
	v_fma_f64 v[42:43], v[2:3], v[42:43], -v[44:45]
	v_add_f64_e32 v[44:45], v[40:41], v[38:39]
	v_add_f64_e32 v[145:146], v[145:146], v[151:152]
	ds_load_b128 v[2:5], v1 offset:1408
	ds_load_b128 v[38:41], v1 offset:1424
	v_fma_f64 v[36:37], v[36:37], v[6:7], v[147:148]
	v_fma_f64 v[6:7], v[34:35], v[6:7], -v[8:9]
	s_wait_loadcnt_dscnt 0x501
	v_mul_f64_e32 v[151:152], v[2:3], v[12:13]
	v_mul_f64_e32 v[12:13], v[4:5], v[12:13]
	v_add_f64_e32 v[8:9], v[44:45], v[42:43]
	v_add_f64_e32 v[34:35], v[145:146], v[149:150]
	s_wait_loadcnt_dscnt 0x400
	v_mul_f64_e32 v[42:43], v[38:39], v[16:17]
	v_mul_f64_e32 v[16:17], v[40:41], v[16:17]
	v_fma_f64 v[44:45], v[4:5], v[10:11], v[151:152]
	v_fma_f64 v[10:11], v[2:3], v[10:11], -v[12:13]
	v_add_f64_e32 v[12:13], v[8:9], v[6:7]
	v_add_f64_e32 v[34:35], v[34:35], v[36:37]
	ds_load_b128 v[2:5], v1 offset:1440
	ds_load_b128 v[6:9], v1 offset:1456
	v_fma_f64 v[40:41], v[40:41], v[14:15], v[42:43]
	v_fma_f64 v[14:15], v[38:39], v[14:15], -v[16:17]
	s_wait_loadcnt_dscnt 0x301
	v_mul_f64_e32 v[36:37], v[2:3], v[20:21]
	v_mul_f64_e32 v[20:21], v[4:5], v[20:21]
	s_wait_loadcnt_dscnt 0x200
	v_mul_f64_e32 v[16:17], v[6:7], v[24:25]
	v_mul_f64_e32 v[24:25], v[8:9], v[24:25]
	v_add_f64_e32 v[10:11], v[12:13], v[10:11]
	v_add_f64_e32 v[12:13], v[34:35], v[44:45]
	v_fma_f64 v[34:35], v[4:5], v[18:19], v[36:37]
	v_fma_f64 v[18:19], v[2:3], v[18:19], -v[20:21]
	v_fma_f64 v[8:9], v[8:9], v[22:23], v[16:17]
	v_fma_f64 v[6:7], v[6:7], v[22:23], -v[24:25]
	v_add_f64_e32 v[14:15], v[10:11], v[14:15]
	v_add_f64_e32 v[20:21], v[12:13], v[40:41]
	ds_load_b128 v[2:5], v1 offset:1472
	ds_load_b128 v[10:13], v1 offset:1488
	s_wait_loadcnt_dscnt 0x101
	v_mul_f64_e32 v[36:37], v[2:3], v[28:29]
	v_mul_f64_e32 v[28:29], v[4:5], v[28:29]
	v_add_f64_e32 v[14:15], v[14:15], v[18:19]
	v_add_f64_e32 v[16:17], v[20:21], v[34:35]
	s_wait_loadcnt_dscnt 0x0
	v_mul_f64_e32 v[18:19], v[10:11], v[32:33]
	v_mul_f64_e32 v[20:21], v[12:13], v[32:33]
	v_fma_f64 v[4:5], v[4:5], v[26:27], v[36:37]
	v_fma_f64 v[1:2], v[2:3], v[26:27], -v[28:29]
	v_add_f64_e32 v[6:7], v[14:15], v[6:7]
	v_add_f64_e32 v[8:9], v[16:17], v[8:9]
	v_fma_f64 v[12:13], v[12:13], v[30:31], v[18:19]
	v_fma_f64 v[10:11], v[10:11], v[30:31], -v[20:21]
	s_delay_alu instid0(VALU_DEP_4) | instskip(NEXT) | instid1(VALU_DEP_4)
	v_add_f64_e32 v[1:2], v[6:7], v[1:2]
	v_add_f64_e32 v[3:4], v[8:9], v[4:5]
	s_delay_alu instid0(VALU_DEP_2) | instskip(NEXT) | instid1(VALU_DEP_2)
	v_add_f64_e32 v[1:2], v[1:2], v[10:11]
	v_add_f64_e32 v[3:4], v[3:4], v[12:13]
	s_delay_alu instid0(VALU_DEP_2) | instskip(NEXT) | instid1(VALU_DEP_2)
	v_add_f64_e64 v[1:2], v[141:142], -v[1:2]
	v_add_f64_e64 v[3:4], v[143:144], -v[3:4]
	scratch_store_b128 off, v[1:4], off offset:144
	v_cmpx_lt_u32_e32 7, v0
	s_cbranch_execz .LBB110_281
; %bb.280:
	scratch_load_b128 v[1:4], off, s53
	v_mov_b32_e32 v5, 0
	s_delay_alu instid0(VALU_DEP_1)
	v_dual_mov_b32 v6, v5 :: v_dual_mov_b32 v7, v5
	v_mov_b32_e32 v8, v5
	scratch_store_b128 off, v[5:8], off offset:128
	s_wait_loadcnt 0x0
	ds_store_b128 v140, v[1:4]
.LBB110_281:
	s_wait_alu 0xfffe
	s_or_b32 exec_lo, exec_lo, s0
	s_wait_storecnt_dscnt 0x0
	s_barrier_signal -1
	s_barrier_wait -1
	global_inv scope:SCOPE_SE
	s_clause 0x7
	scratch_load_b128 v[2:5], off, off offset:144
	scratch_load_b128 v[6:9], off, off offset:160
	;; [unrolled: 1-line block ×8, first 2 shown]
	v_mov_b32_e32 v1, 0
	s_mov_b32 s0, exec_lo
	ds_load_b128 v[38:41], v1 offset:880
	s_clause 0x1
	scratch_load_b128 v[34:37], off, off offset:272
	scratch_load_b128 v[42:45], off, off offset:128
	ds_load_b128 v[141:144], v1 offset:896
	scratch_load_b128 v[145:148], off, off offset:288
	s_wait_loadcnt_dscnt 0xa01
	v_mul_f64_e32 v[149:150], v[40:41], v[4:5]
	v_mul_f64_e32 v[4:5], v[38:39], v[4:5]
	s_delay_alu instid0(VALU_DEP_2) | instskip(NEXT) | instid1(VALU_DEP_2)
	v_fma_f64 v[155:156], v[38:39], v[2:3], -v[149:150]
	v_fma_f64 v[157:158], v[40:41], v[2:3], v[4:5]
	ds_load_b128 v[2:5], v1 offset:912
	s_wait_loadcnt_dscnt 0x901
	v_mul_f64_e32 v[153:154], v[141:142], v[8:9]
	v_mul_f64_e32 v[8:9], v[143:144], v[8:9]
	scratch_load_b128 v[38:41], off, off offset:304
	ds_load_b128 v[149:152], v1 offset:928
	s_wait_loadcnt_dscnt 0x901
	v_mul_f64_e32 v[159:160], v[2:3], v[12:13]
	v_mul_f64_e32 v[12:13], v[4:5], v[12:13]
	v_fma_f64 v[143:144], v[143:144], v[6:7], v[153:154]
	v_fma_f64 v[141:142], v[141:142], v[6:7], -v[8:9]
	v_add_f64_e32 v[153:154], 0, v[155:156]
	v_add_f64_e32 v[155:156], 0, v[157:158]
	scratch_load_b128 v[6:9], off, off offset:320
	v_fma_f64 v[159:160], v[4:5], v[10:11], v[159:160]
	v_fma_f64 v[161:162], v[2:3], v[10:11], -v[12:13]
	ds_load_b128 v[2:5], v1 offset:944
	s_wait_loadcnt_dscnt 0x901
	v_mul_f64_e32 v[157:158], v[149:150], v[16:17]
	v_mul_f64_e32 v[16:17], v[151:152], v[16:17]
	scratch_load_b128 v[10:13], off, off offset:336
	v_add_f64_e32 v[153:154], v[153:154], v[141:142]
	v_add_f64_e32 v[155:156], v[155:156], v[143:144]
	s_wait_loadcnt_dscnt 0x900
	v_mul_f64_e32 v[163:164], v[2:3], v[20:21]
	v_mul_f64_e32 v[20:21], v[4:5], v[20:21]
	ds_load_b128 v[141:144], v1 offset:960
	v_fma_f64 v[151:152], v[151:152], v[14:15], v[157:158]
	v_fma_f64 v[149:150], v[149:150], v[14:15], -v[16:17]
	scratch_load_b128 v[14:17], off, off offset:352
	v_add_f64_e32 v[153:154], v[153:154], v[161:162]
	v_add_f64_e32 v[155:156], v[155:156], v[159:160]
	v_fma_f64 v[159:160], v[4:5], v[18:19], v[163:164]
	v_fma_f64 v[161:162], v[2:3], v[18:19], -v[20:21]
	ds_load_b128 v[2:5], v1 offset:976
	s_wait_loadcnt_dscnt 0x901
	v_mul_f64_e32 v[157:158], v[141:142], v[24:25]
	v_mul_f64_e32 v[24:25], v[143:144], v[24:25]
	scratch_load_b128 v[18:21], off, off offset:368
	s_wait_loadcnt_dscnt 0x900
	v_mul_f64_e32 v[163:164], v[2:3], v[28:29]
	v_mul_f64_e32 v[28:29], v[4:5], v[28:29]
	v_add_f64_e32 v[153:154], v[153:154], v[149:150]
	v_add_f64_e32 v[155:156], v[155:156], v[151:152]
	ds_load_b128 v[149:152], v1 offset:992
	v_fma_f64 v[143:144], v[143:144], v[22:23], v[157:158]
	v_fma_f64 v[141:142], v[141:142], v[22:23], -v[24:25]
	scratch_load_b128 v[22:25], off, off offset:384
	v_add_f64_e32 v[153:154], v[153:154], v[161:162]
	v_add_f64_e32 v[155:156], v[155:156], v[159:160]
	v_fma_f64 v[159:160], v[4:5], v[26:27], v[163:164]
	v_fma_f64 v[161:162], v[2:3], v[26:27], -v[28:29]
	ds_load_b128 v[2:5], v1 offset:1008
	s_wait_loadcnt_dscnt 0x901
	v_mul_f64_e32 v[157:158], v[149:150], v[32:33]
	v_mul_f64_e32 v[32:33], v[151:152], v[32:33]
	scratch_load_b128 v[26:29], off, off offset:400
	s_wait_loadcnt_dscnt 0x900
	v_mul_f64_e32 v[163:164], v[2:3], v[36:37]
	v_mul_f64_e32 v[36:37], v[4:5], v[36:37]
	v_add_f64_e32 v[153:154], v[153:154], v[141:142]
	v_add_f64_e32 v[155:156], v[155:156], v[143:144]
	ds_load_b128 v[141:144], v1 offset:1024
	v_fma_f64 v[151:152], v[151:152], v[30:31], v[157:158]
	v_fma_f64 v[149:150], v[149:150], v[30:31], -v[32:33]
	scratch_load_b128 v[30:33], off, off offset:416
	v_add_f64_e32 v[153:154], v[153:154], v[161:162]
	v_add_f64_e32 v[155:156], v[155:156], v[159:160]
	v_fma_f64 v[161:162], v[4:5], v[34:35], v[163:164]
	v_fma_f64 v[163:164], v[2:3], v[34:35], -v[36:37]
	ds_load_b128 v[2:5], v1 offset:1040
	s_wait_loadcnt_dscnt 0x801
	v_mul_f64_e32 v[157:158], v[141:142], v[147:148]
	v_mul_f64_e32 v[159:160], v[143:144], v[147:148]
	scratch_load_b128 v[34:37], off, off offset:432
	v_add_f64_e32 v[153:154], v[153:154], v[149:150]
	v_add_f64_e32 v[151:152], v[155:156], v[151:152]
	ds_load_b128 v[147:150], v1 offset:1056
	v_fma_f64 v[157:158], v[143:144], v[145:146], v[157:158]
	v_fma_f64 v[145:146], v[141:142], v[145:146], -v[159:160]
	scratch_load_b128 v[141:144], off, off offset:448
	s_wait_loadcnt_dscnt 0x901
	v_mul_f64_e32 v[155:156], v[2:3], v[40:41]
	v_mul_f64_e32 v[40:41], v[4:5], v[40:41]
	v_add_f64_e32 v[153:154], v[153:154], v[163:164]
	v_add_f64_e32 v[151:152], v[151:152], v[161:162]
	s_delay_alu instid0(VALU_DEP_4) | instskip(NEXT) | instid1(VALU_DEP_4)
	v_fma_f64 v[155:156], v[4:5], v[38:39], v[155:156]
	v_fma_f64 v[161:162], v[2:3], v[38:39], -v[40:41]
	ds_load_b128 v[2:5], v1 offset:1072
	s_wait_loadcnt_dscnt 0x801
	v_mul_f64_e32 v[159:160], v[147:148], v[8:9]
	v_mul_f64_e32 v[8:9], v[149:150], v[8:9]
	scratch_load_b128 v[38:41], off, off offset:464
	s_wait_loadcnt_dscnt 0x800
	v_mul_f64_e32 v[163:164], v[2:3], v[12:13]
	v_add_f64_e32 v[145:146], v[153:154], v[145:146]
	v_add_f64_e32 v[157:158], v[151:152], v[157:158]
	v_mul_f64_e32 v[12:13], v[4:5], v[12:13]
	ds_load_b128 v[151:154], v1 offset:1088
	v_fma_f64 v[149:150], v[149:150], v[6:7], v[159:160]
	v_fma_f64 v[147:148], v[147:148], v[6:7], -v[8:9]
	scratch_load_b128 v[6:9], off, off offset:480
	v_fma_f64 v[159:160], v[4:5], v[10:11], v[163:164]
	v_add_f64_e32 v[145:146], v[145:146], v[161:162]
	v_add_f64_e32 v[155:156], v[157:158], v[155:156]
	v_fma_f64 v[161:162], v[2:3], v[10:11], -v[12:13]
	ds_load_b128 v[2:5], v1 offset:1104
	s_wait_loadcnt_dscnt 0x801
	v_mul_f64_e32 v[157:158], v[151:152], v[16:17]
	v_mul_f64_e32 v[16:17], v[153:154], v[16:17]
	scratch_load_b128 v[10:13], off, off offset:496
	v_add_f64_e32 v[163:164], v[145:146], v[147:148]
	v_add_f64_e32 v[149:150], v[155:156], v[149:150]
	s_wait_loadcnt_dscnt 0x800
	v_mul_f64_e32 v[155:156], v[2:3], v[20:21]
	v_mul_f64_e32 v[20:21], v[4:5], v[20:21]
	v_fma_f64 v[153:154], v[153:154], v[14:15], v[157:158]
	v_fma_f64 v[151:152], v[151:152], v[14:15], -v[16:17]
	ds_load_b128 v[145:148], v1 offset:1120
	scratch_load_b128 v[14:17], off, off offset:512
	v_add_f64_e32 v[157:158], v[163:164], v[161:162]
	v_add_f64_e32 v[149:150], v[149:150], v[159:160]
	v_fma_f64 v[155:156], v[4:5], v[18:19], v[155:156]
	v_fma_f64 v[161:162], v[2:3], v[18:19], -v[20:21]
	ds_load_b128 v[2:5], v1 offset:1136
	s_wait_loadcnt_dscnt 0x801
	v_mul_f64_e32 v[159:160], v[145:146], v[24:25]
	v_mul_f64_e32 v[24:25], v[147:148], v[24:25]
	scratch_load_b128 v[18:21], off, off offset:528
	s_wait_loadcnt_dscnt 0x800
	v_mul_f64_e32 v[163:164], v[2:3], v[28:29]
	v_mul_f64_e32 v[28:29], v[4:5], v[28:29]
	v_add_f64_e32 v[157:158], v[157:158], v[151:152]
	v_add_f64_e32 v[153:154], v[149:150], v[153:154]
	ds_load_b128 v[149:152], v1 offset:1152
	v_fma_f64 v[147:148], v[147:148], v[22:23], v[159:160]
	v_fma_f64 v[145:146], v[145:146], v[22:23], -v[24:25]
	scratch_load_b128 v[22:25], off, off offset:544
	v_fma_f64 v[159:160], v[4:5], v[26:27], v[163:164]
	v_add_f64_e32 v[157:158], v[157:158], v[161:162]
	v_add_f64_e32 v[153:154], v[153:154], v[155:156]
	v_fma_f64 v[161:162], v[2:3], v[26:27], -v[28:29]
	ds_load_b128 v[2:5], v1 offset:1168
	s_wait_loadcnt_dscnt 0x801
	v_mul_f64_e32 v[155:156], v[149:150], v[32:33]
	v_mul_f64_e32 v[32:33], v[151:152], v[32:33]
	scratch_load_b128 v[26:29], off, off offset:560
	s_wait_loadcnt_dscnt 0x800
	v_mul_f64_e32 v[163:164], v[2:3], v[36:37]
	v_mul_f64_e32 v[36:37], v[4:5], v[36:37]
	v_add_f64_e32 v[157:158], v[157:158], v[145:146]
	v_add_f64_e32 v[153:154], v[153:154], v[147:148]
	ds_load_b128 v[145:148], v1 offset:1184
	v_fma_f64 v[151:152], v[151:152], v[30:31], v[155:156]
	v_fma_f64 v[149:150], v[149:150], v[30:31], -v[32:33]
	scratch_load_b128 v[30:33], off, off offset:576
	v_add_f64_e32 v[155:156], v[157:158], v[161:162]
	v_add_f64_e32 v[153:154], v[153:154], v[159:160]
	v_fma_f64 v[159:160], v[4:5], v[34:35], v[163:164]
	v_fma_f64 v[161:162], v[2:3], v[34:35], -v[36:37]
	ds_load_b128 v[2:5], v1 offset:1200
	s_wait_loadcnt_dscnt 0x801
	v_mul_f64_e32 v[157:158], v[145:146], v[143:144]
	v_mul_f64_e32 v[143:144], v[147:148], v[143:144]
	scratch_load_b128 v[34:37], off, off offset:592
	s_wait_loadcnt_dscnt 0x800
	v_mul_f64_e32 v[163:164], v[2:3], v[40:41]
	v_mul_f64_e32 v[40:41], v[4:5], v[40:41]
	v_add_f64_e32 v[155:156], v[155:156], v[149:150]
	v_add_f64_e32 v[153:154], v[153:154], v[151:152]
	ds_load_b128 v[149:152], v1 offset:1216
	v_fma_f64 v[147:148], v[147:148], v[141:142], v[157:158]
	v_fma_f64 v[145:146], v[145:146], v[141:142], -v[143:144]
	scratch_load_b128 v[141:144], off, off offset:608
	v_add_f64_e32 v[155:156], v[155:156], v[161:162]
	v_add_f64_e32 v[153:154], v[153:154], v[159:160]
	v_fma_f64 v[159:160], v[4:5], v[38:39], v[163:164]
	;; [unrolled: 18-line block ×6, first 2 shown]
	v_fma_f64 v[163:164], v[2:3], v[34:35], -v[36:37]
	ds_load_b128 v[2:5], v1 offset:1360
	s_wait_loadcnt_dscnt 0x801
	v_mul_f64_e32 v[157:158], v[149:150], v[143:144]
	v_mul_f64_e32 v[159:160], v[151:152], v[143:144]
	scratch_load_b128 v[34:37], off, off offset:752
	v_add_f64_e32 v[155:156], v[155:156], v[145:146]
	v_add_f64_e32 v[147:148], v[153:154], v[147:148]
	s_wait_loadcnt_dscnt 0x800
	v_mul_f64_e32 v[153:154], v[2:3], v[40:41]
	v_mul_f64_e32 v[40:41], v[4:5], v[40:41]
	ds_load_b128 v[143:146], v1 offset:1376
	v_fma_f64 v[151:152], v[151:152], v[141:142], v[157:158]
	v_fma_f64 v[141:142], v[149:150], v[141:142], -v[159:160]
	v_add_f64_e32 v[149:150], v[155:156], v[163:164]
	v_add_f64_e32 v[147:148], v[147:148], v[161:162]
	s_wait_loadcnt_dscnt 0x700
	v_mul_f64_e32 v[155:156], v[143:144], v[8:9]
	v_mul_f64_e32 v[8:9], v[145:146], v[8:9]
	v_fma_f64 v[153:154], v[4:5], v[38:39], v[153:154]
	v_fma_f64 v[157:158], v[2:3], v[38:39], -v[40:41]
	ds_load_b128 v[2:5], v1 offset:1392
	ds_load_b128 v[38:41], v1 offset:1408
	v_add_f64_e32 v[141:142], v[149:150], v[141:142]
	v_add_f64_e32 v[147:148], v[147:148], v[151:152]
	s_wait_loadcnt_dscnt 0x601
	v_mul_f64_e32 v[149:150], v[2:3], v[12:13]
	v_mul_f64_e32 v[12:13], v[4:5], v[12:13]
	v_fma_f64 v[145:146], v[145:146], v[6:7], v[155:156]
	v_fma_f64 v[6:7], v[143:144], v[6:7], -v[8:9]
	s_wait_loadcnt_dscnt 0x500
	v_mul_f64_e32 v[143:144], v[38:39], v[16:17]
	v_mul_f64_e32 v[16:17], v[40:41], v[16:17]
	v_add_f64_e32 v[8:9], v[141:142], v[157:158]
	v_add_f64_e32 v[141:142], v[147:148], v[153:154]
	v_fma_f64 v[147:148], v[4:5], v[10:11], v[149:150]
	v_fma_f64 v[10:11], v[2:3], v[10:11], -v[12:13]
	v_fma_f64 v[40:41], v[40:41], v[14:15], v[143:144]
	v_fma_f64 v[14:15], v[38:39], v[14:15], -v[16:17]
	v_add_f64_e32 v[12:13], v[8:9], v[6:7]
	v_add_f64_e32 v[141:142], v[141:142], v[145:146]
	ds_load_b128 v[2:5], v1 offset:1424
	ds_load_b128 v[6:9], v1 offset:1440
	s_wait_loadcnt_dscnt 0x401
	v_mul_f64_e32 v[145:146], v[2:3], v[20:21]
	v_mul_f64_e32 v[20:21], v[4:5], v[20:21]
	s_wait_loadcnt_dscnt 0x300
	v_mul_f64_e32 v[16:17], v[6:7], v[24:25]
	v_mul_f64_e32 v[24:25], v[8:9], v[24:25]
	v_add_f64_e32 v[10:11], v[12:13], v[10:11]
	v_add_f64_e32 v[12:13], v[141:142], v[147:148]
	v_fma_f64 v[38:39], v[4:5], v[18:19], v[145:146]
	v_fma_f64 v[18:19], v[2:3], v[18:19], -v[20:21]
	v_fma_f64 v[8:9], v[8:9], v[22:23], v[16:17]
	v_fma_f64 v[6:7], v[6:7], v[22:23], -v[24:25]
	v_add_f64_e32 v[14:15], v[10:11], v[14:15]
	v_add_f64_e32 v[20:21], v[12:13], v[40:41]
	ds_load_b128 v[2:5], v1 offset:1456
	ds_load_b128 v[10:13], v1 offset:1472
	s_wait_loadcnt_dscnt 0x201
	v_mul_f64_e32 v[40:41], v[2:3], v[28:29]
	v_mul_f64_e32 v[28:29], v[4:5], v[28:29]
	v_add_f64_e32 v[14:15], v[14:15], v[18:19]
	v_add_f64_e32 v[16:17], v[20:21], v[38:39]
	s_wait_loadcnt_dscnt 0x100
	v_mul_f64_e32 v[18:19], v[10:11], v[32:33]
	v_mul_f64_e32 v[20:21], v[12:13], v[32:33]
	v_fma_f64 v[22:23], v[4:5], v[26:27], v[40:41]
	v_fma_f64 v[24:25], v[2:3], v[26:27], -v[28:29]
	ds_load_b128 v[2:5], v1 offset:1488
	v_add_f64_e32 v[6:7], v[14:15], v[6:7]
	v_add_f64_e32 v[8:9], v[16:17], v[8:9]
	v_fma_f64 v[12:13], v[12:13], v[30:31], v[18:19]
	v_fma_f64 v[10:11], v[10:11], v[30:31], -v[20:21]
	s_wait_loadcnt_dscnt 0x0
	v_mul_f64_e32 v[14:15], v[2:3], v[36:37]
	v_mul_f64_e32 v[16:17], v[4:5], v[36:37]
	v_add_f64_e32 v[6:7], v[6:7], v[24:25]
	v_add_f64_e32 v[8:9], v[8:9], v[22:23]
	s_delay_alu instid0(VALU_DEP_4) | instskip(NEXT) | instid1(VALU_DEP_4)
	v_fma_f64 v[4:5], v[4:5], v[34:35], v[14:15]
	v_fma_f64 v[2:3], v[2:3], v[34:35], -v[16:17]
	s_delay_alu instid0(VALU_DEP_4) | instskip(NEXT) | instid1(VALU_DEP_4)
	v_add_f64_e32 v[6:7], v[6:7], v[10:11]
	v_add_f64_e32 v[8:9], v[8:9], v[12:13]
	s_delay_alu instid0(VALU_DEP_2) | instskip(NEXT) | instid1(VALU_DEP_2)
	v_add_f64_e32 v[2:3], v[6:7], v[2:3]
	v_add_f64_e32 v[4:5], v[8:9], v[4:5]
	s_delay_alu instid0(VALU_DEP_2) | instskip(NEXT) | instid1(VALU_DEP_2)
	v_add_f64_e64 v[2:3], v[42:43], -v[2:3]
	v_add_f64_e64 v[4:5], v[44:45], -v[4:5]
	scratch_store_b128 off, v[2:5], off offset:128
	v_cmpx_lt_u32_e32 6, v0
	s_cbranch_execz .LBB110_283
; %bb.282:
	scratch_load_b128 v[5:8], off, s54
	v_dual_mov_b32 v2, v1 :: v_dual_mov_b32 v3, v1
	v_mov_b32_e32 v4, v1
	scratch_store_b128 off, v[1:4], off offset:112
	s_wait_loadcnt 0x0
	ds_store_b128 v140, v[5:8]
.LBB110_283:
	s_wait_alu 0xfffe
	s_or_b32 exec_lo, exec_lo, s0
	s_wait_storecnt_dscnt 0x0
	s_barrier_signal -1
	s_barrier_wait -1
	global_inv scope:SCOPE_SE
	s_clause 0x8
	scratch_load_b128 v[2:5], off, off offset:128
	scratch_load_b128 v[6:9], off, off offset:144
	;; [unrolled: 1-line block ×9, first 2 shown]
	ds_load_b128 v[42:45], v1 offset:864
	ds_load_b128 v[38:41], v1 offset:880
	s_clause 0x1
	scratch_load_b128 v[141:144], off, off offset:112
	scratch_load_b128 v[145:148], off, off offset:272
	s_mov_b32 s0, exec_lo
	s_wait_loadcnt_dscnt 0xa01
	v_mul_f64_e32 v[149:150], v[44:45], v[4:5]
	v_mul_f64_e32 v[4:5], v[42:43], v[4:5]
	s_wait_loadcnt_dscnt 0x900
	v_mul_f64_e32 v[153:154], v[38:39], v[8:9]
	v_mul_f64_e32 v[8:9], v[40:41], v[8:9]
	s_delay_alu instid0(VALU_DEP_4) | instskip(NEXT) | instid1(VALU_DEP_4)
	v_fma_f64 v[155:156], v[42:43], v[2:3], -v[149:150]
	v_fma_f64 v[157:158], v[44:45], v[2:3], v[4:5]
	ds_load_b128 v[2:5], v1 offset:896
	ds_load_b128 v[149:152], v1 offset:912
	scratch_load_b128 v[42:45], off, off offset:288
	v_fma_f64 v[40:41], v[40:41], v[6:7], v[153:154]
	v_fma_f64 v[38:39], v[38:39], v[6:7], -v[8:9]
	scratch_load_b128 v[6:9], off, off offset:304
	s_wait_loadcnt_dscnt 0xa01
	v_mul_f64_e32 v[159:160], v[2:3], v[12:13]
	v_mul_f64_e32 v[12:13], v[4:5], v[12:13]
	v_add_f64_e32 v[153:154], 0, v[155:156]
	v_add_f64_e32 v[155:156], 0, v[157:158]
	s_wait_loadcnt_dscnt 0x900
	v_mul_f64_e32 v[157:158], v[149:150], v[16:17]
	v_mul_f64_e32 v[16:17], v[151:152], v[16:17]
	v_fma_f64 v[159:160], v[4:5], v[10:11], v[159:160]
	v_fma_f64 v[161:162], v[2:3], v[10:11], -v[12:13]
	ds_load_b128 v[2:5], v1 offset:928
	scratch_load_b128 v[10:13], off, off offset:320
	v_add_f64_e32 v[153:154], v[153:154], v[38:39]
	v_add_f64_e32 v[155:156], v[155:156], v[40:41]
	ds_load_b128 v[38:41], v1 offset:944
	v_fma_f64 v[151:152], v[151:152], v[14:15], v[157:158]
	v_fma_f64 v[149:150], v[149:150], v[14:15], -v[16:17]
	scratch_load_b128 v[14:17], off, off offset:336
	s_wait_loadcnt_dscnt 0xa01
	v_mul_f64_e32 v[163:164], v[2:3], v[20:21]
	v_mul_f64_e32 v[20:21], v[4:5], v[20:21]
	s_wait_loadcnt_dscnt 0x900
	v_mul_f64_e32 v[157:158], v[38:39], v[24:25]
	v_mul_f64_e32 v[24:25], v[40:41], v[24:25]
	v_add_f64_e32 v[153:154], v[153:154], v[161:162]
	v_add_f64_e32 v[155:156], v[155:156], v[159:160]
	v_fma_f64 v[159:160], v[4:5], v[18:19], v[163:164]
	v_fma_f64 v[161:162], v[2:3], v[18:19], -v[20:21]
	ds_load_b128 v[2:5], v1 offset:960
	scratch_load_b128 v[18:21], off, off offset:352
	v_fma_f64 v[40:41], v[40:41], v[22:23], v[157:158]
	v_fma_f64 v[38:39], v[38:39], v[22:23], -v[24:25]
	scratch_load_b128 v[22:25], off, off offset:368
	v_add_f64_e32 v[153:154], v[153:154], v[149:150]
	v_add_f64_e32 v[155:156], v[155:156], v[151:152]
	ds_load_b128 v[149:152], v1 offset:976
	s_wait_loadcnt_dscnt 0xa01
	v_mul_f64_e32 v[163:164], v[2:3], v[28:29]
	v_mul_f64_e32 v[28:29], v[4:5], v[28:29]
	s_wait_loadcnt_dscnt 0x900
	v_mul_f64_e32 v[157:158], v[149:150], v[32:33]
	v_mul_f64_e32 v[32:33], v[151:152], v[32:33]
	v_add_f64_e32 v[153:154], v[153:154], v[161:162]
	v_add_f64_e32 v[155:156], v[155:156], v[159:160]
	v_fma_f64 v[159:160], v[4:5], v[26:27], v[163:164]
	v_fma_f64 v[161:162], v[2:3], v[26:27], -v[28:29]
	ds_load_b128 v[2:5], v1 offset:992
	scratch_load_b128 v[26:29], off, off offset:384
	v_fma_f64 v[151:152], v[151:152], v[30:31], v[157:158]
	v_fma_f64 v[149:150], v[149:150], v[30:31], -v[32:33]
	scratch_load_b128 v[30:33], off, off offset:400
	v_add_f64_e32 v[153:154], v[153:154], v[38:39]
	v_add_f64_e32 v[155:156], v[155:156], v[40:41]
	ds_load_b128 v[38:41], v1 offset:1008
	s_wait_loadcnt_dscnt 0xa01
	v_mul_f64_e32 v[163:164], v[2:3], v[36:37]
	v_mul_f64_e32 v[36:37], v[4:5], v[36:37]
	s_wait_loadcnt_dscnt 0x800
	v_mul_f64_e32 v[157:158], v[38:39], v[147:148]
	v_add_f64_e32 v[153:154], v[153:154], v[161:162]
	v_add_f64_e32 v[155:156], v[155:156], v[159:160]
	v_mul_f64_e32 v[159:160], v[40:41], v[147:148]
	v_fma_f64 v[161:162], v[4:5], v[34:35], v[163:164]
	v_fma_f64 v[163:164], v[2:3], v[34:35], -v[36:37]
	ds_load_b128 v[2:5], v1 offset:1024
	scratch_load_b128 v[34:37], off, off offset:416
	v_fma_f64 v[157:158], v[40:41], v[145:146], v[157:158]
	v_add_f64_e32 v[153:154], v[153:154], v[149:150]
	v_add_f64_e32 v[151:152], v[155:156], v[151:152]
	ds_load_b128 v[147:150], v1 offset:1040
	v_fma_f64 v[145:146], v[38:39], v[145:146], -v[159:160]
	scratch_load_b128 v[38:41], off, off offset:432
	s_wait_loadcnt_dscnt 0x901
	v_mul_f64_e32 v[155:156], v[2:3], v[44:45]
	v_mul_f64_e32 v[44:45], v[4:5], v[44:45]
	s_wait_loadcnt_dscnt 0x800
	v_mul_f64_e32 v[159:160], v[147:148], v[8:9]
	v_mul_f64_e32 v[8:9], v[149:150], v[8:9]
	v_add_f64_e32 v[153:154], v[153:154], v[163:164]
	v_add_f64_e32 v[151:152], v[151:152], v[161:162]
	v_fma_f64 v[155:156], v[4:5], v[42:43], v[155:156]
	v_fma_f64 v[161:162], v[2:3], v[42:43], -v[44:45]
	ds_load_b128 v[2:5], v1 offset:1056
	scratch_load_b128 v[42:45], off, off offset:448
	v_fma_f64 v[149:150], v[149:150], v[6:7], v[159:160]
	v_fma_f64 v[147:148], v[147:148], v[6:7], -v[8:9]
	scratch_load_b128 v[6:9], off, off offset:464
	v_add_f64_e32 v[145:146], v[153:154], v[145:146]
	v_add_f64_e32 v[157:158], v[151:152], v[157:158]
	ds_load_b128 v[151:154], v1 offset:1072
	s_wait_loadcnt_dscnt 0x901
	v_mul_f64_e32 v[163:164], v[2:3], v[12:13]
	v_mul_f64_e32 v[12:13], v[4:5], v[12:13]
	v_add_f64_e32 v[145:146], v[145:146], v[161:162]
	v_add_f64_e32 v[155:156], v[157:158], v[155:156]
	s_wait_loadcnt_dscnt 0x800
	v_mul_f64_e32 v[157:158], v[151:152], v[16:17]
	v_mul_f64_e32 v[16:17], v[153:154], v[16:17]
	v_fma_f64 v[159:160], v[4:5], v[10:11], v[163:164]
	v_fma_f64 v[161:162], v[2:3], v[10:11], -v[12:13]
	ds_load_b128 v[2:5], v1 offset:1088
	scratch_load_b128 v[10:13], off, off offset:480
	v_add_f64_e32 v[163:164], v[145:146], v[147:148]
	v_add_f64_e32 v[149:150], v[155:156], v[149:150]
	ds_load_b128 v[145:148], v1 offset:1104
	s_wait_loadcnt_dscnt 0x801
	v_mul_f64_e32 v[155:156], v[2:3], v[20:21]
	v_mul_f64_e32 v[20:21], v[4:5], v[20:21]
	v_fma_f64 v[153:154], v[153:154], v[14:15], v[157:158]
	v_fma_f64 v[151:152], v[151:152], v[14:15], -v[16:17]
	scratch_load_b128 v[14:17], off, off offset:496
	v_add_f64_e32 v[157:158], v[163:164], v[161:162]
	v_add_f64_e32 v[149:150], v[149:150], v[159:160]
	s_wait_loadcnt_dscnt 0x800
	v_mul_f64_e32 v[159:160], v[145:146], v[24:25]
	v_mul_f64_e32 v[24:25], v[147:148], v[24:25]
	v_fma_f64 v[155:156], v[4:5], v[18:19], v[155:156]
	v_fma_f64 v[161:162], v[2:3], v[18:19], -v[20:21]
	ds_load_b128 v[2:5], v1 offset:1120
	scratch_load_b128 v[18:21], off, off offset:512
	v_add_f64_e32 v[157:158], v[157:158], v[151:152]
	v_add_f64_e32 v[153:154], v[149:150], v[153:154]
	ds_load_b128 v[149:152], v1 offset:1136
	s_wait_loadcnt_dscnt 0x801
	v_mul_f64_e32 v[163:164], v[2:3], v[28:29]
	v_mul_f64_e32 v[28:29], v[4:5], v[28:29]
	v_fma_f64 v[147:148], v[147:148], v[22:23], v[159:160]
	v_fma_f64 v[145:146], v[145:146], v[22:23], -v[24:25]
	scratch_load_b128 v[22:25], off, off offset:528
	;; [unrolled: 18-line block ×4, first 2 shown]
	s_wait_loadcnt_dscnt 0x800
	v_mul_f64_e32 v[157:158], v[149:150], v[8:9]
	v_mul_f64_e32 v[8:9], v[151:152], v[8:9]
	v_add_f64_e32 v[155:156], v[155:156], v[161:162]
	v_add_f64_e32 v[153:154], v[153:154], v[159:160]
	v_fma_f64 v[159:160], v[4:5], v[42:43], v[163:164]
	v_fma_f64 v[161:162], v[2:3], v[42:43], -v[44:45]
	ds_load_b128 v[2:5], v1 offset:1216
	scratch_load_b128 v[42:45], off, off offset:608
	v_fma_f64 v[151:152], v[151:152], v[6:7], v[157:158]
	v_fma_f64 v[149:150], v[149:150], v[6:7], -v[8:9]
	scratch_load_b128 v[6:9], off, off offset:624
	v_add_f64_e32 v[155:156], v[155:156], v[145:146]
	v_add_f64_e32 v[153:154], v[153:154], v[147:148]
	ds_load_b128 v[145:148], v1 offset:1232
	s_wait_loadcnt_dscnt 0x901
	v_mul_f64_e32 v[163:164], v[2:3], v[12:13]
	v_mul_f64_e32 v[12:13], v[4:5], v[12:13]
	s_wait_loadcnt_dscnt 0x800
	v_mul_f64_e32 v[157:158], v[145:146], v[16:17]
	v_mul_f64_e32 v[16:17], v[147:148], v[16:17]
	v_add_f64_e32 v[155:156], v[155:156], v[161:162]
	v_add_f64_e32 v[153:154], v[153:154], v[159:160]
	v_fma_f64 v[159:160], v[4:5], v[10:11], v[163:164]
	v_fma_f64 v[161:162], v[2:3], v[10:11], -v[12:13]
	ds_load_b128 v[2:5], v1 offset:1248
	scratch_load_b128 v[10:13], off, off offset:640
	v_fma_f64 v[147:148], v[147:148], v[14:15], v[157:158]
	v_fma_f64 v[145:146], v[145:146], v[14:15], -v[16:17]
	scratch_load_b128 v[14:17], off, off offset:656
	v_add_f64_e32 v[155:156], v[155:156], v[149:150]
	v_add_f64_e32 v[153:154], v[153:154], v[151:152]
	ds_load_b128 v[149:152], v1 offset:1264
	s_wait_loadcnt_dscnt 0x901
	v_mul_f64_e32 v[163:164], v[2:3], v[20:21]
	v_mul_f64_e32 v[20:21], v[4:5], v[20:21]
	;; [unrolled: 18-line block ×5, first 2 shown]
	s_wait_loadcnt_dscnt 0x800
	v_mul_f64_e32 v[157:158], v[145:146], v[8:9]
	v_mul_f64_e32 v[8:9], v[147:148], v[8:9]
	v_add_f64_e32 v[155:156], v[155:156], v[161:162]
	v_add_f64_e32 v[153:154], v[153:154], v[159:160]
	v_fma_f64 v[159:160], v[4:5], v[42:43], v[163:164]
	v_fma_f64 v[161:162], v[2:3], v[42:43], -v[44:45]
	ds_load_b128 v[2:5], v1 offset:1376
	ds_load_b128 v[42:45], v1 offset:1392
	v_fma_f64 v[147:148], v[147:148], v[6:7], v[157:158]
	v_fma_f64 v[6:7], v[145:146], v[6:7], -v[8:9]
	v_add_f64_e32 v[149:150], v[155:156], v[149:150]
	v_add_f64_e32 v[151:152], v[153:154], v[151:152]
	s_wait_loadcnt_dscnt 0x701
	v_mul_f64_e32 v[153:154], v[2:3], v[12:13]
	v_mul_f64_e32 v[12:13], v[4:5], v[12:13]
	s_delay_alu instid0(VALU_DEP_4) | instskip(NEXT) | instid1(VALU_DEP_4)
	v_add_f64_e32 v[8:9], v[149:150], v[161:162]
	v_add_f64_e32 v[145:146], v[151:152], v[159:160]
	s_wait_loadcnt_dscnt 0x600
	v_mul_f64_e32 v[149:150], v[42:43], v[16:17]
	v_mul_f64_e32 v[16:17], v[44:45], v[16:17]
	v_fma_f64 v[151:152], v[4:5], v[10:11], v[153:154]
	v_fma_f64 v[10:11], v[2:3], v[10:11], -v[12:13]
	v_add_f64_e32 v[12:13], v[8:9], v[6:7]
	v_add_f64_e32 v[145:146], v[145:146], v[147:148]
	ds_load_b128 v[2:5], v1 offset:1408
	ds_load_b128 v[6:9], v1 offset:1424
	v_fma_f64 v[44:45], v[44:45], v[14:15], v[149:150]
	v_fma_f64 v[14:15], v[42:43], v[14:15], -v[16:17]
	s_wait_loadcnt_dscnt 0x501
	v_mul_f64_e32 v[147:148], v[2:3], v[20:21]
	v_mul_f64_e32 v[20:21], v[4:5], v[20:21]
	s_wait_loadcnt_dscnt 0x400
	v_mul_f64_e32 v[16:17], v[6:7], v[24:25]
	v_mul_f64_e32 v[24:25], v[8:9], v[24:25]
	v_add_f64_e32 v[10:11], v[12:13], v[10:11]
	v_add_f64_e32 v[12:13], v[145:146], v[151:152]
	v_fma_f64 v[42:43], v[4:5], v[18:19], v[147:148]
	v_fma_f64 v[18:19], v[2:3], v[18:19], -v[20:21]
	v_fma_f64 v[8:9], v[8:9], v[22:23], v[16:17]
	v_fma_f64 v[6:7], v[6:7], v[22:23], -v[24:25]
	v_add_f64_e32 v[14:15], v[10:11], v[14:15]
	v_add_f64_e32 v[20:21], v[12:13], v[44:45]
	ds_load_b128 v[2:5], v1 offset:1440
	ds_load_b128 v[10:13], v1 offset:1456
	s_wait_loadcnt_dscnt 0x301
	v_mul_f64_e32 v[44:45], v[2:3], v[28:29]
	v_mul_f64_e32 v[28:29], v[4:5], v[28:29]
	v_add_f64_e32 v[14:15], v[14:15], v[18:19]
	v_add_f64_e32 v[16:17], v[20:21], v[42:43]
	s_wait_loadcnt_dscnt 0x200
	v_mul_f64_e32 v[18:19], v[10:11], v[32:33]
	v_mul_f64_e32 v[20:21], v[12:13], v[32:33]
	v_fma_f64 v[22:23], v[4:5], v[26:27], v[44:45]
	v_fma_f64 v[24:25], v[2:3], v[26:27], -v[28:29]
	v_add_f64_e32 v[14:15], v[14:15], v[6:7]
	v_add_f64_e32 v[16:17], v[16:17], v[8:9]
	ds_load_b128 v[2:5], v1 offset:1472
	ds_load_b128 v[6:9], v1 offset:1488
	v_fma_f64 v[12:13], v[12:13], v[30:31], v[18:19]
	v_fma_f64 v[10:11], v[10:11], v[30:31], -v[20:21]
	s_wait_loadcnt_dscnt 0x101
	v_mul_f64_e32 v[26:27], v[2:3], v[36:37]
	v_mul_f64_e32 v[28:29], v[4:5], v[36:37]
	s_wait_loadcnt_dscnt 0x0
	v_mul_f64_e32 v[18:19], v[6:7], v[40:41]
	v_mul_f64_e32 v[20:21], v[8:9], v[40:41]
	v_add_f64_e32 v[14:15], v[14:15], v[24:25]
	v_add_f64_e32 v[16:17], v[16:17], v[22:23]
	v_fma_f64 v[4:5], v[4:5], v[34:35], v[26:27]
	v_fma_f64 v[1:2], v[2:3], v[34:35], -v[28:29]
	v_fma_f64 v[8:9], v[8:9], v[38:39], v[18:19]
	v_fma_f64 v[6:7], v[6:7], v[38:39], -v[20:21]
	v_add_f64_e32 v[10:11], v[14:15], v[10:11]
	v_add_f64_e32 v[12:13], v[16:17], v[12:13]
	s_delay_alu instid0(VALU_DEP_2) | instskip(NEXT) | instid1(VALU_DEP_2)
	v_add_f64_e32 v[1:2], v[10:11], v[1:2]
	v_add_f64_e32 v[3:4], v[12:13], v[4:5]
	s_delay_alu instid0(VALU_DEP_2) | instskip(NEXT) | instid1(VALU_DEP_2)
	;; [unrolled: 3-line block ×3, first 2 shown]
	v_add_f64_e64 v[1:2], v[141:142], -v[1:2]
	v_add_f64_e64 v[3:4], v[143:144], -v[3:4]
	scratch_store_b128 off, v[1:4], off offset:112
	v_cmpx_lt_u32_e32 5, v0
	s_cbranch_execz .LBB110_285
; %bb.284:
	scratch_load_b128 v[1:4], off, s55
	v_mov_b32_e32 v5, 0
	s_delay_alu instid0(VALU_DEP_1)
	v_dual_mov_b32 v6, v5 :: v_dual_mov_b32 v7, v5
	v_mov_b32_e32 v8, v5
	scratch_store_b128 off, v[5:8], off offset:96
	s_wait_loadcnt 0x0
	ds_store_b128 v140, v[1:4]
.LBB110_285:
	s_wait_alu 0xfffe
	s_or_b32 exec_lo, exec_lo, s0
	s_wait_storecnt_dscnt 0x0
	s_barrier_signal -1
	s_barrier_wait -1
	global_inv scope:SCOPE_SE
	s_clause 0x7
	scratch_load_b128 v[2:5], off, off offset:112
	scratch_load_b128 v[6:9], off, off offset:128
	scratch_load_b128 v[10:13], off, off offset:144
	scratch_load_b128 v[14:17], off, off offset:160
	scratch_load_b128 v[18:21], off, off offset:176
	scratch_load_b128 v[22:25], off, off offset:192
	scratch_load_b128 v[26:29], off, off offset:208
	scratch_load_b128 v[30:33], off, off offset:224
	v_mov_b32_e32 v1, 0
	s_mov_b32 s0, exec_lo
	ds_load_b128 v[38:41], v1 offset:848
	s_clause 0x1
	scratch_load_b128 v[34:37], off, off offset:240
	scratch_load_b128 v[42:45], off, off offset:96
	ds_load_b128 v[141:144], v1 offset:864
	scratch_load_b128 v[145:148], off, off offset:256
	s_wait_loadcnt_dscnt 0xa01
	v_mul_f64_e32 v[149:150], v[40:41], v[4:5]
	v_mul_f64_e32 v[4:5], v[38:39], v[4:5]
	s_delay_alu instid0(VALU_DEP_2) | instskip(NEXT) | instid1(VALU_DEP_2)
	v_fma_f64 v[155:156], v[38:39], v[2:3], -v[149:150]
	v_fma_f64 v[157:158], v[40:41], v[2:3], v[4:5]
	ds_load_b128 v[2:5], v1 offset:880
	s_wait_loadcnt_dscnt 0x901
	v_mul_f64_e32 v[153:154], v[141:142], v[8:9]
	v_mul_f64_e32 v[8:9], v[143:144], v[8:9]
	scratch_load_b128 v[38:41], off, off offset:272
	ds_load_b128 v[149:152], v1 offset:896
	s_wait_loadcnt_dscnt 0x901
	v_mul_f64_e32 v[159:160], v[2:3], v[12:13]
	v_mul_f64_e32 v[12:13], v[4:5], v[12:13]
	v_fma_f64 v[143:144], v[143:144], v[6:7], v[153:154]
	v_fma_f64 v[141:142], v[141:142], v[6:7], -v[8:9]
	v_add_f64_e32 v[153:154], 0, v[155:156]
	v_add_f64_e32 v[155:156], 0, v[157:158]
	scratch_load_b128 v[6:9], off, off offset:288
	v_fma_f64 v[159:160], v[4:5], v[10:11], v[159:160]
	v_fma_f64 v[161:162], v[2:3], v[10:11], -v[12:13]
	ds_load_b128 v[2:5], v1 offset:912
	s_wait_loadcnt_dscnt 0x901
	v_mul_f64_e32 v[157:158], v[149:150], v[16:17]
	v_mul_f64_e32 v[16:17], v[151:152], v[16:17]
	scratch_load_b128 v[10:13], off, off offset:304
	v_add_f64_e32 v[153:154], v[153:154], v[141:142]
	v_add_f64_e32 v[155:156], v[155:156], v[143:144]
	s_wait_loadcnt_dscnt 0x900
	v_mul_f64_e32 v[163:164], v[2:3], v[20:21]
	v_mul_f64_e32 v[20:21], v[4:5], v[20:21]
	ds_load_b128 v[141:144], v1 offset:928
	v_fma_f64 v[151:152], v[151:152], v[14:15], v[157:158]
	v_fma_f64 v[149:150], v[149:150], v[14:15], -v[16:17]
	scratch_load_b128 v[14:17], off, off offset:320
	v_add_f64_e32 v[153:154], v[153:154], v[161:162]
	v_add_f64_e32 v[155:156], v[155:156], v[159:160]
	v_fma_f64 v[159:160], v[4:5], v[18:19], v[163:164]
	v_fma_f64 v[161:162], v[2:3], v[18:19], -v[20:21]
	ds_load_b128 v[2:5], v1 offset:944
	s_wait_loadcnt_dscnt 0x901
	v_mul_f64_e32 v[157:158], v[141:142], v[24:25]
	v_mul_f64_e32 v[24:25], v[143:144], v[24:25]
	scratch_load_b128 v[18:21], off, off offset:336
	s_wait_loadcnt_dscnt 0x900
	v_mul_f64_e32 v[163:164], v[2:3], v[28:29]
	v_mul_f64_e32 v[28:29], v[4:5], v[28:29]
	v_add_f64_e32 v[153:154], v[153:154], v[149:150]
	v_add_f64_e32 v[155:156], v[155:156], v[151:152]
	ds_load_b128 v[149:152], v1 offset:960
	v_fma_f64 v[143:144], v[143:144], v[22:23], v[157:158]
	v_fma_f64 v[141:142], v[141:142], v[22:23], -v[24:25]
	scratch_load_b128 v[22:25], off, off offset:352
	v_add_f64_e32 v[153:154], v[153:154], v[161:162]
	v_add_f64_e32 v[155:156], v[155:156], v[159:160]
	v_fma_f64 v[159:160], v[4:5], v[26:27], v[163:164]
	v_fma_f64 v[161:162], v[2:3], v[26:27], -v[28:29]
	ds_load_b128 v[2:5], v1 offset:976
	s_wait_loadcnt_dscnt 0x901
	v_mul_f64_e32 v[157:158], v[149:150], v[32:33]
	v_mul_f64_e32 v[32:33], v[151:152], v[32:33]
	scratch_load_b128 v[26:29], off, off offset:368
	s_wait_loadcnt_dscnt 0x900
	v_mul_f64_e32 v[163:164], v[2:3], v[36:37]
	v_mul_f64_e32 v[36:37], v[4:5], v[36:37]
	v_add_f64_e32 v[153:154], v[153:154], v[141:142]
	v_add_f64_e32 v[155:156], v[155:156], v[143:144]
	ds_load_b128 v[141:144], v1 offset:992
	v_fma_f64 v[151:152], v[151:152], v[30:31], v[157:158]
	v_fma_f64 v[149:150], v[149:150], v[30:31], -v[32:33]
	scratch_load_b128 v[30:33], off, off offset:384
	v_add_f64_e32 v[153:154], v[153:154], v[161:162]
	v_add_f64_e32 v[155:156], v[155:156], v[159:160]
	v_fma_f64 v[161:162], v[4:5], v[34:35], v[163:164]
	v_fma_f64 v[163:164], v[2:3], v[34:35], -v[36:37]
	ds_load_b128 v[2:5], v1 offset:1008
	s_wait_loadcnt_dscnt 0x801
	v_mul_f64_e32 v[157:158], v[141:142], v[147:148]
	v_mul_f64_e32 v[159:160], v[143:144], v[147:148]
	scratch_load_b128 v[34:37], off, off offset:400
	v_add_f64_e32 v[153:154], v[153:154], v[149:150]
	v_add_f64_e32 v[151:152], v[155:156], v[151:152]
	ds_load_b128 v[147:150], v1 offset:1024
	v_fma_f64 v[157:158], v[143:144], v[145:146], v[157:158]
	v_fma_f64 v[145:146], v[141:142], v[145:146], -v[159:160]
	scratch_load_b128 v[141:144], off, off offset:416
	s_wait_loadcnt_dscnt 0x901
	v_mul_f64_e32 v[155:156], v[2:3], v[40:41]
	v_mul_f64_e32 v[40:41], v[4:5], v[40:41]
	v_add_f64_e32 v[153:154], v[153:154], v[163:164]
	v_add_f64_e32 v[151:152], v[151:152], v[161:162]
	s_delay_alu instid0(VALU_DEP_4) | instskip(NEXT) | instid1(VALU_DEP_4)
	v_fma_f64 v[155:156], v[4:5], v[38:39], v[155:156]
	v_fma_f64 v[161:162], v[2:3], v[38:39], -v[40:41]
	ds_load_b128 v[2:5], v1 offset:1040
	s_wait_loadcnt_dscnt 0x801
	v_mul_f64_e32 v[159:160], v[147:148], v[8:9]
	v_mul_f64_e32 v[8:9], v[149:150], v[8:9]
	scratch_load_b128 v[38:41], off, off offset:432
	s_wait_loadcnt_dscnt 0x800
	v_mul_f64_e32 v[163:164], v[2:3], v[12:13]
	v_add_f64_e32 v[145:146], v[153:154], v[145:146]
	v_add_f64_e32 v[157:158], v[151:152], v[157:158]
	v_mul_f64_e32 v[12:13], v[4:5], v[12:13]
	ds_load_b128 v[151:154], v1 offset:1056
	v_fma_f64 v[149:150], v[149:150], v[6:7], v[159:160]
	v_fma_f64 v[147:148], v[147:148], v[6:7], -v[8:9]
	scratch_load_b128 v[6:9], off, off offset:448
	v_fma_f64 v[159:160], v[4:5], v[10:11], v[163:164]
	v_add_f64_e32 v[145:146], v[145:146], v[161:162]
	v_add_f64_e32 v[155:156], v[157:158], v[155:156]
	v_fma_f64 v[161:162], v[2:3], v[10:11], -v[12:13]
	ds_load_b128 v[2:5], v1 offset:1072
	s_wait_loadcnt_dscnt 0x801
	v_mul_f64_e32 v[157:158], v[151:152], v[16:17]
	v_mul_f64_e32 v[16:17], v[153:154], v[16:17]
	scratch_load_b128 v[10:13], off, off offset:464
	v_add_f64_e32 v[163:164], v[145:146], v[147:148]
	v_add_f64_e32 v[149:150], v[155:156], v[149:150]
	s_wait_loadcnt_dscnt 0x800
	v_mul_f64_e32 v[155:156], v[2:3], v[20:21]
	v_mul_f64_e32 v[20:21], v[4:5], v[20:21]
	v_fma_f64 v[153:154], v[153:154], v[14:15], v[157:158]
	v_fma_f64 v[151:152], v[151:152], v[14:15], -v[16:17]
	ds_load_b128 v[145:148], v1 offset:1088
	scratch_load_b128 v[14:17], off, off offset:480
	v_add_f64_e32 v[157:158], v[163:164], v[161:162]
	v_add_f64_e32 v[149:150], v[149:150], v[159:160]
	v_fma_f64 v[155:156], v[4:5], v[18:19], v[155:156]
	v_fma_f64 v[161:162], v[2:3], v[18:19], -v[20:21]
	ds_load_b128 v[2:5], v1 offset:1104
	s_wait_loadcnt_dscnt 0x801
	v_mul_f64_e32 v[159:160], v[145:146], v[24:25]
	v_mul_f64_e32 v[24:25], v[147:148], v[24:25]
	scratch_load_b128 v[18:21], off, off offset:496
	s_wait_loadcnt_dscnt 0x800
	v_mul_f64_e32 v[163:164], v[2:3], v[28:29]
	v_mul_f64_e32 v[28:29], v[4:5], v[28:29]
	v_add_f64_e32 v[157:158], v[157:158], v[151:152]
	v_add_f64_e32 v[153:154], v[149:150], v[153:154]
	ds_load_b128 v[149:152], v1 offset:1120
	v_fma_f64 v[147:148], v[147:148], v[22:23], v[159:160]
	v_fma_f64 v[145:146], v[145:146], v[22:23], -v[24:25]
	scratch_load_b128 v[22:25], off, off offset:512
	v_fma_f64 v[159:160], v[4:5], v[26:27], v[163:164]
	v_add_f64_e32 v[157:158], v[157:158], v[161:162]
	v_add_f64_e32 v[153:154], v[153:154], v[155:156]
	v_fma_f64 v[161:162], v[2:3], v[26:27], -v[28:29]
	ds_load_b128 v[2:5], v1 offset:1136
	s_wait_loadcnt_dscnt 0x801
	v_mul_f64_e32 v[155:156], v[149:150], v[32:33]
	v_mul_f64_e32 v[32:33], v[151:152], v[32:33]
	scratch_load_b128 v[26:29], off, off offset:528
	s_wait_loadcnt_dscnt 0x800
	v_mul_f64_e32 v[163:164], v[2:3], v[36:37]
	v_mul_f64_e32 v[36:37], v[4:5], v[36:37]
	v_add_f64_e32 v[157:158], v[157:158], v[145:146]
	v_add_f64_e32 v[153:154], v[153:154], v[147:148]
	ds_load_b128 v[145:148], v1 offset:1152
	v_fma_f64 v[151:152], v[151:152], v[30:31], v[155:156]
	v_fma_f64 v[149:150], v[149:150], v[30:31], -v[32:33]
	scratch_load_b128 v[30:33], off, off offset:544
	v_add_f64_e32 v[155:156], v[157:158], v[161:162]
	v_add_f64_e32 v[153:154], v[153:154], v[159:160]
	v_fma_f64 v[159:160], v[4:5], v[34:35], v[163:164]
	v_fma_f64 v[161:162], v[2:3], v[34:35], -v[36:37]
	ds_load_b128 v[2:5], v1 offset:1168
	s_wait_loadcnt_dscnt 0x801
	v_mul_f64_e32 v[157:158], v[145:146], v[143:144]
	v_mul_f64_e32 v[143:144], v[147:148], v[143:144]
	scratch_load_b128 v[34:37], off, off offset:560
	s_wait_loadcnt_dscnt 0x800
	v_mul_f64_e32 v[163:164], v[2:3], v[40:41]
	v_mul_f64_e32 v[40:41], v[4:5], v[40:41]
	v_add_f64_e32 v[155:156], v[155:156], v[149:150]
	v_add_f64_e32 v[153:154], v[153:154], v[151:152]
	ds_load_b128 v[149:152], v1 offset:1184
	v_fma_f64 v[147:148], v[147:148], v[141:142], v[157:158]
	v_fma_f64 v[145:146], v[145:146], v[141:142], -v[143:144]
	scratch_load_b128 v[141:144], off, off offset:576
	v_add_f64_e32 v[155:156], v[155:156], v[161:162]
	v_add_f64_e32 v[153:154], v[153:154], v[159:160]
	v_fma_f64 v[159:160], v[4:5], v[38:39], v[163:164]
	;; [unrolled: 18-line block ×6, first 2 shown]
	v_fma_f64 v[163:164], v[2:3], v[34:35], -v[36:37]
	ds_load_b128 v[2:5], v1 offset:1328
	s_wait_loadcnt_dscnt 0x801
	v_mul_f64_e32 v[157:158], v[149:150], v[143:144]
	v_mul_f64_e32 v[159:160], v[151:152], v[143:144]
	scratch_load_b128 v[34:37], off, off offset:720
	v_add_f64_e32 v[155:156], v[155:156], v[145:146]
	v_add_f64_e32 v[147:148], v[153:154], v[147:148]
	s_wait_loadcnt_dscnt 0x800
	v_mul_f64_e32 v[153:154], v[2:3], v[40:41]
	v_mul_f64_e32 v[40:41], v[4:5], v[40:41]
	ds_load_b128 v[143:146], v1 offset:1344
	v_fma_f64 v[151:152], v[151:152], v[141:142], v[157:158]
	v_fma_f64 v[141:142], v[149:150], v[141:142], -v[159:160]
	v_add_f64_e32 v[155:156], v[155:156], v[163:164]
	v_add_f64_e32 v[157:158], v[147:148], v[161:162]
	scratch_load_b128 v[147:150], off, off offset:736
	v_fma_f64 v[161:162], v[4:5], v[38:39], v[153:154]
	v_fma_f64 v[163:164], v[2:3], v[38:39], -v[40:41]
	ds_load_b128 v[2:5], v1 offset:1360
	s_wait_loadcnt_dscnt 0x801
	v_mul_f64_e32 v[159:160], v[143:144], v[8:9]
	v_mul_f64_e32 v[8:9], v[145:146], v[8:9]
	scratch_load_b128 v[38:41], off, off offset:752
	v_add_f64_e32 v[141:142], v[155:156], v[141:142]
	v_add_f64_e32 v[155:156], v[157:158], v[151:152]
	s_wait_loadcnt_dscnt 0x800
	v_mul_f64_e32 v[157:158], v[2:3], v[12:13]
	v_mul_f64_e32 v[12:13], v[4:5], v[12:13]
	ds_load_b128 v[151:154], v1 offset:1376
	v_fma_f64 v[145:146], v[145:146], v[6:7], v[159:160]
	v_fma_f64 v[6:7], v[143:144], v[6:7], -v[8:9]
	s_wait_loadcnt_dscnt 0x700
	v_mul_f64_e32 v[143:144], v[151:152], v[16:17]
	v_mul_f64_e32 v[16:17], v[153:154], v[16:17]
	v_add_f64_e32 v[8:9], v[141:142], v[163:164]
	v_add_f64_e32 v[141:142], v[155:156], v[161:162]
	v_fma_f64 v[155:156], v[4:5], v[10:11], v[157:158]
	v_fma_f64 v[10:11], v[2:3], v[10:11], -v[12:13]
	v_fma_f64 v[143:144], v[153:154], v[14:15], v[143:144]
	v_fma_f64 v[14:15], v[151:152], v[14:15], -v[16:17]
	v_add_f64_e32 v[12:13], v[8:9], v[6:7]
	v_add_f64_e32 v[141:142], v[141:142], v[145:146]
	ds_load_b128 v[2:5], v1 offset:1392
	ds_load_b128 v[6:9], v1 offset:1408
	s_wait_loadcnt_dscnt 0x601
	v_mul_f64_e32 v[145:146], v[2:3], v[20:21]
	v_mul_f64_e32 v[20:21], v[4:5], v[20:21]
	s_wait_loadcnt_dscnt 0x500
	v_mul_f64_e32 v[16:17], v[6:7], v[24:25]
	v_mul_f64_e32 v[24:25], v[8:9], v[24:25]
	v_add_f64_e32 v[10:11], v[12:13], v[10:11]
	v_add_f64_e32 v[12:13], v[141:142], v[155:156]
	v_fma_f64 v[141:142], v[4:5], v[18:19], v[145:146]
	v_fma_f64 v[18:19], v[2:3], v[18:19], -v[20:21]
	v_fma_f64 v[8:9], v[8:9], v[22:23], v[16:17]
	v_fma_f64 v[6:7], v[6:7], v[22:23], -v[24:25]
	v_add_f64_e32 v[14:15], v[10:11], v[14:15]
	v_add_f64_e32 v[20:21], v[12:13], v[143:144]
	ds_load_b128 v[2:5], v1 offset:1424
	ds_load_b128 v[10:13], v1 offset:1440
	s_wait_loadcnt_dscnt 0x401
	v_mul_f64_e32 v[143:144], v[2:3], v[28:29]
	v_mul_f64_e32 v[28:29], v[4:5], v[28:29]
	v_add_f64_e32 v[14:15], v[14:15], v[18:19]
	v_add_f64_e32 v[16:17], v[20:21], v[141:142]
	s_wait_loadcnt_dscnt 0x300
	v_mul_f64_e32 v[18:19], v[10:11], v[32:33]
	v_mul_f64_e32 v[20:21], v[12:13], v[32:33]
	v_fma_f64 v[22:23], v[4:5], v[26:27], v[143:144]
	v_fma_f64 v[24:25], v[2:3], v[26:27], -v[28:29]
	v_add_f64_e32 v[14:15], v[14:15], v[6:7]
	v_add_f64_e32 v[16:17], v[16:17], v[8:9]
	ds_load_b128 v[2:5], v1 offset:1456
	ds_load_b128 v[6:9], v1 offset:1472
	v_fma_f64 v[12:13], v[12:13], v[30:31], v[18:19]
	v_fma_f64 v[10:11], v[10:11], v[30:31], -v[20:21]
	s_wait_loadcnt_dscnt 0x201
	v_mul_f64_e32 v[26:27], v[2:3], v[36:37]
	v_mul_f64_e32 v[28:29], v[4:5], v[36:37]
	v_add_f64_e32 v[14:15], v[14:15], v[24:25]
	v_add_f64_e32 v[16:17], v[16:17], v[22:23]
	s_wait_loadcnt_dscnt 0x100
	v_mul_f64_e32 v[18:19], v[6:7], v[149:150]
	v_mul_f64_e32 v[20:21], v[8:9], v[149:150]
	v_fma_f64 v[22:23], v[4:5], v[34:35], v[26:27]
	v_fma_f64 v[24:25], v[2:3], v[34:35], -v[28:29]
	ds_load_b128 v[2:5], v1 offset:1488
	v_add_f64_e32 v[10:11], v[14:15], v[10:11]
	v_add_f64_e32 v[12:13], v[16:17], v[12:13]
	s_wait_loadcnt_dscnt 0x0
	v_mul_f64_e32 v[14:15], v[2:3], v[40:41]
	v_mul_f64_e32 v[16:17], v[4:5], v[40:41]
	v_fma_f64 v[8:9], v[8:9], v[147:148], v[18:19]
	v_fma_f64 v[6:7], v[6:7], v[147:148], -v[20:21]
	v_add_f64_e32 v[10:11], v[10:11], v[24:25]
	v_add_f64_e32 v[12:13], v[12:13], v[22:23]
	v_fma_f64 v[4:5], v[4:5], v[38:39], v[14:15]
	v_fma_f64 v[2:3], v[2:3], v[38:39], -v[16:17]
	s_delay_alu instid0(VALU_DEP_4) | instskip(NEXT) | instid1(VALU_DEP_4)
	v_add_f64_e32 v[6:7], v[10:11], v[6:7]
	v_add_f64_e32 v[8:9], v[12:13], v[8:9]
	s_delay_alu instid0(VALU_DEP_2) | instskip(NEXT) | instid1(VALU_DEP_2)
	v_add_f64_e32 v[2:3], v[6:7], v[2:3]
	v_add_f64_e32 v[4:5], v[8:9], v[4:5]
	s_delay_alu instid0(VALU_DEP_2) | instskip(NEXT) | instid1(VALU_DEP_2)
	v_add_f64_e64 v[2:3], v[42:43], -v[2:3]
	v_add_f64_e64 v[4:5], v[44:45], -v[4:5]
	scratch_store_b128 off, v[2:5], off offset:96
	v_cmpx_lt_u32_e32 4, v0
	s_cbranch_execz .LBB110_287
; %bb.286:
	scratch_load_b128 v[5:8], off, s4
	v_dual_mov_b32 v2, v1 :: v_dual_mov_b32 v3, v1
	v_mov_b32_e32 v4, v1
	scratch_store_b128 off, v[1:4], off offset:80
	s_wait_loadcnt 0x0
	ds_store_b128 v140, v[5:8]
.LBB110_287:
	s_wait_alu 0xfffe
	s_or_b32 exec_lo, exec_lo, s0
	s_wait_storecnt_dscnt 0x0
	s_barrier_signal -1
	s_barrier_wait -1
	global_inv scope:SCOPE_SE
	s_clause 0x8
	scratch_load_b128 v[2:5], off, off offset:96
	scratch_load_b128 v[6:9], off, off offset:112
	;; [unrolled: 1-line block ×9, first 2 shown]
	ds_load_b128 v[42:45], v1 offset:832
	ds_load_b128 v[38:41], v1 offset:848
	s_clause 0x1
	scratch_load_b128 v[141:144], off, off offset:80
	scratch_load_b128 v[145:148], off, off offset:240
	s_mov_b32 s0, exec_lo
	s_wait_loadcnt_dscnt 0xa01
	v_mul_f64_e32 v[149:150], v[44:45], v[4:5]
	v_mul_f64_e32 v[4:5], v[42:43], v[4:5]
	s_wait_loadcnt_dscnt 0x900
	v_mul_f64_e32 v[153:154], v[38:39], v[8:9]
	v_mul_f64_e32 v[8:9], v[40:41], v[8:9]
	s_delay_alu instid0(VALU_DEP_4) | instskip(NEXT) | instid1(VALU_DEP_4)
	v_fma_f64 v[155:156], v[42:43], v[2:3], -v[149:150]
	v_fma_f64 v[157:158], v[44:45], v[2:3], v[4:5]
	ds_load_b128 v[2:5], v1 offset:864
	ds_load_b128 v[149:152], v1 offset:880
	scratch_load_b128 v[42:45], off, off offset:256
	v_fma_f64 v[40:41], v[40:41], v[6:7], v[153:154]
	v_fma_f64 v[38:39], v[38:39], v[6:7], -v[8:9]
	scratch_load_b128 v[6:9], off, off offset:272
	s_wait_loadcnt_dscnt 0xa01
	v_mul_f64_e32 v[159:160], v[2:3], v[12:13]
	v_mul_f64_e32 v[12:13], v[4:5], v[12:13]
	v_add_f64_e32 v[153:154], 0, v[155:156]
	v_add_f64_e32 v[155:156], 0, v[157:158]
	s_wait_loadcnt_dscnt 0x900
	v_mul_f64_e32 v[157:158], v[149:150], v[16:17]
	v_mul_f64_e32 v[16:17], v[151:152], v[16:17]
	v_fma_f64 v[159:160], v[4:5], v[10:11], v[159:160]
	v_fma_f64 v[161:162], v[2:3], v[10:11], -v[12:13]
	ds_load_b128 v[2:5], v1 offset:896
	scratch_load_b128 v[10:13], off, off offset:288
	v_add_f64_e32 v[153:154], v[153:154], v[38:39]
	v_add_f64_e32 v[155:156], v[155:156], v[40:41]
	ds_load_b128 v[38:41], v1 offset:912
	v_fma_f64 v[151:152], v[151:152], v[14:15], v[157:158]
	v_fma_f64 v[149:150], v[149:150], v[14:15], -v[16:17]
	scratch_load_b128 v[14:17], off, off offset:304
	s_wait_loadcnt_dscnt 0xa01
	v_mul_f64_e32 v[163:164], v[2:3], v[20:21]
	v_mul_f64_e32 v[20:21], v[4:5], v[20:21]
	s_wait_loadcnt_dscnt 0x900
	v_mul_f64_e32 v[157:158], v[38:39], v[24:25]
	v_mul_f64_e32 v[24:25], v[40:41], v[24:25]
	v_add_f64_e32 v[153:154], v[153:154], v[161:162]
	v_add_f64_e32 v[155:156], v[155:156], v[159:160]
	v_fma_f64 v[159:160], v[4:5], v[18:19], v[163:164]
	v_fma_f64 v[161:162], v[2:3], v[18:19], -v[20:21]
	ds_load_b128 v[2:5], v1 offset:928
	scratch_load_b128 v[18:21], off, off offset:320
	v_fma_f64 v[40:41], v[40:41], v[22:23], v[157:158]
	v_fma_f64 v[38:39], v[38:39], v[22:23], -v[24:25]
	scratch_load_b128 v[22:25], off, off offset:336
	v_add_f64_e32 v[153:154], v[153:154], v[149:150]
	v_add_f64_e32 v[155:156], v[155:156], v[151:152]
	ds_load_b128 v[149:152], v1 offset:944
	s_wait_loadcnt_dscnt 0xa01
	v_mul_f64_e32 v[163:164], v[2:3], v[28:29]
	v_mul_f64_e32 v[28:29], v[4:5], v[28:29]
	s_wait_loadcnt_dscnt 0x900
	v_mul_f64_e32 v[157:158], v[149:150], v[32:33]
	v_mul_f64_e32 v[32:33], v[151:152], v[32:33]
	v_add_f64_e32 v[153:154], v[153:154], v[161:162]
	v_add_f64_e32 v[155:156], v[155:156], v[159:160]
	v_fma_f64 v[159:160], v[4:5], v[26:27], v[163:164]
	v_fma_f64 v[161:162], v[2:3], v[26:27], -v[28:29]
	ds_load_b128 v[2:5], v1 offset:960
	scratch_load_b128 v[26:29], off, off offset:352
	v_fma_f64 v[151:152], v[151:152], v[30:31], v[157:158]
	v_fma_f64 v[149:150], v[149:150], v[30:31], -v[32:33]
	scratch_load_b128 v[30:33], off, off offset:368
	v_add_f64_e32 v[153:154], v[153:154], v[38:39]
	v_add_f64_e32 v[155:156], v[155:156], v[40:41]
	ds_load_b128 v[38:41], v1 offset:976
	s_wait_loadcnt_dscnt 0xa01
	v_mul_f64_e32 v[163:164], v[2:3], v[36:37]
	v_mul_f64_e32 v[36:37], v[4:5], v[36:37]
	s_wait_loadcnt_dscnt 0x800
	v_mul_f64_e32 v[157:158], v[38:39], v[147:148]
	v_add_f64_e32 v[153:154], v[153:154], v[161:162]
	v_add_f64_e32 v[155:156], v[155:156], v[159:160]
	v_mul_f64_e32 v[159:160], v[40:41], v[147:148]
	v_fma_f64 v[161:162], v[4:5], v[34:35], v[163:164]
	v_fma_f64 v[163:164], v[2:3], v[34:35], -v[36:37]
	ds_load_b128 v[2:5], v1 offset:992
	scratch_load_b128 v[34:37], off, off offset:384
	v_fma_f64 v[157:158], v[40:41], v[145:146], v[157:158]
	v_add_f64_e32 v[153:154], v[153:154], v[149:150]
	v_add_f64_e32 v[151:152], v[155:156], v[151:152]
	ds_load_b128 v[147:150], v1 offset:1008
	v_fma_f64 v[145:146], v[38:39], v[145:146], -v[159:160]
	scratch_load_b128 v[38:41], off, off offset:400
	s_wait_loadcnt_dscnt 0x901
	v_mul_f64_e32 v[155:156], v[2:3], v[44:45]
	v_mul_f64_e32 v[44:45], v[4:5], v[44:45]
	s_wait_loadcnt_dscnt 0x800
	v_mul_f64_e32 v[159:160], v[147:148], v[8:9]
	v_mul_f64_e32 v[8:9], v[149:150], v[8:9]
	v_add_f64_e32 v[153:154], v[153:154], v[163:164]
	v_add_f64_e32 v[151:152], v[151:152], v[161:162]
	v_fma_f64 v[155:156], v[4:5], v[42:43], v[155:156]
	v_fma_f64 v[161:162], v[2:3], v[42:43], -v[44:45]
	ds_load_b128 v[2:5], v1 offset:1024
	scratch_load_b128 v[42:45], off, off offset:416
	v_fma_f64 v[149:150], v[149:150], v[6:7], v[159:160]
	v_fma_f64 v[147:148], v[147:148], v[6:7], -v[8:9]
	scratch_load_b128 v[6:9], off, off offset:432
	v_add_f64_e32 v[145:146], v[153:154], v[145:146]
	v_add_f64_e32 v[157:158], v[151:152], v[157:158]
	ds_load_b128 v[151:154], v1 offset:1040
	s_wait_loadcnt_dscnt 0x901
	v_mul_f64_e32 v[163:164], v[2:3], v[12:13]
	v_mul_f64_e32 v[12:13], v[4:5], v[12:13]
	v_add_f64_e32 v[145:146], v[145:146], v[161:162]
	v_add_f64_e32 v[155:156], v[157:158], v[155:156]
	s_wait_loadcnt_dscnt 0x800
	v_mul_f64_e32 v[157:158], v[151:152], v[16:17]
	v_mul_f64_e32 v[16:17], v[153:154], v[16:17]
	v_fma_f64 v[159:160], v[4:5], v[10:11], v[163:164]
	v_fma_f64 v[161:162], v[2:3], v[10:11], -v[12:13]
	ds_load_b128 v[2:5], v1 offset:1056
	scratch_load_b128 v[10:13], off, off offset:448
	v_add_f64_e32 v[163:164], v[145:146], v[147:148]
	v_add_f64_e32 v[149:150], v[155:156], v[149:150]
	ds_load_b128 v[145:148], v1 offset:1072
	s_wait_loadcnt_dscnt 0x801
	v_mul_f64_e32 v[155:156], v[2:3], v[20:21]
	v_mul_f64_e32 v[20:21], v[4:5], v[20:21]
	v_fma_f64 v[153:154], v[153:154], v[14:15], v[157:158]
	v_fma_f64 v[151:152], v[151:152], v[14:15], -v[16:17]
	scratch_load_b128 v[14:17], off, off offset:464
	v_add_f64_e32 v[157:158], v[163:164], v[161:162]
	v_add_f64_e32 v[149:150], v[149:150], v[159:160]
	s_wait_loadcnt_dscnt 0x800
	v_mul_f64_e32 v[159:160], v[145:146], v[24:25]
	v_mul_f64_e32 v[24:25], v[147:148], v[24:25]
	v_fma_f64 v[155:156], v[4:5], v[18:19], v[155:156]
	v_fma_f64 v[161:162], v[2:3], v[18:19], -v[20:21]
	ds_load_b128 v[2:5], v1 offset:1088
	scratch_load_b128 v[18:21], off, off offset:480
	v_add_f64_e32 v[157:158], v[157:158], v[151:152]
	v_add_f64_e32 v[153:154], v[149:150], v[153:154]
	ds_load_b128 v[149:152], v1 offset:1104
	s_wait_loadcnt_dscnt 0x801
	v_mul_f64_e32 v[163:164], v[2:3], v[28:29]
	v_mul_f64_e32 v[28:29], v[4:5], v[28:29]
	v_fma_f64 v[147:148], v[147:148], v[22:23], v[159:160]
	v_fma_f64 v[145:146], v[145:146], v[22:23], -v[24:25]
	scratch_load_b128 v[22:25], off, off offset:496
	;; [unrolled: 18-line block ×4, first 2 shown]
	s_wait_loadcnt_dscnt 0x800
	v_mul_f64_e32 v[157:158], v[149:150], v[8:9]
	v_mul_f64_e32 v[8:9], v[151:152], v[8:9]
	v_add_f64_e32 v[155:156], v[155:156], v[161:162]
	v_add_f64_e32 v[153:154], v[153:154], v[159:160]
	v_fma_f64 v[159:160], v[4:5], v[42:43], v[163:164]
	v_fma_f64 v[161:162], v[2:3], v[42:43], -v[44:45]
	ds_load_b128 v[2:5], v1 offset:1184
	scratch_load_b128 v[42:45], off, off offset:576
	v_fma_f64 v[151:152], v[151:152], v[6:7], v[157:158]
	v_fma_f64 v[149:150], v[149:150], v[6:7], -v[8:9]
	scratch_load_b128 v[6:9], off, off offset:592
	v_add_f64_e32 v[155:156], v[155:156], v[145:146]
	v_add_f64_e32 v[153:154], v[153:154], v[147:148]
	ds_load_b128 v[145:148], v1 offset:1200
	s_wait_loadcnt_dscnt 0x901
	v_mul_f64_e32 v[163:164], v[2:3], v[12:13]
	v_mul_f64_e32 v[12:13], v[4:5], v[12:13]
	s_wait_loadcnt_dscnt 0x800
	v_mul_f64_e32 v[157:158], v[145:146], v[16:17]
	v_mul_f64_e32 v[16:17], v[147:148], v[16:17]
	v_add_f64_e32 v[155:156], v[155:156], v[161:162]
	v_add_f64_e32 v[153:154], v[153:154], v[159:160]
	v_fma_f64 v[159:160], v[4:5], v[10:11], v[163:164]
	v_fma_f64 v[161:162], v[2:3], v[10:11], -v[12:13]
	ds_load_b128 v[2:5], v1 offset:1216
	scratch_load_b128 v[10:13], off, off offset:608
	v_fma_f64 v[147:148], v[147:148], v[14:15], v[157:158]
	v_fma_f64 v[145:146], v[145:146], v[14:15], -v[16:17]
	scratch_load_b128 v[14:17], off, off offset:624
	v_add_f64_e32 v[155:156], v[155:156], v[149:150]
	v_add_f64_e32 v[153:154], v[153:154], v[151:152]
	ds_load_b128 v[149:152], v1 offset:1232
	s_wait_loadcnt_dscnt 0x901
	v_mul_f64_e32 v[163:164], v[2:3], v[20:21]
	v_mul_f64_e32 v[20:21], v[4:5], v[20:21]
	;; [unrolled: 18-line block ×6, first 2 shown]
	s_wait_loadcnt_dscnt 0x800
	v_mul_f64_e32 v[157:158], v[149:150], v[16:17]
	v_mul_f64_e32 v[16:17], v[151:152], v[16:17]
	v_add_f64_e32 v[155:156], v[155:156], v[161:162]
	v_add_f64_e32 v[153:154], v[153:154], v[159:160]
	v_fma_f64 v[159:160], v[4:5], v[10:11], v[163:164]
	v_fma_f64 v[161:162], v[2:3], v[10:11], -v[12:13]
	ds_load_b128 v[2:5], v1 offset:1376
	ds_load_b128 v[10:13], v1 offset:1392
	v_fma_f64 v[151:152], v[151:152], v[14:15], v[157:158]
	v_fma_f64 v[14:15], v[149:150], v[14:15], -v[16:17]
	v_add_f64_e32 v[145:146], v[155:156], v[145:146]
	v_add_f64_e32 v[147:148], v[153:154], v[147:148]
	s_wait_loadcnt_dscnt 0x701
	v_mul_f64_e32 v[153:154], v[2:3], v[20:21]
	v_mul_f64_e32 v[20:21], v[4:5], v[20:21]
	s_delay_alu instid0(VALU_DEP_4) | instskip(NEXT) | instid1(VALU_DEP_4)
	v_add_f64_e32 v[16:17], v[145:146], v[161:162]
	v_add_f64_e32 v[145:146], v[147:148], v[159:160]
	s_wait_loadcnt_dscnt 0x600
	v_mul_f64_e32 v[147:148], v[10:11], v[24:25]
	v_mul_f64_e32 v[24:25], v[12:13], v[24:25]
	v_fma_f64 v[149:150], v[4:5], v[18:19], v[153:154]
	v_fma_f64 v[18:19], v[2:3], v[18:19], -v[20:21]
	v_add_f64_e32 v[20:21], v[16:17], v[14:15]
	v_add_f64_e32 v[145:146], v[145:146], v[151:152]
	ds_load_b128 v[2:5], v1 offset:1408
	ds_load_b128 v[14:17], v1 offset:1424
	v_fma_f64 v[12:13], v[12:13], v[22:23], v[147:148]
	v_fma_f64 v[10:11], v[10:11], v[22:23], -v[24:25]
	s_wait_loadcnt_dscnt 0x501
	v_mul_f64_e32 v[151:152], v[2:3], v[28:29]
	v_mul_f64_e32 v[28:29], v[4:5], v[28:29]
	s_wait_loadcnt_dscnt 0x400
	v_mul_f64_e32 v[22:23], v[14:15], v[32:33]
	v_mul_f64_e32 v[24:25], v[16:17], v[32:33]
	v_add_f64_e32 v[18:19], v[20:21], v[18:19]
	v_add_f64_e32 v[20:21], v[145:146], v[149:150]
	v_fma_f64 v[32:33], v[4:5], v[26:27], v[151:152]
	v_fma_f64 v[26:27], v[2:3], v[26:27], -v[28:29]
	v_fma_f64 v[16:17], v[16:17], v[30:31], v[22:23]
	v_fma_f64 v[14:15], v[14:15], v[30:31], -v[24:25]
	v_add_f64_e32 v[18:19], v[18:19], v[10:11]
	v_add_f64_e32 v[20:21], v[20:21], v[12:13]
	ds_load_b128 v[2:5], v1 offset:1440
	ds_load_b128 v[10:13], v1 offset:1456
	s_wait_loadcnt_dscnt 0x301
	v_mul_f64_e32 v[28:29], v[2:3], v[36:37]
	v_mul_f64_e32 v[36:37], v[4:5], v[36:37]
	s_wait_loadcnt_dscnt 0x200
	v_mul_f64_e32 v[22:23], v[10:11], v[40:41]
	v_mul_f64_e32 v[24:25], v[12:13], v[40:41]
	v_add_f64_e32 v[18:19], v[18:19], v[26:27]
	v_add_f64_e32 v[20:21], v[20:21], v[32:33]
	v_fma_f64 v[26:27], v[4:5], v[34:35], v[28:29]
	v_fma_f64 v[28:29], v[2:3], v[34:35], -v[36:37]
	v_fma_f64 v[12:13], v[12:13], v[38:39], v[22:23]
	v_fma_f64 v[10:11], v[10:11], v[38:39], -v[24:25]
	v_add_f64_e32 v[18:19], v[18:19], v[14:15]
	v_add_f64_e32 v[20:21], v[20:21], v[16:17]
	ds_load_b128 v[2:5], v1 offset:1472
	ds_load_b128 v[14:17], v1 offset:1488
	s_wait_loadcnt_dscnt 0x101
	v_mul_f64_e32 v[30:31], v[2:3], v[44:45]
	v_mul_f64_e32 v[32:33], v[4:5], v[44:45]
	s_wait_loadcnt_dscnt 0x0
	v_mul_f64_e32 v[22:23], v[14:15], v[8:9]
	v_mul_f64_e32 v[8:9], v[16:17], v[8:9]
	v_add_f64_e32 v[18:19], v[18:19], v[28:29]
	v_add_f64_e32 v[20:21], v[20:21], v[26:27]
	v_fma_f64 v[4:5], v[4:5], v[42:43], v[30:31]
	v_fma_f64 v[1:2], v[2:3], v[42:43], -v[32:33]
	v_fma_f64 v[16:17], v[16:17], v[6:7], v[22:23]
	v_fma_f64 v[6:7], v[14:15], v[6:7], -v[8:9]
	v_add_f64_e32 v[10:11], v[18:19], v[10:11]
	v_add_f64_e32 v[12:13], v[20:21], v[12:13]
	s_delay_alu instid0(VALU_DEP_2) | instskip(NEXT) | instid1(VALU_DEP_2)
	v_add_f64_e32 v[1:2], v[10:11], v[1:2]
	v_add_f64_e32 v[3:4], v[12:13], v[4:5]
	s_delay_alu instid0(VALU_DEP_2) | instskip(NEXT) | instid1(VALU_DEP_2)
	;; [unrolled: 3-line block ×3, first 2 shown]
	v_add_f64_e64 v[1:2], v[141:142], -v[1:2]
	v_add_f64_e64 v[3:4], v[143:144], -v[3:4]
	scratch_store_b128 off, v[1:4], off offset:80
	v_cmpx_lt_u32_e32 3, v0
	s_cbranch_execz .LBB110_289
; %bb.288:
	scratch_load_b128 v[1:4], off, s10
	v_mov_b32_e32 v5, 0
	s_delay_alu instid0(VALU_DEP_1)
	v_dual_mov_b32 v6, v5 :: v_dual_mov_b32 v7, v5
	v_mov_b32_e32 v8, v5
	scratch_store_b128 off, v[5:8], off offset:64
	s_wait_loadcnt 0x0
	ds_store_b128 v140, v[1:4]
.LBB110_289:
	s_wait_alu 0xfffe
	s_or_b32 exec_lo, exec_lo, s0
	s_wait_storecnt_dscnt 0x0
	s_barrier_signal -1
	s_barrier_wait -1
	global_inv scope:SCOPE_SE
	s_clause 0x7
	scratch_load_b128 v[2:5], off, off offset:80
	scratch_load_b128 v[6:9], off, off offset:96
	;; [unrolled: 1-line block ×8, first 2 shown]
	v_mov_b32_e32 v1, 0
	s_mov_b32 s0, exec_lo
	ds_load_b128 v[38:41], v1 offset:816
	s_clause 0x1
	scratch_load_b128 v[34:37], off, off offset:208
	scratch_load_b128 v[42:45], off, off offset:64
	ds_load_b128 v[141:144], v1 offset:832
	scratch_load_b128 v[145:148], off, off offset:224
	s_wait_loadcnt_dscnt 0xa01
	v_mul_f64_e32 v[149:150], v[40:41], v[4:5]
	v_mul_f64_e32 v[4:5], v[38:39], v[4:5]
	s_delay_alu instid0(VALU_DEP_2) | instskip(NEXT) | instid1(VALU_DEP_2)
	v_fma_f64 v[155:156], v[38:39], v[2:3], -v[149:150]
	v_fma_f64 v[157:158], v[40:41], v[2:3], v[4:5]
	ds_load_b128 v[2:5], v1 offset:848
	s_wait_loadcnt_dscnt 0x901
	v_mul_f64_e32 v[153:154], v[141:142], v[8:9]
	v_mul_f64_e32 v[8:9], v[143:144], v[8:9]
	scratch_load_b128 v[38:41], off, off offset:240
	ds_load_b128 v[149:152], v1 offset:864
	s_wait_loadcnt_dscnt 0x901
	v_mul_f64_e32 v[159:160], v[2:3], v[12:13]
	v_mul_f64_e32 v[12:13], v[4:5], v[12:13]
	v_fma_f64 v[143:144], v[143:144], v[6:7], v[153:154]
	v_fma_f64 v[141:142], v[141:142], v[6:7], -v[8:9]
	v_add_f64_e32 v[153:154], 0, v[155:156]
	v_add_f64_e32 v[155:156], 0, v[157:158]
	scratch_load_b128 v[6:9], off, off offset:256
	v_fma_f64 v[159:160], v[4:5], v[10:11], v[159:160]
	v_fma_f64 v[161:162], v[2:3], v[10:11], -v[12:13]
	ds_load_b128 v[2:5], v1 offset:880
	s_wait_loadcnt_dscnt 0x901
	v_mul_f64_e32 v[157:158], v[149:150], v[16:17]
	v_mul_f64_e32 v[16:17], v[151:152], v[16:17]
	scratch_load_b128 v[10:13], off, off offset:272
	v_add_f64_e32 v[153:154], v[153:154], v[141:142]
	v_add_f64_e32 v[155:156], v[155:156], v[143:144]
	s_wait_loadcnt_dscnt 0x900
	v_mul_f64_e32 v[163:164], v[2:3], v[20:21]
	v_mul_f64_e32 v[20:21], v[4:5], v[20:21]
	ds_load_b128 v[141:144], v1 offset:896
	v_fma_f64 v[151:152], v[151:152], v[14:15], v[157:158]
	v_fma_f64 v[149:150], v[149:150], v[14:15], -v[16:17]
	scratch_load_b128 v[14:17], off, off offset:288
	v_add_f64_e32 v[153:154], v[153:154], v[161:162]
	v_add_f64_e32 v[155:156], v[155:156], v[159:160]
	v_fma_f64 v[159:160], v[4:5], v[18:19], v[163:164]
	v_fma_f64 v[161:162], v[2:3], v[18:19], -v[20:21]
	ds_load_b128 v[2:5], v1 offset:912
	s_wait_loadcnt_dscnt 0x901
	v_mul_f64_e32 v[157:158], v[141:142], v[24:25]
	v_mul_f64_e32 v[24:25], v[143:144], v[24:25]
	scratch_load_b128 v[18:21], off, off offset:304
	s_wait_loadcnt_dscnt 0x900
	v_mul_f64_e32 v[163:164], v[2:3], v[28:29]
	v_mul_f64_e32 v[28:29], v[4:5], v[28:29]
	v_add_f64_e32 v[153:154], v[153:154], v[149:150]
	v_add_f64_e32 v[155:156], v[155:156], v[151:152]
	ds_load_b128 v[149:152], v1 offset:928
	v_fma_f64 v[143:144], v[143:144], v[22:23], v[157:158]
	v_fma_f64 v[141:142], v[141:142], v[22:23], -v[24:25]
	scratch_load_b128 v[22:25], off, off offset:320
	v_add_f64_e32 v[153:154], v[153:154], v[161:162]
	v_add_f64_e32 v[155:156], v[155:156], v[159:160]
	v_fma_f64 v[159:160], v[4:5], v[26:27], v[163:164]
	v_fma_f64 v[161:162], v[2:3], v[26:27], -v[28:29]
	ds_load_b128 v[2:5], v1 offset:944
	s_wait_loadcnt_dscnt 0x901
	v_mul_f64_e32 v[157:158], v[149:150], v[32:33]
	v_mul_f64_e32 v[32:33], v[151:152], v[32:33]
	scratch_load_b128 v[26:29], off, off offset:336
	s_wait_loadcnt_dscnt 0x900
	v_mul_f64_e32 v[163:164], v[2:3], v[36:37]
	v_mul_f64_e32 v[36:37], v[4:5], v[36:37]
	v_add_f64_e32 v[153:154], v[153:154], v[141:142]
	v_add_f64_e32 v[155:156], v[155:156], v[143:144]
	ds_load_b128 v[141:144], v1 offset:960
	v_fma_f64 v[151:152], v[151:152], v[30:31], v[157:158]
	v_fma_f64 v[149:150], v[149:150], v[30:31], -v[32:33]
	scratch_load_b128 v[30:33], off, off offset:352
	v_add_f64_e32 v[153:154], v[153:154], v[161:162]
	v_add_f64_e32 v[155:156], v[155:156], v[159:160]
	v_fma_f64 v[161:162], v[4:5], v[34:35], v[163:164]
	v_fma_f64 v[163:164], v[2:3], v[34:35], -v[36:37]
	ds_load_b128 v[2:5], v1 offset:976
	s_wait_loadcnt_dscnt 0x801
	v_mul_f64_e32 v[157:158], v[141:142], v[147:148]
	v_mul_f64_e32 v[159:160], v[143:144], v[147:148]
	scratch_load_b128 v[34:37], off, off offset:368
	v_add_f64_e32 v[153:154], v[153:154], v[149:150]
	v_add_f64_e32 v[151:152], v[155:156], v[151:152]
	ds_load_b128 v[147:150], v1 offset:992
	v_fma_f64 v[157:158], v[143:144], v[145:146], v[157:158]
	v_fma_f64 v[145:146], v[141:142], v[145:146], -v[159:160]
	scratch_load_b128 v[141:144], off, off offset:384
	s_wait_loadcnt_dscnt 0x901
	v_mul_f64_e32 v[155:156], v[2:3], v[40:41]
	v_mul_f64_e32 v[40:41], v[4:5], v[40:41]
	v_add_f64_e32 v[153:154], v[153:154], v[163:164]
	v_add_f64_e32 v[151:152], v[151:152], v[161:162]
	s_delay_alu instid0(VALU_DEP_4) | instskip(NEXT) | instid1(VALU_DEP_4)
	v_fma_f64 v[155:156], v[4:5], v[38:39], v[155:156]
	v_fma_f64 v[161:162], v[2:3], v[38:39], -v[40:41]
	ds_load_b128 v[2:5], v1 offset:1008
	s_wait_loadcnt_dscnt 0x801
	v_mul_f64_e32 v[159:160], v[147:148], v[8:9]
	v_mul_f64_e32 v[8:9], v[149:150], v[8:9]
	scratch_load_b128 v[38:41], off, off offset:400
	s_wait_loadcnt_dscnt 0x800
	v_mul_f64_e32 v[163:164], v[2:3], v[12:13]
	v_add_f64_e32 v[145:146], v[153:154], v[145:146]
	v_add_f64_e32 v[157:158], v[151:152], v[157:158]
	v_mul_f64_e32 v[12:13], v[4:5], v[12:13]
	ds_load_b128 v[151:154], v1 offset:1024
	v_fma_f64 v[149:150], v[149:150], v[6:7], v[159:160]
	v_fma_f64 v[147:148], v[147:148], v[6:7], -v[8:9]
	scratch_load_b128 v[6:9], off, off offset:416
	v_fma_f64 v[159:160], v[4:5], v[10:11], v[163:164]
	v_add_f64_e32 v[145:146], v[145:146], v[161:162]
	v_add_f64_e32 v[155:156], v[157:158], v[155:156]
	v_fma_f64 v[161:162], v[2:3], v[10:11], -v[12:13]
	ds_load_b128 v[2:5], v1 offset:1040
	s_wait_loadcnt_dscnt 0x801
	v_mul_f64_e32 v[157:158], v[151:152], v[16:17]
	v_mul_f64_e32 v[16:17], v[153:154], v[16:17]
	scratch_load_b128 v[10:13], off, off offset:432
	v_add_f64_e32 v[163:164], v[145:146], v[147:148]
	v_add_f64_e32 v[149:150], v[155:156], v[149:150]
	s_wait_loadcnt_dscnt 0x800
	v_mul_f64_e32 v[155:156], v[2:3], v[20:21]
	v_mul_f64_e32 v[20:21], v[4:5], v[20:21]
	v_fma_f64 v[153:154], v[153:154], v[14:15], v[157:158]
	v_fma_f64 v[151:152], v[151:152], v[14:15], -v[16:17]
	ds_load_b128 v[145:148], v1 offset:1056
	scratch_load_b128 v[14:17], off, off offset:448
	v_add_f64_e32 v[157:158], v[163:164], v[161:162]
	v_add_f64_e32 v[149:150], v[149:150], v[159:160]
	v_fma_f64 v[155:156], v[4:5], v[18:19], v[155:156]
	v_fma_f64 v[161:162], v[2:3], v[18:19], -v[20:21]
	ds_load_b128 v[2:5], v1 offset:1072
	s_wait_loadcnt_dscnt 0x801
	v_mul_f64_e32 v[159:160], v[145:146], v[24:25]
	v_mul_f64_e32 v[24:25], v[147:148], v[24:25]
	scratch_load_b128 v[18:21], off, off offset:464
	s_wait_loadcnt_dscnt 0x800
	v_mul_f64_e32 v[163:164], v[2:3], v[28:29]
	v_mul_f64_e32 v[28:29], v[4:5], v[28:29]
	v_add_f64_e32 v[157:158], v[157:158], v[151:152]
	v_add_f64_e32 v[153:154], v[149:150], v[153:154]
	ds_load_b128 v[149:152], v1 offset:1088
	v_fma_f64 v[147:148], v[147:148], v[22:23], v[159:160]
	v_fma_f64 v[145:146], v[145:146], v[22:23], -v[24:25]
	scratch_load_b128 v[22:25], off, off offset:480
	v_fma_f64 v[159:160], v[4:5], v[26:27], v[163:164]
	v_add_f64_e32 v[157:158], v[157:158], v[161:162]
	v_add_f64_e32 v[153:154], v[153:154], v[155:156]
	v_fma_f64 v[161:162], v[2:3], v[26:27], -v[28:29]
	ds_load_b128 v[2:5], v1 offset:1104
	s_wait_loadcnt_dscnt 0x801
	v_mul_f64_e32 v[155:156], v[149:150], v[32:33]
	v_mul_f64_e32 v[32:33], v[151:152], v[32:33]
	scratch_load_b128 v[26:29], off, off offset:496
	s_wait_loadcnt_dscnt 0x800
	v_mul_f64_e32 v[163:164], v[2:3], v[36:37]
	v_mul_f64_e32 v[36:37], v[4:5], v[36:37]
	v_add_f64_e32 v[157:158], v[157:158], v[145:146]
	v_add_f64_e32 v[153:154], v[153:154], v[147:148]
	ds_load_b128 v[145:148], v1 offset:1120
	v_fma_f64 v[151:152], v[151:152], v[30:31], v[155:156]
	v_fma_f64 v[149:150], v[149:150], v[30:31], -v[32:33]
	scratch_load_b128 v[30:33], off, off offset:512
	v_add_f64_e32 v[155:156], v[157:158], v[161:162]
	v_add_f64_e32 v[153:154], v[153:154], v[159:160]
	v_fma_f64 v[159:160], v[4:5], v[34:35], v[163:164]
	v_fma_f64 v[161:162], v[2:3], v[34:35], -v[36:37]
	ds_load_b128 v[2:5], v1 offset:1136
	s_wait_loadcnt_dscnt 0x801
	v_mul_f64_e32 v[157:158], v[145:146], v[143:144]
	v_mul_f64_e32 v[143:144], v[147:148], v[143:144]
	scratch_load_b128 v[34:37], off, off offset:528
	s_wait_loadcnt_dscnt 0x800
	v_mul_f64_e32 v[163:164], v[2:3], v[40:41]
	v_mul_f64_e32 v[40:41], v[4:5], v[40:41]
	v_add_f64_e32 v[155:156], v[155:156], v[149:150]
	v_add_f64_e32 v[153:154], v[153:154], v[151:152]
	ds_load_b128 v[149:152], v1 offset:1152
	v_fma_f64 v[147:148], v[147:148], v[141:142], v[157:158]
	v_fma_f64 v[145:146], v[145:146], v[141:142], -v[143:144]
	scratch_load_b128 v[141:144], off, off offset:544
	v_add_f64_e32 v[155:156], v[155:156], v[161:162]
	v_add_f64_e32 v[153:154], v[153:154], v[159:160]
	v_fma_f64 v[159:160], v[4:5], v[38:39], v[163:164]
	;; [unrolled: 18-line block ×6, first 2 shown]
	v_fma_f64 v[163:164], v[2:3], v[34:35], -v[36:37]
	ds_load_b128 v[2:5], v1 offset:1296
	s_wait_loadcnt_dscnt 0x801
	v_mul_f64_e32 v[157:158], v[149:150], v[143:144]
	v_mul_f64_e32 v[159:160], v[151:152], v[143:144]
	scratch_load_b128 v[34:37], off, off offset:688
	v_add_f64_e32 v[155:156], v[155:156], v[145:146]
	v_add_f64_e32 v[147:148], v[153:154], v[147:148]
	s_wait_loadcnt_dscnt 0x800
	v_mul_f64_e32 v[153:154], v[2:3], v[40:41]
	v_mul_f64_e32 v[40:41], v[4:5], v[40:41]
	ds_load_b128 v[143:146], v1 offset:1312
	v_fma_f64 v[151:152], v[151:152], v[141:142], v[157:158]
	v_fma_f64 v[141:142], v[149:150], v[141:142], -v[159:160]
	v_add_f64_e32 v[155:156], v[155:156], v[163:164]
	v_add_f64_e32 v[157:158], v[147:148], v[161:162]
	scratch_load_b128 v[147:150], off, off offset:704
	v_fma_f64 v[161:162], v[4:5], v[38:39], v[153:154]
	v_fma_f64 v[163:164], v[2:3], v[38:39], -v[40:41]
	ds_load_b128 v[2:5], v1 offset:1328
	s_wait_loadcnt_dscnt 0x801
	v_mul_f64_e32 v[159:160], v[143:144], v[8:9]
	v_mul_f64_e32 v[8:9], v[145:146], v[8:9]
	scratch_load_b128 v[38:41], off, off offset:720
	v_add_f64_e32 v[141:142], v[155:156], v[141:142]
	v_add_f64_e32 v[155:156], v[157:158], v[151:152]
	s_wait_loadcnt_dscnt 0x800
	v_mul_f64_e32 v[157:158], v[2:3], v[12:13]
	v_mul_f64_e32 v[12:13], v[4:5], v[12:13]
	ds_load_b128 v[151:154], v1 offset:1344
	v_fma_f64 v[145:146], v[145:146], v[6:7], v[159:160]
	v_fma_f64 v[143:144], v[143:144], v[6:7], -v[8:9]
	scratch_load_b128 v[6:9], off, off offset:736
	v_add_f64_e32 v[141:142], v[141:142], v[163:164]
	v_add_f64_e32 v[155:156], v[155:156], v[161:162]
	v_fma_f64 v[157:158], v[4:5], v[10:11], v[157:158]
	v_fma_f64 v[161:162], v[2:3], v[10:11], -v[12:13]
	ds_load_b128 v[2:5], v1 offset:1360
	s_wait_loadcnt_dscnt 0x801
	v_mul_f64_e32 v[159:160], v[151:152], v[16:17]
	v_mul_f64_e32 v[16:17], v[153:154], v[16:17]
	scratch_load_b128 v[10:13], off, off offset:752
	v_add_f64_e32 v[163:164], v[141:142], v[143:144]
	v_add_f64_e32 v[145:146], v[155:156], v[145:146]
	s_wait_loadcnt_dscnt 0x800
	v_mul_f64_e32 v[155:156], v[2:3], v[20:21]
	v_mul_f64_e32 v[20:21], v[4:5], v[20:21]
	ds_load_b128 v[141:144], v1 offset:1376
	v_fma_f64 v[153:154], v[153:154], v[14:15], v[159:160]
	v_fma_f64 v[14:15], v[151:152], v[14:15], -v[16:17]
	s_wait_loadcnt_dscnt 0x700
	v_mul_f64_e32 v[151:152], v[141:142], v[24:25]
	v_mul_f64_e32 v[24:25], v[143:144], v[24:25]
	v_add_f64_e32 v[16:17], v[163:164], v[161:162]
	v_add_f64_e32 v[145:146], v[145:146], v[157:158]
	v_fma_f64 v[155:156], v[4:5], v[18:19], v[155:156]
	v_fma_f64 v[18:19], v[2:3], v[18:19], -v[20:21]
	v_fma_f64 v[143:144], v[143:144], v[22:23], v[151:152]
	v_fma_f64 v[22:23], v[141:142], v[22:23], -v[24:25]
	v_add_f64_e32 v[20:21], v[16:17], v[14:15]
	v_add_f64_e32 v[145:146], v[145:146], v[153:154]
	ds_load_b128 v[2:5], v1 offset:1392
	ds_load_b128 v[14:17], v1 offset:1408
	s_wait_loadcnt_dscnt 0x601
	v_mul_f64_e32 v[153:154], v[2:3], v[28:29]
	v_mul_f64_e32 v[28:29], v[4:5], v[28:29]
	s_wait_loadcnt_dscnt 0x500
	v_mul_f64_e32 v[24:25], v[14:15], v[32:33]
	v_mul_f64_e32 v[32:33], v[16:17], v[32:33]
	v_add_f64_e32 v[18:19], v[20:21], v[18:19]
	v_add_f64_e32 v[20:21], v[145:146], v[155:156]
	v_fma_f64 v[141:142], v[4:5], v[26:27], v[153:154]
	v_fma_f64 v[26:27], v[2:3], v[26:27], -v[28:29]
	v_fma_f64 v[16:17], v[16:17], v[30:31], v[24:25]
	v_fma_f64 v[14:15], v[14:15], v[30:31], -v[32:33]
	v_add_f64_e32 v[22:23], v[18:19], v[22:23]
	v_add_f64_e32 v[28:29], v[20:21], v[143:144]
	ds_load_b128 v[2:5], v1 offset:1424
	ds_load_b128 v[18:21], v1 offset:1440
	s_wait_loadcnt_dscnt 0x401
	v_mul_f64_e32 v[143:144], v[2:3], v[36:37]
	v_mul_f64_e32 v[36:37], v[4:5], v[36:37]
	v_add_f64_e32 v[22:23], v[22:23], v[26:27]
	v_add_f64_e32 v[24:25], v[28:29], v[141:142]
	s_wait_loadcnt_dscnt 0x300
	v_mul_f64_e32 v[26:27], v[18:19], v[149:150]
	v_mul_f64_e32 v[28:29], v[20:21], v[149:150]
	v_fma_f64 v[30:31], v[4:5], v[34:35], v[143:144]
	v_fma_f64 v[32:33], v[2:3], v[34:35], -v[36:37]
	v_add_f64_e32 v[22:23], v[22:23], v[14:15]
	v_add_f64_e32 v[24:25], v[24:25], v[16:17]
	ds_load_b128 v[2:5], v1 offset:1456
	ds_load_b128 v[14:17], v1 offset:1472
	v_fma_f64 v[20:21], v[20:21], v[147:148], v[26:27]
	v_fma_f64 v[18:19], v[18:19], v[147:148], -v[28:29]
	s_wait_loadcnt_dscnt 0x201
	v_mul_f64_e32 v[34:35], v[2:3], v[40:41]
	v_mul_f64_e32 v[36:37], v[4:5], v[40:41]
	s_wait_loadcnt_dscnt 0x100
	v_mul_f64_e32 v[26:27], v[14:15], v[8:9]
	v_mul_f64_e32 v[8:9], v[16:17], v[8:9]
	v_add_f64_e32 v[22:23], v[22:23], v[32:33]
	v_add_f64_e32 v[24:25], v[24:25], v[30:31]
	v_fma_f64 v[28:29], v[4:5], v[38:39], v[34:35]
	v_fma_f64 v[30:31], v[2:3], v[38:39], -v[36:37]
	ds_load_b128 v[2:5], v1 offset:1488
	v_fma_f64 v[16:17], v[16:17], v[6:7], v[26:27]
	v_fma_f64 v[6:7], v[14:15], v[6:7], -v[8:9]
	v_add_f64_e32 v[18:19], v[22:23], v[18:19]
	v_add_f64_e32 v[20:21], v[24:25], v[20:21]
	s_wait_loadcnt_dscnt 0x0
	v_mul_f64_e32 v[22:23], v[2:3], v[12:13]
	v_mul_f64_e32 v[12:13], v[4:5], v[12:13]
	s_delay_alu instid0(VALU_DEP_4) | instskip(NEXT) | instid1(VALU_DEP_4)
	v_add_f64_e32 v[8:9], v[18:19], v[30:31]
	v_add_f64_e32 v[14:15], v[20:21], v[28:29]
	s_delay_alu instid0(VALU_DEP_4) | instskip(NEXT) | instid1(VALU_DEP_4)
	v_fma_f64 v[4:5], v[4:5], v[10:11], v[22:23]
	v_fma_f64 v[2:3], v[2:3], v[10:11], -v[12:13]
	s_delay_alu instid0(VALU_DEP_4) | instskip(NEXT) | instid1(VALU_DEP_4)
	v_add_f64_e32 v[6:7], v[8:9], v[6:7]
	v_add_f64_e32 v[8:9], v[14:15], v[16:17]
	s_delay_alu instid0(VALU_DEP_2) | instskip(NEXT) | instid1(VALU_DEP_2)
	v_add_f64_e32 v[2:3], v[6:7], v[2:3]
	v_add_f64_e32 v[4:5], v[8:9], v[4:5]
	s_delay_alu instid0(VALU_DEP_2) | instskip(NEXT) | instid1(VALU_DEP_2)
	v_add_f64_e64 v[2:3], v[42:43], -v[2:3]
	v_add_f64_e64 v[4:5], v[44:45], -v[4:5]
	scratch_store_b128 off, v[2:5], off offset:64
	v_cmpx_lt_u32_e32 2, v0
	s_cbranch_execz .LBB110_291
; %bb.290:
	scratch_load_b128 v[5:8], off, s13
	v_dual_mov_b32 v2, v1 :: v_dual_mov_b32 v3, v1
	v_mov_b32_e32 v4, v1
	scratch_store_b128 off, v[1:4], off offset:48
	s_wait_loadcnt 0x0
	ds_store_b128 v140, v[5:8]
.LBB110_291:
	s_wait_alu 0xfffe
	s_or_b32 exec_lo, exec_lo, s0
	s_wait_storecnt_dscnt 0x0
	s_barrier_signal -1
	s_barrier_wait -1
	global_inv scope:SCOPE_SE
	s_clause 0x8
	scratch_load_b128 v[2:5], off, off offset:64
	scratch_load_b128 v[6:9], off, off offset:80
	;; [unrolled: 1-line block ×9, first 2 shown]
	ds_load_b128 v[42:45], v1 offset:800
	ds_load_b128 v[38:41], v1 offset:816
	s_clause 0x1
	scratch_load_b128 v[141:144], off, off offset:48
	scratch_load_b128 v[145:148], off, off offset:208
	s_mov_b32 s0, exec_lo
	s_wait_loadcnt_dscnt 0xa01
	v_mul_f64_e32 v[149:150], v[44:45], v[4:5]
	v_mul_f64_e32 v[4:5], v[42:43], v[4:5]
	s_wait_loadcnt_dscnt 0x900
	v_mul_f64_e32 v[153:154], v[38:39], v[8:9]
	v_mul_f64_e32 v[8:9], v[40:41], v[8:9]
	s_delay_alu instid0(VALU_DEP_4) | instskip(NEXT) | instid1(VALU_DEP_4)
	v_fma_f64 v[155:156], v[42:43], v[2:3], -v[149:150]
	v_fma_f64 v[157:158], v[44:45], v[2:3], v[4:5]
	ds_load_b128 v[2:5], v1 offset:832
	ds_load_b128 v[149:152], v1 offset:848
	scratch_load_b128 v[42:45], off, off offset:224
	v_fma_f64 v[40:41], v[40:41], v[6:7], v[153:154]
	v_fma_f64 v[38:39], v[38:39], v[6:7], -v[8:9]
	scratch_load_b128 v[6:9], off, off offset:240
	s_wait_loadcnt_dscnt 0xa01
	v_mul_f64_e32 v[159:160], v[2:3], v[12:13]
	v_mul_f64_e32 v[12:13], v[4:5], v[12:13]
	v_add_f64_e32 v[153:154], 0, v[155:156]
	v_add_f64_e32 v[155:156], 0, v[157:158]
	s_wait_loadcnt_dscnt 0x900
	v_mul_f64_e32 v[157:158], v[149:150], v[16:17]
	v_mul_f64_e32 v[16:17], v[151:152], v[16:17]
	v_fma_f64 v[159:160], v[4:5], v[10:11], v[159:160]
	v_fma_f64 v[161:162], v[2:3], v[10:11], -v[12:13]
	ds_load_b128 v[2:5], v1 offset:864
	scratch_load_b128 v[10:13], off, off offset:256
	v_add_f64_e32 v[153:154], v[153:154], v[38:39]
	v_add_f64_e32 v[155:156], v[155:156], v[40:41]
	ds_load_b128 v[38:41], v1 offset:880
	v_fma_f64 v[151:152], v[151:152], v[14:15], v[157:158]
	v_fma_f64 v[149:150], v[149:150], v[14:15], -v[16:17]
	scratch_load_b128 v[14:17], off, off offset:272
	s_wait_loadcnt_dscnt 0xa01
	v_mul_f64_e32 v[163:164], v[2:3], v[20:21]
	v_mul_f64_e32 v[20:21], v[4:5], v[20:21]
	s_wait_loadcnt_dscnt 0x900
	v_mul_f64_e32 v[157:158], v[38:39], v[24:25]
	v_mul_f64_e32 v[24:25], v[40:41], v[24:25]
	v_add_f64_e32 v[153:154], v[153:154], v[161:162]
	v_add_f64_e32 v[155:156], v[155:156], v[159:160]
	v_fma_f64 v[159:160], v[4:5], v[18:19], v[163:164]
	v_fma_f64 v[161:162], v[2:3], v[18:19], -v[20:21]
	ds_load_b128 v[2:5], v1 offset:896
	scratch_load_b128 v[18:21], off, off offset:288
	v_fma_f64 v[40:41], v[40:41], v[22:23], v[157:158]
	v_fma_f64 v[38:39], v[38:39], v[22:23], -v[24:25]
	scratch_load_b128 v[22:25], off, off offset:304
	v_add_f64_e32 v[153:154], v[153:154], v[149:150]
	v_add_f64_e32 v[155:156], v[155:156], v[151:152]
	ds_load_b128 v[149:152], v1 offset:912
	s_wait_loadcnt_dscnt 0xa01
	v_mul_f64_e32 v[163:164], v[2:3], v[28:29]
	v_mul_f64_e32 v[28:29], v[4:5], v[28:29]
	s_wait_loadcnt_dscnt 0x900
	v_mul_f64_e32 v[157:158], v[149:150], v[32:33]
	v_mul_f64_e32 v[32:33], v[151:152], v[32:33]
	v_add_f64_e32 v[153:154], v[153:154], v[161:162]
	v_add_f64_e32 v[155:156], v[155:156], v[159:160]
	v_fma_f64 v[159:160], v[4:5], v[26:27], v[163:164]
	v_fma_f64 v[161:162], v[2:3], v[26:27], -v[28:29]
	ds_load_b128 v[2:5], v1 offset:928
	scratch_load_b128 v[26:29], off, off offset:320
	v_fma_f64 v[151:152], v[151:152], v[30:31], v[157:158]
	v_fma_f64 v[149:150], v[149:150], v[30:31], -v[32:33]
	scratch_load_b128 v[30:33], off, off offset:336
	v_add_f64_e32 v[153:154], v[153:154], v[38:39]
	v_add_f64_e32 v[155:156], v[155:156], v[40:41]
	ds_load_b128 v[38:41], v1 offset:944
	s_wait_loadcnt_dscnt 0xa01
	v_mul_f64_e32 v[163:164], v[2:3], v[36:37]
	v_mul_f64_e32 v[36:37], v[4:5], v[36:37]
	s_wait_loadcnt_dscnt 0x800
	v_mul_f64_e32 v[157:158], v[38:39], v[147:148]
	v_add_f64_e32 v[153:154], v[153:154], v[161:162]
	v_add_f64_e32 v[155:156], v[155:156], v[159:160]
	v_mul_f64_e32 v[159:160], v[40:41], v[147:148]
	v_fma_f64 v[161:162], v[4:5], v[34:35], v[163:164]
	v_fma_f64 v[163:164], v[2:3], v[34:35], -v[36:37]
	ds_load_b128 v[2:5], v1 offset:960
	scratch_load_b128 v[34:37], off, off offset:352
	v_fma_f64 v[157:158], v[40:41], v[145:146], v[157:158]
	v_add_f64_e32 v[153:154], v[153:154], v[149:150]
	v_add_f64_e32 v[151:152], v[155:156], v[151:152]
	ds_load_b128 v[147:150], v1 offset:976
	v_fma_f64 v[145:146], v[38:39], v[145:146], -v[159:160]
	scratch_load_b128 v[38:41], off, off offset:368
	s_wait_loadcnt_dscnt 0x901
	v_mul_f64_e32 v[155:156], v[2:3], v[44:45]
	v_mul_f64_e32 v[44:45], v[4:5], v[44:45]
	s_wait_loadcnt_dscnt 0x800
	v_mul_f64_e32 v[159:160], v[147:148], v[8:9]
	v_mul_f64_e32 v[8:9], v[149:150], v[8:9]
	v_add_f64_e32 v[153:154], v[153:154], v[163:164]
	v_add_f64_e32 v[151:152], v[151:152], v[161:162]
	v_fma_f64 v[155:156], v[4:5], v[42:43], v[155:156]
	v_fma_f64 v[161:162], v[2:3], v[42:43], -v[44:45]
	ds_load_b128 v[2:5], v1 offset:992
	scratch_load_b128 v[42:45], off, off offset:384
	v_fma_f64 v[149:150], v[149:150], v[6:7], v[159:160]
	v_fma_f64 v[147:148], v[147:148], v[6:7], -v[8:9]
	scratch_load_b128 v[6:9], off, off offset:400
	v_add_f64_e32 v[145:146], v[153:154], v[145:146]
	v_add_f64_e32 v[157:158], v[151:152], v[157:158]
	ds_load_b128 v[151:154], v1 offset:1008
	s_wait_loadcnt_dscnt 0x901
	v_mul_f64_e32 v[163:164], v[2:3], v[12:13]
	v_mul_f64_e32 v[12:13], v[4:5], v[12:13]
	v_add_f64_e32 v[145:146], v[145:146], v[161:162]
	v_add_f64_e32 v[155:156], v[157:158], v[155:156]
	s_wait_loadcnt_dscnt 0x800
	v_mul_f64_e32 v[157:158], v[151:152], v[16:17]
	v_mul_f64_e32 v[16:17], v[153:154], v[16:17]
	v_fma_f64 v[159:160], v[4:5], v[10:11], v[163:164]
	v_fma_f64 v[161:162], v[2:3], v[10:11], -v[12:13]
	ds_load_b128 v[2:5], v1 offset:1024
	scratch_load_b128 v[10:13], off, off offset:416
	v_add_f64_e32 v[163:164], v[145:146], v[147:148]
	v_add_f64_e32 v[149:150], v[155:156], v[149:150]
	ds_load_b128 v[145:148], v1 offset:1040
	s_wait_loadcnt_dscnt 0x801
	v_mul_f64_e32 v[155:156], v[2:3], v[20:21]
	v_mul_f64_e32 v[20:21], v[4:5], v[20:21]
	v_fma_f64 v[153:154], v[153:154], v[14:15], v[157:158]
	v_fma_f64 v[151:152], v[151:152], v[14:15], -v[16:17]
	scratch_load_b128 v[14:17], off, off offset:432
	v_add_f64_e32 v[157:158], v[163:164], v[161:162]
	v_add_f64_e32 v[149:150], v[149:150], v[159:160]
	s_wait_loadcnt_dscnt 0x800
	v_mul_f64_e32 v[159:160], v[145:146], v[24:25]
	v_mul_f64_e32 v[24:25], v[147:148], v[24:25]
	v_fma_f64 v[155:156], v[4:5], v[18:19], v[155:156]
	v_fma_f64 v[161:162], v[2:3], v[18:19], -v[20:21]
	ds_load_b128 v[2:5], v1 offset:1056
	scratch_load_b128 v[18:21], off, off offset:448
	v_add_f64_e32 v[157:158], v[157:158], v[151:152]
	v_add_f64_e32 v[153:154], v[149:150], v[153:154]
	ds_load_b128 v[149:152], v1 offset:1072
	s_wait_loadcnt_dscnt 0x801
	v_mul_f64_e32 v[163:164], v[2:3], v[28:29]
	v_mul_f64_e32 v[28:29], v[4:5], v[28:29]
	v_fma_f64 v[147:148], v[147:148], v[22:23], v[159:160]
	v_fma_f64 v[145:146], v[145:146], v[22:23], -v[24:25]
	scratch_load_b128 v[22:25], off, off offset:464
	;; [unrolled: 18-line block ×4, first 2 shown]
	s_wait_loadcnt_dscnt 0x800
	v_mul_f64_e32 v[157:158], v[149:150], v[8:9]
	v_mul_f64_e32 v[8:9], v[151:152], v[8:9]
	v_add_f64_e32 v[155:156], v[155:156], v[161:162]
	v_add_f64_e32 v[153:154], v[153:154], v[159:160]
	v_fma_f64 v[159:160], v[4:5], v[42:43], v[163:164]
	v_fma_f64 v[161:162], v[2:3], v[42:43], -v[44:45]
	ds_load_b128 v[2:5], v1 offset:1152
	scratch_load_b128 v[42:45], off, off offset:544
	v_fma_f64 v[151:152], v[151:152], v[6:7], v[157:158]
	v_fma_f64 v[149:150], v[149:150], v[6:7], -v[8:9]
	scratch_load_b128 v[6:9], off, off offset:560
	v_add_f64_e32 v[155:156], v[155:156], v[145:146]
	v_add_f64_e32 v[153:154], v[153:154], v[147:148]
	ds_load_b128 v[145:148], v1 offset:1168
	s_wait_loadcnt_dscnt 0x901
	v_mul_f64_e32 v[163:164], v[2:3], v[12:13]
	v_mul_f64_e32 v[12:13], v[4:5], v[12:13]
	s_wait_loadcnt_dscnt 0x800
	v_mul_f64_e32 v[157:158], v[145:146], v[16:17]
	v_mul_f64_e32 v[16:17], v[147:148], v[16:17]
	v_add_f64_e32 v[155:156], v[155:156], v[161:162]
	v_add_f64_e32 v[153:154], v[153:154], v[159:160]
	v_fma_f64 v[159:160], v[4:5], v[10:11], v[163:164]
	v_fma_f64 v[161:162], v[2:3], v[10:11], -v[12:13]
	ds_load_b128 v[2:5], v1 offset:1184
	scratch_load_b128 v[10:13], off, off offset:576
	v_fma_f64 v[147:148], v[147:148], v[14:15], v[157:158]
	v_fma_f64 v[145:146], v[145:146], v[14:15], -v[16:17]
	scratch_load_b128 v[14:17], off, off offset:592
	v_add_f64_e32 v[155:156], v[155:156], v[149:150]
	v_add_f64_e32 v[153:154], v[153:154], v[151:152]
	ds_load_b128 v[149:152], v1 offset:1200
	s_wait_loadcnt_dscnt 0x901
	v_mul_f64_e32 v[163:164], v[2:3], v[20:21]
	v_mul_f64_e32 v[20:21], v[4:5], v[20:21]
	;; [unrolled: 18-line block ×7, first 2 shown]
	s_wait_loadcnt_dscnt 0x800
	v_mul_f64_e32 v[157:158], v[145:146], v[24:25]
	v_mul_f64_e32 v[24:25], v[147:148], v[24:25]
	v_add_f64_e32 v[155:156], v[155:156], v[161:162]
	v_add_f64_e32 v[153:154], v[153:154], v[159:160]
	v_fma_f64 v[159:160], v[4:5], v[18:19], v[163:164]
	v_fma_f64 v[161:162], v[2:3], v[18:19], -v[20:21]
	ds_load_b128 v[2:5], v1 offset:1376
	ds_load_b128 v[18:21], v1 offset:1392
	v_fma_f64 v[147:148], v[147:148], v[22:23], v[157:158]
	v_fma_f64 v[22:23], v[145:146], v[22:23], -v[24:25]
	v_add_f64_e32 v[149:150], v[155:156], v[149:150]
	v_add_f64_e32 v[151:152], v[153:154], v[151:152]
	s_wait_loadcnt_dscnt 0x701
	v_mul_f64_e32 v[153:154], v[2:3], v[28:29]
	v_mul_f64_e32 v[28:29], v[4:5], v[28:29]
	s_delay_alu instid0(VALU_DEP_4) | instskip(NEXT) | instid1(VALU_DEP_4)
	v_add_f64_e32 v[24:25], v[149:150], v[161:162]
	v_add_f64_e32 v[145:146], v[151:152], v[159:160]
	s_wait_loadcnt_dscnt 0x600
	v_mul_f64_e32 v[149:150], v[18:19], v[32:33]
	v_mul_f64_e32 v[32:33], v[20:21], v[32:33]
	v_fma_f64 v[151:152], v[4:5], v[26:27], v[153:154]
	v_fma_f64 v[26:27], v[2:3], v[26:27], -v[28:29]
	v_add_f64_e32 v[28:29], v[24:25], v[22:23]
	v_add_f64_e32 v[145:146], v[145:146], v[147:148]
	ds_load_b128 v[2:5], v1 offset:1408
	ds_load_b128 v[22:25], v1 offset:1424
	v_fma_f64 v[20:21], v[20:21], v[30:31], v[149:150]
	v_fma_f64 v[18:19], v[18:19], v[30:31], -v[32:33]
	s_wait_loadcnt_dscnt 0x501
	v_mul_f64_e32 v[147:148], v[2:3], v[36:37]
	v_mul_f64_e32 v[36:37], v[4:5], v[36:37]
	s_wait_loadcnt_dscnt 0x400
	v_mul_f64_e32 v[30:31], v[22:23], v[40:41]
	v_mul_f64_e32 v[32:33], v[24:25], v[40:41]
	v_add_f64_e32 v[26:27], v[28:29], v[26:27]
	v_add_f64_e32 v[28:29], v[145:146], v[151:152]
	v_fma_f64 v[40:41], v[4:5], v[34:35], v[147:148]
	v_fma_f64 v[34:35], v[2:3], v[34:35], -v[36:37]
	v_fma_f64 v[24:25], v[24:25], v[38:39], v[30:31]
	v_fma_f64 v[22:23], v[22:23], v[38:39], -v[32:33]
	v_add_f64_e32 v[26:27], v[26:27], v[18:19]
	v_add_f64_e32 v[28:29], v[28:29], v[20:21]
	ds_load_b128 v[2:5], v1 offset:1440
	ds_load_b128 v[18:21], v1 offset:1456
	s_wait_loadcnt_dscnt 0x301
	v_mul_f64_e32 v[36:37], v[2:3], v[44:45]
	v_mul_f64_e32 v[44:45], v[4:5], v[44:45]
	s_wait_loadcnt_dscnt 0x200
	v_mul_f64_e32 v[30:31], v[18:19], v[8:9]
	v_mul_f64_e32 v[8:9], v[20:21], v[8:9]
	v_add_f64_e32 v[26:27], v[26:27], v[34:35]
	v_add_f64_e32 v[28:29], v[28:29], v[40:41]
	v_fma_f64 v[32:33], v[4:5], v[42:43], v[36:37]
	v_fma_f64 v[34:35], v[2:3], v[42:43], -v[44:45]
	v_fma_f64 v[20:21], v[20:21], v[6:7], v[30:31]
	v_fma_f64 v[6:7], v[18:19], v[6:7], -v[8:9]
	v_add_f64_e32 v[26:27], v[26:27], v[22:23]
	v_add_f64_e32 v[28:29], v[28:29], v[24:25]
	ds_load_b128 v[2:5], v1 offset:1472
	ds_load_b128 v[22:25], v1 offset:1488
	s_wait_loadcnt_dscnt 0x101
	v_mul_f64_e32 v[36:37], v[2:3], v[12:13]
	v_mul_f64_e32 v[12:13], v[4:5], v[12:13]
	v_add_f64_e32 v[8:9], v[26:27], v[34:35]
	v_add_f64_e32 v[18:19], v[28:29], v[32:33]
	s_wait_loadcnt_dscnt 0x0
	v_mul_f64_e32 v[26:27], v[22:23], v[16:17]
	v_mul_f64_e32 v[16:17], v[24:25], v[16:17]
	v_fma_f64 v[4:5], v[4:5], v[10:11], v[36:37]
	v_fma_f64 v[1:2], v[2:3], v[10:11], -v[12:13]
	v_add_f64_e32 v[6:7], v[8:9], v[6:7]
	v_add_f64_e32 v[8:9], v[18:19], v[20:21]
	v_fma_f64 v[10:11], v[24:25], v[14:15], v[26:27]
	v_fma_f64 v[12:13], v[22:23], v[14:15], -v[16:17]
	s_delay_alu instid0(VALU_DEP_4) | instskip(NEXT) | instid1(VALU_DEP_4)
	v_add_f64_e32 v[1:2], v[6:7], v[1:2]
	v_add_f64_e32 v[3:4], v[8:9], v[4:5]
	s_delay_alu instid0(VALU_DEP_2) | instskip(NEXT) | instid1(VALU_DEP_2)
	v_add_f64_e32 v[1:2], v[1:2], v[12:13]
	v_add_f64_e32 v[3:4], v[3:4], v[10:11]
	s_delay_alu instid0(VALU_DEP_2) | instskip(NEXT) | instid1(VALU_DEP_2)
	v_add_f64_e64 v[1:2], v[141:142], -v[1:2]
	v_add_f64_e64 v[3:4], v[143:144], -v[3:4]
	scratch_store_b128 off, v[1:4], off offset:48
	v_cmpx_lt_u32_e32 1, v0
	s_cbranch_execz .LBB110_293
; %bb.292:
	scratch_load_b128 v[1:4], off, s15
	v_mov_b32_e32 v5, 0
	s_delay_alu instid0(VALU_DEP_1)
	v_dual_mov_b32 v6, v5 :: v_dual_mov_b32 v7, v5
	v_mov_b32_e32 v8, v5
	scratch_store_b128 off, v[5:8], off offset:32
	s_wait_loadcnt 0x0
	ds_store_b128 v140, v[1:4]
.LBB110_293:
	s_wait_alu 0xfffe
	s_or_b32 exec_lo, exec_lo, s0
	s_wait_storecnt_dscnt 0x0
	s_barrier_signal -1
	s_barrier_wait -1
	global_inv scope:SCOPE_SE
	s_clause 0x7
	scratch_load_b128 v[2:5], off, off offset:48
	scratch_load_b128 v[6:9], off, off offset:64
	;; [unrolled: 1-line block ×8, first 2 shown]
	v_mov_b32_e32 v1, 0
	s_mov_b32 s0, exec_lo
	ds_load_b128 v[38:41], v1 offset:784
	s_clause 0x1
	scratch_load_b128 v[34:37], off, off offset:176
	scratch_load_b128 v[42:45], off, off offset:32
	ds_load_b128 v[141:144], v1 offset:800
	scratch_load_b128 v[145:148], off, off offset:192
	s_wait_loadcnt_dscnt 0xa01
	v_mul_f64_e32 v[149:150], v[40:41], v[4:5]
	v_mul_f64_e32 v[4:5], v[38:39], v[4:5]
	s_delay_alu instid0(VALU_DEP_2) | instskip(NEXT) | instid1(VALU_DEP_2)
	v_fma_f64 v[155:156], v[38:39], v[2:3], -v[149:150]
	v_fma_f64 v[157:158], v[40:41], v[2:3], v[4:5]
	ds_load_b128 v[2:5], v1 offset:816
	s_wait_loadcnt_dscnt 0x901
	v_mul_f64_e32 v[153:154], v[141:142], v[8:9]
	v_mul_f64_e32 v[8:9], v[143:144], v[8:9]
	scratch_load_b128 v[38:41], off, off offset:208
	ds_load_b128 v[149:152], v1 offset:832
	s_wait_loadcnt_dscnt 0x901
	v_mul_f64_e32 v[159:160], v[2:3], v[12:13]
	v_mul_f64_e32 v[12:13], v[4:5], v[12:13]
	v_fma_f64 v[143:144], v[143:144], v[6:7], v[153:154]
	v_fma_f64 v[141:142], v[141:142], v[6:7], -v[8:9]
	v_add_f64_e32 v[153:154], 0, v[155:156]
	v_add_f64_e32 v[155:156], 0, v[157:158]
	scratch_load_b128 v[6:9], off, off offset:224
	v_fma_f64 v[159:160], v[4:5], v[10:11], v[159:160]
	v_fma_f64 v[161:162], v[2:3], v[10:11], -v[12:13]
	ds_load_b128 v[2:5], v1 offset:848
	s_wait_loadcnt_dscnt 0x901
	v_mul_f64_e32 v[157:158], v[149:150], v[16:17]
	v_mul_f64_e32 v[16:17], v[151:152], v[16:17]
	scratch_load_b128 v[10:13], off, off offset:240
	v_add_f64_e32 v[153:154], v[153:154], v[141:142]
	v_add_f64_e32 v[155:156], v[155:156], v[143:144]
	s_wait_loadcnt_dscnt 0x900
	v_mul_f64_e32 v[163:164], v[2:3], v[20:21]
	v_mul_f64_e32 v[20:21], v[4:5], v[20:21]
	ds_load_b128 v[141:144], v1 offset:864
	v_fma_f64 v[151:152], v[151:152], v[14:15], v[157:158]
	v_fma_f64 v[149:150], v[149:150], v[14:15], -v[16:17]
	scratch_load_b128 v[14:17], off, off offset:256
	v_add_f64_e32 v[153:154], v[153:154], v[161:162]
	v_add_f64_e32 v[155:156], v[155:156], v[159:160]
	v_fma_f64 v[159:160], v[4:5], v[18:19], v[163:164]
	v_fma_f64 v[161:162], v[2:3], v[18:19], -v[20:21]
	ds_load_b128 v[2:5], v1 offset:880
	s_wait_loadcnt_dscnt 0x901
	v_mul_f64_e32 v[157:158], v[141:142], v[24:25]
	v_mul_f64_e32 v[24:25], v[143:144], v[24:25]
	scratch_load_b128 v[18:21], off, off offset:272
	s_wait_loadcnt_dscnt 0x900
	v_mul_f64_e32 v[163:164], v[2:3], v[28:29]
	v_mul_f64_e32 v[28:29], v[4:5], v[28:29]
	v_add_f64_e32 v[153:154], v[153:154], v[149:150]
	v_add_f64_e32 v[155:156], v[155:156], v[151:152]
	ds_load_b128 v[149:152], v1 offset:896
	v_fma_f64 v[143:144], v[143:144], v[22:23], v[157:158]
	v_fma_f64 v[141:142], v[141:142], v[22:23], -v[24:25]
	scratch_load_b128 v[22:25], off, off offset:288
	v_add_f64_e32 v[153:154], v[153:154], v[161:162]
	v_add_f64_e32 v[155:156], v[155:156], v[159:160]
	v_fma_f64 v[159:160], v[4:5], v[26:27], v[163:164]
	v_fma_f64 v[161:162], v[2:3], v[26:27], -v[28:29]
	ds_load_b128 v[2:5], v1 offset:912
	s_wait_loadcnt_dscnt 0x901
	v_mul_f64_e32 v[157:158], v[149:150], v[32:33]
	v_mul_f64_e32 v[32:33], v[151:152], v[32:33]
	scratch_load_b128 v[26:29], off, off offset:304
	s_wait_loadcnt_dscnt 0x900
	v_mul_f64_e32 v[163:164], v[2:3], v[36:37]
	v_mul_f64_e32 v[36:37], v[4:5], v[36:37]
	v_add_f64_e32 v[153:154], v[153:154], v[141:142]
	v_add_f64_e32 v[155:156], v[155:156], v[143:144]
	ds_load_b128 v[141:144], v1 offset:928
	v_fma_f64 v[151:152], v[151:152], v[30:31], v[157:158]
	v_fma_f64 v[149:150], v[149:150], v[30:31], -v[32:33]
	scratch_load_b128 v[30:33], off, off offset:320
	v_add_f64_e32 v[153:154], v[153:154], v[161:162]
	v_add_f64_e32 v[155:156], v[155:156], v[159:160]
	v_fma_f64 v[161:162], v[4:5], v[34:35], v[163:164]
	v_fma_f64 v[163:164], v[2:3], v[34:35], -v[36:37]
	ds_load_b128 v[2:5], v1 offset:944
	s_wait_loadcnt_dscnt 0x801
	v_mul_f64_e32 v[157:158], v[141:142], v[147:148]
	v_mul_f64_e32 v[159:160], v[143:144], v[147:148]
	scratch_load_b128 v[34:37], off, off offset:336
	v_add_f64_e32 v[153:154], v[153:154], v[149:150]
	v_add_f64_e32 v[151:152], v[155:156], v[151:152]
	ds_load_b128 v[147:150], v1 offset:960
	v_fma_f64 v[157:158], v[143:144], v[145:146], v[157:158]
	v_fma_f64 v[145:146], v[141:142], v[145:146], -v[159:160]
	scratch_load_b128 v[141:144], off, off offset:352
	s_wait_loadcnt_dscnt 0x901
	v_mul_f64_e32 v[155:156], v[2:3], v[40:41]
	v_mul_f64_e32 v[40:41], v[4:5], v[40:41]
	v_add_f64_e32 v[153:154], v[153:154], v[163:164]
	v_add_f64_e32 v[151:152], v[151:152], v[161:162]
	s_delay_alu instid0(VALU_DEP_4) | instskip(NEXT) | instid1(VALU_DEP_4)
	v_fma_f64 v[155:156], v[4:5], v[38:39], v[155:156]
	v_fma_f64 v[161:162], v[2:3], v[38:39], -v[40:41]
	ds_load_b128 v[2:5], v1 offset:976
	s_wait_loadcnt_dscnt 0x801
	v_mul_f64_e32 v[159:160], v[147:148], v[8:9]
	v_mul_f64_e32 v[8:9], v[149:150], v[8:9]
	scratch_load_b128 v[38:41], off, off offset:368
	s_wait_loadcnt_dscnt 0x800
	v_mul_f64_e32 v[163:164], v[2:3], v[12:13]
	v_add_f64_e32 v[145:146], v[153:154], v[145:146]
	v_add_f64_e32 v[157:158], v[151:152], v[157:158]
	v_mul_f64_e32 v[12:13], v[4:5], v[12:13]
	ds_load_b128 v[151:154], v1 offset:992
	v_fma_f64 v[149:150], v[149:150], v[6:7], v[159:160]
	v_fma_f64 v[147:148], v[147:148], v[6:7], -v[8:9]
	scratch_load_b128 v[6:9], off, off offset:384
	v_fma_f64 v[159:160], v[4:5], v[10:11], v[163:164]
	v_add_f64_e32 v[145:146], v[145:146], v[161:162]
	v_add_f64_e32 v[155:156], v[157:158], v[155:156]
	v_fma_f64 v[161:162], v[2:3], v[10:11], -v[12:13]
	ds_load_b128 v[2:5], v1 offset:1008
	s_wait_loadcnt_dscnt 0x801
	v_mul_f64_e32 v[157:158], v[151:152], v[16:17]
	v_mul_f64_e32 v[16:17], v[153:154], v[16:17]
	scratch_load_b128 v[10:13], off, off offset:400
	v_add_f64_e32 v[163:164], v[145:146], v[147:148]
	v_add_f64_e32 v[149:150], v[155:156], v[149:150]
	s_wait_loadcnt_dscnt 0x800
	v_mul_f64_e32 v[155:156], v[2:3], v[20:21]
	v_mul_f64_e32 v[20:21], v[4:5], v[20:21]
	v_fma_f64 v[153:154], v[153:154], v[14:15], v[157:158]
	v_fma_f64 v[151:152], v[151:152], v[14:15], -v[16:17]
	ds_load_b128 v[145:148], v1 offset:1024
	scratch_load_b128 v[14:17], off, off offset:416
	v_add_f64_e32 v[157:158], v[163:164], v[161:162]
	v_add_f64_e32 v[149:150], v[149:150], v[159:160]
	v_fma_f64 v[155:156], v[4:5], v[18:19], v[155:156]
	v_fma_f64 v[161:162], v[2:3], v[18:19], -v[20:21]
	ds_load_b128 v[2:5], v1 offset:1040
	s_wait_loadcnt_dscnt 0x801
	v_mul_f64_e32 v[159:160], v[145:146], v[24:25]
	v_mul_f64_e32 v[24:25], v[147:148], v[24:25]
	scratch_load_b128 v[18:21], off, off offset:432
	s_wait_loadcnt_dscnt 0x800
	v_mul_f64_e32 v[163:164], v[2:3], v[28:29]
	v_mul_f64_e32 v[28:29], v[4:5], v[28:29]
	v_add_f64_e32 v[157:158], v[157:158], v[151:152]
	v_add_f64_e32 v[153:154], v[149:150], v[153:154]
	ds_load_b128 v[149:152], v1 offset:1056
	v_fma_f64 v[147:148], v[147:148], v[22:23], v[159:160]
	v_fma_f64 v[145:146], v[145:146], v[22:23], -v[24:25]
	scratch_load_b128 v[22:25], off, off offset:448
	v_fma_f64 v[159:160], v[4:5], v[26:27], v[163:164]
	v_add_f64_e32 v[157:158], v[157:158], v[161:162]
	v_add_f64_e32 v[153:154], v[153:154], v[155:156]
	v_fma_f64 v[161:162], v[2:3], v[26:27], -v[28:29]
	ds_load_b128 v[2:5], v1 offset:1072
	s_wait_loadcnt_dscnt 0x801
	v_mul_f64_e32 v[155:156], v[149:150], v[32:33]
	v_mul_f64_e32 v[32:33], v[151:152], v[32:33]
	scratch_load_b128 v[26:29], off, off offset:464
	s_wait_loadcnt_dscnt 0x800
	v_mul_f64_e32 v[163:164], v[2:3], v[36:37]
	v_mul_f64_e32 v[36:37], v[4:5], v[36:37]
	v_add_f64_e32 v[157:158], v[157:158], v[145:146]
	v_add_f64_e32 v[153:154], v[153:154], v[147:148]
	ds_load_b128 v[145:148], v1 offset:1088
	v_fma_f64 v[151:152], v[151:152], v[30:31], v[155:156]
	v_fma_f64 v[149:150], v[149:150], v[30:31], -v[32:33]
	scratch_load_b128 v[30:33], off, off offset:480
	v_add_f64_e32 v[155:156], v[157:158], v[161:162]
	v_add_f64_e32 v[153:154], v[153:154], v[159:160]
	v_fma_f64 v[159:160], v[4:5], v[34:35], v[163:164]
	v_fma_f64 v[161:162], v[2:3], v[34:35], -v[36:37]
	ds_load_b128 v[2:5], v1 offset:1104
	s_wait_loadcnt_dscnt 0x801
	v_mul_f64_e32 v[157:158], v[145:146], v[143:144]
	v_mul_f64_e32 v[143:144], v[147:148], v[143:144]
	scratch_load_b128 v[34:37], off, off offset:496
	s_wait_loadcnt_dscnt 0x800
	v_mul_f64_e32 v[163:164], v[2:3], v[40:41]
	v_mul_f64_e32 v[40:41], v[4:5], v[40:41]
	v_add_f64_e32 v[155:156], v[155:156], v[149:150]
	v_add_f64_e32 v[153:154], v[153:154], v[151:152]
	ds_load_b128 v[149:152], v1 offset:1120
	v_fma_f64 v[147:148], v[147:148], v[141:142], v[157:158]
	v_fma_f64 v[145:146], v[145:146], v[141:142], -v[143:144]
	scratch_load_b128 v[141:144], off, off offset:512
	v_add_f64_e32 v[155:156], v[155:156], v[161:162]
	v_add_f64_e32 v[153:154], v[153:154], v[159:160]
	v_fma_f64 v[159:160], v[4:5], v[38:39], v[163:164]
	v_fma_f64 v[161:162], v[2:3], v[38:39], -v[40:41]
	ds_load_b128 v[2:5], v1 offset:1136
	s_wait_loadcnt_dscnt 0x801
	v_mul_f64_e32 v[157:158], v[149:150], v[8:9]
	v_mul_f64_e32 v[8:9], v[151:152], v[8:9]
	scratch_load_b128 v[38:41], off, off offset:528
	s_wait_loadcnt_dscnt 0x800
	v_mul_f64_e32 v[163:164], v[2:3], v[12:13]
	v_mul_f64_e32 v[12:13], v[4:5], v[12:13]
	v_add_f64_e32 v[155:156], v[155:156], v[145:146]
	v_add_f64_e32 v[153:154], v[153:154], v[147:148]
	ds_load_b128 v[145:148], v1 offset:1152
	v_fma_f64 v[151:152], v[151:152], v[6:7], v[157:158]
	v_fma_f64 v[149:150], v[149:150], v[6:7], -v[8:9]
	scratch_load_b128 v[6:9], off, off offset:544
	v_add_f64_e32 v[155:156], v[155:156], v[161:162]
	v_add_f64_e32 v[153:154], v[153:154], v[159:160]
	v_fma_f64 v[159:160], v[4:5], v[10:11], v[163:164]
	v_fma_f64 v[161:162], v[2:3], v[10:11], -v[12:13]
	ds_load_b128 v[2:5], v1 offset:1168
	s_wait_loadcnt_dscnt 0x801
	v_mul_f64_e32 v[157:158], v[145:146], v[16:17]
	v_mul_f64_e32 v[16:17], v[147:148], v[16:17]
	scratch_load_b128 v[10:13], off, off offset:560
	s_wait_loadcnt_dscnt 0x800
	v_mul_f64_e32 v[163:164], v[2:3], v[20:21]
	v_mul_f64_e32 v[20:21], v[4:5], v[20:21]
	v_add_f64_e32 v[155:156], v[155:156], v[149:150]
	v_add_f64_e32 v[153:154], v[153:154], v[151:152]
	ds_load_b128 v[149:152], v1 offset:1184
	v_fma_f64 v[147:148], v[147:148], v[14:15], v[157:158]
	v_fma_f64 v[145:146], v[145:146], v[14:15], -v[16:17]
	scratch_load_b128 v[14:17], off, off offset:576
	v_add_f64_e32 v[155:156], v[155:156], v[161:162]
	v_add_f64_e32 v[153:154], v[153:154], v[159:160]
	v_fma_f64 v[159:160], v[4:5], v[18:19], v[163:164]
	v_fma_f64 v[161:162], v[2:3], v[18:19], -v[20:21]
	ds_load_b128 v[2:5], v1 offset:1200
	s_wait_loadcnt_dscnt 0x801
	v_mul_f64_e32 v[157:158], v[149:150], v[24:25]
	v_mul_f64_e32 v[24:25], v[151:152], v[24:25]
	scratch_load_b128 v[18:21], off, off offset:592
	s_wait_loadcnt_dscnt 0x800
	v_mul_f64_e32 v[163:164], v[2:3], v[28:29]
	v_mul_f64_e32 v[28:29], v[4:5], v[28:29]
	v_add_f64_e32 v[155:156], v[155:156], v[145:146]
	v_add_f64_e32 v[153:154], v[153:154], v[147:148]
	ds_load_b128 v[145:148], v1 offset:1216
	v_fma_f64 v[151:152], v[151:152], v[22:23], v[157:158]
	v_fma_f64 v[149:150], v[149:150], v[22:23], -v[24:25]
	scratch_load_b128 v[22:25], off, off offset:608
	v_add_f64_e32 v[155:156], v[155:156], v[161:162]
	v_add_f64_e32 v[153:154], v[153:154], v[159:160]
	v_fma_f64 v[159:160], v[4:5], v[26:27], v[163:164]
	v_fma_f64 v[161:162], v[2:3], v[26:27], -v[28:29]
	ds_load_b128 v[2:5], v1 offset:1232
	s_wait_loadcnt_dscnt 0x801
	v_mul_f64_e32 v[157:158], v[145:146], v[32:33]
	v_mul_f64_e32 v[32:33], v[147:148], v[32:33]
	scratch_load_b128 v[26:29], off, off offset:624
	s_wait_loadcnt_dscnt 0x800
	v_mul_f64_e32 v[163:164], v[2:3], v[36:37]
	v_mul_f64_e32 v[36:37], v[4:5], v[36:37]
	v_add_f64_e32 v[155:156], v[155:156], v[149:150]
	v_add_f64_e32 v[153:154], v[153:154], v[151:152]
	ds_load_b128 v[149:152], v1 offset:1248
	v_fma_f64 v[147:148], v[147:148], v[30:31], v[157:158]
	v_fma_f64 v[145:146], v[145:146], v[30:31], -v[32:33]
	scratch_load_b128 v[30:33], off, off offset:640
	v_add_f64_e32 v[155:156], v[155:156], v[161:162]
	v_add_f64_e32 v[153:154], v[153:154], v[159:160]
	v_fma_f64 v[161:162], v[4:5], v[34:35], v[163:164]
	v_fma_f64 v[163:164], v[2:3], v[34:35], -v[36:37]
	ds_load_b128 v[2:5], v1 offset:1264
	s_wait_loadcnt_dscnt 0x801
	v_mul_f64_e32 v[157:158], v[149:150], v[143:144]
	v_mul_f64_e32 v[159:160], v[151:152], v[143:144]
	scratch_load_b128 v[34:37], off, off offset:656
	v_add_f64_e32 v[155:156], v[155:156], v[145:146]
	v_add_f64_e32 v[147:148], v[153:154], v[147:148]
	s_wait_loadcnt_dscnt 0x800
	v_mul_f64_e32 v[153:154], v[2:3], v[40:41]
	v_mul_f64_e32 v[40:41], v[4:5], v[40:41]
	ds_load_b128 v[143:146], v1 offset:1280
	v_fma_f64 v[151:152], v[151:152], v[141:142], v[157:158]
	v_fma_f64 v[141:142], v[149:150], v[141:142], -v[159:160]
	v_add_f64_e32 v[155:156], v[155:156], v[163:164]
	v_add_f64_e32 v[157:158], v[147:148], v[161:162]
	scratch_load_b128 v[147:150], off, off offset:672
	v_fma_f64 v[161:162], v[4:5], v[38:39], v[153:154]
	v_fma_f64 v[163:164], v[2:3], v[38:39], -v[40:41]
	ds_load_b128 v[2:5], v1 offset:1296
	s_wait_loadcnt_dscnt 0x801
	v_mul_f64_e32 v[159:160], v[143:144], v[8:9]
	v_mul_f64_e32 v[8:9], v[145:146], v[8:9]
	scratch_load_b128 v[38:41], off, off offset:688
	v_add_f64_e32 v[141:142], v[155:156], v[141:142]
	v_add_f64_e32 v[155:156], v[157:158], v[151:152]
	s_wait_loadcnt_dscnt 0x800
	v_mul_f64_e32 v[157:158], v[2:3], v[12:13]
	v_mul_f64_e32 v[12:13], v[4:5], v[12:13]
	ds_load_b128 v[151:154], v1 offset:1312
	v_fma_f64 v[145:146], v[145:146], v[6:7], v[159:160]
	v_fma_f64 v[143:144], v[143:144], v[6:7], -v[8:9]
	scratch_load_b128 v[6:9], off, off offset:704
	v_add_f64_e32 v[141:142], v[141:142], v[163:164]
	v_add_f64_e32 v[155:156], v[155:156], v[161:162]
	v_fma_f64 v[157:158], v[4:5], v[10:11], v[157:158]
	v_fma_f64 v[161:162], v[2:3], v[10:11], -v[12:13]
	ds_load_b128 v[2:5], v1 offset:1328
	s_wait_loadcnt_dscnt 0x801
	v_mul_f64_e32 v[159:160], v[151:152], v[16:17]
	v_mul_f64_e32 v[16:17], v[153:154], v[16:17]
	scratch_load_b128 v[10:13], off, off offset:720
	v_add_f64_e32 v[163:164], v[141:142], v[143:144]
	v_add_f64_e32 v[145:146], v[155:156], v[145:146]
	s_wait_loadcnt_dscnt 0x800
	v_mul_f64_e32 v[155:156], v[2:3], v[20:21]
	v_mul_f64_e32 v[20:21], v[4:5], v[20:21]
	ds_load_b128 v[141:144], v1 offset:1344
	v_fma_f64 v[153:154], v[153:154], v[14:15], v[159:160]
	v_fma_f64 v[151:152], v[151:152], v[14:15], -v[16:17]
	scratch_load_b128 v[14:17], off, off offset:736
	v_add_f64_e32 v[159:160], v[163:164], v[161:162]
	v_add_f64_e32 v[145:146], v[145:146], v[157:158]
	v_fma_f64 v[155:156], v[4:5], v[18:19], v[155:156]
	v_fma_f64 v[161:162], v[2:3], v[18:19], -v[20:21]
	ds_load_b128 v[2:5], v1 offset:1360
	s_wait_loadcnt_dscnt 0x801
	v_mul_f64_e32 v[157:158], v[141:142], v[24:25]
	v_mul_f64_e32 v[24:25], v[143:144], v[24:25]
	scratch_load_b128 v[18:21], off, off offset:752
	s_wait_loadcnt_dscnt 0x800
	v_mul_f64_e32 v[163:164], v[2:3], v[28:29]
	v_mul_f64_e32 v[28:29], v[4:5], v[28:29]
	v_add_f64_e32 v[159:160], v[159:160], v[151:152]
	v_add_f64_e32 v[145:146], v[145:146], v[153:154]
	ds_load_b128 v[151:154], v1 offset:1376
	v_fma_f64 v[143:144], v[143:144], v[22:23], v[157:158]
	v_fma_f64 v[22:23], v[141:142], v[22:23], -v[24:25]
	v_add_f64_e32 v[24:25], v[159:160], v[161:162]
	v_add_f64_e32 v[141:142], v[145:146], v[155:156]
	s_wait_loadcnt_dscnt 0x700
	v_mul_f64_e32 v[145:146], v[151:152], v[32:33]
	v_mul_f64_e32 v[32:33], v[153:154], v[32:33]
	v_fma_f64 v[155:156], v[4:5], v[26:27], v[163:164]
	v_fma_f64 v[26:27], v[2:3], v[26:27], -v[28:29]
	v_add_f64_e32 v[28:29], v[24:25], v[22:23]
	v_add_f64_e32 v[141:142], v[141:142], v[143:144]
	ds_load_b128 v[2:5], v1 offset:1392
	ds_load_b128 v[22:25], v1 offset:1408
	v_fma_f64 v[145:146], v[153:154], v[30:31], v[145:146]
	v_fma_f64 v[30:31], v[151:152], v[30:31], -v[32:33]
	s_wait_loadcnt_dscnt 0x601
	v_mul_f64_e32 v[143:144], v[2:3], v[36:37]
	v_mul_f64_e32 v[36:37], v[4:5], v[36:37]
	v_add_f64_e32 v[26:27], v[28:29], v[26:27]
	v_add_f64_e32 v[28:29], v[141:142], v[155:156]
	s_wait_loadcnt_dscnt 0x500
	v_mul_f64_e32 v[32:33], v[22:23], v[149:150]
	v_mul_f64_e32 v[141:142], v[24:25], v[149:150]
	v_fma_f64 v[143:144], v[4:5], v[34:35], v[143:144]
	v_fma_f64 v[34:35], v[2:3], v[34:35], -v[36:37]
	v_add_f64_e32 v[30:31], v[26:27], v[30:31]
	v_add_f64_e32 v[36:37], v[28:29], v[145:146]
	ds_load_b128 v[2:5], v1 offset:1424
	ds_load_b128 v[26:29], v1 offset:1440
	v_fma_f64 v[24:25], v[24:25], v[147:148], v[32:33]
	v_fma_f64 v[22:23], v[22:23], v[147:148], -v[141:142]
	s_wait_loadcnt_dscnt 0x401
	v_mul_f64_e32 v[145:146], v[2:3], v[40:41]
	v_mul_f64_e32 v[40:41], v[4:5], v[40:41]
	;; [unrolled: 16-line block ×3, first 2 shown]
	v_add_f64_e32 v[8:9], v[30:31], v[38:39]
	v_add_f64_e32 v[26:27], v[32:33], v[36:37]
	s_wait_loadcnt_dscnt 0x100
	v_mul_f64_e32 v[30:31], v[22:23], v[16:17]
	v_mul_f64_e32 v[16:17], v[24:25], v[16:17]
	v_fma_f64 v[32:33], v[4:5], v[10:11], v[40:41]
	v_fma_f64 v[10:11], v[2:3], v[10:11], -v[12:13]
	ds_load_b128 v[2:5], v1 offset:1488
	v_add_f64_e32 v[6:7], v[8:9], v[6:7]
	v_add_f64_e32 v[8:9], v[26:27], v[28:29]
	v_fma_f64 v[24:25], v[24:25], v[14:15], v[30:31]
	v_fma_f64 v[14:15], v[22:23], v[14:15], -v[16:17]
	s_wait_loadcnt_dscnt 0x0
	v_mul_f64_e32 v[12:13], v[2:3], v[20:21]
	v_mul_f64_e32 v[20:21], v[4:5], v[20:21]
	v_add_f64_e32 v[6:7], v[6:7], v[10:11]
	v_add_f64_e32 v[8:9], v[8:9], v[32:33]
	s_delay_alu instid0(VALU_DEP_4) | instskip(NEXT) | instid1(VALU_DEP_4)
	v_fma_f64 v[4:5], v[4:5], v[18:19], v[12:13]
	v_fma_f64 v[2:3], v[2:3], v[18:19], -v[20:21]
	s_delay_alu instid0(VALU_DEP_4) | instskip(NEXT) | instid1(VALU_DEP_4)
	v_add_f64_e32 v[6:7], v[6:7], v[14:15]
	v_add_f64_e32 v[8:9], v[8:9], v[24:25]
	s_delay_alu instid0(VALU_DEP_2) | instskip(NEXT) | instid1(VALU_DEP_2)
	v_add_f64_e32 v[2:3], v[6:7], v[2:3]
	v_add_f64_e32 v[4:5], v[8:9], v[4:5]
	s_delay_alu instid0(VALU_DEP_2) | instskip(NEXT) | instid1(VALU_DEP_2)
	v_add_f64_e64 v[2:3], v[42:43], -v[2:3]
	v_add_f64_e64 v[4:5], v[44:45], -v[4:5]
	scratch_store_b128 off, v[2:5], off offset:32
	v_cmpx_ne_u32_e32 0, v0
	s_cbranch_execz .LBB110_295
; %bb.294:
	scratch_load_b128 v[5:8], off, off offset:16
	v_dual_mov_b32 v2, v1 :: v_dual_mov_b32 v3, v1
	v_mov_b32_e32 v4, v1
	scratch_store_b128 off, v[1:4], off offset:16
	s_wait_loadcnt 0x0
	ds_store_b128 v140, v[5:8]
.LBB110_295:
	s_wait_alu 0xfffe
	s_or_b32 exec_lo, exec_lo, s0
	s_wait_storecnt_dscnt 0x0
	s_barrier_signal -1
	s_barrier_wait -1
	global_inv scope:SCOPE_SE
	s_clause 0x8
	scratch_load_b128 v[2:5], off, off offset:32
	scratch_load_b128 v[6:9], off, off offset:48
	;; [unrolled: 1-line block ×9, first 2 shown]
	ds_load_b128 v[42:45], v1 offset:768
	ds_load_b128 v[38:41], v1 offset:784
	s_clause 0x1
	scratch_load_b128 v[140:143], off, off offset:16
	scratch_load_b128 v[144:147], off, off offset:176
	s_and_b32 vcc_lo, exec_lo, s12
	s_wait_loadcnt_dscnt 0xa01
	v_mul_f64_e32 v[148:149], v[44:45], v[4:5]
	v_mul_f64_e32 v[4:5], v[42:43], v[4:5]
	s_wait_loadcnt_dscnt 0x900
	v_mul_f64_e32 v[152:153], v[38:39], v[8:9]
	v_mul_f64_e32 v[8:9], v[40:41], v[8:9]
	s_delay_alu instid0(VALU_DEP_4) | instskip(NEXT) | instid1(VALU_DEP_4)
	v_fma_f64 v[154:155], v[42:43], v[2:3], -v[148:149]
	v_fma_f64 v[156:157], v[44:45], v[2:3], v[4:5]
	ds_load_b128 v[2:5], v1 offset:800
	ds_load_b128 v[148:151], v1 offset:816
	scratch_load_b128 v[42:45], off, off offset:192
	v_fma_f64 v[40:41], v[40:41], v[6:7], v[152:153]
	v_fma_f64 v[38:39], v[38:39], v[6:7], -v[8:9]
	scratch_load_b128 v[6:9], off, off offset:208
	s_wait_loadcnt_dscnt 0xa01
	v_mul_f64_e32 v[158:159], v[2:3], v[12:13]
	v_mul_f64_e32 v[12:13], v[4:5], v[12:13]
	v_add_f64_e32 v[152:153], 0, v[154:155]
	v_add_f64_e32 v[154:155], 0, v[156:157]
	s_wait_loadcnt_dscnt 0x900
	v_mul_f64_e32 v[156:157], v[148:149], v[16:17]
	v_mul_f64_e32 v[16:17], v[150:151], v[16:17]
	v_fma_f64 v[158:159], v[4:5], v[10:11], v[158:159]
	v_fma_f64 v[160:161], v[2:3], v[10:11], -v[12:13]
	ds_load_b128 v[2:5], v1 offset:832
	scratch_load_b128 v[10:13], off, off offset:224
	v_add_f64_e32 v[152:153], v[152:153], v[38:39]
	v_add_f64_e32 v[154:155], v[154:155], v[40:41]
	ds_load_b128 v[38:41], v1 offset:848
	v_fma_f64 v[150:151], v[150:151], v[14:15], v[156:157]
	v_fma_f64 v[148:149], v[148:149], v[14:15], -v[16:17]
	scratch_load_b128 v[14:17], off, off offset:240
	s_wait_loadcnt_dscnt 0xa01
	v_mul_f64_e32 v[162:163], v[2:3], v[20:21]
	v_mul_f64_e32 v[20:21], v[4:5], v[20:21]
	s_wait_loadcnt_dscnt 0x900
	v_mul_f64_e32 v[156:157], v[38:39], v[24:25]
	v_mul_f64_e32 v[24:25], v[40:41], v[24:25]
	v_add_f64_e32 v[152:153], v[152:153], v[160:161]
	v_add_f64_e32 v[154:155], v[154:155], v[158:159]
	v_fma_f64 v[158:159], v[4:5], v[18:19], v[162:163]
	v_fma_f64 v[160:161], v[2:3], v[18:19], -v[20:21]
	ds_load_b128 v[2:5], v1 offset:864
	scratch_load_b128 v[18:21], off, off offset:256
	v_fma_f64 v[40:41], v[40:41], v[22:23], v[156:157]
	v_fma_f64 v[38:39], v[38:39], v[22:23], -v[24:25]
	scratch_load_b128 v[22:25], off, off offset:272
	v_add_f64_e32 v[152:153], v[152:153], v[148:149]
	v_add_f64_e32 v[154:155], v[154:155], v[150:151]
	ds_load_b128 v[148:151], v1 offset:880
	s_wait_loadcnt_dscnt 0xa01
	v_mul_f64_e32 v[162:163], v[2:3], v[28:29]
	v_mul_f64_e32 v[28:29], v[4:5], v[28:29]
	s_wait_loadcnt_dscnt 0x900
	v_mul_f64_e32 v[156:157], v[148:149], v[32:33]
	v_mul_f64_e32 v[32:33], v[150:151], v[32:33]
	v_add_f64_e32 v[152:153], v[152:153], v[160:161]
	v_add_f64_e32 v[154:155], v[154:155], v[158:159]
	v_fma_f64 v[158:159], v[4:5], v[26:27], v[162:163]
	v_fma_f64 v[160:161], v[2:3], v[26:27], -v[28:29]
	ds_load_b128 v[2:5], v1 offset:896
	scratch_load_b128 v[26:29], off, off offset:288
	v_fma_f64 v[150:151], v[150:151], v[30:31], v[156:157]
	v_fma_f64 v[148:149], v[148:149], v[30:31], -v[32:33]
	scratch_load_b128 v[30:33], off, off offset:304
	v_add_f64_e32 v[152:153], v[152:153], v[38:39]
	v_add_f64_e32 v[154:155], v[154:155], v[40:41]
	ds_load_b128 v[38:41], v1 offset:912
	s_wait_loadcnt_dscnt 0xa01
	v_mul_f64_e32 v[162:163], v[2:3], v[36:37]
	v_mul_f64_e32 v[36:37], v[4:5], v[36:37]
	s_wait_loadcnt_dscnt 0x800
	v_mul_f64_e32 v[156:157], v[38:39], v[146:147]
	v_add_f64_e32 v[152:153], v[152:153], v[160:161]
	v_add_f64_e32 v[154:155], v[154:155], v[158:159]
	v_mul_f64_e32 v[158:159], v[40:41], v[146:147]
	v_fma_f64 v[160:161], v[4:5], v[34:35], v[162:163]
	v_fma_f64 v[162:163], v[2:3], v[34:35], -v[36:37]
	ds_load_b128 v[2:5], v1 offset:928
	scratch_load_b128 v[34:37], off, off offset:320
	v_fma_f64 v[156:157], v[40:41], v[144:145], v[156:157]
	v_add_f64_e32 v[152:153], v[152:153], v[148:149]
	v_add_f64_e32 v[150:151], v[154:155], v[150:151]
	ds_load_b128 v[146:149], v1 offset:944
	v_fma_f64 v[144:145], v[38:39], v[144:145], -v[158:159]
	scratch_load_b128 v[38:41], off, off offset:336
	s_wait_loadcnt_dscnt 0x901
	v_mul_f64_e32 v[154:155], v[2:3], v[44:45]
	v_mul_f64_e32 v[44:45], v[4:5], v[44:45]
	s_wait_loadcnt_dscnt 0x800
	v_mul_f64_e32 v[158:159], v[146:147], v[8:9]
	v_mul_f64_e32 v[8:9], v[148:149], v[8:9]
	v_add_f64_e32 v[152:153], v[152:153], v[162:163]
	v_add_f64_e32 v[150:151], v[150:151], v[160:161]
	v_fma_f64 v[154:155], v[4:5], v[42:43], v[154:155]
	v_fma_f64 v[160:161], v[2:3], v[42:43], -v[44:45]
	ds_load_b128 v[2:5], v1 offset:960
	scratch_load_b128 v[42:45], off, off offset:352
	v_fma_f64 v[148:149], v[148:149], v[6:7], v[158:159]
	v_fma_f64 v[146:147], v[146:147], v[6:7], -v[8:9]
	scratch_load_b128 v[6:9], off, off offset:368
	v_add_f64_e32 v[144:145], v[152:153], v[144:145]
	v_add_f64_e32 v[156:157], v[150:151], v[156:157]
	ds_load_b128 v[150:153], v1 offset:976
	s_wait_loadcnt_dscnt 0x901
	v_mul_f64_e32 v[162:163], v[2:3], v[12:13]
	v_mul_f64_e32 v[12:13], v[4:5], v[12:13]
	v_add_f64_e32 v[144:145], v[144:145], v[160:161]
	v_add_f64_e32 v[154:155], v[156:157], v[154:155]
	s_wait_loadcnt_dscnt 0x800
	v_mul_f64_e32 v[156:157], v[150:151], v[16:17]
	v_mul_f64_e32 v[16:17], v[152:153], v[16:17]
	v_fma_f64 v[158:159], v[4:5], v[10:11], v[162:163]
	v_fma_f64 v[160:161], v[2:3], v[10:11], -v[12:13]
	ds_load_b128 v[2:5], v1 offset:992
	scratch_load_b128 v[10:13], off, off offset:384
	v_add_f64_e32 v[162:163], v[144:145], v[146:147]
	v_add_f64_e32 v[148:149], v[154:155], v[148:149]
	ds_load_b128 v[144:147], v1 offset:1008
	s_wait_loadcnt_dscnt 0x801
	v_mul_f64_e32 v[154:155], v[2:3], v[20:21]
	v_mul_f64_e32 v[20:21], v[4:5], v[20:21]
	v_fma_f64 v[152:153], v[152:153], v[14:15], v[156:157]
	v_fma_f64 v[150:151], v[150:151], v[14:15], -v[16:17]
	scratch_load_b128 v[14:17], off, off offset:400
	v_add_f64_e32 v[156:157], v[162:163], v[160:161]
	v_add_f64_e32 v[148:149], v[148:149], v[158:159]
	s_wait_loadcnt_dscnt 0x800
	v_mul_f64_e32 v[158:159], v[144:145], v[24:25]
	v_mul_f64_e32 v[24:25], v[146:147], v[24:25]
	v_fma_f64 v[154:155], v[4:5], v[18:19], v[154:155]
	v_fma_f64 v[160:161], v[2:3], v[18:19], -v[20:21]
	ds_load_b128 v[2:5], v1 offset:1024
	scratch_load_b128 v[18:21], off, off offset:416
	v_add_f64_e32 v[156:157], v[156:157], v[150:151]
	v_add_f64_e32 v[152:153], v[148:149], v[152:153]
	ds_load_b128 v[148:151], v1 offset:1040
	s_wait_loadcnt_dscnt 0x801
	v_mul_f64_e32 v[162:163], v[2:3], v[28:29]
	v_mul_f64_e32 v[28:29], v[4:5], v[28:29]
	v_fma_f64 v[146:147], v[146:147], v[22:23], v[158:159]
	v_fma_f64 v[144:145], v[144:145], v[22:23], -v[24:25]
	scratch_load_b128 v[22:25], off, off offset:432
	;; [unrolled: 18-line block ×4, first 2 shown]
	s_wait_loadcnt_dscnt 0x800
	v_mul_f64_e32 v[156:157], v[148:149], v[8:9]
	v_mul_f64_e32 v[8:9], v[150:151], v[8:9]
	v_add_f64_e32 v[154:155], v[154:155], v[160:161]
	v_add_f64_e32 v[152:153], v[152:153], v[158:159]
	v_fma_f64 v[158:159], v[4:5], v[42:43], v[162:163]
	v_fma_f64 v[160:161], v[2:3], v[42:43], -v[44:45]
	ds_load_b128 v[2:5], v1 offset:1120
	scratch_load_b128 v[42:45], off, off offset:512
	v_fma_f64 v[150:151], v[150:151], v[6:7], v[156:157]
	v_fma_f64 v[148:149], v[148:149], v[6:7], -v[8:9]
	scratch_load_b128 v[6:9], off, off offset:528
	v_add_f64_e32 v[154:155], v[154:155], v[144:145]
	v_add_f64_e32 v[152:153], v[152:153], v[146:147]
	ds_load_b128 v[144:147], v1 offset:1136
	s_wait_loadcnt_dscnt 0x901
	v_mul_f64_e32 v[162:163], v[2:3], v[12:13]
	v_mul_f64_e32 v[12:13], v[4:5], v[12:13]
	s_wait_loadcnt_dscnt 0x800
	v_mul_f64_e32 v[156:157], v[144:145], v[16:17]
	v_mul_f64_e32 v[16:17], v[146:147], v[16:17]
	v_add_f64_e32 v[154:155], v[154:155], v[160:161]
	v_add_f64_e32 v[152:153], v[152:153], v[158:159]
	v_fma_f64 v[158:159], v[4:5], v[10:11], v[162:163]
	v_fma_f64 v[160:161], v[2:3], v[10:11], -v[12:13]
	ds_load_b128 v[2:5], v1 offset:1152
	scratch_load_b128 v[10:13], off, off offset:544
	v_fma_f64 v[146:147], v[146:147], v[14:15], v[156:157]
	v_fma_f64 v[144:145], v[144:145], v[14:15], -v[16:17]
	scratch_load_b128 v[14:17], off, off offset:560
	v_add_f64_e32 v[154:155], v[154:155], v[148:149]
	v_add_f64_e32 v[152:153], v[152:153], v[150:151]
	ds_load_b128 v[148:151], v1 offset:1168
	s_wait_loadcnt_dscnt 0x901
	v_mul_f64_e32 v[162:163], v[2:3], v[20:21]
	v_mul_f64_e32 v[20:21], v[4:5], v[20:21]
	;; [unrolled: 18-line block ×8, first 2 shown]
	s_wait_loadcnt_dscnt 0x800
	v_mul_f64_e32 v[156:157], v[148:149], v[32:33]
	v_mul_f64_e32 v[32:33], v[150:151], v[32:33]
	v_add_f64_e32 v[154:155], v[154:155], v[160:161]
	v_add_f64_e32 v[152:153], v[152:153], v[158:159]
	v_fma_f64 v[158:159], v[4:5], v[26:27], v[162:163]
	v_fma_f64 v[160:161], v[2:3], v[26:27], -v[28:29]
	ds_load_b128 v[2:5], v1 offset:1376
	ds_load_b128 v[26:29], v1 offset:1392
	v_fma_f64 v[150:151], v[150:151], v[30:31], v[156:157]
	v_fma_f64 v[30:31], v[148:149], v[30:31], -v[32:33]
	v_add_f64_e32 v[144:145], v[154:155], v[144:145]
	v_add_f64_e32 v[146:147], v[152:153], v[146:147]
	s_wait_loadcnt_dscnt 0x701
	v_mul_f64_e32 v[152:153], v[2:3], v[36:37]
	v_mul_f64_e32 v[36:37], v[4:5], v[36:37]
	s_delay_alu instid0(VALU_DEP_4) | instskip(NEXT) | instid1(VALU_DEP_4)
	v_add_f64_e32 v[32:33], v[144:145], v[160:161]
	v_add_f64_e32 v[144:145], v[146:147], v[158:159]
	s_wait_loadcnt_dscnt 0x600
	v_mul_f64_e32 v[146:147], v[26:27], v[40:41]
	v_mul_f64_e32 v[40:41], v[28:29], v[40:41]
	v_fma_f64 v[148:149], v[4:5], v[34:35], v[152:153]
	v_fma_f64 v[34:35], v[2:3], v[34:35], -v[36:37]
	v_add_f64_e32 v[36:37], v[32:33], v[30:31]
	v_add_f64_e32 v[144:145], v[144:145], v[150:151]
	ds_load_b128 v[2:5], v1 offset:1408
	ds_load_b128 v[30:33], v1 offset:1424
	v_fma_f64 v[28:29], v[28:29], v[38:39], v[146:147]
	v_fma_f64 v[26:27], v[26:27], v[38:39], -v[40:41]
	s_wait_loadcnt_dscnt 0x501
	v_mul_f64_e32 v[150:151], v[2:3], v[44:45]
	v_mul_f64_e32 v[44:45], v[4:5], v[44:45]
	s_wait_loadcnt_dscnt 0x400
	v_mul_f64_e32 v[38:39], v[30:31], v[8:9]
	v_mul_f64_e32 v[8:9], v[32:33], v[8:9]
	v_add_f64_e32 v[34:35], v[36:37], v[34:35]
	v_add_f64_e32 v[36:37], v[144:145], v[148:149]
	v_fma_f64 v[40:41], v[4:5], v[42:43], v[150:151]
	v_fma_f64 v[42:43], v[2:3], v[42:43], -v[44:45]
	v_fma_f64 v[32:33], v[32:33], v[6:7], v[38:39]
	v_fma_f64 v[6:7], v[30:31], v[6:7], -v[8:9]
	v_add_f64_e32 v[34:35], v[34:35], v[26:27]
	v_add_f64_e32 v[36:37], v[36:37], v[28:29]
	ds_load_b128 v[2:5], v1 offset:1440
	ds_load_b128 v[26:29], v1 offset:1456
	s_wait_loadcnt_dscnt 0x301
	v_mul_f64_e32 v[44:45], v[2:3], v[12:13]
	v_mul_f64_e32 v[12:13], v[4:5], v[12:13]
	v_add_f64_e32 v[8:9], v[34:35], v[42:43]
	v_add_f64_e32 v[30:31], v[36:37], v[40:41]
	s_wait_loadcnt_dscnt 0x200
	v_mul_f64_e32 v[34:35], v[26:27], v[16:17]
	v_mul_f64_e32 v[16:17], v[28:29], v[16:17]
	v_fma_f64 v[36:37], v[4:5], v[10:11], v[44:45]
	v_fma_f64 v[10:11], v[2:3], v[10:11], -v[12:13]
	v_add_f64_e32 v[12:13], v[8:9], v[6:7]
	v_add_f64_e32 v[30:31], v[30:31], v[32:33]
	ds_load_b128 v[2:5], v1 offset:1472
	ds_load_b128 v[6:9], v1 offset:1488
	v_fma_f64 v[28:29], v[28:29], v[14:15], v[34:35]
	v_fma_f64 v[14:15], v[26:27], v[14:15], -v[16:17]
	s_wait_loadcnt_dscnt 0x101
	v_mul_f64_e32 v[0:1], v[2:3], v[20:21]
	v_mul_f64_e32 v[20:21], v[4:5], v[20:21]
	s_wait_loadcnt_dscnt 0x0
	v_mul_f64_e32 v[16:17], v[6:7], v[24:25]
	v_mul_f64_e32 v[24:25], v[8:9], v[24:25]
	v_add_f64_e32 v[10:11], v[12:13], v[10:11]
	v_add_f64_e32 v[12:13], v[30:31], v[36:37]
	v_fma_f64 v[0:1], v[4:5], v[18:19], v[0:1]
	v_fma_f64 v[2:3], v[2:3], v[18:19], -v[20:21]
	v_fma_f64 v[8:9], v[8:9], v[22:23], v[16:17]
	v_fma_f64 v[6:7], v[6:7], v[22:23], -v[24:25]
	v_add_f64_e32 v[4:5], v[10:11], v[14:15]
	v_add_f64_e32 v[10:11], v[12:13], v[28:29]
	s_delay_alu instid0(VALU_DEP_2) | instskip(NEXT) | instid1(VALU_DEP_2)
	v_add_f64_e32 v[2:3], v[4:5], v[2:3]
	v_add_f64_e32 v[0:1], v[10:11], v[0:1]
	s_delay_alu instid0(VALU_DEP_2) | instskip(NEXT) | instid1(VALU_DEP_2)
	;; [unrolled: 3-line block ×3, first 2 shown]
	v_add_f64_e64 v[0:1], v[140:141], -v[2:3]
	v_add_f64_e64 v[2:3], v[142:143], -v[4:5]
	scratch_store_b128 off, v[0:3], off offset:16
	s_wait_alu 0xfffe
	s_cbranch_vccz .LBB110_388
; %bb.296:
	v_mov_b32_e32 v0, 0
	global_load_b32 v1, v0, s[2:3] offset:180
	s_wait_loadcnt 0x0
	v_cmp_ne_u32_e32 vcc_lo, 46, v1
	s_cbranch_vccz .LBB110_298
; %bb.297:
	v_lshlrev_b32_e32 v1, 4, v1
	s_delay_alu instid0(VALU_DEP_1)
	v_add_nc_u32_e32 v9, 16, v1
	s_clause 0x1
	scratch_load_b128 v[1:4], v9, off offset:-16
	scratch_load_b128 v[5:8], off, s11
	s_wait_loadcnt 0x1
	scratch_store_b128 off, v[1:4], s11
	s_wait_loadcnt 0x0
	scratch_store_b128 v9, v[5:8], off offset:-16
.LBB110_298:
	global_load_b32 v0, v0, s[2:3] offset:176
	s_wait_loadcnt 0x0
	v_cmp_eq_u32_e32 vcc_lo, 45, v0
	s_cbranch_vccnz .LBB110_300
; %bb.299:
	v_lshlrev_b32_e32 v0, 4, v0
	s_delay_alu instid0(VALU_DEP_1)
	v_add_nc_u32_e32 v8, 16, v0
	s_clause 0x1
	scratch_load_b128 v[0:3], v8, off offset:-16
	scratch_load_b128 v[4:7], off, s14
	s_wait_loadcnt 0x1
	scratch_store_b128 off, v[0:3], s14
	s_wait_loadcnt 0x0
	scratch_store_b128 v8, v[4:7], off offset:-16
.LBB110_300:
	v_mov_b32_e32 v0, 0
	global_load_b32 v1, v0, s[2:3] offset:172
	s_wait_loadcnt 0x0
	v_cmp_eq_u32_e32 vcc_lo, 44, v1
	s_cbranch_vccnz .LBB110_302
; %bb.301:
	v_lshlrev_b32_e32 v1, 4, v1
	s_delay_alu instid0(VALU_DEP_1)
	v_add_nc_u32_e32 v9, 16, v1
	s_clause 0x1
	scratch_load_b128 v[1:4], v9, off offset:-16
	scratch_load_b128 v[5:8], off, s16
	s_wait_loadcnt 0x1
	scratch_store_b128 off, v[1:4], s16
	s_wait_loadcnt 0x0
	scratch_store_b128 v9, v[5:8], off offset:-16
.LBB110_302:
	global_load_b32 v0, v0, s[2:3] offset:168
	s_wait_loadcnt 0x0
	v_cmp_eq_u32_e32 vcc_lo, 43, v0
	s_cbranch_vccnz .LBB110_304
; %bb.303:
	v_lshlrev_b32_e32 v0, 4, v0
	s_delay_alu instid0(VALU_DEP_1)
	v_add_nc_u32_e32 v8, 16, v0
	s_clause 0x1
	scratch_load_b128 v[0:3], v8, off offset:-16
	scratch_load_b128 v[4:7], off, s17
	s_wait_loadcnt 0x1
	scratch_store_b128 off, v[0:3], s17
	s_wait_loadcnt 0x0
	scratch_store_b128 v8, v[4:7], off offset:-16
.LBB110_304:
	v_mov_b32_e32 v0, 0
	global_load_b32 v1, v0, s[2:3] offset:164
	s_wait_loadcnt 0x0
	v_cmp_eq_u32_e32 vcc_lo, 42, v1
	s_cbranch_vccnz .LBB110_306
; %bb.305:
	v_lshlrev_b32_e32 v1, 4, v1
	s_delay_alu instid0(VALU_DEP_1)
	v_add_nc_u32_e32 v9, 16, v1
	s_clause 0x1
	scratch_load_b128 v[1:4], v9, off offset:-16
	scratch_load_b128 v[5:8], off, s18
	s_wait_loadcnt 0x1
	scratch_store_b128 off, v[1:4], s18
	s_wait_loadcnt 0x0
	scratch_store_b128 v9, v[5:8], off offset:-16
.LBB110_306:
	;; [unrolled: 33-line block ×22, first 2 shown]
	global_load_b32 v0, v0, s[2:3]
	s_wait_loadcnt 0x0
	v_cmp_eq_u32_e32 vcc_lo, 1, v0
	s_cbranch_vccnz .LBB110_388
; %bb.387:
	v_lshlrev_b32_e32 v0, 4, v0
	s_delay_alu instid0(VALU_DEP_1)
	v_add_nc_u32_e32 v8, 16, v0
	scratch_load_b128 v[0:3], v8, off offset:-16
	scratch_load_b128 v[4:7], off, off offset:16
	s_wait_loadcnt 0x1
	scratch_store_b128 off, v[0:3], off offset:16
	s_wait_loadcnt 0x0
	scratch_store_b128 v8, v[4:7], off offset:-16
.LBB110_388:
	scratch_load_b128 v[0:3], off, off offset:16
	s_wait_loadcnt 0x0
	flat_store_b128 v[46:47], v[0:3]
	scratch_load_b128 v[0:3], off, s15
	s_wait_loadcnt 0x0
	flat_store_b128 v[48:49], v[0:3]
	scratch_load_b128 v[0:3], off, s13
	;; [unrolled: 3-line block ×46, first 2 shown]
	s_wait_loadcnt 0x0
	flat_store_b128 v[138:139], v[0:3]
	s_nop 0
	s_sendmsg sendmsg(MSG_DEALLOC_VGPRS)
	s_endpgm
	.section	.rodata,"a",@progbits
	.p2align	6, 0x0
	.amdhsa_kernel _ZN9rocsolver6v33100L18getri_kernel_smallILi47E19rocblas_complex_numIdEPKPS3_EEvT1_iilPiilS8_bb
		.amdhsa_group_segment_fixed_size 1512
		.amdhsa_private_segment_fixed_size 784
		.amdhsa_kernarg_size 60
		.amdhsa_user_sgpr_count 2
		.amdhsa_user_sgpr_dispatch_ptr 0
		.amdhsa_user_sgpr_queue_ptr 0
		.amdhsa_user_sgpr_kernarg_segment_ptr 1
		.amdhsa_user_sgpr_dispatch_id 0
		.amdhsa_user_sgpr_private_segment_size 0
		.amdhsa_wavefront_size32 1
		.amdhsa_uses_dynamic_stack 0
		.amdhsa_enable_private_segment 1
		.amdhsa_system_sgpr_workgroup_id_x 1
		.amdhsa_system_sgpr_workgroup_id_y 0
		.amdhsa_system_sgpr_workgroup_id_z 0
		.amdhsa_system_sgpr_workgroup_info 0
		.amdhsa_system_vgpr_workitem_id 0
		.amdhsa_next_free_vgpr 167
		.amdhsa_next_free_sgpr 77
		.amdhsa_reserve_vcc 1
		.amdhsa_float_round_mode_32 0
		.amdhsa_float_round_mode_16_64 0
		.amdhsa_float_denorm_mode_32 3
		.amdhsa_float_denorm_mode_16_64 3
		.amdhsa_fp16_overflow 0
		.amdhsa_workgroup_processor_mode 1
		.amdhsa_memory_ordered 1
		.amdhsa_forward_progress 1
		.amdhsa_inst_pref_size 255
		.amdhsa_round_robin_scheduling 0
		.amdhsa_exception_fp_ieee_invalid_op 0
		.amdhsa_exception_fp_denorm_src 0
		.amdhsa_exception_fp_ieee_div_zero 0
		.amdhsa_exception_fp_ieee_overflow 0
		.amdhsa_exception_fp_ieee_underflow 0
		.amdhsa_exception_fp_ieee_inexact 0
		.amdhsa_exception_int_div_zero 0
	.end_amdhsa_kernel
	.section	.text._ZN9rocsolver6v33100L18getri_kernel_smallILi47E19rocblas_complex_numIdEPKPS3_EEvT1_iilPiilS8_bb,"axG",@progbits,_ZN9rocsolver6v33100L18getri_kernel_smallILi47E19rocblas_complex_numIdEPKPS3_EEvT1_iilPiilS8_bb,comdat
.Lfunc_end110:
	.size	_ZN9rocsolver6v33100L18getri_kernel_smallILi47E19rocblas_complex_numIdEPKPS3_EEvT1_iilPiilS8_bb, .Lfunc_end110-_ZN9rocsolver6v33100L18getri_kernel_smallILi47E19rocblas_complex_numIdEPKPS3_EEvT1_iilPiilS8_bb
                                        ; -- End function
	.set _ZN9rocsolver6v33100L18getri_kernel_smallILi47E19rocblas_complex_numIdEPKPS3_EEvT1_iilPiilS8_bb.num_vgpr, 167
	.set _ZN9rocsolver6v33100L18getri_kernel_smallILi47E19rocblas_complex_numIdEPKPS3_EEvT1_iilPiilS8_bb.num_agpr, 0
	.set _ZN9rocsolver6v33100L18getri_kernel_smallILi47E19rocblas_complex_numIdEPKPS3_EEvT1_iilPiilS8_bb.numbered_sgpr, 77
	.set _ZN9rocsolver6v33100L18getri_kernel_smallILi47E19rocblas_complex_numIdEPKPS3_EEvT1_iilPiilS8_bb.num_named_barrier, 0
	.set _ZN9rocsolver6v33100L18getri_kernel_smallILi47E19rocblas_complex_numIdEPKPS3_EEvT1_iilPiilS8_bb.private_seg_size, 784
	.set _ZN9rocsolver6v33100L18getri_kernel_smallILi47E19rocblas_complex_numIdEPKPS3_EEvT1_iilPiilS8_bb.uses_vcc, 1
	.set _ZN9rocsolver6v33100L18getri_kernel_smallILi47E19rocblas_complex_numIdEPKPS3_EEvT1_iilPiilS8_bb.uses_flat_scratch, 1
	.set _ZN9rocsolver6v33100L18getri_kernel_smallILi47E19rocblas_complex_numIdEPKPS3_EEvT1_iilPiilS8_bb.has_dyn_sized_stack, 0
	.set _ZN9rocsolver6v33100L18getri_kernel_smallILi47E19rocblas_complex_numIdEPKPS3_EEvT1_iilPiilS8_bb.has_recursion, 0
	.set _ZN9rocsolver6v33100L18getri_kernel_smallILi47E19rocblas_complex_numIdEPKPS3_EEvT1_iilPiilS8_bb.has_indirect_call, 0
	.section	.AMDGPU.csdata,"",@progbits
; Kernel info:
; codeLenInByte = 92260
; TotalNumSgprs: 79
; NumVgprs: 167
; ScratchSize: 784
; MemoryBound: 0
; FloatMode: 240
; IeeeMode: 1
; LDSByteSize: 1512 bytes/workgroup (compile time only)
; SGPRBlocks: 0
; VGPRBlocks: 20
; NumSGPRsForWavesPerEU: 79
; NumVGPRsForWavesPerEU: 167
; Occupancy: 9
; WaveLimiterHint : 1
; COMPUTE_PGM_RSRC2:SCRATCH_EN: 1
; COMPUTE_PGM_RSRC2:USER_SGPR: 2
; COMPUTE_PGM_RSRC2:TRAP_HANDLER: 0
; COMPUTE_PGM_RSRC2:TGID_X_EN: 1
; COMPUTE_PGM_RSRC2:TGID_Y_EN: 0
; COMPUTE_PGM_RSRC2:TGID_Z_EN: 0
; COMPUTE_PGM_RSRC2:TIDIG_COMP_CNT: 0
	.section	.text._ZN9rocsolver6v33100L18getri_kernel_smallILi48E19rocblas_complex_numIdEPKPS3_EEvT1_iilPiilS8_bb,"axG",@progbits,_ZN9rocsolver6v33100L18getri_kernel_smallILi48E19rocblas_complex_numIdEPKPS3_EEvT1_iilPiilS8_bb,comdat
	.globl	_ZN9rocsolver6v33100L18getri_kernel_smallILi48E19rocblas_complex_numIdEPKPS3_EEvT1_iilPiilS8_bb ; -- Begin function _ZN9rocsolver6v33100L18getri_kernel_smallILi48E19rocblas_complex_numIdEPKPS3_EEvT1_iilPiilS8_bb
	.p2align	8
	.type	_ZN9rocsolver6v33100L18getri_kernel_smallILi48E19rocblas_complex_numIdEPKPS3_EEvT1_iilPiilS8_bb,@function
_ZN9rocsolver6v33100L18getri_kernel_smallILi48E19rocblas_complex_numIdEPKPS3_EEvT1_iilPiilS8_bb: ; @_ZN9rocsolver6v33100L18getri_kernel_smallILi48E19rocblas_complex_numIdEPKPS3_EEvT1_iilPiilS8_bb
; %bb.0:
	s_mov_b32 s2, exec_lo
	v_cmpx_gt_u32_e32 48, v0
	s_cbranch_execz .LBB111_206
; %bb.1:
	s_clause 0x1
	s_load_b32 s13, s[0:1], 0x38
	s_load_b64 s[2:3], s[0:1], 0x0
	s_mov_b32 s8, ttmp9
	s_load_b128 s[4:7], s[0:1], 0x28
	s_wait_kmcnt 0x0
	s_bitcmp1_b32 s13, 8
	s_cselect_b32 s12, -1, 0
	s_ashr_i32 s9, ttmp9, 31
	s_delay_alu instid0(SALU_CYCLE_1) | instskip(NEXT) | instid1(SALU_CYCLE_1)
	s_lshl_b64 s[10:11], s[8:9], 3
	s_add_nc_u64 s[2:3], s[2:3], s[10:11]
	s_load_b64 s[10:11], s[2:3], 0x0
	s_bfe_u32 s2, s13, 0x10008
	s_delay_alu instid0(SALU_CYCLE_1)
	s_cmp_eq_u32 s2, 0
                                        ; implicit-def: $sgpr2_sgpr3
	s_cbranch_scc1 .LBB111_3
; %bb.2:
	s_load_b96 s[16:18], s[0:1], 0x18
	s_mul_u64 s[2:3], s[4:5], s[8:9]
	s_delay_alu instid0(SALU_CYCLE_1)
	s_lshl_b64 s[2:3], s[2:3], 2
	s_wait_kmcnt 0x0
	s_ashr_i32 s5, s18, 31
	s_mov_b32 s4, s18
	s_add_nc_u64 s[2:3], s[16:17], s[2:3]
	s_lshl_b64 s[4:5], s[4:5], 2
	s_delay_alu instid0(SALU_CYCLE_1)
	s_add_nc_u64 s[2:3], s[2:3], s[4:5]
.LBB111_3:
	s_clause 0x1
	s_load_b64 s[4:5], s[0:1], 0x8
	s_load_b32 s57, s[0:1], 0x38
	v_lshlrev_b32_e32 v13, 4, v0
	s_movk_i32 s14, 0x90
	s_movk_i32 s16, 0xa0
	s_movk_i32 s17, 0xb0
	s_movk_i32 s18, 0xc0
	s_movk_i32 s19, 0xd0
	s_movk_i32 s20, 0xe0
	s_movk_i32 s21, 0xf0
	s_movk_i32 s22, 0x100
	s_movk_i32 s23, 0x110
	s_movk_i32 s24, 0x120
	s_movk_i32 s25, 0x130
	s_movk_i32 s26, 0x140
	s_movk_i32 s27, 0x150
	s_movk_i32 s28, 0x160
	s_movk_i32 s29, 0x170
	s_movk_i32 s30, 0x180
	s_movk_i32 s31, 0x190
	s_wait_kmcnt 0x0
	s_ashr_i32 s1, s4, 31
	s_mov_b32 s0, s4
	v_add3_u32 v5, s5, s5, v0
	s_lshl_b64 s[0:1], s[0:1], 4
	s_movk_i32 s33, 0x1a0
	s_add_nc_u64 s[0:1], s[10:11], s[0:1]
	s_ashr_i32 s11, s5, 31
	v_add_co_u32 v42, s4, s0, v13
	s_wait_alu 0xf1ff
	v_add_co_ci_u32_e64 v43, null, s1, 0, s4
	s_mov_b32 s10, s5
	v_ashrrev_i32_e32 v6, 31, v5
	s_lshl_b64 s[10:11], s[10:11], 4
	flat_load_b128 v[1:4], v[42:43]
	v_add_co_u32 v44, vcc_lo, v42, s10
	s_delay_alu instid0(VALU_DEP_1)
	v_add_co_ci_u32_e64 v45, null, s11, v43, vcc_lo
	v_lshlrev_b64_e32 v[6:7], 4, v[5:6]
	v_add_nc_u32_e32 v5, s5, v5
	s_movk_i32 s11, 0x80
	s_movk_i32 s34, 0x1b0
	;; [unrolled: 1-line block ×4, first 2 shown]
	v_add_co_u32 v46, vcc_lo, s0, v6
	s_wait_alu 0xfffd
	v_add_co_ci_u32_e64 v47, null, s1, v7, vcc_lo
	v_ashrrev_i32_e32 v6, 31, v5
	s_movk_i32 s60, 0x1e0
	s_movk_i32 s61, 0x1f0
	;; [unrolled: 1-line block ×4, first 2 shown]
	v_lshlrev_b64_e32 v[6:7], 4, v[5:6]
	v_add_nc_u32_e32 v5, s5, v5
	s_movk_i32 s64, 0x220
	s_movk_i32 s65, 0x230
	;; [unrolled: 1-line block ×4, first 2 shown]
	v_add_co_u32 v48, vcc_lo, s0, v6
	s_wait_alu 0xfffd
	v_add_co_ci_u32_e64 v49, null, s1, v7, vcc_lo
	v_ashrrev_i32_e32 v6, 31, v5
	s_movk_i32 s68, 0x260
	s_movk_i32 s69, 0x270
	;; [unrolled: 1-line block ×4, first 2 shown]
	v_lshlrev_b64_e32 v[6:7], 4, v[5:6]
	v_add_nc_u32_e32 v5, s5, v5
	s_movk_i32 s72, 0x2a0
	s_movk_i32 s73, 0x2b0
	;; [unrolled: 1-line block ×4, first 2 shown]
	v_add_co_u32 v50, vcc_lo, s0, v6
	s_wait_alu 0xfffd
	v_add_co_ci_u32_e64 v51, null, s1, v7, vcc_lo
	v_ashrrev_i32_e32 v6, 31, v5
	s_movk_i32 s76, 0x2e0
	s_movk_i32 s77, 0x2f0
	s_wait_alu 0xfffe
	s_add_co_i32 s53, s11, 16
	s_add_co_i32 s52, s14, 16
	v_lshlrev_b64_e32 v[6:7], 4, v[5:6]
	v_add_nc_u32_e32 v5, s5, v5
	s_add_co_i32 s51, s16, 16
	s_add_co_i32 s50, s17, 16
	s_add_co_i32 s49, s18, 16
	s_add_co_i32 s48, s19, 16
	v_add_co_u32 v52, vcc_lo, s0, v6
	s_wait_alu 0xfffd
	v_add_co_ci_u32_e64 v53, null, s1, v7, vcc_lo
	v_ashrrev_i32_e32 v6, 31, v5
	s_add_co_i32 s47, s20, 16
	s_add_co_i32 s46, s21, 16
	s_add_co_i32 s45, s22, 16
	s_add_co_i32 s44, s23, 16
	v_lshlrev_b64_e32 v[6:7], 4, v[5:6]
	v_add_nc_u32_e32 v5, s5, v5
	s_add_co_i32 s43, s24, 16
	s_add_co_i32 s42, s25, 16
	s_add_co_i32 s41, s26, 16
	s_add_co_i32 s40, s27, 16
	v_add_co_u32 v54, vcc_lo, s0, v6
	s_wait_alu 0xfffd
	v_add_co_ci_u32_e64 v55, null, s1, v7, vcc_lo
	v_ashrrev_i32_e32 v6, 31, v5
	s_add_co_i32 s39, s28, 16
	s_add_co_i32 s38, s29, 16
	;; [unrolled: 14-line block ×4, first 2 shown]
	s_add_co_i32 s20, s70, 16
	s_add_co_i32 s19, s71, 16
	v_lshlrev_b64_e32 v[6:7], 4, v[5:6]
	v_add_nc_u32_e32 v5, s5, v5
	s_add_co_i32 s18, s72, 16
	s_add_co_i32 s17, s73, 16
	;; [unrolled: 1-line block ×4, first 2 shown]
	v_add_co_u32 v60, vcc_lo, s0, v6
	s_wait_alu 0xfffd
	v_add_co_ci_u32_e64 v61, null, s1, v7, vcc_lo
	v_ashrrev_i32_e32 v6, 31, v5
	s_add_co_i32 s11, s76, 16
	s_mov_b32 s15, 32
	s_mov_b32 s13, 48
	;; [unrolled: 1-line block ×3, first 2 shown]
	v_lshlrev_b64_e32 v[6:7], 4, v[5:6]
	v_add_nc_u32_e32 v5, s5, v5
	s_movk_i32 s4, 0x50
	s_delay_alu instid0(VALU_DEP_2) | instskip(SKIP_1) | instid1(VALU_DEP_3)
	v_add_co_u32 v62, vcc_lo, s0, v6
	s_wait_alu 0xfffd
	v_add_co_ci_u32_e64 v63, null, s1, v7, vcc_lo
	v_ashrrev_i32_e32 v6, 31, v5
	s_delay_alu instid0(VALU_DEP_1) | instskip(SKIP_1) | instid1(VALU_DEP_2)
	v_lshlrev_b64_e32 v[6:7], 4, v[5:6]
	v_add_nc_u32_e32 v5, s5, v5
	v_add_co_u32 v64, vcc_lo, s0, v6
	s_wait_alu 0xfffd
	s_delay_alu instid0(VALU_DEP_3) | instskip(NEXT) | instid1(VALU_DEP_3)
	v_add_co_ci_u32_e64 v65, null, s1, v7, vcc_lo
	v_ashrrev_i32_e32 v6, 31, v5
	s_delay_alu instid0(VALU_DEP_1) | instskip(SKIP_1) | instid1(VALU_DEP_2)
	v_lshlrev_b64_e32 v[6:7], 4, v[5:6]
	v_add_nc_u32_e32 v5, s5, v5
	v_add_co_u32 v66, vcc_lo, s0, v6
	s_wait_alu 0xfffd
	s_delay_alu instid0(VALU_DEP_3) | instskip(NEXT) | instid1(VALU_DEP_3)
	;; [unrolled: 8-line block ×12, first 2 shown]
	v_add_co_ci_u32_e64 v87, null, s1, v7, vcc_lo
	v_ashrrev_i32_e32 v6, 31, v5
	s_delay_alu instid0(VALU_DEP_1)
	v_lshlrev_b64_e32 v[6:7], 4, v[5:6]
	s_wait_loadcnt_dscnt 0x0
	scratch_store_b128 off, v[1:4], off offset:16
	flat_load_b128 v[1:4], v[44:45]
	v_add_nc_u32_e32 v5, s5, v5
	v_add_co_u32 v88, vcc_lo, s0, v6
	s_wait_alu 0xfffd
	v_add_co_ci_u32_e64 v89, null, s1, v7, vcc_lo
	s_delay_alu instid0(VALU_DEP_3) | instskip(NEXT) | instid1(VALU_DEP_1)
	v_ashrrev_i32_e32 v6, 31, v5
	v_lshlrev_b64_e32 v[6:7], 4, v[5:6]
	v_add_nc_u32_e32 v5, s5, v5
	s_delay_alu instid0(VALU_DEP_2) | instskip(SKIP_1) | instid1(VALU_DEP_3)
	v_add_co_u32 v90, vcc_lo, s0, v6
	s_wait_alu 0xfffd
	v_add_co_ci_u32_e64 v91, null, s1, v7, vcc_lo
	s_delay_alu instid0(VALU_DEP_3) | instskip(NEXT) | instid1(VALU_DEP_1)
	v_ashrrev_i32_e32 v6, 31, v5
	v_lshlrev_b64_e32 v[6:7], 4, v[5:6]
	v_add_nc_u32_e32 v5, s5, v5
	s_delay_alu instid0(VALU_DEP_2) | instskip(SKIP_1) | instid1(VALU_DEP_3)
	;; [unrolled: 8-line block ×20, first 2 shown]
	v_add_co_u32 v128, vcc_lo, s0, v6
	s_wait_alu 0xfffd
	v_add_co_ci_u32_e64 v129, null, s1, v7, vcc_lo
	s_delay_alu instid0(VALU_DEP_3) | instskip(NEXT) | instid1(VALU_DEP_1)
	v_ashrrev_i32_e32 v6, 31, v5
	v_lshlrev_b64_e32 v[6:7], 4, v[5:6]
	v_add_nc_u32_e32 v5, s5, v5
	s_delay_alu instid0(VALU_DEP_2)
	v_add_co_u32 v130, vcc_lo, s0, v6
	s_wait_loadcnt_dscnt 0x0
	scratch_store_b128 off, v[1:4], off offset:32
	flat_load_b128 v[1:4], v[46:47]
	s_wait_alu 0xfffd
	v_add_co_ci_u32_e64 v131, null, s1, v7, vcc_lo
	v_ashrrev_i32_e32 v6, 31, v5
	s_delay_alu instid0(VALU_DEP_1) | instskip(SKIP_1) | instid1(VALU_DEP_2)
	v_lshlrev_b64_e32 v[6:7], 4, v[5:6]
	v_add_nc_u32_e32 v5, s5, v5
	v_add_co_u32 v132, vcc_lo, s0, v6
	s_wait_alu 0xfffd
	s_delay_alu instid0(VALU_DEP_3) | instskip(NEXT) | instid1(VALU_DEP_3)
	v_add_co_ci_u32_e64 v133, null, s1, v7, vcc_lo
	v_ashrrev_i32_e32 v6, 31, v5
	s_delay_alu instid0(VALU_DEP_1)
	v_lshlrev_b64_e32 v[6:7], 4, v[5:6]
	v_add_nc_u32_e32 v5, s5, v5
	s_movk_i32 s5, 0x70
	s_wait_alu 0xfffe
	s_add_co_i32 s54, s5, 16
	s_add_co_i32 s5, s77, 16
	v_add_co_u32 v134, vcc_lo, s0, v6
	s_wait_alu 0xfffd
	v_add_co_ci_u32_e64 v135, null, s1, v7, vcc_lo
	v_ashrrev_i32_e32 v6, 31, v5
	s_delay_alu instid0(VALU_DEP_1) | instskip(NEXT) | instid1(VALU_DEP_1)
	v_lshlrev_b64_e32 v[5:6], 4, v[5:6]
	v_add_co_u32 v136, vcc_lo, s0, v5
	s_wait_alu 0xfffd
	s_delay_alu instid0(VALU_DEP_2)
	v_add_co_ci_u32_e64 v137, null, s1, v6, vcc_lo
	s_movk_i32 s0, 0x50
	s_movk_i32 s1, 0x60
	s_wait_alu 0xfffe
	s_add_co_i32 s56, s0, 16
	s_add_co_i32 s55, s1, 16
	s_bitcmp0_b32 s57, 0
	s_mov_b32 s1, -1
	s_wait_loadcnt_dscnt 0x0
	scratch_store_b128 off, v[1:4], off offset:48
	flat_load_b128 v[1:4], v[48:49]
	s_wait_loadcnt_dscnt 0x0
	scratch_store_b128 off, v[1:4], off offset:64
	flat_load_b128 v[1:4], v[50:51]
	;; [unrolled: 3-line block ×45, first 2 shown]
	s_wait_loadcnt_dscnt 0x0
	scratch_store_b128 off, v[1:4], off offset:768
	s_cbranch_scc1 .LBB111_204
; %bb.4:
	v_cmp_eq_u32_e64 s0, 0, v0
	s_and_saveexec_b32 s1, s0
; %bb.5:
	v_mov_b32_e32 v1, 0
	ds_store_b32 v1, v1 offset:1536
; %bb.6:
	s_wait_alu 0xfffe
	s_or_b32 exec_lo, exec_lo, s1
	s_wait_storecnt_dscnt 0x0
	s_barrier_signal -1
	s_barrier_wait -1
	global_inv scope:SCOPE_SE
	scratch_load_b128 v[1:4], v13, off offset:16
	s_wait_loadcnt 0x0
	v_cmp_eq_f64_e32 vcc_lo, 0, v[1:2]
	v_cmp_eq_f64_e64 s1, 0, v[3:4]
	s_and_b32 s1, vcc_lo, s1
	s_wait_alu 0xfffe
	s_and_saveexec_b32 s57, s1
	s_cbranch_execz .LBB111_10
; %bb.7:
	v_mov_b32_e32 v1, 0
	s_mov_b32 s58, 0
	ds_load_b32 v2, v1 offset:1536
	s_wait_dscnt 0x0
	v_readfirstlane_b32 s1, v2
	v_add_nc_u32_e32 v2, 1, v0
	s_cmp_eq_u32 s1, 0
	s_delay_alu instid0(VALU_DEP_1) | instskip(SKIP_1) | instid1(SALU_CYCLE_1)
	v_cmp_gt_i32_e32 vcc_lo, s1, v2
	s_cselect_b32 s59, -1, 0
	s_or_b32 s59, s59, vcc_lo
	s_delay_alu instid0(SALU_CYCLE_1)
	s_and_b32 exec_lo, exec_lo, s59
	s_cbranch_execz .LBB111_10
; %bb.8:
	v_mov_b32_e32 v3, s1
.LBB111_9:                              ; =>This Inner Loop Header: Depth=1
	ds_cmpstore_rtn_b32 v3, v1, v2, v3 offset:1536
	s_wait_dscnt 0x0
	v_cmp_ne_u32_e32 vcc_lo, 0, v3
	v_cmp_le_i32_e64 s1, v3, v2
	s_and_b32 s1, vcc_lo, s1
	s_wait_alu 0xfffe
	s_and_b32 s1, exec_lo, s1
	s_wait_alu 0xfffe
	s_or_b32 s58, s1, s58
	s_delay_alu instid0(SALU_CYCLE_1)
	s_and_not1_b32 exec_lo, exec_lo, s58
	s_cbranch_execnz .LBB111_9
.LBB111_10:
	s_or_b32 exec_lo, exec_lo, s57
	v_mov_b32_e32 v1, 0
	s_barrier_signal -1
	s_barrier_wait -1
	global_inv scope:SCOPE_SE
	ds_load_b32 v2, v1 offset:1536
	s_and_saveexec_b32 s1, s0
	s_cbranch_execz .LBB111_12
; %bb.11:
	s_lshl_b64 s[58:59], s[8:9], 2
	s_delay_alu instid0(SALU_CYCLE_1)
	s_add_nc_u64 s[58:59], s[6:7], s[58:59]
	s_wait_dscnt 0x0
	global_store_b32 v1, v2, s[58:59]
.LBB111_12:
	s_wait_alu 0xfffe
	s_or_b32 exec_lo, exec_lo, s1
	s_wait_dscnt 0x0
	v_cmp_ne_u32_e32 vcc_lo, 0, v2
	s_mov_b32 s1, 0
	s_cbranch_vccnz .LBB111_204
; %bb.13:
	v_add_nc_u32_e32 v14, 16, v13
                                        ; implicit-def: $vgpr1_vgpr2
                                        ; implicit-def: $vgpr9_vgpr10
	scratch_load_b128 v[5:8], v14, off
	s_wait_loadcnt 0x0
	v_cmp_ngt_f64_e64 s1, |v[5:6]|, |v[7:8]|
	s_wait_alu 0xfffe
	s_and_saveexec_b32 s57, s1
	s_delay_alu instid0(SALU_CYCLE_1)
	s_xor_b32 s1, exec_lo, s57
	s_cbranch_execz .LBB111_15
; %bb.14:
	v_div_scale_f64 v[1:2], null, v[7:8], v[7:8], v[5:6]
	v_div_scale_f64 v[11:12], vcc_lo, v[5:6], v[7:8], v[5:6]
	s_delay_alu instid0(VALU_DEP_2) | instskip(NEXT) | instid1(TRANS32_DEP_1)
	v_rcp_f64_e32 v[3:4], v[1:2]
	v_fma_f64 v[9:10], -v[1:2], v[3:4], 1.0
	s_delay_alu instid0(VALU_DEP_1) | instskip(NEXT) | instid1(VALU_DEP_1)
	v_fma_f64 v[3:4], v[3:4], v[9:10], v[3:4]
	v_fma_f64 v[9:10], -v[1:2], v[3:4], 1.0
	s_delay_alu instid0(VALU_DEP_1) | instskip(NEXT) | instid1(VALU_DEP_1)
	v_fma_f64 v[3:4], v[3:4], v[9:10], v[3:4]
	v_mul_f64_e32 v[9:10], v[11:12], v[3:4]
	s_delay_alu instid0(VALU_DEP_1) | instskip(SKIP_1) | instid1(VALU_DEP_1)
	v_fma_f64 v[1:2], -v[1:2], v[9:10], v[11:12]
	s_wait_alu 0xfffd
	v_div_fmas_f64 v[1:2], v[1:2], v[3:4], v[9:10]
	s_delay_alu instid0(VALU_DEP_1) | instskip(NEXT) | instid1(VALU_DEP_1)
	v_div_fixup_f64 v[1:2], v[1:2], v[7:8], v[5:6]
	v_fma_f64 v[3:4], v[5:6], v[1:2], v[7:8]
	s_delay_alu instid0(VALU_DEP_1) | instskip(SKIP_1) | instid1(VALU_DEP_2)
	v_div_scale_f64 v[5:6], null, v[3:4], v[3:4], 1.0
	v_div_scale_f64 v[11:12], vcc_lo, 1.0, v[3:4], 1.0
	v_rcp_f64_e32 v[7:8], v[5:6]
	s_delay_alu instid0(TRANS32_DEP_1) | instskip(NEXT) | instid1(VALU_DEP_1)
	v_fma_f64 v[9:10], -v[5:6], v[7:8], 1.0
	v_fma_f64 v[7:8], v[7:8], v[9:10], v[7:8]
	s_delay_alu instid0(VALU_DEP_1) | instskip(NEXT) | instid1(VALU_DEP_1)
	v_fma_f64 v[9:10], -v[5:6], v[7:8], 1.0
	v_fma_f64 v[7:8], v[7:8], v[9:10], v[7:8]
	s_delay_alu instid0(VALU_DEP_1) | instskip(NEXT) | instid1(VALU_DEP_1)
	v_mul_f64_e32 v[9:10], v[11:12], v[7:8]
	v_fma_f64 v[5:6], -v[5:6], v[9:10], v[11:12]
	s_wait_alu 0xfffd
	s_delay_alu instid0(VALU_DEP_1) | instskip(NEXT) | instid1(VALU_DEP_1)
	v_div_fmas_f64 v[5:6], v[5:6], v[7:8], v[9:10]
	v_div_fixup_f64 v[3:4], v[5:6], v[3:4], 1.0
                                        ; implicit-def: $vgpr5_vgpr6
	s_delay_alu instid0(VALU_DEP_1) | instskip(SKIP_1) | instid1(VALU_DEP_2)
	v_mul_f64_e32 v[1:2], v[1:2], v[3:4]
	v_xor_b32_e32 v4, 0x80000000, v4
	v_xor_b32_e32 v10, 0x80000000, v2
	s_delay_alu instid0(VALU_DEP_3)
	v_mov_b32_e32 v9, v1
.LBB111_15:
	s_wait_alu 0xfffe
	s_and_not1_saveexec_b32 s1, s1
	s_cbranch_execz .LBB111_17
; %bb.16:
	v_div_scale_f64 v[1:2], null, v[5:6], v[5:6], v[7:8]
	v_div_scale_f64 v[11:12], vcc_lo, v[7:8], v[5:6], v[7:8]
	s_delay_alu instid0(VALU_DEP_2) | instskip(NEXT) | instid1(TRANS32_DEP_1)
	v_rcp_f64_e32 v[3:4], v[1:2]
	v_fma_f64 v[9:10], -v[1:2], v[3:4], 1.0
	s_delay_alu instid0(VALU_DEP_1) | instskip(NEXT) | instid1(VALU_DEP_1)
	v_fma_f64 v[3:4], v[3:4], v[9:10], v[3:4]
	v_fma_f64 v[9:10], -v[1:2], v[3:4], 1.0
	s_delay_alu instid0(VALU_DEP_1) | instskip(NEXT) | instid1(VALU_DEP_1)
	v_fma_f64 v[3:4], v[3:4], v[9:10], v[3:4]
	v_mul_f64_e32 v[9:10], v[11:12], v[3:4]
	s_delay_alu instid0(VALU_DEP_1) | instskip(SKIP_1) | instid1(VALU_DEP_1)
	v_fma_f64 v[1:2], -v[1:2], v[9:10], v[11:12]
	s_wait_alu 0xfffd
	v_div_fmas_f64 v[1:2], v[1:2], v[3:4], v[9:10]
	s_delay_alu instid0(VALU_DEP_1) | instskip(NEXT) | instid1(VALU_DEP_1)
	v_div_fixup_f64 v[3:4], v[1:2], v[5:6], v[7:8]
	v_fma_f64 v[1:2], v[7:8], v[3:4], v[5:6]
	s_delay_alu instid0(VALU_DEP_1) | instskip(NEXT) | instid1(VALU_DEP_1)
	v_div_scale_f64 v[5:6], null, v[1:2], v[1:2], 1.0
	v_rcp_f64_e32 v[7:8], v[5:6]
	s_delay_alu instid0(TRANS32_DEP_1) | instskip(NEXT) | instid1(VALU_DEP_1)
	v_fma_f64 v[9:10], -v[5:6], v[7:8], 1.0
	v_fma_f64 v[7:8], v[7:8], v[9:10], v[7:8]
	s_delay_alu instid0(VALU_DEP_1) | instskip(NEXT) | instid1(VALU_DEP_1)
	v_fma_f64 v[9:10], -v[5:6], v[7:8], 1.0
	v_fma_f64 v[7:8], v[7:8], v[9:10], v[7:8]
	v_div_scale_f64 v[9:10], vcc_lo, 1.0, v[1:2], 1.0
	s_delay_alu instid0(VALU_DEP_1) | instskip(NEXT) | instid1(VALU_DEP_1)
	v_mul_f64_e32 v[11:12], v[9:10], v[7:8]
	v_fma_f64 v[5:6], -v[5:6], v[11:12], v[9:10]
	s_wait_alu 0xfffd
	s_delay_alu instid0(VALU_DEP_1) | instskip(NEXT) | instid1(VALU_DEP_1)
	v_div_fmas_f64 v[5:6], v[5:6], v[7:8], v[11:12]
	v_div_fixup_f64 v[1:2], v[5:6], v[1:2], 1.0
	s_delay_alu instid0(VALU_DEP_1)
	v_mul_f64_e64 v[3:4], v[3:4], -v[1:2]
	v_xor_b32_e32 v10, 0x80000000, v2
	v_mov_b32_e32 v9, v1
.LBB111_17:
	s_wait_alu 0xfffe
	s_or_b32 exec_lo, exec_lo, s1
	scratch_store_b128 v14, v[1:4], off
	scratch_load_b128 v[15:18], off, s15
	v_xor_b32_e32 v12, 0x80000000, v4
	v_mov_b32_e32 v11, v3
	v_add_nc_u32_e32 v5, 0x300, v13
	ds_store_b128 v13, v[9:12]
	s_wait_loadcnt 0x0
	ds_store_b128 v13, v[15:18] offset:768
	s_wait_storecnt_dscnt 0x0
	s_barrier_signal -1
	s_barrier_wait -1
	global_inv scope:SCOPE_SE
	s_and_saveexec_b32 s1, s0
	s_cbranch_execz .LBB111_19
; %bb.18:
	scratch_load_b128 v[1:4], v14, off
	ds_load_b128 v[6:9], v5
	v_mov_b32_e32 v10, 0
	ds_load_b128 v[15:18], v10 offset:16
	s_wait_loadcnt_dscnt 0x1
	v_mul_f64_e32 v[10:11], v[6:7], v[3:4]
	v_mul_f64_e32 v[3:4], v[8:9], v[3:4]
	s_delay_alu instid0(VALU_DEP_2) | instskip(NEXT) | instid1(VALU_DEP_2)
	v_fma_f64 v[8:9], v[8:9], v[1:2], v[10:11]
	v_fma_f64 v[1:2], v[6:7], v[1:2], -v[3:4]
	s_delay_alu instid0(VALU_DEP_2) | instskip(NEXT) | instid1(VALU_DEP_2)
	v_add_f64_e32 v[3:4], 0, v[8:9]
	v_add_f64_e32 v[1:2], 0, v[1:2]
	s_wait_dscnt 0x0
	s_delay_alu instid0(VALU_DEP_2) | instskip(NEXT) | instid1(VALU_DEP_2)
	v_mul_f64_e32 v[6:7], v[3:4], v[17:18]
	v_mul_f64_e32 v[8:9], v[1:2], v[17:18]
	s_delay_alu instid0(VALU_DEP_2) | instskip(NEXT) | instid1(VALU_DEP_2)
	v_fma_f64 v[1:2], v[1:2], v[15:16], -v[6:7]
	v_fma_f64 v[3:4], v[3:4], v[15:16], v[8:9]
	scratch_store_b128 off, v[1:4], off offset:32
.LBB111_19:
	s_wait_alu 0xfffe
	s_or_b32 exec_lo, exec_lo, s1
	s_wait_loadcnt 0x0
	s_wait_storecnt 0x0
	s_barrier_signal -1
	s_barrier_wait -1
	global_inv scope:SCOPE_SE
	scratch_load_b128 v[1:4], off, s13
	s_mov_b32 s1, exec_lo
	s_wait_loadcnt 0x0
	ds_store_b128 v5, v[1:4]
	s_wait_dscnt 0x0
	s_barrier_signal -1
	s_barrier_wait -1
	global_inv scope:SCOPE_SE
	v_cmpx_gt_u32_e32 2, v0
	s_cbranch_execz .LBB111_23
; %bb.20:
	scratch_load_b128 v[1:4], v14, off
	ds_load_b128 v[6:9], v5
	s_wait_loadcnt_dscnt 0x0
	v_mul_f64_e32 v[10:11], v[8:9], v[3:4]
	v_mul_f64_e32 v[3:4], v[6:7], v[3:4]
	s_delay_alu instid0(VALU_DEP_2) | instskip(NEXT) | instid1(VALU_DEP_2)
	v_fma_f64 v[6:7], v[6:7], v[1:2], -v[10:11]
	v_fma_f64 v[3:4], v[8:9], v[1:2], v[3:4]
	s_delay_alu instid0(VALU_DEP_2) | instskip(NEXT) | instid1(VALU_DEP_2)
	v_add_f64_e32 v[1:2], 0, v[6:7]
	v_add_f64_e32 v[3:4], 0, v[3:4]
	s_and_saveexec_b32 s57, s0
	s_cbranch_execz .LBB111_22
; %bb.21:
	scratch_load_b128 v[6:9], off, off offset:32
	v_mov_b32_e32 v10, 0
	ds_load_b128 v[15:18], v10 offset:784
	s_wait_loadcnt_dscnt 0x0
	v_mul_f64_e32 v[10:11], v[15:16], v[8:9]
	v_mul_f64_e32 v[8:9], v[17:18], v[8:9]
	s_delay_alu instid0(VALU_DEP_2) | instskip(NEXT) | instid1(VALU_DEP_2)
	v_fma_f64 v[10:11], v[17:18], v[6:7], v[10:11]
	v_fma_f64 v[6:7], v[15:16], v[6:7], -v[8:9]
	s_delay_alu instid0(VALU_DEP_2) | instskip(NEXT) | instid1(VALU_DEP_2)
	v_add_f64_e32 v[3:4], v[3:4], v[10:11]
	v_add_f64_e32 v[1:2], v[1:2], v[6:7]
.LBB111_22:
	s_or_b32 exec_lo, exec_lo, s57
	v_mov_b32_e32 v6, 0
	ds_load_b128 v[6:9], v6 offset:32
	s_wait_dscnt 0x0
	v_mul_f64_e32 v[10:11], v[3:4], v[8:9]
	v_mul_f64_e32 v[8:9], v[1:2], v[8:9]
	s_delay_alu instid0(VALU_DEP_2) | instskip(NEXT) | instid1(VALU_DEP_2)
	v_fma_f64 v[1:2], v[1:2], v[6:7], -v[10:11]
	v_fma_f64 v[3:4], v[3:4], v[6:7], v[8:9]
	scratch_store_b128 off, v[1:4], off offset:48
.LBB111_23:
	s_wait_alu 0xfffe
	s_or_b32 exec_lo, exec_lo, s1
	s_wait_loadcnt 0x0
	s_wait_storecnt 0x0
	s_barrier_signal -1
	s_barrier_wait -1
	global_inv scope:SCOPE_SE
	scratch_load_b128 v[1:4], off, s10
	v_add_nc_u32_e32 v6, -1, v0
	s_mov_b32 s0, exec_lo
	s_wait_loadcnt 0x0
	ds_store_b128 v5, v[1:4]
	s_wait_dscnt 0x0
	s_barrier_signal -1
	s_barrier_wait -1
	global_inv scope:SCOPE_SE
	v_cmpx_gt_u32_e32 3, v0
	s_cbranch_execz .LBB111_27
; %bb.24:
	v_dual_mov_b32 v1, 0 :: v_dual_add_nc_u32 v8, 0x300, v13
	v_mov_b32_e32 v3, 0
	v_dual_mov_b32 v2, 0 :: v_dual_add_nc_u32 v7, -1, v0
	v_mov_b32_e32 v4, 0
	v_or_b32_e32 v9, 8, v14
	s_mov_b32 s1, 0
.LBB111_25:                             ; =>This Inner Loop Header: Depth=1
	scratch_load_b128 v[15:18], v9, off offset:-8
	ds_load_b128 v[19:22], v8
	v_add_nc_u32_e32 v7, 1, v7
	v_add_nc_u32_e32 v8, 16, v8
	v_add_nc_u32_e32 v9, 16, v9
	s_delay_alu instid0(VALU_DEP_3)
	v_cmp_lt_u32_e32 vcc_lo, 1, v7
	s_wait_alu 0xfffe
	s_or_b32 s1, vcc_lo, s1
	s_wait_loadcnt_dscnt 0x0
	v_mul_f64_e32 v[10:11], v[21:22], v[17:18]
	v_mul_f64_e32 v[17:18], v[19:20], v[17:18]
	s_delay_alu instid0(VALU_DEP_2) | instskip(NEXT) | instid1(VALU_DEP_2)
	v_fma_f64 v[10:11], v[19:20], v[15:16], -v[10:11]
	v_fma_f64 v[15:16], v[21:22], v[15:16], v[17:18]
	s_delay_alu instid0(VALU_DEP_2) | instskip(NEXT) | instid1(VALU_DEP_2)
	v_add_f64_e32 v[3:4], v[3:4], v[10:11]
	v_add_f64_e32 v[1:2], v[1:2], v[15:16]
	s_wait_alu 0xfffe
	s_and_not1_b32 exec_lo, exec_lo, s1
	s_cbranch_execnz .LBB111_25
; %bb.26:
	s_or_b32 exec_lo, exec_lo, s1
	v_mov_b32_e32 v7, 0
	ds_load_b128 v[7:10], v7 offset:48
	s_wait_dscnt 0x0
	v_mul_f64_e32 v[11:12], v[1:2], v[9:10]
	v_mul_f64_e32 v[15:16], v[3:4], v[9:10]
	s_delay_alu instid0(VALU_DEP_2) | instskip(NEXT) | instid1(VALU_DEP_2)
	v_fma_f64 v[9:10], v[3:4], v[7:8], -v[11:12]
	v_fma_f64 v[11:12], v[1:2], v[7:8], v[15:16]
	scratch_store_b128 off, v[9:12], off offset:64
.LBB111_27:
	s_wait_alu 0xfffe
	s_or_b32 exec_lo, exec_lo, s0
	s_wait_loadcnt 0x0
	s_wait_storecnt 0x0
	s_barrier_signal -1
	s_barrier_wait -1
	global_inv scope:SCOPE_SE
	scratch_load_b128 v[1:4], off, s4
	s_mov_b32 s0, exec_lo
	s_wait_loadcnt 0x0
	ds_store_b128 v5, v[1:4]
	s_wait_dscnt 0x0
	s_barrier_signal -1
	s_barrier_wait -1
	global_inv scope:SCOPE_SE
	v_cmpx_gt_u32_e32 4, v0
	s_cbranch_execz .LBB111_31
; %bb.28:
	v_dual_mov_b32 v1, 0 :: v_dual_add_nc_u32 v8, 0x300, v13
	v_mov_b32_e32 v3, 0
	v_dual_mov_b32 v2, 0 :: v_dual_add_nc_u32 v7, -1, v0
	v_mov_b32_e32 v4, 0
	v_or_b32_e32 v9, 8, v14
	s_mov_b32 s1, 0
.LBB111_29:                             ; =>This Inner Loop Header: Depth=1
	scratch_load_b128 v[15:18], v9, off offset:-8
	ds_load_b128 v[19:22], v8
	v_add_nc_u32_e32 v7, 1, v7
	v_add_nc_u32_e32 v8, 16, v8
	v_add_nc_u32_e32 v9, 16, v9
	s_delay_alu instid0(VALU_DEP_3)
	v_cmp_lt_u32_e32 vcc_lo, 2, v7
	s_wait_alu 0xfffe
	s_or_b32 s1, vcc_lo, s1
	s_wait_loadcnt_dscnt 0x0
	v_mul_f64_e32 v[10:11], v[21:22], v[17:18]
	v_mul_f64_e32 v[17:18], v[19:20], v[17:18]
	s_delay_alu instid0(VALU_DEP_2) | instskip(NEXT) | instid1(VALU_DEP_2)
	v_fma_f64 v[10:11], v[19:20], v[15:16], -v[10:11]
	v_fma_f64 v[15:16], v[21:22], v[15:16], v[17:18]
	s_delay_alu instid0(VALU_DEP_2) | instskip(NEXT) | instid1(VALU_DEP_2)
	v_add_f64_e32 v[3:4], v[3:4], v[10:11]
	v_add_f64_e32 v[1:2], v[1:2], v[15:16]
	s_wait_alu 0xfffe
	s_and_not1_b32 exec_lo, exec_lo, s1
	s_cbranch_execnz .LBB111_29
; %bb.30:
	s_or_b32 exec_lo, exec_lo, s1
	v_mov_b32_e32 v7, 0
	ds_load_b128 v[7:10], v7 offset:64
	s_wait_dscnt 0x0
	v_mul_f64_e32 v[11:12], v[1:2], v[9:10]
	v_mul_f64_e32 v[15:16], v[3:4], v[9:10]
	s_delay_alu instid0(VALU_DEP_2) | instskip(NEXT) | instid1(VALU_DEP_2)
	v_fma_f64 v[9:10], v[3:4], v[7:8], -v[11:12]
	v_fma_f64 v[11:12], v[1:2], v[7:8], v[15:16]
	scratch_store_b128 off, v[9:12], off offset:80
.LBB111_31:
	s_wait_alu 0xfffe
	s_or_b32 exec_lo, exec_lo, s0
	s_wait_loadcnt 0x0
	s_wait_storecnt 0x0
	s_barrier_signal -1
	s_barrier_wait -1
	global_inv scope:SCOPE_SE
	scratch_load_b128 v[1:4], off, s56
	;; [unrolled: 58-line block ×19, first 2 shown]
	s_mov_b32 s0, exec_lo
	s_wait_loadcnt 0x0
	ds_store_b128 v5, v[1:4]
	s_wait_dscnt 0x0
	s_barrier_signal -1
	s_barrier_wait -1
	global_inv scope:SCOPE_SE
	v_cmpx_gt_u32_e32 22, v0
	s_cbranch_execz .LBB111_103
; %bb.100:
	v_dual_mov_b32 v1, 0 :: v_dual_add_nc_u32 v8, 0x300, v13
	v_mov_b32_e32 v3, 0
	v_dual_mov_b32 v2, 0 :: v_dual_add_nc_u32 v7, -1, v0
	v_mov_b32_e32 v4, 0
	v_or_b32_e32 v9, 8, v14
	s_mov_b32 s1, 0
.LBB111_101:                            ; =>This Inner Loop Header: Depth=1
	scratch_load_b128 v[15:18], v9, off offset:-8
	ds_load_b128 v[19:22], v8
	v_add_nc_u32_e32 v7, 1, v7
	v_add_nc_u32_e32 v8, 16, v8
	v_add_nc_u32_e32 v9, 16, v9
	s_delay_alu instid0(VALU_DEP_3)
	v_cmp_lt_u32_e32 vcc_lo, 20, v7
	s_wait_alu 0xfffe
	s_or_b32 s1, vcc_lo, s1
	s_wait_loadcnt_dscnt 0x0
	v_mul_f64_e32 v[10:11], v[21:22], v[17:18]
	v_mul_f64_e32 v[17:18], v[19:20], v[17:18]
	s_delay_alu instid0(VALU_DEP_2) | instskip(NEXT) | instid1(VALU_DEP_2)
	v_fma_f64 v[10:11], v[19:20], v[15:16], -v[10:11]
	v_fma_f64 v[15:16], v[21:22], v[15:16], v[17:18]
	s_delay_alu instid0(VALU_DEP_2) | instskip(NEXT) | instid1(VALU_DEP_2)
	v_add_f64_e32 v[3:4], v[3:4], v[10:11]
	v_add_f64_e32 v[1:2], v[1:2], v[15:16]
	s_wait_alu 0xfffe
	s_and_not1_b32 exec_lo, exec_lo, s1
	s_cbranch_execnz .LBB111_101
; %bb.102:
	s_or_b32 exec_lo, exec_lo, s1
	v_mov_b32_e32 v7, 0
	ds_load_b128 v[7:10], v7 offset:352
	s_wait_dscnt 0x0
	v_mul_f64_e32 v[11:12], v[1:2], v[9:10]
	v_mul_f64_e32 v[15:16], v[3:4], v[9:10]
	s_delay_alu instid0(VALU_DEP_2) | instskip(NEXT) | instid1(VALU_DEP_2)
	v_fma_f64 v[9:10], v[3:4], v[7:8], -v[11:12]
	v_fma_f64 v[11:12], v[1:2], v[7:8], v[15:16]
	scratch_store_b128 off, v[9:12], off offset:368
.LBB111_103:
	s_wait_alu 0xfffe
	s_or_b32 exec_lo, exec_lo, s0
	s_wait_loadcnt 0x0
	s_wait_storecnt 0x0
	s_barrier_signal -1
	s_barrier_wait -1
	global_inv scope:SCOPE_SE
	scratch_load_b128 v[1:4], off, s38
	s_mov_b32 s0, exec_lo
	s_wait_loadcnt 0x0
	ds_store_b128 v5, v[1:4]
	s_wait_dscnt 0x0
	s_barrier_signal -1
	s_barrier_wait -1
	global_inv scope:SCOPE_SE
	v_cmpx_gt_u32_e32 23, v0
	s_cbranch_execz .LBB111_107
; %bb.104:
	v_dual_mov_b32 v1, 0 :: v_dual_add_nc_u32 v8, 0x300, v13
	v_mov_b32_e32 v3, 0
	v_dual_mov_b32 v2, 0 :: v_dual_add_nc_u32 v7, -1, v0
	v_mov_b32_e32 v4, 0
	v_or_b32_e32 v9, 8, v14
	s_mov_b32 s1, 0
.LBB111_105:                            ; =>This Inner Loop Header: Depth=1
	scratch_load_b128 v[15:18], v9, off offset:-8
	ds_load_b128 v[19:22], v8
	v_add_nc_u32_e32 v7, 1, v7
	v_add_nc_u32_e32 v8, 16, v8
	v_add_nc_u32_e32 v9, 16, v9
	s_delay_alu instid0(VALU_DEP_3)
	v_cmp_lt_u32_e32 vcc_lo, 21, v7
	s_wait_alu 0xfffe
	s_or_b32 s1, vcc_lo, s1
	s_wait_loadcnt_dscnt 0x0
	v_mul_f64_e32 v[10:11], v[21:22], v[17:18]
	v_mul_f64_e32 v[17:18], v[19:20], v[17:18]
	s_delay_alu instid0(VALU_DEP_2) | instskip(NEXT) | instid1(VALU_DEP_2)
	v_fma_f64 v[10:11], v[19:20], v[15:16], -v[10:11]
	v_fma_f64 v[15:16], v[21:22], v[15:16], v[17:18]
	s_delay_alu instid0(VALU_DEP_2) | instskip(NEXT) | instid1(VALU_DEP_2)
	v_add_f64_e32 v[3:4], v[3:4], v[10:11]
	v_add_f64_e32 v[1:2], v[1:2], v[15:16]
	s_wait_alu 0xfffe
	s_and_not1_b32 exec_lo, exec_lo, s1
	s_cbranch_execnz .LBB111_105
; %bb.106:
	s_or_b32 exec_lo, exec_lo, s1
	v_mov_b32_e32 v7, 0
	ds_load_b128 v[7:10], v7 offset:368
	s_wait_dscnt 0x0
	v_mul_f64_e32 v[11:12], v[1:2], v[9:10]
	v_mul_f64_e32 v[15:16], v[3:4], v[9:10]
	s_delay_alu instid0(VALU_DEP_2) | instskip(NEXT) | instid1(VALU_DEP_2)
	v_fma_f64 v[9:10], v[3:4], v[7:8], -v[11:12]
	v_fma_f64 v[11:12], v[1:2], v[7:8], v[15:16]
	scratch_store_b128 off, v[9:12], off offset:384
.LBB111_107:
	s_wait_alu 0xfffe
	s_or_b32 exec_lo, exec_lo, s0
	s_wait_loadcnt 0x0
	s_wait_storecnt 0x0
	s_barrier_signal -1
	s_barrier_wait -1
	global_inv scope:SCOPE_SE
	scratch_load_b128 v[1:4], off, s37
	;; [unrolled: 58-line block ×25, first 2 shown]
	s_mov_b32 s0, exec_lo
	s_wait_loadcnt 0x0
	ds_store_b128 v5, v[1:4]
	s_wait_dscnt 0x0
	s_barrier_signal -1
	s_barrier_wait -1
	global_inv scope:SCOPE_SE
	v_cmpx_ne_u32_e32 47, v0
	s_cbranch_execz .LBB111_203
; %bb.200:
	v_mov_b32_e32 v1, 0
	v_dual_mov_b32 v2, 0 :: v_dual_mov_b32 v3, 0
	v_mov_b32_e32 v4, 0
	v_or_b32_e32 v7, 8, v14
	s_mov_b32 s1, 0
.LBB111_201:                            ; =>This Inner Loop Header: Depth=1
	scratch_load_b128 v[8:11], v7, off offset:-8
	ds_load_b128 v[12:15], v5
	v_add_nc_u32_e32 v6, 1, v6
	v_add_nc_u32_e32 v5, 16, v5
	;; [unrolled: 1-line block ×3, first 2 shown]
	s_delay_alu instid0(VALU_DEP_3)
	v_cmp_lt_u32_e32 vcc_lo, 45, v6
	s_wait_alu 0xfffe
	s_or_b32 s1, vcc_lo, s1
	s_wait_loadcnt_dscnt 0x0
	v_mul_f64_e32 v[16:17], v[14:15], v[10:11]
	v_mul_f64_e32 v[10:11], v[12:13], v[10:11]
	s_delay_alu instid0(VALU_DEP_2) | instskip(NEXT) | instid1(VALU_DEP_2)
	v_fma_f64 v[12:13], v[12:13], v[8:9], -v[16:17]
	v_fma_f64 v[8:9], v[14:15], v[8:9], v[10:11]
	s_delay_alu instid0(VALU_DEP_2) | instskip(NEXT) | instid1(VALU_DEP_2)
	v_add_f64_e32 v[3:4], v[3:4], v[12:13]
	v_add_f64_e32 v[1:2], v[1:2], v[8:9]
	s_wait_alu 0xfffe
	s_and_not1_b32 exec_lo, exec_lo, s1
	s_cbranch_execnz .LBB111_201
; %bb.202:
	s_or_b32 exec_lo, exec_lo, s1
	v_mov_b32_e32 v5, 0
	ds_load_b128 v[5:8], v5 offset:752
	s_wait_dscnt 0x0
	v_mul_f64_e32 v[9:10], v[1:2], v[7:8]
	v_mul_f64_e32 v[7:8], v[3:4], v[7:8]
	s_delay_alu instid0(VALU_DEP_2) | instskip(NEXT) | instid1(VALU_DEP_2)
	v_fma_f64 v[3:4], v[3:4], v[5:6], -v[9:10]
	v_fma_f64 v[5:6], v[1:2], v[5:6], v[7:8]
	scratch_store_b128 off, v[3:6], off offset:768
.LBB111_203:
	s_wait_alu 0xfffe
	s_or_b32 exec_lo, exec_lo, s0
	s_mov_b32 s1, -1
	s_wait_loadcnt 0x0
	s_wait_storecnt 0x0
	s_barrier_signal -1
	s_barrier_wait -1
	global_inv scope:SCOPE_SE
.LBB111_204:
	s_wait_alu 0xfffe
	s_and_b32 vcc_lo, exec_lo, s1
	s_wait_alu 0xfffe
	s_cbranch_vccz .LBB111_206
; %bb.205:
	v_mov_b32_e32 v1, 0
	s_lshl_b64 s[0:1], s[8:9], 2
	s_wait_alu 0xfffe
	s_add_nc_u64 s[0:1], s[6:7], s[0:1]
	global_load_b32 v1, v1, s[0:1]
	s_wait_loadcnt 0x0
	v_cmp_ne_u32_e32 vcc_lo, 0, v1
	s_cbranch_vccz .LBB111_207
.LBB111_206:
	s_nop 0
	s_sendmsg sendmsg(MSG_DEALLOC_VGPRS)
	s_endpgm
.LBB111_207:
	v_lshl_add_u32 v138, v0, 4, 0x300
	s_mov_b32 s0, exec_lo
	v_cmpx_eq_u32_e32 47, v0
	s_cbranch_execz .LBB111_209
; %bb.208:
	scratch_load_b128 v[1:4], off, s11
	v_mov_b32_e32 v5, 0
	s_delay_alu instid0(VALU_DEP_1)
	v_dual_mov_b32 v6, v5 :: v_dual_mov_b32 v7, v5
	v_mov_b32_e32 v8, v5
	scratch_store_b128 off, v[5:8], off offset:752
	s_wait_loadcnt 0x0
	ds_store_b128 v138, v[1:4]
.LBB111_209:
	s_wait_alu 0xfffe
	s_or_b32 exec_lo, exec_lo, s0
	s_wait_storecnt_dscnt 0x0
	s_barrier_signal -1
	s_barrier_wait -1
	global_inv scope:SCOPE_SE
	s_clause 0x1
	scratch_load_b128 v[2:5], off, off offset:768
	scratch_load_b128 v[6:9], off, off offset:752
	v_mov_b32_e32 v1, 0
	s_mov_b32 s0, exec_lo
	ds_load_b128 v[10:13], v1 offset:1520
	s_wait_loadcnt_dscnt 0x100
	v_mul_f64_e32 v[14:15], v[12:13], v[4:5]
	v_mul_f64_e32 v[4:5], v[10:11], v[4:5]
	s_delay_alu instid0(VALU_DEP_2) | instskip(NEXT) | instid1(VALU_DEP_2)
	v_fma_f64 v[10:11], v[10:11], v[2:3], -v[14:15]
	v_fma_f64 v[2:3], v[12:13], v[2:3], v[4:5]
	s_delay_alu instid0(VALU_DEP_2) | instskip(NEXT) | instid1(VALU_DEP_2)
	v_add_f64_e32 v[4:5], 0, v[10:11]
	v_add_f64_e32 v[10:11], 0, v[2:3]
	s_wait_loadcnt 0x0
	s_delay_alu instid0(VALU_DEP_2) | instskip(NEXT) | instid1(VALU_DEP_2)
	v_add_f64_e64 v[2:3], v[6:7], -v[4:5]
	v_add_f64_e64 v[4:5], v[8:9], -v[10:11]
	scratch_store_b128 off, v[2:5], off offset:752
	v_cmpx_lt_u32_e32 45, v0
	s_cbranch_execz .LBB111_211
; %bb.210:
	scratch_load_b128 v[5:8], off, s14
	v_dual_mov_b32 v2, v1 :: v_dual_mov_b32 v3, v1
	v_mov_b32_e32 v4, v1
	scratch_store_b128 off, v[1:4], off offset:736
	s_wait_loadcnt 0x0
	ds_store_b128 v138, v[5:8]
.LBB111_211:
	s_wait_alu 0xfffe
	s_or_b32 exec_lo, exec_lo, s0
	s_wait_storecnt_dscnt 0x0
	s_barrier_signal -1
	s_barrier_wait -1
	global_inv scope:SCOPE_SE
	s_clause 0x2
	scratch_load_b128 v[2:5], off, off offset:752
	scratch_load_b128 v[6:9], off, off offset:768
	;; [unrolled: 1-line block ×3, first 2 shown]
	ds_load_b128 v[14:17], v1 offset:1504
	ds_load_b128 v[18:21], v1 offset:1520
	s_mov_b32 s0, exec_lo
	s_wait_loadcnt_dscnt 0x201
	v_mul_f64_e32 v[22:23], v[16:17], v[4:5]
	v_mul_f64_e32 v[4:5], v[14:15], v[4:5]
	s_wait_loadcnt_dscnt 0x100
	v_mul_f64_e32 v[24:25], v[18:19], v[8:9]
	v_mul_f64_e32 v[8:9], v[20:21], v[8:9]
	s_delay_alu instid0(VALU_DEP_4) | instskip(NEXT) | instid1(VALU_DEP_4)
	v_fma_f64 v[14:15], v[14:15], v[2:3], -v[22:23]
	v_fma_f64 v[1:2], v[16:17], v[2:3], v[4:5]
	s_delay_alu instid0(VALU_DEP_4) | instskip(NEXT) | instid1(VALU_DEP_4)
	v_fma_f64 v[3:4], v[20:21], v[6:7], v[24:25]
	v_fma_f64 v[5:6], v[18:19], v[6:7], -v[8:9]
	s_delay_alu instid0(VALU_DEP_4) | instskip(NEXT) | instid1(VALU_DEP_4)
	v_add_f64_e32 v[7:8], 0, v[14:15]
	v_add_f64_e32 v[1:2], 0, v[1:2]
	s_delay_alu instid0(VALU_DEP_2) | instskip(NEXT) | instid1(VALU_DEP_2)
	v_add_f64_e32 v[5:6], v[7:8], v[5:6]
	v_add_f64_e32 v[3:4], v[1:2], v[3:4]
	s_wait_loadcnt 0x0
	s_delay_alu instid0(VALU_DEP_2) | instskip(NEXT) | instid1(VALU_DEP_2)
	v_add_f64_e64 v[1:2], v[10:11], -v[5:6]
	v_add_f64_e64 v[3:4], v[12:13], -v[3:4]
	scratch_store_b128 off, v[1:4], off offset:736
	v_cmpx_lt_u32_e32 44, v0
	s_cbranch_execz .LBB111_213
; %bb.212:
	scratch_load_b128 v[1:4], off, s16
	v_mov_b32_e32 v5, 0
	s_delay_alu instid0(VALU_DEP_1)
	v_dual_mov_b32 v6, v5 :: v_dual_mov_b32 v7, v5
	v_mov_b32_e32 v8, v5
	scratch_store_b128 off, v[5:8], off offset:720
	s_wait_loadcnt 0x0
	ds_store_b128 v138, v[1:4]
.LBB111_213:
	s_wait_alu 0xfffe
	s_or_b32 exec_lo, exec_lo, s0
	s_wait_storecnt_dscnt 0x0
	s_barrier_signal -1
	s_barrier_wait -1
	global_inv scope:SCOPE_SE
	s_clause 0x3
	scratch_load_b128 v[2:5], off, off offset:736
	scratch_load_b128 v[6:9], off, off offset:752
	;; [unrolled: 1-line block ×4, first 2 shown]
	v_mov_b32_e32 v1, 0
	ds_load_b128 v[18:21], v1 offset:1488
	ds_load_b128 v[22:25], v1 offset:1504
	s_mov_b32 s0, exec_lo
	s_wait_loadcnt_dscnt 0x301
	v_mul_f64_e32 v[26:27], v[20:21], v[4:5]
	v_mul_f64_e32 v[4:5], v[18:19], v[4:5]
	s_wait_loadcnt_dscnt 0x200
	v_mul_f64_e32 v[28:29], v[22:23], v[8:9]
	v_mul_f64_e32 v[8:9], v[24:25], v[8:9]
	s_delay_alu instid0(VALU_DEP_4) | instskip(NEXT) | instid1(VALU_DEP_4)
	v_fma_f64 v[18:19], v[18:19], v[2:3], -v[26:27]
	v_fma_f64 v[20:21], v[20:21], v[2:3], v[4:5]
	ds_load_b128 v[2:5], v1 offset:1520
	v_fma_f64 v[24:25], v[24:25], v[6:7], v[28:29]
	v_fma_f64 v[6:7], v[22:23], v[6:7], -v[8:9]
	s_wait_loadcnt_dscnt 0x100
	v_mul_f64_e32 v[26:27], v[2:3], v[12:13]
	v_mul_f64_e32 v[12:13], v[4:5], v[12:13]
	v_add_f64_e32 v[8:9], 0, v[18:19]
	v_add_f64_e32 v[18:19], 0, v[20:21]
	s_delay_alu instid0(VALU_DEP_4) | instskip(NEXT) | instid1(VALU_DEP_4)
	v_fma_f64 v[4:5], v[4:5], v[10:11], v[26:27]
	v_fma_f64 v[2:3], v[2:3], v[10:11], -v[12:13]
	s_delay_alu instid0(VALU_DEP_4) | instskip(NEXT) | instid1(VALU_DEP_4)
	v_add_f64_e32 v[6:7], v[8:9], v[6:7]
	v_add_f64_e32 v[8:9], v[18:19], v[24:25]
	s_delay_alu instid0(VALU_DEP_2) | instskip(NEXT) | instid1(VALU_DEP_2)
	v_add_f64_e32 v[2:3], v[6:7], v[2:3]
	v_add_f64_e32 v[4:5], v[8:9], v[4:5]
	s_wait_loadcnt 0x0
	s_delay_alu instid0(VALU_DEP_2) | instskip(NEXT) | instid1(VALU_DEP_2)
	v_add_f64_e64 v[2:3], v[14:15], -v[2:3]
	v_add_f64_e64 v[4:5], v[16:17], -v[4:5]
	scratch_store_b128 off, v[2:5], off offset:720
	v_cmpx_lt_u32_e32 43, v0
	s_cbranch_execz .LBB111_215
; %bb.214:
	scratch_load_b128 v[5:8], off, s17
	v_dual_mov_b32 v2, v1 :: v_dual_mov_b32 v3, v1
	v_mov_b32_e32 v4, v1
	scratch_store_b128 off, v[1:4], off offset:704
	s_wait_loadcnt 0x0
	ds_store_b128 v138, v[5:8]
.LBB111_215:
	s_wait_alu 0xfffe
	s_or_b32 exec_lo, exec_lo, s0
	s_wait_storecnt_dscnt 0x0
	s_barrier_signal -1
	s_barrier_wait -1
	global_inv scope:SCOPE_SE
	s_clause 0x4
	scratch_load_b128 v[2:5], off, off offset:720
	scratch_load_b128 v[6:9], off, off offset:736
	;; [unrolled: 1-line block ×5, first 2 shown]
	ds_load_b128 v[22:25], v1 offset:1472
	ds_load_b128 v[26:29], v1 offset:1488
	s_mov_b32 s0, exec_lo
	s_wait_loadcnt_dscnt 0x401
	v_mul_f64_e32 v[30:31], v[24:25], v[4:5]
	v_mul_f64_e32 v[4:5], v[22:23], v[4:5]
	s_wait_loadcnt_dscnt 0x300
	v_mul_f64_e32 v[32:33], v[26:27], v[8:9]
	v_mul_f64_e32 v[8:9], v[28:29], v[8:9]
	s_delay_alu instid0(VALU_DEP_4) | instskip(NEXT) | instid1(VALU_DEP_4)
	v_fma_f64 v[30:31], v[22:23], v[2:3], -v[30:31]
	v_fma_f64 v[34:35], v[24:25], v[2:3], v[4:5]
	ds_load_b128 v[2:5], v1 offset:1504
	ds_load_b128 v[22:25], v1 offset:1520
	v_fma_f64 v[28:29], v[28:29], v[6:7], v[32:33]
	v_fma_f64 v[6:7], v[26:27], v[6:7], -v[8:9]
	s_wait_loadcnt_dscnt 0x201
	v_mul_f64_e32 v[36:37], v[2:3], v[12:13]
	v_mul_f64_e32 v[12:13], v[4:5], v[12:13]
	v_add_f64_e32 v[8:9], 0, v[30:31]
	v_add_f64_e32 v[26:27], 0, v[34:35]
	s_wait_loadcnt_dscnt 0x100
	v_mul_f64_e32 v[30:31], v[22:23], v[16:17]
	v_mul_f64_e32 v[16:17], v[24:25], v[16:17]
	v_fma_f64 v[4:5], v[4:5], v[10:11], v[36:37]
	v_fma_f64 v[1:2], v[2:3], v[10:11], -v[12:13]
	v_add_f64_e32 v[6:7], v[8:9], v[6:7]
	v_add_f64_e32 v[8:9], v[26:27], v[28:29]
	v_fma_f64 v[10:11], v[24:25], v[14:15], v[30:31]
	v_fma_f64 v[12:13], v[22:23], v[14:15], -v[16:17]
	s_delay_alu instid0(VALU_DEP_4) | instskip(NEXT) | instid1(VALU_DEP_4)
	v_add_f64_e32 v[1:2], v[6:7], v[1:2]
	v_add_f64_e32 v[3:4], v[8:9], v[4:5]
	s_delay_alu instid0(VALU_DEP_2) | instskip(NEXT) | instid1(VALU_DEP_2)
	v_add_f64_e32 v[1:2], v[1:2], v[12:13]
	v_add_f64_e32 v[3:4], v[3:4], v[10:11]
	s_wait_loadcnt 0x0
	s_delay_alu instid0(VALU_DEP_2) | instskip(NEXT) | instid1(VALU_DEP_2)
	v_add_f64_e64 v[1:2], v[18:19], -v[1:2]
	v_add_f64_e64 v[3:4], v[20:21], -v[3:4]
	scratch_store_b128 off, v[1:4], off offset:704
	v_cmpx_lt_u32_e32 42, v0
	s_cbranch_execz .LBB111_217
; %bb.216:
	scratch_load_b128 v[1:4], off, s18
	v_mov_b32_e32 v5, 0
	s_delay_alu instid0(VALU_DEP_1)
	v_dual_mov_b32 v6, v5 :: v_dual_mov_b32 v7, v5
	v_mov_b32_e32 v8, v5
	scratch_store_b128 off, v[5:8], off offset:688
	s_wait_loadcnt 0x0
	ds_store_b128 v138, v[1:4]
.LBB111_217:
	s_wait_alu 0xfffe
	s_or_b32 exec_lo, exec_lo, s0
	s_wait_storecnt_dscnt 0x0
	s_barrier_signal -1
	s_barrier_wait -1
	global_inv scope:SCOPE_SE
	s_clause 0x5
	scratch_load_b128 v[2:5], off, off offset:704
	scratch_load_b128 v[6:9], off, off offset:720
	;; [unrolled: 1-line block ×6, first 2 shown]
	v_mov_b32_e32 v1, 0
	ds_load_b128 v[26:29], v1 offset:1456
	ds_load_b128 v[30:33], v1 offset:1472
	s_mov_b32 s0, exec_lo
	s_wait_loadcnt_dscnt 0x501
	v_mul_f64_e32 v[34:35], v[28:29], v[4:5]
	v_mul_f64_e32 v[4:5], v[26:27], v[4:5]
	s_wait_loadcnt_dscnt 0x400
	v_mul_f64_e32 v[36:37], v[30:31], v[8:9]
	v_mul_f64_e32 v[8:9], v[32:33], v[8:9]
	s_delay_alu instid0(VALU_DEP_4) | instskip(NEXT) | instid1(VALU_DEP_4)
	v_fma_f64 v[34:35], v[26:27], v[2:3], -v[34:35]
	v_fma_f64 v[38:39], v[28:29], v[2:3], v[4:5]
	ds_load_b128 v[2:5], v1 offset:1488
	ds_load_b128 v[26:29], v1 offset:1504
	v_fma_f64 v[32:33], v[32:33], v[6:7], v[36:37]
	v_fma_f64 v[6:7], v[30:31], v[6:7], -v[8:9]
	s_wait_loadcnt_dscnt 0x301
	v_mul_f64_e32 v[40:41], v[2:3], v[12:13]
	v_mul_f64_e32 v[12:13], v[4:5], v[12:13]
	v_add_f64_e32 v[8:9], 0, v[34:35]
	v_add_f64_e32 v[30:31], 0, v[38:39]
	s_wait_loadcnt_dscnt 0x200
	v_mul_f64_e32 v[34:35], v[26:27], v[16:17]
	v_mul_f64_e32 v[16:17], v[28:29], v[16:17]
	v_fma_f64 v[36:37], v[4:5], v[10:11], v[40:41]
	v_fma_f64 v[10:11], v[2:3], v[10:11], -v[12:13]
	ds_load_b128 v[2:5], v1 offset:1520
	v_add_f64_e32 v[6:7], v[8:9], v[6:7]
	v_add_f64_e32 v[8:9], v[30:31], v[32:33]
	v_fma_f64 v[28:29], v[28:29], v[14:15], v[34:35]
	v_fma_f64 v[14:15], v[26:27], v[14:15], -v[16:17]
	s_wait_loadcnt_dscnt 0x100
	v_mul_f64_e32 v[12:13], v[2:3], v[20:21]
	v_mul_f64_e32 v[20:21], v[4:5], v[20:21]
	v_add_f64_e32 v[6:7], v[6:7], v[10:11]
	v_add_f64_e32 v[8:9], v[8:9], v[36:37]
	s_delay_alu instid0(VALU_DEP_4) | instskip(NEXT) | instid1(VALU_DEP_4)
	v_fma_f64 v[4:5], v[4:5], v[18:19], v[12:13]
	v_fma_f64 v[2:3], v[2:3], v[18:19], -v[20:21]
	s_delay_alu instid0(VALU_DEP_4) | instskip(NEXT) | instid1(VALU_DEP_4)
	v_add_f64_e32 v[6:7], v[6:7], v[14:15]
	v_add_f64_e32 v[8:9], v[8:9], v[28:29]
	s_delay_alu instid0(VALU_DEP_2) | instskip(NEXT) | instid1(VALU_DEP_2)
	v_add_f64_e32 v[2:3], v[6:7], v[2:3]
	v_add_f64_e32 v[4:5], v[8:9], v[4:5]
	s_wait_loadcnt 0x0
	s_delay_alu instid0(VALU_DEP_2) | instskip(NEXT) | instid1(VALU_DEP_2)
	v_add_f64_e64 v[2:3], v[22:23], -v[2:3]
	v_add_f64_e64 v[4:5], v[24:25], -v[4:5]
	scratch_store_b128 off, v[2:5], off offset:688
	v_cmpx_lt_u32_e32 41, v0
	s_cbranch_execz .LBB111_219
; %bb.218:
	scratch_load_b128 v[5:8], off, s19
	v_dual_mov_b32 v2, v1 :: v_dual_mov_b32 v3, v1
	v_mov_b32_e32 v4, v1
	scratch_store_b128 off, v[1:4], off offset:672
	s_wait_loadcnt 0x0
	ds_store_b128 v138, v[5:8]
.LBB111_219:
	s_wait_alu 0xfffe
	s_or_b32 exec_lo, exec_lo, s0
	s_wait_storecnt_dscnt 0x0
	s_barrier_signal -1
	s_barrier_wait -1
	global_inv scope:SCOPE_SE
	s_clause 0x5
	scratch_load_b128 v[2:5], off, off offset:688
	scratch_load_b128 v[6:9], off, off offset:704
	;; [unrolled: 1-line block ×6, first 2 shown]
	ds_load_b128 v[26:29], v1 offset:1440
	ds_load_b128 v[34:37], v1 offset:1456
	scratch_load_b128 v[30:33], off, off offset:672
	s_mov_b32 s0, exec_lo
	s_wait_loadcnt_dscnt 0x601
	v_mul_f64_e32 v[38:39], v[28:29], v[4:5]
	v_mul_f64_e32 v[4:5], v[26:27], v[4:5]
	s_wait_loadcnt_dscnt 0x500
	v_mul_f64_e32 v[40:41], v[34:35], v[8:9]
	v_mul_f64_e32 v[8:9], v[36:37], v[8:9]
	s_delay_alu instid0(VALU_DEP_4) | instskip(NEXT) | instid1(VALU_DEP_4)
	v_fma_f64 v[38:39], v[26:27], v[2:3], -v[38:39]
	v_fma_f64 v[139:140], v[28:29], v[2:3], v[4:5]
	ds_load_b128 v[2:5], v1 offset:1472
	ds_load_b128 v[26:29], v1 offset:1488
	v_fma_f64 v[36:37], v[36:37], v[6:7], v[40:41]
	v_fma_f64 v[6:7], v[34:35], v[6:7], -v[8:9]
	s_wait_loadcnt_dscnt 0x401
	v_mul_f64_e32 v[141:142], v[2:3], v[12:13]
	v_mul_f64_e32 v[12:13], v[4:5], v[12:13]
	v_add_f64_e32 v[8:9], 0, v[38:39]
	v_add_f64_e32 v[34:35], 0, v[139:140]
	s_wait_loadcnt_dscnt 0x300
	v_mul_f64_e32 v[38:39], v[26:27], v[16:17]
	v_mul_f64_e32 v[16:17], v[28:29], v[16:17]
	v_fma_f64 v[40:41], v[4:5], v[10:11], v[141:142]
	v_fma_f64 v[10:11], v[2:3], v[10:11], -v[12:13]
	v_add_f64_e32 v[12:13], v[8:9], v[6:7]
	v_add_f64_e32 v[34:35], v[34:35], v[36:37]
	ds_load_b128 v[2:5], v1 offset:1504
	ds_load_b128 v[6:9], v1 offset:1520
	v_fma_f64 v[28:29], v[28:29], v[14:15], v[38:39]
	v_fma_f64 v[14:15], v[26:27], v[14:15], -v[16:17]
	s_wait_loadcnt_dscnt 0x201
	v_mul_f64_e32 v[36:37], v[2:3], v[20:21]
	v_mul_f64_e32 v[20:21], v[4:5], v[20:21]
	s_wait_loadcnt_dscnt 0x100
	v_mul_f64_e32 v[16:17], v[6:7], v[24:25]
	v_mul_f64_e32 v[24:25], v[8:9], v[24:25]
	v_add_f64_e32 v[10:11], v[12:13], v[10:11]
	v_add_f64_e32 v[12:13], v[34:35], v[40:41]
	v_fma_f64 v[4:5], v[4:5], v[18:19], v[36:37]
	v_fma_f64 v[1:2], v[2:3], v[18:19], -v[20:21]
	v_fma_f64 v[8:9], v[8:9], v[22:23], v[16:17]
	v_fma_f64 v[6:7], v[6:7], v[22:23], -v[24:25]
	v_add_f64_e32 v[10:11], v[10:11], v[14:15]
	v_add_f64_e32 v[12:13], v[12:13], v[28:29]
	s_delay_alu instid0(VALU_DEP_2) | instskip(NEXT) | instid1(VALU_DEP_2)
	v_add_f64_e32 v[1:2], v[10:11], v[1:2]
	v_add_f64_e32 v[3:4], v[12:13], v[4:5]
	s_delay_alu instid0(VALU_DEP_2) | instskip(NEXT) | instid1(VALU_DEP_2)
	v_add_f64_e32 v[1:2], v[1:2], v[6:7]
	v_add_f64_e32 v[3:4], v[3:4], v[8:9]
	s_wait_loadcnt 0x0
	s_delay_alu instid0(VALU_DEP_2) | instskip(NEXT) | instid1(VALU_DEP_2)
	v_add_f64_e64 v[1:2], v[30:31], -v[1:2]
	v_add_f64_e64 v[3:4], v[32:33], -v[3:4]
	scratch_store_b128 off, v[1:4], off offset:672
	v_cmpx_lt_u32_e32 40, v0
	s_cbranch_execz .LBB111_221
; %bb.220:
	scratch_load_b128 v[1:4], off, s20
	v_mov_b32_e32 v5, 0
	s_delay_alu instid0(VALU_DEP_1)
	v_dual_mov_b32 v6, v5 :: v_dual_mov_b32 v7, v5
	v_mov_b32_e32 v8, v5
	scratch_store_b128 off, v[5:8], off offset:656
	s_wait_loadcnt 0x0
	ds_store_b128 v138, v[1:4]
.LBB111_221:
	s_wait_alu 0xfffe
	s_or_b32 exec_lo, exec_lo, s0
	s_wait_storecnt_dscnt 0x0
	s_barrier_signal -1
	s_barrier_wait -1
	global_inv scope:SCOPE_SE
	s_clause 0x6
	scratch_load_b128 v[2:5], off, off offset:672
	scratch_load_b128 v[6:9], off, off offset:688
	;; [unrolled: 1-line block ×7, first 2 shown]
	v_mov_b32_e32 v1, 0
	scratch_load_b128 v[34:37], off, off offset:656
	s_mov_b32 s0, exec_lo
	ds_load_b128 v[30:33], v1 offset:1424
	ds_load_b128 v[38:41], v1 offset:1440
	s_wait_loadcnt_dscnt 0x701
	v_mul_f64_e32 v[139:140], v[32:33], v[4:5]
	v_mul_f64_e32 v[4:5], v[30:31], v[4:5]
	s_wait_loadcnt_dscnt 0x600
	v_mul_f64_e32 v[141:142], v[38:39], v[8:9]
	v_mul_f64_e32 v[8:9], v[40:41], v[8:9]
	s_delay_alu instid0(VALU_DEP_4) | instskip(NEXT) | instid1(VALU_DEP_4)
	v_fma_f64 v[139:140], v[30:31], v[2:3], -v[139:140]
	v_fma_f64 v[143:144], v[32:33], v[2:3], v[4:5]
	ds_load_b128 v[2:5], v1 offset:1456
	ds_load_b128 v[30:33], v1 offset:1472
	v_fma_f64 v[40:41], v[40:41], v[6:7], v[141:142]
	v_fma_f64 v[6:7], v[38:39], v[6:7], -v[8:9]
	s_wait_loadcnt_dscnt 0x501
	v_mul_f64_e32 v[145:146], v[2:3], v[12:13]
	v_mul_f64_e32 v[12:13], v[4:5], v[12:13]
	v_add_f64_e32 v[8:9], 0, v[139:140]
	v_add_f64_e32 v[38:39], 0, v[143:144]
	s_wait_loadcnt_dscnt 0x400
	v_mul_f64_e32 v[139:140], v[30:31], v[16:17]
	v_mul_f64_e32 v[16:17], v[32:33], v[16:17]
	v_fma_f64 v[141:142], v[4:5], v[10:11], v[145:146]
	v_fma_f64 v[10:11], v[2:3], v[10:11], -v[12:13]
	v_add_f64_e32 v[12:13], v[8:9], v[6:7]
	v_add_f64_e32 v[38:39], v[38:39], v[40:41]
	ds_load_b128 v[2:5], v1 offset:1488
	ds_load_b128 v[6:9], v1 offset:1504
	v_fma_f64 v[32:33], v[32:33], v[14:15], v[139:140]
	v_fma_f64 v[14:15], v[30:31], v[14:15], -v[16:17]
	s_wait_loadcnt_dscnt 0x301
	v_mul_f64_e32 v[40:41], v[2:3], v[20:21]
	v_mul_f64_e32 v[20:21], v[4:5], v[20:21]
	s_wait_loadcnt_dscnt 0x200
	v_mul_f64_e32 v[16:17], v[6:7], v[24:25]
	v_mul_f64_e32 v[24:25], v[8:9], v[24:25]
	v_add_f64_e32 v[10:11], v[12:13], v[10:11]
	v_add_f64_e32 v[12:13], v[38:39], v[141:142]
	v_fma_f64 v[30:31], v[4:5], v[18:19], v[40:41]
	v_fma_f64 v[18:19], v[2:3], v[18:19], -v[20:21]
	ds_load_b128 v[2:5], v1 offset:1520
	v_fma_f64 v[8:9], v[8:9], v[22:23], v[16:17]
	v_fma_f64 v[6:7], v[6:7], v[22:23], -v[24:25]
	v_add_f64_e32 v[10:11], v[10:11], v[14:15]
	v_add_f64_e32 v[12:13], v[12:13], v[32:33]
	s_wait_loadcnt_dscnt 0x100
	v_mul_f64_e32 v[14:15], v[2:3], v[28:29]
	v_mul_f64_e32 v[20:21], v[4:5], v[28:29]
	s_delay_alu instid0(VALU_DEP_4) | instskip(NEXT) | instid1(VALU_DEP_4)
	v_add_f64_e32 v[10:11], v[10:11], v[18:19]
	v_add_f64_e32 v[12:13], v[12:13], v[30:31]
	s_delay_alu instid0(VALU_DEP_4) | instskip(NEXT) | instid1(VALU_DEP_4)
	v_fma_f64 v[4:5], v[4:5], v[26:27], v[14:15]
	v_fma_f64 v[2:3], v[2:3], v[26:27], -v[20:21]
	s_delay_alu instid0(VALU_DEP_4) | instskip(NEXT) | instid1(VALU_DEP_4)
	v_add_f64_e32 v[6:7], v[10:11], v[6:7]
	v_add_f64_e32 v[8:9], v[12:13], v[8:9]
	s_delay_alu instid0(VALU_DEP_2) | instskip(NEXT) | instid1(VALU_DEP_2)
	v_add_f64_e32 v[2:3], v[6:7], v[2:3]
	v_add_f64_e32 v[4:5], v[8:9], v[4:5]
	s_wait_loadcnt 0x0
	s_delay_alu instid0(VALU_DEP_2) | instskip(NEXT) | instid1(VALU_DEP_2)
	v_add_f64_e64 v[2:3], v[34:35], -v[2:3]
	v_add_f64_e64 v[4:5], v[36:37], -v[4:5]
	scratch_store_b128 off, v[2:5], off offset:656
	v_cmpx_lt_u32_e32 39, v0
	s_cbranch_execz .LBB111_223
; %bb.222:
	scratch_load_b128 v[5:8], off, s21
	v_dual_mov_b32 v2, v1 :: v_dual_mov_b32 v3, v1
	v_mov_b32_e32 v4, v1
	scratch_store_b128 off, v[1:4], off offset:640
	s_wait_loadcnt 0x0
	ds_store_b128 v138, v[5:8]
.LBB111_223:
	s_wait_alu 0xfffe
	s_or_b32 exec_lo, exec_lo, s0
	s_wait_storecnt_dscnt 0x0
	s_barrier_signal -1
	s_barrier_wait -1
	global_inv scope:SCOPE_SE
	s_clause 0x7
	scratch_load_b128 v[2:5], off, off offset:656
	scratch_load_b128 v[6:9], off, off offset:672
	;; [unrolled: 1-line block ×8, first 2 shown]
	ds_load_b128 v[34:37], v1 offset:1408
	ds_load_b128 v[38:41], v1 offset:1424
	scratch_load_b128 v[139:142], off, off offset:640
	s_mov_b32 s0, exec_lo
	s_wait_loadcnt_dscnt 0x801
	v_mul_f64_e32 v[143:144], v[36:37], v[4:5]
	v_mul_f64_e32 v[4:5], v[34:35], v[4:5]
	s_wait_loadcnt_dscnt 0x700
	v_mul_f64_e32 v[145:146], v[38:39], v[8:9]
	v_mul_f64_e32 v[8:9], v[40:41], v[8:9]
	s_delay_alu instid0(VALU_DEP_4) | instskip(NEXT) | instid1(VALU_DEP_4)
	v_fma_f64 v[143:144], v[34:35], v[2:3], -v[143:144]
	v_fma_f64 v[147:148], v[36:37], v[2:3], v[4:5]
	ds_load_b128 v[2:5], v1 offset:1440
	ds_load_b128 v[34:37], v1 offset:1456
	v_fma_f64 v[40:41], v[40:41], v[6:7], v[145:146]
	v_fma_f64 v[6:7], v[38:39], v[6:7], -v[8:9]
	s_wait_loadcnt_dscnt 0x601
	v_mul_f64_e32 v[149:150], v[2:3], v[12:13]
	v_mul_f64_e32 v[12:13], v[4:5], v[12:13]
	v_add_f64_e32 v[8:9], 0, v[143:144]
	v_add_f64_e32 v[38:39], 0, v[147:148]
	s_wait_loadcnt_dscnt 0x500
	v_mul_f64_e32 v[143:144], v[34:35], v[16:17]
	v_mul_f64_e32 v[16:17], v[36:37], v[16:17]
	v_fma_f64 v[145:146], v[4:5], v[10:11], v[149:150]
	v_fma_f64 v[10:11], v[2:3], v[10:11], -v[12:13]
	v_add_f64_e32 v[12:13], v[8:9], v[6:7]
	v_add_f64_e32 v[38:39], v[38:39], v[40:41]
	ds_load_b128 v[2:5], v1 offset:1472
	ds_load_b128 v[6:9], v1 offset:1488
	v_fma_f64 v[36:37], v[36:37], v[14:15], v[143:144]
	v_fma_f64 v[14:15], v[34:35], v[14:15], -v[16:17]
	s_wait_loadcnt_dscnt 0x401
	v_mul_f64_e32 v[40:41], v[2:3], v[20:21]
	v_mul_f64_e32 v[20:21], v[4:5], v[20:21]
	s_wait_loadcnt_dscnt 0x300
	v_mul_f64_e32 v[16:17], v[6:7], v[24:25]
	v_mul_f64_e32 v[24:25], v[8:9], v[24:25]
	v_add_f64_e32 v[10:11], v[12:13], v[10:11]
	v_add_f64_e32 v[12:13], v[38:39], v[145:146]
	v_fma_f64 v[34:35], v[4:5], v[18:19], v[40:41]
	v_fma_f64 v[18:19], v[2:3], v[18:19], -v[20:21]
	v_fma_f64 v[8:9], v[8:9], v[22:23], v[16:17]
	v_fma_f64 v[6:7], v[6:7], v[22:23], -v[24:25]
	v_add_f64_e32 v[14:15], v[10:11], v[14:15]
	v_add_f64_e32 v[20:21], v[12:13], v[36:37]
	ds_load_b128 v[2:5], v1 offset:1504
	ds_load_b128 v[10:13], v1 offset:1520
	s_wait_loadcnt_dscnt 0x201
	v_mul_f64_e32 v[36:37], v[2:3], v[28:29]
	v_mul_f64_e32 v[28:29], v[4:5], v[28:29]
	v_add_f64_e32 v[14:15], v[14:15], v[18:19]
	v_add_f64_e32 v[16:17], v[20:21], v[34:35]
	s_wait_loadcnt_dscnt 0x100
	v_mul_f64_e32 v[18:19], v[10:11], v[32:33]
	v_mul_f64_e32 v[20:21], v[12:13], v[32:33]
	v_fma_f64 v[4:5], v[4:5], v[26:27], v[36:37]
	v_fma_f64 v[1:2], v[2:3], v[26:27], -v[28:29]
	v_add_f64_e32 v[6:7], v[14:15], v[6:7]
	v_add_f64_e32 v[8:9], v[16:17], v[8:9]
	v_fma_f64 v[12:13], v[12:13], v[30:31], v[18:19]
	v_fma_f64 v[10:11], v[10:11], v[30:31], -v[20:21]
	s_delay_alu instid0(VALU_DEP_4) | instskip(NEXT) | instid1(VALU_DEP_4)
	v_add_f64_e32 v[1:2], v[6:7], v[1:2]
	v_add_f64_e32 v[3:4], v[8:9], v[4:5]
	s_delay_alu instid0(VALU_DEP_2) | instskip(NEXT) | instid1(VALU_DEP_2)
	v_add_f64_e32 v[1:2], v[1:2], v[10:11]
	v_add_f64_e32 v[3:4], v[3:4], v[12:13]
	s_wait_loadcnt 0x0
	s_delay_alu instid0(VALU_DEP_2) | instskip(NEXT) | instid1(VALU_DEP_2)
	v_add_f64_e64 v[1:2], v[139:140], -v[1:2]
	v_add_f64_e64 v[3:4], v[141:142], -v[3:4]
	scratch_store_b128 off, v[1:4], off offset:640
	v_cmpx_lt_u32_e32 38, v0
	s_cbranch_execz .LBB111_225
; %bb.224:
	scratch_load_b128 v[1:4], off, s22
	v_mov_b32_e32 v5, 0
	s_delay_alu instid0(VALU_DEP_1)
	v_dual_mov_b32 v6, v5 :: v_dual_mov_b32 v7, v5
	v_mov_b32_e32 v8, v5
	scratch_store_b128 off, v[5:8], off offset:624
	s_wait_loadcnt 0x0
	ds_store_b128 v138, v[1:4]
.LBB111_225:
	s_wait_alu 0xfffe
	s_or_b32 exec_lo, exec_lo, s0
	s_wait_storecnt_dscnt 0x0
	s_barrier_signal -1
	s_barrier_wait -1
	global_inv scope:SCOPE_SE
	s_clause 0x7
	scratch_load_b128 v[2:5], off, off offset:640
	scratch_load_b128 v[6:9], off, off offset:656
	;; [unrolled: 1-line block ×8, first 2 shown]
	v_mov_b32_e32 v1, 0
	s_mov_b32 s0, exec_lo
	ds_load_b128 v[34:37], v1 offset:1392
	s_clause 0x1
	scratch_load_b128 v[38:41], off, off offset:768
	scratch_load_b128 v[139:142], off, off offset:624
	ds_load_b128 v[143:146], v1 offset:1408
	s_wait_loadcnt_dscnt 0x901
	v_mul_f64_e32 v[147:148], v[36:37], v[4:5]
	v_mul_f64_e32 v[4:5], v[34:35], v[4:5]
	s_wait_loadcnt_dscnt 0x800
	v_mul_f64_e32 v[149:150], v[143:144], v[8:9]
	v_mul_f64_e32 v[8:9], v[145:146], v[8:9]
	s_delay_alu instid0(VALU_DEP_4) | instskip(NEXT) | instid1(VALU_DEP_4)
	v_fma_f64 v[147:148], v[34:35], v[2:3], -v[147:148]
	v_fma_f64 v[151:152], v[36:37], v[2:3], v[4:5]
	ds_load_b128 v[2:5], v1 offset:1424
	ds_load_b128 v[34:37], v1 offset:1440
	v_fma_f64 v[145:146], v[145:146], v[6:7], v[149:150]
	v_fma_f64 v[6:7], v[143:144], v[6:7], -v[8:9]
	s_wait_loadcnt_dscnt 0x701
	v_mul_f64_e32 v[153:154], v[2:3], v[12:13]
	v_mul_f64_e32 v[12:13], v[4:5], v[12:13]
	v_add_f64_e32 v[8:9], 0, v[147:148]
	v_add_f64_e32 v[143:144], 0, v[151:152]
	s_wait_loadcnt_dscnt 0x600
	v_mul_f64_e32 v[147:148], v[34:35], v[16:17]
	v_mul_f64_e32 v[16:17], v[36:37], v[16:17]
	v_fma_f64 v[149:150], v[4:5], v[10:11], v[153:154]
	v_fma_f64 v[10:11], v[2:3], v[10:11], -v[12:13]
	v_add_f64_e32 v[12:13], v[8:9], v[6:7]
	v_add_f64_e32 v[143:144], v[143:144], v[145:146]
	ds_load_b128 v[2:5], v1 offset:1456
	ds_load_b128 v[6:9], v1 offset:1472
	v_fma_f64 v[36:37], v[36:37], v[14:15], v[147:148]
	v_fma_f64 v[14:15], v[34:35], v[14:15], -v[16:17]
	s_wait_loadcnt_dscnt 0x501
	v_mul_f64_e32 v[145:146], v[2:3], v[20:21]
	v_mul_f64_e32 v[20:21], v[4:5], v[20:21]
	s_wait_loadcnt_dscnt 0x400
	v_mul_f64_e32 v[16:17], v[6:7], v[24:25]
	v_mul_f64_e32 v[24:25], v[8:9], v[24:25]
	v_add_f64_e32 v[10:11], v[12:13], v[10:11]
	v_add_f64_e32 v[12:13], v[143:144], v[149:150]
	v_fma_f64 v[34:35], v[4:5], v[18:19], v[145:146]
	v_fma_f64 v[18:19], v[2:3], v[18:19], -v[20:21]
	v_fma_f64 v[8:9], v[8:9], v[22:23], v[16:17]
	v_fma_f64 v[6:7], v[6:7], v[22:23], -v[24:25]
	v_add_f64_e32 v[14:15], v[10:11], v[14:15]
	v_add_f64_e32 v[20:21], v[12:13], v[36:37]
	ds_load_b128 v[2:5], v1 offset:1488
	ds_load_b128 v[10:13], v1 offset:1504
	s_wait_loadcnt_dscnt 0x301
	v_mul_f64_e32 v[36:37], v[2:3], v[28:29]
	v_mul_f64_e32 v[28:29], v[4:5], v[28:29]
	v_add_f64_e32 v[14:15], v[14:15], v[18:19]
	v_add_f64_e32 v[16:17], v[20:21], v[34:35]
	s_wait_loadcnt_dscnt 0x200
	v_mul_f64_e32 v[18:19], v[10:11], v[32:33]
	v_mul_f64_e32 v[20:21], v[12:13], v[32:33]
	v_fma_f64 v[22:23], v[4:5], v[26:27], v[36:37]
	v_fma_f64 v[24:25], v[2:3], v[26:27], -v[28:29]
	ds_load_b128 v[2:5], v1 offset:1520
	v_add_f64_e32 v[6:7], v[14:15], v[6:7]
	v_add_f64_e32 v[8:9], v[16:17], v[8:9]
	v_fma_f64 v[12:13], v[12:13], v[30:31], v[18:19]
	v_fma_f64 v[10:11], v[10:11], v[30:31], -v[20:21]
	s_wait_loadcnt_dscnt 0x100
	v_mul_f64_e32 v[14:15], v[2:3], v[40:41]
	v_mul_f64_e32 v[16:17], v[4:5], v[40:41]
	v_add_f64_e32 v[6:7], v[6:7], v[24:25]
	v_add_f64_e32 v[8:9], v[8:9], v[22:23]
	s_delay_alu instid0(VALU_DEP_4) | instskip(NEXT) | instid1(VALU_DEP_4)
	v_fma_f64 v[4:5], v[4:5], v[38:39], v[14:15]
	v_fma_f64 v[2:3], v[2:3], v[38:39], -v[16:17]
	s_delay_alu instid0(VALU_DEP_4) | instskip(NEXT) | instid1(VALU_DEP_4)
	v_add_f64_e32 v[6:7], v[6:7], v[10:11]
	v_add_f64_e32 v[8:9], v[8:9], v[12:13]
	s_delay_alu instid0(VALU_DEP_2) | instskip(NEXT) | instid1(VALU_DEP_2)
	v_add_f64_e32 v[2:3], v[6:7], v[2:3]
	v_add_f64_e32 v[4:5], v[8:9], v[4:5]
	s_wait_loadcnt 0x0
	s_delay_alu instid0(VALU_DEP_2) | instskip(NEXT) | instid1(VALU_DEP_2)
	v_add_f64_e64 v[2:3], v[139:140], -v[2:3]
	v_add_f64_e64 v[4:5], v[141:142], -v[4:5]
	scratch_store_b128 off, v[2:5], off offset:624
	v_cmpx_lt_u32_e32 37, v0
	s_cbranch_execz .LBB111_227
; %bb.226:
	scratch_load_b128 v[5:8], off, s23
	v_dual_mov_b32 v2, v1 :: v_dual_mov_b32 v3, v1
	v_mov_b32_e32 v4, v1
	scratch_store_b128 off, v[1:4], off offset:608
	s_wait_loadcnt 0x0
	ds_store_b128 v138, v[5:8]
.LBB111_227:
	s_wait_alu 0xfffe
	s_or_b32 exec_lo, exec_lo, s0
	s_wait_storecnt_dscnt 0x0
	s_barrier_signal -1
	s_barrier_wait -1
	global_inv scope:SCOPE_SE
	s_clause 0x8
	scratch_load_b128 v[2:5], off, off offset:624
	scratch_load_b128 v[6:9], off, off offset:640
	scratch_load_b128 v[10:13], off, off offset:656
	scratch_load_b128 v[14:17], off, off offset:672
	scratch_load_b128 v[18:21], off, off offset:688
	scratch_load_b128 v[22:25], off, off offset:704
	scratch_load_b128 v[26:29], off, off offset:720
	scratch_load_b128 v[30:33], off, off offset:736
	scratch_load_b128 v[34:37], off, off offset:752
	ds_load_b128 v[38:41], v1 offset:1376
	ds_load_b128 v[139:142], v1 offset:1392
	s_clause 0x1
	scratch_load_b128 v[143:146], off, off offset:608
	scratch_load_b128 v[147:150], off, off offset:768
	s_mov_b32 s0, exec_lo
	s_wait_loadcnt_dscnt 0xa01
	v_mul_f64_e32 v[151:152], v[40:41], v[4:5]
	v_mul_f64_e32 v[4:5], v[38:39], v[4:5]
	s_wait_loadcnt_dscnt 0x900
	v_mul_f64_e32 v[153:154], v[139:140], v[8:9]
	v_mul_f64_e32 v[8:9], v[141:142], v[8:9]
	s_delay_alu instid0(VALU_DEP_4) | instskip(NEXT) | instid1(VALU_DEP_4)
	v_fma_f64 v[151:152], v[38:39], v[2:3], -v[151:152]
	v_fma_f64 v[155:156], v[40:41], v[2:3], v[4:5]
	ds_load_b128 v[2:5], v1 offset:1408
	ds_load_b128 v[38:41], v1 offset:1424
	v_fma_f64 v[141:142], v[141:142], v[6:7], v[153:154]
	v_fma_f64 v[6:7], v[139:140], v[6:7], -v[8:9]
	s_wait_loadcnt_dscnt 0x801
	v_mul_f64_e32 v[157:158], v[2:3], v[12:13]
	v_mul_f64_e32 v[12:13], v[4:5], v[12:13]
	v_add_f64_e32 v[8:9], 0, v[151:152]
	v_add_f64_e32 v[139:140], 0, v[155:156]
	s_wait_loadcnt_dscnt 0x700
	v_mul_f64_e32 v[151:152], v[38:39], v[16:17]
	v_mul_f64_e32 v[16:17], v[40:41], v[16:17]
	v_fma_f64 v[153:154], v[4:5], v[10:11], v[157:158]
	v_fma_f64 v[10:11], v[2:3], v[10:11], -v[12:13]
	v_add_f64_e32 v[12:13], v[8:9], v[6:7]
	v_add_f64_e32 v[139:140], v[139:140], v[141:142]
	ds_load_b128 v[2:5], v1 offset:1440
	ds_load_b128 v[6:9], v1 offset:1456
	v_fma_f64 v[40:41], v[40:41], v[14:15], v[151:152]
	v_fma_f64 v[14:15], v[38:39], v[14:15], -v[16:17]
	s_wait_loadcnt_dscnt 0x601
	v_mul_f64_e32 v[141:142], v[2:3], v[20:21]
	v_mul_f64_e32 v[20:21], v[4:5], v[20:21]
	s_wait_loadcnt_dscnt 0x500
	v_mul_f64_e32 v[16:17], v[6:7], v[24:25]
	v_mul_f64_e32 v[24:25], v[8:9], v[24:25]
	v_add_f64_e32 v[10:11], v[12:13], v[10:11]
	v_add_f64_e32 v[12:13], v[139:140], v[153:154]
	v_fma_f64 v[38:39], v[4:5], v[18:19], v[141:142]
	v_fma_f64 v[18:19], v[2:3], v[18:19], -v[20:21]
	v_fma_f64 v[8:9], v[8:9], v[22:23], v[16:17]
	v_fma_f64 v[6:7], v[6:7], v[22:23], -v[24:25]
	v_add_f64_e32 v[14:15], v[10:11], v[14:15]
	v_add_f64_e32 v[20:21], v[12:13], v[40:41]
	ds_load_b128 v[2:5], v1 offset:1472
	ds_load_b128 v[10:13], v1 offset:1488
	s_wait_loadcnt_dscnt 0x401
	v_mul_f64_e32 v[40:41], v[2:3], v[28:29]
	v_mul_f64_e32 v[28:29], v[4:5], v[28:29]
	v_add_f64_e32 v[14:15], v[14:15], v[18:19]
	v_add_f64_e32 v[16:17], v[20:21], v[38:39]
	s_wait_loadcnt_dscnt 0x300
	v_mul_f64_e32 v[18:19], v[10:11], v[32:33]
	v_mul_f64_e32 v[20:21], v[12:13], v[32:33]
	v_fma_f64 v[22:23], v[4:5], v[26:27], v[40:41]
	v_fma_f64 v[24:25], v[2:3], v[26:27], -v[28:29]
	v_add_f64_e32 v[14:15], v[14:15], v[6:7]
	v_add_f64_e32 v[16:17], v[16:17], v[8:9]
	ds_load_b128 v[2:5], v1 offset:1504
	ds_load_b128 v[6:9], v1 offset:1520
	v_fma_f64 v[12:13], v[12:13], v[30:31], v[18:19]
	v_fma_f64 v[10:11], v[10:11], v[30:31], -v[20:21]
	s_wait_loadcnt_dscnt 0x201
	v_mul_f64_e32 v[26:27], v[2:3], v[36:37]
	v_mul_f64_e32 v[28:29], v[4:5], v[36:37]
	s_wait_loadcnt_dscnt 0x0
	v_mul_f64_e32 v[18:19], v[6:7], v[149:150]
	v_mul_f64_e32 v[20:21], v[8:9], v[149:150]
	v_add_f64_e32 v[14:15], v[14:15], v[24:25]
	v_add_f64_e32 v[16:17], v[16:17], v[22:23]
	v_fma_f64 v[4:5], v[4:5], v[34:35], v[26:27]
	v_fma_f64 v[1:2], v[2:3], v[34:35], -v[28:29]
	v_fma_f64 v[8:9], v[8:9], v[147:148], v[18:19]
	v_fma_f64 v[6:7], v[6:7], v[147:148], -v[20:21]
	v_add_f64_e32 v[10:11], v[14:15], v[10:11]
	v_add_f64_e32 v[12:13], v[16:17], v[12:13]
	s_delay_alu instid0(VALU_DEP_2) | instskip(NEXT) | instid1(VALU_DEP_2)
	v_add_f64_e32 v[1:2], v[10:11], v[1:2]
	v_add_f64_e32 v[3:4], v[12:13], v[4:5]
	s_delay_alu instid0(VALU_DEP_2) | instskip(NEXT) | instid1(VALU_DEP_2)
	;; [unrolled: 3-line block ×3, first 2 shown]
	v_add_f64_e64 v[1:2], v[143:144], -v[1:2]
	v_add_f64_e64 v[3:4], v[145:146], -v[3:4]
	scratch_store_b128 off, v[1:4], off offset:608
	v_cmpx_lt_u32_e32 36, v0
	s_cbranch_execz .LBB111_229
; %bb.228:
	scratch_load_b128 v[1:4], off, s24
	v_mov_b32_e32 v5, 0
	s_delay_alu instid0(VALU_DEP_1)
	v_dual_mov_b32 v6, v5 :: v_dual_mov_b32 v7, v5
	v_mov_b32_e32 v8, v5
	scratch_store_b128 off, v[5:8], off offset:592
	s_wait_loadcnt 0x0
	ds_store_b128 v138, v[1:4]
.LBB111_229:
	s_wait_alu 0xfffe
	s_or_b32 exec_lo, exec_lo, s0
	s_wait_storecnt_dscnt 0x0
	s_barrier_signal -1
	s_barrier_wait -1
	global_inv scope:SCOPE_SE
	s_clause 0x7
	scratch_load_b128 v[2:5], off, off offset:608
	scratch_load_b128 v[6:9], off, off offset:624
	;; [unrolled: 1-line block ×8, first 2 shown]
	v_mov_b32_e32 v1, 0
	s_mov_b32 s0, exec_lo
	ds_load_b128 v[34:37], v1 offset:1360
	s_clause 0x1
	scratch_load_b128 v[38:41], off, off offset:736
	scratch_load_b128 v[139:142], off, off offset:592
	ds_load_b128 v[143:146], v1 offset:1376
	scratch_load_b128 v[147:150], off, off offset:752
	s_wait_loadcnt_dscnt 0xa01
	v_mul_f64_e32 v[151:152], v[36:37], v[4:5]
	v_mul_f64_e32 v[4:5], v[34:35], v[4:5]
	s_delay_alu instid0(VALU_DEP_2) | instskip(NEXT) | instid1(VALU_DEP_2)
	v_fma_f64 v[157:158], v[34:35], v[2:3], -v[151:152]
	v_fma_f64 v[159:160], v[36:37], v[2:3], v[4:5]
	ds_load_b128 v[2:5], v1 offset:1392
	s_wait_loadcnt_dscnt 0x901
	v_mul_f64_e32 v[155:156], v[143:144], v[8:9]
	v_mul_f64_e32 v[8:9], v[145:146], v[8:9]
	scratch_load_b128 v[34:37], off, off offset:768
	ds_load_b128 v[151:154], v1 offset:1408
	s_wait_loadcnt_dscnt 0x901
	v_mul_f64_e32 v[161:162], v[2:3], v[12:13]
	v_mul_f64_e32 v[12:13], v[4:5], v[12:13]
	v_fma_f64 v[145:146], v[145:146], v[6:7], v[155:156]
	v_fma_f64 v[6:7], v[143:144], v[6:7], -v[8:9]
	v_add_f64_e32 v[8:9], 0, v[157:158]
	v_add_f64_e32 v[143:144], 0, v[159:160]
	s_wait_loadcnt_dscnt 0x800
	v_mul_f64_e32 v[155:156], v[151:152], v[16:17]
	v_mul_f64_e32 v[16:17], v[153:154], v[16:17]
	v_fma_f64 v[157:158], v[4:5], v[10:11], v[161:162]
	v_fma_f64 v[10:11], v[2:3], v[10:11], -v[12:13]
	v_add_f64_e32 v[12:13], v[8:9], v[6:7]
	v_add_f64_e32 v[143:144], v[143:144], v[145:146]
	ds_load_b128 v[2:5], v1 offset:1424
	ds_load_b128 v[6:9], v1 offset:1440
	v_fma_f64 v[153:154], v[153:154], v[14:15], v[155:156]
	v_fma_f64 v[14:15], v[151:152], v[14:15], -v[16:17]
	s_wait_loadcnt_dscnt 0x701
	v_mul_f64_e32 v[145:146], v[2:3], v[20:21]
	v_mul_f64_e32 v[20:21], v[4:5], v[20:21]
	s_wait_loadcnt_dscnt 0x600
	v_mul_f64_e32 v[16:17], v[6:7], v[24:25]
	v_mul_f64_e32 v[24:25], v[8:9], v[24:25]
	v_add_f64_e32 v[10:11], v[12:13], v[10:11]
	v_add_f64_e32 v[12:13], v[143:144], v[157:158]
	v_fma_f64 v[143:144], v[4:5], v[18:19], v[145:146]
	v_fma_f64 v[18:19], v[2:3], v[18:19], -v[20:21]
	v_fma_f64 v[8:9], v[8:9], v[22:23], v[16:17]
	v_fma_f64 v[6:7], v[6:7], v[22:23], -v[24:25]
	v_add_f64_e32 v[14:15], v[10:11], v[14:15]
	v_add_f64_e32 v[20:21], v[12:13], v[153:154]
	ds_load_b128 v[2:5], v1 offset:1456
	ds_load_b128 v[10:13], v1 offset:1472
	s_wait_loadcnt_dscnt 0x501
	v_mul_f64_e32 v[145:146], v[2:3], v[28:29]
	v_mul_f64_e32 v[28:29], v[4:5], v[28:29]
	v_add_f64_e32 v[14:15], v[14:15], v[18:19]
	v_add_f64_e32 v[16:17], v[20:21], v[143:144]
	s_wait_loadcnt_dscnt 0x400
	v_mul_f64_e32 v[18:19], v[10:11], v[32:33]
	v_mul_f64_e32 v[20:21], v[12:13], v[32:33]
	v_fma_f64 v[22:23], v[4:5], v[26:27], v[145:146]
	v_fma_f64 v[24:25], v[2:3], v[26:27], -v[28:29]
	v_add_f64_e32 v[14:15], v[14:15], v[6:7]
	v_add_f64_e32 v[16:17], v[16:17], v[8:9]
	ds_load_b128 v[2:5], v1 offset:1488
	ds_load_b128 v[6:9], v1 offset:1504
	v_fma_f64 v[12:13], v[12:13], v[30:31], v[18:19]
	v_fma_f64 v[10:11], v[10:11], v[30:31], -v[20:21]
	s_wait_loadcnt_dscnt 0x301
	v_mul_f64_e32 v[26:27], v[2:3], v[40:41]
	v_mul_f64_e32 v[28:29], v[4:5], v[40:41]
	s_wait_loadcnt_dscnt 0x100
	v_mul_f64_e32 v[18:19], v[6:7], v[149:150]
	v_mul_f64_e32 v[20:21], v[8:9], v[149:150]
	v_add_f64_e32 v[14:15], v[14:15], v[24:25]
	v_add_f64_e32 v[16:17], v[16:17], v[22:23]
	v_fma_f64 v[22:23], v[4:5], v[38:39], v[26:27]
	v_fma_f64 v[24:25], v[2:3], v[38:39], -v[28:29]
	ds_load_b128 v[2:5], v1 offset:1520
	v_fma_f64 v[8:9], v[8:9], v[147:148], v[18:19]
	v_fma_f64 v[6:7], v[6:7], v[147:148], -v[20:21]
	v_add_f64_e32 v[10:11], v[14:15], v[10:11]
	v_add_f64_e32 v[12:13], v[16:17], v[12:13]
	s_wait_loadcnt_dscnt 0x0
	v_mul_f64_e32 v[14:15], v[2:3], v[36:37]
	v_mul_f64_e32 v[16:17], v[4:5], v[36:37]
	s_delay_alu instid0(VALU_DEP_4) | instskip(NEXT) | instid1(VALU_DEP_4)
	v_add_f64_e32 v[10:11], v[10:11], v[24:25]
	v_add_f64_e32 v[12:13], v[12:13], v[22:23]
	s_delay_alu instid0(VALU_DEP_4) | instskip(NEXT) | instid1(VALU_DEP_4)
	v_fma_f64 v[4:5], v[4:5], v[34:35], v[14:15]
	v_fma_f64 v[2:3], v[2:3], v[34:35], -v[16:17]
	s_delay_alu instid0(VALU_DEP_4) | instskip(NEXT) | instid1(VALU_DEP_4)
	v_add_f64_e32 v[6:7], v[10:11], v[6:7]
	v_add_f64_e32 v[8:9], v[12:13], v[8:9]
	s_delay_alu instid0(VALU_DEP_2) | instskip(NEXT) | instid1(VALU_DEP_2)
	v_add_f64_e32 v[2:3], v[6:7], v[2:3]
	v_add_f64_e32 v[4:5], v[8:9], v[4:5]
	s_delay_alu instid0(VALU_DEP_2) | instskip(NEXT) | instid1(VALU_DEP_2)
	v_add_f64_e64 v[2:3], v[139:140], -v[2:3]
	v_add_f64_e64 v[4:5], v[141:142], -v[4:5]
	scratch_store_b128 off, v[2:5], off offset:592
	v_cmpx_lt_u32_e32 35, v0
	s_cbranch_execz .LBB111_231
; %bb.230:
	scratch_load_b128 v[5:8], off, s25
	v_dual_mov_b32 v2, v1 :: v_dual_mov_b32 v3, v1
	v_mov_b32_e32 v4, v1
	scratch_store_b128 off, v[1:4], off offset:576
	s_wait_loadcnt 0x0
	ds_store_b128 v138, v[5:8]
.LBB111_231:
	s_wait_alu 0xfffe
	s_or_b32 exec_lo, exec_lo, s0
	s_wait_storecnt_dscnt 0x0
	s_barrier_signal -1
	s_barrier_wait -1
	global_inv scope:SCOPE_SE
	s_clause 0x8
	scratch_load_b128 v[2:5], off, off offset:592
	scratch_load_b128 v[6:9], off, off offset:608
	;; [unrolled: 1-line block ×9, first 2 shown]
	ds_load_b128 v[38:41], v1 offset:1344
	ds_load_b128 v[139:142], v1 offset:1360
	s_clause 0x1
	scratch_load_b128 v[143:146], off, off offset:576
	scratch_load_b128 v[147:150], off, off offset:736
	s_mov_b32 s0, exec_lo
	s_wait_loadcnt_dscnt 0xa01
	v_mul_f64_e32 v[151:152], v[40:41], v[4:5]
	v_mul_f64_e32 v[4:5], v[38:39], v[4:5]
	s_wait_loadcnt_dscnt 0x900
	v_mul_f64_e32 v[155:156], v[139:140], v[8:9]
	v_mul_f64_e32 v[8:9], v[141:142], v[8:9]
	s_delay_alu instid0(VALU_DEP_4) | instskip(NEXT) | instid1(VALU_DEP_4)
	v_fma_f64 v[157:158], v[38:39], v[2:3], -v[151:152]
	v_fma_f64 v[159:160], v[40:41], v[2:3], v[4:5]
	ds_load_b128 v[2:5], v1 offset:1376
	ds_load_b128 v[151:154], v1 offset:1392
	scratch_load_b128 v[38:41], off, off offset:752
	v_fma_f64 v[141:142], v[141:142], v[6:7], v[155:156]
	v_fma_f64 v[139:140], v[139:140], v[6:7], -v[8:9]
	scratch_load_b128 v[6:9], off, off offset:768
	s_wait_loadcnt_dscnt 0xa01
	v_mul_f64_e32 v[161:162], v[2:3], v[12:13]
	v_mul_f64_e32 v[12:13], v[4:5], v[12:13]
	v_add_f64_e32 v[155:156], 0, v[157:158]
	v_add_f64_e32 v[157:158], 0, v[159:160]
	s_wait_loadcnt_dscnt 0x900
	v_mul_f64_e32 v[159:160], v[151:152], v[16:17]
	v_mul_f64_e32 v[16:17], v[153:154], v[16:17]
	v_fma_f64 v[161:162], v[4:5], v[10:11], v[161:162]
	v_fma_f64 v[163:164], v[2:3], v[10:11], -v[12:13]
	ds_load_b128 v[2:5], v1 offset:1408
	ds_load_b128 v[10:13], v1 offset:1424
	v_add_f64_e32 v[139:140], v[155:156], v[139:140]
	v_add_f64_e32 v[141:142], v[157:158], v[141:142]
	v_fma_f64 v[153:154], v[153:154], v[14:15], v[159:160]
	v_fma_f64 v[14:15], v[151:152], v[14:15], -v[16:17]
	s_wait_loadcnt_dscnt 0x801
	v_mul_f64_e32 v[155:156], v[2:3], v[20:21]
	v_mul_f64_e32 v[20:21], v[4:5], v[20:21]
	v_add_f64_e32 v[16:17], v[139:140], v[163:164]
	v_add_f64_e32 v[139:140], v[141:142], v[161:162]
	s_wait_loadcnt_dscnt 0x700
	v_mul_f64_e32 v[141:142], v[10:11], v[24:25]
	v_mul_f64_e32 v[24:25], v[12:13], v[24:25]
	v_fma_f64 v[151:152], v[4:5], v[18:19], v[155:156]
	v_fma_f64 v[18:19], v[2:3], v[18:19], -v[20:21]
	v_add_f64_e32 v[20:21], v[16:17], v[14:15]
	v_add_f64_e32 v[139:140], v[139:140], v[153:154]
	ds_load_b128 v[2:5], v1 offset:1440
	ds_load_b128 v[14:17], v1 offset:1456
	v_fma_f64 v[12:13], v[12:13], v[22:23], v[141:142]
	v_fma_f64 v[10:11], v[10:11], v[22:23], -v[24:25]
	s_wait_loadcnt_dscnt 0x601
	v_mul_f64_e32 v[153:154], v[2:3], v[28:29]
	v_mul_f64_e32 v[28:29], v[4:5], v[28:29]
	s_wait_loadcnt_dscnt 0x500
	v_mul_f64_e32 v[22:23], v[14:15], v[32:33]
	v_mul_f64_e32 v[24:25], v[16:17], v[32:33]
	v_add_f64_e32 v[18:19], v[20:21], v[18:19]
	v_add_f64_e32 v[20:21], v[139:140], v[151:152]
	v_fma_f64 v[32:33], v[4:5], v[26:27], v[153:154]
	v_fma_f64 v[26:27], v[2:3], v[26:27], -v[28:29]
	v_fma_f64 v[16:17], v[16:17], v[30:31], v[22:23]
	v_fma_f64 v[14:15], v[14:15], v[30:31], -v[24:25]
	v_add_f64_e32 v[18:19], v[18:19], v[10:11]
	v_add_f64_e32 v[20:21], v[20:21], v[12:13]
	ds_load_b128 v[2:5], v1 offset:1472
	ds_load_b128 v[10:13], v1 offset:1488
	s_wait_loadcnt_dscnt 0x401
	v_mul_f64_e32 v[28:29], v[2:3], v[36:37]
	v_mul_f64_e32 v[36:37], v[4:5], v[36:37]
	s_wait_loadcnt_dscnt 0x200
	v_mul_f64_e32 v[22:23], v[10:11], v[149:150]
	v_mul_f64_e32 v[24:25], v[12:13], v[149:150]
	v_add_f64_e32 v[18:19], v[18:19], v[26:27]
	v_add_f64_e32 v[20:21], v[20:21], v[32:33]
	v_fma_f64 v[26:27], v[4:5], v[34:35], v[28:29]
	v_fma_f64 v[28:29], v[2:3], v[34:35], -v[36:37]
	v_fma_f64 v[12:13], v[12:13], v[147:148], v[22:23]
	v_fma_f64 v[10:11], v[10:11], v[147:148], -v[24:25]
	v_add_f64_e32 v[18:19], v[18:19], v[14:15]
	v_add_f64_e32 v[20:21], v[20:21], v[16:17]
	ds_load_b128 v[2:5], v1 offset:1504
	ds_load_b128 v[14:17], v1 offset:1520
	s_wait_loadcnt_dscnt 0x101
	v_mul_f64_e32 v[30:31], v[2:3], v[40:41]
	v_mul_f64_e32 v[32:33], v[4:5], v[40:41]
	s_wait_loadcnt_dscnt 0x0
	v_mul_f64_e32 v[22:23], v[14:15], v[8:9]
	v_mul_f64_e32 v[8:9], v[16:17], v[8:9]
	v_add_f64_e32 v[18:19], v[18:19], v[28:29]
	v_add_f64_e32 v[20:21], v[20:21], v[26:27]
	v_fma_f64 v[4:5], v[4:5], v[38:39], v[30:31]
	v_fma_f64 v[1:2], v[2:3], v[38:39], -v[32:33]
	v_fma_f64 v[16:17], v[16:17], v[6:7], v[22:23]
	v_fma_f64 v[6:7], v[14:15], v[6:7], -v[8:9]
	v_add_f64_e32 v[10:11], v[18:19], v[10:11]
	v_add_f64_e32 v[12:13], v[20:21], v[12:13]
	s_delay_alu instid0(VALU_DEP_2) | instskip(NEXT) | instid1(VALU_DEP_2)
	v_add_f64_e32 v[1:2], v[10:11], v[1:2]
	v_add_f64_e32 v[3:4], v[12:13], v[4:5]
	s_delay_alu instid0(VALU_DEP_2) | instskip(NEXT) | instid1(VALU_DEP_2)
	;; [unrolled: 3-line block ×3, first 2 shown]
	v_add_f64_e64 v[1:2], v[143:144], -v[1:2]
	v_add_f64_e64 v[3:4], v[145:146], -v[3:4]
	scratch_store_b128 off, v[1:4], off offset:576
	v_cmpx_lt_u32_e32 34, v0
	s_cbranch_execz .LBB111_233
; %bb.232:
	scratch_load_b128 v[1:4], off, s26
	v_mov_b32_e32 v5, 0
	s_delay_alu instid0(VALU_DEP_1)
	v_dual_mov_b32 v6, v5 :: v_dual_mov_b32 v7, v5
	v_mov_b32_e32 v8, v5
	scratch_store_b128 off, v[5:8], off offset:560
	s_wait_loadcnt 0x0
	ds_store_b128 v138, v[1:4]
.LBB111_233:
	s_wait_alu 0xfffe
	s_or_b32 exec_lo, exec_lo, s0
	s_wait_storecnt_dscnt 0x0
	s_barrier_signal -1
	s_barrier_wait -1
	global_inv scope:SCOPE_SE
	s_clause 0x7
	scratch_load_b128 v[2:5], off, off offset:576
	scratch_load_b128 v[6:9], off, off offset:592
	;; [unrolled: 1-line block ×8, first 2 shown]
	v_mov_b32_e32 v1, 0
	s_clause 0x1
	scratch_load_b128 v[38:41], off, off offset:704
	scratch_load_b128 v[143:146], off, off offset:720
	s_mov_b32 s0, exec_lo
	ds_load_b128 v[34:37], v1 offset:1328
	ds_load_b128 v[139:142], v1 offset:1344
	s_wait_loadcnt_dscnt 0x901
	v_mul_f64_e32 v[147:148], v[36:37], v[4:5]
	v_mul_f64_e32 v[4:5], v[34:35], v[4:5]
	s_wait_loadcnt_dscnt 0x800
	v_mul_f64_e32 v[149:150], v[139:140], v[8:9]
	v_mul_f64_e32 v[8:9], v[141:142], v[8:9]
	s_delay_alu instid0(VALU_DEP_4) | instskip(NEXT) | instid1(VALU_DEP_4)
	v_fma_f64 v[147:148], v[34:35], v[2:3], -v[147:148]
	v_fma_f64 v[151:152], v[36:37], v[2:3], v[4:5]
	ds_load_b128 v[2:5], v1 offset:1360
	scratch_load_b128 v[34:37], off, off offset:736
	v_fma_f64 v[149:150], v[141:142], v[6:7], v[149:150]
	v_fma_f64 v[155:156], v[139:140], v[6:7], -v[8:9]
	ds_load_b128 v[6:9], v1 offset:1376
	scratch_load_b128 v[139:142], off, off offset:752
	s_wait_loadcnt_dscnt 0x901
	v_mul_f64_e32 v[153:154], v[2:3], v[12:13]
	v_mul_f64_e32 v[12:13], v[4:5], v[12:13]
	s_wait_loadcnt_dscnt 0x800
	v_mul_f64_e32 v[157:158], v[6:7], v[16:17]
	v_mul_f64_e32 v[16:17], v[8:9], v[16:17]
	v_add_f64_e32 v[147:148], 0, v[147:148]
	v_add_f64_e32 v[151:152], 0, v[151:152]
	v_fma_f64 v[153:154], v[4:5], v[10:11], v[153:154]
	v_fma_f64 v[159:160], v[2:3], v[10:11], -v[12:13]
	ds_load_b128 v[2:5], v1 offset:1392
	scratch_load_b128 v[10:13], off, off offset:768
	v_add_f64_e32 v[147:148], v[147:148], v[155:156]
	v_add_f64_e32 v[149:150], v[151:152], v[149:150]
	v_fma_f64 v[155:156], v[8:9], v[14:15], v[157:158]
	v_fma_f64 v[14:15], v[6:7], v[14:15], -v[16:17]
	ds_load_b128 v[6:9], v1 offset:1408
	s_wait_loadcnt_dscnt 0x801
	v_mul_f64_e32 v[151:152], v[2:3], v[20:21]
	v_mul_f64_e32 v[20:21], v[4:5], v[20:21]
	v_add_f64_e32 v[16:17], v[147:148], v[159:160]
	v_add_f64_e32 v[147:148], v[149:150], v[153:154]
	s_wait_loadcnt_dscnt 0x700
	v_mul_f64_e32 v[149:150], v[6:7], v[24:25]
	v_mul_f64_e32 v[24:25], v[8:9], v[24:25]
	v_fma_f64 v[151:152], v[4:5], v[18:19], v[151:152]
	v_fma_f64 v[18:19], v[2:3], v[18:19], -v[20:21]
	ds_load_b128 v[2:5], v1 offset:1424
	v_add_f64_e32 v[14:15], v[16:17], v[14:15]
	v_add_f64_e32 v[16:17], v[147:148], v[155:156]
	v_fma_f64 v[147:148], v[8:9], v[22:23], v[149:150]
	v_fma_f64 v[22:23], v[6:7], v[22:23], -v[24:25]
	ds_load_b128 v[6:9], v1 offset:1440
	s_wait_loadcnt_dscnt 0x601
	v_mul_f64_e32 v[20:21], v[2:3], v[28:29]
	v_mul_f64_e32 v[28:29], v[4:5], v[28:29]
	s_wait_loadcnt_dscnt 0x500
	v_mul_f64_e32 v[149:150], v[6:7], v[32:33]
	v_mul_f64_e32 v[32:33], v[8:9], v[32:33]
	v_add_f64_e32 v[18:19], v[14:15], v[18:19]
	v_add_f64_e32 v[24:25], v[16:17], v[151:152]
	scratch_load_b128 v[14:17], off, off offset:560
	v_fma_f64 v[20:21], v[4:5], v[26:27], v[20:21]
	v_fma_f64 v[26:27], v[2:3], v[26:27], -v[28:29]
	ds_load_b128 v[2:5], v1 offset:1456
	s_wait_loadcnt_dscnt 0x500
	v_mul_f64_e32 v[28:29], v[4:5], v[40:41]
	v_add_f64_e32 v[18:19], v[18:19], v[22:23]
	v_add_f64_e32 v[22:23], v[24:25], v[147:148]
	v_mul_f64_e32 v[24:25], v[2:3], v[40:41]
	v_fma_f64 v[40:41], v[8:9], v[30:31], v[149:150]
	v_fma_f64 v[30:31], v[6:7], v[30:31], -v[32:33]
	ds_load_b128 v[6:9], v1 offset:1472
	v_fma_f64 v[28:29], v[2:3], v[38:39], -v[28:29]
	v_add_f64_e32 v[18:19], v[18:19], v[26:27]
	v_add_f64_e32 v[20:21], v[22:23], v[20:21]
	v_fma_f64 v[24:25], v[4:5], v[38:39], v[24:25]
	ds_load_b128 v[2:5], v1 offset:1488
	s_wait_loadcnt_dscnt 0x401
	v_mul_f64_e32 v[22:23], v[6:7], v[145:146]
	v_mul_f64_e32 v[26:27], v[8:9], v[145:146]
	v_add_f64_e32 v[18:19], v[18:19], v[30:31]
	v_add_f64_e32 v[20:21], v[20:21], v[40:41]
	s_delay_alu instid0(VALU_DEP_4) | instskip(NEXT) | instid1(VALU_DEP_4)
	v_fma_f64 v[22:23], v[8:9], v[143:144], v[22:23]
	v_fma_f64 v[26:27], v[6:7], v[143:144], -v[26:27]
	ds_load_b128 v[6:9], v1 offset:1504
	s_wait_loadcnt_dscnt 0x301
	v_mul_f64_e32 v[30:31], v[2:3], v[36:37]
	v_mul_f64_e32 v[32:33], v[4:5], v[36:37]
	v_add_f64_e32 v[18:19], v[18:19], v[28:29]
	v_add_f64_e32 v[20:21], v[20:21], v[24:25]
	s_delay_alu instid0(VALU_DEP_4) | instskip(NEXT) | instid1(VALU_DEP_4)
	v_fma_f64 v[30:31], v[4:5], v[34:35], v[30:31]
	v_fma_f64 v[32:33], v[2:3], v[34:35], -v[32:33]
	ds_load_b128 v[2:5], v1 offset:1520
	s_wait_loadcnt_dscnt 0x201
	v_mul_f64_e32 v[24:25], v[6:7], v[141:142]
	v_mul_f64_e32 v[28:29], v[8:9], v[141:142]
	v_add_f64_e32 v[18:19], v[18:19], v[26:27]
	v_add_f64_e32 v[20:21], v[20:21], v[22:23]
	s_wait_loadcnt_dscnt 0x100
	v_mul_f64_e32 v[22:23], v[2:3], v[12:13]
	v_mul_f64_e32 v[12:13], v[4:5], v[12:13]
	v_fma_f64 v[8:9], v[8:9], v[139:140], v[24:25]
	v_fma_f64 v[6:7], v[6:7], v[139:140], -v[28:29]
	v_add_f64_e32 v[18:19], v[18:19], v[32:33]
	v_add_f64_e32 v[20:21], v[20:21], v[30:31]
	v_fma_f64 v[4:5], v[4:5], v[10:11], v[22:23]
	v_fma_f64 v[2:3], v[2:3], v[10:11], -v[12:13]
	s_delay_alu instid0(VALU_DEP_4) | instskip(NEXT) | instid1(VALU_DEP_4)
	v_add_f64_e32 v[6:7], v[18:19], v[6:7]
	v_add_f64_e32 v[8:9], v[20:21], v[8:9]
	s_delay_alu instid0(VALU_DEP_2) | instskip(NEXT) | instid1(VALU_DEP_2)
	v_add_f64_e32 v[2:3], v[6:7], v[2:3]
	v_add_f64_e32 v[4:5], v[8:9], v[4:5]
	s_wait_loadcnt 0x0
	s_delay_alu instid0(VALU_DEP_2) | instskip(NEXT) | instid1(VALU_DEP_2)
	v_add_f64_e64 v[2:3], v[14:15], -v[2:3]
	v_add_f64_e64 v[4:5], v[16:17], -v[4:5]
	scratch_store_b128 off, v[2:5], off offset:560
	v_cmpx_lt_u32_e32 33, v0
	s_cbranch_execz .LBB111_235
; %bb.234:
	scratch_load_b128 v[5:8], off, s27
	v_dual_mov_b32 v2, v1 :: v_dual_mov_b32 v3, v1
	v_mov_b32_e32 v4, v1
	scratch_store_b128 off, v[1:4], off offset:544
	s_wait_loadcnt 0x0
	ds_store_b128 v138, v[5:8]
.LBB111_235:
	s_wait_alu 0xfffe
	s_or_b32 exec_lo, exec_lo, s0
	s_wait_storecnt_dscnt 0x0
	s_barrier_signal -1
	s_barrier_wait -1
	global_inv scope:SCOPE_SE
	s_clause 0x7
	scratch_load_b128 v[2:5], off, off offset:560
	scratch_load_b128 v[6:9], off, off offset:576
	;; [unrolled: 1-line block ×8, first 2 shown]
	ds_load_b128 v[34:37], v1 offset:1312
	ds_load_b128 v[139:142], v1 offset:1328
	s_clause 0x1
	scratch_load_b128 v[38:41], off, off offset:688
	scratch_load_b128 v[143:146], off, off offset:704
	s_mov_b32 s0, exec_lo
	s_wait_loadcnt_dscnt 0x901
	v_mul_f64_e32 v[147:148], v[36:37], v[4:5]
	v_mul_f64_e32 v[4:5], v[34:35], v[4:5]
	s_wait_loadcnt_dscnt 0x800
	v_mul_f64_e32 v[149:150], v[139:140], v[8:9]
	v_mul_f64_e32 v[8:9], v[141:142], v[8:9]
	s_delay_alu instid0(VALU_DEP_4) | instskip(NEXT) | instid1(VALU_DEP_4)
	v_fma_f64 v[147:148], v[34:35], v[2:3], -v[147:148]
	v_fma_f64 v[151:152], v[36:37], v[2:3], v[4:5]
	ds_load_b128 v[2:5], v1 offset:1344
	scratch_load_b128 v[34:37], off, off offset:720
	v_fma_f64 v[149:150], v[141:142], v[6:7], v[149:150]
	v_fma_f64 v[155:156], v[139:140], v[6:7], -v[8:9]
	ds_load_b128 v[6:9], v1 offset:1360
	scratch_load_b128 v[139:142], off, off offset:736
	s_wait_loadcnt_dscnt 0x901
	v_mul_f64_e32 v[153:154], v[2:3], v[12:13]
	v_mul_f64_e32 v[12:13], v[4:5], v[12:13]
	s_wait_loadcnt_dscnt 0x800
	v_mul_f64_e32 v[157:158], v[6:7], v[16:17]
	v_mul_f64_e32 v[16:17], v[8:9], v[16:17]
	v_add_f64_e32 v[147:148], 0, v[147:148]
	v_add_f64_e32 v[151:152], 0, v[151:152]
	v_fma_f64 v[153:154], v[4:5], v[10:11], v[153:154]
	v_fma_f64 v[159:160], v[2:3], v[10:11], -v[12:13]
	ds_load_b128 v[2:5], v1 offset:1376
	scratch_load_b128 v[10:13], off, off offset:752
	v_add_f64_e32 v[147:148], v[147:148], v[155:156]
	v_add_f64_e32 v[149:150], v[151:152], v[149:150]
	v_fma_f64 v[155:156], v[8:9], v[14:15], v[157:158]
	v_fma_f64 v[157:158], v[6:7], v[14:15], -v[16:17]
	ds_load_b128 v[6:9], v1 offset:1392
	scratch_load_b128 v[14:17], off, off offset:768
	s_wait_loadcnt_dscnt 0x901
	v_mul_f64_e32 v[151:152], v[2:3], v[20:21]
	v_mul_f64_e32 v[20:21], v[4:5], v[20:21]
	v_add_f64_e32 v[147:148], v[147:148], v[159:160]
	v_add_f64_e32 v[149:150], v[149:150], v[153:154]
	s_wait_loadcnt_dscnt 0x800
	v_mul_f64_e32 v[153:154], v[6:7], v[24:25]
	v_mul_f64_e32 v[24:25], v[8:9], v[24:25]
	v_fma_f64 v[151:152], v[4:5], v[18:19], v[151:152]
	v_fma_f64 v[18:19], v[2:3], v[18:19], -v[20:21]
	ds_load_b128 v[2:5], v1 offset:1408
	v_add_f64_e32 v[20:21], v[147:148], v[157:158]
	v_add_f64_e32 v[147:148], v[149:150], v[155:156]
	v_fma_f64 v[153:154], v[8:9], v[22:23], v[153:154]
	v_fma_f64 v[22:23], v[6:7], v[22:23], -v[24:25]
	ds_load_b128 v[6:9], v1 offset:1424
	s_wait_loadcnt_dscnt 0x701
	v_mul_f64_e32 v[149:150], v[2:3], v[28:29]
	v_mul_f64_e32 v[28:29], v[4:5], v[28:29]
	s_wait_loadcnt_dscnt 0x600
	v_mul_f64_e32 v[24:25], v[6:7], v[32:33]
	v_mul_f64_e32 v[32:33], v[8:9], v[32:33]
	v_add_f64_e32 v[18:19], v[20:21], v[18:19]
	v_add_f64_e32 v[20:21], v[147:148], v[151:152]
	v_fma_f64 v[147:148], v[4:5], v[26:27], v[149:150]
	v_fma_f64 v[26:27], v[2:3], v[26:27], -v[28:29]
	ds_load_b128 v[2:5], v1 offset:1440
	v_fma_f64 v[24:25], v[8:9], v[30:31], v[24:25]
	v_fma_f64 v[30:31], v[6:7], v[30:31], -v[32:33]
	ds_load_b128 v[6:9], v1 offset:1456
	v_add_f64_e32 v[22:23], v[18:19], v[22:23]
	v_add_f64_e32 v[28:29], v[20:21], v[153:154]
	scratch_load_b128 v[18:21], off, off offset:544
	s_wait_loadcnt_dscnt 0x601
	v_mul_f64_e32 v[149:150], v[2:3], v[40:41]
	v_mul_f64_e32 v[40:41], v[4:5], v[40:41]
	s_wait_loadcnt_dscnt 0x500
	v_mul_f64_e32 v[32:33], v[8:9], v[145:146]
	v_add_f64_e32 v[22:23], v[22:23], v[26:27]
	v_add_f64_e32 v[26:27], v[28:29], v[147:148]
	v_mul_f64_e32 v[28:29], v[6:7], v[145:146]
	v_fma_f64 v[145:146], v[4:5], v[38:39], v[149:150]
	v_fma_f64 v[38:39], v[2:3], v[38:39], -v[40:41]
	ds_load_b128 v[2:5], v1 offset:1472
	v_fma_f64 v[32:33], v[6:7], v[143:144], -v[32:33]
	v_add_f64_e32 v[22:23], v[22:23], v[30:31]
	v_add_f64_e32 v[24:25], v[26:27], v[24:25]
	v_fma_f64 v[28:29], v[8:9], v[143:144], v[28:29]
	ds_load_b128 v[6:9], v1 offset:1488
	s_wait_loadcnt_dscnt 0x401
	v_mul_f64_e32 v[26:27], v[2:3], v[36:37]
	v_mul_f64_e32 v[30:31], v[4:5], v[36:37]
	s_wait_loadcnt_dscnt 0x300
	v_mul_f64_e32 v[36:37], v[6:7], v[141:142]
	v_add_f64_e32 v[22:23], v[22:23], v[38:39]
	v_add_f64_e32 v[24:25], v[24:25], v[145:146]
	v_mul_f64_e32 v[38:39], v[8:9], v[141:142]
	v_fma_f64 v[26:27], v[4:5], v[34:35], v[26:27]
	v_fma_f64 v[30:31], v[2:3], v[34:35], -v[30:31]
	ds_load_b128 v[2:5], v1 offset:1504
	v_add_f64_e32 v[22:23], v[22:23], v[32:33]
	v_add_f64_e32 v[24:25], v[24:25], v[28:29]
	v_fma_f64 v[32:33], v[8:9], v[139:140], v[36:37]
	v_fma_f64 v[34:35], v[6:7], v[139:140], -v[38:39]
	ds_load_b128 v[6:9], v1 offset:1520
	s_wait_loadcnt_dscnt 0x201
	v_mul_f64_e32 v[28:29], v[2:3], v[12:13]
	v_mul_f64_e32 v[12:13], v[4:5], v[12:13]
	v_add_f64_e32 v[22:23], v[22:23], v[30:31]
	v_add_f64_e32 v[24:25], v[24:25], v[26:27]
	s_wait_loadcnt_dscnt 0x100
	v_mul_f64_e32 v[26:27], v[6:7], v[16:17]
	v_mul_f64_e32 v[16:17], v[8:9], v[16:17]
	v_fma_f64 v[4:5], v[4:5], v[10:11], v[28:29]
	v_fma_f64 v[1:2], v[2:3], v[10:11], -v[12:13]
	v_add_f64_e32 v[10:11], v[22:23], v[34:35]
	v_add_f64_e32 v[12:13], v[24:25], v[32:33]
	v_fma_f64 v[8:9], v[8:9], v[14:15], v[26:27]
	v_fma_f64 v[6:7], v[6:7], v[14:15], -v[16:17]
	s_delay_alu instid0(VALU_DEP_4) | instskip(NEXT) | instid1(VALU_DEP_4)
	v_add_f64_e32 v[1:2], v[10:11], v[1:2]
	v_add_f64_e32 v[3:4], v[12:13], v[4:5]
	s_delay_alu instid0(VALU_DEP_2) | instskip(NEXT) | instid1(VALU_DEP_2)
	v_add_f64_e32 v[1:2], v[1:2], v[6:7]
	v_add_f64_e32 v[3:4], v[3:4], v[8:9]
	s_wait_loadcnt 0x0
	s_delay_alu instid0(VALU_DEP_2) | instskip(NEXT) | instid1(VALU_DEP_2)
	v_add_f64_e64 v[1:2], v[18:19], -v[1:2]
	v_add_f64_e64 v[3:4], v[20:21], -v[3:4]
	scratch_store_b128 off, v[1:4], off offset:544
	v_cmpx_lt_u32_e32 32, v0
	s_cbranch_execz .LBB111_237
; %bb.236:
	scratch_load_b128 v[1:4], off, s28
	v_mov_b32_e32 v5, 0
	s_delay_alu instid0(VALU_DEP_1)
	v_dual_mov_b32 v6, v5 :: v_dual_mov_b32 v7, v5
	v_mov_b32_e32 v8, v5
	scratch_store_b128 off, v[5:8], off offset:528
	s_wait_loadcnt 0x0
	ds_store_b128 v138, v[1:4]
.LBB111_237:
	s_wait_alu 0xfffe
	s_or_b32 exec_lo, exec_lo, s0
	s_wait_storecnt_dscnt 0x0
	s_barrier_signal -1
	s_barrier_wait -1
	global_inv scope:SCOPE_SE
	s_clause 0x7
	scratch_load_b128 v[2:5], off, off offset:544
	scratch_load_b128 v[6:9], off, off offset:560
	;; [unrolled: 1-line block ×8, first 2 shown]
	v_mov_b32_e32 v1, 0
	s_clause 0x1
	scratch_load_b128 v[38:41], off, off offset:672
	scratch_load_b128 v[143:146], off, off offset:688
	s_mov_b32 s0, exec_lo
	ds_load_b128 v[34:37], v1 offset:1296
	ds_load_b128 v[139:142], v1 offset:1312
	s_wait_loadcnt_dscnt 0x901
	v_mul_f64_e32 v[147:148], v[36:37], v[4:5]
	v_mul_f64_e32 v[4:5], v[34:35], v[4:5]
	s_wait_loadcnt_dscnt 0x800
	v_mul_f64_e32 v[149:150], v[139:140], v[8:9]
	v_mul_f64_e32 v[8:9], v[141:142], v[8:9]
	s_delay_alu instid0(VALU_DEP_4) | instskip(NEXT) | instid1(VALU_DEP_4)
	v_fma_f64 v[147:148], v[34:35], v[2:3], -v[147:148]
	v_fma_f64 v[151:152], v[36:37], v[2:3], v[4:5]
	ds_load_b128 v[2:5], v1 offset:1328
	scratch_load_b128 v[34:37], off, off offset:704
	v_fma_f64 v[149:150], v[141:142], v[6:7], v[149:150]
	v_fma_f64 v[155:156], v[139:140], v[6:7], -v[8:9]
	ds_load_b128 v[6:9], v1 offset:1344
	scratch_load_b128 v[139:142], off, off offset:720
	s_wait_loadcnt_dscnt 0x901
	v_mul_f64_e32 v[153:154], v[2:3], v[12:13]
	v_mul_f64_e32 v[12:13], v[4:5], v[12:13]
	s_wait_loadcnt_dscnt 0x800
	v_mul_f64_e32 v[157:158], v[6:7], v[16:17]
	v_mul_f64_e32 v[16:17], v[8:9], v[16:17]
	v_add_f64_e32 v[147:148], 0, v[147:148]
	v_add_f64_e32 v[151:152], 0, v[151:152]
	v_fma_f64 v[153:154], v[4:5], v[10:11], v[153:154]
	v_fma_f64 v[159:160], v[2:3], v[10:11], -v[12:13]
	ds_load_b128 v[2:5], v1 offset:1360
	scratch_load_b128 v[10:13], off, off offset:736
	v_add_f64_e32 v[147:148], v[147:148], v[155:156]
	v_add_f64_e32 v[149:150], v[151:152], v[149:150]
	v_fma_f64 v[155:156], v[8:9], v[14:15], v[157:158]
	v_fma_f64 v[157:158], v[6:7], v[14:15], -v[16:17]
	ds_load_b128 v[6:9], v1 offset:1376
	scratch_load_b128 v[14:17], off, off offset:752
	s_wait_loadcnt_dscnt 0x901
	v_mul_f64_e32 v[151:152], v[2:3], v[20:21]
	v_mul_f64_e32 v[20:21], v[4:5], v[20:21]
	v_add_f64_e32 v[147:148], v[147:148], v[159:160]
	v_add_f64_e32 v[149:150], v[149:150], v[153:154]
	s_wait_loadcnt_dscnt 0x800
	v_mul_f64_e32 v[153:154], v[6:7], v[24:25]
	v_mul_f64_e32 v[24:25], v[8:9], v[24:25]
	v_fma_f64 v[151:152], v[4:5], v[18:19], v[151:152]
	v_fma_f64 v[159:160], v[2:3], v[18:19], -v[20:21]
	ds_load_b128 v[2:5], v1 offset:1392
	scratch_load_b128 v[18:21], off, off offset:768
	v_add_f64_e32 v[147:148], v[147:148], v[157:158]
	v_add_f64_e32 v[149:150], v[149:150], v[155:156]
	v_fma_f64 v[153:154], v[8:9], v[22:23], v[153:154]
	v_fma_f64 v[22:23], v[6:7], v[22:23], -v[24:25]
	ds_load_b128 v[6:9], v1 offset:1408
	s_wait_loadcnt_dscnt 0x801
	v_mul_f64_e32 v[155:156], v[2:3], v[28:29]
	v_mul_f64_e32 v[28:29], v[4:5], v[28:29]
	v_add_f64_e32 v[24:25], v[147:148], v[159:160]
	v_add_f64_e32 v[147:148], v[149:150], v[151:152]
	s_wait_loadcnt_dscnt 0x700
	v_mul_f64_e32 v[149:150], v[6:7], v[32:33]
	v_mul_f64_e32 v[32:33], v[8:9], v[32:33]
	v_fma_f64 v[151:152], v[4:5], v[26:27], v[155:156]
	v_fma_f64 v[26:27], v[2:3], v[26:27], -v[28:29]
	ds_load_b128 v[2:5], v1 offset:1424
	v_add_f64_e32 v[22:23], v[24:25], v[22:23]
	v_add_f64_e32 v[24:25], v[147:148], v[153:154]
	v_fma_f64 v[147:148], v[8:9], v[30:31], v[149:150]
	v_fma_f64 v[30:31], v[6:7], v[30:31], -v[32:33]
	ds_load_b128 v[6:9], v1 offset:1440
	s_wait_loadcnt_dscnt 0x500
	v_mul_f64_e32 v[149:150], v[6:7], v[145:146]
	v_mul_f64_e32 v[145:146], v[8:9], v[145:146]
	v_add_f64_e32 v[26:27], v[22:23], v[26:27]
	v_add_f64_e32 v[32:33], v[24:25], v[151:152]
	scratch_load_b128 v[22:25], off, off offset:528
	v_mul_f64_e32 v[28:29], v[2:3], v[40:41]
	v_mul_f64_e32 v[40:41], v[4:5], v[40:41]
	v_add_f64_e32 v[26:27], v[26:27], v[30:31]
	v_add_f64_e32 v[30:31], v[32:33], v[147:148]
	s_delay_alu instid0(VALU_DEP_4) | instskip(NEXT) | instid1(VALU_DEP_4)
	v_fma_f64 v[28:29], v[4:5], v[38:39], v[28:29]
	v_fma_f64 v[38:39], v[2:3], v[38:39], -v[40:41]
	ds_load_b128 v[2:5], v1 offset:1456
	v_fma_f64 v[40:41], v[8:9], v[143:144], v[149:150]
	v_fma_f64 v[143:144], v[6:7], v[143:144], -v[145:146]
	ds_load_b128 v[6:9], v1 offset:1472
	s_wait_loadcnt_dscnt 0x501
	v_mul_f64_e32 v[32:33], v[2:3], v[36:37]
	v_mul_f64_e32 v[36:37], v[4:5], v[36:37]
	v_add_f64_e32 v[28:29], v[30:31], v[28:29]
	v_add_f64_e32 v[26:27], v[26:27], v[38:39]
	s_wait_loadcnt_dscnt 0x400
	v_mul_f64_e32 v[30:31], v[6:7], v[141:142]
	v_mul_f64_e32 v[38:39], v[8:9], v[141:142]
	v_fma_f64 v[32:33], v[4:5], v[34:35], v[32:33]
	v_fma_f64 v[34:35], v[2:3], v[34:35], -v[36:37]
	ds_load_b128 v[2:5], v1 offset:1488
	v_add_f64_e32 v[28:29], v[28:29], v[40:41]
	v_add_f64_e32 v[26:27], v[26:27], v[143:144]
	v_fma_f64 v[30:31], v[8:9], v[139:140], v[30:31]
	v_fma_f64 v[38:39], v[6:7], v[139:140], -v[38:39]
	ds_load_b128 v[6:9], v1 offset:1504
	s_wait_loadcnt_dscnt 0x301
	v_mul_f64_e32 v[36:37], v[2:3], v[12:13]
	v_mul_f64_e32 v[12:13], v[4:5], v[12:13]
	v_add_f64_e32 v[28:29], v[28:29], v[32:33]
	v_add_f64_e32 v[26:27], v[26:27], v[34:35]
	s_wait_loadcnt_dscnt 0x200
	v_mul_f64_e32 v[32:33], v[6:7], v[16:17]
	v_mul_f64_e32 v[16:17], v[8:9], v[16:17]
	v_fma_f64 v[34:35], v[4:5], v[10:11], v[36:37]
	v_fma_f64 v[10:11], v[2:3], v[10:11], -v[12:13]
	ds_load_b128 v[2:5], v1 offset:1520
	v_add_f64_e32 v[12:13], v[26:27], v[38:39]
	v_add_f64_e32 v[26:27], v[28:29], v[30:31]
	s_wait_loadcnt_dscnt 0x100
	v_mul_f64_e32 v[28:29], v[2:3], v[20:21]
	v_mul_f64_e32 v[20:21], v[4:5], v[20:21]
	v_fma_f64 v[8:9], v[8:9], v[14:15], v[32:33]
	v_fma_f64 v[6:7], v[6:7], v[14:15], -v[16:17]
	v_add_f64_e32 v[10:11], v[12:13], v[10:11]
	v_add_f64_e32 v[12:13], v[26:27], v[34:35]
	v_fma_f64 v[4:5], v[4:5], v[18:19], v[28:29]
	v_fma_f64 v[2:3], v[2:3], v[18:19], -v[20:21]
	s_delay_alu instid0(VALU_DEP_4) | instskip(NEXT) | instid1(VALU_DEP_4)
	v_add_f64_e32 v[6:7], v[10:11], v[6:7]
	v_add_f64_e32 v[8:9], v[12:13], v[8:9]
	s_delay_alu instid0(VALU_DEP_2) | instskip(NEXT) | instid1(VALU_DEP_2)
	v_add_f64_e32 v[2:3], v[6:7], v[2:3]
	v_add_f64_e32 v[4:5], v[8:9], v[4:5]
	s_wait_loadcnt 0x0
	s_delay_alu instid0(VALU_DEP_2) | instskip(NEXT) | instid1(VALU_DEP_2)
	v_add_f64_e64 v[2:3], v[22:23], -v[2:3]
	v_add_f64_e64 v[4:5], v[24:25], -v[4:5]
	scratch_store_b128 off, v[2:5], off offset:528
	v_cmpx_lt_u32_e32 31, v0
	s_cbranch_execz .LBB111_239
; %bb.238:
	scratch_load_b128 v[5:8], off, s29
	v_dual_mov_b32 v2, v1 :: v_dual_mov_b32 v3, v1
	v_mov_b32_e32 v4, v1
	scratch_store_b128 off, v[1:4], off offset:512
	s_wait_loadcnt 0x0
	ds_store_b128 v138, v[5:8]
.LBB111_239:
	s_wait_alu 0xfffe
	s_or_b32 exec_lo, exec_lo, s0
	s_wait_storecnt_dscnt 0x0
	s_barrier_signal -1
	s_barrier_wait -1
	global_inv scope:SCOPE_SE
	s_clause 0x7
	scratch_load_b128 v[2:5], off, off offset:528
	scratch_load_b128 v[6:9], off, off offset:544
	;; [unrolled: 1-line block ×8, first 2 shown]
	ds_load_b128 v[34:37], v1 offset:1280
	ds_load_b128 v[139:142], v1 offset:1296
	s_clause 0x1
	scratch_load_b128 v[38:41], off, off offset:656
	scratch_load_b128 v[143:146], off, off offset:672
	s_mov_b32 s0, exec_lo
	s_wait_loadcnt_dscnt 0x901
	v_mul_f64_e32 v[147:148], v[36:37], v[4:5]
	v_mul_f64_e32 v[4:5], v[34:35], v[4:5]
	s_wait_loadcnt_dscnt 0x800
	v_mul_f64_e32 v[149:150], v[139:140], v[8:9]
	v_mul_f64_e32 v[8:9], v[141:142], v[8:9]
	s_delay_alu instid0(VALU_DEP_4) | instskip(NEXT) | instid1(VALU_DEP_4)
	v_fma_f64 v[147:148], v[34:35], v[2:3], -v[147:148]
	v_fma_f64 v[151:152], v[36:37], v[2:3], v[4:5]
	ds_load_b128 v[2:5], v1 offset:1312
	scratch_load_b128 v[34:37], off, off offset:688
	v_fma_f64 v[149:150], v[141:142], v[6:7], v[149:150]
	v_fma_f64 v[155:156], v[139:140], v[6:7], -v[8:9]
	ds_load_b128 v[6:9], v1 offset:1328
	scratch_load_b128 v[139:142], off, off offset:704
	s_wait_loadcnt_dscnt 0x901
	v_mul_f64_e32 v[153:154], v[2:3], v[12:13]
	v_mul_f64_e32 v[12:13], v[4:5], v[12:13]
	s_wait_loadcnt_dscnt 0x800
	v_mul_f64_e32 v[157:158], v[6:7], v[16:17]
	v_mul_f64_e32 v[16:17], v[8:9], v[16:17]
	v_add_f64_e32 v[147:148], 0, v[147:148]
	v_add_f64_e32 v[151:152], 0, v[151:152]
	v_fma_f64 v[153:154], v[4:5], v[10:11], v[153:154]
	v_fma_f64 v[159:160], v[2:3], v[10:11], -v[12:13]
	ds_load_b128 v[2:5], v1 offset:1344
	scratch_load_b128 v[10:13], off, off offset:720
	v_add_f64_e32 v[147:148], v[147:148], v[155:156]
	v_add_f64_e32 v[149:150], v[151:152], v[149:150]
	v_fma_f64 v[155:156], v[8:9], v[14:15], v[157:158]
	v_fma_f64 v[157:158], v[6:7], v[14:15], -v[16:17]
	ds_load_b128 v[6:9], v1 offset:1360
	scratch_load_b128 v[14:17], off, off offset:736
	s_wait_loadcnt_dscnt 0x901
	v_mul_f64_e32 v[151:152], v[2:3], v[20:21]
	v_mul_f64_e32 v[20:21], v[4:5], v[20:21]
	v_add_f64_e32 v[147:148], v[147:148], v[159:160]
	v_add_f64_e32 v[149:150], v[149:150], v[153:154]
	s_wait_loadcnt_dscnt 0x800
	v_mul_f64_e32 v[153:154], v[6:7], v[24:25]
	v_mul_f64_e32 v[24:25], v[8:9], v[24:25]
	v_fma_f64 v[151:152], v[4:5], v[18:19], v[151:152]
	v_fma_f64 v[159:160], v[2:3], v[18:19], -v[20:21]
	ds_load_b128 v[2:5], v1 offset:1376
	scratch_load_b128 v[18:21], off, off offset:752
	v_add_f64_e32 v[147:148], v[147:148], v[157:158]
	v_add_f64_e32 v[149:150], v[149:150], v[155:156]
	v_fma_f64 v[153:154], v[8:9], v[22:23], v[153:154]
	v_fma_f64 v[157:158], v[6:7], v[22:23], -v[24:25]
	ds_load_b128 v[6:9], v1 offset:1392
	s_wait_loadcnt_dscnt 0x801
	v_mul_f64_e32 v[155:156], v[2:3], v[28:29]
	v_mul_f64_e32 v[28:29], v[4:5], v[28:29]
	scratch_load_b128 v[22:25], off, off offset:768
	v_add_f64_e32 v[147:148], v[147:148], v[159:160]
	v_add_f64_e32 v[149:150], v[149:150], v[151:152]
	s_wait_loadcnt_dscnt 0x800
	v_mul_f64_e32 v[151:152], v[6:7], v[32:33]
	v_mul_f64_e32 v[32:33], v[8:9], v[32:33]
	v_fma_f64 v[155:156], v[4:5], v[26:27], v[155:156]
	v_fma_f64 v[26:27], v[2:3], v[26:27], -v[28:29]
	ds_load_b128 v[2:5], v1 offset:1408
	v_add_f64_e32 v[28:29], v[147:148], v[157:158]
	v_add_f64_e32 v[147:148], v[149:150], v[153:154]
	v_fma_f64 v[151:152], v[8:9], v[30:31], v[151:152]
	v_fma_f64 v[30:31], v[6:7], v[30:31], -v[32:33]
	ds_load_b128 v[6:9], v1 offset:1424
	s_wait_loadcnt_dscnt 0x701
	v_mul_f64_e32 v[149:150], v[2:3], v[40:41]
	v_mul_f64_e32 v[40:41], v[4:5], v[40:41]
	v_add_f64_e32 v[26:27], v[28:29], v[26:27]
	v_add_f64_e32 v[28:29], v[147:148], v[155:156]
	s_delay_alu instid0(VALU_DEP_4) | instskip(NEXT) | instid1(VALU_DEP_4)
	v_fma_f64 v[147:148], v[4:5], v[38:39], v[149:150]
	v_fma_f64 v[38:39], v[2:3], v[38:39], -v[40:41]
	ds_load_b128 v[2:5], v1 offset:1440
	v_add_f64_e32 v[30:31], v[26:27], v[30:31]
	v_add_f64_e32 v[40:41], v[28:29], v[151:152]
	scratch_load_b128 v[26:29], off, off offset:512
	s_wait_loadcnt_dscnt 0x701
	v_mul_f64_e32 v[32:33], v[6:7], v[145:146]
	v_mul_f64_e32 v[145:146], v[8:9], v[145:146]
	v_add_f64_e32 v[30:31], v[30:31], v[38:39]
	v_add_f64_e32 v[38:39], v[40:41], v[147:148]
	s_delay_alu instid0(VALU_DEP_4) | instskip(NEXT) | instid1(VALU_DEP_4)
	v_fma_f64 v[32:33], v[8:9], v[143:144], v[32:33]
	v_fma_f64 v[143:144], v[6:7], v[143:144], -v[145:146]
	ds_load_b128 v[6:9], v1 offset:1456
	s_wait_loadcnt_dscnt 0x601
	v_mul_f64_e32 v[149:150], v[2:3], v[36:37]
	v_mul_f64_e32 v[36:37], v[4:5], v[36:37]
	s_wait_loadcnt_dscnt 0x500
	v_mul_f64_e32 v[40:41], v[6:7], v[141:142]
	v_mul_f64_e32 v[141:142], v[8:9], v[141:142]
	v_add_f64_e32 v[32:33], v[38:39], v[32:33]
	v_add_f64_e32 v[30:31], v[30:31], v[143:144]
	v_fma_f64 v[145:146], v[4:5], v[34:35], v[149:150]
	v_fma_f64 v[34:35], v[2:3], v[34:35], -v[36:37]
	ds_load_b128 v[2:5], v1 offset:1472
	v_fma_f64 v[38:39], v[8:9], v[139:140], v[40:41]
	v_fma_f64 v[40:41], v[6:7], v[139:140], -v[141:142]
	ds_load_b128 v[6:9], v1 offset:1488
	s_wait_loadcnt_dscnt 0x401
	v_mul_f64_e32 v[36:37], v[2:3], v[12:13]
	v_mul_f64_e32 v[12:13], v[4:5], v[12:13]
	v_add_f64_e32 v[32:33], v[32:33], v[145:146]
	v_add_f64_e32 v[30:31], v[30:31], v[34:35]
	s_wait_loadcnt_dscnt 0x300
	v_mul_f64_e32 v[34:35], v[6:7], v[16:17]
	v_mul_f64_e32 v[16:17], v[8:9], v[16:17]
	v_fma_f64 v[36:37], v[4:5], v[10:11], v[36:37]
	v_fma_f64 v[10:11], v[2:3], v[10:11], -v[12:13]
	ds_load_b128 v[2:5], v1 offset:1504
	v_add_f64_e32 v[12:13], v[30:31], v[40:41]
	v_add_f64_e32 v[30:31], v[32:33], v[38:39]
	v_fma_f64 v[34:35], v[8:9], v[14:15], v[34:35]
	v_fma_f64 v[14:15], v[6:7], v[14:15], -v[16:17]
	ds_load_b128 v[6:9], v1 offset:1520
	s_wait_loadcnt_dscnt 0x201
	v_mul_f64_e32 v[32:33], v[2:3], v[20:21]
	v_mul_f64_e32 v[20:21], v[4:5], v[20:21]
	s_wait_loadcnt_dscnt 0x100
	v_mul_f64_e32 v[16:17], v[6:7], v[24:25]
	v_mul_f64_e32 v[24:25], v[8:9], v[24:25]
	v_add_f64_e32 v[10:11], v[12:13], v[10:11]
	v_add_f64_e32 v[12:13], v[30:31], v[36:37]
	v_fma_f64 v[4:5], v[4:5], v[18:19], v[32:33]
	v_fma_f64 v[1:2], v[2:3], v[18:19], -v[20:21]
	v_fma_f64 v[8:9], v[8:9], v[22:23], v[16:17]
	v_fma_f64 v[6:7], v[6:7], v[22:23], -v[24:25]
	v_add_f64_e32 v[10:11], v[10:11], v[14:15]
	v_add_f64_e32 v[12:13], v[12:13], v[34:35]
	s_delay_alu instid0(VALU_DEP_2) | instskip(NEXT) | instid1(VALU_DEP_2)
	v_add_f64_e32 v[1:2], v[10:11], v[1:2]
	v_add_f64_e32 v[3:4], v[12:13], v[4:5]
	s_delay_alu instid0(VALU_DEP_2) | instskip(NEXT) | instid1(VALU_DEP_2)
	v_add_f64_e32 v[1:2], v[1:2], v[6:7]
	v_add_f64_e32 v[3:4], v[3:4], v[8:9]
	s_wait_loadcnt 0x0
	s_delay_alu instid0(VALU_DEP_2) | instskip(NEXT) | instid1(VALU_DEP_2)
	v_add_f64_e64 v[1:2], v[26:27], -v[1:2]
	v_add_f64_e64 v[3:4], v[28:29], -v[3:4]
	scratch_store_b128 off, v[1:4], off offset:512
	v_cmpx_lt_u32_e32 30, v0
	s_cbranch_execz .LBB111_241
; %bb.240:
	scratch_load_b128 v[1:4], off, s30
	v_mov_b32_e32 v5, 0
	s_delay_alu instid0(VALU_DEP_1)
	v_dual_mov_b32 v6, v5 :: v_dual_mov_b32 v7, v5
	v_mov_b32_e32 v8, v5
	scratch_store_b128 off, v[5:8], off offset:496
	s_wait_loadcnt 0x0
	ds_store_b128 v138, v[1:4]
.LBB111_241:
	s_wait_alu 0xfffe
	s_or_b32 exec_lo, exec_lo, s0
	s_wait_storecnt_dscnt 0x0
	s_barrier_signal -1
	s_barrier_wait -1
	global_inv scope:SCOPE_SE
	s_clause 0x7
	scratch_load_b128 v[2:5], off, off offset:512
	scratch_load_b128 v[6:9], off, off offset:528
	;; [unrolled: 1-line block ×8, first 2 shown]
	v_mov_b32_e32 v1, 0
	s_clause 0x1
	scratch_load_b128 v[38:41], off, off offset:640
	scratch_load_b128 v[143:146], off, off offset:656
	s_mov_b32 s0, exec_lo
	ds_load_b128 v[34:37], v1 offset:1264
	ds_load_b128 v[139:142], v1 offset:1280
	s_wait_loadcnt_dscnt 0x901
	v_mul_f64_e32 v[147:148], v[36:37], v[4:5]
	v_mul_f64_e32 v[4:5], v[34:35], v[4:5]
	s_wait_loadcnt_dscnt 0x800
	v_mul_f64_e32 v[149:150], v[139:140], v[8:9]
	v_mul_f64_e32 v[8:9], v[141:142], v[8:9]
	s_delay_alu instid0(VALU_DEP_4) | instskip(NEXT) | instid1(VALU_DEP_4)
	v_fma_f64 v[147:148], v[34:35], v[2:3], -v[147:148]
	v_fma_f64 v[151:152], v[36:37], v[2:3], v[4:5]
	ds_load_b128 v[2:5], v1 offset:1296
	scratch_load_b128 v[34:37], off, off offset:672
	v_fma_f64 v[149:150], v[141:142], v[6:7], v[149:150]
	v_fma_f64 v[155:156], v[139:140], v[6:7], -v[8:9]
	ds_load_b128 v[6:9], v1 offset:1312
	scratch_load_b128 v[139:142], off, off offset:688
	s_wait_loadcnt_dscnt 0x901
	v_mul_f64_e32 v[153:154], v[2:3], v[12:13]
	v_mul_f64_e32 v[12:13], v[4:5], v[12:13]
	s_wait_loadcnt_dscnt 0x800
	v_mul_f64_e32 v[157:158], v[6:7], v[16:17]
	v_mul_f64_e32 v[16:17], v[8:9], v[16:17]
	v_add_f64_e32 v[147:148], 0, v[147:148]
	v_add_f64_e32 v[151:152], 0, v[151:152]
	v_fma_f64 v[153:154], v[4:5], v[10:11], v[153:154]
	v_fma_f64 v[159:160], v[2:3], v[10:11], -v[12:13]
	ds_load_b128 v[2:5], v1 offset:1328
	scratch_load_b128 v[10:13], off, off offset:704
	v_add_f64_e32 v[147:148], v[147:148], v[155:156]
	v_add_f64_e32 v[149:150], v[151:152], v[149:150]
	v_fma_f64 v[155:156], v[8:9], v[14:15], v[157:158]
	v_fma_f64 v[157:158], v[6:7], v[14:15], -v[16:17]
	ds_load_b128 v[6:9], v1 offset:1344
	scratch_load_b128 v[14:17], off, off offset:720
	s_wait_loadcnt_dscnt 0x901
	v_mul_f64_e32 v[151:152], v[2:3], v[20:21]
	v_mul_f64_e32 v[20:21], v[4:5], v[20:21]
	v_add_f64_e32 v[147:148], v[147:148], v[159:160]
	v_add_f64_e32 v[149:150], v[149:150], v[153:154]
	s_wait_loadcnt_dscnt 0x800
	v_mul_f64_e32 v[153:154], v[6:7], v[24:25]
	v_mul_f64_e32 v[24:25], v[8:9], v[24:25]
	v_fma_f64 v[151:152], v[4:5], v[18:19], v[151:152]
	v_fma_f64 v[159:160], v[2:3], v[18:19], -v[20:21]
	ds_load_b128 v[2:5], v1 offset:1360
	scratch_load_b128 v[18:21], off, off offset:736
	v_add_f64_e32 v[147:148], v[147:148], v[157:158]
	v_add_f64_e32 v[149:150], v[149:150], v[155:156]
	v_fma_f64 v[153:154], v[8:9], v[22:23], v[153:154]
	v_fma_f64 v[157:158], v[6:7], v[22:23], -v[24:25]
	ds_load_b128 v[6:9], v1 offset:1376
	s_wait_loadcnt_dscnt 0x801
	v_mul_f64_e32 v[155:156], v[2:3], v[28:29]
	v_mul_f64_e32 v[28:29], v[4:5], v[28:29]
	scratch_load_b128 v[22:25], off, off offset:752
	v_add_f64_e32 v[147:148], v[147:148], v[159:160]
	v_add_f64_e32 v[149:150], v[149:150], v[151:152]
	s_wait_loadcnt_dscnt 0x800
	v_mul_f64_e32 v[151:152], v[6:7], v[32:33]
	v_mul_f64_e32 v[32:33], v[8:9], v[32:33]
	v_fma_f64 v[155:156], v[4:5], v[26:27], v[155:156]
	v_fma_f64 v[159:160], v[2:3], v[26:27], -v[28:29]
	ds_load_b128 v[2:5], v1 offset:1392
	scratch_load_b128 v[26:29], off, off offset:768
	v_add_f64_e32 v[147:148], v[147:148], v[157:158]
	v_add_f64_e32 v[149:150], v[149:150], v[153:154]
	v_fma_f64 v[151:152], v[8:9], v[30:31], v[151:152]
	v_fma_f64 v[30:31], v[6:7], v[30:31], -v[32:33]
	ds_load_b128 v[6:9], v1 offset:1408
	s_wait_loadcnt_dscnt 0x801
	v_mul_f64_e32 v[153:154], v[2:3], v[40:41]
	v_mul_f64_e32 v[40:41], v[4:5], v[40:41]
	v_add_f64_e32 v[32:33], v[147:148], v[159:160]
	v_add_f64_e32 v[147:148], v[149:150], v[155:156]
	s_wait_loadcnt_dscnt 0x700
	v_mul_f64_e32 v[149:150], v[6:7], v[145:146]
	v_mul_f64_e32 v[145:146], v[8:9], v[145:146]
	v_fma_f64 v[153:154], v[4:5], v[38:39], v[153:154]
	v_fma_f64 v[38:39], v[2:3], v[38:39], -v[40:41]
	ds_load_b128 v[2:5], v1 offset:1424
	v_add_f64_e32 v[30:31], v[32:33], v[30:31]
	v_add_f64_e32 v[32:33], v[147:148], v[151:152]
	v_fma_f64 v[147:148], v[8:9], v[143:144], v[149:150]
	v_fma_f64 v[143:144], v[6:7], v[143:144], -v[145:146]
	ds_load_b128 v[6:9], v1 offset:1440
	s_wait_loadcnt_dscnt 0x500
	v_mul_f64_e32 v[149:150], v[6:7], v[141:142]
	v_mul_f64_e32 v[141:142], v[8:9], v[141:142]
	v_add_f64_e32 v[38:39], v[30:31], v[38:39]
	v_add_f64_e32 v[145:146], v[32:33], v[153:154]
	scratch_load_b128 v[30:33], off, off offset:496
	v_mul_f64_e32 v[40:41], v[2:3], v[36:37]
	v_mul_f64_e32 v[36:37], v[4:5], v[36:37]
	s_delay_alu instid0(VALU_DEP_2) | instskip(NEXT) | instid1(VALU_DEP_2)
	v_fma_f64 v[40:41], v[4:5], v[34:35], v[40:41]
	v_fma_f64 v[34:35], v[2:3], v[34:35], -v[36:37]
	v_add_f64_e32 v[36:37], v[38:39], v[143:144]
	v_add_f64_e32 v[38:39], v[145:146], v[147:148]
	ds_load_b128 v[2:5], v1 offset:1456
	v_fma_f64 v[145:146], v[8:9], v[139:140], v[149:150]
	v_fma_f64 v[139:140], v[6:7], v[139:140], -v[141:142]
	ds_load_b128 v[6:9], v1 offset:1472
	s_wait_loadcnt_dscnt 0x501
	v_mul_f64_e32 v[143:144], v[2:3], v[12:13]
	v_mul_f64_e32 v[12:13], v[4:5], v[12:13]
	v_add_f64_e32 v[34:35], v[36:37], v[34:35]
	v_add_f64_e32 v[36:37], v[38:39], v[40:41]
	s_wait_loadcnt_dscnt 0x400
	v_mul_f64_e32 v[38:39], v[6:7], v[16:17]
	v_mul_f64_e32 v[16:17], v[8:9], v[16:17]
	v_fma_f64 v[40:41], v[4:5], v[10:11], v[143:144]
	v_fma_f64 v[10:11], v[2:3], v[10:11], -v[12:13]
	ds_load_b128 v[2:5], v1 offset:1488
	v_add_f64_e32 v[12:13], v[34:35], v[139:140]
	v_add_f64_e32 v[34:35], v[36:37], v[145:146]
	v_fma_f64 v[38:39], v[8:9], v[14:15], v[38:39]
	v_fma_f64 v[14:15], v[6:7], v[14:15], -v[16:17]
	ds_load_b128 v[6:9], v1 offset:1504
	s_wait_loadcnt_dscnt 0x301
	v_mul_f64_e32 v[36:37], v[2:3], v[20:21]
	v_mul_f64_e32 v[20:21], v[4:5], v[20:21]
	s_wait_loadcnt_dscnt 0x200
	v_mul_f64_e32 v[16:17], v[6:7], v[24:25]
	v_mul_f64_e32 v[24:25], v[8:9], v[24:25]
	v_add_f64_e32 v[10:11], v[12:13], v[10:11]
	v_add_f64_e32 v[12:13], v[34:35], v[40:41]
	v_fma_f64 v[34:35], v[4:5], v[18:19], v[36:37]
	v_fma_f64 v[18:19], v[2:3], v[18:19], -v[20:21]
	ds_load_b128 v[2:5], v1 offset:1520
	v_fma_f64 v[8:9], v[8:9], v[22:23], v[16:17]
	v_fma_f64 v[6:7], v[6:7], v[22:23], -v[24:25]
	s_wait_loadcnt_dscnt 0x100
	v_mul_f64_e32 v[20:21], v[4:5], v[28:29]
	v_add_f64_e32 v[10:11], v[10:11], v[14:15]
	v_add_f64_e32 v[12:13], v[12:13], v[38:39]
	v_mul_f64_e32 v[14:15], v[2:3], v[28:29]
	s_delay_alu instid0(VALU_DEP_4) | instskip(NEXT) | instid1(VALU_DEP_4)
	v_fma_f64 v[2:3], v[2:3], v[26:27], -v[20:21]
	v_add_f64_e32 v[10:11], v[10:11], v[18:19]
	s_delay_alu instid0(VALU_DEP_4) | instskip(NEXT) | instid1(VALU_DEP_4)
	v_add_f64_e32 v[12:13], v[12:13], v[34:35]
	v_fma_f64 v[4:5], v[4:5], v[26:27], v[14:15]
	s_delay_alu instid0(VALU_DEP_3) | instskip(NEXT) | instid1(VALU_DEP_3)
	v_add_f64_e32 v[6:7], v[10:11], v[6:7]
	v_add_f64_e32 v[8:9], v[12:13], v[8:9]
	s_delay_alu instid0(VALU_DEP_2) | instskip(NEXT) | instid1(VALU_DEP_2)
	v_add_f64_e32 v[2:3], v[6:7], v[2:3]
	v_add_f64_e32 v[4:5], v[8:9], v[4:5]
	s_wait_loadcnt 0x0
	s_delay_alu instid0(VALU_DEP_2) | instskip(NEXT) | instid1(VALU_DEP_2)
	v_add_f64_e64 v[2:3], v[30:31], -v[2:3]
	v_add_f64_e64 v[4:5], v[32:33], -v[4:5]
	scratch_store_b128 off, v[2:5], off offset:496
	v_cmpx_lt_u32_e32 29, v0
	s_cbranch_execz .LBB111_243
; %bb.242:
	scratch_load_b128 v[5:8], off, s31
	v_dual_mov_b32 v2, v1 :: v_dual_mov_b32 v3, v1
	v_mov_b32_e32 v4, v1
	scratch_store_b128 off, v[1:4], off offset:480
	s_wait_loadcnt 0x0
	ds_store_b128 v138, v[5:8]
.LBB111_243:
	s_wait_alu 0xfffe
	s_or_b32 exec_lo, exec_lo, s0
	s_wait_storecnt_dscnt 0x0
	s_barrier_signal -1
	s_barrier_wait -1
	global_inv scope:SCOPE_SE
	s_clause 0x7
	scratch_load_b128 v[2:5], off, off offset:496
	scratch_load_b128 v[6:9], off, off offset:512
	;; [unrolled: 1-line block ×8, first 2 shown]
	ds_load_b128 v[34:37], v1 offset:1248
	ds_load_b128 v[139:142], v1 offset:1264
	s_clause 0x1
	scratch_load_b128 v[38:41], off, off offset:624
	scratch_load_b128 v[143:146], off, off offset:640
	s_mov_b32 s0, exec_lo
	s_wait_loadcnt_dscnt 0x901
	v_mul_f64_e32 v[147:148], v[36:37], v[4:5]
	v_mul_f64_e32 v[4:5], v[34:35], v[4:5]
	s_wait_loadcnt_dscnt 0x800
	v_mul_f64_e32 v[149:150], v[139:140], v[8:9]
	v_mul_f64_e32 v[8:9], v[141:142], v[8:9]
	s_delay_alu instid0(VALU_DEP_4) | instskip(NEXT) | instid1(VALU_DEP_4)
	v_fma_f64 v[147:148], v[34:35], v[2:3], -v[147:148]
	v_fma_f64 v[151:152], v[36:37], v[2:3], v[4:5]
	scratch_load_b128 v[34:37], off, off offset:656
	ds_load_b128 v[2:5], v1 offset:1280
	v_fma_f64 v[149:150], v[141:142], v[6:7], v[149:150]
	v_fma_f64 v[155:156], v[139:140], v[6:7], -v[8:9]
	ds_load_b128 v[6:9], v1 offset:1296
	scratch_load_b128 v[139:142], off, off offset:672
	s_wait_loadcnt_dscnt 0x901
	v_mul_f64_e32 v[153:154], v[2:3], v[12:13]
	v_mul_f64_e32 v[12:13], v[4:5], v[12:13]
	s_wait_loadcnt_dscnt 0x800
	v_mul_f64_e32 v[157:158], v[6:7], v[16:17]
	v_mul_f64_e32 v[16:17], v[8:9], v[16:17]
	v_add_f64_e32 v[147:148], 0, v[147:148]
	v_add_f64_e32 v[151:152], 0, v[151:152]
	v_fma_f64 v[153:154], v[4:5], v[10:11], v[153:154]
	v_fma_f64 v[159:160], v[2:3], v[10:11], -v[12:13]
	ds_load_b128 v[2:5], v1 offset:1312
	scratch_load_b128 v[10:13], off, off offset:688
	v_add_f64_e32 v[147:148], v[147:148], v[155:156]
	v_add_f64_e32 v[149:150], v[151:152], v[149:150]
	v_fma_f64 v[155:156], v[8:9], v[14:15], v[157:158]
	v_fma_f64 v[157:158], v[6:7], v[14:15], -v[16:17]
	ds_load_b128 v[6:9], v1 offset:1328
	scratch_load_b128 v[14:17], off, off offset:704
	s_wait_loadcnt_dscnt 0x901
	v_mul_f64_e32 v[151:152], v[2:3], v[20:21]
	v_mul_f64_e32 v[20:21], v[4:5], v[20:21]
	v_add_f64_e32 v[147:148], v[147:148], v[159:160]
	v_add_f64_e32 v[149:150], v[149:150], v[153:154]
	s_wait_loadcnt_dscnt 0x800
	v_mul_f64_e32 v[153:154], v[6:7], v[24:25]
	v_mul_f64_e32 v[24:25], v[8:9], v[24:25]
	v_fma_f64 v[151:152], v[4:5], v[18:19], v[151:152]
	v_fma_f64 v[159:160], v[2:3], v[18:19], -v[20:21]
	ds_load_b128 v[2:5], v1 offset:1344
	scratch_load_b128 v[18:21], off, off offset:720
	v_add_f64_e32 v[147:148], v[147:148], v[157:158]
	v_add_f64_e32 v[149:150], v[149:150], v[155:156]
	v_fma_f64 v[153:154], v[8:9], v[22:23], v[153:154]
	v_fma_f64 v[157:158], v[6:7], v[22:23], -v[24:25]
	ds_load_b128 v[6:9], v1 offset:1360
	s_wait_loadcnt_dscnt 0x801
	v_mul_f64_e32 v[155:156], v[2:3], v[28:29]
	v_mul_f64_e32 v[28:29], v[4:5], v[28:29]
	scratch_load_b128 v[22:25], off, off offset:736
	v_add_f64_e32 v[147:148], v[147:148], v[159:160]
	v_add_f64_e32 v[149:150], v[149:150], v[151:152]
	s_wait_loadcnt_dscnt 0x800
	v_mul_f64_e32 v[151:152], v[6:7], v[32:33]
	v_mul_f64_e32 v[32:33], v[8:9], v[32:33]
	v_fma_f64 v[155:156], v[4:5], v[26:27], v[155:156]
	v_fma_f64 v[159:160], v[2:3], v[26:27], -v[28:29]
	ds_load_b128 v[2:5], v1 offset:1376
	scratch_load_b128 v[26:29], off, off offset:752
	v_add_f64_e32 v[147:148], v[147:148], v[157:158]
	v_add_f64_e32 v[149:150], v[149:150], v[153:154]
	v_fma_f64 v[151:152], v[8:9], v[30:31], v[151:152]
	v_fma_f64 v[157:158], v[6:7], v[30:31], -v[32:33]
	ds_load_b128 v[6:9], v1 offset:1392
	s_wait_loadcnt_dscnt 0x801
	v_mul_f64_e32 v[153:154], v[2:3], v[40:41]
	v_mul_f64_e32 v[40:41], v[4:5], v[40:41]
	scratch_load_b128 v[30:33], off, off offset:768
	v_add_f64_e32 v[147:148], v[147:148], v[159:160]
	v_add_f64_e32 v[149:150], v[149:150], v[155:156]
	v_fma_f64 v[153:154], v[4:5], v[38:39], v[153:154]
	v_fma_f64 v[38:39], v[2:3], v[38:39], -v[40:41]
	ds_load_b128 v[2:5], v1 offset:1408
	v_add_f64_e32 v[40:41], v[147:148], v[157:158]
	v_add_f64_e32 v[147:148], v[149:150], v[151:152]
	s_wait_loadcnt_dscnt 0x700
	v_mul_f64_e32 v[149:150], v[2:3], v[36:37]
	v_mul_f64_e32 v[36:37], v[4:5], v[36:37]
	s_delay_alu instid0(VALU_DEP_4) | instskip(NEXT) | instid1(VALU_DEP_4)
	v_add_f64_e32 v[38:39], v[40:41], v[38:39]
	v_add_f64_e32 v[40:41], v[147:148], v[153:154]
	s_delay_alu instid0(VALU_DEP_4) | instskip(NEXT) | instid1(VALU_DEP_4)
	v_fma_f64 v[147:148], v[4:5], v[34:35], v[149:150]
	v_fma_f64 v[149:150], v[2:3], v[34:35], -v[36:37]
	scratch_load_b128 v[34:37], off, off offset:480
	v_mul_f64_e32 v[155:156], v[6:7], v[145:146]
	v_mul_f64_e32 v[145:146], v[8:9], v[145:146]
	ds_load_b128 v[2:5], v1 offset:1440
	v_fma_f64 v[151:152], v[8:9], v[143:144], v[155:156]
	v_fma_f64 v[143:144], v[6:7], v[143:144], -v[145:146]
	ds_load_b128 v[6:9], v1 offset:1424
	s_wait_loadcnt_dscnt 0x700
	v_mul_f64_e32 v[145:146], v[6:7], v[141:142]
	v_mul_f64_e32 v[141:142], v[8:9], v[141:142]
	v_add_f64_e32 v[40:41], v[40:41], v[151:152]
	v_add_f64_e32 v[38:39], v[38:39], v[143:144]
	s_wait_loadcnt 0x6
	v_mul_f64_e32 v[143:144], v[2:3], v[12:13]
	v_mul_f64_e32 v[12:13], v[4:5], v[12:13]
	v_fma_f64 v[145:146], v[8:9], v[139:140], v[145:146]
	v_fma_f64 v[139:140], v[6:7], v[139:140], -v[141:142]
	ds_load_b128 v[6:9], v1 offset:1456
	v_add_f64_e32 v[40:41], v[40:41], v[147:148]
	v_add_f64_e32 v[38:39], v[38:39], v[149:150]
	v_fma_f64 v[143:144], v[4:5], v[10:11], v[143:144]
	v_fma_f64 v[10:11], v[2:3], v[10:11], -v[12:13]
	ds_load_b128 v[2:5], v1 offset:1472
	s_wait_loadcnt_dscnt 0x501
	v_mul_f64_e32 v[141:142], v[6:7], v[16:17]
	v_mul_f64_e32 v[16:17], v[8:9], v[16:17]
	v_add_f64_e32 v[12:13], v[38:39], v[139:140]
	v_add_f64_e32 v[38:39], v[40:41], v[145:146]
	s_wait_loadcnt_dscnt 0x400
	v_mul_f64_e32 v[40:41], v[2:3], v[20:21]
	v_mul_f64_e32 v[20:21], v[4:5], v[20:21]
	v_fma_f64 v[139:140], v[8:9], v[14:15], v[141:142]
	v_fma_f64 v[14:15], v[6:7], v[14:15], -v[16:17]
	ds_load_b128 v[6:9], v1 offset:1488
	v_add_f64_e32 v[10:11], v[12:13], v[10:11]
	v_add_f64_e32 v[12:13], v[38:39], v[143:144]
	v_fma_f64 v[38:39], v[4:5], v[18:19], v[40:41]
	v_fma_f64 v[18:19], v[2:3], v[18:19], -v[20:21]
	ds_load_b128 v[2:5], v1 offset:1504
	s_wait_loadcnt_dscnt 0x301
	v_mul_f64_e32 v[16:17], v[6:7], v[24:25]
	v_mul_f64_e32 v[24:25], v[8:9], v[24:25]
	s_wait_loadcnt_dscnt 0x200
	v_mul_f64_e32 v[20:21], v[4:5], v[28:29]
	v_add_f64_e32 v[10:11], v[10:11], v[14:15]
	v_add_f64_e32 v[12:13], v[12:13], v[139:140]
	v_mul_f64_e32 v[14:15], v[2:3], v[28:29]
	v_fma_f64 v[16:17], v[8:9], v[22:23], v[16:17]
	v_fma_f64 v[22:23], v[6:7], v[22:23], -v[24:25]
	ds_load_b128 v[6:9], v1 offset:1520
	v_fma_f64 v[1:2], v[2:3], v[26:27], -v[20:21]
	s_wait_loadcnt_dscnt 0x100
	v_mul_f64_e32 v[24:25], v[8:9], v[32:33]
	v_add_f64_e32 v[10:11], v[10:11], v[18:19]
	v_add_f64_e32 v[12:13], v[12:13], v[38:39]
	v_mul_f64_e32 v[18:19], v[6:7], v[32:33]
	v_fma_f64 v[4:5], v[4:5], v[26:27], v[14:15]
	v_fma_f64 v[6:7], v[6:7], v[30:31], -v[24:25]
	v_add_f64_e32 v[10:11], v[10:11], v[22:23]
	v_add_f64_e32 v[12:13], v[12:13], v[16:17]
	v_fma_f64 v[8:9], v[8:9], v[30:31], v[18:19]
	s_delay_alu instid0(VALU_DEP_3) | instskip(NEXT) | instid1(VALU_DEP_3)
	v_add_f64_e32 v[1:2], v[10:11], v[1:2]
	v_add_f64_e32 v[3:4], v[12:13], v[4:5]
	s_delay_alu instid0(VALU_DEP_2) | instskip(NEXT) | instid1(VALU_DEP_2)
	v_add_f64_e32 v[1:2], v[1:2], v[6:7]
	v_add_f64_e32 v[3:4], v[3:4], v[8:9]
	s_wait_loadcnt 0x0
	s_delay_alu instid0(VALU_DEP_2) | instskip(NEXT) | instid1(VALU_DEP_2)
	v_add_f64_e64 v[1:2], v[34:35], -v[1:2]
	v_add_f64_e64 v[3:4], v[36:37], -v[3:4]
	scratch_store_b128 off, v[1:4], off offset:480
	v_cmpx_lt_u32_e32 28, v0
	s_cbranch_execz .LBB111_245
; %bb.244:
	scratch_load_b128 v[1:4], off, s33
	v_mov_b32_e32 v5, 0
	s_delay_alu instid0(VALU_DEP_1)
	v_dual_mov_b32 v6, v5 :: v_dual_mov_b32 v7, v5
	v_mov_b32_e32 v8, v5
	scratch_store_b128 off, v[5:8], off offset:464
	s_wait_loadcnt 0x0
	ds_store_b128 v138, v[1:4]
.LBB111_245:
	s_wait_alu 0xfffe
	s_or_b32 exec_lo, exec_lo, s0
	s_wait_storecnt_dscnt 0x0
	s_barrier_signal -1
	s_barrier_wait -1
	global_inv scope:SCOPE_SE
	s_clause 0x7
	scratch_load_b128 v[2:5], off, off offset:480
	scratch_load_b128 v[6:9], off, off offset:496
	scratch_load_b128 v[10:13], off, off offset:512
	scratch_load_b128 v[14:17], off, off offset:528
	scratch_load_b128 v[18:21], off, off offset:544
	scratch_load_b128 v[22:25], off, off offset:560
	scratch_load_b128 v[26:29], off, off offset:576
	scratch_load_b128 v[30:33], off, off offset:592
	v_mov_b32_e32 v1, 0
	s_clause 0x1
	scratch_load_b128 v[38:41], off, off offset:608
	scratch_load_b128 v[143:146], off, off offset:624
	s_mov_b32 s0, exec_lo
	ds_load_b128 v[34:37], v1 offset:1232
	ds_load_b128 v[139:142], v1 offset:1248
	s_wait_loadcnt_dscnt 0x901
	v_mul_f64_e32 v[147:148], v[36:37], v[4:5]
	v_mul_f64_e32 v[4:5], v[34:35], v[4:5]
	s_wait_loadcnt_dscnt 0x800
	v_mul_f64_e32 v[149:150], v[139:140], v[8:9]
	v_mul_f64_e32 v[8:9], v[141:142], v[8:9]
	s_delay_alu instid0(VALU_DEP_4) | instskip(NEXT) | instid1(VALU_DEP_4)
	v_fma_f64 v[147:148], v[34:35], v[2:3], -v[147:148]
	v_fma_f64 v[151:152], v[36:37], v[2:3], v[4:5]
	ds_load_b128 v[2:5], v1 offset:1264
	scratch_load_b128 v[34:37], off, off offset:640
	v_fma_f64 v[149:150], v[141:142], v[6:7], v[149:150]
	v_fma_f64 v[155:156], v[139:140], v[6:7], -v[8:9]
	ds_load_b128 v[6:9], v1 offset:1280
	scratch_load_b128 v[139:142], off, off offset:656
	s_wait_loadcnt_dscnt 0x901
	v_mul_f64_e32 v[153:154], v[2:3], v[12:13]
	v_mul_f64_e32 v[12:13], v[4:5], v[12:13]
	s_wait_loadcnt_dscnt 0x800
	v_mul_f64_e32 v[157:158], v[6:7], v[16:17]
	v_mul_f64_e32 v[16:17], v[8:9], v[16:17]
	v_add_f64_e32 v[147:148], 0, v[147:148]
	v_add_f64_e32 v[151:152], 0, v[151:152]
	v_fma_f64 v[153:154], v[4:5], v[10:11], v[153:154]
	v_fma_f64 v[159:160], v[2:3], v[10:11], -v[12:13]
	ds_load_b128 v[2:5], v1 offset:1296
	scratch_load_b128 v[10:13], off, off offset:672
	v_add_f64_e32 v[147:148], v[147:148], v[155:156]
	v_add_f64_e32 v[149:150], v[151:152], v[149:150]
	v_fma_f64 v[155:156], v[8:9], v[14:15], v[157:158]
	v_fma_f64 v[157:158], v[6:7], v[14:15], -v[16:17]
	ds_load_b128 v[6:9], v1 offset:1312
	scratch_load_b128 v[14:17], off, off offset:688
	s_wait_loadcnt_dscnt 0x901
	v_mul_f64_e32 v[151:152], v[2:3], v[20:21]
	v_mul_f64_e32 v[20:21], v[4:5], v[20:21]
	v_add_f64_e32 v[147:148], v[147:148], v[159:160]
	v_add_f64_e32 v[149:150], v[149:150], v[153:154]
	s_wait_loadcnt_dscnt 0x800
	v_mul_f64_e32 v[153:154], v[6:7], v[24:25]
	v_mul_f64_e32 v[24:25], v[8:9], v[24:25]
	v_fma_f64 v[151:152], v[4:5], v[18:19], v[151:152]
	v_fma_f64 v[159:160], v[2:3], v[18:19], -v[20:21]
	ds_load_b128 v[2:5], v1 offset:1328
	scratch_load_b128 v[18:21], off, off offset:704
	v_add_f64_e32 v[147:148], v[147:148], v[157:158]
	v_add_f64_e32 v[149:150], v[149:150], v[155:156]
	v_fma_f64 v[153:154], v[8:9], v[22:23], v[153:154]
	v_fma_f64 v[157:158], v[6:7], v[22:23], -v[24:25]
	ds_load_b128 v[6:9], v1 offset:1344
	s_wait_loadcnt_dscnt 0x801
	v_mul_f64_e32 v[155:156], v[2:3], v[28:29]
	v_mul_f64_e32 v[28:29], v[4:5], v[28:29]
	scratch_load_b128 v[22:25], off, off offset:720
	v_add_f64_e32 v[147:148], v[147:148], v[159:160]
	v_add_f64_e32 v[149:150], v[149:150], v[151:152]
	s_wait_loadcnt_dscnt 0x800
	v_mul_f64_e32 v[151:152], v[6:7], v[32:33]
	v_mul_f64_e32 v[32:33], v[8:9], v[32:33]
	v_fma_f64 v[155:156], v[4:5], v[26:27], v[155:156]
	v_fma_f64 v[159:160], v[2:3], v[26:27], -v[28:29]
	ds_load_b128 v[2:5], v1 offset:1360
	scratch_load_b128 v[26:29], off, off offset:736
	v_add_f64_e32 v[147:148], v[147:148], v[157:158]
	v_add_f64_e32 v[149:150], v[149:150], v[153:154]
	v_fma_f64 v[151:152], v[8:9], v[30:31], v[151:152]
	v_fma_f64 v[157:158], v[6:7], v[30:31], -v[32:33]
	ds_load_b128 v[6:9], v1 offset:1376
	s_wait_loadcnt_dscnt 0x801
	v_mul_f64_e32 v[153:154], v[2:3], v[40:41]
	v_mul_f64_e32 v[40:41], v[4:5], v[40:41]
	scratch_load_b128 v[30:33], off, off offset:752
	v_add_f64_e32 v[147:148], v[147:148], v[159:160]
	v_add_f64_e32 v[149:150], v[149:150], v[155:156]
	s_wait_loadcnt_dscnt 0x800
	v_mul_f64_e32 v[155:156], v[6:7], v[145:146]
	v_mul_f64_e32 v[145:146], v[8:9], v[145:146]
	v_fma_f64 v[153:154], v[4:5], v[38:39], v[153:154]
	v_fma_f64 v[159:160], v[2:3], v[38:39], -v[40:41]
	ds_load_b128 v[2:5], v1 offset:1392
	scratch_load_b128 v[38:41], off, off offset:768
	v_add_f64_e32 v[147:148], v[147:148], v[157:158]
	v_add_f64_e32 v[149:150], v[149:150], v[151:152]
	v_fma_f64 v[155:156], v[8:9], v[143:144], v[155:156]
	v_fma_f64 v[143:144], v[6:7], v[143:144], -v[145:146]
	ds_load_b128 v[6:9], v1 offset:1408
	s_wait_loadcnt_dscnt 0x801
	v_mul_f64_e32 v[151:152], v[2:3], v[36:37]
	v_mul_f64_e32 v[36:37], v[4:5], v[36:37]
	v_add_f64_e32 v[145:146], v[147:148], v[159:160]
	v_add_f64_e32 v[147:148], v[149:150], v[153:154]
	s_wait_loadcnt_dscnt 0x700
	v_mul_f64_e32 v[149:150], v[6:7], v[141:142]
	v_mul_f64_e32 v[141:142], v[8:9], v[141:142]
	v_fma_f64 v[151:152], v[4:5], v[34:35], v[151:152]
	v_fma_f64 v[34:35], v[2:3], v[34:35], -v[36:37]
	ds_load_b128 v[2:5], v1 offset:1424
	v_add_f64_e32 v[36:37], v[145:146], v[143:144]
	v_add_f64_e32 v[143:144], v[147:148], v[155:156]
	v_fma_f64 v[147:148], v[8:9], v[139:140], v[149:150]
	v_fma_f64 v[139:140], v[6:7], v[139:140], -v[141:142]
	ds_load_b128 v[6:9], v1 offset:1440
	s_wait_loadcnt_dscnt 0x500
	v_mul_f64_e32 v[149:150], v[6:7], v[16:17]
	v_mul_f64_e32 v[16:17], v[8:9], v[16:17]
	v_add_f64_e32 v[141:142], v[36:37], v[34:35]
	v_add_f64_e32 v[143:144], v[143:144], v[151:152]
	scratch_load_b128 v[34:37], off, off offset:464
	v_mul_f64_e32 v[145:146], v[2:3], v[12:13]
	v_mul_f64_e32 v[12:13], v[4:5], v[12:13]
	s_delay_alu instid0(VALU_DEP_2) | instskip(NEXT) | instid1(VALU_DEP_2)
	v_fma_f64 v[145:146], v[4:5], v[10:11], v[145:146]
	v_fma_f64 v[10:11], v[2:3], v[10:11], -v[12:13]
	v_add_f64_e32 v[12:13], v[141:142], v[139:140]
	v_add_f64_e32 v[139:140], v[143:144], v[147:148]
	ds_load_b128 v[2:5], v1 offset:1456
	v_fma_f64 v[143:144], v[8:9], v[14:15], v[149:150]
	v_fma_f64 v[14:15], v[6:7], v[14:15], -v[16:17]
	ds_load_b128 v[6:9], v1 offset:1472
	s_wait_loadcnt_dscnt 0x501
	v_mul_f64_e32 v[141:142], v[2:3], v[20:21]
	v_mul_f64_e32 v[20:21], v[4:5], v[20:21]
	s_wait_loadcnt_dscnt 0x400
	v_mul_f64_e32 v[16:17], v[6:7], v[24:25]
	v_mul_f64_e32 v[24:25], v[8:9], v[24:25]
	v_add_f64_e32 v[10:11], v[12:13], v[10:11]
	v_add_f64_e32 v[12:13], v[139:140], v[145:146]
	v_fma_f64 v[139:140], v[4:5], v[18:19], v[141:142]
	v_fma_f64 v[18:19], v[2:3], v[18:19], -v[20:21]
	ds_load_b128 v[2:5], v1 offset:1488
	v_fma_f64 v[16:17], v[8:9], v[22:23], v[16:17]
	v_fma_f64 v[22:23], v[6:7], v[22:23], -v[24:25]
	ds_load_b128 v[6:9], v1 offset:1504
	v_add_f64_e32 v[10:11], v[10:11], v[14:15]
	v_add_f64_e32 v[12:13], v[12:13], v[143:144]
	s_wait_loadcnt_dscnt 0x301
	v_mul_f64_e32 v[14:15], v[2:3], v[28:29]
	v_mul_f64_e32 v[20:21], v[4:5], v[28:29]
	s_wait_loadcnt_dscnt 0x200
	v_mul_f64_e32 v[24:25], v[8:9], v[32:33]
	v_add_f64_e32 v[10:11], v[10:11], v[18:19]
	v_add_f64_e32 v[12:13], v[12:13], v[139:140]
	v_mul_f64_e32 v[18:19], v[6:7], v[32:33]
	v_fma_f64 v[14:15], v[4:5], v[26:27], v[14:15]
	v_fma_f64 v[20:21], v[2:3], v[26:27], -v[20:21]
	ds_load_b128 v[2:5], v1 offset:1520
	v_fma_f64 v[6:7], v[6:7], v[30:31], -v[24:25]
	v_add_f64_e32 v[10:11], v[10:11], v[22:23]
	v_add_f64_e32 v[12:13], v[12:13], v[16:17]
	s_wait_loadcnt_dscnt 0x100
	v_mul_f64_e32 v[16:17], v[2:3], v[40:41]
	v_mul_f64_e32 v[22:23], v[4:5], v[40:41]
	v_fma_f64 v[8:9], v[8:9], v[30:31], v[18:19]
	v_add_f64_e32 v[10:11], v[10:11], v[20:21]
	v_add_f64_e32 v[12:13], v[12:13], v[14:15]
	v_fma_f64 v[4:5], v[4:5], v[38:39], v[16:17]
	v_fma_f64 v[2:3], v[2:3], v[38:39], -v[22:23]
	s_delay_alu instid0(VALU_DEP_4) | instskip(NEXT) | instid1(VALU_DEP_4)
	v_add_f64_e32 v[6:7], v[10:11], v[6:7]
	v_add_f64_e32 v[8:9], v[12:13], v[8:9]
	s_delay_alu instid0(VALU_DEP_2) | instskip(NEXT) | instid1(VALU_DEP_2)
	v_add_f64_e32 v[2:3], v[6:7], v[2:3]
	v_add_f64_e32 v[4:5], v[8:9], v[4:5]
	s_wait_loadcnt 0x0
	s_delay_alu instid0(VALU_DEP_2) | instskip(NEXT) | instid1(VALU_DEP_2)
	v_add_f64_e64 v[2:3], v[34:35], -v[2:3]
	v_add_f64_e64 v[4:5], v[36:37], -v[4:5]
	scratch_store_b128 off, v[2:5], off offset:464
	v_cmpx_lt_u32_e32 27, v0
	s_cbranch_execz .LBB111_247
; %bb.246:
	scratch_load_b128 v[5:8], off, s34
	v_dual_mov_b32 v2, v1 :: v_dual_mov_b32 v3, v1
	v_mov_b32_e32 v4, v1
	scratch_store_b128 off, v[1:4], off offset:448
	s_wait_loadcnt 0x0
	ds_store_b128 v138, v[5:8]
.LBB111_247:
	s_wait_alu 0xfffe
	s_or_b32 exec_lo, exec_lo, s0
	s_wait_storecnt_dscnt 0x0
	s_barrier_signal -1
	s_barrier_wait -1
	global_inv scope:SCOPE_SE
	s_clause 0x7
	scratch_load_b128 v[2:5], off, off offset:464
	scratch_load_b128 v[6:9], off, off offset:480
	;; [unrolled: 1-line block ×8, first 2 shown]
	ds_load_b128 v[34:37], v1 offset:1216
	ds_load_b128 v[139:142], v1 offset:1232
	s_clause 0x1
	scratch_load_b128 v[38:41], off, off offset:592
	scratch_load_b128 v[143:146], off, off offset:608
	s_mov_b32 s0, exec_lo
	s_wait_loadcnt_dscnt 0x901
	v_mul_f64_e32 v[147:148], v[36:37], v[4:5]
	v_mul_f64_e32 v[4:5], v[34:35], v[4:5]
	s_wait_loadcnt_dscnt 0x800
	v_mul_f64_e32 v[149:150], v[139:140], v[8:9]
	v_mul_f64_e32 v[8:9], v[141:142], v[8:9]
	s_delay_alu instid0(VALU_DEP_4) | instskip(NEXT) | instid1(VALU_DEP_4)
	v_fma_f64 v[147:148], v[34:35], v[2:3], -v[147:148]
	v_fma_f64 v[151:152], v[36:37], v[2:3], v[4:5]
	ds_load_b128 v[2:5], v1 offset:1248
	scratch_load_b128 v[34:37], off, off offset:624
	v_fma_f64 v[149:150], v[141:142], v[6:7], v[149:150]
	v_fma_f64 v[155:156], v[139:140], v[6:7], -v[8:9]
	ds_load_b128 v[6:9], v1 offset:1264
	scratch_load_b128 v[139:142], off, off offset:640
	s_wait_loadcnt_dscnt 0x901
	v_mul_f64_e32 v[153:154], v[2:3], v[12:13]
	v_mul_f64_e32 v[12:13], v[4:5], v[12:13]
	s_wait_loadcnt_dscnt 0x800
	v_mul_f64_e32 v[157:158], v[6:7], v[16:17]
	v_mul_f64_e32 v[16:17], v[8:9], v[16:17]
	v_add_f64_e32 v[147:148], 0, v[147:148]
	v_add_f64_e32 v[151:152], 0, v[151:152]
	v_fma_f64 v[153:154], v[4:5], v[10:11], v[153:154]
	v_fma_f64 v[159:160], v[2:3], v[10:11], -v[12:13]
	scratch_load_b128 v[10:13], off, off offset:656
	ds_load_b128 v[2:5], v1 offset:1280
	v_add_f64_e32 v[147:148], v[147:148], v[155:156]
	v_add_f64_e32 v[149:150], v[151:152], v[149:150]
	v_fma_f64 v[155:156], v[8:9], v[14:15], v[157:158]
	v_fma_f64 v[157:158], v[6:7], v[14:15], -v[16:17]
	ds_load_b128 v[6:9], v1 offset:1296
	scratch_load_b128 v[14:17], off, off offset:672
	s_wait_loadcnt_dscnt 0x901
	v_mul_f64_e32 v[151:152], v[2:3], v[20:21]
	v_mul_f64_e32 v[20:21], v[4:5], v[20:21]
	v_add_f64_e32 v[147:148], v[147:148], v[159:160]
	v_add_f64_e32 v[149:150], v[149:150], v[153:154]
	s_wait_loadcnt_dscnt 0x800
	v_mul_f64_e32 v[153:154], v[6:7], v[24:25]
	v_mul_f64_e32 v[24:25], v[8:9], v[24:25]
	v_fma_f64 v[151:152], v[4:5], v[18:19], v[151:152]
	v_fma_f64 v[159:160], v[2:3], v[18:19], -v[20:21]
	ds_load_b128 v[2:5], v1 offset:1312
	scratch_load_b128 v[18:21], off, off offset:688
	v_add_f64_e32 v[147:148], v[147:148], v[157:158]
	v_add_f64_e32 v[149:150], v[149:150], v[155:156]
	v_fma_f64 v[153:154], v[8:9], v[22:23], v[153:154]
	v_fma_f64 v[157:158], v[6:7], v[22:23], -v[24:25]
	ds_load_b128 v[6:9], v1 offset:1328
	s_wait_loadcnt_dscnt 0x801
	v_mul_f64_e32 v[155:156], v[2:3], v[28:29]
	v_mul_f64_e32 v[28:29], v[4:5], v[28:29]
	scratch_load_b128 v[22:25], off, off offset:704
	v_add_f64_e32 v[147:148], v[147:148], v[159:160]
	v_add_f64_e32 v[149:150], v[149:150], v[151:152]
	s_wait_loadcnt_dscnt 0x800
	v_mul_f64_e32 v[151:152], v[6:7], v[32:33]
	v_mul_f64_e32 v[32:33], v[8:9], v[32:33]
	v_fma_f64 v[155:156], v[4:5], v[26:27], v[155:156]
	v_fma_f64 v[159:160], v[2:3], v[26:27], -v[28:29]
	ds_load_b128 v[2:5], v1 offset:1344
	scratch_load_b128 v[26:29], off, off offset:720
	v_add_f64_e32 v[147:148], v[147:148], v[157:158]
	v_add_f64_e32 v[149:150], v[149:150], v[153:154]
	v_fma_f64 v[151:152], v[8:9], v[30:31], v[151:152]
	v_fma_f64 v[157:158], v[6:7], v[30:31], -v[32:33]
	ds_load_b128 v[6:9], v1 offset:1360
	s_wait_loadcnt_dscnt 0x801
	v_mul_f64_e32 v[153:154], v[2:3], v[40:41]
	v_mul_f64_e32 v[40:41], v[4:5], v[40:41]
	scratch_load_b128 v[30:33], off, off offset:736
	v_add_f64_e32 v[147:148], v[147:148], v[159:160]
	v_add_f64_e32 v[149:150], v[149:150], v[155:156]
	s_wait_loadcnt_dscnt 0x800
	v_mul_f64_e32 v[155:156], v[6:7], v[145:146]
	v_mul_f64_e32 v[145:146], v[8:9], v[145:146]
	v_fma_f64 v[153:154], v[4:5], v[38:39], v[153:154]
	v_fma_f64 v[159:160], v[2:3], v[38:39], -v[40:41]
	ds_load_b128 v[2:5], v1 offset:1376
	scratch_load_b128 v[38:41], off, off offset:752
	v_add_f64_e32 v[147:148], v[147:148], v[157:158]
	v_add_f64_e32 v[149:150], v[149:150], v[151:152]
	v_fma_f64 v[155:156], v[8:9], v[143:144], v[155:156]
	v_fma_f64 v[157:158], v[6:7], v[143:144], -v[145:146]
	ds_load_b128 v[6:9], v1 offset:1392
	scratch_load_b128 v[143:146], off, off offset:768
	s_wait_loadcnt_dscnt 0x901
	v_mul_f64_e32 v[151:152], v[2:3], v[36:37]
	v_mul_f64_e32 v[36:37], v[4:5], v[36:37]
	v_add_f64_e32 v[147:148], v[147:148], v[159:160]
	v_add_f64_e32 v[149:150], v[149:150], v[153:154]
	s_delay_alu instid0(VALU_DEP_4) | instskip(NEXT) | instid1(VALU_DEP_4)
	v_fma_f64 v[151:152], v[4:5], v[34:35], v[151:152]
	v_fma_f64 v[34:35], v[2:3], v[34:35], -v[36:37]
	ds_load_b128 v[2:5], v1 offset:1408
	v_add_f64_e32 v[36:37], v[147:148], v[157:158]
	v_add_f64_e32 v[147:148], v[149:150], v[155:156]
	s_wait_loadcnt_dscnt 0x700
	v_mul_f64_e32 v[149:150], v[2:3], v[12:13]
	v_mul_f64_e32 v[12:13], v[4:5], v[12:13]
	s_delay_alu instid0(VALU_DEP_4) | instskip(NEXT) | instid1(VALU_DEP_4)
	v_add_f64_e32 v[34:35], v[36:37], v[34:35]
	v_add_f64_e32 v[36:37], v[147:148], v[151:152]
	s_delay_alu instid0(VALU_DEP_4) | instskip(NEXT) | instid1(VALU_DEP_4)
	v_fma_f64 v[147:148], v[4:5], v[10:11], v[149:150]
	v_fma_f64 v[149:150], v[2:3], v[10:11], -v[12:13]
	scratch_load_b128 v[10:13], off, off offset:448
	v_mul_f64_e32 v[153:154], v[6:7], v[141:142]
	v_mul_f64_e32 v[141:142], v[8:9], v[141:142]
	ds_load_b128 v[2:5], v1 offset:1440
	v_fma_f64 v[153:154], v[8:9], v[139:140], v[153:154]
	v_fma_f64 v[139:140], v[6:7], v[139:140], -v[141:142]
	ds_load_b128 v[6:9], v1 offset:1424
	s_wait_loadcnt_dscnt 0x700
	v_mul_f64_e32 v[141:142], v[6:7], v[16:17]
	v_mul_f64_e32 v[16:17], v[8:9], v[16:17]
	v_add_f64_e32 v[36:37], v[36:37], v[153:154]
	v_add_f64_e32 v[34:35], v[34:35], v[139:140]
	s_wait_loadcnt 0x6
	v_mul_f64_e32 v[139:140], v[2:3], v[20:21]
	v_mul_f64_e32 v[20:21], v[4:5], v[20:21]
	v_fma_f64 v[141:142], v[8:9], v[14:15], v[141:142]
	v_fma_f64 v[14:15], v[6:7], v[14:15], -v[16:17]
	ds_load_b128 v[6:9], v1 offset:1456
	v_add_f64_e32 v[16:17], v[34:35], v[149:150]
	v_add_f64_e32 v[34:35], v[36:37], v[147:148]
	v_fma_f64 v[139:140], v[4:5], v[18:19], v[139:140]
	v_fma_f64 v[18:19], v[2:3], v[18:19], -v[20:21]
	ds_load_b128 v[2:5], v1 offset:1472
	s_wait_loadcnt_dscnt 0x501
	v_mul_f64_e32 v[36:37], v[6:7], v[24:25]
	v_mul_f64_e32 v[24:25], v[8:9], v[24:25]
	s_wait_loadcnt_dscnt 0x400
	v_mul_f64_e32 v[20:21], v[2:3], v[28:29]
	v_mul_f64_e32 v[28:29], v[4:5], v[28:29]
	v_add_f64_e32 v[14:15], v[16:17], v[14:15]
	v_add_f64_e32 v[16:17], v[34:35], v[141:142]
	v_fma_f64 v[34:35], v[8:9], v[22:23], v[36:37]
	v_fma_f64 v[22:23], v[6:7], v[22:23], -v[24:25]
	ds_load_b128 v[6:9], v1 offset:1488
	v_fma_f64 v[20:21], v[4:5], v[26:27], v[20:21]
	v_fma_f64 v[26:27], v[2:3], v[26:27], -v[28:29]
	ds_load_b128 v[2:5], v1 offset:1504
	s_wait_loadcnt_dscnt 0x301
	v_mul_f64_e32 v[24:25], v[8:9], v[32:33]
	v_add_f64_e32 v[14:15], v[14:15], v[18:19]
	v_add_f64_e32 v[16:17], v[16:17], v[139:140]
	v_mul_f64_e32 v[18:19], v[6:7], v[32:33]
	s_wait_loadcnt_dscnt 0x200
	v_mul_f64_e32 v[28:29], v[4:5], v[40:41]
	v_fma_f64 v[24:25], v[6:7], v[30:31], -v[24:25]
	v_add_f64_e32 v[14:15], v[14:15], v[22:23]
	v_add_f64_e32 v[16:17], v[16:17], v[34:35]
	v_mul_f64_e32 v[22:23], v[2:3], v[40:41]
	v_fma_f64 v[18:19], v[8:9], v[30:31], v[18:19]
	ds_load_b128 v[6:9], v1 offset:1520
	v_fma_f64 v[1:2], v[2:3], v[38:39], -v[28:29]
	v_add_f64_e32 v[14:15], v[14:15], v[26:27]
	v_add_f64_e32 v[16:17], v[16:17], v[20:21]
	s_wait_loadcnt_dscnt 0x100
	v_mul_f64_e32 v[20:21], v[6:7], v[145:146]
	v_mul_f64_e32 v[26:27], v[8:9], v[145:146]
	v_fma_f64 v[4:5], v[4:5], v[38:39], v[22:23]
	v_add_f64_e32 v[14:15], v[14:15], v[24:25]
	v_add_f64_e32 v[16:17], v[16:17], v[18:19]
	v_fma_f64 v[8:9], v[8:9], v[143:144], v[20:21]
	v_fma_f64 v[6:7], v[6:7], v[143:144], -v[26:27]
	s_delay_alu instid0(VALU_DEP_4) | instskip(NEXT) | instid1(VALU_DEP_4)
	v_add_f64_e32 v[1:2], v[14:15], v[1:2]
	v_add_f64_e32 v[3:4], v[16:17], v[4:5]
	s_delay_alu instid0(VALU_DEP_2) | instskip(NEXT) | instid1(VALU_DEP_2)
	v_add_f64_e32 v[1:2], v[1:2], v[6:7]
	v_add_f64_e32 v[3:4], v[3:4], v[8:9]
	s_wait_loadcnt 0x0
	s_delay_alu instid0(VALU_DEP_2) | instskip(NEXT) | instid1(VALU_DEP_2)
	v_add_f64_e64 v[1:2], v[10:11], -v[1:2]
	v_add_f64_e64 v[3:4], v[12:13], -v[3:4]
	scratch_store_b128 off, v[1:4], off offset:448
	v_cmpx_lt_u32_e32 26, v0
	s_cbranch_execz .LBB111_249
; %bb.248:
	scratch_load_b128 v[1:4], off, s35
	v_mov_b32_e32 v5, 0
	s_delay_alu instid0(VALU_DEP_1)
	v_dual_mov_b32 v6, v5 :: v_dual_mov_b32 v7, v5
	v_mov_b32_e32 v8, v5
	scratch_store_b128 off, v[5:8], off offset:432
	s_wait_loadcnt 0x0
	ds_store_b128 v138, v[1:4]
.LBB111_249:
	s_wait_alu 0xfffe
	s_or_b32 exec_lo, exec_lo, s0
	s_wait_storecnt_dscnt 0x0
	s_barrier_signal -1
	s_barrier_wait -1
	global_inv scope:SCOPE_SE
	s_clause 0x7
	scratch_load_b128 v[2:5], off, off offset:448
	scratch_load_b128 v[6:9], off, off offset:464
	;; [unrolled: 1-line block ×8, first 2 shown]
	v_mov_b32_e32 v1, 0
	s_clause 0x1
	scratch_load_b128 v[38:41], off, off offset:576
	scratch_load_b128 v[143:146], off, off offset:592
	s_mov_b32 s0, exec_lo
	ds_load_b128 v[34:37], v1 offset:1200
	ds_load_b128 v[139:142], v1 offset:1216
	s_wait_loadcnt_dscnt 0x901
	v_mul_f64_e32 v[147:148], v[36:37], v[4:5]
	v_mul_f64_e32 v[4:5], v[34:35], v[4:5]
	s_wait_loadcnt_dscnt 0x800
	v_mul_f64_e32 v[149:150], v[139:140], v[8:9]
	v_mul_f64_e32 v[8:9], v[141:142], v[8:9]
	s_delay_alu instid0(VALU_DEP_4) | instskip(NEXT) | instid1(VALU_DEP_4)
	v_fma_f64 v[147:148], v[34:35], v[2:3], -v[147:148]
	v_fma_f64 v[151:152], v[36:37], v[2:3], v[4:5]
	ds_load_b128 v[2:5], v1 offset:1232
	scratch_load_b128 v[34:37], off, off offset:608
	v_fma_f64 v[149:150], v[141:142], v[6:7], v[149:150]
	v_fma_f64 v[155:156], v[139:140], v[6:7], -v[8:9]
	ds_load_b128 v[6:9], v1 offset:1248
	scratch_load_b128 v[139:142], off, off offset:624
	s_wait_loadcnt_dscnt 0x901
	v_mul_f64_e32 v[153:154], v[2:3], v[12:13]
	v_mul_f64_e32 v[12:13], v[4:5], v[12:13]
	s_wait_loadcnt_dscnt 0x800
	v_mul_f64_e32 v[157:158], v[6:7], v[16:17]
	v_mul_f64_e32 v[16:17], v[8:9], v[16:17]
	v_add_f64_e32 v[147:148], 0, v[147:148]
	v_add_f64_e32 v[151:152], 0, v[151:152]
	v_fma_f64 v[153:154], v[4:5], v[10:11], v[153:154]
	v_fma_f64 v[159:160], v[2:3], v[10:11], -v[12:13]
	ds_load_b128 v[2:5], v1 offset:1264
	scratch_load_b128 v[10:13], off, off offset:640
	v_add_f64_e32 v[147:148], v[147:148], v[155:156]
	v_add_f64_e32 v[149:150], v[151:152], v[149:150]
	v_fma_f64 v[155:156], v[8:9], v[14:15], v[157:158]
	v_fma_f64 v[157:158], v[6:7], v[14:15], -v[16:17]
	ds_load_b128 v[6:9], v1 offset:1280
	scratch_load_b128 v[14:17], off, off offset:656
	s_wait_loadcnt_dscnt 0x901
	v_mul_f64_e32 v[151:152], v[2:3], v[20:21]
	v_mul_f64_e32 v[20:21], v[4:5], v[20:21]
	v_add_f64_e32 v[147:148], v[147:148], v[159:160]
	v_add_f64_e32 v[149:150], v[149:150], v[153:154]
	s_wait_loadcnt_dscnt 0x800
	v_mul_f64_e32 v[153:154], v[6:7], v[24:25]
	v_mul_f64_e32 v[24:25], v[8:9], v[24:25]
	v_fma_f64 v[151:152], v[4:5], v[18:19], v[151:152]
	v_fma_f64 v[159:160], v[2:3], v[18:19], -v[20:21]
	ds_load_b128 v[2:5], v1 offset:1296
	scratch_load_b128 v[18:21], off, off offset:672
	v_add_f64_e32 v[147:148], v[147:148], v[157:158]
	v_add_f64_e32 v[149:150], v[149:150], v[155:156]
	v_fma_f64 v[153:154], v[8:9], v[22:23], v[153:154]
	v_fma_f64 v[157:158], v[6:7], v[22:23], -v[24:25]
	ds_load_b128 v[6:9], v1 offset:1312
	s_wait_loadcnt_dscnt 0x801
	v_mul_f64_e32 v[155:156], v[2:3], v[28:29]
	v_mul_f64_e32 v[28:29], v[4:5], v[28:29]
	scratch_load_b128 v[22:25], off, off offset:688
	v_add_f64_e32 v[147:148], v[147:148], v[159:160]
	v_add_f64_e32 v[149:150], v[149:150], v[151:152]
	s_wait_loadcnt_dscnt 0x800
	v_mul_f64_e32 v[151:152], v[6:7], v[32:33]
	v_mul_f64_e32 v[32:33], v[8:9], v[32:33]
	v_fma_f64 v[155:156], v[4:5], v[26:27], v[155:156]
	v_fma_f64 v[159:160], v[2:3], v[26:27], -v[28:29]
	ds_load_b128 v[2:5], v1 offset:1328
	scratch_load_b128 v[26:29], off, off offset:704
	v_add_f64_e32 v[147:148], v[147:148], v[157:158]
	v_add_f64_e32 v[149:150], v[149:150], v[153:154]
	v_fma_f64 v[151:152], v[8:9], v[30:31], v[151:152]
	v_fma_f64 v[157:158], v[6:7], v[30:31], -v[32:33]
	ds_load_b128 v[6:9], v1 offset:1344
	s_wait_loadcnt_dscnt 0x801
	v_mul_f64_e32 v[153:154], v[2:3], v[40:41]
	v_mul_f64_e32 v[40:41], v[4:5], v[40:41]
	scratch_load_b128 v[30:33], off, off offset:720
	v_add_f64_e32 v[147:148], v[147:148], v[159:160]
	v_add_f64_e32 v[149:150], v[149:150], v[155:156]
	s_wait_loadcnt_dscnt 0x800
	v_mul_f64_e32 v[155:156], v[6:7], v[145:146]
	v_mul_f64_e32 v[145:146], v[8:9], v[145:146]
	v_fma_f64 v[153:154], v[4:5], v[38:39], v[153:154]
	v_fma_f64 v[159:160], v[2:3], v[38:39], -v[40:41]
	ds_load_b128 v[2:5], v1 offset:1360
	scratch_load_b128 v[38:41], off, off offset:736
	v_add_f64_e32 v[147:148], v[147:148], v[157:158]
	v_add_f64_e32 v[149:150], v[149:150], v[151:152]
	v_fma_f64 v[155:156], v[8:9], v[143:144], v[155:156]
	v_fma_f64 v[157:158], v[6:7], v[143:144], -v[145:146]
	ds_load_b128 v[6:9], v1 offset:1376
	scratch_load_b128 v[143:146], off, off offset:752
	s_wait_loadcnt_dscnt 0x901
	v_mul_f64_e32 v[151:152], v[2:3], v[36:37]
	v_mul_f64_e32 v[36:37], v[4:5], v[36:37]
	v_add_f64_e32 v[147:148], v[147:148], v[159:160]
	v_add_f64_e32 v[149:150], v[149:150], v[153:154]
	s_wait_loadcnt_dscnt 0x800
	v_mul_f64_e32 v[153:154], v[6:7], v[141:142]
	v_mul_f64_e32 v[141:142], v[8:9], v[141:142]
	v_fma_f64 v[151:152], v[4:5], v[34:35], v[151:152]
	v_fma_f64 v[159:160], v[2:3], v[34:35], -v[36:37]
	ds_load_b128 v[2:5], v1 offset:1392
	scratch_load_b128 v[34:37], off, off offset:768
	v_add_f64_e32 v[147:148], v[147:148], v[157:158]
	v_add_f64_e32 v[149:150], v[149:150], v[155:156]
	v_fma_f64 v[153:154], v[8:9], v[139:140], v[153:154]
	v_fma_f64 v[139:140], v[6:7], v[139:140], -v[141:142]
	ds_load_b128 v[6:9], v1 offset:1408
	s_wait_loadcnt_dscnt 0x801
	v_mul_f64_e32 v[155:156], v[2:3], v[12:13]
	v_mul_f64_e32 v[12:13], v[4:5], v[12:13]
	v_add_f64_e32 v[141:142], v[147:148], v[159:160]
	v_add_f64_e32 v[147:148], v[149:150], v[151:152]
	s_wait_loadcnt_dscnt 0x700
	v_mul_f64_e32 v[149:150], v[6:7], v[16:17]
	v_mul_f64_e32 v[16:17], v[8:9], v[16:17]
	v_fma_f64 v[151:152], v[4:5], v[10:11], v[155:156]
	v_fma_f64 v[10:11], v[2:3], v[10:11], -v[12:13]
	ds_load_b128 v[2:5], v1 offset:1424
	v_add_f64_e32 v[12:13], v[141:142], v[139:140]
	v_add_f64_e32 v[139:140], v[147:148], v[153:154]
	v_fma_f64 v[147:148], v[8:9], v[14:15], v[149:150]
	v_fma_f64 v[14:15], v[6:7], v[14:15], -v[16:17]
	ds_load_b128 v[6:9], v1 offset:1440
	s_wait_loadcnt_dscnt 0x500
	v_mul_f64_e32 v[149:150], v[6:7], v[24:25]
	v_mul_f64_e32 v[24:25], v[8:9], v[24:25]
	v_add_f64_e32 v[16:17], v[12:13], v[10:11]
	v_add_f64_e32 v[139:140], v[139:140], v[151:152]
	scratch_load_b128 v[10:13], off, off offset:432
	v_mul_f64_e32 v[141:142], v[2:3], v[20:21]
	v_mul_f64_e32 v[20:21], v[4:5], v[20:21]
	v_add_f64_e32 v[14:15], v[16:17], v[14:15]
	v_add_f64_e32 v[16:17], v[139:140], v[147:148]
	v_fma_f64 v[139:140], v[8:9], v[22:23], v[149:150]
	v_fma_f64 v[141:142], v[4:5], v[18:19], v[141:142]
	v_fma_f64 v[18:19], v[2:3], v[18:19], -v[20:21]
	ds_load_b128 v[2:5], v1 offset:1456
	v_fma_f64 v[22:23], v[6:7], v[22:23], -v[24:25]
	ds_load_b128 v[6:9], v1 offset:1472
	s_wait_loadcnt_dscnt 0x501
	v_mul_f64_e32 v[20:21], v[2:3], v[28:29]
	v_mul_f64_e32 v[28:29], v[4:5], v[28:29]
	s_wait_loadcnt_dscnt 0x400
	v_mul_f64_e32 v[24:25], v[8:9], v[32:33]
	v_add_f64_e32 v[16:17], v[16:17], v[141:142]
	v_add_f64_e32 v[14:15], v[14:15], v[18:19]
	v_mul_f64_e32 v[18:19], v[6:7], v[32:33]
	v_fma_f64 v[20:21], v[4:5], v[26:27], v[20:21]
	v_fma_f64 v[26:27], v[2:3], v[26:27], -v[28:29]
	ds_load_b128 v[2:5], v1 offset:1488
	v_fma_f64 v[24:25], v[6:7], v[30:31], -v[24:25]
	v_add_f64_e32 v[16:17], v[16:17], v[139:140]
	v_add_f64_e32 v[14:15], v[14:15], v[22:23]
	v_fma_f64 v[18:19], v[8:9], v[30:31], v[18:19]
	ds_load_b128 v[6:9], v1 offset:1504
	s_wait_loadcnt_dscnt 0x301
	v_mul_f64_e32 v[22:23], v[2:3], v[40:41]
	v_mul_f64_e32 v[28:29], v[4:5], v[40:41]
	v_add_f64_e32 v[16:17], v[16:17], v[20:21]
	v_add_f64_e32 v[14:15], v[14:15], v[26:27]
	s_wait_loadcnt_dscnt 0x200
	v_mul_f64_e32 v[20:21], v[6:7], v[145:146]
	v_mul_f64_e32 v[26:27], v[8:9], v[145:146]
	v_fma_f64 v[22:23], v[4:5], v[38:39], v[22:23]
	v_fma_f64 v[28:29], v[2:3], v[38:39], -v[28:29]
	ds_load_b128 v[2:5], v1 offset:1520
	v_add_f64_e32 v[16:17], v[16:17], v[18:19]
	v_add_f64_e32 v[14:15], v[14:15], v[24:25]
	s_wait_loadcnt_dscnt 0x100
	v_mul_f64_e32 v[18:19], v[2:3], v[36:37]
	v_mul_f64_e32 v[24:25], v[4:5], v[36:37]
	v_fma_f64 v[8:9], v[8:9], v[143:144], v[20:21]
	v_fma_f64 v[6:7], v[6:7], v[143:144], -v[26:27]
	v_add_f64_e32 v[16:17], v[16:17], v[22:23]
	v_add_f64_e32 v[14:15], v[14:15], v[28:29]
	v_fma_f64 v[4:5], v[4:5], v[34:35], v[18:19]
	v_fma_f64 v[2:3], v[2:3], v[34:35], -v[24:25]
	s_delay_alu instid0(VALU_DEP_4) | instskip(NEXT) | instid1(VALU_DEP_4)
	v_add_f64_e32 v[8:9], v[16:17], v[8:9]
	v_add_f64_e32 v[6:7], v[14:15], v[6:7]
	s_delay_alu instid0(VALU_DEP_2) | instskip(NEXT) | instid1(VALU_DEP_2)
	v_add_f64_e32 v[4:5], v[8:9], v[4:5]
	v_add_f64_e32 v[2:3], v[6:7], v[2:3]
	s_wait_loadcnt 0x0
	s_delay_alu instid0(VALU_DEP_2) | instskip(NEXT) | instid1(VALU_DEP_2)
	v_add_f64_e64 v[4:5], v[12:13], -v[4:5]
	v_add_f64_e64 v[2:3], v[10:11], -v[2:3]
	scratch_store_b128 off, v[2:5], off offset:432
	v_cmpx_lt_u32_e32 25, v0
	s_cbranch_execz .LBB111_251
; %bb.250:
	scratch_load_b128 v[5:8], off, s36
	v_dual_mov_b32 v2, v1 :: v_dual_mov_b32 v3, v1
	v_mov_b32_e32 v4, v1
	scratch_store_b128 off, v[1:4], off offset:416
	s_wait_loadcnt 0x0
	ds_store_b128 v138, v[5:8]
.LBB111_251:
	s_wait_alu 0xfffe
	s_or_b32 exec_lo, exec_lo, s0
	s_wait_storecnt_dscnt 0x0
	s_barrier_signal -1
	s_barrier_wait -1
	global_inv scope:SCOPE_SE
	s_clause 0x7
	scratch_load_b128 v[2:5], off, off offset:432
	scratch_load_b128 v[6:9], off, off offset:448
	;; [unrolled: 1-line block ×8, first 2 shown]
	ds_load_b128 v[34:37], v1 offset:1184
	ds_load_b128 v[139:142], v1 offset:1200
	s_clause 0x1
	scratch_load_b128 v[38:41], off, off offset:560
	scratch_load_b128 v[143:146], off, off offset:576
	s_mov_b32 s0, exec_lo
	s_wait_loadcnt_dscnt 0x901
	v_mul_f64_e32 v[147:148], v[36:37], v[4:5]
	v_mul_f64_e32 v[4:5], v[34:35], v[4:5]
	s_wait_loadcnt_dscnt 0x800
	v_mul_f64_e32 v[149:150], v[139:140], v[8:9]
	v_mul_f64_e32 v[8:9], v[141:142], v[8:9]
	s_delay_alu instid0(VALU_DEP_4) | instskip(NEXT) | instid1(VALU_DEP_4)
	v_fma_f64 v[147:148], v[34:35], v[2:3], -v[147:148]
	v_fma_f64 v[151:152], v[36:37], v[2:3], v[4:5]
	ds_load_b128 v[2:5], v1 offset:1216
	scratch_load_b128 v[34:37], off, off offset:592
	v_fma_f64 v[149:150], v[141:142], v[6:7], v[149:150]
	v_fma_f64 v[155:156], v[139:140], v[6:7], -v[8:9]
	ds_load_b128 v[6:9], v1 offset:1232
	scratch_load_b128 v[139:142], off, off offset:608
	s_wait_loadcnt_dscnt 0x901
	v_mul_f64_e32 v[153:154], v[2:3], v[12:13]
	v_mul_f64_e32 v[12:13], v[4:5], v[12:13]
	s_wait_loadcnt_dscnt 0x800
	v_mul_f64_e32 v[157:158], v[6:7], v[16:17]
	v_mul_f64_e32 v[16:17], v[8:9], v[16:17]
	v_add_f64_e32 v[147:148], 0, v[147:148]
	v_add_f64_e32 v[151:152], 0, v[151:152]
	v_fma_f64 v[153:154], v[4:5], v[10:11], v[153:154]
	v_fma_f64 v[159:160], v[2:3], v[10:11], -v[12:13]
	ds_load_b128 v[2:5], v1 offset:1248
	scratch_load_b128 v[10:13], off, off offset:624
	v_add_f64_e32 v[147:148], v[147:148], v[155:156]
	v_add_f64_e32 v[149:150], v[151:152], v[149:150]
	v_fma_f64 v[155:156], v[8:9], v[14:15], v[157:158]
	v_fma_f64 v[157:158], v[6:7], v[14:15], -v[16:17]
	ds_load_b128 v[6:9], v1 offset:1264
	scratch_load_b128 v[14:17], off, off offset:640
	s_wait_loadcnt_dscnt 0x901
	v_mul_f64_e32 v[151:152], v[2:3], v[20:21]
	v_mul_f64_e32 v[20:21], v[4:5], v[20:21]
	v_add_f64_e32 v[147:148], v[147:148], v[159:160]
	v_add_f64_e32 v[149:150], v[149:150], v[153:154]
	s_wait_loadcnt_dscnt 0x800
	v_mul_f64_e32 v[153:154], v[6:7], v[24:25]
	v_mul_f64_e32 v[24:25], v[8:9], v[24:25]
	v_fma_f64 v[151:152], v[4:5], v[18:19], v[151:152]
	v_fma_f64 v[159:160], v[2:3], v[18:19], -v[20:21]
	ds_load_b128 v[2:5], v1 offset:1280
	scratch_load_b128 v[18:21], off, off offset:656
	v_add_f64_e32 v[147:148], v[147:148], v[157:158]
	v_add_f64_e32 v[149:150], v[149:150], v[155:156]
	v_fma_f64 v[153:154], v[8:9], v[22:23], v[153:154]
	v_fma_f64 v[157:158], v[6:7], v[22:23], -v[24:25]
	ds_load_b128 v[6:9], v1 offset:1296
	s_wait_loadcnt_dscnt 0x801
	v_mul_f64_e32 v[155:156], v[2:3], v[28:29]
	v_mul_f64_e32 v[28:29], v[4:5], v[28:29]
	scratch_load_b128 v[22:25], off, off offset:672
	v_add_f64_e32 v[147:148], v[147:148], v[159:160]
	v_add_f64_e32 v[149:150], v[149:150], v[151:152]
	s_wait_loadcnt_dscnt 0x800
	v_mul_f64_e32 v[151:152], v[6:7], v[32:33]
	v_mul_f64_e32 v[32:33], v[8:9], v[32:33]
	v_fma_f64 v[155:156], v[4:5], v[26:27], v[155:156]
	v_fma_f64 v[159:160], v[2:3], v[26:27], -v[28:29]
	ds_load_b128 v[2:5], v1 offset:1312
	scratch_load_b128 v[26:29], off, off offset:688
	v_add_f64_e32 v[147:148], v[147:148], v[157:158]
	v_add_f64_e32 v[149:150], v[149:150], v[153:154]
	v_fma_f64 v[151:152], v[8:9], v[30:31], v[151:152]
	v_fma_f64 v[157:158], v[6:7], v[30:31], -v[32:33]
	ds_load_b128 v[6:9], v1 offset:1328
	s_wait_loadcnt_dscnt 0x801
	v_mul_f64_e32 v[153:154], v[2:3], v[40:41]
	v_mul_f64_e32 v[40:41], v[4:5], v[40:41]
	scratch_load_b128 v[30:33], off, off offset:704
	v_add_f64_e32 v[147:148], v[147:148], v[159:160]
	v_add_f64_e32 v[149:150], v[149:150], v[155:156]
	s_wait_loadcnt_dscnt 0x800
	v_mul_f64_e32 v[155:156], v[6:7], v[145:146]
	v_mul_f64_e32 v[145:146], v[8:9], v[145:146]
	v_fma_f64 v[153:154], v[4:5], v[38:39], v[153:154]
	v_fma_f64 v[159:160], v[2:3], v[38:39], -v[40:41]
	ds_load_b128 v[2:5], v1 offset:1344
	scratch_load_b128 v[38:41], off, off offset:720
	v_add_f64_e32 v[147:148], v[147:148], v[157:158]
	v_add_f64_e32 v[149:150], v[149:150], v[151:152]
	v_fma_f64 v[155:156], v[8:9], v[143:144], v[155:156]
	v_fma_f64 v[157:158], v[6:7], v[143:144], -v[145:146]
	ds_load_b128 v[6:9], v1 offset:1360
	scratch_load_b128 v[143:146], off, off offset:736
	s_wait_loadcnt_dscnt 0x901
	v_mul_f64_e32 v[151:152], v[2:3], v[36:37]
	v_mul_f64_e32 v[36:37], v[4:5], v[36:37]
	v_add_f64_e32 v[147:148], v[147:148], v[159:160]
	v_add_f64_e32 v[149:150], v[149:150], v[153:154]
	s_wait_loadcnt_dscnt 0x800
	v_mul_f64_e32 v[153:154], v[6:7], v[141:142]
	v_mul_f64_e32 v[141:142], v[8:9], v[141:142]
	v_fma_f64 v[151:152], v[4:5], v[34:35], v[151:152]
	v_fma_f64 v[159:160], v[2:3], v[34:35], -v[36:37]
	ds_load_b128 v[2:5], v1 offset:1376
	scratch_load_b128 v[34:37], off, off offset:752
	v_add_f64_e32 v[147:148], v[147:148], v[157:158]
	v_add_f64_e32 v[149:150], v[149:150], v[155:156]
	v_fma_f64 v[153:154], v[8:9], v[139:140], v[153:154]
	v_fma_f64 v[157:158], v[6:7], v[139:140], -v[141:142]
	ds_load_b128 v[6:9], v1 offset:1392
	s_wait_loadcnt_dscnt 0x801
	v_mul_f64_e32 v[155:156], v[2:3], v[12:13]
	v_mul_f64_e32 v[12:13], v[4:5], v[12:13]
	scratch_load_b128 v[139:142], off, off offset:768
	v_add_f64_e32 v[147:148], v[147:148], v[159:160]
	v_add_f64_e32 v[149:150], v[149:150], v[151:152]
	s_wait_loadcnt_dscnt 0x800
	v_mul_f64_e32 v[151:152], v[6:7], v[16:17]
	v_mul_f64_e32 v[16:17], v[8:9], v[16:17]
	v_fma_f64 v[155:156], v[4:5], v[10:11], v[155:156]
	v_fma_f64 v[10:11], v[2:3], v[10:11], -v[12:13]
	ds_load_b128 v[2:5], v1 offset:1408
	v_add_f64_e32 v[12:13], v[147:148], v[157:158]
	v_add_f64_e32 v[147:148], v[149:150], v[153:154]
	v_fma_f64 v[151:152], v[8:9], v[14:15], v[151:152]
	v_fma_f64 v[14:15], v[6:7], v[14:15], -v[16:17]
	ds_load_b128 v[6:9], v1 offset:1424
	s_wait_loadcnt_dscnt 0x701
	v_mul_f64_e32 v[149:150], v[2:3], v[20:21]
	v_mul_f64_e32 v[20:21], v[4:5], v[20:21]
	v_add_f64_e32 v[10:11], v[12:13], v[10:11]
	v_add_f64_e32 v[12:13], v[147:148], v[155:156]
	s_delay_alu instid0(VALU_DEP_4) | instskip(NEXT) | instid1(VALU_DEP_4)
	v_fma_f64 v[147:148], v[4:5], v[18:19], v[149:150]
	v_fma_f64 v[18:19], v[2:3], v[18:19], -v[20:21]
	ds_load_b128 v[2:5], v1 offset:1440
	v_add_f64_e32 v[14:15], v[10:11], v[14:15]
	v_add_f64_e32 v[20:21], v[12:13], v[151:152]
	scratch_load_b128 v[10:13], off, off offset:416
	s_wait_loadcnt_dscnt 0x701
	v_mul_f64_e32 v[16:17], v[6:7], v[24:25]
	v_mul_f64_e32 v[24:25], v[8:9], v[24:25]
	v_add_f64_e32 v[14:15], v[14:15], v[18:19]
	v_add_f64_e32 v[18:19], v[20:21], v[147:148]
	s_delay_alu instid0(VALU_DEP_4) | instskip(NEXT) | instid1(VALU_DEP_4)
	v_fma_f64 v[16:17], v[8:9], v[22:23], v[16:17]
	v_fma_f64 v[22:23], v[6:7], v[22:23], -v[24:25]
	ds_load_b128 v[6:9], v1 offset:1456
	s_wait_loadcnt_dscnt 0x601
	v_mul_f64_e32 v[149:150], v[2:3], v[28:29]
	v_mul_f64_e32 v[28:29], v[4:5], v[28:29]
	s_wait_loadcnt_dscnt 0x500
	v_mul_f64_e32 v[20:21], v[6:7], v[32:33]
	v_mul_f64_e32 v[24:25], v[8:9], v[32:33]
	v_add_f64_e32 v[16:17], v[18:19], v[16:17]
	v_add_f64_e32 v[14:15], v[14:15], v[22:23]
	v_fma_f64 v[32:33], v[4:5], v[26:27], v[149:150]
	v_fma_f64 v[26:27], v[2:3], v[26:27], -v[28:29]
	ds_load_b128 v[2:5], v1 offset:1472
	v_fma_f64 v[20:21], v[8:9], v[30:31], v[20:21]
	v_fma_f64 v[24:25], v[6:7], v[30:31], -v[24:25]
	ds_load_b128 v[6:9], v1 offset:1488
	s_wait_loadcnt_dscnt 0x401
	v_mul_f64_e32 v[18:19], v[2:3], v[40:41]
	v_mul_f64_e32 v[22:23], v[4:5], v[40:41]
	v_add_f64_e32 v[16:17], v[16:17], v[32:33]
	v_add_f64_e32 v[14:15], v[14:15], v[26:27]
	s_wait_loadcnt_dscnt 0x300
	v_mul_f64_e32 v[26:27], v[6:7], v[145:146]
	v_mul_f64_e32 v[28:29], v[8:9], v[145:146]
	v_fma_f64 v[18:19], v[4:5], v[38:39], v[18:19]
	v_fma_f64 v[22:23], v[2:3], v[38:39], -v[22:23]
	ds_load_b128 v[2:5], v1 offset:1504
	v_add_f64_e32 v[16:17], v[16:17], v[20:21]
	v_add_f64_e32 v[14:15], v[14:15], v[24:25]
	v_fma_f64 v[26:27], v[8:9], v[143:144], v[26:27]
	v_fma_f64 v[28:29], v[6:7], v[143:144], -v[28:29]
	ds_load_b128 v[6:9], v1 offset:1520
	s_wait_loadcnt_dscnt 0x201
	v_mul_f64_e32 v[20:21], v[2:3], v[36:37]
	v_mul_f64_e32 v[24:25], v[4:5], v[36:37]
	v_add_f64_e32 v[16:17], v[16:17], v[18:19]
	v_add_f64_e32 v[14:15], v[14:15], v[22:23]
	s_wait_loadcnt_dscnt 0x100
	v_mul_f64_e32 v[18:19], v[6:7], v[141:142]
	v_mul_f64_e32 v[22:23], v[8:9], v[141:142]
	v_fma_f64 v[4:5], v[4:5], v[34:35], v[20:21]
	v_fma_f64 v[1:2], v[2:3], v[34:35], -v[24:25]
	v_add_f64_e32 v[16:17], v[16:17], v[26:27]
	v_add_f64_e32 v[14:15], v[14:15], v[28:29]
	v_fma_f64 v[8:9], v[8:9], v[139:140], v[18:19]
	v_fma_f64 v[6:7], v[6:7], v[139:140], -v[22:23]
	s_delay_alu instid0(VALU_DEP_4) | instskip(NEXT) | instid1(VALU_DEP_4)
	v_add_f64_e32 v[3:4], v[16:17], v[4:5]
	v_add_f64_e32 v[1:2], v[14:15], v[1:2]
	s_delay_alu instid0(VALU_DEP_2) | instskip(NEXT) | instid1(VALU_DEP_2)
	v_add_f64_e32 v[3:4], v[3:4], v[8:9]
	v_add_f64_e32 v[1:2], v[1:2], v[6:7]
	s_wait_loadcnt 0x0
	s_delay_alu instid0(VALU_DEP_2) | instskip(NEXT) | instid1(VALU_DEP_2)
	v_add_f64_e64 v[3:4], v[12:13], -v[3:4]
	v_add_f64_e64 v[1:2], v[10:11], -v[1:2]
	scratch_store_b128 off, v[1:4], off offset:416
	v_cmpx_lt_u32_e32 24, v0
	s_cbranch_execz .LBB111_253
; %bb.252:
	scratch_load_b128 v[1:4], off, s37
	v_mov_b32_e32 v5, 0
	s_delay_alu instid0(VALU_DEP_1)
	v_dual_mov_b32 v6, v5 :: v_dual_mov_b32 v7, v5
	v_mov_b32_e32 v8, v5
	scratch_store_b128 off, v[5:8], off offset:400
	s_wait_loadcnt 0x0
	ds_store_b128 v138, v[1:4]
.LBB111_253:
	s_wait_alu 0xfffe
	s_or_b32 exec_lo, exec_lo, s0
	s_wait_storecnt_dscnt 0x0
	s_barrier_signal -1
	s_barrier_wait -1
	global_inv scope:SCOPE_SE
	s_clause 0x7
	scratch_load_b128 v[2:5], off, off offset:416
	scratch_load_b128 v[6:9], off, off offset:432
	;; [unrolled: 1-line block ×8, first 2 shown]
	v_mov_b32_e32 v1, 0
	s_clause 0x1
	scratch_load_b128 v[38:41], off, off offset:544
	scratch_load_b128 v[143:146], off, off offset:560
	s_mov_b32 s0, exec_lo
	ds_load_b128 v[34:37], v1 offset:1168
	ds_load_b128 v[139:142], v1 offset:1184
	s_wait_loadcnt_dscnt 0x901
	v_mul_f64_e32 v[147:148], v[36:37], v[4:5]
	v_mul_f64_e32 v[4:5], v[34:35], v[4:5]
	s_wait_loadcnt_dscnt 0x800
	v_mul_f64_e32 v[149:150], v[139:140], v[8:9]
	v_mul_f64_e32 v[8:9], v[141:142], v[8:9]
	s_delay_alu instid0(VALU_DEP_4) | instskip(NEXT) | instid1(VALU_DEP_4)
	v_fma_f64 v[147:148], v[34:35], v[2:3], -v[147:148]
	v_fma_f64 v[151:152], v[36:37], v[2:3], v[4:5]
	ds_load_b128 v[2:5], v1 offset:1200
	scratch_load_b128 v[34:37], off, off offset:576
	v_fma_f64 v[149:150], v[141:142], v[6:7], v[149:150]
	v_fma_f64 v[155:156], v[139:140], v[6:7], -v[8:9]
	ds_load_b128 v[6:9], v1 offset:1216
	scratch_load_b128 v[139:142], off, off offset:592
	s_wait_loadcnt_dscnt 0x901
	v_mul_f64_e32 v[153:154], v[2:3], v[12:13]
	v_mul_f64_e32 v[12:13], v[4:5], v[12:13]
	s_wait_loadcnt_dscnt 0x800
	v_mul_f64_e32 v[157:158], v[6:7], v[16:17]
	v_mul_f64_e32 v[16:17], v[8:9], v[16:17]
	v_add_f64_e32 v[147:148], 0, v[147:148]
	v_add_f64_e32 v[151:152], 0, v[151:152]
	v_fma_f64 v[153:154], v[4:5], v[10:11], v[153:154]
	v_fma_f64 v[159:160], v[2:3], v[10:11], -v[12:13]
	ds_load_b128 v[2:5], v1 offset:1232
	scratch_load_b128 v[10:13], off, off offset:608
	v_add_f64_e32 v[147:148], v[147:148], v[155:156]
	v_add_f64_e32 v[149:150], v[151:152], v[149:150]
	v_fma_f64 v[155:156], v[8:9], v[14:15], v[157:158]
	v_fma_f64 v[157:158], v[6:7], v[14:15], -v[16:17]
	ds_load_b128 v[6:9], v1 offset:1248
	scratch_load_b128 v[14:17], off, off offset:624
	s_wait_loadcnt_dscnt 0x901
	v_mul_f64_e32 v[151:152], v[2:3], v[20:21]
	v_mul_f64_e32 v[20:21], v[4:5], v[20:21]
	v_add_f64_e32 v[147:148], v[147:148], v[159:160]
	v_add_f64_e32 v[149:150], v[149:150], v[153:154]
	s_wait_loadcnt_dscnt 0x800
	v_mul_f64_e32 v[153:154], v[6:7], v[24:25]
	v_mul_f64_e32 v[24:25], v[8:9], v[24:25]
	v_fma_f64 v[151:152], v[4:5], v[18:19], v[151:152]
	v_fma_f64 v[159:160], v[2:3], v[18:19], -v[20:21]
	ds_load_b128 v[2:5], v1 offset:1264
	scratch_load_b128 v[18:21], off, off offset:640
	v_add_f64_e32 v[147:148], v[147:148], v[157:158]
	v_add_f64_e32 v[149:150], v[149:150], v[155:156]
	v_fma_f64 v[153:154], v[8:9], v[22:23], v[153:154]
	v_fma_f64 v[157:158], v[6:7], v[22:23], -v[24:25]
	ds_load_b128 v[6:9], v1 offset:1280
	s_wait_loadcnt_dscnt 0x801
	v_mul_f64_e32 v[155:156], v[2:3], v[28:29]
	v_mul_f64_e32 v[28:29], v[4:5], v[28:29]
	scratch_load_b128 v[22:25], off, off offset:656
	v_add_f64_e32 v[147:148], v[147:148], v[159:160]
	v_add_f64_e32 v[149:150], v[149:150], v[151:152]
	s_wait_loadcnt_dscnt 0x800
	v_mul_f64_e32 v[151:152], v[6:7], v[32:33]
	v_mul_f64_e32 v[32:33], v[8:9], v[32:33]
	v_fma_f64 v[155:156], v[4:5], v[26:27], v[155:156]
	v_fma_f64 v[159:160], v[2:3], v[26:27], -v[28:29]
	ds_load_b128 v[2:5], v1 offset:1296
	scratch_load_b128 v[26:29], off, off offset:672
	v_add_f64_e32 v[147:148], v[147:148], v[157:158]
	v_add_f64_e32 v[149:150], v[149:150], v[153:154]
	v_fma_f64 v[151:152], v[8:9], v[30:31], v[151:152]
	v_fma_f64 v[157:158], v[6:7], v[30:31], -v[32:33]
	ds_load_b128 v[6:9], v1 offset:1312
	s_wait_loadcnt_dscnt 0x801
	v_mul_f64_e32 v[153:154], v[2:3], v[40:41]
	v_mul_f64_e32 v[40:41], v[4:5], v[40:41]
	scratch_load_b128 v[30:33], off, off offset:688
	v_add_f64_e32 v[147:148], v[147:148], v[159:160]
	v_add_f64_e32 v[149:150], v[149:150], v[155:156]
	s_wait_loadcnt_dscnt 0x800
	v_mul_f64_e32 v[155:156], v[6:7], v[145:146]
	v_mul_f64_e32 v[145:146], v[8:9], v[145:146]
	v_fma_f64 v[153:154], v[4:5], v[38:39], v[153:154]
	v_fma_f64 v[159:160], v[2:3], v[38:39], -v[40:41]
	ds_load_b128 v[2:5], v1 offset:1328
	scratch_load_b128 v[38:41], off, off offset:704
	v_add_f64_e32 v[147:148], v[147:148], v[157:158]
	v_add_f64_e32 v[149:150], v[149:150], v[151:152]
	v_fma_f64 v[155:156], v[8:9], v[143:144], v[155:156]
	v_fma_f64 v[157:158], v[6:7], v[143:144], -v[145:146]
	ds_load_b128 v[6:9], v1 offset:1344
	scratch_load_b128 v[143:146], off, off offset:720
	s_wait_loadcnt_dscnt 0x901
	v_mul_f64_e32 v[151:152], v[2:3], v[36:37]
	v_mul_f64_e32 v[36:37], v[4:5], v[36:37]
	v_add_f64_e32 v[147:148], v[147:148], v[159:160]
	v_add_f64_e32 v[149:150], v[149:150], v[153:154]
	s_wait_loadcnt_dscnt 0x800
	v_mul_f64_e32 v[153:154], v[6:7], v[141:142]
	v_mul_f64_e32 v[141:142], v[8:9], v[141:142]
	v_fma_f64 v[151:152], v[4:5], v[34:35], v[151:152]
	v_fma_f64 v[159:160], v[2:3], v[34:35], -v[36:37]
	ds_load_b128 v[2:5], v1 offset:1360
	scratch_load_b128 v[34:37], off, off offset:736
	v_add_f64_e32 v[147:148], v[147:148], v[157:158]
	v_add_f64_e32 v[149:150], v[149:150], v[155:156]
	v_fma_f64 v[153:154], v[8:9], v[139:140], v[153:154]
	v_fma_f64 v[157:158], v[6:7], v[139:140], -v[141:142]
	ds_load_b128 v[6:9], v1 offset:1376
	s_wait_loadcnt_dscnt 0x801
	v_mul_f64_e32 v[155:156], v[2:3], v[12:13]
	v_mul_f64_e32 v[12:13], v[4:5], v[12:13]
	scratch_load_b128 v[139:142], off, off offset:752
	v_add_f64_e32 v[147:148], v[147:148], v[159:160]
	v_add_f64_e32 v[149:150], v[149:150], v[151:152]
	s_wait_loadcnt_dscnt 0x800
	v_mul_f64_e32 v[151:152], v[6:7], v[16:17]
	v_mul_f64_e32 v[16:17], v[8:9], v[16:17]
	v_fma_f64 v[155:156], v[4:5], v[10:11], v[155:156]
	v_fma_f64 v[159:160], v[2:3], v[10:11], -v[12:13]
	ds_load_b128 v[2:5], v1 offset:1392
	scratch_load_b128 v[10:13], off, off offset:768
	v_add_f64_e32 v[147:148], v[147:148], v[157:158]
	v_add_f64_e32 v[149:150], v[149:150], v[153:154]
	v_fma_f64 v[151:152], v[8:9], v[14:15], v[151:152]
	v_fma_f64 v[14:15], v[6:7], v[14:15], -v[16:17]
	ds_load_b128 v[6:9], v1 offset:1408
	s_wait_loadcnt_dscnt 0x801
	v_mul_f64_e32 v[153:154], v[2:3], v[20:21]
	v_mul_f64_e32 v[20:21], v[4:5], v[20:21]
	v_add_f64_e32 v[16:17], v[147:148], v[159:160]
	v_add_f64_e32 v[147:148], v[149:150], v[155:156]
	s_wait_loadcnt_dscnt 0x700
	v_mul_f64_e32 v[149:150], v[6:7], v[24:25]
	v_mul_f64_e32 v[24:25], v[8:9], v[24:25]
	v_fma_f64 v[153:154], v[4:5], v[18:19], v[153:154]
	v_fma_f64 v[18:19], v[2:3], v[18:19], -v[20:21]
	ds_load_b128 v[2:5], v1 offset:1424
	v_add_f64_e32 v[14:15], v[16:17], v[14:15]
	v_add_f64_e32 v[16:17], v[147:148], v[151:152]
	v_fma_f64 v[147:148], v[8:9], v[22:23], v[149:150]
	v_fma_f64 v[22:23], v[6:7], v[22:23], -v[24:25]
	ds_load_b128 v[6:9], v1 offset:1440
	s_wait_loadcnt_dscnt 0x500
	v_mul_f64_e32 v[149:150], v[6:7], v[32:33]
	v_mul_f64_e32 v[32:33], v[8:9], v[32:33]
	v_add_f64_e32 v[18:19], v[14:15], v[18:19]
	v_add_f64_e32 v[24:25], v[16:17], v[153:154]
	scratch_load_b128 v[14:17], off, off offset:400
	v_mul_f64_e32 v[20:21], v[2:3], v[28:29]
	v_mul_f64_e32 v[28:29], v[4:5], v[28:29]
	v_add_f64_e32 v[18:19], v[18:19], v[22:23]
	v_add_f64_e32 v[22:23], v[24:25], v[147:148]
	s_delay_alu instid0(VALU_DEP_4) | instskip(NEXT) | instid1(VALU_DEP_4)
	v_fma_f64 v[20:21], v[4:5], v[26:27], v[20:21]
	v_fma_f64 v[26:27], v[2:3], v[26:27], -v[28:29]
	ds_load_b128 v[2:5], v1 offset:1456
	s_wait_loadcnt_dscnt 0x500
	v_mul_f64_e32 v[24:25], v[2:3], v[40:41]
	v_mul_f64_e32 v[28:29], v[4:5], v[40:41]
	v_fma_f64 v[40:41], v[8:9], v[30:31], v[149:150]
	v_fma_f64 v[30:31], v[6:7], v[30:31], -v[32:33]
	ds_load_b128 v[6:9], v1 offset:1472
	v_add_f64_e32 v[20:21], v[22:23], v[20:21]
	v_add_f64_e32 v[18:19], v[18:19], v[26:27]
	v_fma_f64 v[24:25], v[4:5], v[38:39], v[24:25]
	v_fma_f64 v[28:29], v[2:3], v[38:39], -v[28:29]
	ds_load_b128 v[2:5], v1 offset:1488
	s_wait_loadcnt_dscnt 0x401
	v_mul_f64_e32 v[22:23], v[6:7], v[145:146]
	v_mul_f64_e32 v[26:27], v[8:9], v[145:146]
	v_add_f64_e32 v[20:21], v[20:21], v[40:41]
	v_add_f64_e32 v[18:19], v[18:19], v[30:31]
	s_wait_loadcnt_dscnt 0x300
	v_mul_f64_e32 v[30:31], v[2:3], v[36:37]
	v_mul_f64_e32 v[32:33], v[4:5], v[36:37]
	v_fma_f64 v[22:23], v[8:9], v[143:144], v[22:23]
	v_fma_f64 v[26:27], v[6:7], v[143:144], -v[26:27]
	ds_load_b128 v[6:9], v1 offset:1504
	v_add_f64_e32 v[20:21], v[20:21], v[24:25]
	v_add_f64_e32 v[18:19], v[18:19], v[28:29]
	v_fma_f64 v[30:31], v[4:5], v[34:35], v[30:31]
	v_fma_f64 v[32:33], v[2:3], v[34:35], -v[32:33]
	ds_load_b128 v[2:5], v1 offset:1520
	s_wait_loadcnt_dscnt 0x201
	v_mul_f64_e32 v[24:25], v[6:7], v[141:142]
	v_mul_f64_e32 v[28:29], v[8:9], v[141:142]
	v_add_f64_e32 v[20:21], v[20:21], v[22:23]
	v_add_f64_e32 v[18:19], v[18:19], v[26:27]
	s_wait_loadcnt_dscnt 0x100
	v_mul_f64_e32 v[22:23], v[2:3], v[12:13]
	v_mul_f64_e32 v[12:13], v[4:5], v[12:13]
	v_fma_f64 v[8:9], v[8:9], v[139:140], v[24:25]
	v_fma_f64 v[6:7], v[6:7], v[139:140], -v[28:29]
	v_add_f64_e32 v[20:21], v[20:21], v[30:31]
	v_add_f64_e32 v[18:19], v[18:19], v[32:33]
	v_fma_f64 v[4:5], v[4:5], v[10:11], v[22:23]
	v_fma_f64 v[2:3], v[2:3], v[10:11], -v[12:13]
	s_delay_alu instid0(VALU_DEP_4) | instskip(NEXT) | instid1(VALU_DEP_4)
	v_add_f64_e32 v[8:9], v[20:21], v[8:9]
	v_add_f64_e32 v[6:7], v[18:19], v[6:7]
	s_delay_alu instid0(VALU_DEP_2) | instskip(NEXT) | instid1(VALU_DEP_2)
	v_add_f64_e32 v[4:5], v[8:9], v[4:5]
	v_add_f64_e32 v[2:3], v[6:7], v[2:3]
	s_wait_loadcnt 0x0
	s_delay_alu instid0(VALU_DEP_2) | instskip(NEXT) | instid1(VALU_DEP_2)
	v_add_f64_e64 v[4:5], v[16:17], -v[4:5]
	v_add_f64_e64 v[2:3], v[14:15], -v[2:3]
	scratch_store_b128 off, v[2:5], off offset:400
	v_cmpx_lt_u32_e32 23, v0
	s_cbranch_execz .LBB111_255
; %bb.254:
	scratch_load_b128 v[5:8], off, s38
	v_dual_mov_b32 v2, v1 :: v_dual_mov_b32 v3, v1
	v_mov_b32_e32 v4, v1
	scratch_store_b128 off, v[1:4], off offset:384
	s_wait_loadcnt 0x0
	ds_store_b128 v138, v[5:8]
.LBB111_255:
	s_wait_alu 0xfffe
	s_or_b32 exec_lo, exec_lo, s0
	s_wait_storecnt_dscnt 0x0
	s_barrier_signal -1
	s_barrier_wait -1
	global_inv scope:SCOPE_SE
	s_clause 0x7
	scratch_load_b128 v[2:5], off, off offset:400
	scratch_load_b128 v[6:9], off, off offset:416
	;; [unrolled: 1-line block ×8, first 2 shown]
	ds_load_b128 v[34:37], v1 offset:1152
	ds_load_b128 v[139:142], v1 offset:1168
	s_clause 0x1
	scratch_load_b128 v[38:41], off, off offset:528
	scratch_load_b128 v[143:146], off, off offset:544
	s_mov_b32 s0, exec_lo
	s_wait_loadcnt_dscnt 0x901
	v_mul_f64_e32 v[147:148], v[36:37], v[4:5]
	v_mul_f64_e32 v[4:5], v[34:35], v[4:5]
	s_wait_loadcnt_dscnt 0x800
	v_mul_f64_e32 v[149:150], v[139:140], v[8:9]
	v_mul_f64_e32 v[8:9], v[141:142], v[8:9]
	s_delay_alu instid0(VALU_DEP_4) | instskip(NEXT) | instid1(VALU_DEP_4)
	v_fma_f64 v[147:148], v[34:35], v[2:3], -v[147:148]
	v_fma_f64 v[151:152], v[36:37], v[2:3], v[4:5]
	ds_load_b128 v[2:5], v1 offset:1184
	scratch_load_b128 v[34:37], off, off offset:560
	v_fma_f64 v[149:150], v[141:142], v[6:7], v[149:150]
	v_fma_f64 v[155:156], v[139:140], v[6:7], -v[8:9]
	ds_load_b128 v[6:9], v1 offset:1200
	scratch_load_b128 v[139:142], off, off offset:576
	s_wait_loadcnt_dscnt 0x901
	v_mul_f64_e32 v[153:154], v[2:3], v[12:13]
	v_mul_f64_e32 v[12:13], v[4:5], v[12:13]
	s_wait_loadcnt_dscnt 0x800
	v_mul_f64_e32 v[157:158], v[6:7], v[16:17]
	v_mul_f64_e32 v[16:17], v[8:9], v[16:17]
	v_add_f64_e32 v[147:148], 0, v[147:148]
	v_add_f64_e32 v[151:152], 0, v[151:152]
	v_fma_f64 v[153:154], v[4:5], v[10:11], v[153:154]
	v_fma_f64 v[159:160], v[2:3], v[10:11], -v[12:13]
	ds_load_b128 v[2:5], v1 offset:1216
	scratch_load_b128 v[10:13], off, off offset:592
	v_add_f64_e32 v[147:148], v[147:148], v[155:156]
	v_add_f64_e32 v[149:150], v[151:152], v[149:150]
	v_fma_f64 v[155:156], v[8:9], v[14:15], v[157:158]
	v_fma_f64 v[157:158], v[6:7], v[14:15], -v[16:17]
	ds_load_b128 v[6:9], v1 offset:1232
	scratch_load_b128 v[14:17], off, off offset:608
	s_wait_loadcnt_dscnt 0x901
	v_mul_f64_e32 v[151:152], v[2:3], v[20:21]
	v_mul_f64_e32 v[20:21], v[4:5], v[20:21]
	v_add_f64_e32 v[147:148], v[147:148], v[159:160]
	v_add_f64_e32 v[149:150], v[149:150], v[153:154]
	s_wait_loadcnt_dscnt 0x800
	v_mul_f64_e32 v[153:154], v[6:7], v[24:25]
	v_mul_f64_e32 v[24:25], v[8:9], v[24:25]
	v_fma_f64 v[151:152], v[4:5], v[18:19], v[151:152]
	v_fma_f64 v[159:160], v[2:3], v[18:19], -v[20:21]
	ds_load_b128 v[2:5], v1 offset:1248
	scratch_load_b128 v[18:21], off, off offset:624
	v_add_f64_e32 v[147:148], v[147:148], v[157:158]
	v_add_f64_e32 v[149:150], v[149:150], v[155:156]
	v_fma_f64 v[153:154], v[8:9], v[22:23], v[153:154]
	v_fma_f64 v[157:158], v[6:7], v[22:23], -v[24:25]
	ds_load_b128 v[6:9], v1 offset:1264
	s_wait_loadcnt_dscnt 0x801
	v_mul_f64_e32 v[155:156], v[2:3], v[28:29]
	v_mul_f64_e32 v[28:29], v[4:5], v[28:29]
	scratch_load_b128 v[22:25], off, off offset:640
	v_add_f64_e32 v[147:148], v[147:148], v[159:160]
	v_add_f64_e32 v[149:150], v[149:150], v[151:152]
	s_wait_loadcnt_dscnt 0x800
	v_mul_f64_e32 v[151:152], v[6:7], v[32:33]
	v_mul_f64_e32 v[32:33], v[8:9], v[32:33]
	v_fma_f64 v[155:156], v[4:5], v[26:27], v[155:156]
	v_fma_f64 v[159:160], v[2:3], v[26:27], -v[28:29]
	ds_load_b128 v[2:5], v1 offset:1280
	scratch_load_b128 v[26:29], off, off offset:656
	v_add_f64_e32 v[147:148], v[147:148], v[157:158]
	v_add_f64_e32 v[149:150], v[149:150], v[153:154]
	v_fma_f64 v[151:152], v[8:9], v[30:31], v[151:152]
	v_fma_f64 v[157:158], v[6:7], v[30:31], -v[32:33]
	ds_load_b128 v[6:9], v1 offset:1296
	s_wait_loadcnt_dscnt 0x801
	v_mul_f64_e32 v[153:154], v[2:3], v[40:41]
	v_mul_f64_e32 v[40:41], v[4:5], v[40:41]
	scratch_load_b128 v[30:33], off, off offset:672
	v_add_f64_e32 v[147:148], v[147:148], v[159:160]
	v_add_f64_e32 v[149:150], v[149:150], v[155:156]
	s_wait_loadcnt_dscnt 0x800
	v_mul_f64_e32 v[155:156], v[6:7], v[145:146]
	v_mul_f64_e32 v[145:146], v[8:9], v[145:146]
	v_fma_f64 v[153:154], v[4:5], v[38:39], v[153:154]
	v_fma_f64 v[159:160], v[2:3], v[38:39], -v[40:41]
	ds_load_b128 v[2:5], v1 offset:1312
	scratch_load_b128 v[38:41], off, off offset:688
	v_add_f64_e32 v[147:148], v[147:148], v[157:158]
	v_add_f64_e32 v[149:150], v[149:150], v[151:152]
	v_fma_f64 v[155:156], v[8:9], v[143:144], v[155:156]
	v_fma_f64 v[157:158], v[6:7], v[143:144], -v[145:146]
	ds_load_b128 v[6:9], v1 offset:1328
	scratch_load_b128 v[143:146], off, off offset:704
	s_wait_loadcnt_dscnt 0x901
	v_mul_f64_e32 v[151:152], v[2:3], v[36:37]
	v_mul_f64_e32 v[36:37], v[4:5], v[36:37]
	v_add_f64_e32 v[147:148], v[147:148], v[159:160]
	v_add_f64_e32 v[149:150], v[149:150], v[153:154]
	s_wait_loadcnt_dscnt 0x800
	v_mul_f64_e32 v[153:154], v[6:7], v[141:142]
	v_mul_f64_e32 v[141:142], v[8:9], v[141:142]
	v_fma_f64 v[151:152], v[4:5], v[34:35], v[151:152]
	v_fma_f64 v[159:160], v[2:3], v[34:35], -v[36:37]
	ds_load_b128 v[2:5], v1 offset:1344
	scratch_load_b128 v[34:37], off, off offset:720
	v_add_f64_e32 v[147:148], v[147:148], v[157:158]
	v_add_f64_e32 v[149:150], v[149:150], v[155:156]
	v_fma_f64 v[153:154], v[8:9], v[139:140], v[153:154]
	v_fma_f64 v[157:158], v[6:7], v[139:140], -v[141:142]
	ds_load_b128 v[6:9], v1 offset:1360
	s_wait_loadcnt_dscnt 0x801
	v_mul_f64_e32 v[155:156], v[2:3], v[12:13]
	v_mul_f64_e32 v[12:13], v[4:5], v[12:13]
	scratch_load_b128 v[139:142], off, off offset:736
	v_add_f64_e32 v[147:148], v[147:148], v[159:160]
	v_add_f64_e32 v[149:150], v[149:150], v[151:152]
	s_wait_loadcnt_dscnt 0x800
	v_mul_f64_e32 v[151:152], v[6:7], v[16:17]
	v_mul_f64_e32 v[16:17], v[8:9], v[16:17]
	v_fma_f64 v[155:156], v[4:5], v[10:11], v[155:156]
	v_fma_f64 v[159:160], v[2:3], v[10:11], -v[12:13]
	ds_load_b128 v[2:5], v1 offset:1376
	scratch_load_b128 v[10:13], off, off offset:752
	v_add_f64_e32 v[147:148], v[147:148], v[157:158]
	v_add_f64_e32 v[149:150], v[149:150], v[153:154]
	v_fma_f64 v[151:152], v[8:9], v[14:15], v[151:152]
	v_fma_f64 v[157:158], v[6:7], v[14:15], -v[16:17]
	ds_load_b128 v[6:9], v1 offset:1392
	s_wait_loadcnt_dscnt 0x801
	v_mul_f64_e32 v[153:154], v[2:3], v[20:21]
	v_mul_f64_e32 v[20:21], v[4:5], v[20:21]
	scratch_load_b128 v[14:17], off, off offset:768
	v_add_f64_e32 v[147:148], v[147:148], v[159:160]
	v_add_f64_e32 v[149:150], v[149:150], v[155:156]
	s_wait_loadcnt_dscnt 0x800
	v_mul_f64_e32 v[155:156], v[6:7], v[24:25]
	v_mul_f64_e32 v[24:25], v[8:9], v[24:25]
	v_fma_f64 v[153:154], v[4:5], v[18:19], v[153:154]
	v_fma_f64 v[18:19], v[2:3], v[18:19], -v[20:21]
	ds_load_b128 v[2:5], v1 offset:1408
	v_add_f64_e32 v[20:21], v[147:148], v[157:158]
	v_add_f64_e32 v[147:148], v[149:150], v[151:152]
	v_fma_f64 v[151:152], v[8:9], v[22:23], v[155:156]
	v_fma_f64 v[22:23], v[6:7], v[22:23], -v[24:25]
	ds_load_b128 v[6:9], v1 offset:1424
	s_wait_loadcnt_dscnt 0x701
	v_mul_f64_e32 v[149:150], v[2:3], v[28:29]
	v_mul_f64_e32 v[28:29], v[4:5], v[28:29]
	v_add_f64_e32 v[18:19], v[20:21], v[18:19]
	v_add_f64_e32 v[20:21], v[147:148], v[153:154]
	s_delay_alu instid0(VALU_DEP_4) | instskip(NEXT) | instid1(VALU_DEP_4)
	v_fma_f64 v[147:148], v[4:5], v[26:27], v[149:150]
	v_fma_f64 v[26:27], v[2:3], v[26:27], -v[28:29]
	ds_load_b128 v[2:5], v1 offset:1440
	v_add_f64_e32 v[22:23], v[18:19], v[22:23]
	v_add_f64_e32 v[28:29], v[20:21], v[151:152]
	scratch_load_b128 v[18:21], off, off offset:384
	s_wait_loadcnt_dscnt 0x701
	v_mul_f64_e32 v[24:25], v[6:7], v[32:33]
	v_mul_f64_e32 v[32:33], v[8:9], v[32:33]
	v_add_f64_e32 v[22:23], v[22:23], v[26:27]
	v_add_f64_e32 v[26:27], v[28:29], v[147:148]
	s_delay_alu instid0(VALU_DEP_4) | instskip(NEXT) | instid1(VALU_DEP_4)
	v_fma_f64 v[24:25], v[8:9], v[30:31], v[24:25]
	v_fma_f64 v[30:31], v[6:7], v[30:31], -v[32:33]
	ds_load_b128 v[6:9], v1 offset:1456
	s_wait_loadcnt_dscnt 0x601
	v_mul_f64_e32 v[149:150], v[2:3], v[40:41]
	v_mul_f64_e32 v[40:41], v[4:5], v[40:41]
	s_wait_loadcnt_dscnt 0x500
	v_mul_f64_e32 v[28:29], v[6:7], v[145:146]
	v_mul_f64_e32 v[32:33], v[8:9], v[145:146]
	v_add_f64_e32 v[24:25], v[26:27], v[24:25]
	v_add_f64_e32 v[22:23], v[22:23], v[30:31]
	v_fma_f64 v[145:146], v[4:5], v[38:39], v[149:150]
	v_fma_f64 v[38:39], v[2:3], v[38:39], -v[40:41]
	ds_load_b128 v[2:5], v1 offset:1472
	v_fma_f64 v[28:29], v[8:9], v[143:144], v[28:29]
	v_fma_f64 v[32:33], v[6:7], v[143:144], -v[32:33]
	ds_load_b128 v[6:9], v1 offset:1488
	s_wait_loadcnt_dscnt 0x401
	v_mul_f64_e32 v[26:27], v[2:3], v[36:37]
	v_mul_f64_e32 v[30:31], v[4:5], v[36:37]
	v_add_f64_e32 v[24:25], v[24:25], v[145:146]
	v_add_f64_e32 v[22:23], v[22:23], v[38:39]
	s_wait_loadcnt_dscnt 0x300
	v_mul_f64_e32 v[36:37], v[6:7], v[141:142]
	v_mul_f64_e32 v[38:39], v[8:9], v[141:142]
	v_fma_f64 v[26:27], v[4:5], v[34:35], v[26:27]
	v_fma_f64 v[30:31], v[2:3], v[34:35], -v[30:31]
	ds_load_b128 v[2:5], v1 offset:1504
	v_add_f64_e32 v[24:25], v[24:25], v[28:29]
	v_add_f64_e32 v[22:23], v[22:23], v[32:33]
	v_fma_f64 v[32:33], v[8:9], v[139:140], v[36:37]
	v_fma_f64 v[34:35], v[6:7], v[139:140], -v[38:39]
	ds_load_b128 v[6:9], v1 offset:1520
	s_wait_loadcnt_dscnt 0x201
	v_mul_f64_e32 v[28:29], v[2:3], v[12:13]
	v_mul_f64_e32 v[12:13], v[4:5], v[12:13]
	v_add_f64_e32 v[24:25], v[24:25], v[26:27]
	v_add_f64_e32 v[22:23], v[22:23], v[30:31]
	s_wait_loadcnt_dscnt 0x100
	v_mul_f64_e32 v[26:27], v[6:7], v[16:17]
	v_mul_f64_e32 v[16:17], v[8:9], v[16:17]
	v_fma_f64 v[4:5], v[4:5], v[10:11], v[28:29]
	v_fma_f64 v[1:2], v[2:3], v[10:11], -v[12:13]
	v_add_f64_e32 v[12:13], v[24:25], v[32:33]
	v_add_f64_e32 v[10:11], v[22:23], v[34:35]
	v_fma_f64 v[8:9], v[8:9], v[14:15], v[26:27]
	v_fma_f64 v[6:7], v[6:7], v[14:15], -v[16:17]
	s_delay_alu instid0(VALU_DEP_4) | instskip(NEXT) | instid1(VALU_DEP_4)
	v_add_f64_e32 v[3:4], v[12:13], v[4:5]
	v_add_f64_e32 v[1:2], v[10:11], v[1:2]
	s_delay_alu instid0(VALU_DEP_2) | instskip(NEXT) | instid1(VALU_DEP_2)
	v_add_f64_e32 v[3:4], v[3:4], v[8:9]
	v_add_f64_e32 v[1:2], v[1:2], v[6:7]
	s_wait_loadcnt 0x0
	s_delay_alu instid0(VALU_DEP_2) | instskip(NEXT) | instid1(VALU_DEP_2)
	v_add_f64_e64 v[3:4], v[20:21], -v[3:4]
	v_add_f64_e64 v[1:2], v[18:19], -v[1:2]
	scratch_store_b128 off, v[1:4], off offset:384
	v_cmpx_lt_u32_e32 22, v0
	s_cbranch_execz .LBB111_257
; %bb.256:
	scratch_load_b128 v[1:4], off, s39
	v_mov_b32_e32 v5, 0
	s_delay_alu instid0(VALU_DEP_1)
	v_dual_mov_b32 v6, v5 :: v_dual_mov_b32 v7, v5
	v_mov_b32_e32 v8, v5
	scratch_store_b128 off, v[5:8], off offset:368
	s_wait_loadcnt 0x0
	ds_store_b128 v138, v[1:4]
.LBB111_257:
	s_wait_alu 0xfffe
	s_or_b32 exec_lo, exec_lo, s0
	s_wait_storecnt_dscnt 0x0
	s_barrier_signal -1
	s_barrier_wait -1
	global_inv scope:SCOPE_SE
	s_clause 0x7
	scratch_load_b128 v[2:5], off, off offset:384
	scratch_load_b128 v[6:9], off, off offset:400
	;; [unrolled: 1-line block ×8, first 2 shown]
	v_mov_b32_e32 v1, 0
	s_clause 0x1
	scratch_load_b128 v[38:41], off, off offset:512
	scratch_load_b128 v[143:146], off, off offset:528
	s_mov_b32 s0, exec_lo
	ds_load_b128 v[34:37], v1 offset:1136
	ds_load_b128 v[139:142], v1 offset:1152
	s_wait_loadcnt_dscnt 0x901
	v_mul_f64_e32 v[147:148], v[36:37], v[4:5]
	v_mul_f64_e32 v[4:5], v[34:35], v[4:5]
	s_wait_loadcnt_dscnt 0x800
	v_mul_f64_e32 v[149:150], v[139:140], v[8:9]
	v_mul_f64_e32 v[8:9], v[141:142], v[8:9]
	s_delay_alu instid0(VALU_DEP_4) | instskip(NEXT) | instid1(VALU_DEP_4)
	v_fma_f64 v[147:148], v[34:35], v[2:3], -v[147:148]
	v_fma_f64 v[151:152], v[36:37], v[2:3], v[4:5]
	ds_load_b128 v[2:5], v1 offset:1168
	scratch_load_b128 v[34:37], off, off offset:544
	v_fma_f64 v[149:150], v[141:142], v[6:7], v[149:150]
	v_fma_f64 v[155:156], v[139:140], v[6:7], -v[8:9]
	ds_load_b128 v[6:9], v1 offset:1184
	scratch_load_b128 v[139:142], off, off offset:560
	s_wait_loadcnt_dscnt 0x901
	v_mul_f64_e32 v[153:154], v[2:3], v[12:13]
	v_mul_f64_e32 v[12:13], v[4:5], v[12:13]
	s_wait_loadcnt_dscnt 0x800
	v_mul_f64_e32 v[157:158], v[6:7], v[16:17]
	v_mul_f64_e32 v[16:17], v[8:9], v[16:17]
	v_add_f64_e32 v[147:148], 0, v[147:148]
	v_add_f64_e32 v[151:152], 0, v[151:152]
	v_fma_f64 v[153:154], v[4:5], v[10:11], v[153:154]
	v_fma_f64 v[159:160], v[2:3], v[10:11], -v[12:13]
	ds_load_b128 v[2:5], v1 offset:1200
	scratch_load_b128 v[10:13], off, off offset:576
	v_add_f64_e32 v[147:148], v[147:148], v[155:156]
	v_add_f64_e32 v[149:150], v[151:152], v[149:150]
	v_fma_f64 v[155:156], v[8:9], v[14:15], v[157:158]
	v_fma_f64 v[157:158], v[6:7], v[14:15], -v[16:17]
	ds_load_b128 v[6:9], v1 offset:1216
	scratch_load_b128 v[14:17], off, off offset:592
	s_wait_loadcnt_dscnt 0x901
	v_mul_f64_e32 v[151:152], v[2:3], v[20:21]
	v_mul_f64_e32 v[20:21], v[4:5], v[20:21]
	v_add_f64_e32 v[147:148], v[147:148], v[159:160]
	v_add_f64_e32 v[149:150], v[149:150], v[153:154]
	s_wait_loadcnt_dscnt 0x800
	v_mul_f64_e32 v[153:154], v[6:7], v[24:25]
	v_mul_f64_e32 v[24:25], v[8:9], v[24:25]
	v_fma_f64 v[151:152], v[4:5], v[18:19], v[151:152]
	v_fma_f64 v[159:160], v[2:3], v[18:19], -v[20:21]
	ds_load_b128 v[2:5], v1 offset:1232
	scratch_load_b128 v[18:21], off, off offset:608
	v_add_f64_e32 v[147:148], v[147:148], v[157:158]
	v_add_f64_e32 v[149:150], v[149:150], v[155:156]
	v_fma_f64 v[153:154], v[8:9], v[22:23], v[153:154]
	v_fma_f64 v[157:158], v[6:7], v[22:23], -v[24:25]
	ds_load_b128 v[6:9], v1 offset:1248
	s_wait_loadcnt_dscnt 0x801
	v_mul_f64_e32 v[155:156], v[2:3], v[28:29]
	v_mul_f64_e32 v[28:29], v[4:5], v[28:29]
	scratch_load_b128 v[22:25], off, off offset:624
	v_add_f64_e32 v[147:148], v[147:148], v[159:160]
	v_add_f64_e32 v[149:150], v[149:150], v[151:152]
	s_wait_loadcnt_dscnt 0x800
	v_mul_f64_e32 v[151:152], v[6:7], v[32:33]
	v_mul_f64_e32 v[32:33], v[8:9], v[32:33]
	v_fma_f64 v[155:156], v[4:5], v[26:27], v[155:156]
	v_fma_f64 v[159:160], v[2:3], v[26:27], -v[28:29]
	ds_load_b128 v[2:5], v1 offset:1264
	scratch_load_b128 v[26:29], off, off offset:640
	v_add_f64_e32 v[147:148], v[147:148], v[157:158]
	v_add_f64_e32 v[149:150], v[149:150], v[153:154]
	v_fma_f64 v[151:152], v[8:9], v[30:31], v[151:152]
	v_fma_f64 v[157:158], v[6:7], v[30:31], -v[32:33]
	ds_load_b128 v[6:9], v1 offset:1280
	s_wait_loadcnt_dscnt 0x801
	v_mul_f64_e32 v[153:154], v[2:3], v[40:41]
	v_mul_f64_e32 v[40:41], v[4:5], v[40:41]
	scratch_load_b128 v[30:33], off, off offset:656
	v_add_f64_e32 v[147:148], v[147:148], v[159:160]
	v_add_f64_e32 v[149:150], v[149:150], v[155:156]
	s_wait_loadcnt_dscnt 0x800
	v_mul_f64_e32 v[155:156], v[6:7], v[145:146]
	v_mul_f64_e32 v[145:146], v[8:9], v[145:146]
	v_fma_f64 v[153:154], v[4:5], v[38:39], v[153:154]
	v_fma_f64 v[159:160], v[2:3], v[38:39], -v[40:41]
	ds_load_b128 v[2:5], v1 offset:1296
	scratch_load_b128 v[38:41], off, off offset:672
	v_add_f64_e32 v[147:148], v[147:148], v[157:158]
	v_add_f64_e32 v[149:150], v[149:150], v[151:152]
	v_fma_f64 v[155:156], v[8:9], v[143:144], v[155:156]
	v_fma_f64 v[157:158], v[6:7], v[143:144], -v[145:146]
	ds_load_b128 v[6:9], v1 offset:1312
	scratch_load_b128 v[143:146], off, off offset:688
	s_wait_loadcnt_dscnt 0x901
	v_mul_f64_e32 v[151:152], v[2:3], v[36:37]
	v_mul_f64_e32 v[36:37], v[4:5], v[36:37]
	v_add_f64_e32 v[147:148], v[147:148], v[159:160]
	v_add_f64_e32 v[149:150], v[149:150], v[153:154]
	s_wait_loadcnt_dscnt 0x800
	v_mul_f64_e32 v[153:154], v[6:7], v[141:142]
	v_mul_f64_e32 v[141:142], v[8:9], v[141:142]
	v_fma_f64 v[151:152], v[4:5], v[34:35], v[151:152]
	v_fma_f64 v[159:160], v[2:3], v[34:35], -v[36:37]
	ds_load_b128 v[2:5], v1 offset:1328
	scratch_load_b128 v[34:37], off, off offset:704
	v_add_f64_e32 v[147:148], v[147:148], v[157:158]
	v_add_f64_e32 v[149:150], v[149:150], v[155:156]
	v_fma_f64 v[153:154], v[8:9], v[139:140], v[153:154]
	v_fma_f64 v[157:158], v[6:7], v[139:140], -v[141:142]
	ds_load_b128 v[6:9], v1 offset:1344
	s_wait_loadcnt_dscnt 0x801
	v_mul_f64_e32 v[155:156], v[2:3], v[12:13]
	v_mul_f64_e32 v[12:13], v[4:5], v[12:13]
	scratch_load_b128 v[139:142], off, off offset:720
	v_add_f64_e32 v[147:148], v[147:148], v[159:160]
	v_add_f64_e32 v[149:150], v[149:150], v[151:152]
	s_wait_loadcnt_dscnt 0x800
	v_mul_f64_e32 v[151:152], v[6:7], v[16:17]
	v_mul_f64_e32 v[16:17], v[8:9], v[16:17]
	v_fma_f64 v[155:156], v[4:5], v[10:11], v[155:156]
	v_fma_f64 v[159:160], v[2:3], v[10:11], -v[12:13]
	ds_load_b128 v[2:5], v1 offset:1360
	scratch_load_b128 v[10:13], off, off offset:736
	v_add_f64_e32 v[147:148], v[147:148], v[157:158]
	v_add_f64_e32 v[149:150], v[149:150], v[153:154]
	v_fma_f64 v[151:152], v[8:9], v[14:15], v[151:152]
	v_fma_f64 v[157:158], v[6:7], v[14:15], -v[16:17]
	ds_load_b128 v[6:9], v1 offset:1376
	s_wait_loadcnt_dscnt 0x801
	v_mul_f64_e32 v[153:154], v[2:3], v[20:21]
	v_mul_f64_e32 v[20:21], v[4:5], v[20:21]
	scratch_load_b128 v[14:17], off, off offset:752
	v_add_f64_e32 v[147:148], v[147:148], v[159:160]
	v_add_f64_e32 v[149:150], v[149:150], v[155:156]
	s_wait_loadcnt_dscnt 0x800
	v_mul_f64_e32 v[155:156], v[6:7], v[24:25]
	v_mul_f64_e32 v[24:25], v[8:9], v[24:25]
	v_fma_f64 v[153:154], v[4:5], v[18:19], v[153:154]
	v_fma_f64 v[159:160], v[2:3], v[18:19], -v[20:21]
	ds_load_b128 v[2:5], v1 offset:1392
	scratch_load_b128 v[18:21], off, off offset:768
	v_add_f64_e32 v[147:148], v[147:148], v[157:158]
	v_add_f64_e32 v[149:150], v[149:150], v[151:152]
	v_fma_f64 v[155:156], v[8:9], v[22:23], v[155:156]
	v_fma_f64 v[22:23], v[6:7], v[22:23], -v[24:25]
	ds_load_b128 v[6:9], v1 offset:1408
	s_wait_loadcnt_dscnt 0x801
	v_mul_f64_e32 v[151:152], v[2:3], v[28:29]
	v_mul_f64_e32 v[28:29], v[4:5], v[28:29]
	v_add_f64_e32 v[24:25], v[147:148], v[159:160]
	v_add_f64_e32 v[147:148], v[149:150], v[153:154]
	s_wait_loadcnt_dscnt 0x700
	v_mul_f64_e32 v[149:150], v[6:7], v[32:33]
	v_mul_f64_e32 v[32:33], v[8:9], v[32:33]
	v_fma_f64 v[151:152], v[4:5], v[26:27], v[151:152]
	v_fma_f64 v[26:27], v[2:3], v[26:27], -v[28:29]
	ds_load_b128 v[2:5], v1 offset:1424
	v_add_f64_e32 v[22:23], v[24:25], v[22:23]
	v_add_f64_e32 v[24:25], v[147:148], v[155:156]
	v_fma_f64 v[147:148], v[8:9], v[30:31], v[149:150]
	v_fma_f64 v[30:31], v[6:7], v[30:31], -v[32:33]
	ds_load_b128 v[6:9], v1 offset:1440
	s_wait_loadcnt_dscnt 0x500
	v_mul_f64_e32 v[149:150], v[6:7], v[145:146]
	v_mul_f64_e32 v[145:146], v[8:9], v[145:146]
	v_add_f64_e32 v[26:27], v[22:23], v[26:27]
	v_add_f64_e32 v[32:33], v[24:25], v[151:152]
	scratch_load_b128 v[22:25], off, off offset:368
	v_mul_f64_e32 v[28:29], v[2:3], v[40:41]
	v_mul_f64_e32 v[40:41], v[4:5], v[40:41]
	v_add_f64_e32 v[26:27], v[26:27], v[30:31]
	v_add_f64_e32 v[30:31], v[32:33], v[147:148]
	s_delay_alu instid0(VALU_DEP_4) | instskip(NEXT) | instid1(VALU_DEP_4)
	v_fma_f64 v[28:29], v[4:5], v[38:39], v[28:29]
	v_fma_f64 v[38:39], v[2:3], v[38:39], -v[40:41]
	ds_load_b128 v[2:5], v1 offset:1456
	v_fma_f64 v[40:41], v[8:9], v[143:144], v[149:150]
	v_fma_f64 v[143:144], v[6:7], v[143:144], -v[145:146]
	ds_load_b128 v[6:9], v1 offset:1472
	s_wait_loadcnt_dscnt 0x501
	v_mul_f64_e32 v[32:33], v[2:3], v[36:37]
	v_mul_f64_e32 v[36:37], v[4:5], v[36:37]
	v_add_f64_e32 v[28:29], v[30:31], v[28:29]
	v_add_f64_e32 v[26:27], v[26:27], v[38:39]
	s_wait_loadcnt_dscnt 0x400
	v_mul_f64_e32 v[30:31], v[6:7], v[141:142]
	v_mul_f64_e32 v[38:39], v[8:9], v[141:142]
	v_fma_f64 v[32:33], v[4:5], v[34:35], v[32:33]
	v_fma_f64 v[34:35], v[2:3], v[34:35], -v[36:37]
	ds_load_b128 v[2:5], v1 offset:1488
	v_add_f64_e32 v[28:29], v[28:29], v[40:41]
	v_add_f64_e32 v[26:27], v[26:27], v[143:144]
	v_fma_f64 v[30:31], v[8:9], v[139:140], v[30:31]
	v_fma_f64 v[38:39], v[6:7], v[139:140], -v[38:39]
	ds_load_b128 v[6:9], v1 offset:1504
	s_wait_loadcnt_dscnt 0x301
	v_mul_f64_e32 v[36:37], v[2:3], v[12:13]
	v_mul_f64_e32 v[12:13], v[4:5], v[12:13]
	v_add_f64_e32 v[28:29], v[28:29], v[32:33]
	v_add_f64_e32 v[26:27], v[26:27], v[34:35]
	s_wait_loadcnt_dscnt 0x200
	v_mul_f64_e32 v[32:33], v[6:7], v[16:17]
	v_mul_f64_e32 v[16:17], v[8:9], v[16:17]
	v_fma_f64 v[34:35], v[4:5], v[10:11], v[36:37]
	v_fma_f64 v[10:11], v[2:3], v[10:11], -v[12:13]
	ds_load_b128 v[2:5], v1 offset:1520
	v_add_f64_e32 v[12:13], v[26:27], v[38:39]
	v_add_f64_e32 v[26:27], v[28:29], v[30:31]
	s_wait_loadcnt_dscnt 0x100
	v_mul_f64_e32 v[28:29], v[2:3], v[20:21]
	v_mul_f64_e32 v[20:21], v[4:5], v[20:21]
	v_fma_f64 v[8:9], v[8:9], v[14:15], v[32:33]
	v_fma_f64 v[6:7], v[6:7], v[14:15], -v[16:17]
	v_add_f64_e32 v[10:11], v[12:13], v[10:11]
	v_add_f64_e32 v[12:13], v[26:27], v[34:35]
	v_fma_f64 v[4:5], v[4:5], v[18:19], v[28:29]
	v_fma_f64 v[2:3], v[2:3], v[18:19], -v[20:21]
	s_delay_alu instid0(VALU_DEP_4) | instskip(NEXT) | instid1(VALU_DEP_4)
	v_add_f64_e32 v[6:7], v[10:11], v[6:7]
	v_add_f64_e32 v[8:9], v[12:13], v[8:9]
	s_delay_alu instid0(VALU_DEP_2) | instskip(NEXT) | instid1(VALU_DEP_2)
	v_add_f64_e32 v[2:3], v[6:7], v[2:3]
	v_add_f64_e32 v[4:5], v[8:9], v[4:5]
	s_wait_loadcnt 0x0
	s_delay_alu instid0(VALU_DEP_2) | instskip(NEXT) | instid1(VALU_DEP_2)
	v_add_f64_e64 v[2:3], v[22:23], -v[2:3]
	v_add_f64_e64 v[4:5], v[24:25], -v[4:5]
	scratch_store_b128 off, v[2:5], off offset:368
	v_cmpx_lt_u32_e32 21, v0
	s_cbranch_execz .LBB111_259
; %bb.258:
	scratch_load_b128 v[5:8], off, s40
	v_dual_mov_b32 v2, v1 :: v_dual_mov_b32 v3, v1
	v_mov_b32_e32 v4, v1
	scratch_store_b128 off, v[1:4], off offset:352
	s_wait_loadcnt 0x0
	ds_store_b128 v138, v[5:8]
.LBB111_259:
	s_wait_alu 0xfffe
	s_or_b32 exec_lo, exec_lo, s0
	s_wait_storecnt_dscnt 0x0
	s_barrier_signal -1
	s_barrier_wait -1
	global_inv scope:SCOPE_SE
	s_clause 0x7
	scratch_load_b128 v[2:5], off, off offset:368
	scratch_load_b128 v[6:9], off, off offset:384
	;; [unrolled: 1-line block ×8, first 2 shown]
	ds_load_b128 v[34:37], v1 offset:1120
	ds_load_b128 v[139:142], v1 offset:1136
	s_clause 0x1
	scratch_load_b128 v[38:41], off, off offset:496
	scratch_load_b128 v[143:146], off, off offset:512
	s_mov_b32 s0, exec_lo
	s_wait_loadcnt_dscnt 0x901
	v_mul_f64_e32 v[147:148], v[36:37], v[4:5]
	v_mul_f64_e32 v[4:5], v[34:35], v[4:5]
	s_wait_loadcnt_dscnt 0x800
	v_mul_f64_e32 v[149:150], v[139:140], v[8:9]
	v_mul_f64_e32 v[8:9], v[141:142], v[8:9]
	s_delay_alu instid0(VALU_DEP_4) | instskip(NEXT) | instid1(VALU_DEP_4)
	v_fma_f64 v[147:148], v[34:35], v[2:3], -v[147:148]
	v_fma_f64 v[151:152], v[36:37], v[2:3], v[4:5]
	ds_load_b128 v[2:5], v1 offset:1152
	scratch_load_b128 v[34:37], off, off offset:528
	v_fma_f64 v[149:150], v[141:142], v[6:7], v[149:150]
	v_fma_f64 v[155:156], v[139:140], v[6:7], -v[8:9]
	ds_load_b128 v[6:9], v1 offset:1168
	scratch_load_b128 v[139:142], off, off offset:544
	s_wait_loadcnt_dscnt 0x901
	v_mul_f64_e32 v[153:154], v[2:3], v[12:13]
	v_mul_f64_e32 v[12:13], v[4:5], v[12:13]
	s_wait_loadcnt_dscnt 0x800
	v_mul_f64_e32 v[157:158], v[6:7], v[16:17]
	v_mul_f64_e32 v[16:17], v[8:9], v[16:17]
	v_add_f64_e32 v[147:148], 0, v[147:148]
	v_add_f64_e32 v[151:152], 0, v[151:152]
	v_fma_f64 v[153:154], v[4:5], v[10:11], v[153:154]
	v_fma_f64 v[159:160], v[2:3], v[10:11], -v[12:13]
	ds_load_b128 v[2:5], v1 offset:1184
	scratch_load_b128 v[10:13], off, off offset:560
	v_add_f64_e32 v[147:148], v[147:148], v[155:156]
	v_add_f64_e32 v[149:150], v[151:152], v[149:150]
	v_fma_f64 v[155:156], v[8:9], v[14:15], v[157:158]
	v_fma_f64 v[157:158], v[6:7], v[14:15], -v[16:17]
	ds_load_b128 v[6:9], v1 offset:1200
	scratch_load_b128 v[14:17], off, off offset:576
	s_wait_loadcnt_dscnt 0x901
	v_mul_f64_e32 v[151:152], v[2:3], v[20:21]
	v_mul_f64_e32 v[20:21], v[4:5], v[20:21]
	v_add_f64_e32 v[147:148], v[147:148], v[159:160]
	v_add_f64_e32 v[149:150], v[149:150], v[153:154]
	s_wait_loadcnt_dscnt 0x800
	v_mul_f64_e32 v[153:154], v[6:7], v[24:25]
	v_mul_f64_e32 v[24:25], v[8:9], v[24:25]
	v_fma_f64 v[151:152], v[4:5], v[18:19], v[151:152]
	v_fma_f64 v[159:160], v[2:3], v[18:19], -v[20:21]
	ds_load_b128 v[2:5], v1 offset:1216
	scratch_load_b128 v[18:21], off, off offset:592
	v_add_f64_e32 v[147:148], v[147:148], v[157:158]
	v_add_f64_e32 v[149:150], v[149:150], v[155:156]
	v_fma_f64 v[153:154], v[8:9], v[22:23], v[153:154]
	v_fma_f64 v[157:158], v[6:7], v[22:23], -v[24:25]
	ds_load_b128 v[6:9], v1 offset:1232
	s_wait_loadcnt_dscnt 0x801
	v_mul_f64_e32 v[155:156], v[2:3], v[28:29]
	v_mul_f64_e32 v[28:29], v[4:5], v[28:29]
	scratch_load_b128 v[22:25], off, off offset:608
	v_add_f64_e32 v[147:148], v[147:148], v[159:160]
	v_add_f64_e32 v[149:150], v[149:150], v[151:152]
	s_wait_loadcnt_dscnt 0x800
	v_mul_f64_e32 v[151:152], v[6:7], v[32:33]
	v_mul_f64_e32 v[32:33], v[8:9], v[32:33]
	v_fma_f64 v[155:156], v[4:5], v[26:27], v[155:156]
	v_fma_f64 v[159:160], v[2:3], v[26:27], -v[28:29]
	ds_load_b128 v[2:5], v1 offset:1248
	scratch_load_b128 v[26:29], off, off offset:624
	v_add_f64_e32 v[147:148], v[147:148], v[157:158]
	v_add_f64_e32 v[149:150], v[149:150], v[153:154]
	v_fma_f64 v[151:152], v[8:9], v[30:31], v[151:152]
	v_fma_f64 v[157:158], v[6:7], v[30:31], -v[32:33]
	ds_load_b128 v[6:9], v1 offset:1264
	s_wait_loadcnt_dscnt 0x801
	v_mul_f64_e32 v[153:154], v[2:3], v[40:41]
	v_mul_f64_e32 v[40:41], v[4:5], v[40:41]
	scratch_load_b128 v[30:33], off, off offset:640
	v_add_f64_e32 v[147:148], v[147:148], v[159:160]
	v_add_f64_e32 v[149:150], v[149:150], v[155:156]
	s_wait_loadcnt_dscnt 0x800
	v_mul_f64_e32 v[155:156], v[6:7], v[145:146]
	v_mul_f64_e32 v[145:146], v[8:9], v[145:146]
	v_fma_f64 v[153:154], v[4:5], v[38:39], v[153:154]
	v_fma_f64 v[159:160], v[2:3], v[38:39], -v[40:41]
	ds_load_b128 v[2:5], v1 offset:1280
	scratch_load_b128 v[38:41], off, off offset:656
	v_add_f64_e32 v[147:148], v[147:148], v[157:158]
	v_add_f64_e32 v[149:150], v[149:150], v[151:152]
	v_fma_f64 v[155:156], v[8:9], v[143:144], v[155:156]
	v_fma_f64 v[157:158], v[6:7], v[143:144], -v[145:146]
	ds_load_b128 v[6:9], v1 offset:1296
	scratch_load_b128 v[143:146], off, off offset:672
	s_wait_loadcnt_dscnt 0x901
	v_mul_f64_e32 v[151:152], v[2:3], v[36:37]
	v_mul_f64_e32 v[36:37], v[4:5], v[36:37]
	v_add_f64_e32 v[147:148], v[147:148], v[159:160]
	v_add_f64_e32 v[149:150], v[149:150], v[153:154]
	s_wait_loadcnt_dscnt 0x800
	v_mul_f64_e32 v[153:154], v[6:7], v[141:142]
	v_mul_f64_e32 v[141:142], v[8:9], v[141:142]
	v_fma_f64 v[151:152], v[4:5], v[34:35], v[151:152]
	v_fma_f64 v[159:160], v[2:3], v[34:35], -v[36:37]
	ds_load_b128 v[2:5], v1 offset:1312
	scratch_load_b128 v[34:37], off, off offset:688
	v_add_f64_e32 v[147:148], v[147:148], v[157:158]
	v_add_f64_e32 v[149:150], v[149:150], v[155:156]
	v_fma_f64 v[153:154], v[8:9], v[139:140], v[153:154]
	v_fma_f64 v[157:158], v[6:7], v[139:140], -v[141:142]
	ds_load_b128 v[6:9], v1 offset:1328
	s_wait_loadcnt_dscnt 0x801
	v_mul_f64_e32 v[155:156], v[2:3], v[12:13]
	v_mul_f64_e32 v[12:13], v[4:5], v[12:13]
	scratch_load_b128 v[139:142], off, off offset:704
	v_add_f64_e32 v[147:148], v[147:148], v[159:160]
	v_add_f64_e32 v[149:150], v[149:150], v[151:152]
	s_wait_loadcnt_dscnt 0x800
	v_mul_f64_e32 v[151:152], v[6:7], v[16:17]
	v_mul_f64_e32 v[16:17], v[8:9], v[16:17]
	v_fma_f64 v[155:156], v[4:5], v[10:11], v[155:156]
	v_fma_f64 v[159:160], v[2:3], v[10:11], -v[12:13]
	ds_load_b128 v[2:5], v1 offset:1344
	scratch_load_b128 v[10:13], off, off offset:720
	v_add_f64_e32 v[147:148], v[147:148], v[157:158]
	v_add_f64_e32 v[149:150], v[149:150], v[153:154]
	v_fma_f64 v[151:152], v[8:9], v[14:15], v[151:152]
	v_fma_f64 v[157:158], v[6:7], v[14:15], -v[16:17]
	ds_load_b128 v[6:9], v1 offset:1360
	s_wait_loadcnt_dscnt 0x801
	v_mul_f64_e32 v[153:154], v[2:3], v[20:21]
	v_mul_f64_e32 v[20:21], v[4:5], v[20:21]
	scratch_load_b128 v[14:17], off, off offset:736
	;; [unrolled: 18-line block ×3, first 2 shown]
	v_add_f64_e32 v[147:148], v[147:148], v[159:160]
	v_add_f64_e32 v[149:150], v[149:150], v[153:154]
	s_wait_loadcnt_dscnt 0x800
	v_mul_f64_e32 v[153:154], v[6:7], v[32:33]
	v_mul_f64_e32 v[32:33], v[8:9], v[32:33]
	v_fma_f64 v[151:152], v[4:5], v[26:27], v[151:152]
	v_fma_f64 v[26:27], v[2:3], v[26:27], -v[28:29]
	ds_load_b128 v[2:5], v1 offset:1408
	v_add_f64_e32 v[28:29], v[147:148], v[157:158]
	v_add_f64_e32 v[147:148], v[149:150], v[155:156]
	v_fma_f64 v[153:154], v[8:9], v[30:31], v[153:154]
	v_fma_f64 v[30:31], v[6:7], v[30:31], -v[32:33]
	ds_load_b128 v[6:9], v1 offset:1424
	s_wait_loadcnt_dscnt 0x701
	v_mul_f64_e32 v[149:150], v[2:3], v[40:41]
	v_mul_f64_e32 v[40:41], v[4:5], v[40:41]
	v_add_f64_e32 v[26:27], v[28:29], v[26:27]
	v_add_f64_e32 v[28:29], v[147:148], v[151:152]
	s_delay_alu instid0(VALU_DEP_4) | instskip(NEXT) | instid1(VALU_DEP_4)
	v_fma_f64 v[147:148], v[4:5], v[38:39], v[149:150]
	v_fma_f64 v[38:39], v[2:3], v[38:39], -v[40:41]
	ds_load_b128 v[2:5], v1 offset:1440
	v_add_f64_e32 v[30:31], v[26:27], v[30:31]
	v_add_f64_e32 v[40:41], v[28:29], v[153:154]
	scratch_load_b128 v[26:29], off, off offset:352
	s_wait_loadcnt_dscnt 0x701
	v_mul_f64_e32 v[32:33], v[6:7], v[145:146]
	v_mul_f64_e32 v[145:146], v[8:9], v[145:146]
	v_add_f64_e32 v[30:31], v[30:31], v[38:39]
	v_add_f64_e32 v[38:39], v[40:41], v[147:148]
	s_delay_alu instid0(VALU_DEP_4) | instskip(NEXT) | instid1(VALU_DEP_4)
	v_fma_f64 v[32:33], v[8:9], v[143:144], v[32:33]
	v_fma_f64 v[143:144], v[6:7], v[143:144], -v[145:146]
	ds_load_b128 v[6:9], v1 offset:1456
	s_wait_loadcnt_dscnt 0x601
	v_mul_f64_e32 v[149:150], v[2:3], v[36:37]
	v_mul_f64_e32 v[36:37], v[4:5], v[36:37]
	s_wait_loadcnt_dscnt 0x500
	v_mul_f64_e32 v[40:41], v[6:7], v[141:142]
	v_mul_f64_e32 v[141:142], v[8:9], v[141:142]
	v_add_f64_e32 v[32:33], v[38:39], v[32:33]
	v_add_f64_e32 v[30:31], v[30:31], v[143:144]
	v_fma_f64 v[145:146], v[4:5], v[34:35], v[149:150]
	v_fma_f64 v[34:35], v[2:3], v[34:35], -v[36:37]
	ds_load_b128 v[2:5], v1 offset:1472
	v_fma_f64 v[38:39], v[8:9], v[139:140], v[40:41]
	v_fma_f64 v[40:41], v[6:7], v[139:140], -v[141:142]
	ds_load_b128 v[6:9], v1 offset:1488
	s_wait_loadcnt_dscnt 0x401
	v_mul_f64_e32 v[36:37], v[2:3], v[12:13]
	v_mul_f64_e32 v[12:13], v[4:5], v[12:13]
	v_add_f64_e32 v[32:33], v[32:33], v[145:146]
	v_add_f64_e32 v[30:31], v[30:31], v[34:35]
	s_wait_loadcnt_dscnt 0x300
	v_mul_f64_e32 v[34:35], v[6:7], v[16:17]
	v_mul_f64_e32 v[16:17], v[8:9], v[16:17]
	v_fma_f64 v[36:37], v[4:5], v[10:11], v[36:37]
	v_fma_f64 v[10:11], v[2:3], v[10:11], -v[12:13]
	ds_load_b128 v[2:5], v1 offset:1504
	v_add_f64_e32 v[12:13], v[30:31], v[40:41]
	v_add_f64_e32 v[30:31], v[32:33], v[38:39]
	v_fma_f64 v[34:35], v[8:9], v[14:15], v[34:35]
	v_fma_f64 v[14:15], v[6:7], v[14:15], -v[16:17]
	ds_load_b128 v[6:9], v1 offset:1520
	s_wait_loadcnt_dscnt 0x201
	v_mul_f64_e32 v[32:33], v[2:3], v[20:21]
	v_mul_f64_e32 v[20:21], v[4:5], v[20:21]
	s_wait_loadcnt_dscnt 0x100
	v_mul_f64_e32 v[16:17], v[6:7], v[24:25]
	v_mul_f64_e32 v[24:25], v[8:9], v[24:25]
	v_add_f64_e32 v[10:11], v[12:13], v[10:11]
	v_add_f64_e32 v[12:13], v[30:31], v[36:37]
	v_fma_f64 v[4:5], v[4:5], v[18:19], v[32:33]
	v_fma_f64 v[1:2], v[2:3], v[18:19], -v[20:21]
	v_fma_f64 v[8:9], v[8:9], v[22:23], v[16:17]
	v_fma_f64 v[6:7], v[6:7], v[22:23], -v[24:25]
	v_add_f64_e32 v[10:11], v[10:11], v[14:15]
	v_add_f64_e32 v[12:13], v[12:13], v[34:35]
	s_delay_alu instid0(VALU_DEP_2) | instskip(NEXT) | instid1(VALU_DEP_2)
	v_add_f64_e32 v[1:2], v[10:11], v[1:2]
	v_add_f64_e32 v[3:4], v[12:13], v[4:5]
	s_delay_alu instid0(VALU_DEP_2) | instskip(NEXT) | instid1(VALU_DEP_2)
	v_add_f64_e32 v[1:2], v[1:2], v[6:7]
	v_add_f64_e32 v[3:4], v[3:4], v[8:9]
	s_wait_loadcnt 0x0
	s_delay_alu instid0(VALU_DEP_2) | instskip(NEXT) | instid1(VALU_DEP_2)
	v_add_f64_e64 v[1:2], v[26:27], -v[1:2]
	v_add_f64_e64 v[3:4], v[28:29], -v[3:4]
	scratch_store_b128 off, v[1:4], off offset:352
	v_cmpx_lt_u32_e32 20, v0
	s_cbranch_execz .LBB111_261
; %bb.260:
	scratch_load_b128 v[1:4], off, s41
	v_mov_b32_e32 v5, 0
	s_delay_alu instid0(VALU_DEP_1)
	v_dual_mov_b32 v6, v5 :: v_dual_mov_b32 v7, v5
	v_mov_b32_e32 v8, v5
	scratch_store_b128 off, v[5:8], off offset:336
	s_wait_loadcnt 0x0
	ds_store_b128 v138, v[1:4]
.LBB111_261:
	s_wait_alu 0xfffe
	s_or_b32 exec_lo, exec_lo, s0
	s_wait_storecnt_dscnt 0x0
	s_barrier_signal -1
	s_barrier_wait -1
	global_inv scope:SCOPE_SE
	s_clause 0x7
	scratch_load_b128 v[2:5], off, off offset:352
	scratch_load_b128 v[6:9], off, off offset:368
	;; [unrolled: 1-line block ×8, first 2 shown]
	v_mov_b32_e32 v1, 0
	s_clause 0x1
	scratch_load_b128 v[38:41], off, off offset:480
	scratch_load_b128 v[143:146], off, off offset:496
	s_mov_b32 s0, exec_lo
	ds_load_b128 v[34:37], v1 offset:1104
	ds_load_b128 v[139:142], v1 offset:1120
	s_wait_loadcnt_dscnt 0x901
	v_mul_f64_e32 v[147:148], v[36:37], v[4:5]
	v_mul_f64_e32 v[4:5], v[34:35], v[4:5]
	s_wait_loadcnt_dscnt 0x800
	v_mul_f64_e32 v[149:150], v[139:140], v[8:9]
	v_mul_f64_e32 v[8:9], v[141:142], v[8:9]
	s_delay_alu instid0(VALU_DEP_4) | instskip(NEXT) | instid1(VALU_DEP_4)
	v_fma_f64 v[147:148], v[34:35], v[2:3], -v[147:148]
	v_fma_f64 v[151:152], v[36:37], v[2:3], v[4:5]
	ds_load_b128 v[2:5], v1 offset:1136
	scratch_load_b128 v[34:37], off, off offset:512
	v_fma_f64 v[149:150], v[141:142], v[6:7], v[149:150]
	v_fma_f64 v[155:156], v[139:140], v[6:7], -v[8:9]
	ds_load_b128 v[6:9], v1 offset:1152
	scratch_load_b128 v[139:142], off, off offset:528
	s_wait_loadcnt_dscnt 0x901
	v_mul_f64_e32 v[153:154], v[2:3], v[12:13]
	v_mul_f64_e32 v[12:13], v[4:5], v[12:13]
	s_wait_loadcnt_dscnt 0x800
	v_mul_f64_e32 v[157:158], v[6:7], v[16:17]
	v_mul_f64_e32 v[16:17], v[8:9], v[16:17]
	v_add_f64_e32 v[147:148], 0, v[147:148]
	v_add_f64_e32 v[151:152], 0, v[151:152]
	v_fma_f64 v[153:154], v[4:5], v[10:11], v[153:154]
	v_fma_f64 v[159:160], v[2:3], v[10:11], -v[12:13]
	ds_load_b128 v[2:5], v1 offset:1168
	scratch_load_b128 v[10:13], off, off offset:544
	v_add_f64_e32 v[147:148], v[147:148], v[155:156]
	v_add_f64_e32 v[149:150], v[151:152], v[149:150]
	v_fma_f64 v[155:156], v[8:9], v[14:15], v[157:158]
	v_fma_f64 v[157:158], v[6:7], v[14:15], -v[16:17]
	ds_load_b128 v[6:9], v1 offset:1184
	scratch_load_b128 v[14:17], off, off offset:560
	s_wait_loadcnt_dscnt 0x901
	v_mul_f64_e32 v[151:152], v[2:3], v[20:21]
	v_mul_f64_e32 v[20:21], v[4:5], v[20:21]
	v_add_f64_e32 v[147:148], v[147:148], v[159:160]
	v_add_f64_e32 v[149:150], v[149:150], v[153:154]
	s_wait_loadcnt_dscnt 0x800
	v_mul_f64_e32 v[153:154], v[6:7], v[24:25]
	v_mul_f64_e32 v[24:25], v[8:9], v[24:25]
	v_fma_f64 v[151:152], v[4:5], v[18:19], v[151:152]
	v_fma_f64 v[159:160], v[2:3], v[18:19], -v[20:21]
	ds_load_b128 v[2:5], v1 offset:1200
	scratch_load_b128 v[18:21], off, off offset:576
	v_add_f64_e32 v[147:148], v[147:148], v[157:158]
	v_add_f64_e32 v[149:150], v[149:150], v[155:156]
	v_fma_f64 v[153:154], v[8:9], v[22:23], v[153:154]
	v_fma_f64 v[157:158], v[6:7], v[22:23], -v[24:25]
	ds_load_b128 v[6:9], v1 offset:1216
	s_wait_loadcnt_dscnt 0x801
	v_mul_f64_e32 v[155:156], v[2:3], v[28:29]
	v_mul_f64_e32 v[28:29], v[4:5], v[28:29]
	scratch_load_b128 v[22:25], off, off offset:592
	v_add_f64_e32 v[147:148], v[147:148], v[159:160]
	v_add_f64_e32 v[149:150], v[149:150], v[151:152]
	s_wait_loadcnt_dscnt 0x800
	v_mul_f64_e32 v[151:152], v[6:7], v[32:33]
	v_mul_f64_e32 v[32:33], v[8:9], v[32:33]
	v_fma_f64 v[155:156], v[4:5], v[26:27], v[155:156]
	v_fma_f64 v[159:160], v[2:3], v[26:27], -v[28:29]
	ds_load_b128 v[2:5], v1 offset:1232
	scratch_load_b128 v[26:29], off, off offset:608
	v_add_f64_e32 v[147:148], v[147:148], v[157:158]
	v_add_f64_e32 v[149:150], v[149:150], v[153:154]
	v_fma_f64 v[151:152], v[8:9], v[30:31], v[151:152]
	v_fma_f64 v[157:158], v[6:7], v[30:31], -v[32:33]
	ds_load_b128 v[6:9], v1 offset:1248
	s_wait_loadcnt_dscnt 0x801
	v_mul_f64_e32 v[153:154], v[2:3], v[40:41]
	v_mul_f64_e32 v[40:41], v[4:5], v[40:41]
	scratch_load_b128 v[30:33], off, off offset:624
	v_add_f64_e32 v[147:148], v[147:148], v[159:160]
	v_add_f64_e32 v[149:150], v[149:150], v[155:156]
	s_wait_loadcnt_dscnt 0x800
	v_mul_f64_e32 v[155:156], v[6:7], v[145:146]
	v_mul_f64_e32 v[145:146], v[8:9], v[145:146]
	v_fma_f64 v[153:154], v[4:5], v[38:39], v[153:154]
	v_fma_f64 v[159:160], v[2:3], v[38:39], -v[40:41]
	ds_load_b128 v[2:5], v1 offset:1264
	scratch_load_b128 v[38:41], off, off offset:640
	v_add_f64_e32 v[147:148], v[147:148], v[157:158]
	v_add_f64_e32 v[149:150], v[149:150], v[151:152]
	v_fma_f64 v[155:156], v[8:9], v[143:144], v[155:156]
	v_fma_f64 v[157:158], v[6:7], v[143:144], -v[145:146]
	ds_load_b128 v[6:9], v1 offset:1280
	scratch_load_b128 v[143:146], off, off offset:656
	s_wait_loadcnt_dscnt 0x901
	v_mul_f64_e32 v[151:152], v[2:3], v[36:37]
	v_mul_f64_e32 v[36:37], v[4:5], v[36:37]
	v_add_f64_e32 v[147:148], v[147:148], v[159:160]
	v_add_f64_e32 v[149:150], v[149:150], v[153:154]
	s_wait_loadcnt_dscnt 0x800
	v_mul_f64_e32 v[153:154], v[6:7], v[141:142]
	v_mul_f64_e32 v[141:142], v[8:9], v[141:142]
	v_fma_f64 v[151:152], v[4:5], v[34:35], v[151:152]
	v_fma_f64 v[159:160], v[2:3], v[34:35], -v[36:37]
	ds_load_b128 v[2:5], v1 offset:1296
	scratch_load_b128 v[34:37], off, off offset:672
	v_add_f64_e32 v[147:148], v[147:148], v[157:158]
	v_add_f64_e32 v[149:150], v[149:150], v[155:156]
	v_fma_f64 v[153:154], v[8:9], v[139:140], v[153:154]
	v_fma_f64 v[157:158], v[6:7], v[139:140], -v[141:142]
	ds_load_b128 v[6:9], v1 offset:1312
	s_wait_loadcnt_dscnt 0x801
	v_mul_f64_e32 v[155:156], v[2:3], v[12:13]
	v_mul_f64_e32 v[12:13], v[4:5], v[12:13]
	scratch_load_b128 v[139:142], off, off offset:688
	v_add_f64_e32 v[147:148], v[147:148], v[159:160]
	v_add_f64_e32 v[149:150], v[149:150], v[151:152]
	s_wait_loadcnt_dscnt 0x800
	v_mul_f64_e32 v[151:152], v[6:7], v[16:17]
	v_mul_f64_e32 v[16:17], v[8:9], v[16:17]
	v_fma_f64 v[155:156], v[4:5], v[10:11], v[155:156]
	v_fma_f64 v[159:160], v[2:3], v[10:11], -v[12:13]
	ds_load_b128 v[2:5], v1 offset:1328
	scratch_load_b128 v[10:13], off, off offset:704
	v_add_f64_e32 v[147:148], v[147:148], v[157:158]
	v_add_f64_e32 v[149:150], v[149:150], v[153:154]
	v_fma_f64 v[151:152], v[8:9], v[14:15], v[151:152]
	v_fma_f64 v[157:158], v[6:7], v[14:15], -v[16:17]
	ds_load_b128 v[6:9], v1 offset:1344
	s_wait_loadcnt_dscnt 0x801
	v_mul_f64_e32 v[153:154], v[2:3], v[20:21]
	v_mul_f64_e32 v[20:21], v[4:5], v[20:21]
	scratch_load_b128 v[14:17], off, off offset:720
	;; [unrolled: 18-line block ×3, first 2 shown]
	v_add_f64_e32 v[147:148], v[147:148], v[159:160]
	v_add_f64_e32 v[149:150], v[149:150], v[153:154]
	s_wait_loadcnt_dscnt 0x800
	v_mul_f64_e32 v[153:154], v[6:7], v[32:33]
	v_mul_f64_e32 v[32:33], v[8:9], v[32:33]
	v_fma_f64 v[151:152], v[4:5], v[26:27], v[151:152]
	v_fma_f64 v[159:160], v[2:3], v[26:27], -v[28:29]
	ds_load_b128 v[2:5], v1 offset:1392
	scratch_load_b128 v[26:29], off, off offset:768
	v_add_f64_e32 v[147:148], v[147:148], v[157:158]
	v_add_f64_e32 v[149:150], v[149:150], v[155:156]
	v_fma_f64 v[153:154], v[8:9], v[30:31], v[153:154]
	v_fma_f64 v[30:31], v[6:7], v[30:31], -v[32:33]
	ds_load_b128 v[6:9], v1 offset:1408
	s_wait_loadcnt_dscnt 0x801
	v_mul_f64_e32 v[155:156], v[2:3], v[40:41]
	v_mul_f64_e32 v[40:41], v[4:5], v[40:41]
	v_add_f64_e32 v[32:33], v[147:148], v[159:160]
	v_add_f64_e32 v[147:148], v[149:150], v[151:152]
	s_wait_loadcnt_dscnt 0x700
	v_mul_f64_e32 v[149:150], v[6:7], v[145:146]
	v_mul_f64_e32 v[145:146], v[8:9], v[145:146]
	v_fma_f64 v[151:152], v[4:5], v[38:39], v[155:156]
	v_fma_f64 v[38:39], v[2:3], v[38:39], -v[40:41]
	ds_load_b128 v[2:5], v1 offset:1424
	v_add_f64_e32 v[30:31], v[32:33], v[30:31]
	v_add_f64_e32 v[32:33], v[147:148], v[153:154]
	v_fma_f64 v[147:148], v[8:9], v[143:144], v[149:150]
	v_fma_f64 v[143:144], v[6:7], v[143:144], -v[145:146]
	ds_load_b128 v[6:9], v1 offset:1440
	s_wait_loadcnt_dscnt 0x500
	v_mul_f64_e32 v[149:150], v[6:7], v[141:142]
	v_mul_f64_e32 v[141:142], v[8:9], v[141:142]
	v_add_f64_e32 v[38:39], v[30:31], v[38:39]
	v_add_f64_e32 v[145:146], v[32:33], v[151:152]
	scratch_load_b128 v[30:33], off, off offset:336
	v_mul_f64_e32 v[40:41], v[2:3], v[36:37]
	v_mul_f64_e32 v[36:37], v[4:5], v[36:37]
	s_delay_alu instid0(VALU_DEP_2) | instskip(NEXT) | instid1(VALU_DEP_2)
	v_fma_f64 v[40:41], v[4:5], v[34:35], v[40:41]
	v_fma_f64 v[34:35], v[2:3], v[34:35], -v[36:37]
	v_add_f64_e32 v[36:37], v[38:39], v[143:144]
	v_add_f64_e32 v[38:39], v[145:146], v[147:148]
	ds_load_b128 v[2:5], v1 offset:1456
	v_fma_f64 v[145:146], v[8:9], v[139:140], v[149:150]
	v_fma_f64 v[139:140], v[6:7], v[139:140], -v[141:142]
	ds_load_b128 v[6:9], v1 offset:1472
	s_wait_loadcnt_dscnt 0x501
	v_mul_f64_e32 v[143:144], v[2:3], v[12:13]
	v_mul_f64_e32 v[12:13], v[4:5], v[12:13]
	v_add_f64_e32 v[34:35], v[36:37], v[34:35]
	v_add_f64_e32 v[36:37], v[38:39], v[40:41]
	s_wait_loadcnt_dscnt 0x400
	v_mul_f64_e32 v[38:39], v[6:7], v[16:17]
	v_mul_f64_e32 v[16:17], v[8:9], v[16:17]
	v_fma_f64 v[40:41], v[4:5], v[10:11], v[143:144]
	v_fma_f64 v[10:11], v[2:3], v[10:11], -v[12:13]
	ds_load_b128 v[2:5], v1 offset:1488
	v_add_f64_e32 v[12:13], v[34:35], v[139:140]
	v_add_f64_e32 v[34:35], v[36:37], v[145:146]
	v_fma_f64 v[38:39], v[8:9], v[14:15], v[38:39]
	v_fma_f64 v[14:15], v[6:7], v[14:15], -v[16:17]
	ds_load_b128 v[6:9], v1 offset:1504
	s_wait_loadcnt_dscnt 0x301
	v_mul_f64_e32 v[36:37], v[2:3], v[20:21]
	v_mul_f64_e32 v[20:21], v[4:5], v[20:21]
	s_wait_loadcnt_dscnt 0x200
	v_mul_f64_e32 v[16:17], v[6:7], v[24:25]
	v_mul_f64_e32 v[24:25], v[8:9], v[24:25]
	v_add_f64_e32 v[10:11], v[12:13], v[10:11]
	v_add_f64_e32 v[12:13], v[34:35], v[40:41]
	v_fma_f64 v[34:35], v[4:5], v[18:19], v[36:37]
	v_fma_f64 v[18:19], v[2:3], v[18:19], -v[20:21]
	ds_load_b128 v[2:5], v1 offset:1520
	v_fma_f64 v[8:9], v[8:9], v[22:23], v[16:17]
	v_fma_f64 v[6:7], v[6:7], v[22:23], -v[24:25]
	s_wait_loadcnt_dscnt 0x100
	v_mul_f64_e32 v[20:21], v[4:5], v[28:29]
	v_add_f64_e32 v[10:11], v[10:11], v[14:15]
	v_add_f64_e32 v[12:13], v[12:13], v[38:39]
	v_mul_f64_e32 v[14:15], v[2:3], v[28:29]
	s_delay_alu instid0(VALU_DEP_4) | instskip(NEXT) | instid1(VALU_DEP_4)
	v_fma_f64 v[2:3], v[2:3], v[26:27], -v[20:21]
	v_add_f64_e32 v[10:11], v[10:11], v[18:19]
	s_delay_alu instid0(VALU_DEP_4) | instskip(NEXT) | instid1(VALU_DEP_4)
	v_add_f64_e32 v[12:13], v[12:13], v[34:35]
	v_fma_f64 v[4:5], v[4:5], v[26:27], v[14:15]
	s_delay_alu instid0(VALU_DEP_3) | instskip(NEXT) | instid1(VALU_DEP_3)
	v_add_f64_e32 v[6:7], v[10:11], v[6:7]
	v_add_f64_e32 v[8:9], v[12:13], v[8:9]
	s_delay_alu instid0(VALU_DEP_2) | instskip(NEXT) | instid1(VALU_DEP_2)
	v_add_f64_e32 v[2:3], v[6:7], v[2:3]
	v_add_f64_e32 v[4:5], v[8:9], v[4:5]
	s_wait_loadcnt 0x0
	s_delay_alu instid0(VALU_DEP_2) | instskip(NEXT) | instid1(VALU_DEP_2)
	v_add_f64_e64 v[2:3], v[30:31], -v[2:3]
	v_add_f64_e64 v[4:5], v[32:33], -v[4:5]
	scratch_store_b128 off, v[2:5], off offset:336
	v_cmpx_lt_u32_e32 19, v0
	s_cbranch_execz .LBB111_263
; %bb.262:
	scratch_load_b128 v[5:8], off, s42
	v_dual_mov_b32 v2, v1 :: v_dual_mov_b32 v3, v1
	v_mov_b32_e32 v4, v1
	scratch_store_b128 off, v[1:4], off offset:320
	s_wait_loadcnt 0x0
	ds_store_b128 v138, v[5:8]
.LBB111_263:
	s_wait_alu 0xfffe
	s_or_b32 exec_lo, exec_lo, s0
	s_wait_storecnt_dscnt 0x0
	s_barrier_signal -1
	s_barrier_wait -1
	global_inv scope:SCOPE_SE
	s_clause 0x7
	scratch_load_b128 v[2:5], off, off offset:336
	scratch_load_b128 v[6:9], off, off offset:352
	;; [unrolled: 1-line block ×8, first 2 shown]
	ds_load_b128 v[34:37], v1 offset:1088
	ds_load_b128 v[139:142], v1 offset:1104
	s_clause 0x1
	scratch_load_b128 v[38:41], off, off offset:464
	scratch_load_b128 v[143:146], off, off offset:480
	s_mov_b32 s0, exec_lo
	s_wait_loadcnt_dscnt 0x901
	v_mul_f64_e32 v[147:148], v[36:37], v[4:5]
	v_mul_f64_e32 v[4:5], v[34:35], v[4:5]
	s_wait_loadcnt_dscnt 0x800
	v_mul_f64_e32 v[149:150], v[139:140], v[8:9]
	v_mul_f64_e32 v[8:9], v[141:142], v[8:9]
	s_delay_alu instid0(VALU_DEP_4) | instskip(NEXT) | instid1(VALU_DEP_4)
	v_fma_f64 v[147:148], v[34:35], v[2:3], -v[147:148]
	v_fma_f64 v[151:152], v[36:37], v[2:3], v[4:5]
	scratch_load_b128 v[34:37], off, off offset:496
	ds_load_b128 v[2:5], v1 offset:1120
	v_fma_f64 v[149:150], v[141:142], v[6:7], v[149:150]
	v_fma_f64 v[155:156], v[139:140], v[6:7], -v[8:9]
	ds_load_b128 v[6:9], v1 offset:1136
	scratch_load_b128 v[139:142], off, off offset:512
	s_wait_loadcnt_dscnt 0x901
	v_mul_f64_e32 v[153:154], v[2:3], v[12:13]
	v_mul_f64_e32 v[12:13], v[4:5], v[12:13]
	s_wait_loadcnt_dscnt 0x800
	v_mul_f64_e32 v[157:158], v[6:7], v[16:17]
	v_mul_f64_e32 v[16:17], v[8:9], v[16:17]
	v_add_f64_e32 v[147:148], 0, v[147:148]
	v_add_f64_e32 v[151:152], 0, v[151:152]
	v_fma_f64 v[153:154], v[4:5], v[10:11], v[153:154]
	v_fma_f64 v[159:160], v[2:3], v[10:11], -v[12:13]
	ds_load_b128 v[2:5], v1 offset:1152
	scratch_load_b128 v[10:13], off, off offset:528
	v_add_f64_e32 v[147:148], v[147:148], v[155:156]
	v_add_f64_e32 v[149:150], v[151:152], v[149:150]
	v_fma_f64 v[155:156], v[8:9], v[14:15], v[157:158]
	v_fma_f64 v[157:158], v[6:7], v[14:15], -v[16:17]
	ds_load_b128 v[6:9], v1 offset:1168
	scratch_load_b128 v[14:17], off, off offset:544
	s_wait_loadcnt_dscnt 0x901
	v_mul_f64_e32 v[151:152], v[2:3], v[20:21]
	v_mul_f64_e32 v[20:21], v[4:5], v[20:21]
	v_add_f64_e32 v[147:148], v[147:148], v[159:160]
	v_add_f64_e32 v[149:150], v[149:150], v[153:154]
	s_wait_loadcnt_dscnt 0x800
	v_mul_f64_e32 v[153:154], v[6:7], v[24:25]
	v_mul_f64_e32 v[24:25], v[8:9], v[24:25]
	v_fma_f64 v[151:152], v[4:5], v[18:19], v[151:152]
	v_fma_f64 v[159:160], v[2:3], v[18:19], -v[20:21]
	ds_load_b128 v[2:5], v1 offset:1184
	scratch_load_b128 v[18:21], off, off offset:560
	v_add_f64_e32 v[147:148], v[147:148], v[157:158]
	v_add_f64_e32 v[149:150], v[149:150], v[155:156]
	v_fma_f64 v[153:154], v[8:9], v[22:23], v[153:154]
	v_fma_f64 v[157:158], v[6:7], v[22:23], -v[24:25]
	ds_load_b128 v[6:9], v1 offset:1200
	s_wait_loadcnt_dscnt 0x801
	v_mul_f64_e32 v[155:156], v[2:3], v[28:29]
	v_mul_f64_e32 v[28:29], v[4:5], v[28:29]
	scratch_load_b128 v[22:25], off, off offset:576
	v_add_f64_e32 v[147:148], v[147:148], v[159:160]
	v_add_f64_e32 v[149:150], v[149:150], v[151:152]
	s_wait_loadcnt_dscnt 0x800
	v_mul_f64_e32 v[151:152], v[6:7], v[32:33]
	v_mul_f64_e32 v[32:33], v[8:9], v[32:33]
	v_fma_f64 v[155:156], v[4:5], v[26:27], v[155:156]
	v_fma_f64 v[159:160], v[2:3], v[26:27], -v[28:29]
	ds_load_b128 v[2:5], v1 offset:1216
	scratch_load_b128 v[26:29], off, off offset:592
	v_add_f64_e32 v[147:148], v[147:148], v[157:158]
	v_add_f64_e32 v[149:150], v[149:150], v[153:154]
	v_fma_f64 v[151:152], v[8:9], v[30:31], v[151:152]
	v_fma_f64 v[157:158], v[6:7], v[30:31], -v[32:33]
	ds_load_b128 v[6:9], v1 offset:1232
	s_wait_loadcnt_dscnt 0x801
	v_mul_f64_e32 v[153:154], v[2:3], v[40:41]
	v_mul_f64_e32 v[40:41], v[4:5], v[40:41]
	scratch_load_b128 v[30:33], off, off offset:608
	v_add_f64_e32 v[147:148], v[147:148], v[159:160]
	v_add_f64_e32 v[149:150], v[149:150], v[155:156]
	s_wait_loadcnt_dscnt 0x800
	v_mul_f64_e32 v[155:156], v[6:7], v[145:146]
	v_mul_f64_e32 v[145:146], v[8:9], v[145:146]
	v_fma_f64 v[153:154], v[4:5], v[38:39], v[153:154]
	v_fma_f64 v[159:160], v[2:3], v[38:39], -v[40:41]
	ds_load_b128 v[2:5], v1 offset:1248
	scratch_load_b128 v[38:41], off, off offset:624
	v_add_f64_e32 v[147:148], v[147:148], v[157:158]
	v_add_f64_e32 v[149:150], v[149:150], v[151:152]
	v_fma_f64 v[155:156], v[8:9], v[143:144], v[155:156]
	v_fma_f64 v[157:158], v[6:7], v[143:144], -v[145:146]
	ds_load_b128 v[6:9], v1 offset:1264
	scratch_load_b128 v[143:146], off, off offset:640
	s_wait_loadcnt_dscnt 0x901
	v_mul_f64_e32 v[151:152], v[2:3], v[36:37]
	v_mul_f64_e32 v[36:37], v[4:5], v[36:37]
	v_add_f64_e32 v[147:148], v[147:148], v[159:160]
	v_add_f64_e32 v[149:150], v[149:150], v[153:154]
	s_wait_loadcnt_dscnt 0x800
	v_mul_f64_e32 v[153:154], v[6:7], v[141:142]
	v_mul_f64_e32 v[141:142], v[8:9], v[141:142]
	v_fma_f64 v[151:152], v[4:5], v[34:35], v[151:152]
	v_fma_f64 v[159:160], v[2:3], v[34:35], -v[36:37]
	scratch_load_b128 v[34:37], off, off offset:656
	ds_load_b128 v[2:5], v1 offset:1280
	v_add_f64_e32 v[147:148], v[147:148], v[157:158]
	v_add_f64_e32 v[149:150], v[149:150], v[155:156]
	v_fma_f64 v[153:154], v[8:9], v[139:140], v[153:154]
	v_fma_f64 v[157:158], v[6:7], v[139:140], -v[141:142]
	ds_load_b128 v[6:9], v1 offset:1296
	s_wait_loadcnt_dscnt 0x801
	v_mul_f64_e32 v[155:156], v[2:3], v[12:13]
	v_mul_f64_e32 v[12:13], v[4:5], v[12:13]
	scratch_load_b128 v[139:142], off, off offset:672
	v_add_f64_e32 v[147:148], v[147:148], v[159:160]
	v_add_f64_e32 v[149:150], v[149:150], v[151:152]
	s_wait_loadcnt_dscnt 0x800
	v_mul_f64_e32 v[151:152], v[6:7], v[16:17]
	v_mul_f64_e32 v[16:17], v[8:9], v[16:17]
	v_fma_f64 v[155:156], v[4:5], v[10:11], v[155:156]
	v_fma_f64 v[159:160], v[2:3], v[10:11], -v[12:13]
	ds_load_b128 v[2:5], v1 offset:1312
	scratch_load_b128 v[10:13], off, off offset:688
	v_add_f64_e32 v[147:148], v[147:148], v[157:158]
	v_add_f64_e32 v[149:150], v[149:150], v[153:154]
	v_fma_f64 v[151:152], v[8:9], v[14:15], v[151:152]
	v_fma_f64 v[157:158], v[6:7], v[14:15], -v[16:17]
	ds_load_b128 v[6:9], v1 offset:1328
	s_wait_loadcnt_dscnt 0x801
	v_mul_f64_e32 v[153:154], v[2:3], v[20:21]
	v_mul_f64_e32 v[20:21], v[4:5], v[20:21]
	scratch_load_b128 v[14:17], off, off offset:704
	v_add_f64_e32 v[147:148], v[147:148], v[159:160]
	v_add_f64_e32 v[149:150], v[149:150], v[155:156]
	s_wait_loadcnt_dscnt 0x800
	v_mul_f64_e32 v[155:156], v[6:7], v[24:25]
	v_mul_f64_e32 v[24:25], v[8:9], v[24:25]
	v_fma_f64 v[153:154], v[4:5], v[18:19], v[153:154]
	v_fma_f64 v[159:160], v[2:3], v[18:19], -v[20:21]
	ds_load_b128 v[2:5], v1 offset:1344
	scratch_load_b128 v[18:21], off, off offset:720
	;; [unrolled: 18-line block ×3, first 2 shown]
	v_add_f64_e32 v[147:148], v[147:148], v[157:158]
	v_add_f64_e32 v[149:150], v[149:150], v[155:156]
	v_fma_f64 v[153:154], v[8:9], v[30:31], v[153:154]
	v_fma_f64 v[157:158], v[6:7], v[30:31], -v[32:33]
	ds_load_b128 v[6:9], v1 offset:1392
	s_wait_loadcnt_dscnt 0x801
	v_mul_f64_e32 v[155:156], v[2:3], v[40:41]
	v_mul_f64_e32 v[40:41], v[4:5], v[40:41]
	scratch_load_b128 v[30:33], off, off offset:768
	v_add_f64_e32 v[147:148], v[147:148], v[159:160]
	v_add_f64_e32 v[149:150], v[149:150], v[151:152]
	v_fma_f64 v[155:156], v[4:5], v[38:39], v[155:156]
	v_fma_f64 v[38:39], v[2:3], v[38:39], -v[40:41]
	ds_load_b128 v[2:5], v1 offset:1408
	v_add_f64_e32 v[40:41], v[147:148], v[157:158]
	v_add_f64_e32 v[147:148], v[149:150], v[153:154]
	s_wait_loadcnt_dscnt 0x700
	v_mul_f64_e32 v[149:150], v[2:3], v[36:37]
	v_mul_f64_e32 v[36:37], v[4:5], v[36:37]
	s_delay_alu instid0(VALU_DEP_4) | instskip(NEXT) | instid1(VALU_DEP_4)
	v_add_f64_e32 v[38:39], v[40:41], v[38:39]
	v_add_f64_e32 v[40:41], v[147:148], v[155:156]
	s_delay_alu instid0(VALU_DEP_4) | instskip(NEXT) | instid1(VALU_DEP_4)
	v_fma_f64 v[147:148], v[4:5], v[34:35], v[149:150]
	v_fma_f64 v[149:150], v[2:3], v[34:35], -v[36:37]
	scratch_load_b128 v[34:37], off, off offset:320
	v_mul_f64_e32 v[151:152], v[6:7], v[145:146]
	v_mul_f64_e32 v[145:146], v[8:9], v[145:146]
	ds_load_b128 v[2:5], v1 offset:1440
	v_fma_f64 v[151:152], v[8:9], v[143:144], v[151:152]
	v_fma_f64 v[143:144], v[6:7], v[143:144], -v[145:146]
	ds_load_b128 v[6:9], v1 offset:1424
	s_wait_loadcnt_dscnt 0x700
	v_mul_f64_e32 v[145:146], v[6:7], v[141:142]
	v_mul_f64_e32 v[141:142], v[8:9], v[141:142]
	v_add_f64_e32 v[40:41], v[40:41], v[151:152]
	v_add_f64_e32 v[38:39], v[38:39], v[143:144]
	s_wait_loadcnt 0x6
	v_mul_f64_e32 v[143:144], v[2:3], v[12:13]
	v_mul_f64_e32 v[12:13], v[4:5], v[12:13]
	v_fma_f64 v[145:146], v[8:9], v[139:140], v[145:146]
	v_fma_f64 v[139:140], v[6:7], v[139:140], -v[141:142]
	ds_load_b128 v[6:9], v1 offset:1456
	v_add_f64_e32 v[40:41], v[40:41], v[147:148]
	v_add_f64_e32 v[38:39], v[38:39], v[149:150]
	v_fma_f64 v[143:144], v[4:5], v[10:11], v[143:144]
	v_fma_f64 v[10:11], v[2:3], v[10:11], -v[12:13]
	ds_load_b128 v[2:5], v1 offset:1472
	s_wait_loadcnt_dscnt 0x501
	v_mul_f64_e32 v[141:142], v[6:7], v[16:17]
	v_mul_f64_e32 v[16:17], v[8:9], v[16:17]
	v_add_f64_e32 v[12:13], v[38:39], v[139:140]
	v_add_f64_e32 v[38:39], v[40:41], v[145:146]
	s_wait_loadcnt_dscnt 0x400
	v_mul_f64_e32 v[40:41], v[2:3], v[20:21]
	v_mul_f64_e32 v[20:21], v[4:5], v[20:21]
	v_fma_f64 v[139:140], v[8:9], v[14:15], v[141:142]
	v_fma_f64 v[14:15], v[6:7], v[14:15], -v[16:17]
	ds_load_b128 v[6:9], v1 offset:1488
	v_add_f64_e32 v[10:11], v[12:13], v[10:11]
	v_add_f64_e32 v[12:13], v[38:39], v[143:144]
	v_fma_f64 v[38:39], v[4:5], v[18:19], v[40:41]
	v_fma_f64 v[18:19], v[2:3], v[18:19], -v[20:21]
	ds_load_b128 v[2:5], v1 offset:1504
	s_wait_loadcnt_dscnt 0x301
	v_mul_f64_e32 v[16:17], v[6:7], v[24:25]
	v_mul_f64_e32 v[24:25], v[8:9], v[24:25]
	s_wait_loadcnt_dscnt 0x200
	v_mul_f64_e32 v[20:21], v[4:5], v[28:29]
	v_add_f64_e32 v[10:11], v[10:11], v[14:15]
	v_add_f64_e32 v[12:13], v[12:13], v[139:140]
	v_mul_f64_e32 v[14:15], v[2:3], v[28:29]
	v_fma_f64 v[16:17], v[8:9], v[22:23], v[16:17]
	v_fma_f64 v[22:23], v[6:7], v[22:23], -v[24:25]
	ds_load_b128 v[6:9], v1 offset:1520
	v_fma_f64 v[1:2], v[2:3], v[26:27], -v[20:21]
	s_wait_loadcnt_dscnt 0x100
	v_mul_f64_e32 v[24:25], v[8:9], v[32:33]
	v_add_f64_e32 v[10:11], v[10:11], v[18:19]
	v_add_f64_e32 v[12:13], v[12:13], v[38:39]
	v_mul_f64_e32 v[18:19], v[6:7], v[32:33]
	v_fma_f64 v[4:5], v[4:5], v[26:27], v[14:15]
	v_fma_f64 v[6:7], v[6:7], v[30:31], -v[24:25]
	v_add_f64_e32 v[10:11], v[10:11], v[22:23]
	v_add_f64_e32 v[12:13], v[12:13], v[16:17]
	v_fma_f64 v[8:9], v[8:9], v[30:31], v[18:19]
	s_delay_alu instid0(VALU_DEP_3) | instskip(NEXT) | instid1(VALU_DEP_3)
	v_add_f64_e32 v[1:2], v[10:11], v[1:2]
	v_add_f64_e32 v[3:4], v[12:13], v[4:5]
	s_delay_alu instid0(VALU_DEP_2) | instskip(NEXT) | instid1(VALU_DEP_2)
	v_add_f64_e32 v[1:2], v[1:2], v[6:7]
	v_add_f64_e32 v[3:4], v[3:4], v[8:9]
	s_wait_loadcnt 0x0
	s_delay_alu instid0(VALU_DEP_2) | instskip(NEXT) | instid1(VALU_DEP_2)
	v_add_f64_e64 v[1:2], v[34:35], -v[1:2]
	v_add_f64_e64 v[3:4], v[36:37], -v[3:4]
	scratch_store_b128 off, v[1:4], off offset:320
	v_cmpx_lt_u32_e32 18, v0
	s_cbranch_execz .LBB111_265
; %bb.264:
	scratch_load_b128 v[1:4], off, s43
	v_mov_b32_e32 v5, 0
	s_delay_alu instid0(VALU_DEP_1)
	v_dual_mov_b32 v6, v5 :: v_dual_mov_b32 v7, v5
	v_mov_b32_e32 v8, v5
	scratch_store_b128 off, v[5:8], off offset:304
	s_wait_loadcnt 0x0
	ds_store_b128 v138, v[1:4]
.LBB111_265:
	s_wait_alu 0xfffe
	s_or_b32 exec_lo, exec_lo, s0
	s_wait_storecnt_dscnt 0x0
	s_barrier_signal -1
	s_barrier_wait -1
	global_inv scope:SCOPE_SE
	s_clause 0x7
	scratch_load_b128 v[2:5], off, off offset:320
	scratch_load_b128 v[6:9], off, off offset:336
	;; [unrolled: 1-line block ×8, first 2 shown]
	v_mov_b32_e32 v1, 0
	s_clause 0x1
	scratch_load_b128 v[38:41], off, off offset:448
	scratch_load_b128 v[143:146], off, off offset:464
	s_mov_b32 s0, exec_lo
	ds_load_b128 v[34:37], v1 offset:1072
	ds_load_b128 v[139:142], v1 offset:1088
	s_wait_loadcnt_dscnt 0x901
	v_mul_f64_e32 v[147:148], v[36:37], v[4:5]
	v_mul_f64_e32 v[4:5], v[34:35], v[4:5]
	s_wait_loadcnt_dscnt 0x800
	v_mul_f64_e32 v[149:150], v[139:140], v[8:9]
	v_mul_f64_e32 v[8:9], v[141:142], v[8:9]
	s_delay_alu instid0(VALU_DEP_4) | instskip(NEXT) | instid1(VALU_DEP_4)
	v_fma_f64 v[147:148], v[34:35], v[2:3], -v[147:148]
	v_fma_f64 v[151:152], v[36:37], v[2:3], v[4:5]
	ds_load_b128 v[2:5], v1 offset:1104
	scratch_load_b128 v[34:37], off, off offset:480
	v_fma_f64 v[149:150], v[141:142], v[6:7], v[149:150]
	v_fma_f64 v[155:156], v[139:140], v[6:7], -v[8:9]
	ds_load_b128 v[6:9], v1 offset:1120
	scratch_load_b128 v[139:142], off, off offset:496
	s_wait_loadcnt_dscnt 0x901
	v_mul_f64_e32 v[153:154], v[2:3], v[12:13]
	v_mul_f64_e32 v[12:13], v[4:5], v[12:13]
	s_wait_loadcnt_dscnt 0x800
	v_mul_f64_e32 v[157:158], v[6:7], v[16:17]
	v_mul_f64_e32 v[16:17], v[8:9], v[16:17]
	v_add_f64_e32 v[147:148], 0, v[147:148]
	v_add_f64_e32 v[151:152], 0, v[151:152]
	v_fma_f64 v[153:154], v[4:5], v[10:11], v[153:154]
	v_fma_f64 v[159:160], v[2:3], v[10:11], -v[12:13]
	ds_load_b128 v[2:5], v1 offset:1136
	scratch_load_b128 v[10:13], off, off offset:512
	v_add_f64_e32 v[147:148], v[147:148], v[155:156]
	v_add_f64_e32 v[149:150], v[151:152], v[149:150]
	v_fma_f64 v[155:156], v[8:9], v[14:15], v[157:158]
	v_fma_f64 v[157:158], v[6:7], v[14:15], -v[16:17]
	ds_load_b128 v[6:9], v1 offset:1152
	scratch_load_b128 v[14:17], off, off offset:528
	s_wait_loadcnt_dscnt 0x901
	v_mul_f64_e32 v[151:152], v[2:3], v[20:21]
	v_mul_f64_e32 v[20:21], v[4:5], v[20:21]
	v_add_f64_e32 v[147:148], v[147:148], v[159:160]
	v_add_f64_e32 v[149:150], v[149:150], v[153:154]
	s_wait_loadcnt_dscnt 0x800
	v_mul_f64_e32 v[153:154], v[6:7], v[24:25]
	v_mul_f64_e32 v[24:25], v[8:9], v[24:25]
	v_fma_f64 v[151:152], v[4:5], v[18:19], v[151:152]
	v_fma_f64 v[159:160], v[2:3], v[18:19], -v[20:21]
	ds_load_b128 v[2:5], v1 offset:1168
	scratch_load_b128 v[18:21], off, off offset:544
	v_add_f64_e32 v[147:148], v[147:148], v[157:158]
	v_add_f64_e32 v[149:150], v[149:150], v[155:156]
	v_fma_f64 v[153:154], v[8:9], v[22:23], v[153:154]
	v_fma_f64 v[157:158], v[6:7], v[22:23], -v[24:25]
	ds_load_b128 v[6:9], v1 offset:1184
	s_wait_loadcnt_dscnt 0x801
	v_mul_f64_e32 v[155:156], v[2:3], v[28:29]
	v_mul_f64_e32 v[28:29], v[4:5], v[28:29]
	scratch_load_b128 v[22:25], off, off offset:560
	v_add_f64_e32 v[147:148], v[147:148], v[159:160]
	v_add_f64_e32 v[149:150], v[149:150], v[151:152]
	s_wait_loadcnt_dscnt 0x800
	v_mul_f64_e32 v[151:152], v[6:7], v[32:33]
	v_mul_f64_e32 v[32:33], v[8:9], v[32:33]
	v_fma_f64 v[155:156], v[4:5], v[26:27], v[155:156]
	v_fma_f64 v[159:160], v[2:3], v[26:27], -v[28:29]
	ds_load_b128 v[2:5], v1 offset:1200
	scratch_load_b128 v[26:29], off, off offset:576
	v_add_f64_e32 v[147:148], v[147:148], v[157:158]
	v_add_f64_e32 v[149:150], v[149:150], v[153:154]
	v_fma_f64 v[151:152], v[8:9], v[30:31], v[151:152]
	v_fma_f64 v[157:158], v[6:7], v[30:31], -v[32:33]
	ds_load_b128 v[6:9], v1 offset:1216
	s_wait_loadcnt_dscnt 0x801
	v_mul_f64_e32 v[153:154], v[2:3], v[40:41]
	v_mul_f64_e32 v[40:41], v[4:5], v[40:41]
	scratch_load_b128 v[30:33], off, off offset:592
	v_add_f64_e32 v[147:148], v[147:148], v[159:160]
	v_add_f64_e32 v[149:150], v[149:150], v[155:156]
	s_wait_loadcnt_dscnt 0x800
	v_mul_f64_e32 v[155:156], v[6:7], v[145:146]
	v_mul_f64_e32 v[145:146], v[8:9], v[145:146]
	v_fma_f64 v[153:154], v[4:5], v[38:39], v[153:154]
	v_fma_f64 v[159:160], v[2:3], v[38:39], -v[40:41]
	ds_load_b128 v[2:5], v1 offset:1232
	scratch_load_b128 v[38:41], off, off offset:608
	v_add_f64_e32 v[147:148], v[147:148], v[157:158]
	v_add_f64_e32 v[149:150], v[149:150], v[151:152]
	v_fma_f64 v[155:156], v[8:9], v[143:144], v[155:156]
	v_fma_f64 v[157:158], v[6:7], v[143:144], -v[145:146]
	ds_load_b128 v[6:9], v1 offset:1248
	scratch_load_b128 v[143:146], off, off offset:624
	s_wait_loadcnt_dscnt 0x901
	v_mul_f64_e32 v[151:152], v[2:3], v[36:37]
	v_mul_f64_e32 v[36:37], v[4:5], v[36:37]
	v_add_f64_e32 v[147:148], v[147:148], v[159:160]
	v_add_f64_e32 v[149:150], v[149:150], v[153:154]
	s_wait_loadcnt_dscnt 0x800
	v_mul_f64_e32 v[153:154], v[6:7], v[141:142]
	v_mul_f64_e32 v[141:142], v[8:9], v[141:142]
	v_fma_f64 v[151:152], v[4:5], v[34:35], v[151:152]
	v_fma_f64 v[159:160], v[2:3], v[34:35], -v[36:37]
	ds_load_b128 v[2:5], v1 offset:1264
	scratch_load_b128 v[34:37], off, off offset:640
	v_add_f64_e32 v[147:148], v[147:148], v[157:158]
	v_add_f64_e32 v[149:150], v[149:150], v[155:156]
	v_fma_f64 v[153:154], v[8:9], v[139:140], v[153:154]
	v_fma_f64 v[157:158], v[6:7], v[139:140], -v[141:142]
	ds_load_b128 v[6:9], v1 offset:1280
	s_wait_loadcnt_dscnt 0x801
	v_mul_f64_e32 v[155:156], v[2:3], v[12:13]
	v_mul_f64_e32 v[12:13], v[4:5], v[12:13]
	scratch_load_b128 v[139:142], off, off offset:656
	v_add_f64_e32 v[147:148], v[147:148], v[159:160]
	v_add_f64_e32 v[149:150], v[149:150], v[151:152]
	s_wait_loadcnt_dscnt 0x800
	v_mul_f64_e32 v[151:152], v[6:7], v[16:17]
	v_mul_f64_e32 v[16:17], v[8:9], v[16:17]
	v_fma_f64 v[155:156], v[4:5], v[10:11], v[155:156]
	v_fma_f64 v[159:160], v[2:3], v[10:11], -v[12:13]
	ds_load_b128 v[2:5], v1 offset:1296
	scratch_load_b128 v[10:13], off, off offset:672
	v_add_f64_e32 v[147:148], v[147:148], v[157:158]
	v_add_f64_e32 v[149:150], v[149:150], v[153:154]
	v_fma_f64 v[151:152], v[8:9], v[14:15], v[151:152]
	v_fma_f64 v[157:158], v[6:7], v[14:15], -v[16:17]
	ds_load_b128 v[6:9], v1 offset:1312
	s_wait_loadcnt_dscnt 0x801
	v_mul_f64_e32 v[153:154], v[2:3], v[20:21]
	v_mul_f64_e32 v[20:21], v[4:5], v[20:21]
	scratch_load_b128 v[14:17], off, off offset:688
	;; [unrolled: 18-line block ×4, first 2 shown]
	v_add_f64_e32 v[147:148], v[147:148], v[159:160]
	v_add_f64_e32 v[149:150], v[149:150], v[151:152]
	s_wait_loadcnt_dscnt 0x800
	v_mul_f64_e32 v[151:152], v[6:7], v[145:146]
	v_mul_f64_e32 v[145:146], v[8:9], v[145:146]
	v_fma_f64 v[155:156], v[4:5], v[38:39], v[155:156]
	v_fma_f64 v[159:160], v[2:3], v[38:39], -v[40:41]
	ds_load_b128 v[2:5], v1 offset:1392
	scratch_load_b128 v[38:41], off, off offset:768
	v_add_f64_e32 v[147:148], v[147:148], v[157:158]
	v_add_f64_e32 v[149:150], v[149:150], v[153:154]
	v_fma_f64 v[151:152], v[8:9], v[143:144], v[151:152]
	v_fma_f64 v[143:144], v[6:7], v[143:144], -v[145:146]
	ds_load_b128 v[6:9], v1 offset:1408
	s_wait_loadcnt_dscnt 0x801
	v_mul_f64_e32 v[153:154], v[2:3], v[36:37]
	v_mul_f64_e32 v[36:37], v[4:5], v[36:37]
	v_add_f64_e32 v[145:146], v[147:148], v[159:160]
	v_add_f64_e32 v[147:148], v[149:150], v[155:156]
	s_wait_loadcnt_dscnt 0x700
	v_mul_f64_e32 v[149:150], v[6:7], v[141:142]
	v_mul_f64_e32 v[141:142], v[8:9], v[141:142]
	v_fma_f64 v[153:154], v[4:5], v[34:35], v[153:154]
	v_fma_f64 v[34:35], v[2:3], v[34:35], -v[36:37]
	ds_load_b128 v[2:5], v1 offset:1424
	v_add_f64_e32 v[36:37], v[145:146], v[143:144]
	v_add_f64_e32 v[143:144], v[147:148], v[151:152]
	v_fma_f64 v[147:148], v[8:9], v[139:140], v[149:150]
	v_fma_f64 v[139:140], v[6:7], v[139:140], -v[141:142]
	ds_load_b128 v[6:9], v1 offset:1440
	s_wait_loadcnt_dscnt 0x500
	v_mul_f64_e32 v[149:150], v[6:7], v[16:17]
	v_mul_f64_e32 v[16:17], v[8:9], v[16:17]
	v_add_f64_e32 v[141:142], v[36:37], v[34:35]
	v_add_f64_e32 v[143:144], v[143:144], v[153:154]
	scratch_load_b128 v[34:37], off, off offset:304
	v_mul_f64_e32 v[145:146], v[2:3], v[12:13]
	v_mul_f64_e32 v[12:13], v[4:5], v[12:13]
	s_delay_alu instid0(VALU_DEP_2) | instskip(NEXT) | instid1(VALU_DEP_2)
	v_fma_f64 v[145:146], v[4:5], v[10:11], v[145:146]
	v_fma_f64 v[10:11], v[2:3], v[10:11], -v[12:13]
	v_add_f64_e32 v[12:13], v[141:142], v[139:140]
	v_add_f64_e32 v[139:140], v[143:144], v[147:148]
	ds_load_b128 v[2:5], v1 offset:1456
	v_fma_f64 v[143:144], v[8:9], v[14:15], v[149:150]
	v_fma_f64 v[14:15], v[6:7], v[14:15], -v[16:17]
	ds_load_b128 v[6:9], v1 offset:1472
	s_wait_loadcnt_dscnt 0x501
	v_mul_f64_e32 v[141:142], v[2:3], v[20:21]
	v_mul_f64_e32 v[20:21], v[4:5], v[20:21]
	s_wait_loadcnt_dscnt 0x400
	v_mul_f64_e32 v[16:17], v[6:7], v[24:25]
	v_mul_f64_e32 v[24:25], v[8:9], v[24:25]
	v_add_f64_e32 v[10:11], v[12:13], v[10:11]
	v_add_f64_e32 v[12:13], v[139:140], v[145:146]
	v_fma_f64 v[139:140], v[4:5], v[18:19], v[141:142]
	v_fma_f64 v[18:19], v[2:3], v[18:19], -v[20:21]
	ds_load_b128 v[2:5], v1 offset:1488
	v_fma_f64 v[16:17], v[8:9], v[22:23], v[16:17]
	v_fma_f64 v[22:23], v[6:7], v[22:23], -v[24:25]
	ds_load_b128 v[6:9], v1 offset:1504
	v_add_f64_e32 v[10:11], v[10:11], v[14:15]
	v_add_f64_e32 v[12:13], v[12:13], v[143:144]
	s_wait_loadcnt_dscnt 0x301
	v_mul_f64_e32 v[14:15], v[2:3], v[28:29]
	v_mul_f64_e32 v[20:21], v[4:5], v[28:29]
	s_wait_loadcnt_dscnt 0x200
	v_mul_f64_e32 v[24:25], v[8:9], v[32:33]
	v_add_f64_e32 v[10:11], v[10:11], v[18:19]
	v_add_f64_e32 v[12:13], v[12:13], v[139:140]
	v_mul_f64_e32 v[18:19], v[6:7], v[32:33]
	v_fma_f64 v[14:15], v[4:5], v[26:27], v[14:15]
	v_fma_f64 v[20:21], v[2:3], v[26:27], -v[20:21]
	ds_load_b128 v[2:5], v1 offset:1520
	v_fma_f64 v[6:7], v[6:7], v[30:31], -v[24:25]
	v_add_f64_e32 v[10:11], v[10:11], v[22:23]
	v_add_f64_e32 v[12:13], v[12:13], v[16:17]
	s_wait_loadcnt_dscnt 0x100
	v_mul_f64_e32 v[16:17], v[2:3], v[40:41]
	v_mul_f64_e32 v[22:23], v[4:5], v[40:41]
	v_fma_f64 v[8:9], v[8:9], v[30:31], v[18:19]
	v_add_f64_e32 v[10:11], v[10:11], v[20:21]
	v_add_f64_e32 v[12:13], v[12:13], v[14:15]
	v_fma_f64 v[4:5], v[4:5], v[38:39], v[16:17]
	v_fma_f64 v[2:3], v[2:3], v[38:39], -v[22:23]
	s_delay_alu instid0(VALU_DEP_4) | instskip(NEXT) | instid1(VALU_DEP_4)
	v_add_f64_e32 v[6:7], v[10:11], v[6:7]
	v_add_f64_e32 v[8:9], v[12:13], v[8:9]
	s_delay_alu instid0(VALU_DEP_2) | instskip(NEXT) | instid1(VALU_DEP_2)
	v_add_f64_e32 v[2:3], v[6:7], v[2:3]
	v_add_f64_e32 v[4:5], v[8:9], v[4:5]
	s_wait_loadcnt 0x0
	s_delay_alu instid0(VALU_DEP_2) | instskip(NEXT) | instid1(VALU_DEP_2)
	v_add_f64_e64 v[2:3], v[34:35], -v[2:3]
	v_add_f64_e64 v[4:5], v[36:37], -v[4:5]
	scratch_store_b128 off, v[2:5], off offset:304
	v_cmpx_lt_u32_e32 17, v0
	s_cbranch_execz .LBB111_267
; %bb.266:
	scratch_load_b128 v[5:8], off, s44
	v_dual_mov_b32 v2, v1 :: v_dual_mov_b32 v3, v1
	v_mov_b32_e32 v4, v1
	scratch_store_b128 off, v[1:4], off offset:288
	s_wait_loadcnt 0x0
	ds_store_b128 v138, v[5:8]
.LBB111_267:
	s_wait_alu 0xfffe
	s_or_b32 exec_lo, exec_lo, s0
	s_wait_storecnt_dscnt 0x0
	s_barrier_signal -1
	s_barrier_wait -1
	global_inv scope:SCOPE_SE
	s_clause 0x7
	scratch_load_b128 v[2:5], off, off offset:304
	scratch_load_b128 v[6:9], off, off offset:320
	;; [unrolled: 1-line block ×8, first 2 shown]
	ds_load_b128 v[34:37], v1 offset:1056
	ds_load_b128 v[139:142], v1 offset:1072
	s_clause 0x1
	scratch_load_b128 v[38:41], off, off offset:432
	scratch_load_b128 v[143:146], off, off offset:448
	s_mov_b32 s0, exec_lo
	s_wait_loadcnt_dscnt 0x901
	v_mul_f64_e32 v[147:148], v[36:37], v[4:5]
	v_mul_f64_e32 v[4:5], v[34:35], v[4:5]
	s_wait_loadcnt_dscnt 0x800
	v_mul_f64_e32 v[149:150], v[139:140], v[8:9]
	v_mul_f64_e32 v[8:9], v[141:142], v[8:9]
	s_delay_alu instid0(VALU_DEP_4) | instskip(NEXT) | instid1(VALU_DEP_4)
	v_fma_f64 v[147:148], v[34:35], v[2:3], -v[147:148]
	v_fma_f64 v[151:152], v[36:37], v[2:3], v[4:5]
	ds_load_b128 v[2:5], v1 offset:1088
	scratch_load_b128 v[34:37], off, off offset:464
	v_fma_f64 v[149:150], v[141:142], v[6:7], v[149:150]
	v_fma_f64 v[155:156], v[139:140], v[6:7], -v[8:9]
	ds_load_b128 v[6:9], v1 offset:1104
	scratch_load_b128 v[139:142], off, off offset:480
	s_wait_loadcnt_dscnt 0x901
	v_mul_f64_e32 v[153:154], v[2:3], v[12:13]
	v_mul_f64_e32 v[12:13], v[4:5], v[12:13]
	s_wait_loadcnt_dscnt 0x800
	v_mul_f64_e32 v[157:158], v[6:7], v[16:17]
	v_mul_f64_e32 v[16:17], v[8:9], v[16:17]
	v_add_f64_e32 v[147:148], 0, v[147:148]
	v_add_f64_e32 v[151:152], 0, v[151:152]
	v_fma_f64 v[153:154], v[4:5], v[10:11], v[153:154]
	v_fma_f64 v[159:160], v[2:3], v[10:11], -v[12:13]
	scratch_load_b128 v[10:13], off, off offset:496
	ds_load_b128 v[2:5], v1 offset:1120
	v_add_f64_e32 v[147:148], v[147:148], v[155:156]
	v_add_f64_e32 v[149:150], v[151:152], v[149:150]
	v_fma_f64 v[155:156], v[8:9], v[14:15], v[157:158]
	v_fma_f64 v[157:158], v[6:7], v[14:15], -v[16:17]
	ds_load_b128 v[6:9], v1 offset:1136
	scratch_load_b128 v[14:17], off, off offset:512
	s_wait_loadcnt_dscnt 0x901
	v_mul_f64_e32 v[151:152], v[2:3], v[20:21]
	v_mul_f64_e32 v[20:21], v[4:5], v[20:21]
	v_add_f64_e32 v[147:148], v[147:148], v[159:160]
	v_add_f64_e32 v[149:150], v[149:150], v[153:154]
	s_wait_loadcnt_dscnt 0x800
	v_mul_f64_e32 v[153:154], v[6:7], v[24:25]
	v_mul_f64_e32 v[24:25], v[8:9], v[24:25]
	v_fma_f64 v[151:152], v[4:5], v[18:19], v[151:152]
	v_fma_f64 v[159:160], v[2:3], v[18:19], -v[20:21]
	ds_load_b128 v[2:5], v1 offset:1152
	scratch_load_b128 v[18:21], off, off offset:528
	v_add_f64_e32 v[147:148], v[147:148], v[157:158]
	v_add_f64_e32 v[149:150], v[149:150], v[155:156]
	v_fma_f64 v[153:154], v[8:9], v[22:23], v[153:154]
	v_fma_f64 v[157:158], v[6:7], v[22:23], -v[24:25]
	ds_load_b128 v[6:9], v1 offset:1168
	s_wait_loadcnt_dscnt 0x801
	v_mul_f64_e32 v[155:156], v[2:3], v[28:29]
	v_mul_f64_e32 v[28:29], v[4:5], v[28:29]
	scratch_load_b128 v[22:25], off, off offset:544
	v_add_f64_e32 v[147:148], v[147:148], v[159:160]
	v_add_f64_e32 v[149:150], v[149:150], v[151:152]
	s_wait_loadcnt_dscnt 0x800
	v_mul_f64_e32 v[151:152], v[6:7], v[32:33]
	v_mul_f64_e32 v[32:33], v[8:9], v[32:33]
	v_fma_f64 v[155:156], v[4:5], v[26:27], v[155:156]
	v_fma_f64 v[159:160], v[2:3], v[26:27], -v[28:29]
	ds_load_b128 v[2:5], v1 offset:1184
	scratch_load_b128 v[26:29], off, off offset:560
	v_add_f64_e32 v[147:148], v[147:148], v[157:158]
	v_add_f64_e32 v[149:150], v[149:150], v[153:154]
	v_fma_f64 v[151:152], v[8:9], v[30:31], v[151:152]
	v_fma_f64 v[157:158], v[6:7], v[30:31], -v[32:33]
	ds_load_b128 v[6:9], v1 offset:1200
	s_wait_loadcnt_dscnt 0x801
	v_mul_f64_e32 v[153:154], v[2:3], v[40:41]
	v_mul_f64_e32 v[40:41], v[4:5], v[40:41]
	scratch_load_b128 v[30:33], off, off offset:576
	v_add_f64_e32 v[147:148], v[147:148], v[159:160]
	v_add_f64_e32 v[149:150], v[149:150], v[155:156]
	s_wait_loadcnt_dscnt 0x800
	v_mul_f64_e32 v[155:156], v[6:7], v[145:146]
	v_mul_f64_e32 v[145:146], v[8:9], v[145:146]
	v_fma_f64 v[153:154], v[4:5], v[38:39], v[153:154]
	v_fma_f64 v[159:160], v[2:3], v[38:39], -v[40:41]
	ds_load_b128 v[2:5], v1 offset:1216
	scratch_load_b128 v[38:41], off, off offset:592
	v_add_f64_e32 v[147:148], v[147:148], v[157:158]
	v_add_f64_e32 v[149:150], v[149:150], v[151:152]
	v_fma_f64 v[155:156], v[8:9], v[143:144], v[155:156]
	v_fma_f64 v[157:158], v[6:7], v[143:144], -v[145:146]
	ds_load_b128 v[6:9], v1 offset:1232
	scratch_load_b128 v[143:146], off, off offset:608
	s_wait_loadcnt_dscnt 0x901
	v_mul_f64_e32 v[151:152], v[2:3], v[36:37]
	v_mul_f64_e32 v[36:37], v[4:5], v[36:37]
	v_add_f64_e32 v[147:148], v[147:148], v[159:160]
	v_add_f64_e32 v[149:150], v[149:150], v[153:154]
	s_wait_loadcnt_dscnt 0x800
	v_mul_f64_e32 v[153:154], v[6:7], v[141:142]
	v_mul_f64_e32 v[141:142], v[8:9], v[141:142]
	v_fma_f64 v[151:152], v[4:5], v[34:35], v[151:152]
	v_fma_f64 v[159:160], v[2:3], v[34:35], -v[36:37]
	ds_load_b128 v[2:5], v1 offset:1248
	scratch_load_b128 v[34:37], off, off offset:624
	v_add_f64_e32 v[147:148], v[147:148], v[157:158]
	v_add_f64_e32 v[149:150], v[149:150], v[155:156]
	v_fma_f64 v[153:154], v[8:9], v[139:140], v[153:154]
	v_fma_f64 v[157:158], v[6:7], v[139:140], -v[141:142]
	ds_load_b128 v[6:9], v1 offset:1264
	s_wait_loadcnt_dscnt 0x801
	v_mul_f64_e32 v[155:156], v[2:3], v[12:13]
	v_mul_f64_e32 v[12:13], v[4:5], v[12:13]
	scratch_load_b128 v[139:142], off, off offset:640
	v_add_f64_e32 v[147:148], v[147:148], v[159:160]
	v_add_f64_e32 v[149:150], v[149:150], v[151:152]
	s_wait_loadcnt_dscnt 0x800
	v_mul_f64_e32 v[151:152], v[6:7], v[16:17]
	v_mul_f64_e32 v[16:17], v[8:9], v[16:17]
	v_fma_f64 v[155:156], v[4:5], v[10:11], v[155:156]
	v_fma_f64 v[159:160], v[2:3], v[10:11], -v[12:13]
	scratch_load_b128 v[10:13], off, off offset:656
	ds_load_b128 v[2:5], v1 offset:1280
	v_add_f64_e32 v[147:148], v[147:148], v[157:158]
	v_add_f64_e32 v[149:150], v[149:150], v[153:154]
	v_fma_f64 v[151:152], v[8:9], v[14:15], v[151:152]
	v_fma_f64 v[157:158], v[6:7], v[14:15], -v[16:17]
	ds_load_b128 v[6:9], v1 offset:1296
	s_wait_loadcnt_dscnt 0x801
	v_mul_f64_e32 v[153:154], v[2:3], v[20:21]
	v_mul_f64_e32 v[20:21], v[4:5], v[20:21]
	scratch_load_b128 v[14:17], off, off offset:672
	v_add_f64_e32 v[147:148], v[147:148], v[159:160]
	v_add_f64_e32 v[149:150], v[149:150], v[155:156]
	s_wait_loadcnt_dscnt 0x800
	v_mul_f64_e32 v[155:156], v[6:7], v[24:25]
	v_mul_f64_e32 v[24:25], v[8:9], v[24:25]
	v_fma_f64 v[153:154], v[4:5], v[18:19], v[153:154]
	v_fma_f64 v[159:160], v[2:3], v[18:19], -v[20:21]
	ds_load_b128 v[2:5], v1 offset:1312
	scratch_load_b128 v[18:21], off, off offset:688
	v_add_f64_e32 v[147:148], v[147:148], v[157:158]
	v_add_f64_e32 v[149:150], v[149:150], v[151:152]
	v_fma_f64 v[155:156], v[8:9], v[22:23], v[155:156]
	v_fma_f64 v[157:158], v[6:7], v[22:23], -v[24:25]
	ds_load_b128 v[6:9], v1 offset:1328
	s_wait_loadcnt_dscnt 0x801
	v_mul_f64_e32 v[151:152], v[2:3], v[28:29]
	v_mul_f64_e32 v[28:29], v[4:5], v[28:29]
	scratch_load_b128 v[22:25], off, off offset:704
	v_add_f64_e32 v[147:148], v[147:148], v[159:160]
	v_add_f64_e32 v[149:150], v[149:150], v[153:154]
	s_wait_loadcnt_dscnt 0x800
	v_mul_f64_e32 v[153:154], v[6:7], v[32:33]
	v_mul_f64_e32 v[32:33], v[8:9], v[32:33]
	v_fma_f64 v[151:152], v[4:5], v[26:27], v[151:152]
	v_fma_f64 v[159:160], v[2:3], v[26:27], -v[28:29]
	ds_load_b128 v[2:5], v1 offset:1344
	scratch_load_b128 v[26:29], off, off offset:720
	;; [unrolled: 18-line block ×3, first 2 shown]
	v_add_f64_e32 v[147:148], v[147:148], v[157:158]
	v_add_f64_e32 v[149:150], v[149:150], v[153:154]
	v_fma_f64 v[151:152], v[8:9], v[143:144], v[151:152]
	v_fma_f64 v[157:158], v[6:7], v[143:144], -v[145:146]
	ds_load_b128 v[6:9], v1 offset:1392
	s_wait_loadcnt_dscnt 0x801
	v_mul_f64_e32 v[153:154], v[2:3], v[36:37]
	v_mul_f64_e32 v[36:37], v[4:5], v[36:37]
	scratch_load_b128 v[143:146], off, off offset:768
	v_add_f64_e32 v[147:148], v[147:148], v[159:160]
	v_add_f64_e32 v[149:150], v[149:150], v[155:156]
	v_fma_f64 v[153:154], v[4:5], v[34:35], v[153:154]
	v_fma_f64 v[34:35], v[2:3], v[34:35], -v[36:37]
	ds_load_b128 v[2:5], v1 offset:1408
	v_add_f64_e32 v[36:37], v[147:148], v[157:158]
	v_add_f64_e32 v[147:148], v[149:150], v[151:152]
	s_wait_loadcnt_dscnt 0x700
	v_mul_f64_e32 v[149:150], v[2:3], v[12:13]
	v_mul_f64_e32 v[12:13], v[4:5], v[12:13]
	s_delay_alu instid0(VALU_DEP_4) | instskip(NEXT) | instid1(VALU_DEP_4)
	v_add_f64_e32 v[34:35], v[36:37], v[34:35]
	v_add_f64_e32 v[36:37], v[147:148], v[153:154]
	s_delay_alu instid0(VALU_DEP_4) | instskip(NEXT) | instid1(VALU_DEP_4)
	v_fma_f64 v[147:148], v[4:5], v[10:11], v[149:150]
	v_fma_f64 v[149:150], v[2:3], v[10:11], -v[12:13]
	scratch_load_b128 v[10:13], off, off offset:288
	v_mul_f64_e32 v[155:156], v[6:7], v[141:142]
	v_mul_f64_e32 v[141:142], v[8:9], v[141:142]
	ds_load_b128 v[2:5], v1 offset:1440
	v_fma_f64 v[151:152], v[8:9], v[139:140], v[155:156]
	v_fma_f64 v[139:140], v[6:7], v[139:140], -v[141:142]
	ds_load_b128 v[6:9], v1 offset:1424
	s_wait_loadcnt_dscnt 0x700
	v_mul_f64_e32 v[141:142], v[6:7], v[16:17]
	v_mul_f64_e32 v[16:17], v[8:9], v[16:17]
	v_add_f64_e32 v[36:37], v[36:37], v[151:152]
	v_add_f64_e32 v[34:35], v[34:35], v[139:140]
	s_wait_loadcnt 0x6
	v_mul_f64_e32 v[139:140], v[2:3], v[20:21]
	v_mul_f64_e32 v[20:21], v[4:5], v[20:21]
	v_fma_f64 v[141:142], v[8:9], v[14:15], v[141:142]
	v_fma_f64 v[14:15], v[6:7], v[14:15], -v[16:17]
	ds_load_b128 v[6:9], v1 offset:1456
	v_add_f64_e32 v[16:17], v[34:35], v[149:150]
	v_add_f64_e32 v[34:35], v[36:37], v[147:148]
	v_fma_f64 v[139:140], v[4:5], v[18:19], v[139:140]
	v_fma_f64 v[18:19], v[2:3], v[18:19], -v[20:21]
	ds_load_b128 v[2:5], v1 offset:1472
	s_wait_loadcnt_dscnt 0x501
	v_mul_f64_e32 v[36:37], v[6:7], v[24:25]
	v_mul_f64_e32 v[24:25], v[8:9], v[24:25]
	s_wait_loadcnt_dscnt 0x400
	v_mul_f64_e32 v[20:21], v[2:3], v[28:29]
	v_mul_f64_e32 v[28:29], v[4:5], v[28:29]
	v_add_f64_e32 v[14:15], v[16:17], v[14:15]
	v_add_f64_e32 v[16:17], v[34:35], v[141:142]
	v_fma_f64 v[34:35], v[8:9], v[22:23], v[36:37]
	v_fma_f64 v[22:23], v[6:7], v[22:23], -v[24:25]
	ds_load_b128 v[6:9], v1 offset:1488
	v_fma_f64 v[20:21], v[4:5], v[26:27], v[20:21]
	v_fma_f64 v[26:27], v[2:3], v[26:27], -v[28:29]
	ds_load_b128 v[2:5], v1 offset:1504
	s_wait_loadcnt_dscnt 0x301
	v_mul_f64_e32 v[24:25], v[8:9], v[32:33]
	v_add_f64_e32 v[14:15], v[14:15], v[18:19]
	v_add_f64_e32 v[16:17], v[16:17], v[139:140]
	v_mul_f64_e32 v[18:19], v[6:7], v[32:33]
	s_wait_loadcnt_dscnt 0x200
	v_mul_f64_e32 v[28:29], v[4:5], v[40:41]
	v_fma_f64 v[24:25], v[6:7], v[30:31], -v[24:25]
	v_add_f64_e32 v[14:15], v[14:15], v[22:23]
	v_add_f64_e32 v[16:17], v[16:17], v[34:35]
	v_mul_f64_e32 v[22:23], v[2:3], v[40:41]
	v_fma_f64 v[18:19], v[8:9], v[30:31], v[18:19]
	ds_load_b128 v[6:9], v1 offset:1520
	v_fma_f64 v[1:2], v[2:3], v[38:39], -v[28:29]
	v_add_f64_e32 v[14:15], v[14:15], v[26:27]
	v_add_f64_e32 v[16:17], v[16:17], v[20:21]
	s_wait_loadcnt_dscnt 0x100
	v_mul_f64_e32 v[20:21], v[6:7], v[145:146]
	v_mul_f64_e32 v[26:27], v[8:9], v[145:146]
	v_fma_f64 v[4:5], v[4:5], v[38:39], v[22:23]
	v_add_f64_e32 v[14:15], v[14:15], v[24:25]
	v_add_f64_e32 v[16:17], v[16:17], v[18:19]
	v_fma_f64 v[8:9], v[8:9], v[143:144], v[20:21]
	v_fma_f64 v[6:7], v[6:7], v[143:144], -v[26:27]
	s_delay_alu instid0(VALU_DEP_4) | instskip(NEXT) | instid1(VALU_DEP_4)
	v_add_f64_e32 v[1:2], v[14:15], v[1:2]
	v_add_f64_e32 v[3:4], v[16:17], v[4:5]
	s_delay_alu instid0(VALU_DEP_2) | instskip(NEXT) | instid1(VALU_DEP_2)
	v_add_f64_e32 v[1:2], v[1:2], v[6:7]
	v_add_f64_e32 v[3:4], v[3:4], v[8:9]
	s_wait_loadcnt 0x0
	s_delay_alu instid0(VALU_DEP_2) | instskip(NEXT) | instid1(VALU_DEP_2)
	v_add_f64_e64 v[1:2], v[10:11], -v[1:2]
	v_add_f64_e64 v[3:4], v[12:13], -v[3:4]
	scratch_store_b128 off, v[1:4], off offset:288
	v_cmpx_lt_u32_e32 16, v0
	s_cbranch_execz .LBB111_269
; %bb.268:
	scratch_load_b128 v[1:4], off, s45
	v_mov_b32_e32 v5, 0
	s_delay_alu instid0(VALU_DEP_1)
	v_dual_mov_b32 v6, v5 :: v_dual_mov_b32 v7, v5
	v_mov_b32_e32 v8, v5
	scratch_store_b128 off, v[5:8], off offset:272
	s_wait_loadcnt 0x0
	ds_store_b128 v138, v[1:4]
.LBB111_269:
	s_wait_alu 0xfffe
	s_or_b32 exec_lo, exec_lo, s0
	s_wait_storecnt_dscnt 0x0
	s_barrier_signal -1
	s_barrier_wait -1
	global_inv scope:SCOPE_SE
	s_clause 0x7
	scratch_load_b128 v[2:5], off, off offset:288
	scratch_load_b128 v[6:9], off, off offset:304
	;; [unrolled: 1-line block ×8, first 2 shown]
	v_mov_b32_e32 v1, 0
	s_clause 0x1
	scratch_load_b128 v[38:41], off, off offset:416
	scratch_load_b128 v[143:146], off, off offset:432
	s_mov_b32 s0, exec_lo
	ds_load_b128 v[34:37], v1 offset:1040
	ds_load_b128 v[139:142], v1 offset:1056
	s_wait_loadcnt_dscnt 0x901
	v_mul_f64_e32 v[147:148], v[36:37], v[4:5]
	v_mul_f64_e32 v[4:5], v[34:35], v[4:5]
	s_wait_loadcnt_dscnt 0x800
	v_mul_f64_e32 v[149:150], v[139:140], v[8:9]
	v_mul_f64_e32 v[8:9], v[141:142], v[8:9]
	s_delay_alu instid0(VALU_DEP_4) | instskip(NEXT) | instid1(VALU_DEP_4)
	v_fma_f64 v[147:148], v[34:35], v[2:3], -v[147:148]
	v_fma_f64 v[151:152], v[36:37], v[2:3], v[4:5]
	ds_load_b128 v[2:5], v1 offset:1072
	scratch_load_b128 v[34:37], off, off offset:448
	v_fma_f64 v[149:150], v[141:142], v[6:7], v[149:150]
	v_fma_f64 v[155:156], v[139:140], v[6:7], -v[8:9]
	ds_load_b128 v[6:9], v1 offset:1088
	scratch_load_b128 v[139:142], off, off offset:464
	s_wait_loadcnt_dscnt 0x901
	v_mul_f64_e32 v[153:154], v[2:3], v[12:13]
	v_mul_f64_e32 v[12:13], v[4:5], v[12:13]
	s_wait_loadcnt_dscnt 0x800
	v_mul_f64_e32 v[157:158], v[6:7], v[16:17]
	v_mul_f64_e32 v[16:17], v[8:9], v[16:17]
	v_add_f64_e32 v[147:148], 0, v[147:148]
	v_add_f64_e32 v[151:152], 0, v[151:152]
	v_fma_f64 v[153:154], v[4:5], v[10:11], v[153:154]
	v_fma_f64 v[159:160], v[2:3], v[10:11], -v[12:13]
	ds_load_b128 v[2:5], v1 offset:1104
	scratch_load_b128 v[10:13], off, off offset:480
	v_add_f64_e32 v[147:148], v[147:148], v[155:156]
	v_add_f64_e32 v[149:150], v[151:152], v[149:150]
	v_fma_f64 v[155:156], v[8:9], v[14:15], v[157:158]
	v_fma_f64 v[157:158], v[6:7], v[14:15], -v[16:17]
	ds_load_b128 v[6:9], v1 offset:1120
	scratch_load_b128 v[14:17], off, off offset:496
	s_wait_loadcnt_dscnt 0x901
	v_mul_f64_e32 v[151:152], v[2:3], v[20:21]
	v_mul_f64_e32 v[20:21], v[4:5], v[20:21]
	v_add_f64_e32 v[147:148], v[147:148], v[159:160]
	v_add_f64_e32 v[149:150], v[149:150], v[153:154]
	s_wait_loadcnt_dscnt 0x800
	v_mul_f64_e32 v[153:154], v[6:7], v[24:25]
	v_mul_f64_e32 v[24:25], v[8:9], v[24:25]
	v_fma_f64 v[151:152], v[4:5], v[18:19], v[151:152]
	v_fma_f64 v[159:160], v[2:3], v[18:19], -v[20:21]
	ds_load_b128 v[2:5], v1 offset:1136
	scratch_load_b128 v[18:21], off, off offset:512
	v_add_f64_e32 v[147:148], v[147:148], v[157:158]
	v_add_f64_e32 v[149:150], v[149:150], v[155:156]
	v_fma_f64 v[153:154], v[8:9], v[22:23], v[153:154]
	v_fma_f64 v[157:158], v[6:7], v[22:23], -v[24:25]
	ds_load_b128 v[6:9], v1 offset:1152
	s_wait_loadcnt_dscnt 0x801
	v_mul_f64_e32 v[155:156], v[2:3], v[28:29]
	v_mul_f64_e32 v[28:29], v[4:5], v[28:29]
	scratch_load_b128 v[22:25], off, off offset:528
	v_add_f64_e32 v[147:148], v[147:148], v[159:160]
	v_add_f64_e32 v[149:150], v[149:150], v[151:152]
	s_wait_loadcnt_dscnt 0x800
	v_mul_f64_e32 v[151:152], v[6:7], v[32:33]
	v_mul_f64_e32 v[32:33], v[8:9], v[32:33]
	v_fma_f64 v[155:156], v[4:5], v[26:27], v[155:156]
	v_fma_f64 v[159:160], v[2:3], v[26:27], -v[28:29]
	ds_load_b128 v[2:5], v1 offset:1168
	scratch_load_b128 v[26:29], off, off offset:544
	v_add_f64_e32 v[147:148], v[147:148], v[157:158]
	v_add_f64_e32 v[149:150], v[149:150], v[153:154]
	v_fma_f64 v[151:152], v[8:9], v[30:31], v[151:152]
	v_fma_f64 v[157:158], v[6:7], v[30:31], -v[32:33]
	ds_load_b128 v[6:9], v1 offset:1184
	s_wait_loadcnt_dscnt 0x801
	v_mul_f64_e32 v[153:154], v[2:3], v[40:41]
	v_mul_f64_e32 v[40:41], v[4:5], v[40:41]
	scratch_load_b128 v[30:33], off, off offset:560
	v_add_f64_e32 v[147:148], v[147:148], v[159:160]
	v_add_f64_e32 v[149:150], v[149:150], v[155:156]
	s_wait_loadcnt_dscnt 0x800
	v_mul_f64_e32 v[155:156], v[6:7], v[145:146]
	v_mul_f64_e32 v[145:146], v[8:9], v[145:146]
	v_fma_f64 v[153:154], v[4:5], v[38:39], v[153:154]
	v_fma_f64 v[159:160], v[2:3], v[38:39], -v[40:41]
	ds_load_b128 v[2:5], v1 offset:1200
	scratch_load_b128 v[38:41], off, off offset:576
	v_add_f64_e32 v[147:148], v[147:148], v[157:158]
	v_add_f64_e32 v[149:150], v[149:150], v[151:152]
	v_fma_f64 v[155:156], v[8:9], v[143:144], v[155:156]
	v_fma_f64 v[157:158], v[6:7], v[143:144], -v[145:146]
	ds_load_b128 v[6:9], v1 offset:1216
	scratch_load_b128 v[143:146], off, off offset:592
	s_wait_loadcnt_dscnt 0x901
	v_mul_f64_e32 v[151:152], v[2:3], v[36:37]
	v_mul_f64_e32 v[36:37], v[4:5], v[36:37]
	v_add_f64_e32 v[147:148], v[147:148], v[159:160]
	v_add_f64_e32 v[149:150], v[149:150], v[153:154]
	s_wait_loadcnt_dscnt 0x800
	v_mul_f64_e32 v[153:154], v[6:7], v[141:142]
	v_mul_f64_e32 v[141:142], v[8:9], v[141:142]
	v_fma_f64 v[151:152], v[4:5], v[34:35], v[151:152]
	v_fma_f64 v[159:160], v[2:3], v[34:35], -v[36:37]
	ds_load_b128 v[2:5], v1 offset:1232
	scratch_load_b128 v[34:37], off, off offset:608
	v_add_f64_e32 v[147:148], v[147:148], v[157:158]
	v_add_f64_e32 v[149:150], v[149:150], v[155:156]
	v_fma_f64 v[153:154], v[8:9], v[139:140], v[153:154]
	v_fma_f64 v[157:158], v[6:7], v[139:140], -v[141:142]
	ds_load_b128 v[6:9], v1 offset:1248
	s_wait_loadcnt_dscnt 0x801
	v_mul_f64_e32 v[155:156], v[2:3], v[12:13]
	v_mul_f64_e32 v[12:13], v[4:5], v[12:13]
	scratch_load_b128 v[139:142], off, off offset:624
	v_add_f64_e32 v[147:148], v[147:148], v[159:160]
	v_add_f64_e32 v[149:150], v[149:150], v[151:152]
	s_wait_loadcnt_dscnt 0x800
	v_mul_f64_e32 v[151:152], v[6:7], v[16:17]
	v_mul_f64_e32 v[16:17], v[8:9], v[16:17]
	v_fma_f64 v[155:156], v[4:5], v[10:11], v[155:156]
	v_fma_f64 v[159:160], v[2:3], v[10:11], -v[12:13]
	ds_load_b128 v[2:5], v1 offset:1264
	scratch_load_b128 v[10:13], off, off offset:640
	v_add_f64_e32 v[147:148], v[147:148], v[157:158]
	v_add_f64_e32 v[149:150], v[149:150], v[153:154]
	v_fma_f64 v[151:152], v[8:9], v[14:15], v[151:152]
	v_fma_f64 v[157:158], v[6:7], v[14:15], -v[16:17]
	ds_load_b128 v[6:9], v1 offset:1280
	s_wait_loadcnt_dscnt 0x801
	v_mul_f64_e32 v[153:154], v[2:3], v[20:21]
	v_mul_f64_e32 v[20:21], v[4:5], v[20:21]
	scratch_load_b128 v[14:17], off, off offset:656
	;; [unrolled: 18-line block ×5, first 2 shown]
	v_add_f64_e32 v[147:148], v[147:148], v[159:160]
	v_add_f64_e32 v[149:150], v[149:150], v[155:156]
	s_wait_loadcnt_dscnt 0x800
	v_mul_f64_e32 v[155:156], v[6:7], v[141:142]
	v_mul_f64_e32 v[141:142], v[8:9], v[141:142]
	v_fma_f64 v[153:154], v[4:5], v[34:35], v[153:154]
	v_fma_f64 v[159:160], v[2:3], v[34:35], -v[36:37]
	ds_load_b128 v[2:5], v1 offset:1392
	scratch_load_b128 v[34:37], off, off offset:768
	v_add_f64_e32 v[147:148], v[147:148], v[157:158]
	v_add_f64_e32 v[149:150], v[149:150], v[151:152]
	v_fma_f64 v[155:156], v[8:9], v[139:140], v[155:156]
	v_fma_f64 v[139:140], v[6:7], v[139:140], -v[141:142]
	ds_load_b128 v[6:9], v1 offset:1408
	s_wait_loadcnt_dscnt 0x801
	v_mul_f64_e32 v[151:152], v[2:3], v[12:13]
	v_mul_f64_e32 v[12:13], v[4:5], v[12:13]
	v_add_f64_e32 v[141:142], v[147:148], v[159:160]
	v_add_f64_e32 v[147:148], v[149:150], v[153:154]
	s_wait_loadcnt_dscnt 0x700
	v_mul_f64_e32 v[149:150], v[6:7], v[16:17]
	v_mul_f64_e32 v[16:17], v[8:9], v[16:17]
	v_fma_f64 v[151:152], v[4:5], v[10:11], v[151:152]
	v_fma_f64 v[10:11], v[2:3], v[10:11], -v[12:13]
	ds_load_b128 v[2:5], v1 offset:1424
	v_add_f64_e32 v[12:13], v[141:142], v[139:140]
	v_add_f64_e32 v[139:140], v[147:148], v[155:156]
	v_fma_f64 v[147:148], v[8:9], v[14:15], v[149:150]
	v_fma_f64 v[14:15], v[6:7], v[14:15], -v[16:17]
	ds_load_b128 v[6:9], v1 offset:1440
	s_wait_loadcnt_dscnt 0x500
	v_mul_f64_e32 v[149:150], v[6:7], v[24:25]
	v_mul_f64_e32 v[24:25], v[8:9], v[24:25]
	v_add_f64_e32 v[16:17], v[12:13], v[10:11]
	v_add_f64_e32 v[139:140], v[139:140], v[151:152]
	scratch_load_b128 v[10:13], off, off offset:272
	v_mul_f64_e32 v[141:142], v[2:3], v[20:21]
	v_mul_f64_e32 v[20:21], v[4:5], v[20:21]
	v_add_f64_e32 v[14:15], v[16:17], v[14:15]
	v_add_f64_e32 v[16:17], v[139:140], v[147:148]
	v_fma_f64 v[139:140], v[8:9], v[22:23], v[149:150]
	v_fma_f64 v[141:142], v[4:5], v[18:19], v[141:142]
	v_fma_f64 v[18:19], v[2:3], v[18:19], -v[20:21]
	ds_load_b128 v[2:5], v1 offset:1456
	v_fma_f64 v[22:23], v[6:7], v[22:23], -v[24:25]
	ds_load_b128 v[6:9], v1 offset:1472
	s_wait_loadcnt_dscnt 0x501
	v_mul_f64_e32 v[20:21], v[2:3], v[28:29]
	v_mul_f64_e32 v[28:29], v[4:5], v[28:29]
	s_wait_loadcnt_dscnt 0x400
	v_mul_f64_e32 v[24:25], v[8:9], v[32:33]
	v_add_f64_e32 v[16:17], v[16:17], v[141:142]
	v_add_f64_e32 v[14:15], v[14:15], v[18:19]
	v_mul_f64_e32 v[18:19], v[6:7], v[32:33]
	v_fma_f64 v[20:21], v[4:5], v[26:27], v[20:21]
	v_fma_f64 v[26:27], v[2:3], v[26:27], -v[28:29]
	ds_load_b128 v[2:5], v1 offset:1488
	v_fma_f64 v[24:25], v[6:7], v[30:31], -v[24:25]
	v_add_f64_e32 v[16:17], v[16:17], v[139:140]
	v_add_f64_e32 v[14:15], v[14:15], v[22:23]
	v_fma_f64 v[18:19], v[8:9], v[30:31], v[18:19]
	ds_load_b128 v[6:9], v1 offset:1504
	s_wait_loadcnt_dscnt 0x301
	v_mul_f64_e32 v[22:23], v[2:3], v[40:41]
	v_mul_f64_e32 v[28:29], v[4:5], v[40:41]
	v_add_f64_e32 v[16:17], v[16:17], v[20:21]
	v_add_f64_e32 v[14:15], v[14:15], v[26:27]
	s_wait_loadcnt_dscnt 0x200
	v_mul_f64_e32 v[20:21], v[6:7], v[145:146]
	v_mul_f64_e32 v[26:27], v[8:9], v[145:146]
	v_fma_f64 v[22:23], v[4:5], v[38:39], v[22:23]
	v_fma_f64 v[28:29], v[2:3], v[38:39], -v[28:29]
	ds_load_b128 v[2:5], v1 offset:1520
	v_add_f64_e32 v[16:17], v[16:17], v[18:19]
	v_add_f64_e32 v[14:15], v[14:15], v[24:25]
	s_wait_loadcnt_dscnt 0x100
	v_mul_f64_e32 v[18:19], v[2:3], v[36:37]
	v_mul_f64_e32 v[24:25], v[4:5], v[36:37]
	v_fma_f64 v[8:9], v[8:9], v[143:144], v[20:21]
	v_fma_f64 v[6:7], v[6:7], v[143:144], -v[26:27]
	v_add_f64_e32 v[16:17], v[16:17], v[22:23]
	v_add_f64_e32 v[14:15], v[14:15], v[28:29]
	v_fma_f64 v[4:5], v[4:5], v[34:35], v[18:19]
	v_fma_f64 v[2:3], v[2:3], v[34:35], -v[24:25]
	s_delay_alu instid0(VALU_DEP_4) | instskip(NEXT) | instid1(VALU_DEP_4)
	v_add_f64_e32 v[8:9], v[16:17], v[8:9]
	v_add_f64_e32 v[6:7], v[14:15], v[6:7]
	s_delay_alu instid0(VALU_DEP_2) | instskip(NEXT) | instid1(VALU_DEP_2)
	v_add_f64_e32 v[4:5], v[8:9], v[4:5]
	v_add_f64_e32 v[2:3], v[6:7], v[2:3]
	s_wait_loadcnt 0x0
	s_delay_alu instid0(VALU_DEP_2) | instskip(NEXT) | instid1(VALU_DEP_2)
	v_add_f64_e64 v[4:5], v[12:13], -v[4:5]
	v_add_f64_e64 v[2:3], v[10:11], -v[2:3]
	scratch_store_b128 off, v[2:5], off offset:272
	v_cmpx_lt_u32_e32 15, v0
	s_cbranch_execz .LBB111_271
; %bb.270:
	scratch_load_b128 v[5:8], off, s46
	v_dual_mov_b32 v2, v1 :: v_dual_mov_b32 v3, v1
	v_mov_b32_e32 v4, v1
	scratch_store_b128 off, v[1:4], off offset:256
	s_wait_loadcnt 0x0
	ds_store_b128 v138, v[5:8]
.LBB111_271:
	s_wait_alu 0xfffe
	s_or_b32 exec_lo, exec_lo, s0
	s_wait_storecnt_dscnt 0x0
	s_barrier_signal -1
	s_barrier_wait -1
	global_inv scope:SCOPE_SE
	s_clause 0x7
	scratch_load_b128 v[2:5], off, off offset:272
	scratch_load_b128 v[6:9], off, off offset:288
	;; [unrolled: 1-line block ×8, first 2 shown]
	ds_load_b128 v[34:37], v1 offset:1024
	ds_load_b128 v[139:142], v1 offset:1040
	s_clause 0x1
	scratch_load_b128 v[38:41], off, off offset:400
	scratch_load_b128 v[143:146], off, off offset:416
	s_mov_b32 s0, exec_lo
	s_wait_loadcnt_dscnt 0x901
	v_mul_f64_e32 v[147:148], v[36:37], v[4:5]
	v_mul_f64_e32 v[4:5], v[34:35], v[4:5]
	s_wait_loadcnt_dscnt 0x800
	v_mul_f64_e32 v[149:150], v[139:140], v[8:9]
	v_mul_f64_e32 v[8:9], v[141:142], v[8:9]
	s_delay_alu instid0(VALU_DEP_4) | instskip(NEXT) | instid1(VALU_DEP_4)
	v_fma_f64 v[147:148], v[34:35], v[2:3], -v[147:148]
	v_fma_f64 v[151:152], v[36:37], v[2:3], v[4:5]
	ds_load_b128 v[2:5], v1 offset:1056
	scratch_load_b128 v[34:37], off, off offset:432
	v_fma_f64 v[149:150], v[141:142], v[6:7], v[149:150]
	v_fma_f64 v[155:156], v[139:140], v[6:7], -v[8:9]
	ds_load_b128 v[6:9], v1 offset:1072
	scratch_load_b128 v[139:142], off, off offset:448
	s_wait_loadcnt_dscnt 0x901
	v_mul_f64_e32 v[153:154], v[2:3], v[12:13]
	v_mul_f64_e32 v[12:13], v[4:5], v[12:13]
	s_wait_loadcnt_dscnt 0x800
	v_mul_f64_e32 v[157:158], v[6:7], v[16:17]
	v_mul_f64_e32 v[16:17], v[8:9], v[16:17]
	v_add_f64_e32 v[147:148], 0, v[147:148]
	v_add_f64_e32 v[151:152], 0, v[151:152]
	v_fma_f64 v[153:154], v[4:5], v[10:11], v[153:154]
	v_fma_f64 v[159:160], v[2:3], v[10:11], -v[12:13]
	ds_load_b128 v[2:5], v1 offset:1088
	scratch_load_b128 v[10:13], off, off offset:464
	v_add_f64_e32 v[147:148], v[147:148], v[155:156]
	v_add_f64_e32 v[149:150], v[151:152], v[149:150]
	v_fma_f64 v[155:156], v[8:9], v[14:15], v[157:158]
	v_fma_f64 v[157:158], v[6:7], v[14:15], -v[16:17]
	ds_load_b128 v[6:9], v1 offset:1104
	scratch_load_b128 v[14:17], off, off offset:480
	s_wait_loadcnt_dscnt 0x901
	v_mul_f64_e32 v[151:152], v[2:3], v[20:21]
	v_mul_f64_e32 v[20:21], v[4:5], v[20:21]
	v_add_f64_e32 v[147:148], v[147:148], v[159:160]
	v_add_f64_e32 v[149:150], v[149:150], v[153:154]
	s_wait_loadcnt_dscnt 0x800
	v_mul_f64_e32 v[153:154], v[6:7], v[24:25]
	v_mul_f64_e32 v[24:25], v[8:9], v[24:25]
	v_fma_f64 v[151:152], v[4:5], v[18:19], v[151:152]
	v_fma_f64 v[159:160], v[2:3], v[18:19], -v[20:21]
	ds_load_b128 v[2:5], v1 offset:1120
	scratch_load_b128 v[18:21], off, off offset:496
	v_add_f64_e32 v[147:148], v[147:148], v[157:158]
	v_add_f64_e32 v[149:150], v[149:150], v[155:156]
	v_fma_f64 v[153:154], v[8:9], v[22:23], v[153:154]
	v_fma_f64 v[157:158], v[6:7], v[22:23], -v[24:25]
	ds_load_b128 v[6:9], v1 offset:1136
	s_wait_loadcnt_dscnt 0x801
	v_mul_f64_e32 v[155:156], v[2:3], v[28:29]
	v_mul_f64_e32 v[28:29], v[4:5], v[28:29]
	scratch_load_b128 v[22:25], off, off offset:512
	v_add_f64_e32 v[147:148], v[147:148], v[159:160]
	v_add_f64_e32 v[149:150], v[149:150], v[151:152]
	s_wait_loadcnt_dscnt 0x800
	v_mul_f64_e32 v[151:152], v[6:7], v[32:33]
	v_mul_f64_e32 v[32:33], v[8:9], v[32:33]
	v_fma_f64 v[155:156], v[4:5], v[26:27], v[155:156]
	v_fma_f64 v[159:160], v[2:3], v[26:27], -v[28:29]
	ds_load_b128 v[2:5], v1 offset:1152
	scratch_load_b128 v[26:29], off, off offset:528
	v_add_f64_e32 v[147:148], v[147:148], v[157:158]
	v_add_f64_e32 v[149:150], v[149:150], v[153:154]
	v_fma_f64 v[151:152], v[8:9], v[30:31], v[151:152]
	v_fma_f64 v[157:158], v[6:7], v[30:31], -v[32:33]
	ds_load_b128 v[6:9], v1 offset:1168
	s_wait_loadcnt_dscnt 0x801
	v_mul_f64_e32 v[153:154], v[2:3], v[40:41]
	v_mul_f64_e32 v[40:41], v[4:5], v[40:41]
	scratch_load_b128 v[30:33], off, off offset:544
	v_add_f64_e32 v[147:148], v[147:148], v[159:160]
	v_add_f64_e32 v[149:150], v[149:150], v[155:156]
	s_wait_loadcnt_dscnt 0x800
	v_mul_f64_e32 v[155:156], v[6:7], v[145:146]
	v_mul_f64_e32 v[145:146], v[8:9], v[145:146]
	v_fma_f64 v[153:154], v[4:5], v[38:39], v[153:154]
	v_fma_f64 v[159:160], v[2:3], v[38:39], -v[40:41]
	ds_load_b128 v[2:5], v1 offset:1184
	scratch_load_b128 v[38:41], off, off offset:560
	v_add_f64_e32 v[147:148], v[147:148], v[157:158]
	v_add_f64_e32 v[149:150], v[149:150], v[151:152]
	v_fma_f64 v[155:156], v[8:9], v[143:144], v[155:156]
	v_fma_f64 v[157:158], v[6:7], v[143:144], -v[145:146]
	ds_load_b128 v[6:9], v1 offset:1200
	scratch_load_b128 v[143:146], off, off offset:576
	s_wait_loadcnt_dscnt 0x901
	v_mul_f64_e32 v[151:152], v[2:3], v[36:37]
	v_mul_f64_e32 v[36:37], v[4:5], v[36:37]
	v_add_f64_e32 v[147:148], v[147:148], v[159:160]
	v_add_f64_e32 v[149:150], v[149:150], v[153:154]
	s_wait_loadcnt_dscnt 0x800
	v_mul_f64_e32 v[153:154], v[6:7], v[141:142]
	v_mul_f64_e32 v[141:142], v[8:9], v[141:142]
	v_fma_f64 v[151:152], v[4:5], v[34:35], v[151:152]
	v_fma_f64 v[159:160], v[2:3], v[34:35], -v[36:37]
	ds_load_b128 v[2:5], v1 offset:1216
	scratch_load_b128 v[34:37], off, off offset:592
	v_add_f64_e32 v[147:148], v[147:148], v[157:158]
	v_add_f64_e32 v[149:150], v[149:150], v[155:156]
	v_fma_f64 v[153:154], v[8:9], v[139:140], v[153:154]
	v_fma_f64 v[157:158], v[6:7], v[139:140], -v[141:142]
	ds_load_b128 v[6:9], v1 offset:1232
	s_wait_loadcnt_dscnt 0x801
	v_mul_f64_e32 v[155:156], v[2:3], v[12:13]
	v_mul_f64_e32 v[12:13], v[4:5], v[12:13]
	scratch_load_b128 v[139:142], off, off offset:608
	v_add_f64_e32 v[147:148], v[147:148], v[159:160]
	v_add_f64_e32 v[149:150], v[149:150], v[151:152]
	s_wait_loadcnt_dscnt 0x800
	v_mul_f64_e32 v[151:152], v[6:7], v[16:17]
	v_mul_f64_e32 v[16:17], v[8:9], v[16:17]
	v_fma_f64 v[155:156], v[4:5], v[10:11], v[155:156]
	v_fma_f64 v[159:160], v[2:3], v[10:11], -v[12:13]
	ds_load_b128 v[2:5], v1 offset:1248
	scratch_load_b128 v[10:13], off, off offset:624
	v_add_f64_e32 v[147:148], v[147:148], v[157:158]
	v_add_f64_e32 v[149:150], v[149:150], v[153:154]
	v_fma_f64 v[151:152], v[8:9], v[14:15], v[151:152]
	v_fma_f64 v[157:158], v[6:7], v[14:15], -v[16:17]
	ds_load_b128 v[6:9], v1 offset:1264
	s_wait_loadcnt_dscnt 0x801
	v_mul_f64_e32 v[153:154], v[2:3], v[20:21]
	v_mul_f64_e32 v[20:21], v[4:5], v[20:21]
	scratch_load_b128 v[14:17], off, off offset:640
	;; [unrolled: 18-line block ×6, first 2 shown]
	v_add_f64_e32 v[147:148], v[147:148], v[159:160]
	v_add_f64_e32 v[149:150], v[149:150], v[153:154]
	s_wait_loadcnt_dscnt 0x800
	v_mul_f64_e32 v[153:154], v[6:7], v[16:17]
	v_mul_f64_e32 v[16:17], v[8:9], v[16:17]
	v_fma_f64 v[151:152], v[4:5], v[10:11], v[151:152]
	v_fma_f64 v[10:11], v[2:3], v[10:11], -v[12:13]
	ds_load_b128 v[2:5], v1 offset:1408
	v_add_f64_e32 v[12:13], v[147:148], v[157:158]
	v_add_f64_e32 v[147:148], v[149:150], v[155:156]
	v_fma_f64 v[153:154], v[8:9], v[14:15], v[153:154]
	v_fma_f64 v[14:15], v[6:7], v[14:15], -v[16:17]
	ds_load_b128 v[6:9], v1 offset:1424
	s_wait_loadcnt_dscnt 0x701
	v_mul_f64_e32 v[149:150], v[2:3], v[20:21]
	v_mul_f64_e32 v[20:21], v[4:5], v[20:21]
	v_add_f64_e32 v[10:11], v[12:13], v[10:11]
	v_add_f64_e32 v[12:13], v[147:148], v[151:152]
	s_delay_alu instid0(VALU_DEP_4) | instskip(NEXT) | instid1(VALU_DEP_4)
	v_fma_f64 v[147:148], v[4:5], v[18:19], v[149:150]
	v_fma_f64 v[18:19], v[2:3], v[18:19], -v[20:21]
	ds_load_b128 v[2:5], v1 offset:1440
	v_add_f64_e32 v[14:15], v[10:11], v[14:15]
	v_add_f64_e32 v[20:21], v[12:13], v[153:154]
	scratch_load_b128 v[10:13], off, off offset:256
	s_wait_loadcnt_dscnt 0x701
	v_mul_f64_e32 v[16:17], v[6:7], v[24:25]
	v_mul_f64_e32 v[24:25], v[8:9], v[24:25]
	v_add_f64_e32 v[14:15], v[14:15], v[18:19]
	v_add_f64_e32 v[18:19], v[20:21], v[147:148]
	s_delay_alu instid0(VALU_DEP_4) | instskip(NEXT) | instid1(VALU_DEP_4)
	v_fma_f64 v[16:17], v[8:9], v[22:23], v[16:17]
	v_fma_f64 v[22:23], v[6:7], v[22:23], -v[24:25]
	ds_load_b128 v[6:9], v1 offset:1456
	s_wait_loadcnt_dscnt 0x601
	v_mul_f64_e32 v[149:150], v[2:3], v[28:29]
	v_mul_f64_e32 v[28:29], v[4:5], v[28:29]
	s_wait_loadcnt_dscnt 0x500
	v_mul_f64_e32 v[20:21], v[6:7], v[32:33]
	v_mul_f64_e32 v[24:25], v[8:9], v[32:33]
	v_add_f64_e32 v[16:17], v[18:19], v[16:17]
	v_add_f64_e32 v[14:15], v[14:15], v[22:23]
	v_fma_f64 v[32:33], v[4:5], v[26:27], v[149:150]
	v_fma_f64 v[26:27], v[2:3], v[26:27], -v[28:29]
	ds_load_b128 v[2:5], v1 offset:1472
	v_fma_f64 v[20:21], v[8:9], v[30:31], v[20:21]
	v_fma_f64 v[24:25], v[6:7], v[30:31], -v[24:25]
	ds_load_b128 v[6:9], v1 offset:1488
	s_wait_loadcnt_dscnt 0x401
	v_mul_f64_e32 v[18:19], v[2:3], v[40:41]
	v_mul_f64_e32 v[22:23], v[4:5], v[40:41]
	v_add_f64_e32 v[16:17], v[16:17], v[32:33]
	v_add_f64_e32 v[14:15], v[14:15], v[26:27]
	s_wait_loadcnt_dscnt 0x300
	v_mul_f64_e32 v[26:27], v[6:7], v[145:146]
	v_mul_f64_e32 v[28:29], v[8:9], v[145:146]
	v_fma_f64 v[18:19], v[4:5], v[38:39], v[18:19]
	v_fma_f64 v[22:23], v[2:3], v[38:39], -v[22:23]
	ds_load_b128 v[2:5], v1 offset:1504
	v_add_f64_e32 v[16:17], v[16:17], v[20:21]
	v_add_f64_e32 v[14:15], v[14:15], v[24:25]
	v_fma_f64 v[26:27], v[8:9], v[143:144], v[26:27]
	v_fma_f64 v[28:29], v[6:7], v[143:144], -v[28:29]
	ds_load_b128 v[6:9], v1 offset:1520
	s_wait_loadcnt_dscnt 0x201
	v_mul_f64_e32 v[20:21], v[2:3], v[36:37]
	v_mul_f64_e32 v[24:25], v[4:5], v[36:37]
	v_add_f64_e32 v[16:17], v[16:17], v[18:19]
	v_add_f64_e32 v[14:15], v[14:15], v[22:23]
	s_wait_loadcnt_dscnt 0x100
	v_mul_f64_e32 v[18:19], v[6:7], v[141:142]
	v_mul_f64_e32 v[22:23], v[8:9], v[141:142]
	v_fma_f64 v[4:5], v[4:5], v[34:35], v[20:21]
	v_fma_f64 v[1:2], v[2:3], v[34:35], -v[24:25]
	v_add_f64_e32 v[16:17], v[16:17], v[26:27]
	v_add_f64_e32 v[14:15], v[14:15], v[28:29]
	v_fma_f64 v[8:9], v[8:9], v[139:140], v[18:19]
	v_fma_f64 v[6:7], v[6:7], v[139:140], -v[22:23]
	s_delay_alu instid0(VALU_DEP_4) | instskip(NEXT) | instid1(VALU_DEP_4)
	v_add_f64_e32 v[3:4], v[16:17], v[4:5]
	v_add_f64_e32 v[1:2], v[14:15], v[1:2]
	s_delay_alu instid0(VALU_DEP_2) | instskip(NEXT) | instid1(VALU_DEP_2)
	v_add_f64_e32 v[3:4], v[3:4], v[8:9]
	v_add_f64_e32 v[1:2], v[1:2], v[6:7]
	s_wait_loadcnt 0x0
	s_delay_alu instid0(VALU_DEP_2) | instskip(NEXT) | instid1(VALU_DEP_2)
	v_add_f64_e64 v[3:4], v[12:13], -v[3:4]
	v_add_f64_e64 v[1:2], v[10:11], -v[1:2]
	scratch_store_b128 off, v[1:4], off offset:256
	v_cmpx_lt_u32_e32 14, v0
	s_cbranch_execz .LBB111_273
; %bb.272:
	scratch_load_b128 v[1:4], off, s47
	v_mov_b32_e32 v5, 0
	s_delay_alu instid0(VALU_DEP_1)
	v_dual_mov_b32 v6, v5 :: v_dual_mov_b32 v7, v5
	v_mov_b32_e32 v8, v5
	scratch_store_b128 off, v[5:8], off offset:240
	s_wait_loadcnt 0x0
	ds_store_b128 v138, v[1:4]
.LBB111_273:
	s_wait_alu 0xfffe
	s_or_b32 exec_lo, exec_lo, s0
	s_wait_storecnt_dscnt 0x0
	s_barrier_signal -1
	s_barrier_wait -1
	global_inv scope:SCOPE_SE
	s_clause 0x7
	scratch_load_b128 v[2:5], off, off offset:256
	scratch_load_b128 v[6:9], off, off offset:272
	;; [unrolled: 1-line block ×8, first 2 shown]
	v_mov_b32_e32 v1, 0
	s_clause 0x1
	scratch_load_b128 v[38:41], off, off offset:384
	scratch_load_b128 v[143:146], off, off offset:400
	s_mov_b32 s0, exec_lo
	ds_load_b128 v[34:37], v1 offset:1008
	ds_load_b128 v[139:142], v1 offset:1024
	s_wait_loadcnt_dscnt 0x901
	v_mul_f64_e32 v[147:148], v[36:37], v[4:5]
	v_mul_f64_e32 v[4:5], v[34:35], v[4:5]
	s_wait_loadcnt_dscnt 0x800
	v_mul_f64_e32 v[149:150], v[139:140], v[8:9]
	v_mul_f64_e32 v[8:9], v[141:142], v[8:9]
	s_delay_alu instid0(VALU_DEP_4) | instskip(NEXT) | instid1(VALU_DEP_4)
	v_fma_f64 v[147:148], v[34:35], v[2:3], -v[147:148]
	v_fma_f64 v[151:152], v[36:37], v[2:3], v[4:5]
	ds_load_b128 v[2:5], v1 offset:1040
	scratch_load_b128 v[34:37], off, off offset:416
	v_fma_f64 v[149:150], v[141:142], v[6:7], v[149:150]
	v_fma_f64 v[155:156], v[139:140], v[6:7], -v[8:9]
	ds_load_b128 v[6:9], v1 offset:1056
	scratch_load_b128 v[139:142], off, off offset:432
	s_wait_loadcnt_dscnt 0x901
	v_mul_f64_e32 v[153:154], v[2:3], v[12:13]
	v_mul_f64_e32 v[12:13], v[4:5], v[12:13]
	s_wait_loadcnt_dscnt 0x800
	v_mul_f64_e32 v[157:158], v[6:7], v[16:17]
	v_mul_f64_e32 v[16:17], v[8:9], v[16:17]
	v_add_f64_e32 v[147:148], 0, v[147:148]
	v_add_f64_e32 v[151:152], 0, v[151:152]
	v_fma_f64 v[153:154], v[4:5], v[10:11], v[153:154]
	v_fma_f64 v[159:160], v[2:3], v[10:11], -v[12:13]
	ds_load_b128 v[2:5], v1 offset:1072
	scratch_load_b128 v[10:13], off, off offset:448
	v_add_f64_e32 v[147:148], v[147:148], v[155:156]
	v_add_f64_e32 v[149:150], v[151:152], v[149:150]
	v_fma_f64 v[155:156], v[8:9], v[14:15], v[157:158]
	v_fma_f64 v[157:158], v[6:7], v[14:15], -v[16:17]
	ds_load_b128 v[6:9], v1 offset:1088
	scratch_load_b128 v[14:17], off, off offset:464
	s_wait_loadcnt_dscnt 0x901
	v_mul_f64_e32 v[151:152], v[2:3], v[20:21]
	v_mul_f64_e32 v[20:21], v[4:5], v[20:21]
	v_add_f64_e32 v[147:148], v[147:148], v[159:160]
	v_add_f64_e32 v[149:150], v[149:150], v[153:154]
	s_wait_loadcnt_dscnt 0x800
	v_mul_f64_e32 v[153:154], v[6:7], v[24:25]
	v_mul_f64_e32 v[24:25], v[8:9], v[24:25]
	v_fma_f64 v[151:152], v[4:5], v[18:19], v[151:152]
	v_fma_f64 v[159:160], v[2:3], v[18:19], -v[20:21]
	ds_load_b128 v[2:5], v1 offset:1104
	scratch_load_b128 v[18:21], off, off offset:480
	v_add_f64_e32 v[147:148], v[147:148], v[157:158]
	v_add_f64_e32 v[149:150], v[149:150], v[155:156]
	v_fma_f64 v[153:154], v[8:9], v[22:23], v[153:154]
	v_fma_f64 v[157:158], v[6:7], v[22:23], -v[24:25]
	ds_load_b128 v[6:9], v1 offset:1120
	s_wait_loadcnt_dscnt 0x801
	v_mul_f64_e32 v[155:156], v[2:3], v[28:29]
	v_mul_f64_e32 v[28:29], v[4:5], v[28:29]
	scratch_load_b128 v[22:25], off, off offset:496
	v_add_f64_e32 v[147:148], v[147:148], v[159:160]
	v_add_f64_e32 v[149:150], v[149:150], v[151:152]
	s_wait_loadcnt_dscnt 0x800
	v_mul_f64_e32 v[151:152], v[6:7], v[32:33]
	v_mul_f64_e32 v[32:33], v[8:9], v[32:33]
	v_fma_f64 v[155:156], v[4:5], v[26:27], v[155:156]
	v_fma_f64 v[159:160], v[2:3], v[26:27], -v[28:29]
	ds_load_b128 v[2:5], v1 offset:1136
	scratch_load_b128 v[26:29], off, off offset:512
	v_add_f64_e32 v[147:148], v[147:148], v[157:158]
	v_add_f64_e32 v[149:150], v[149:150], v[153:154]
	v_fma_f64 v[151:152], v[8:9], v[30:31], v[151:152]
	v_fma_f64 v[157:158], v[6:7], v[30:31], -v[32:33]
	ds_load_b128 v[6:9], v1 offset:1152
	s_wait_loadcnt_dscnt 0x801
	v_mul_f64_e32 v[153:154], v[2:3], v[40:41]
	v_mul_f64_e32 v[40:41], v[4:5], v[40:41]
	scratch_load_b128 v[30:33], off, off offset:528
	v_add_f64_e32 v[147:148], v[147:148], v[159:160]
	v_add_f64_e32 v[149:150], v[149:150], v[155:156]
	s_wait_loadcnt_dscnt 0x800
	v_mul_f64_e32 v[155:156], v[6:7], v[145:146]
	v_mul_f64_e32 v[145:146], v[8:9], v[145:146]
	v_fma_f64 v[153:154], v[4:5], v[38:39], v[153:154]
	v_fma_f64 v[159:160], v[2:3], v[38:39], -v[40:41]
	ds_load_b128 v[2:5], v1 offset:1168
	scratch_load_b128 v[38:41], off, off offset:544
	v_add_f64_e32 v[147:148], v[147:148], v[157:158]
	v_add_f64_e32 v[149:150], v[149:150], v[151:152]
	v_fma_f64 v[155:156], v[8:9], v[143:144], v[155:156]
	v_fma_f64 v[157:158], v[6:7], v[143:144], -v[145:146]
	ds_load_b128 v[6:9], v1 offset:1184
	scratch_load_b128 v[143:146], off, off offset:560
	s_wait_loadcnt_dscnt 0x901
	v_mul_f64_e32 v[151:152], v[2:3], v[36:37]
	v_mul_f64_e32 v[36:37], v[4:5], v[36:37]
	v_add_f64_e32 v[147:148], v[147:148], v[159:160]
	v_add_f64_e32 v[149:150], v[149:150], v[153:154]
	s_wait_loadcnt_dscnt 0x800
	v_mul_f64_e32 v[153:154], v[6:7], v[141:142]
	v_mul_f64_e32 v[141:142], v[8:9], v[141:142]
	v_fma_f64 v[151:152], v[4:5], v[34:35], v[151:152]
	v_fma_f64 v[159:160], v[2:3], v[34:35], -v[36:37]
	ds_load_b128 v[2:5], v1 offset:1200
	scratch_load_b128 v[34:37], off, off offset:576
	v_add_f64_e32 v[147:148], v[147:148], v[157:158]
	v_add_f64_e32 v[149:150], v[149:150], v[155:156]
	v_fma_f64 v[153:154], v[8:9], v[139:140], v[153:154]
	v_fma_f64 v[157:158], v[6:7], v[139:140], -v[141:142]
	ds_load_b128 v[6:9], v1 offset:1216
	s_wait_loadcnt_dscnt 0x801
	v_mul_f64_e32 v[155:156], v[2:3], v[12:13]
	v_mul_f64_e32 v[12:13], v[4:5], v[12:13]
	scratch_load_b128 v[139:142], off, off offset:592
	v_add_f64_e32 v[147:148], v[147:148], v[159:160]
	v_add_f64_e32 v[149:150], v[149:150], v[151:152]
	s_wait_loadcnt_dscnt 0x800
	v_mul_f64_e32 v[151:152], v[6:7], v[16:17]
	v_mul_f64_e32 v[16:17], v[8:9], v[16:17]
	v_fma_f64 v[155:156], v[4:5], v[10:11], v[155:156]
	v_fma_f64 v[159:160], v[2:3], v[10:11], -v[12:13]
	ds_load_b128 v[2:5], v1 offset:1232
	scratch_load_b128 v[10:13], off, off offset:608
	v_add_f64_e32 v[147:148], v[147:148], v[157:158]
	v_add_f64_e32 v[149:150], v[149:150], v[153:154]
	v_fma_f64 v[151:152], v[8:9], v[14:15], v[151:152]
	v_fma_f64 v[157:158], v[6:7], v[14:15], -v[16:17]
	ds_load_b128 v[6:9], v1 offset:1248
	s_wait_loadcnt_dscnt 0x801
	v_mul_f64_e32 v[153:154], v[2:3], v[20:21]
	v_mul_f64_e32 v[20:21], v[4:5], v[20:21]
	scratch_load_b128 v[14:17], off, off offset:624
	;; [unrolled: 18-line block ×6, first 2 shown]
	v_add_f64_e32 v[147:148], v[147:148], v[159:160]
	v_add_f64_e32 v[149:150], v[149:150], v[153:154]
	s_wait_loadcnt_dscnt 0x800
	v_mul_f64_e32 v[153:154], v[6:7], v[16:17]
	v_mul_f64_e32 v[16:17], v[8:9], v[16:17]
	v_fma_f64 v[151:152], v[4:5], v[10:11], v[151:152]
	v_fma_f64 v[159:160], v[2:3], v[10:11], -v[12:13]
	ds_load_b128 v[2:5], v1 offset:1392
	scratch_load_b128 v[10:13], off, off offset:768
	v_add_f64_e32 v[147:148], v[147:148], v[157:158]
	v_add_f64_e32 v[149:150], v[149:150], v[155:156]
	v_fma_f64 v[153:154], v[8:9], v[14:15], v[153:154]
	v_fma_f64 v[14:15], v[6:7], v[14:15], -v[16:17]
	ds_load_b128 v[6:9], v1 offset:1408
	s_wait_loadcnt_dscnt 0x801
	v_mul_f64_e32 v[155:156], v[2:3], v[20:21]
	v_mul_f64_e32 v[20:21], v[4:5], v[20:21]
	v_add_f64_e32 v[16:17], v[147:148], v[159:160]
	v_add_f64_e32 v[147:148], v[149:150], v[151:152]
	s_wait_loadcnt_dscnt 0x700
	v_mul_f64_e32 v[149:150], v[6:7], v[24:25]
	v_mul_f64_e32 v[24:25], v[8:9], v[24:25]
	v_fma_f64 v[151:152], v[4:5], v[18:19], v[155:156]
	v_fma_f64 v[18:19], v[2:3], v[18:19], -v[20:21]
	ds_load_b128 v[2:5], v1 offset:1424
	v_add_f64_e32 v[14:15], v[16:17], v[14:15]
	v_add_f64_e32 v[16:17], v[147:148], v[153:154]
	v_fma_f64 v[147:148], v[8:9], v[22:23], v[149:150]
	v_fma_f64 v[22:23], v[6:7], v[22:23], -v[24:25]
	ds_load_b128 v[6:9], v1 offset:1440
	s_wait_loadcnt_dscnt 0x500
	v_mul_f64_e32 v[149:150], v[6:7], v[32:33]
	v_mul_f64_e32 v[32:33], v[8:9], v[32:33]
	v_add_f64_e32 v[18:19], v[14:15], v[18:19]
	v_add_f64_e32 v[24:25], v[16:17], v[151:152]
	scratch_load_b128 v[14:17], off, off offset:240
	v_mul_f64_e32 v[20:21], v[2:3], v[28:29]
	v_mul_f64_e32 v[28:29], v[4:5], v[28:29]
	v_add_f64_e32 v[18:19], v[18:19], v[22:23]
	v_add_f64_e32 v[22:23], v[24:25], v[147:148]
	s_delay_alu instid0(VALU_DEP_4) | instskip(NEXT) | instid1(VALU_DEP_4)
	v_fma_f64 v[20:21], v[4:5], v[26:27], v[20:21]
	v_fma_f64 v[26:27], v[2:3], v[26:27], -v[28:29]
	ds_load_b128 v[2:5], v1 offset:1456
	s_wait_loadcnt_dscnt 0x500
	v_mul_f64_e32 v[24:25], v[2:3], v[40:41]
	v_mul_f64_e32 v[28:29], v[4:5], v[40:41]
	v_fma_f64 v[40:41], v[8:9], v[30:31], v[149:150]
	v_fma_f64 v[30:31], v[6:7], v[30:31], -v[32:33]
	ds_load_b128 v[6:9], v1 offset:1472
	v_add_f64_e32 v[20:21], v[22:23], v[20:21]
	v_add_f64_e32 v[18:19], v[18:19], v[26:27]
	v_fma_f64 v[24:25], v[4:5], v[38:39], v[24:25]
	v_fma_f64 v[28:29], v[2:3], v[38:39], -v[28:29]
	ds_load_b128 v[2:5], v1 offset:1488
	s_wait_loadcnt_dscnt 0x401
	v_mul_f64_e32 v[22:23], v[6:7], v[145:146]
	v_mul_f64_e32 v[26:27], v[8:9], v[145:146]
	v_add_f64_e32 v[20:21], v[20:21], v[40:41]
	v_add_f64_e32 v[18:19], v[18:19], v[30:31]
	s_wait_loadcnt_dscnt 0x300
	v_mul_f64_e32 v[30:31], v[2:3], v[36:37]
	v_mul_f64_e32 v[32:33], v[4:5], v[36:37]
	v_fma_f64 v[22:23], v[8:9], v[143:144], v[22:23]
	v_fma_f64 v[26:27], v[6:7], v[143:144], -v[26:27]
	ds_load_b128 v[6:9], v1 offset:1504
	v_add_f64_e32 v[20:21], v[20:21], v[24:25]
	v_add_f64_e32 v[18:19], v[18:19], v[28:29]
	v_fma_f64 v[30:31], v[4:5], v[34:35], v[30:31]
	v_fma_f64 v[32:33], v[2:3], v[34:35], -v[32:33]
	ds_load_b128 v[2:5], v1 offset:1520
	s_wait_loadcnt_dscnt 0x201
	v_mul_f64_e32 v[24:25], v[6:7], v[141:142]
	v_mul_f64_e32 v[28:29], v[8:9], v[141:142]
	v_add_f64_e32 v[20:21], v[20:21], v[22:23]
	v_add_f64_e32 v[18:19], v[18:19], v[26:27]
	s_wait_loadcnt_dscnt 0x100
	v_mul_f64_e32 v[22:23], v[2:3], v[12:13]
	v_mul_f64_e32 v[12:13], v[4:5], v[12:13]
	v_fma_f64 v[8:9], v[8:9], v[139:140], v[24:25]
	v_fma_f64 v[6:7], v[6:7], v[139:140], -v[28:29]
	v_add_f64_e32 v[20:21], v[20:21], v[30:31]
	v_add_f64_e32 v[18:19], v[18:19], v[32:33]
	v_fma_f64 v[4:5], v[4:5], v[10:11], v[22:23]
	v_fma_f64 v[2:3], v[2:3], v[10:11], -v[12:13]
	s_delay_alu instid0(VALU_DEP_4) | instskip(NEXT) | instid1(VALU_DEP_4)
	v_add_f64_e32 v[8:9], v[20:21], v[8:9]
	v_add_f64_e32 v[6:7], v[18:19], v[6:7]
	s_delay_alu instid0(VALU_DEP_2) | instskip(NEXT) | instid1(VALU_DEP_2)
	v_add_f64_e32 v[4:5], v[8:9], v[4:5]
	v_add_f64_e32 v[2:3], v[6:7], v[2:3]
	s_wait_loadcnt 0x0
	s_delay_alu instid0(VALU_DEP_2) | instskip(NEXT) | instid1(VALU_DEP_2)
	v_add_f64_e64 v[4:5], v[16:17], -v[4:5]
	v_add_f64_e64 v[2:3], v[14:15], -v[2:3]
	scratch_store_b128 off, v[2:5], off offset:240
	v_cmpx_lt_u32_e32 13, v0
	s_cbranch_execz .LBB111_275
; %bb.274:
	scratch_load_b128 v[5:8], off, s48
	v_dual_mov_b32 v2, v1 :: v_dual_mov_b32 v3, v1
	v_mov_b32_e32 v4, v1
	scratch_store_b128 off, v[1:4], off offset:224
	s_wait_loadcnt 0x0
	ds_store_b128 v138, v[5:8]
.LBB111_275:
	s_wait_alu 0xfffe
	s_or_b32 exec_lo, exec_lo, s0
	s_wait_storecnt_dscnt 0x0
	s_barrier_signal -1
	s_barrier_wait -1
	global_inv scope:SCOPE_SE
	s_clause 0x7
	scratch_load_b128 v[2:5], off, off offset:240
	scratch_load_b128 v[6:9], off, off offset:256
	;; [unrolled: 1-line block ×8, first 2 shown]
	ds_load_b128 v[38:41], v1 offset:992
	ds_load_b128 v[139:142], v1 offset:1008
	s_clause 0x1
	scratch_load_b128 v[34:37], off, off offset:368
	scratch_load_b128 v[143:146], off, off offset:384
	s_mov_b32 s0, exec_lo
	s_wait_loadcnt_dscnt 0x901
	v_mul_f64_e32 v[147:148], v[40:41], v[4:5]
	v_mul_f64_e32 v[4:5], v[38:39], v[4:5]
	s_wait_loadcnt_dscnt 0x800
	v_mul_f64_e32 v[149:150], v[139:140], v[8:9]
	v_mul_f64_e32 v[8:9], v[141:142], v[8:9]
	s_delay_alu instid0(VALU_DEP_4) | instskip(NEXT) | instid1(VALU_DEP_4)
	v_fma_f64 v[147:148], v[38:39], v[2:3], -v[147:148]
	v_fma_f64 v[151:152], v[40:41], v[2:3], v[4:5]
	ds_load_b128 v[2:5], v1 offset:1024
	scratch_load_b128 v[38:41], off, off offset:400
	v_fma_f64 v[149:150], v[141:142], v[6:7], v[149:150]
	v_fma_f64 v[155:156], v[139:140], v[6:7], -v[8:9]
	ds_load_b128 v[6:9], v1 offset:1040
	scratch_load_b128 v[139:142], off, off offset:416
	s_wait_loadcnt_dscnt 0x901
	v_mul_f64_e32 v[153:154], v[2:3], v[12:13]
	v_mul_f64_e32 v[12:13], v[4:5], v[12:13]
	s_wait_loadcnt_dscnt 0x800
	v_mul_f64_e32 v[157:158], v[6:7], v[16:17]
	v_mul_f64_e32 v[16:17], v[8:9], v[16:17]
	v_add_f64_e32 v[147:148], 0, v[147:148]
	v_add_f64_e32 v[151:152], 0, v[151:152]
	v_fma_f64 v[153:154], v[4:5], v[10:11], v[153:154]
	v_fma_f64 v[159:160], v[2:3], v[10:11], -v[12:13]
	ds_load_b128 v[2:5], v1 offset:1056
	scratch_load_b128 v[10:13], off, off offset:432
	v_add_f64_e32 v[147:148], v[147:148], v[155:156]
	v_add_f64_e32 v[149:150], v[151:152], v[149:150]
	v_fma_f64 v[155:156], v[8:9], v[14:15], v[157:158]
	v_fma_f64 v[157:158], v[6:7], v[14:15], -v[16:17]
	ds_load_b128 v[6:9], v1 offset:1072
	scratch_load_b128 v[14:17], off, off offset:448
	s_wait_loadcnt_dscnt 0x901
	v_mul_f64_e32 v[151:152], v[2:3], v[20:21]
	v_mul_f64_e32 v[20:21], v[4:5], v[20:21]
	v_add_f64_e32 v[147:148], v[147:148], v[159:160]
	v_add_f64_e32 v[149:150], v[149:150], v[153:154]
	s_wait_loadcnt_dscnt 0x800
	v_mul_f64_e32 v[153:154], v[6:7], v[24:25]
	v_mul_f64_e32 v[24:25], v[8:9], v[24:25]
	v_fma_f64 v[151:152], v[4:5], v[18:19], v[151:152]
	v_fma_f64 v[159:160], v[2:3], v[18:19], -v[20:21]
	ds_load_b128 v[2:5], v1 offset:1088
	scratch_load_b128 v[18:21], off, off offset:464
	v_add_f64_e32 v[147:148], v[147:148], v[157:158]
	v_add_f64_e32 v[149:150], v[149:150], v[155:156]
	v_fma_f64 v[153:154], v[8:9], v[22:23], v[153:154]
	v_fma_f64 v[157:158], v[6:7], v[22:23], -v[24:25]
	ds_load_b128 v[6:9], v1 offset:1104
	s_wait_loadcnt_dscnt 0x801
	v_mul_f64_e32 v[155:156], v[2:3], v[28:29]
	v_mul_f64_e32 v[28:29], v[4:5], v[28:29]
	scratch_load_b128 v[22:25], off, off offset:480
	v_add_f64_e32 v[147:148], v[147:148], v[159:160]
	v_add_f64_e32 v[149:150], v[149:150], v[151:152]
	s_wait_loadcnt_dscnt 0x800
	v_mul_f64_e32 v[151:152], v[6:7], v[32:33]
	v_mul_f64_e32 v[32:33], v[8:9], v[32:33]
	v_fma_f64 v[155:156], v[4:5], v[26:27], v[155:156]
	v_fma_f64 v[159:160], v[2:3], v[26:27], -v[28:29]
	ds_load_b128 v[2:5], v1 offset:1120
	scratch_load_b128 v[26:29], off, off offset:496
	v_add_f64_e32 v[147:148], v[147:148], v[157:158]
	v_add_f64_e32 v[149:150], v[149:150], v[153:154]
	v_fma_f64 v[151:152], v[8:9], v[30:31], v[151:152]
	v_fma_f64 v[157:158], v[6:7], v[30:31], -v[32:33]
	ds_load_b128 v[6:9], v1 offset:1136
	s_wait_loadcnt_dscnt 0x801
	v_mul_f64_e32 v[153:154], v[2:3], v[36:37]
	v_mul_f64_e32 v[36:37], v[4:5], v[36:37]
	scratch_load_b128 v[30:33], off, off offset:512
	v_add_f64_e32 v[147:148], v[147:148], v[159:160]
	v_add_f64_e32 v[149:150], v[149:150], v[155:156]
	s_wait_loadcnt_dscnt 0x800
	v_mul_f64_e32 v[155:156], v[6:7], v[145:146]
	v_mul_f64_e32 v[145:146], v[8:9], v[145:146]
	v_fma_f64 v[153:154], v[4:5], v[34:35], v[153:154]
	v_fma_f64 v[159:160], v[2:3], v[34:35], -v[36:37]
	ds_load_b128 v[2:5], v1 offset:1152
	scratch_load_b128 v[34:37], off, off offset:528
	v_add_f64_e32 v[147:148], v[147:148], v[157:158]
	v_add_f64_e32 v[149:150], v[149:150], v[151:152]
	v_fma_f64 v[155:156], v[8:9], v[143:144], v[155:156]
	v_fma_f64 v[157:158], v[6:7], v[143:144], -v[145:146]
	ds_load_b128 v[6:9], v1 offset:1168
	scratch_load_b128 v[143:146], off, off offset:544
	s_wait_loadcnt_dscnt 0x901
	v_mul_f64_e32 v[151:152], v[2:3], v[40:41]
	v_mul_f64_e32 v[40:41], v[4:5], v[40:41]
	v_add_f64_e32 v[147:148], v[147:148], v[159:160]
	v_add_f64_e32 v[149:150], v[149:150], v[153:154]
	s_wait_loadcnt_dscnt 0x800
	v_mul_f64_e32 v[153:154], v[6:7], v[141:142]
	v_mul_f64_e32 v[141:142], v[8:9], v[141:142]
	v_fma_f64 v[151:152], v[4:5], v[38:39], v[151:152]
	v_fma_f64 v[159:160], v[2:3], v[38:39], -v[40:41]
	ds_load_b128 v[2:5], v1 offset:1184
	scratch_load_b128 v[38:41], off, off offset:560
	v_add_f64_e32 v[147:148], v[147:148], v[157:158]
	v_add_f64_e32 v[149:150], v[149:150], v[155:156]
	v_fma_f64 v[153:154], v[8:9], v[139:140], v[153:154]
	v_fma_f64 v[157:158], v[6:7], v[139:140], -v[141:142]
	ds_load_b128 v[6:9], v1 offset:1200
	s_wait_loadcnt_dscnt 0x801
	v_mul_f64_e32 v[155:156], v[2:3], v[12:13]
	v_mul_f64_e32 v[12:13], v[4:5], v[12:13]
	scratch_load_b128 v[139:142], off, off offset:576
	v_add_f64_e32 v[147:148], v[147:148], v[159:160]
	v_add_f64_e32 v[149:150], v[149:150], v[151:152]
	s_wait_loadcnt_dscnt 0x800
	v_mul_f64_e32 v[151:152], v[6:7], v[16:17]
	v_mul_f64_e32 v[16:17], v[8:9], v[16:17]
	v_fma_f64 v[155:156], v[4:5], v[10:11], v[155:156]
	v_fma_f64 v[159:160], v[2:3], v[10:11], -v[12:13]
	ds_load_b128 v[2:5], v1 offset:1216
	scratch_load_b128 v[10:13], off, off offset:592
	v_add_f64_e32 v[147:148], v[147:148], v[157:158]
	v_add_f64_e32 v[149:150], v[149:150], v[153:154]
	v_fma_f64 v[151:152], v[8:9], v[14:15], v[151:152]
	v_fma_f64 v[157:158], v[6:7], v[14:15], -v[16:17]
	ds_load_b128 v[6:9], v1 offset:1232
	s_wait_loadcnt_dscnt 0x801
	v_mul_f64_e32 v[153:154], v[2:3], v[20:21]
	v_mul_f64_e32 v[20:21], v[4:5], v[20:21]
	scratch_load_b128 v[14:17], off, off offset:608
	;; [unrolled: 18-line block ×7, first 2 shown]
	v_add_f64_e32 v[147:148], v[147:148], v[159:160]
	v_add_f64_e32 v[149:150], v[149:150], v[151:152]
	s_wait_loadcnt_dscnt 0x800
	v_mul_f64_e32 v[151:152], v[6:7], v[24:25]
	v_mul_f64_e32 v[24:25], v[8:9], v[24:25]
	v_fma_f64 v[155:156], v[4:5], v[18:19], v[155:156]
	v_fma_f64 v[18:19], v[2:3], v[18:19], -v[20:21]
	ds_load_b128 v[2:5], v1 offset:1408
	v_add_f64_e32 v[20:21], v[147:148], v[157:158]
	v_add_f64_e32 v[147:148], v[149:150], v[153:154]
	v_fma_f64 v[151:152], v[8:9], v[22:23], v[151:152]
	v_fma_f64 v[22:23], v[6:7], v[22:23], -v[24:25]
	ds_load_b128 v[6:9], v1 offset:1424
	s_wait_loadcnt_dscnt 0x701
	v_mul_f64_e32 v[149:150], v[2:3], v[28:29]
	v_mul_f64_e32 v[28:29], v[4:5], v[28:29]
	v_add_f64_e32 v[18:19], v[20:21], v[18:19]
	v_add_f64_e32 v[20:21], v[147:148], v[155:156]
	s_delay_alu instid0(VALU_DEP_4) | instskip(NEXT) | instid1(VALU_DEP_4)
	v_fma_f64 v[147:148], v[4:5], v[26:27], v[149:150]
	v_fma_f64 v[26:27], v[2:3], v[26:27], -v[28:29]
	ds_load_b128 v[2:5], v1 offset:1440
	v_add_f64_e32 v[22:23], v[18:19], v[22:23]
	v_add_f64_e32 v[28:29], v[20:21], v[151:152]
	scratch_load_b128 v[18:21], off, off offset:224
	s_wait_loadcnt_dscnt 0x701
	v_mul_f64_e32 v[24:25], v[6:7], v[32:33]
	v_mul_f64_e32 v[32:33], v[8:9], v[32:33]
	v_add_f64_e32 v[22:23], v[22:23], v[26:27]
	v_add_f64_e32 v[26:27], v[28:29], v[147:148]
	s_delay_alu instid0(VALU_DEP_4) | instskip(NEXT) | instid1(VALU_DEP_4)
	v_fma_f64 v[24:25], v[8:9], v[30:31], v[24:25]
	v_fma_f64 v[30:31], v[6:7], v[30:31], -v[32:33]
	ds_load_b128 v[6:9], v1 offset:1456
	s_wait_loadcnt_dscnt 0x601
	v_mul_f64_e32 v[149:150], v[2:3], v[36:37]
	v_mul_f64_e32 v[36:37], v[4:5], v[36:37]
	s_wait_loadcnt_dscnt 0x500
	v_mul_f64_e32 v[28:29], v[6:7], v[145:146]
	v_mul_f64_e32 v[32:33], v[8:9], v[145:146]
	v_add_f64_e32 v[24:25], v[26:27], v[24:25]
	v_add_f64_e32 v[22:23], v[22:23], v[30:31]
	v_fma_f64 v[145:146], v[4:5], v[34:35], v[149:150]
	v_fma_f64 v[34:35], v[2:3], v[34:35], -v[36:37]
	ds_load_b128 v[2:5], v1 offset:1472
	v_fma_f64 v[28:29], v[8:9], v[143:144], v[28:29]
	v_fma_f64 v[32:33], v[6:7], v[143:144], -v[32:33]
	ds_load_b128 v[6:9], v1 offset:1488
	s_wait_loadcnt_dscnt 0x401
	v_mul_f64_e32 v[26:27], v[2:3], v[40:41]
	v_mul_f64_e32 v[30:31], v[4:5], v[40:41]
	v_add_f64_e32 v[24:25], v[24:25], v[145:146]
	v_add_f64_e32 v[22:23], v[22:23], v[34:35]
	s_wait_loadcnt_dscnt 0x300
	v_mul_f64_e32 v[34:35], v[6:7], v[141:142]
	v_mul_f64_e32 v[36:37], v[8:9], v[141:142]
	v_fma_f64 v[26:27], v[4:5], v[38:39], v[26:27]
	v_fma_f64 v[30:31], v[2:3], v[38:39], -v[30:31]
	ds_load_b128 v[2:5], v1 offset:1504
	v_add_f64_e32 v[24:25], v[24:25], v[28:29]
	v_add_f64_e32 v[22:23], v[22:23], v[32:33]
	v_fma_f64 v[32:33], v[8:9], v[139:140], v[34:35]
	v_fma_f64 v[34:35], v[6:7], v[139:140], -v[36:37]
	ds_load_b128 v[6:9], v1 offset:1520
	s_wait_loadcnt_dscnt 0x201
	v_mul_f64_e32 v[28:29], v[2:3], v[12:13]
	v_mul_f64_e32 v[12:13], v[4:5], v[12:13]
	v_add_f64_e32 v[24:25], v[24:25], v[26:27]
	v_add_f64_e32 v[22:23], v[22:23], v[30:31]
	s_wait_loadcnt_dscnt 0x100
	v_mul_f64_e32 v[26:27], v[6:7], v[16:17]
	v_mul_f64_e32 v[16:17], v[8:9], v[16:17]
	v_fma_f64 v[4:5], v[4:5], v[10:11], v[28:29]
	v_fma_f64 v[1:2], v[2:3], v[10:11], -v[12:13]
	v_add_f64_e32 v[12:13], v[24:25], v[32:33]
	v_add_f64_e32 v[10:11], v[22:23], v[34:35]
	v_fma_f64 v[8:9], v[8:9], v[14:15], v[26:27]
	v_fma_f64 v[6:7], v[6:7], v[14:15], -v[16:17]
	s_delay_alu instid0(VALU_DEP_4) | instskip(NEXT) | instid1(VALU_DEP_4)
	v_add_f64_e32 v[3:4], v[12:13], v[4:5]
	v_add_f64_e32 v[1:2], v[10:11], v[1:2]
	s_delay_alu instid0(VALU_DEP_2) | instskip(NEXT) | instid1(VALU_DEP_2)
	v_add_f64_e32 v[3:4], v[3:4], v[8:9]
	v_add_f64_e32 v[1:2], v[1:2], v[6:7]
	s_wait_loadcnt 0x0
	s_delay_alu instid0(VALU_DEP_2) | instskip(NEXT) | instid1(VALU_DEP_2)
	v_add_f64_e64 v[3:4], v[20:21], -v[3:4]
	v_add_f64_e64 v[1:2], v[18:19], -v[1:2]
	scratch_store_b128 off, v[1:4], off offset:224
	v_cmpx_lt_u32_e32 12, v0
	s_cbranch_execz .LBB111_277
; %bb.276:
	scratch_load_b128 v[1:4], off, s49
	v_mov_b32_e32 v5, 0
	s_delay_alu instid0(VALU_DEP_1)
	v_dual_mov_b32 v6, v5 :: v_dual_mov_b32 v7, v5
	v_mov_b32_e32 v8, v5
	scratch_store_b128 off, v[5:8], off offset:208
	s_wait_loadcnt 0x0
	ds_store_b128 v138, v[1:4]
.LBB111_277:
	s_wait_alu 0xfffe
	s_or_b32 exec_lo, exec_lo, s0
	s_wait_storecnt_dscnt 0x0
	s_barrier_signal -1
	s_barrier_wait -1
	global_inv scope:SCOPE_SE
	s_clause 0x7
	scratch_load_b128 v[2:5], off, off offset:224
	scratch_load_b128 v[6:9], off, off offset:240
	;; [unrolled: 1-line block ×8, first 2 shown]
	v_mov_b32_e32 v1, 0
	s_clause 0x1
	scratch_load_b128 v[34:37], off, off offset:352
	scratch_load_b128 v[143:146], off, off offset:368
	s_mov_b32 s0, exec_lo
	ds_load_b128 v[38:41], v1 offset:976
	ds_load_b128 v[139:142], v1 offset:992
	s_wait_loadcnt_dscnt 0x901
	v_mul_f64_e32 v[147:148], v[40:41], v[4:5]
	v_mul_f64_e32 v[4:5], v[38:39], v[4:5]
	s_wait_loadcnt_dscnt 0x800
	v_mul_f64_e32 v[149:150], v[139:140], v[8:9]
	v_mul_f64_e32 v[8:9], v[141:142], v[8:9]
	s_delay_alu instid0(VALU_DEP_4) | instskip(NEXT) | instid1(VALU_DEP_4)
	v_fma_f64 v[147:148], v[38:39], v[2:3], -v[147:148]
	v_fma_f64 v[151:152], v[40:41], v[2:3], v[4:5]
	ds_load_b128 v[2:5], v1 offset:1008
	scratch_load_b128 v[38:41], off, off offset:384
	v_fma_f64 v[149:150], v[141:142], v[6:7], v[149:150]
	v_fma_f64 v[155:156], v[139:140], v[6:7], -v[8:9]
	ds_load_b128 v[6:9], v1 offset:1024
	scratch_load_b128 v[139:142], off, off offset:400
	s_wait_loadcnt_dscnt 0x901
	v_mul_f64_e32 v[153:154], v[2:3], v[12:13]
	v_mul_f64_e32 v[12:13], v[4:5], v[12:13]
	s_wait_loadcnt_dscnt 0x800
	v_mul_f64_e32 v[157:158], v[6:7], v[16:17]
	v_mul_f64_e32 v[16:17], v[8:9], v[16:17]
	v_add_f64_e32 v[147:148], 0, v[147:148]
	v_add_f64_e32 v[151:152], 0, v[151:152]
	v_fma_f64 v[153:154], v[4:5], v[10:11], v[153:154]
	v_fma_f64 v[159:160], v[2:3], v[10:11], -v[12:13]
	ds_load_b128 v[2:5], v1 offset:1040
	scratch_load_b128 v[10:13], off, off offset:416
	v_add_f64_e32 v[147:148], v[147:148], v[155:156]
	v_add_f64_e32 v[149:150], v[151:152], v[149:150]
	v_fma_f64 v[155:156], v[8:9], v[14:15], v[157:158]
	v_fma_f64 v[157:158], v[6:7], v[14:15], -v[16:17]
	ds_load_b128 v[6:9], v1 offset:1056
	scratch_load_b128 v[14:17], off, off offset:432
	s_wait_loadcnt_dscnt 0x901
	v_mul_f64_e32 v[151:152], v[2:3], v[20:21]
	v_mul_f64_e32 v[20:21], v[4:5], v[20:21]
	v_add_f64_e32 v[147:148], v[147:148], v[159:160]
	v_add_f64_e32 v[149:150], v[149:150], v[153:154]
	s_wait_loadcnt_dscnt 0x800
	v_mul_f64_e32 v[153:154], v[6:7], v[24:25]
	v_mul_f64_e32 v[24:25], v[8:9], v[24:25]
	v_fma_f64 v[151:152], v[4:5], v[18:19], v[151:152]
	v_fma_f64 v[159:160], v[2:3], v[18:19], -v[20:21]
	ds_load_b128 v[2:5], v1 offset:1072
	scratch_load_b128 v[18:21], off, off offset:448
	v_add_f64_e32 v[147:148], v[147:148], v[157:158]
	v_add_f64_e32 v[149:150], v[149:150], v[155:156]
	v_fma_f64 v[153:154], v[8:9], v[22:23], v[153:154]
	v_fma_f64 v[157:158], v[6:7], v[22:23], -v[24:25]
	ds_load_b128 v[6:9], v1 offset:1088
	s_wait_loadcnt_dscnt 0x801
	v_mul_f64_e32 v[155:156], v[2:3], v[28:29]
	v_mul_f64_e32 v[28:29], v[4:5], v[28:29]
	scratch_load_b128 v[22:25], off, off offset:464
	v_add_f64_e32 v[147:148], v[147:148], v[159:160]
	v_add_f64_e32 v[149:150], v[149:150], v[151:152]
	s_wait_loadcnt_dscnt 0x800
	v_mul_f64_e32 v[151:152], v[6:7], v[32:33]
	v_mul_f64_e32 v[32:33], v[8:9], v[32:33]
	v_fma_f64 v[155:156], v[4:5], v[26:27], v[155:156]
	v_fma_f64 v[159:160], v[2:3], v[26:27], -v[28:29]
	ds_load_b128 v[2:5], v1 offset:1104
	scratch_load_b128 v[26:29], off, off offset:480
	v_add_f64_e32 v[147:148], v[147:148], v[157:158]
	v_add_f64_e32 v[149:150], v[149:150], v[153:154]
	v_fma_f64 v[151:152], v[8:9], v[30:31], v[151:152]
	v_fma_f64 v[157:158], v[6:7], v[30:31], -v[32:33]
	ds_load_b128 v[6:9], v1 offset:1120
	s_wait_loadcnt_dscnt 0x801
	v_mul_f64_e32 v[153:154], v[2:3], v[36:37]
	v_mul_f64_e32 v[36:37], v[4:5], v[36:37]
	scratch_load_b128 v[30:33], off, off offset:496
	v_add_f64_e32 v[147:148], v[147:148], v[159:160]
	v_add_f64_e32 v[149:150], v[149:150], v[155:156]
	s_wait_loadcnt_dscnt 0x800
	v_mul_f64_e32 v[155:156], v[6:7], v[145:146]
	v_mul_f64_e32 v[145:146], v[8:9], v[145:146]
	v_fma_f64 v[153:154], v[4:5], v[34:35], v[153:154]
	v_fma_f64 v[159:160], v[2:3], v[34:35], -v[36:37]
	ds_load_b128 v[2:5], v1 offset:1136
	scratch_load_b128 v[34:37], off, off offset:512
	v_add_f64_e32 v[147:148], v[147:148], v[157:158]
	v_add_f64_e32 v[149:150], v[149:150], v[151:152]
	v_fma_f64 v[155:156], v[8:9], v[143:144], v[155:156]
	v_fma_f64 v[157:158], v[6:7], v[143:144], -v[145:146]
	ds_load_b128 v[6:9], v1 offset:1152
	scratch_load_b128 v[143:146], off, off offset:528
	s_wait_loadcnt_dscnt 0x901
	v_mul_f64_e32 v[151:152], v[2:3], v[40:41]
	v_mul_f64_e32 v[40:41], v[4:5], v[40:41]
	v_add_f64_e32 v[147:148], v[147:148], v[159:160]
	v_add_f64_e32 v[149:150], v[149:150], v[153:154]
	s_wait_loadcnt_dscnt 0x800
	v_mul_f64_e32 v[153:154], v[6:7], v[141:142]
	v_mul_f64_e32 v[141:142], v[8:9], v[141:142]
	v_fma_f64 v[151:152], v[4:5], v[38:39], v[151:152]
	v_fma_f64 v[159:160], v[2:3], v[38:39], -v[40:41]
	ds_load_b128 v[2:5], v1 offset:1168
	scratch_load_b128 v[38:41], off, off offset:544
	v_add_f64_e32 v[147:148], v[147:148], v[157:158]
	v_add_f64_e32 v[149:150], v[149:150], v[155:156]
	v_fma_f64 v[153:154], v[8:9], v[139:140], v[153:154]
	v_fma_f64 v[157:158], v[6:7], v[139:140], -v[141:142]
	ds_load_b128 v[6:9], v1 offset:1184
	s_wait_loadcnt_dscnt 0x801
	v_mul_f64_e32 v[155:156], v[2:3], v[12:13]
	v_mul_f64_e32 v[12:13], v[4:5], v[12:13]
	scratch_load_b128 v[139:142], off, off offset:560
	v_add_f64_e32 v[147:148], v[147:148], v[159:160]
	v_add_f64_e32 v[149:150], v[149:150], v[151:152]
	s_wait_loadcnt_dscnt 0x800
	v_mul_f64_e32 v[151:152], v[6:7], v[16:17]
	v_mul_f64_e32 v[16:17], v[8:9], v[16:17]
	v_fma_f64 v[155:156], v[4:5], v[10:11], v[155:156]
	v_fma_f64 v[159:160], v[2:3], v[10:11], -v[12:13]
	ds_load_b128 v[2:5], v1 offset:1200
	scratch_load_b128 v[10:13], off, off offset:576
	v_add_f64_e32 v[147:148], v[147:148], v[157:158]
	v_add_f64_e32 v[149:150], v[149:150], v[153:154]
	v_fma_f64 v[151:152], v[8:9], v[14:15], v[151:152]
	v_fma_f64 v[157:158], v[6:7], v[14:15], -v[16:17]
	ds_load_b128 v[6:9], v1 offset:1216
	s_wait_loadcnt_dscnt 0x801
	v_mul_f64_e32 v[153:154], v[2:3], v[20:21]
	v_mul_f64_e32 v[20:21], v[4:5], v[20:21]
	scratch_load_b128 v[14:17], off, off offset:592
	v_add_f64_e32 v[147:148], v[147:148], v[159:160]
	v_add_f64_e32 v[149:150], v[149:150], v[155:156]
	s_wait_loadcnt_dscnt 0x800
	v_mul_f64_e32 v[155:156], v[6:7], v[24:25]
	v_mul_f64_e32 v[24:25], v[8:9], v[24:25]
	v_fma_f64 v[153:154], v[4:5], v[18:19], v[153:154]
	v_fma_f64 v[159:160], v[2:3], v[18:19], -v[20:21]
	ds_load_b128 v[2:5], v1 offset:1232
	scratch_load_b128 v[18:21], off, off offset:608
	v_add_f64_e32 v[147:148], v[147:148], v[157:158]
	v_add_f64_e32 v[149:150], v[149:150], v[151:152]
	v_fma_f64 v[155:156], v[8:9], v[22:23], v[155:156]
	v_fma_f64 v[157:158], v[6:7], v[22:23], -v[24:25]
	ds_load_b128 v[6:9], v1 offset:1248
	s_wait_loadcnt_dscnt 0x801
	v_mul_f64_e32 v[151:152], v[2:3], v[28:29]
	v_mul_f64_e32 v[28:29], v[4:5], v[28:29]
	scratch_load_b128 v[22:25], off, off offset:624
	v_add_f64_e32 v[147:148], v[147:148], v[159:160]
	v_add_f64_e32 v[149:150], v[149:150], v[153:154]
	s_wait_loadcnt_dscnt 0x800
	v_mul_f64_e32 v[153:154], v[6:7], v[32:33]
	v_mul_f64_e32 v[32:33], v[8:9], v[32:33]
	v_fma_f64 v[151:152], v[4:5], v[26:27], v[151:152]
	v_fma_f64 v[159:160], v[2:3], v[26:27], -v[28:29]
	ds_load_b128 v[2:5], v1 offset:1264
	scratch_load_b128 v[26:29], off, off offset:640
	v_add_f64_e32 v[147:148], v[147:148], v[157:158]
	v_add_f64_e32 v[149:150], v[149:150], v[155:156]
	v_fma_f64 v[153:154], v[8:9], v[30:31], v[153:154]
	v_fma_f64 v[157:158], v[6:7], v[30:31], -v[32:33]
	ds_load_b128 v[6:9], v1 offset:1280
	s_wait_loadcnt_dscnt 0x801
	v_mul_f64_e32 v[155:156], v[2:3], v[36:37]
	v_mul_f64_e32 v[36:37], v[4:5], v[36:37]
	scratch_load_b128 v[30:33], off, off offset:656
	v_add_f64_e32 v[147:148], v[147:148], v[159:160]
	v_add_f64_e32 v[149:150], v[149:150], v[151:152]
	s_wait_loadcnt_dscnt 0x800
	v_mul_f64_e32 v[151:152], v[6:7], v[145:146]
	v_mul_f64_e32 v[145:146], v[8:9], v[145:146]
	v_fma_f64 v[155:156], v[4:5], v[34:35], v[155:156]
	v_fma_f64 v[159:160], v[2:3], v[34:35], -v[36:37]
	ds_load_b128 v[2:5], v1 offset:1296
	scratch_load_b128 v[34:37], off, off offset:672
	v_add_f64_e32 v[147:148], v[147:148], v[157:158]
	v_add_f64_e32 v[149:150], v[149:150], v[153:154]
	v_fma_f64 v[151:152], v[8:9], v[143:144], v[151:152]
	v_fma_f64 v[157:158], v[6:7], v[143:144], -v[145:146]
	ds_load_b128 v[6:9], v1 offset:1312
	s_wait_loadcnt_dscnt 0x801
	v_mul_f64_e32 v[153:154], v[2:3], v[40:41]
	v_mul_f64_e32 v[40:41], v[4:5], v[40:41]
	scratch_load_b128 v[143:146], off, off offset:688
	v_add_f64_e32 v[147:148], v[147:148], v[159:160]
	v_add_f64_e32 v[149:150], v[149:150], v[155:156]
	s_wait_loadcnt_dscnt 0x800
	v_mul_f64_e32 v[155:156], v[6:7], v[141:142]
	v_mul_f64_e32 v[141:142], v[8:9], v[141:142]
	v_fma_f64 v[153:154], v[4:5], v[38:39], v[153:154]
	v_fma_f64 v[159:160], v[2:3], v[38:39], -v[40:41]
	ds_load_b128 v[2:5], v1 offset:1328
	scratch_load_b128 v[38:41], off, off offset:704
	v_add_f64_e32 v[147:148], v[147:148], v[157:158]
	v_add_f64_e32 v[149:150], v[149:150], v[151:152]
	v_fma_f64 v[155:156], v[8:9], v[139:140], v[155:156]
	v_fma_f64 v[157:158], v[6:7], v[139:140], -v[141:142]
	ds_load_b128 v[6:9], v1 offset:1344
	s_wait_loadcnt_dscnt 0x801
	v_mul_f64_e32 v[151:152], v[2:3], v[12:13]
	v_mul_f64_e32 v[12:13], v[4:5], v[12:13]
	scratch_load_b128 v[139:142], off, off offset:720
	v_add_f64_e32 v[147:148], v[147:148], v[159:160]
	v_add_f64_e32 v[149:150], v[149:150], v[153:154]
	s_wait_loadcnt_dscnt 0x800
	v_mul_f64_e32 v[153:154], v[6:7], v[16:17]
	v_mul_f64_e32 v[16:17], v[8:9], v[16:17]
	v_fma_f64 v[151:152], v[4:5], v[10:11], v[151:152]
	v_fma_f64 v[159:160], v[2:3], v[10:11], -v[12:13]
	ds_load_b128 v[2:5], v1 offset:1360
	scratch_load_b128 v[10:13], off, off offset:736
	v_add_f64_e32 v[147:148], v[147:148], v[157:158]
	v_add_f64_e32 v[149:150], v[149:150], v[155:156]
	v_fma_f64 v[153:154], v[8:9], v[14:15], v[153:154]
	v_fma_f64 v[157:158], v[6:7], v[14:15], -v[16:17]
	ds_load_b128 v[6:9], v1 offset:1376
	s_wait_loadcnt_dscnt 0x801
	v_mul_f64_e32 v[155:156], v[2:3], v[20:21]
	v_mul_f64_e32 v[20:21], v[4:5], v[20:21]
	scratch_load_b128 v[14:17], off, off offset:752
	v_add_f64_e32 v[147:148], v[147:148], v[159:160]
	v_add_f64_e32 v[149:150], v[149:150], v[151:152]
	s_wait_loadcnt_dscnt 0x800
	v_mul_f64_e32 v[151:152], v[6:7], v[24:25]
	v_mul_f64_e32 v[24:25], v[8:9], v[24:25]
	v_fma_f64 v[155:156], v[4:5], v[18:19], v[155:156]
	v_fma_f64 v[159:160], v[2:3], v[18:19], -v[20:21]
	ds_load_b128 v[2:5], v1 offset:1392
	scratch_load_b128 v[18:21], off, off offset:768
	v_add_f64_e32 v[147:148], v[147:148], v[157:158]
	v_add_f64_e32 v[149:150], v[149:150], v[153:154]
	v_fma_f64 v[151:152], v[8:9], v[22:23], v[151:152]
	v_fma_f64 v[22:23], v[6:7], v[22:23], -v[24:25]
	ds_load_b128 v[6:9], v1 offset:1408
	s_wait_loadcnt_dscnt 0x801
	v_mul_f64_e32 v[153:154], v[2:3], v[28:29]
	v_mul_f64_e32 v[28:29], v[4:5], v[28:29]
	v_add_f64_e32 v[24:25], v[147:148], v[159:160]
	v_add_f64_e32 v[147:148], v[149:150], v[155:156]
	s_wait_loadcnt_dscnt 0x700
	v_mul_f64_e32 v[149:150], v[6:7], v[32:33]
	v_mul_f64_e32 v[32:33], v[8:9], v[32:33]
	v_fma_f64 v[153:154], v[4:5], v[26:27], v[153:154]
	v_fma_f64 v[26:27], v[2:3], v[26:27], -v[28:29]
	ds_load_b128 v[2:5], v1 offset:1424
	v_add_f64_e32 v[22:23], v[24:25], v[22:23]
	v_add_f64_e32 v[24:25], v[147:148], v[151:152]
	v_fma_f64 v[147:148], v[8:9], v[30:31], v[149:150]
	v_fma_f64 v[30:31], v[6:7], v[30:31], -v[32:33]
	ds_load_b128 v[6:9], v1 offset:1440
	s_wait_loadcnt_dscnt 0x500
	v_mul_f64_e32 v[149:150], v[6:7], v[145:146]
	v_mul_f64_e32 v[145:146], v[8:9], v[145:146]
	v_add_f64_e32 v[26:27], v[22:23], v[26:27]
	v_add_f64_e32 v[32:33], v[24:25], v[153:154]
	scratch_load_b128 v[22:25], off, off offset:208
	v_mul_f64_e32 v[28:29], v[2:3], v[36:37]
	v_mul_f64_e32 v[36:37], v[4:5], v[36:37]
	v_add_f64_e32 v[26:27], v[26:27], v[30:31]
	v_add_f64_e32 v[30:31], v[32:33], v[147:148]
	s_delay_alu instid0(VALU_DEP_4) | instskip(NEXT) | instid1(VALU_DEP_4)
	v_fma_f64 v[28:29], v[4:5], v[34:35], v[28:29]
	v_fma_f64 v[34:35], v[2:3], v[34:35], -v[36:37]
	ds_load_b128 v[2:5], v1 offset:1456
	s_wait_loadcnt_dscnt 0x500
	v_mul_f64_e32 v[32:33], v[2:3], v[40:41]
	v_mul_f64_e32 v[36:37], v[4:5], v[40:41]
	v_fma_f64 v[40:41], v[8:9], v[143:144], v[149:150]
	v_fma_f64 v[143:144], v[6:7], v[143:144], -v[145:146]
	ds_load_b128 v[6:9], v1 offset:1472
	v_add_f64_e32 v[28:29], v[30:31], v[28:29]
	v_add_f64_e32 v[26:27], v[26:27], v[34:35]
	v_fma_f64 v[32:33], v[4:5], v[38:39], v[32:33]
	v_fma_f64 v[36:37], v[2:3], v[38:39], -v[36:37]
	ds_load_b128 v[2:5], v1 offset:1488
	s_wait_loadcnt_dscnt 0x401
	v_mul_f64_e32 v[30:31], v[6:7], v[141:142]
	v_mul_f64_e32 v[34:35], v[8:9], v[141:142]
	v_add_f64_e32 v[28:29], v[28:29], v[40:41]
	v_add_f64_e32 v[26:27], v[26:27], v[143:144]
	s_wait_loadcnt_dscnt 0x300
	v_mul_f64_e32 v[38:39], v[2:3], v[12:13]
	v_mul_f64_e32 v[12:13], v[4:5], v[12:13]
	v_fma_f64 v[30:31], v[8:9], v[139:140], v[30:31]
	v_fma_f64 v[34:35], v[6:7], v[139:140], -v[34:35]
	ds_load_b128 v[6:9], v1 offset:1504
	v_add_f64_e32 v[28:29], v[28:29], v[32:33]
	v_add_f64_e32 v[26:27], v[26:27], v[36:37]
	v_fma_f64 v[36:37], v[4:5], v[10:11], v[38:39]
	v_fma_f64 v[10:11], v[2:3], v[10:11], -v[12:13]
	ds_load_b128 v[2:5], v1 offset:1520
	s_wait_loadcnt_dscnt 0x201
	v_mul_f64_e32 v[32:33], v[6:7], v[16:17]
	v_mul_f64_e32 v[16:17], v[8:9], v[16:17]
	v_add_f64_e32 v[12:13], v[26:27], v[34:35]
	v_add_f64_e32 v[26:27], v[28:29], v[30:31]
	s_wait_loadcnt_dscnt 0x100
	v_mul_f64_e32 v[28:29], v[2:3], v[20:21]
	v_mul_f64_e32 v[20:21], v[4:5], v[20:21]
	v_fma_f64 v[8:9], v[8:9], v[14:15], v[32:33]
	v_fma_f64 v[6:7], v[6:7], v[14:15], -v[16:17]
	v_add_f64_e32 v[10:11], v[12:13], v[10:11]
	v_add_f64_e32 v[12:13], v[26:27], v[36:37]
	v_fma_f64 v[4:5], v[4:5], v[18:19], v[28:29]
	v_fma_f64 v[2:3], v[2:3], v[18:19], -v[20:21]
	s_delay_alu instid0(VALU_DEP_4) | instskip(NEXT) | instid1(VALU_DEP_4)
	v_add_f64_e32 v[6:7], v[10:11], v[6:7]
	v_add_f64_e32 v[8:9], v[12:13], v[8:9]
	s_delay_alu instid0(VALU_DEP_2) | instskip(NEXT) | instid1(VALU_DEP_2)
	v_add_f64_e32 v[2:3], v[6:7], v[2:3]
	v_add_f64_e32 v[4:5], v[8:9], v[4:5]
	s_wait_loadcnt 0x0
	s_delay_alu instid0(VALU_DEP_2) | instskip(NEXT) | instid1(VALU_DEP_2)
	v_add_f64_e64 v[2:3], v[22:23], -v[2:3]
	v_add_f64_e64 v[4:5], v[24:25], -v[4:5]
	scratch_store_b128 off, v[2:5], off offset:208
	v_cmpx_lt_u32_e32 11, v0
	s_cbranch_execz .LBB111_279
; %bb.278:
	scratch_load_b128 v[5:8], off, s50
	v_dual_mov_b32 v2, v1 :: v_dual_mov_b32 v3, v1
	v_mov_b32_e32 v4, v1
	scratch_store_b128 off, v[1:4], off offset:192
	s_wait_loadcnt 0x0
	ds_store_b128 v138, v[5:8]
.LBB111_279:
	s_wait_alu 0xfffe
	s_or_b32 exec_lo, exec_lo, s0
	s_wait_storecnt_dscnt 0x0
	s_barrier_signal -1
	s_barrier_wait -1
	global_inv scope:SCOPE_SE
	s_clause 0x7
	scratch_load_b128 v[2:5], off, off offset:208
	scratch_load_b128 v[6:9], off, off offset:224
	;; [unrolled: 1-line block ×8, first 2 shown]
	ds_load_b128 v[38:41], v1 offset:960
	ds_load_b128 v[139:142], v1 offset:976
	s_clause 0x1
	scratch_load_b128 v[34:37], off, off offset:336
	scratch_load_b128 v[143:146], off, off offset:352
	s_mov_b32 s0, exec_lo
	s_wait_loadcnt_dscnt 0x901
	v_mul_f64_e32 v[147:148], v[40:41], v[4:5]
	v_mul_f64_e32 v[4:5], v[38:39], v[4:5]
	s_wait_loadcnt_dscnt 0x800
	v_mul_f64_e32 v[149:150], v[139:140], v[8:9]
	v_mul_f64_e32 v[8:9], v[141:142], v[8:9]
	s_delay_alu instid0(VALU_DEP_4) | instskip(NEXT) | instid1(VALU_DEP_4)
	v_fma_f64 v[147:148], v[38:39], v[2:3], -v[147:148]
	v_fma_f64 v[151:152], v[40:41], v[2:3], v[4:5]
	ds_load_b128 v[2:5], v1 offset:992
	scratch_load_b128 v[38:41], off, off offset:368
	v_fma_f64 v[149:150], v[141:142], v[6:7], v[149:150]
	v_fma_f64 v[155:156], v[139:140], v[6:7], -v[8:9]
	ds_load_b128 v[6:9], v1 offset:1008
	scratch_load_b128 v[139:142], off, off offset:384
	s_wait_loadcnt_dscnt 0x901
	v_mul_f64_e32 v[153:154], v[2:3], v[12:13]
	v_mul_f64_e32 v[12:13], v[4:5], v[12:13]
	s_wait_loadcnt_dscnt 0x800
	v_mul_f64_e32 v[157:158], v[6:7], v[16:17]
	v_mul_f64_e32 v[16:17], v[8:9], v[16:17]
	v_add_f64_e32 v[147:148], 0, v[147:148]
	v_add_f64_e32 v[151:152], 0, v[151:152]
	v_fma_f64 v[153:154], v[4:5], v[10:11], v[153:154]
	v_fma_f64 v[159:160], v[2:3], v[10:11], -v[12:13]
	ds_load_b128 v[2:5], v1 offset:1024
	scratch_load_b128 v[10:13], off, off offset:400
	v_add_f64_e32 v[147:148], v[147:148], v[155:156]
	v_add_f64_e32 v[149:150], v[151:152], v[149:150]
	v_fma_f64 v[155:156], v[8:9], v[14:15], v[157:158]
	v_fma_f64 v[157:158], v[6:7], v[14:15], -v[16:17]
	ds_load_b128 v[6:9], v1 offset:1040
	scratch_load_b128 v[14:17], off, off offset:416
	s_wait_loadcnt_dscnt 0x901
	v_mul_f64_e32 v[151:152], v[2:3], v[20:21]
	v_mul_f64_e32 v[20:21], v[4:5], v[20:21]
	v_add_f64_e32 v[147:148], v[147:148], v[159:160]
	v_add_f64_e32 v[149:150], v[149:150], v[153:154]
	s_wait_loadcnt_dscnt 0x800
	v_mul_f64_e32 v[153:154], v[6:7], v[24:25]
	v_mul_f64_e32 v[24:25], v[8:9], v[24:25]
	v_fma_f64 v[151:152], v[4:5], v[18:19], v[151:152]
	v_fma_f64 v[159:160], v[2:3], v[18:19], -v[20:21]
	ds_load_b128 v[2:5], v1 offset:1056
	scratch_load_b128 v[18:21], off, off offset:432
	v_add_f64_e32 v[147:148], v[147:148], v[157:158]
	v_add_f64_e32 v[149:150], v[149:150], v[155:156]
	v_fma_f64 v[153:154], v[8:9], v[22:23], v[153:154]
	v_fma_f64 v[157:158], v[6:7], v[22:23], -v[24:25]
	ds_load_b128 v[6:9], v1 offset:1072
	s_wait_loadcnt_dscnt 0x801
	v_mul_f64_e32 v[155:156], v[2:3], v[28:29]
	v_mul_f64_e32 v[28:29], v[4:5], v[28:29]
	scratch_load_b128 v[22:25], off, off offset:448
	v_add_f64_e32 v[147:148], v[147:148], v[159:160]
	v_add_f64_e32 v[149:150], v[149:150], v[151:152]
	s_wait_loadcnt_dscnt 0x800
	v_mul_f64_e32 v[151:152], v[6:7], v[32:33]
	v_mul_f64_e32 v[32:33], v[8:9], v[32:33]
	v_fma_f64 v[155:156], v[4:5], v[26:27], v[155:156]
	v_fma_f64 v[159:160], v[2:3], v[26:27], -v[28:29]
	ds_load_b128 v[2:5], v1 offset:1088
	scratch_load_b128 v[26:29], off, off offset:464
	v_add_f64_e32 v[147:148], v[147:148], v[157:158]
	v_add_f64_e32 v[149:150], v[149:150], v[153:154]
	v_fma_f64 v[151:152], v[8:9], v[30:31], v[151:152]
	v_fma_f64 v[157:158], v[6:7], v[30:31], -v[32:33]
	ds_load_b128 v[6:9], v1 offset:1104
	s_wait_loadcnt_dscnt 0x801
	v_mul_f64_e32 v[153:154], v[2:3], v[36:37]
	v_mul_f64_e32 v[36:37], v[4:5], v[36:37]
	scratch_load_b128 v[30:33], off, off offset:480
	v_add_f64_e32 v[147:148], v[147:148], v[159:160]
	v_add_f64_e32 v[149:150], v[149:150], v[155:156]
	s_wait_loadcnt_dscnt 0x800
	v_mul_f64_e32 v[155:156], v[6:7], v[145:146]
	v_mul_f64_e32 v[145:146], v[8:9], v[145:146]
	v_fma_f64 v[153:154], v[4:5], v[34:35], v[153:154]
	v_fma_f64 v[159:160], v[2:3], v[34:35], -v[36:37]
	ds_load_b128 v[2:5], v1 offset:1120
	scratch_load_b128 v[34:37], off, off offset:496
	v_add_f64_e32 v[147:148], v[147:148], v[157:158]
	v_add_f64_e32 v[149:150], v[149:150], v[151:152]
	v_fma_f64 v[155:156], v[8:9], v[143:144], v[155:156]
	v_fma_f64 v[157:158], v[6:7], v[143:144], -v[145:146]
	ds_load_b128 v[6:9], v1 offset:1136
	scratch_load_b128 v[143:146], off, off offset:512
	s_wait_loadcnt_dscnt 0x901
	v_mul_f64_e32 v[151:152], v[2:3], v[40:41]
	v_mul_f64_e32 v[40:41], v[4:5], v[40:41]
	v_add_f64_e32 v[147:148], v[147:148], v[159:160]
	v_add_f64_e32 v[149:150], v[149:150], v[153:154]
	s_wait_loadcnt_dscnt 0x800
	v_mul_f64_e32 v[153:154], v[6:7], v[141:142]
	v_mul_f64_e32 v[141:142], v[8:9], v[141:142]
	v_fma_f64 v[151:152], v[4:5], v[38:39], v[151:152]
	v_fma_f64 v[159:160], v[2:3], v[38:39], -v[40:41]
	ds_load_b128 v[2:5], v1 offset:1152
	scratch_load_b128 v[38:41], off, off offset:528
	v_add_f64_e32 v[147:148], v[147:148], v[157:158]
	v_add_f64_e32 v[149:150], v[149:150], v[155:156]
	v_fma_f64 v[153:154], v[8:9], v[139:140], v[153:154]
	v_fma_f64 v[157:158], v[6:7], v[139:140], -v[141:142]
	ds_load_b128 v[6:9], v1 offset:1168
	s_wait_loadcnt_dscnt 0x801
	v_mul_f64_e32 v[155:156], v[2:3], v[12:13]
	v_mul_f64_e32 v[12:13], v[4:5], v[12:13]
	scratch_load_b128 v[139:142], off, off offset:544
	v_add_f64_e32 v[147:148], v[147:148], v[159:160]
	v_add_f64_e32 v[149:150], v[149:150], v[151:152]
	s_wait_loadcnt_dscnt 0x800
	v_mul_f64_e32 v[151:152], v[6:7], v[16:17]
	v_mul_f64_e32 v[16:17], v[8:9], v[16:17]
	v_fma_f64 v[155:156], v[4:5], v[10:11], v[155:156]
	v_fma_f64 v[159:160], v[2:3], v[10:11], -v[12:13]
	ds_load_b128 v[2:5], v1 offset:1184
	scratch_load_b128 v[10:13], off, off offset:560
	v_add_f64_e32 v[147:148], v[147:148], v[157:158]
	v_add_f64_e32 v[149:150], v[149:150], v[153:154]
	v_fma_f64 v[151:152], v[8:9], v[14:15], v[151:152]
	v_fma_f64 v[157:158], v[6:7], v[14:15], -v[16:17]
	ds_load_b128 v[6:9], v1 offset:1200
	s_wait_loadcnt_dscnt 0x801
	v_mul_f64_e32 v[153:154], v[2:3], v[20:21]
	v_mul_f64_e32 v[20:21], v[4:5], v[20:21]
	scratch_load_b128 v[14:17], off, off offset:576
	;; [unrolled: 18-line block ×8, first 2 shown]
	v_add_f64_e32 v[147:148], v[147:148], v[159:160]
	v_add_f64_e32 v[149:150], v[149:150], v[155:156]
	s_wait_loadcnt_dscnt 0x800
	v_mul_f64_e32 v[155:156], v[6:7], v[32:33]
	v_mul_f64_e32 v[32:33], v[8:9], v[32:33]
	v_fma_f64 v[153:154], v[4:5], v[26:27], v[153:154]
	v_fma_f64 v[26:27], v[2:3], v[26:27], -v[28:29]
	ds_load_b128 v[2:5], v1 offset:1408
	v_add_f64_e32 v[28:29], v[147:148], v[157:158]
	v_add_f64_e32 v[147:148], v[149:150], v[151:152]
	v_fma_f64 v[151:152], v[8:9], v[30:31], v[155:156]
	v_fma_f64 v[30:31], v[6:7], v[30:31], -v[32:33]
	ds_load_b128 v[6:9], v1 offset:1424
	s_wait_loadcnt_dscnt 0x701
	v_mul_f64_e32 v[149:150], v[2:3], v[36:37]
	v_mul_f64_e32 v[36:37], v[4:5], v[36:37]
	v_add_f64_e32 v[26:27], v[28:29], v[26:27]
	v_add_f64_e32 v[28:29], v[147:148], v[153:154]
	s_delay_alu instid0(VALU_DEP_4) | instskip(NEXT) | instid1(VALU_DEP_4)
	v_fma_f64 v[147:148], v[4:5], v[34:35], v[149:150]
	v_fma_f64 v[34:35], v[2:3], v[34:35], -v[36:37]
	ds_load_b128 v[2:5], v1 offset:1440
	v_add_f64_e32 v[30:31], v[26:27], v[30:31]
	v_add_f64_e32 v[36:37], v[28:29], v[151:152]
	scratch_load_b128 v[26:29], off, off offset:192
	s_wait_loadcnt_dscnt 0x701
	v_mul_f64_e32 v[32:33], v[6:7], v[145:146]
	v_mul_f64_e32 v[145:146], v[8:9], v[145:146]
	v_add_f64_e32 v[30:31], v[30:31], v[34:35]
	v_add_f64_e32 v[34:35], v[36:37], v[147:148]
	s_delay_alu instid0(VALU_DEP_4) | instskip(NEXT) | instid1(VALU_DEP_4)
	v_fma_f64 v[32:33], v[8:9], v[143:144], v[32:33]
	v_fma_f64 v[143:144], v[6:7], v[143:144], -v[145:146]
	ds_load_b128 v[6:9], v1 offset:1456
	s_wait_loadcnt_dscnt 0x601
	v_mul_f64_e32 v[149:150], v[2:3], v[40:41]
	v_mul_f64_e32 v[40:41], v[4:5], v[40:41]
	s_wait_loadcnt_dscnt 0x500
	v_mul_f64_e32 v[36:37], v[6:7], v[141:142]
	v_mul_f64_e32 v[141:142], v[8:9], v[141:142]
	v_add_f64_e32 v[32:33], v[34:35], v[32:33]
	v_add_f64_e32 v[30:31], v[30:31], v[143:144]
	v_fma_f64 v[145:146], v[4:5], v[38:39], v[149:150]
	v_fma_f64 v[38:39], v[2:3], v[38:39], -v[40:41]
	ds_load_b128 v[2:5], v1 offset:1472
	v_fma_f64 v[36:37], v[8:9], v[139:140], v[36:37]
	v_fma_f64 v[40:41], v[6:7], v[139:140], -v[141:142]
	ds_load_b128 v[6:9], v1 offset:1488
	s_wait_loadcnt_dscnt 0x401
	v_mul_f64_e32 v[34:35], v[2:3], v[12:13]
	v_mul_f64_e32 v[12:13], v[4:5], v[12:13]
	v_add_f64_e32 v[32:33], v[32:33], v[145:146]
	v_add_f64_e32 v[30:31], v[30:31], v[38:39]
	s_wait_loadcnt_dscnt 0x300
	v_mul_f64_e32 v[38:39], v[6:7], v[16:17]
	v_mul_f64_e32 v[16:17], v[8:9], v[16:17]
	v_fma_f64 v[34:35], v[4:5], v[10:11], v[34:35]
	v_fma_f64 v[10:11], v[2:3], v[10:11], -v[12:13]
	ds_load_b128 v[2:5], v1 offset:1504
	v_add_f64_e32 v[12:13], v[30:31], v[40:41]
	v_add_f64_e32 v[30:31], v[32:33], v[36:37]
	v_fma_f64 v[36:37], v[8:9], v[14:15], v[38:39]
	v_fma_f64 v[14:15], v[6:7], v[14:15], -v[16:17]
	ds_load_b128 v[6:9], v1 offset:1520
	s_wait_loadcnt_dscnt 0x201
	v_mul_f64_e32 v[32:33], v[2:3], v[20:21]
	v_mul_f64_e32 v[20:21], v[4:5], v[20:21]
	s_wait_loadcnt_dscnt 0x100
	v_mul_f64_e32 v[16:17], v[6:7], v[24:25]
	v_mul_f64_e32 v[24:25], v[8:9], v[24:25]
	v_add_f64_e32 v[10:11], v[12:13], v[10:11]
	v_add_f64_e32 v[12:13], v[30:31], v[34:35]
	v_fma_f64 v[4:5], v[4:5], v[18:19], v[32:33]
	v_fma_f64 v[1:2], v[2:3], v[18:19], -v[20:21]
	v_fma_f64 v[8:9], v[8:9], v[22:23], v[16:17]
	v_fma_f64 v[6:7], v[6:7], v[22:23], -v[24:25]
	v_add_f64_e32 v[10:11], v[10:11], v[14:15]
	v_add_f64_e32 v[12:13], v[12:13], v[36:37]
	s_delay_alu instid0(VALU_DEP_2) | instskip(NEXT) | instid1(VALU_DEP_2)
	v_add_f64_e32 v[1:2], v[10:11], v[1:2]
	v_add_f64_e32 v[3:4], v[12:13], v[4:5]
	s_delay_alu instid0(VALU_DEP_2) | instskip(NEXT) | instid1(VALU_DEP_2)
	v_add_f64_e32 v[1:2], v[1:2], v[6:7]
	v_add_f64_e32 v[3:4], v[3:4], v[8:9]
	s_wait_loadcnt 0x0
	s_delay_alu instid0(VALU_DEP_2) | instskip(NEXT) | instid1(VALU_DEP_2)
	v_add_f64_e64 v[1:2], v[26:27], -v[1:2]
	v_add_f64_e64 v[3:4], v[28:29], -v[3:4]
	scratch_store_b128 off, v[1:4], off offset:192
	v_cmpx_lt_u32_e32 10, v0
	s_cbranch_execz .LBB111_281
; %bb.280:
	scratch_load_b128 v[1:4], off, s51
	v_mov_b32_e32 v5, 0
	s_delay_alu instid0(VALU_DEP_1)
	v_dual_mov_b32 v6, v5 :: v_dual_mov_b32 v7, v5
	v_mov_b32_e32 v8, v5
	scratch_store_b128 off, v[5:8], off offset:176
	s_wait_loadcnt 0x0
	ds_store_b128 v138, v[1:4]
.LBB111_281:
	s_wait_alu 0xfffe
	s_or_b32 exec_lo, exec_lo, s0
	s_wait_storecnt_dscnt 0x0
	s_barrier_signal -1
	s_barrier_wait -1
	global_inv scope:SCOPE_SE
	s_clause 0x7
	scratch_load_b128 v[2:5], off, off offset:192
	scratch_load_b128 v[6:9], off, off offset:208
	;; [unrolled: 1-line block ×8, first 2 shown]
	v_mov_b32_e32 v1, 0
	s_clause 0x1
	scratch_load_b128 v[34:37], off, off offset:320
	scratch_load_b128 v[143:146], off, off offset:336
	s_mov_b32 s0, exec_lo
	ds_load_b128 v[38:41], v1 offset:944
	ds_load_b128 v[139:142], v1 offset:960
	s_wait_loadcnt_dscnt 0x901
	v_mul_f64_e32 v[147:148], v[40:41], v[4:5]
	v_mul_f64_e32 v[4:5], v[38:39], v[4:5]
	s_wait_loadcnt_dscnt 0x800
	v_mul_f64_e32 v[149:150], v[139:140], v[8:9]
	v_mul_f64_e32 v[8:9], v[141:142], v[8:9]
	s_delay_alu instid0(VALU_DEP_4) | instskip(NEXT) | instid1(VALU_DEP_4)
	v_fma_f64 v[147:148], v[38:39], v[2:3], -v[147:148]
	v_fma_f64 v[151:152], v[40:41], v[2:3], v[4:5]
	ds_load_b128 v[2:5], v1 offset:976
	scratch_load_b128 v[38:41], off, off offset:352
	v_fma_f64 v[149:150], v[141:142], v[6:7], v[149:150]
	v_fma_f64 v[155:156], v[139:140], v[6:7], -v[8:9]
	ds_load_b128 v[6:9], v1 offset:992
	scratch_load_b128 v[139:142], off, off offset:368
	s_wait_loadcnt_dscnt 0x901
	v_mul_f64_e32 v[153:154], v[2:3], v[12:13]
	v_mul_f64_e32 v[12:13], v[4:5], v[12:13]
	s_wait_loadcnt_dscnt 0x800
	v_mul_f64_e32 v[157:158], v[6:7], v[16:17]
	v_mul_f64_e32 v[16:17], v[8:9], v[16:17]
	v_add_f64_e32 v[147:148], 0, v[147:148]
	v_add_f64_e32 v[151:152], 0, v[151:152]
	v_fma_f64 v[153:154], v[4:5], v[10:11], v[153:154]
	v_fma_f64 v[159:160], v[2:3], v[10:11], -v[12:13]
	ds_load_b128 v[2:5], v1 offset:1008
	scratch_load_b128 v[10:13], off, off offset:384
	v_add_f64_e32 v[147:148], v[147:148], v[155:156]
	v_add_f64_e32 v[149:150], v[151:152], v[149:150]
	v_fma_f64 v[155:156], v[8:9], v[14:15], v[157:158]
	v_fma_f64 v[157:158], v[6:7], v[14:15], -v[16:17]
	ds_load_b128 v[6:9], v1 offset:1024
	scratch_load_b128 v[14:17], off, off offset:400
	s_wait_loadcnt_dscnt 0x901
	v_mul_f64_e32 v[151:152], v[2:3], v[20:21]
	v_mul_f64_e32 v[20:21], v[4:5], v[20:21]
	v_add_f64_e32 v[147:148], v[147:148], v[159:160]
	v_add_f64_e32 v[149:150], v[149:150], v[153:154]
	s_wait_loadcnt_dscnt 0x800
	v_mul_f64_e32 v[153:154], v[6:7], v[24:25]
	v_mul_f64_e32 v[24:25], v[8:9], v[24:25]
	v_fma_f64 v[151:152], v[4:5], v[18:19], v[151:152]
	v_fma_f64 v[159:160], v[2:3], v[18:19], -v[20:21]
	ds_load_b128 v[2:5], v1 offset:1040
	scratch_load_b128 v[18:21], off, off offset:416
	v_add_f64_e32 v[147:148], v[147:148], v[157:158]
	v_add_f64_e32 v[149:150], v[149:150], v[155:156]
	v_fma_f64 v[153:154], v[8:9], v[22:23], v[153:154]
	v_fma_f64 v[157:158], v[6:7], v[22:23], -v[24:25]
	ds_load_b128 v[6:9], v1 offset:1056
	s_wait_loadcnt_dscnt 0x801
	v_mul_f64_e32 v[155:156], v[2:3], v[28:29]
	v_mul_f64_e32 v[28:29], v[4:5], v[28:29]
	scratch_load_b128 v[22:25], off, off offset:432
	v_add_f64_e32 v[147:148], v[147:148], v[159:160]
	v_add_f64_e32 v[149:150], v[149:150], v[151:152]
	s_wait_loadcnt_dscnt 0x800
	v_mul_f64_e32 v[151:152], v[6:7], v[32:33]
	v_mul_f64_e32 v[32:33], v[8:9], v[32:33]
	v_fma_f64 v[155:156], v[4:5], v[26:27], v[155:156]
	v_fma_f64 v[159:160], v[2:3], v[26:27], -v[28:29]
	ds_load_b128 v[2:5], v1 offset:1072
	scratch_load_b128 v[26:29], off, off offset:448
	v_add_f64_e32 v[147:148], v[147:148], v[157:158]
	v_add_f64_e32 v[149:150], v[149:150], v[153:154]
	v_fma_f64 v[151:152], v[8:9], v[30:31], v[151:152]
	v_fma_f64 v[157:158], v[6:7], v[30:31], -v[32:33]
	ds_load_b128 v[6:9], v1 offset:1088
	s_wait_loadcnt_dscnt 0x801
	v_mul_f64_e32 v[153:154], v[2:3], v[36:37]
	v_mul_f64_e32 v[36:37], v[4:5], v[36:37]
	scratch_load_b128 v[30:33], off, off offset:464
	v_add_f64_e32 v[147:148], v[147:148], v[159:160]
	v_add_f64_e32 v[149:150], v[149:150], v[155:156]
	s_wait_loadcnt_dscnt 0x800
	v_mul_f64_e32 v[155:156], v[6:7], v[145:146]
	v_mul_f64_e32 v[145:146], v[8:9], v[145:146]
	v_fma_f64 v[153:154], v[4:5], v[34:35], v[153:154]
	v_fma_f64 v[159:160], v[2:3], v[34:35], -v[36:37]
	ds_load_b128 v[2:5], v1 offset:1104
	scratch_load_b128 v[34:37], off, off offset:480
	v_add_f64_e32 v[147:148], v[147:148], v[157:158]
	v_add_f64_e32 v[149:150], v[149:150], v[151:152]
	v_fma_f64 v[155:156], v[8:9], v[143:144], v[155:156]
	v_fma_f64 v[157:158], v[6:7], v[143:144], -v[145:146]
	ds_load_b128 v[6:9], v1 offset:1120
	scratch_load_b128 v[143:146], off, off offset:496
	s_wait_loadcnt_dscnt 0x901
	v_mul_f64_e32 v[151:152], v[2:3], v[40:41]
	v_mul_f64_e32 v[40:41], v[4:5], v[40:41]
	v_add_f64_e32 v[147:148], v[147:148], v[159:160]
	v_add_f64_e32 v[149:150], v[149:150], v[153:154]
	s_wait_loadcnt_dscnt 0x800
	v_mul_f64_e32 v[153:154], v[6:7], v[141:142]
	v_mul_f64_e32 v[141:142], v[8:9], v[141:142]
	v_fma_f64 v[151:152], v[4:5], v[38:39], v[151:152]
	v_fma_f64 v[159:160], v[2:3], v[38:39], -v[40:41]
	ds_load_b128 v[2:5], v1 offset:1136
	scratch_load_b128 v[38:41], off, off offset:512
	v_add_f64_e32 v[147:148], v[147:148], v[157:158]
	v_add_f64_e32 v[149:150], v[149:150], v[155:156]
	v_fma_f64 v[153:154], v[8:9], v[139:140], v[153:154]
	v_fma_f64 v[157:158], v[6:7], v[139:140], -v[141:142]
	ds_load_b128 v[6:9], v1 offset:1152
	s_wait_loadcnt_dscnt 0x801
	v_mul_f64_e32 v[155:156], v[2:3], v[12:13]
	v_mul_f64_e32 v[12:13], v[4:5], v[12:13]
	scratch_load_b128 v[139:142], off, off offset:528
	v_add_f64_e32 v[147:148], v[147:148], v[159:160]
	v_add_f64_e32 v[149:150], v[149:150], v[151:152]
	s_wait_loadcnt_dscnt 0x800
	v_mul_f64_e32 v[151:152], v[6:7], v[16:17]
	v_mul_f64_e32 v[16:17], v[8:9], v[16:17]
	v_fma_f64 v[155:156], v[4:5], v[10:11], v[155:156]
	v_fma_f64 v[159:160], v[2:3], v[10:11], -v[12:13]
	ds_load_b128 v[2:5], v1 offset:1168
	scratch_load_b128 v[10:13], off, off offset:544
	v_add_f64_e32 v[147:148], v[147:148], v[157:158]
	v_add_f64_e32 v[149:150], v[149:150], v[153:154]
	v_fma_f64 v[151:152], v[8:9], v[14:15], v[151:152]
	v_fma_f64 v[157:158], v[6:7], v[14:15], -v[16:17]
	ds_load_b128 v[6:9], v1 offset:1184
	s_wait_loadcnt_dscnt 0x801
	v_mul_f64_e32 v[153:154], v[2:3], v[20:21]
	v_mul_f64_e32 v[20:21], v[4:5], v[20:21]
	scratch_load_b128 v[14:17], off, off offset:560
	;; [unrolled: 18-line block ×8, first 2 shown]
	v_add_f64_e32 v[147:148], v[147:148], v[159:160]
	v_add_f64_e32 v[149:150], v[149:150], v[155:156]
	s_wait_loadcnt_dscnt 0x800
	v_mul_f64_e32 v[155:156], v[6:7], v[32:33]
	v_mul_f64_e32 v[32:33], v[8:9], v[32:33]
	v_fma_f64 v[153:154], v[4:5], v[26:27], v[153:154]
	v_fma_f64 v[159:160], v[2:3], v[26:27], -v[28:29]
	ds_load_b128 v[2:5], v1 offset:1392
	scratch_load_b128 v[26:29], off, off offset:768
	v_add_f64_e32 v[147:148], v[147:148], v[157:158]
	v_add_f64_e32 v[149:150], v[149:150], v[151:152]
	v_fma_f64 v[155:156], v[8:9], v[30:31], v[155:156]
	v_fma_f64 v[30:31], v[6:7], v[30:31], -v[32:33]
	ds_load_b128 v[6:9], v1 offset:1408
	s_wait_loadcnt_dscnt 0x801
	v_mul_f64_e32 v[151:152], v[2:3], v[36:37]
	v_mul_f64_e32 v[36:37], v[4:5], v[36:37]
	v_add_f64_e32 v[32:33], v[147:148], v[159:160]
	v_add_f64_e32 v[147:148], v[149:150], v[153:154]
	s_wait_loadcnt_dscnt 0x700
	v_mul_f64_e32 v[149:150], v[6:7], v[145:146]
	v_mul_f64_e32 v[145:146], v[8:9], v[145:146]
	v_fma_f64 v[151:152], v[4:5], v[34:35], v[151:152]
	v_fma_f64 v[34:35], v[2:3], v[34:35], -v[36:37]
	ds_load_b128 v[2:5], v1 offset:1424
	v_add_f64_e32 v[30:31], v[32:33], v[30:31]
	v_add_f64_e32 v[32:33], v[147:148], v[155:156]
	v_fma_f64 v[147:148], v[8:9], v[143:144], v[149:150]
	v_fma_f64 v[143:144], v[6:7], v[143:144], -v[145:146]
	ds_load_b128 v[6:9], v1 offset:1440
	s_wait_loadcnt_dscnt 0x500
	v_mul_f64_e32 v[149:150], v[6:7], v[141:142]
	v_mul_f64_e32 v[141:142], v[8:9], v[141:142]
	v_add_f64_e32 v[34:35], v[30:31], v[34:35]
	v_add_f64_e32 v[145:146], v[32:33], v[151:152]
	scratch_load_b128 v[30:33], off, off offset:176
	v_mul_f64_e32 v[36:37], v[2:3], v[40:41]
	v_mul_f64_e32 v[40:41], v[4:5], v[40:41]
	v_add_f64_e32 v[34:35], v[34:35], v[143:144]
	s_delay_alu instid0(VALU_DEP_3) | instskip(NEXT) | instid1(VALU_DEP_3)
	v_fma_f64 v[36:37], v[4:5], v[38:39], v[36:37]
	v_fma_f64 v[38:39], v[2:3], v[38:39], -v[40:41]
	v_add_f64_e32 v[40:41], v[145:146], v[147:148]
	ds_load_b128 v[2:5], v1 offset:1456
	v_fma_f64 v[145:146], v[8:9], v[139:140], v[149:150]
	v_fma_f64 v[139:140], v[6:7], v[139:140], -v[141:142]
	ds_load_b128 v[6:9], v1 offset:1472
	s_wait_loadcnt_dscnt 0x501
	v_mul_f64_e32 v[143:144], v[2:3], v[12:13]
	v_mul_f64_e32 v[12:13], v[4:5], v[12:13]
	v_add_f64_e32 v[34:35], v[34:35], v[38:39]
	v_add_f64_e32 v[36:37], v[40:41], v[36:37]
	s_wait_loadcnt_dscnt 0x400
	v_mul_f64_e32 v[38:39], v[6:7], v[16:17]
	v_mul_f64_e32 v[16:17], v[8:9], v[16:17]
	v_fma_f64 v[40:41], v[4:5], v[10:11], v[143:144]
	v_fma_f64 v[10:11], v[2:3], v[10:11], -v[12:13]
	ds_load_b128 v[2:5], v1 offset:1488
	v_add_f64_e32 v[12:13], v[34:35], v[139:140]
	v_add_f64_e32 v[34:35], v[36:37], v[145:146]
	v_fma_f64 v[38:39], v[8:9], v[14:15], v[38:39]
	v_fma_f64 v[14:15], v[6:7], v[14:15], -v[16:17]
	ds_load_b128 v[6:9], v1 offset:1504
	s_wait_loadcnt_dscnt 0x301
	v_mul_f64_e32 v[36:37], v[2:3], v[20:21]
	v_mul_f64_e32 v[20:21], v[4:5], v[20:21]
	s_wait_loadcnt_dscnt 0x200
	v_mul_f64_e32 v[16:17], v[6:7], v[24:25]
	v_mul_f64_e32 v[24:25], v[8:9], v[24:25]
	v_add_f64_e32 v[10:11], v[12:13], v[10:11]
	v_add_f64_e32 v[12:13], v[34:35], v[40:41]
	v_fma_f64 v[34:35], v[4:5], v[18:19], v[36:37]
	v_fma_f64 v[18:19], v[2:3], v[18:19], -v[20:21]
	ds_load_b128 v[2:5], v1 offset:1520
	v_fma_f64 v[8:9], v[8:9], v[22:23], v[16:17]
	v_fma_f64 v[6:7], v[6:7], v[22:23], -v[24:25]
	s_wait_loadcnt_dscnt 0x100
	v_mul_f64_e32 v[20:21], v[4:5], v[28:29]
	v_add_f64_e32 v[10:11], v[10:11], v[14:15]
	v_add_f64_e32 v[12:13], v[12:13], v[38:39]
	v_mul_f64_e32 v[14:15], v[2:3], v[28:29]
	s_delay_alu instid0(VALU_DEP_4) | instskip(NEXT) | instid1(VALU_DEP_4)
	v_fma_f64 v[2:3], v[2:3], v[26:27], -v[20:21]
	v_add_f64_e32 v[10:11], v[10:11], v[18:19]
	s_delay_alu instid0(VALU_DEP_4) | instskip(NEXT) | instid1(VALU_DEP_4)
	v_add_f64_e32 v[12:13], v[12:13], v[34:35]
	v_fma_f64 v[4:5], v[4:5], v[26:27], v[14:15]
	s_delay_alu instid0(VALU_DEP_3) | instskip(NEXT) | instid1(VALU_DEP_3)
	v_add_f64_e32 v[6:7], v[10:11], v[6:7]
	v_add_f64_e32 v[8:9], v[12:13], v[8:9]
	s_delay_alu instid0(VALU_DEP_2) | instskip(NEXT) | instid1(VALU_DEP_2)
	v_add_f64_e32 v[2:3], v[6:7], v[2:3]
	v_add_f64_e32 v[4:5], v[8:9], v[4:5]
	s_wait_loadcnt 0x0
	s_delay_alu instid0(VALU_DEP_2) | instskip(NEXT) | instid1(VALU_DEP_2)
	v_add_f64_e64 v[2:3], v[30:31], -v[2:3]
	v_add_f64_e64 v[4:5], v[32:33], -v[4:5]
	scratch_store_b128 off, v[2:5], off offset:176
	v_cmpx_lt_u32_e32 9, v0
	s_cbranch_execz .LBB111_283
; %bb.282:
	scratch_load_b128 v[5:8], off, s52
	v_dual_mov_b32 v2, v1 :: v_dual_mov_b32 v3, v1
	v_mov_b32_e32 v4, v1
	scratch_store_b128 off, v[1:4], off offset:160
	s_wait_loadcnt 0x0
	ds_store_b128 v138, v[5:8]
.LBB111_283:
	s_wait_alu 0xfffe
	s_or_b32 exec_lo, exec_lo, s0
	s_wait_storecnt_dscnt 0x0
	s_barrier_signal -1
	s_barrier_wait -1
	global_inv scope:SCOPE_SE
	s_clause 0x7
	scratch_load_b128 v[2:5], off, off offset:176
	scratch_load_b128 v[6:9], off, off offset:192
	;; [unrolled: 1-line block ×8, first 2 shown]
	ds_load_b128 v[38:41], v1 offset:928
	ds_load_b128 v[139:142], v1 offset:944
	s_clause 0x1
	scratch_load_b128 v[34:37], off, off offset:304
	scratch_load_b128 v[143:146], off, off offset:320
	s_mov_b32 s0, exec_lo
	s_wait_loadcnt_dscnt 0x901
	v_mul_f64_e32 v[147:148], v[40:41], v[4:5]
	v_mul_f64_e32 v[4:5], v[38:39], v[4:5]
	s_wait_loadcnt_dscnt 0x800
	v_mul_f64_e32 v[149:150], v[139:140], v[8:9]
	v_mul_f64_e32 v[8:9], v[141:142], v[8:9]
	s_delay_alu instid0(VALU_DEP_4) | instskip(NEXT) | instid1(VALU_DEP_4)
	v_fma_f64 v[147:148], v[38:39], v[2:3], -v[147:148]
	v_fma_f64 v[151:152], v[40:41], v[2:3], v[4:5]
	ds_load_b128 v[2:5], v1 offset:960
	scratch_load_b128 v[38:41], off, off offset:336
	v_fma_f64 v[149:150], v[141:142], v[6:7], v[149:150]
	v_fma_f64 v[155:156], v[139:140], v[6:7], -v[8:9]
	ds_load_b128 v[6:9], v1 offset:976
	scratch_load_b128 v[139:142], off, off offset:352
	s_wait_loadcnt_dscnt 0x901
	v_mul_f64_e32 v[153:154], v[2:3], v[12:13]
	v_mul_f64_e32 v[12:13], v[4:5], v[12:13]
	s_wait_loadcnt_dscnt 0x800
	v_mul_f64_e32 v[157:158], v[6:7], v[16:17]
	v_mul_f64_e32 v[16:17], v[8:9], v[16:17]
	v_add_f64_e32 v[147:148], 0, v[147:148]
	v_add_f64_e32 v[151:152], 0, v[151:152]
	v_fma_f64 v[153:154], v[4:5], v[10:11], v[153:154]
	v_fma_f64 v[159:160], v[2:3], v[10:11], -v[12:13]
	ds_load_b128 v[2:5], v1 offset:992
	scratch_load_b128 v[10:13], off, off offset:368
	v_add_f64_e32 v[147:148], v[147:148], v[155:156]
	v_add_f64_e32 v[149:150], v[151:152], v[149:150]
	v_fma_f64 v[155:156], v[8:9], v[14:15], v[157:158]
	v_fma_f64 v[157:158], v[6:7], v[14:15], -v[16:17]
	ds_load_b128 v[6:9], v1 offset:1008
	scratch_load_b128 v[14:17], off, off offset:384
	s_wait_loadcnt_dscnt 0x901
	v_mul_f64_e32 v[151:152], v[2:3], v[20:21]
	v_mul_f64_e32 v[20:21], v[4:5], v[20:21]
	v_add_f64_e32 v[147:148], v[147:148], v[159:160]
	v_add_f64_e32 v[149:150], v[149:150], v[153:154]
	s_wait_loadcnt_dscnt 0x800
	v_mul_f64_e32 v[153:154], v[6:7], v[24:25]
	v_mul_f64_e32 v[24:25], v[8:9], v[24:25]
	v_fma_f64 v[151:152], v[4:5], v[18:19], v[151:152]
	v_fma_f64 v[159:160], v[2:3], v[18:19], -v[20:21]
	ds_load_b128 v[2:5], v1 offset:1024
	scratch_load_b128 v[18:21], off, off offset:400
	v_add_f64_e32 v[147:148], v[147:148], v[157:158]
	v_add_f64_e32 v[149:150], v[149:150], v[155:156]
	v_fma_f64 v[153:154], v[8:9], v[22:23], v[153:154]
	v_fma_f64 v[157:158], v[6:7], v[22:23], -v[24:25]
	ds_load_b128 v[6:9], v1 offset:1040
	s_wait_loadcnt_dscnt 0x801
	v_mul_f64_e32 v[155:156], v[2:3], v[28:29]
	v_mul_f64_e32 v[28:29], v[4:5], v[28:29]
	scratch_load_b128 v[22:25], off, off offset:416
	v_add_f64_e32 v[147:148], v[147:148], v[159:160]
	v_add_f64_e32 v[149:150], v[149:150], v[151:152]
	s_wait_loadcnt_dscnt 0x800
	v_mul_f64_e32 v[151:152], v[6:7], v[32:33]
	v_mul_f64_e32 v[32:33], v[8:9], v[32:33]
	v_fma_f64 v[155:156], v[4:5], v[26:27], v[155:156]
	v_fma_f64 v[159:160], v[2:3], v[26:27], -v[28:29]
	ds_load_b128 v[2:5], v1 offset:1056
	scratch_load_b128 v[26:29], off, off offset:432
	v_add_f64_e32 v[147:148], v[147:148], v[157:158]
	v_add_f64_e32 v[149:150], v[149:150], v[153:154]
	v_fma_f64 v[151:152], v[8:9], v[30:31], v[151:152]
	v_fma_f64 v[157:158], v[6:7], v[30:31], -v[32:33]
	ds_load_b128 v[6:9], v1 offset:1072
	s_wait_loadcnt_dscnt 0x801
	v_mul_f64_e32 v[153:154], v[2:3], v[36:37]
	v_mul_f64_e32 v[36:37], v[4:5], v[36:37]
	scratch_load_b128 v[30:33], off, off offset:448
	v_add_f64_e32 v[147:148], v[147:148], v[159:160]
	v_add_f64_e32 v[149:150], v[149:150], v[155:156]
	s_wait_loadcnt_dscnt 0x800
	v_mul_f64_e32 v[155:156], v[6:7], v[145:146]
	v_mul_f64_e32 v[145:146], v[8:9], v[145:146]
	v_fma_f64 v[153:154], v[4:5], v[34:35], v[153:154]
	v_fma_f64 v[159:160], v[2:3], v[34:35], -v[36:37]
	ds_load_b128 v[2:5], v1 offset:1088
	scratch_load_b128 v[34:37], off, off offset:464
	v_add_f64_e32 v[147:148], v[147:148], v[157:158]
	v_add_f64_e32 v[149:150], v[149:150], v[151:152]
	v_fma_f64 v[155:156], v[8:9], v[143:144], v[155:156]
	v_fma_f64 v[157:158], v[6:7], v[143:144], -v[145:146]
	ds_load_b128 v[6:9], v1 offset:1104
	scratch_load_b128 v[143:146], off, off offset:480
	s_wait_loadcnt_dscnt 0x901
	v_mul_f64_e32 v[151:152], v[2:3], v[40:41]
	v_mul_f64_e32 v[40:41], v[4:5], v[40:41]
	v_add_f64_e32 v[147:148], v[147:148], v[159:160]
	v_add_f64_e32 v[149:150], v[149:150], v[153:154]
	s_wait_loadcnt_dscnt 0x800
	v_mul_f64_e32 v[153:154], v[6:7], v[141:142]
	v_mul_f64_e32 v[141:142], v[8:9], v[141:142]
	v_fma_f64 v[151:152], v[4:5], v[38:39], v[151:152]
	v_fma_f64 v[159:160], v[2:3], v[38:39], -v[40:41]
	ds_load_b128 v[2:5], v1 offset:1120
	scratch_load_b128 v[38:41], off, off offset:496
	v_add_f64_e32 v[147:148], v[147:148], v[157:158]
	v_add_f64_e32 v[149:150], v[149:150], v[155:156]
	v_fma_f64 v[153:154], v[8:9], v[139:140], v[153:154]
	v_fma_f64 v[157:158], v[6:7], v[139:140], -v[141:142]
	ds_load_b128 v[6:9], v1 offset:1136
	s_wait_loadcnt_dscnt 0x801
	v_mul_f64_e32 v[155:156], v[2:3], v[12:13]
	v_mul_f64_e32 v[12:13], v[4:5], v[12:13]
	scratch_load_b128 v[139:142], off, off offset:512
	v_add_f64_e32 v[147:148], v[147:148], v[159:160]
	v_add_f64_e32 v[149:150], v[149:150], v[151:152]
	s_wait_loadcnt_dscnt 0x800
	v_mul_f64_e32 v[151:152], v[6:7], v[16:17]
	v_mul_f64_e32 v[16:17], v[8:9], v[16:17]
	v_fma_f64 v[155:156], v[4:5], v[10:11], v[155:156]
	v_fma_f64 v[159:160], v[2:3], v[10:11], -v[12:13]
	ds_load_b128 v[2:5], v1 offset:1152
	scratch_load_b128 v[10:13], off, off offset:528
	v_add_f64_e32 v[147:148], v[147:148], v[157:158]
	v_add_f64_e32 v[149:150], v[149:150], v[153:154]
	v_fma_f64 v[151:152], v[8:9], v[14:15], v[151:152]
	v_fma_f64 v[157:158], v[6:7], v[14:15], -v[16:17]
	ds_load_b128 v[6:9], v1 offset:1168
	s_wait_loadcnt_dscnt 0x801
	v_mul_f64_e32 v[153:154], v[2:3], v[20:21]
	v_mul_f64_e32 v[20:21], v[4:5], v[20:21]
	scratch_load_b128 v[14:17], off, off offset:544
	;; [unrolled: 18-line block ×9, first 2 shown]
	v_add_f64_e32 v[147:148], v[147:148], v[159:160]
	v_add_f64_e32 v[149:150], v[149:150], v[153:154]
	s_wait_loadcnt_dscnt 0x800
	v_mul_f64_e32 v[153:154], v[6:7], v[145:146]
	v_mul_f64_e32 v[145:146], v[8:9], v[145:146]
	v_fma_f64 v[151:152], v[4:5], v[34:35], v[151:152]
	v_fma_f64 v[34:35], v[2:3], v[34:35], -v[36:37]
	ds_load_b128 v[2:5], v1 offset:1408
	v_add_f64_e32 v[36:37], v[147:148], v[157:158]
	v_add_f64_e32 v[147:148], v[149:150], v[155:156]
	v_fma_f64 v[153:154], v[8:9], v[143:144], v[153:154]
	v_fma_f64 v[143:144], v[6:7], v[143:144], -v[145:146]
	ds_load_b128 v[6:9], v1 offset:1424
	s_wait_loadcnt_dscnt 0x701
	v_mul_f64_e32 v[149:150], v[2:3], v[40:41]
	v_mul_f64_e32 v[40:41], v[4:5], v[40:41]
	v_add_f64_e32 v[34:35], v[36:37], v[34:35]
	v_add_f64_e32 v[36:37], v[147:148], v[151:152]
	s_delay_alu instid0(VALU_DEP_4) | instskip(NEXT) | instid1(VALU_DEP_4)
	v_fma_f64 v[147:148], v[4:5], v[38:39], v[149:150]
	v_fma_f64 v[38:39], v[2:3], v[38:39], -v[40:41]
	ds_load_b128 v[2:5], v1 offset:1440
	v_add_f64_e32 v[40:41], v[34:35], v[143:144]
	v_add_f64_e32 v[143:144], v[36:37], v[153:154]
	scratch_load_b128 v[34:37], off, off offset:160
	s_wait_loadcnt_dscnt 0x701
	v_mul_f64_e32 v[145:146], v[6:7], v[141:142]
	v_mul_f64_e32 v[141:142], v[8:9], v[141:142]
	v_add_f64_e32 v[38:39], v[40:41], v[38:39]
	v_add_f64_e32 v[40:41], v[143:144], v[147:148]
	s_delay_alu instid0(VALU_DEP_4) | instskip(NEXT) | instid1(VALU_DEP_4)
	v_fma_f64 v[145:146], v[8:9], v[139:140], v[145:146]
	v_fma_f64 v[139:140], v[6:7], v[139:140], -v[141:142]
	ds_load_b128 v[6:9], v1 offset:1456
	s_wait_loadcnt_dscnt 0x601
	v_mul_f64_e32 v[149:150], v[2:3], v[12:13]
	v_mul_f64_e32 v[12:13], v[4:5], v[12:13]
	s_wait_loadcnt_dscnt 0x500
	v_mul_f64_e32 v[141:142], v[6:7], v[16:17]
	v_mul_f64_e32 v[16:17], v[8:9], v[16:17]
	s_delay_alu instid0(VALU_DEP_4) | instskip(NEXT) | instid1(VALU_DEP_4)
	v_fma_f64 v[143:144], v[4:5], v[10:11], v[149:150]
	v_fma_f64 v[10:11], v[2:3], v[10:11], -v[12:13]
	v_add_f64_e32 v[12:13], v[38:39], v[139:140]
	v_add_f64_e32 v[38:39], v[40:41], v[145:146]
	ds_load_b128 v[2:5], v1 offset:1472
	v_fma_f64 v[139:140], v[8:9], v[14:15], v[141:142]
	v_fma_f64 v[14:15], v[6:7], v[14:15], -v[16:17]
	ds_load_b128 v[6:9], v1 offset:1488
	s_wait_loadcnt_dscnt 0x401
	v_mul_f64_e32 v[40:41], v[2:3], v[20:21]
	v_mul_f64_e32 v[20:21], v[4:5], v[20:21]
	v_add_f64_e32 v[10:11], v[12:13], v[10:11]
	v_add_f64_e32 v[12:13], v[38:39], v[143:144]
	s_wait_loadcnt_dscnt 0x300
	v_mul_f64_e32 v[16:17], v[6:7], v[24:25]
	v_mul_f64_e32 v[24:25], v[8:9], v[24:25]
	v_fma_f64 v[38:39], v[4:5], v[18:19], v[40:41]
	v_fma_f64 v[18:19], v[2:3], v[18:19], -v[20:21]
	ds_load_b128 v[2:5], v1 offset:1504
	v_add_f64_e32 v[10:11], v[10:11], v[14:15]
	v_add_f64_e32 v[12:13], v[12:13], v[139:140]
	v_fma_f64 v[16:17], v[8:9], v[22:23], v[16:17]
	v_fma_f64 v[22:23], v[6:7], v[22:23], -v[24:25]
	ds_load_b128 v[6:9], v1 offset:1520
	s_wait_loadcnt_dscnt 0x201
	v_mul_f64_e32 v[14:15], v[2:3], v[28:29]
	v_mul_f64_e32 v[20:21], v[4:5], v[28:29]
	s_wait_loadcnt_dscnt 0x100
	v_mul_f64_e32 v[24:25], v[8:9], v[32:33]
	v_add_f64_e32 v[10:11], v[10:11], v[18:19]
	v_add_f64_e32 v[12:13], v[12:13], v[38:39]
	v_mul_f64_e32 v[18:19], v[6:7], v[32:33]
	v_fma_f64 v[4:5], v[4:5], v[26:27], v[14:15]
	v_fma_f64 v[1:2], v[2:3], v[26:27], -v[20:21]
	v_fma_f64 v[6:7], v[6:7], v[30:31], -v[24:25]
	v_add_f64_e32 v[10:11], v[10:11], v[22:23]
	v_add_f64_e32 v[12:13], v[12:13], v[16:17]
	v_fma_f64 v[8:9], v[8:9], v[30:31], v[18:19]
	s_delay_alu instid0(VALU_DEP_3) | instskip(NEXT) | instid1(VALU_DEP_3)
	v_add_f64_e32 v[1:2], v[10:11], v[1:2]
	v_add_f64_e32 v[3:4], v[12:13], v[4:5]
	s_delay_alu instid0(VALU_DEP_2) | instskip(NEXT) | instid1(VALU_DEP_2)
	v_add_f64_e32 v[1:2], v[1:2], v[6:7]
	v_add_f64_e32 v[3:4], v[3:4], v[8:9]
	s_wait_loadcnt 0x0
	s_delay_alu instid0(VALU_DEP_2) | instskip(NEXT) | instid1(VALU_DEP_2)
	v_add_f64_e64 v[1:2], v[34:35], -v[1:2]
	v_add_f64_e64 v[3:4], v[36:37], -v[3:4]
	scratch_store_b128 off, v[1:4], off offset:160
	v_cmpx_lt_u32_e32 8, v0
	s_cbranch_execz .LBB111_285
; %bb.284:
	scratch_load_b128 v[1:4], off, s53
	v_mov_b32_e32 v5, 0
	s_delay_alu instid0(VALU_DEP_1)
	v_dual_mov_b32 v6, v5 :: v_dual_mov_b32 v7, v5
	v_mov_b32_e32 v8, v5
	scratch_store_b128 off, v[5:8], off offset:144
	s_wait_loadcnt 0x0
	ds_store_b128 v138, v[1:4]
.LBB111_285:
	s_wait_alu 0xfffe
	s_or_b32 exec_lo, exec_lo, s0
	s_wait_storecnt_dscnt 0x0
	s_barrier_signal -1
	s_barrier_wait -1
	global_inv scope:SCOPE_SE
	s_clause 0x7
	scratch_load_b128 v[2:5], off, off offset:160
	scratch_load_b128 v[6:9], off, off offset:176
	;; [unrolled: 1-line block ×8, first 2 shown]
	v_mov_b32_e32 v1, 0
	s_clause 0x1
	scratch_load_b128 v[34:37], off, off offset:288
	scratch_load_b128 v[143:146], off, off offset:304
	s_mov_b32 s0, exec_lo
	ds_load_b128 v[38:41], v1 offset:912
	ds_load_b128 v[139:142], v1 offset:928
	s_wait_loadcnt_dscnt 0x901
	v_mul_f64_e32 v[147:148], v[40:41], v[4:5]
	v_mul_f64_e32 v[4:5], v[38:39], v[4:5]
	s_wait_loadcnt_dscnt 0x800
	v_mul_f64_e32 v[149:150], v[139:140], v[8:9]
	v_mul_f64_e32 v[8:9], v[141:142], v[8:9]
	s_delay_alu instid0(VALU_DEP_4) | instskip(NEXT) | instid1(VALU_DEP_4)
	v_fma_f64 v[147:148], v[38:39], v[2:3], -v[147:148]
	v_fma_f64 v[151:152], v[40:41], v[2:3], v[4:5]
	ds_load_b128 v[2:5], v1 offset:944
	scratch_load_b128 v[38:41], off, off offset:320
	v_fma_f64 v[149:150], v[141:142], v[6:7], v[149:150]
	v_fma_f64 v[155:156], v[139:140], v[6:7], -v[8:9]
	ds_load_b128 v[6:9], v1 offset:960
	scratch_load_b128 v[139:142], off, off offset:336
	s_wait_loadcnt_dscnt 0x901
	v_mul_f64_e32 v[153:154], v[2:3], v[12:13]
	v_mul_f64_e32 v[12:13], v[4:5], v[12:13]
	s_wait_loadcnt_dscnt 0x800
	v_mul_f64_e32 v[157:158], v[6:7], v[16:17]
	v_mul_f64_e32 v[16:17], v[8:9], v[16:17]
	v_add_f64_e32 v[147:148], 0, v[147:148]
	v_add_f64_e32 v[151:152], 0, v[151:152]
	v_fma_f64 v[153:154], v[4:5], v[10:11], v[153:154]
	v_fma_f64 v[159:160], v[2:3], v[10:11], -v[12:13]
	ds_load_b128 v[2:5], v1 offset:976
	scratch_load_b128 v[10:13], off, off offset:352
	v_add_f64_e32 v[147:148], v[147:148], v[155:156]
	v_add_f64_e32 v[149:150], v[151:152], v[149:150]
	v_fma_f64 v[155:156], v[8:9], v[14:15], v[157:158]
	v_fma_f64 v[157:158], v[6:7], v[14:15], -v[16:17]
	ds_load_b128 v[6:9], v1 offset:992
	scratch_load_b128 v[14:17], off, off offset:368
	s_wait_loadcnt_dscnt 0x901
	v_mul_f64_e32 v[151:152], v[2:3], v[20:21]
	v_mul_f64_e32 v[20:21], v[4:5], v[20:21]
	v_add_f64_e32 v[147:148], v[147:148], v[159:160]
	v_add_f64_e32 v[149:150], v[149:150], v[153:154]
	s_wait_loadcnt_dscnt 0x800
	v_mul_f64_e32 v[153:154], v[6:7], v[24:25]
	v_mul_f64_e32 v[24:25], v[8:9], v[24:25]
	v_fma_f64 v[151:152], v[4:5], v[18:19], v[151:152]
	v_fma_f64 v[159:160], v[2:3], v[18:19], -v[20:21]
	ds_load_b128 v[2:5], v1 offset:1008
	scratch_load_b128 v[18:21], off, off offset:384
	v_add_f64_e32 v[147:148], v[147:148], v[157:158]
	v_add_f64_e32 v[149:150], v[149:150], v[155:156]
	v_fma_f64 v[153:154], v[8:9], v[22:23], v[153:154]
	v_fma_f64 v[157:158], v[6:7], v[22:23], -v[24:25]
	ds_load_b128 v[6:9], v1 offset:1024
	s_wait_loadcnt_dscnt 0x801
	v_mul_f64_e32 v[155:156], v[2:3], v[28:29]
	v_mul_f64_e32 v[28:29], v[4:5], v[28:29]
	scratch_load_b128 v[22:25], off, off offset:400
	v_add_f64_e32 v[147:148], v[147:148], v[159:160]
	v_add_f64_e32 v[149:150], v[149:150], v[151:152]
	s_wait_loadcnt_dscnt 0x800
	v_mul_f64_e32 v[151:152], v[6:7], v[32:33]
	v_mul_f64_e32 v[32:33], v[8:9], v[32:33]
	v_fma_f64 v[155:156], v[4:5], v[26:27], v[155:156]
	v_fma_f64 v[159:160], v[2:3], v[26:27], -v[28:29]
	ds_load_b128 v[2:5], v1 offset:1040
	scratch_load_b128 v[26:29], off, off offset:416
	v_add_f64_e32 v[147:148], v[147:148], v[157:158]
	v_add_f64_e32 v[149:150], v[149:150], v[153:154]
	v_fma_f64 v[151:152], v[8:9], v[30:31], v[151:152]
	v_fma_f64 v[157:158], v[6:7], v[30:31], -v[32:33]
	ds_load_b128 v[6:9], v1 offset:1056
	s_wait_loadcnt_dscnt 0x801
	v_mul_f64_e32 v[153:154], v[2:3], v[36:37]
	v_mul_f64_e32 v[36:37], v[4:5], v[36:37]
	scratch_load_b128 v[30:33], off, off offset:432
	v_add_f64_e32 v[147:148], v[147:148], v[159:160]
	v_add_f64_e32 v[149:150], v[149:150], v[155:156]
	s_wait_loadcnt_dscnt 0x800
	v_mul_f64_e32 v[155:156], v[6:7], v[145:146]
	v_mul_f64_e32 v[145:146], v[8:9], v[145:146]
	v_fma_f64 v[153:154], v[4:5], v[34:35], v[153:154]
	v_fma_f64 v[159:160], v[2:3], v[34:35], -v[36:37]
	ds_load_b128 v[2:5], v1 offset:1072
	scratch_load_b128 v[34:37], off, off offset:448
	v_add_f64_e32 v[147:148], v[147:148], v[157:158]
	v_add_f64_e32 v[149:150], v[149:150], v[151:152]
	v_fma_f64 v[155:156], v[8:9], v[143:144], v[155:156]
	v_fma_f64 v[157:158], v[6:7], v[143:144], -v[145:146]
	ds_load_b128 v[6:9], v1 offset:1088
	scratch_load_b128 v[143:146], off, off offset:464
	s_wait_loadcnt_dscnt 0x901
	v_mul_f64_e32 v[151:152], v[2:3], v[40:41]
	v_mul_f64_e32 v[40:41], v[4:5], v[40:41]
	v_add_f64_e32 v[147:148], v[147:148], v[159:160]
	v_add_f64_e32 v[149:150], v[149:150], v[153:154]
	s_wait_loadcnt_dscnt 0x800
	v_mul_f64_e32 v[153:154], v[6:7], v[141:142]
	v_mul_f64_e32 v[141:142], v[8:9], v[141:142]
	v_fma_f64 v[151:152], v[4:5], v[38:39], v[151:152]
	v_fma_f64 v[159:160], v[2:3], v[38:39], -v[40:41]
	ds_load_b128 v[2:5], v1 offset:1104
	scratch_load_b128 v[38:41], off, off offset:480
	v_add_f64_e32 v[147:148], v[147:148], v[157:158]
	v_add_f64_e32 v[149:150], v[149:150], v[155:156]
	v_fma_f64 v[153:154], v[8:9], v[139:140], v[153:154]
	v_fma_f64 v[157:158], v[6:7], v[139:140], -v[141:142]
	ds_load_b128 v[6:9], v1 offset:1120
	s_wait_loadcnt_dscnt 0x801
	v_mul_f64_e32 v[155:156], v[2:3], v[12:13]
	v_mul_f64_e32 v[12:13], v[4:5], v[12:13]
	scratch_load_b128 v[139:142], off, off offset:496
	v_add_f64_e32 v[147:148], v[147:148], v[159:160]
	v_add_f64_e32 v[149:150], v[149:150], v[151:152]
	s_wait_loadcnt_dscnt 0x800
	v_mul_f64_e32 v[151:152], v[6:7], v[16:17]
	v_mul_f64_e32 v[16:17], v[8:9], v[16:17]
	v_fma_f64 v[155:156], v[4:5], v[10:11], v[155:156]
	v_fma_f64 v[159:160], v[2:3], v[10:11], -v[12:13]
	ds_load_b128 v[2:5], v1 offset:1136
	scratch_load_b128 v[10:13], off, off offset:512
	v_add_f64_e32 v[147:148], v[147:148], v[157:158]
	v_add_f64_e32 v[149:150], v[149:150], v[153:154]
	v_fma_f64 v[151:152], v[8:9], v[14:15], v[151:152]
	v_fma_f64 v[157:158], v[6:7], v[14:15], -v[16:17]
	ds_load_b128 v[6:9], v1 offset:1152
	s_wait_loadcnt_dscnt 0x801
	v_mul_f64_e32 v[153:154], v[2:3], v[20:21]
	v_mul_f64_e32 v[20:21], v[4:5], v[20:21]
	scratch_load_b128 v[14:17], off, off offset:528
	;; [unrolled: 18-line block ×9, first 2 shown]
	v_add_f64_e32 v[147:148], v[147:148], v[159:160]
	v_add_f64_e32 v[149:150], v[149:150], v[153:154]
	s_wait_loadcnt_dscnt 0x800
	v_mul_f64_e32 v[153:154], v[6:7], v[145:146]
	v_mul_f64_e32 v[145:146], v[8:9], v[145:146]
	v_fma_f64 v[151:152], v[4:5], v[34:35], v[151:152]
	v_fma_f64 v[159:160], v[2:3], v[34:35], -v[36:37]
	ds_load_b128 v[2:5], v1 offset:1392
	scratch_load_b128 v[34:37], off, off offset:768
	v_add_f64_e32 v[147:148], v[147:148], v[157:158]
	v_add_f64_e32 v[149:150], v[149:150], v[155:156]
	v_fma_f64 v[153:154], v[8:9], v[143:144], v[153:154]
	v_fma_f64 v[143:144], v[6:7], v[143:144], -v[145:146]
	ds_load_b128 v[6:9], v1 offset:1408
	s_wait_loadcnt_dscnt 0x801
	v_mul_f64_e32 v[155:156], v[2:3], v[40:41]
	v_mul_f64_e32 v[40:41], v[4:5], v[40:41]
	v_add_f64_e32 v[145:146], v[147:148], v[159:160]
	v_add_f64_e32 v[147:148], v[149:150], v[151:152]
	s_wait_loadcnt_dscnt 0x700
	v_mul_f64_e32 v[149:150], v[6:7], v[141:142]
	v_mul_f64_e32 v[141:142], v[8:9], v[141:142]
	v_fma_f64 v[151:152], v[4:5], v[38:39], v[155:156]
	v_fma_f64 v[38:39], v[2:3], v[38:39], -v[40:41]
	ds_load_b128 v[2:5], v1 offset:1424
	v_add_f64_e32 v[40:41], v[145:146], v[143:144]
	v_add_f64_e32 v[143:144], v[147:148], v[153:154]
	v_fma_f64 v[147:148], v[8:9], v[139:140], v[149:150]
	v_fma_f64 v[139:140], v[6:7], v[139:140], -v[141:142]
	ds_load_b128 v[6:9], v1 offset:1440
	s_wait_loadcnt_dscnt 0x500
	v_mul_f64_e32 v[149:150], v[6:7], v[16:17]
	v_mul_f64_e32 v[16:17], v[8:9], v[16:17]
	v_add_f64_e32 v[141:142], v[40:41], v[38:39]
	v_add_f64_e32 v[143:144], v[143:144], v[151:152]
	scratch_load_b128 v[38:41], off, off offset:144
	v_mul_f64_e32 v[145:146], v[2:3], v[12:13]
	v_mul_f64_e32 v[12:13], v[4:5], v[12:13]
	s_delay_alu instid0(VALU_DEP_2) | instskip(NEXT) | instid1(VALU_DEP_2)
	v_fma_f64 v[145:146], v[4:5], v[10:11], v[145:146]
	v_fma_f64 v[10:11], v[2:3], v[10:11], -v[12:13]
	v_add_f64_e32 v[12:13], v[141:142], v[139:140]
	v_add_f64_e32 v[139:140], v[143:144], v[147:148]
	ds_load_b128 v[2:5], v1 offset:1456
	v_fma_f64 v[143:144], v[8:9], v[14:15], v[149:150]
	v_fma_f64 v[14:15], v[6:7], v[14:15], -v[16:17]
	ds_load_b128 v[6:9], v1 offset:1472
	s_wait_loadcnt_dscnt 0x501
	v_mul_f64_e32 v[141:142], v[2:3], v[20:21]
	v_mul_f64_e32 v[20:21], v[4:5], v[20:21]
	s_wait_loadcnt_dscnt 0x400
	v_mul_f64_e32 v[16:17], v[6:7], v[24:25]
	v_mul_f64_e32 v[24:25], v[8:9], v[24:25]
	v_add_f64_e32 v[10:11], v[12:13], v[10:11]
	v_add_f64_e32 v[12:13], v[139:140], v[145:146]
	v_fma_f64 v[139:140], v[4:5], v[18:19], v[141:142]
	v_fma_f64 v[18:19], v[2:3], v[18:19], -v[20:21]
	ds_load_b128 v[2:5], v1 offset:1488
	v_fma_f64 v[16:17], v[8:9], v[22:23], v[16:17]
	v_fma_f64 v[22:23], v[6:7], v[22:23], -v[24:25]
	ds_load_b128 v[6:9], v1 offset:1504
	v_add_f64_e32 v[10:11], v[10:11], v[14:15]
	v_add_f64_e32 v[12:13], v[12:13], v[143:144]
	s_wait_loadcnt_dscnt 0x301
	v_mul_f64_e32 v[14:15], v[2:3], v[28:29]
	v_mul_f64_e32 v[20:21], v[4:5], v[28:29]
	s_wait_loadcnt_dscnt 0x200
	v_mul_f64_e32 v[24:25], v[8:9], v[32:33]
	v_add_f64_e32 v[10:11], v[10:11], v[18:19]
	v_add_f64_e32 v[12:13], v[12:13], v[139:140]
	v_mul_f64_e32 v[18:19], v[6:7], v[32:33]
	v_fma_f64 v[14:15], v[4:5], v[26:27], v[14:15]
	v_fma_f64 v[20:21], v[2:3], v[26:27], -v[20:21]
	ds_load_b128 v[2:5], v1 offset:1520
	v_fma_f64 v[6:7], v[6:7], v[30:31], -v[24:25]
	v_add_f64_e32 v[10:11], v[10:11], v[22:23]
	v_add_f64_e32 v[12:13], v[12:13], v[16:17]
	s_wait_loadcnt_dscnt 0x100
	v_mul_f64_e32 v[16:17], v[2:3], v[36:37]
	v_mul_f64_e32 v[22:23], v[4:5], v[36:37]
	v_fma_f64 v[8:9], v[8:9], v[30:31], v[18:19]
	v_add_f64_e32 v[10:11], v[10:11], v[20:21]
	v_add_f64_e32 v[12:13], v[12:13], v[14:15]
	v_fma_f64 v[4:5], v[4:5], v[34:35], v[16:17]
	v_fma_f64 v[2:3], v[2:3], v[34:35], -v[22:23]
	s_delay_alu instid0(VALU_DEP_4) | instskip(NEXT) | instid1(VALU_DEP_4)
	v_add_f64_e32 v[6:7], v[10:11], v[6:7]
	v_add_f64_e32 v[8:9], v[12:13], v[8:9]
	s_delay_alu instid0(VALU_DEP_2) | instskip(NEXT) | instid1(VALU_DEP_2)
	v_add_f64_e32 v[2:3], v[6:7], v[2:3]
	v_add_f64_e32 v[4:5], v[8:9], v[4:5]
	s_wait_loadcnt 0x0
	s_delay_alu instid0(VALU_DEP_2) | instskip(NEXT) | instid1(VALU_DEP_2)
	v_add_f64_e64 v[2:3], v[38:39], -v[2:3]
	v_add_f64_e64 v[4:5], v[40:41], -v[4:5]
	scratch_store_b128 off, v[2:5], off offset:144
	v_cmpx_lt_u32_e32 7, v0
	s_cbranch_execz .LBB111_287
; %bb.286:
	scratch_load_b128 v[5:8], off, s54
	v_dual_mov_b32 v2, v1 :: v_dual_mov_b32 v3, v1
	v_mov_b32_e32 v4, v1
	scratch_store_b128 off, v[1:4], off offset:128
	s_wait_loadcnt 0x0
	ds_store_b128 v138, v[5:8]
.LBB111_287:
	s_wait_alu 0xfffe
	s_or_b32 exec_lo, exec_lo, s0
	s_wait_storecnt_dscnt 0x0
	s_barrier_signal -1
	s_barrier_wait -1
	global_inv scope:SCOPE_SE
	s_clause 0x7
	scratch_load_b128 v[2:5], off, off offset:144
	scratch_load_b128 v[6:9], off, off offset:160
	;; [unrolled: 1-line block ×8, first 2 shown]
	ds_load_b128 v[38:41], v1 offset:896
	ds_load_b128 v[139:142], v1 offset:912
	s_clause 0x1
	scratch_load_b128 v[34:37], off, off offset:272
	scratch_load_b128 v[143:146], off, off offset:288
	s_mov_b32 s0, exec_lo
	s_wait_loadcnt_dscnt 0x901
	v_mul_f64_e32 v[147:148], v[40:41], v[4:5]
	v_mul_f64_e32 v[4:5], v[38:39], v[4:5]
	s_wait_loadcnt_dscnt 0x800
	v_mul_f64_e32 v[149:150], v[139:140], v[8:9]
	v_mul_f64_e32 v[8:9], v[141:142], v[8:9]
	s_delay_alu instid0(VALU_DEP_4) | instskip(NEXT) | instid1(VALU_DEP_4)
	v_fma_f64 v[147:148], v[38:39], v[2:3], -v[147:148]
	v_fma_f64 v[151:152], v[40:41], v[2:3], v[4:5]
	ds_load_b128 v[2:5], v1 offset:928
	scratch_load_b128 v[38:41], off, off offset:304
	v_fma_f64 v[149:150], v[141:142], v[6:7], v[149:150]
	v_fma_f64 v[155:156], v[139:140], v[6:7], -v[8:9]
	ds_load_b128 v[6:9], v1 offset:944
	scratch_load_b128 v[139:142], off, off offset:320
	s_wait_loadcnt_dscnt 0x901
	v_mul_f64_e32 v[153:154], v[2:3], v[12:13]
	v_mul_f64_e32 v[12:13], v[4:5], v[12:13]
	s_wait_loadcnt_dscnt 0x800
	v_mul_f64_e32 v[157:158], v[6:7], v[16:17]
	v_mul_f64_e32 v[16:17], v[8:9], v[16:17]
	v_add_f64_e32 v[147:148], 0, v[147:148]
	v_add_f64_e32 v[151:152], 0, v[151:152]
	v_fma_f64 v[153:154], v[4:5], v[10:11], v[153:154]
	v_fma_f64 v[159:160], v[2:3], v[10:11], -v[12:13]
	ds_load_b128 v[2:5], v1 offset:960
	scratch_load_b128 v[10:13], off, off offset:336
	v_add_f64_e32 v[147:148], v[147:148], v[155:156]
	v_add_f64_e32 v[149:150], v[151:152], v[149:150]
	v_fma_f64 v[155:156], v[8:9], v[14:15], v[157:158]
	v_fma_f64 v[157:158], v[6:7], v[14:15], -v[16:17]
	ds_load_b128 v[6:9], v1 offset:976
	scratch_load_b128 v[14:17], off, off offset:352
	s_wait_loadcnt_dscnt 0x901
	v_mul_f64_e32 v[151:152], v[2:3], v[20:21]
	v_mul_f64_e32 v[20:21], v[4:5], v[20:21]
	v_add_f64_e32 v[147:148], v[147:148], v[159:160]
	v_add_f64_e32 v[149:150], v[149:150], v[153:154]
	s_wait_loadcnt_dscnt 0x800
	v_mul_f64_e32 v[153:154], v[6:7], v[24:25]
	v_mul_f64_e32 v[24:25], v[8:9], v[24:25]
	v_fma_f64 v[151:152], v[4:5], v[18:19], v[151:152]
	v_fma_f64 v[159:160], v[2:3], v[18:19], -v[20:21]
	ds_load_b128 v[2:5], v1 offset:992
	scratch_load_b128 v[18:21], off, off offset:368
	v_add_f64_e32 v[147:148], v[147:148], v[157:158]
	v_add_f64_e32 v[149:150], v[149:150], v[155:156]
	v_fma_f64 v[153:154], v[8:9], v[22:23], v[153:154]
	v_fma_f64 v[157:158], v[6:7], v[22:23], -v[24:25]
	ds_load_b128 v[6:9], v1 offset:1008
	s_wait_loadcnt_dscnt 0x801
	v_mul_f64_e32 v[155:156], v[2:3], v[28:29]
	v_mul_f64_e32 v[28:29], v[4:5], v[28:29]
	scratch_load_b128 v[22:25], off, off offset:384
	v_add_f64_e32 v[147:148], v[147:148], v[159:160]
	v_add_f64_e32 v[149:150], v[149:150], v[151:152]
	s_wait_loadcnt_dscnt 0x800
	v_mul_f64_e32 v[151:152], v[6:7], v[32:33]
	v_mul_f64_e32 v[32:33], v[8:9], v[32:33]
	v_fma_f64 v[155:156], v[4:5], v[26:27], v[155:156]
	v_fma_f64 v[159:160], v[2:3], v[26:27], -v[28:29]
	ds_load_b128 v[2:5], v1 offset:1024
	scratch_load_b128 v[26:29], off, off offset:400
	v_add_f64_e32 v[147:148], v[147:148], v[157:158]
	v_add_f64_e32 v[149:150], v[149:150], v[153:154]
	v_fma_f64 v[151:152], v[8:9], v[30:31], v[151:152]
	v_fma_f64 v[157:158], v[6:7], v[30:31], -v[32:33]
	ds_load_b128 v[6:9], v1 offset:1040
	s_wait_loadcnt_dscnt 0x801
	v_mul_f64_e32 v[153:154], v[2:3], v[36:37]
	v_mul_f64_e32 v[36:37], v[4:5], v[36:37]
	scratch_load_b128 v[30:33], off, off offset:416
	v_add_f64_e32 v[147:148], v[147:148], v[159:160]
	v_add_f64_e32 v[149:150], v[149:150], v[155:156]
	s_wait_loadcnt_dscnt 0x800
	v_mul_f64_e32 v[155:156], v[6:7], v[145:146]
	v_mul_f64_e32 v[145:146], v[8:9], v[145:146]
	v_fma_f64 v[153:154], v[4:5], v[34:35], v[153:154]
	v_fma_f64 v[159:160], v[2:3], v[34:35], -v[36:37]
	ds_load_b128 v[2:5], v1 offset:1056
	scratch_load_b128 v[34:37], off, off offset:432
	v_add_f64_e32 v[147:148], v[147:148], v[157:158]
	v_add_f64_e32 v[149:150], v[149:150], v[151:152]
	v_fma_f64 v[155:156], v[8:9], v[143:144], v[155:156]
	v_fma_f64 v[157:158], v[6:7], v[143:144], -v[145:146]
	ds_load_b128 v[6:9], v1 offset:1072
	scratch_load_b128 v[143:146], off, off offset:448
	s_wait_loadcnt_dscnt 0x901
	v_mul_f64_e32 v[151:152], v[2:3], v[40:41]
	v_mul_f64_e32 v[40:41], v[4:5], v[40:41]
	v_add_f64_e32 v[147:148], v[147:148], v[159:160]
	v_add_f64_e32 v[149:150], v[149:150], v[153:154]
	s_wait_loadcnt_dscnt 0x800
	v_mul_f64_e32 v[153:154], v[6:7], v[141:142]
	v_mul_f64_e32 v[141:142], v[8:9], v[141:142]
	v_fma_f64 v[151:152], v[4:5], v[38:39], v[151:152]
	v_fma_f64 v[159:160], v[2:3], v[38:39], -v[40:41]
	ds_load_b128 v[2:5], v1 offset:1088
	scratch_load_b128 v[38:41], off, off offset:464
	v_add_f64_e32 v[147:148], v[147:148], v[157:158]
	v_add_f64_e32 v[149:150], v[149:150], v[155:156]
	v_fma_f64 v[153:154], v[8:9], v[139:140], v[153:154]
	v_fma_f64 v[157:158], v[6:7], v[139:140], -v[141:142]
	ds_load_b128 v[6:9], v1 offset:1104
	s_wait_loadcnt_dscnt 0x801
	v_mul_f64_e32 v[155:156], v[2:3], v[12:13]
	v_mul_f64_e32 v[12:13], v[4:5], v[12:13]
	scratch_load_b128 v[139:142], off, off offset:480
	v_add_f64_e32 v[147:148], v[147:148], v[159:160]
	v_add_f64_e32 v[149:150], v[149:150], v[151:152]
	s_wait_loadcnt_dscnt 0x800
	v_mul_f64_e32 v[151:152], v[6:7], v[16:17]
	v_mul_f64_e32 v[16:17], v[8:9], v[16:17]
	v_fma_f64 v[155:156], v[4:5], v[10:11], v[155:156]
	v_fma_f64 v[159:160], v[2:3], v[10:11], -v[12:13]
	scratch_load_b128 v[10:13], off, off offset:496
	ds_load_b128 v[2:5], v1 offset:1120
	v_add_f64_e32 v[147:148], v[147:148], v[157:158]
	v_add_f64_e32 v[149:150], v[149:150], v[153:154]
	v_fma_f64 v[151:152], v[8:9], v[14:15], v[151:152]
	v_fma_f64 v[157:158], v[6:7], v[14:15], -v[16:17]
	ds_load_b128 v[6:9], v1 offset:1136
	s_wait_loadcnt_dscnt 0x801
	v_mul_f64_e32 v[153:154], v[2:3], v[20:21]
	v_mul_f64_e32 v[20:21], v[4:5], v[20:21]
	scratch_load_b128 v[14:17], off, off offset:512
	v_add_f64_e32 v[147:148], v[147:148], v[159:160]
	v_add_f64_e32 v[149:150], v[149:150], v[155:156]
	s_wait_loadcnt_dscnt 0x800
	v_mul_f64_e32 v[155:156], v[6:7], v[24:25]
	v_mul_f64_e32 v[24:25], v[8:9], v[24:25]
	v_fma_f64 v[153:154], v[4:5], v[18:19], v[153:154]
	v_fma_f64 v[159:160], v[2:3], v[18:19], -v[20:21]
	ds_load_b128 v[2:5], v1 offset:1152
	scratch_load_b128 v[18:21], off, off offset:528
	v_add_f64_e32 v[147:148], v[147:148], v[157:158]
	v_add_f64_e32 v[149:150], v[149:150], v[151:152]
	v_fma_f64 v[155:156], v[8:9], v[22:23], v[155:156]
	v_fma_f64 v[157:158], v[6:7], v[22:23], -v[24:25]
	ds_load_b128 v[6:9], v1 offset:1168
	s_wait_loadcnt_dscnt 0x801
	v_mul_f64_e32 v[151:152], v[2:3], v[28:29]
	v_mul_f64_e32 v[28:29], v[4:5], v[28:29]
	scratch_load_b128 v[22:25], off, off offset:544
	v_add_f64_e32 v[147:148], v[147:148], v[159:160]
	v_add_f64_e32 v[149:150], v[149:150], v[153:154]
	s_wait_loadcnt_dscnt 0x800
	v_mul_f64_e32 v[153:154], v[6:7], v[32:33]
	v_mul_f64_e32 v[32:33], v[8:9], v[32:33]
	v_fma_f64 v[151:152], v[4:5], v[26:27], v[151:152]
	v_fma_f64 v[159:160], v[2:3], v[26:27], -v[28:29]
	ds_load_b128 v[2:5], v1 offset:1184
	scratch_load_b128 v[26:29], off, off offset:560
	;; [unrolled: 18-line block ×4, first 2 shown]
	v_add_f64_e32 v[147:148], v[147:148], v[157:158]
	v_add_f64_e32 v[149:150], v[149:150], v[151:152]
	v_fma_f64 v[155:156], v[8:9], v[139:140], v[155:156]
	v_fma_f64 v[157:158], v[6:7], v[139:140], -v[141:142]
	ds_load_b128 v[6:9], v1 offset:1264
	s_wait_loadcnt_dscnt 0x801
	v_mul_f64_e32 v[151:152], v[2:3], v[12:13]
	v_mul_f64_e32 v[12:13], v[4:5], v[12:13]
	scratch_load_b128 v[139:142], off, off offset:640
	v_add_f64_e32 v[147:148], v[147:148], v[159:160]
	v_add_f64_e32 v[149:150], v[149:150], v[153:154]
	s_wait_loadcnt_dscnt 0x800
	v_mul_f64_e32 v[153:154], v[6:7], v[16:17]
	v_mul_f64_e32 v[16:17], v[8:9], v[16:17]
	v_fma_f64 v[151:152], v[4:5], v[10:11], v[151:152]
	v_fma_f64 v[159:160], v[2:3], v[10:11], -v[12:13]
	scratch_load_b128 v[10:13], off, off offset:656
	ds_load_b128 v[2:5], v1 offset:1280
	v_add_f64_e32 v[147:148], v[147:148], v[157:158]
	v_add_f64_e32 v[149:150], v[149:150], v[155:156]
	v_fma_f64 v[153:154], v[8:9], v[14:15], v[153:154]
	v_fma_f64 v[157:158], v[6:7], v[14:15], -v[16:17]
	ds_load_b128 v[6:9], v1 offset:1296
	s_wait_loadcnt_dscnt 0x801
	v_mul_f64_e32 v[155:156], v[2:3], v[20:21]
	v_mul_f64_e32 v[20:21], v[4:5], v[20:21]
	scratch_load_b128 v[14:17], off, off offset:672
	v_add_f64_e32 v[147:148], v[147:148], v[159:160]
	v_add_f64_e32 v[149:150], v[149:150], v[151:152]
	s_wait_loadcnt_dscnt 0x800
	v_mul_f64_e32 v[151:152], v[6:7], v[24:25]
	v_mul_f64_e32 v[24:25], v[8:9], v[24:25]
	v_fma_f64 v[155:156], v[4:5], v[18:19], v[155:156]
	v_fma_f64 v[159:160], v[2:3], v[18:19], -v[20:21]
	ds_load_b128 v[2:5], v1 offset:1312
	scratch_load_b128 v[18:21], off, off offset:688
	v_add_f64_e32 v[147:148], v[147:148], v[157:158]
	v_add_f64_e32 v[149:150], v[149:150], v[153:154]
	v_fma_f64 v[151:152], v[8:9], v[22:23], v[151:152]
	v_fma_f64 v[157:158], v[6:7], v[22:23], -v[24:25]
	ds_load_b128 v[6:9], v1 offset:1328
	s_wait_loadcnt_dscnt 0x801
	v_mul_f64_e32 v[153:154], v[2:3], v[28:29]
	v_mul_f64_e32 v[28:29], v[4:5], v[28:29]
	scratch_load_b128 v[22:25], off, off offset:704
	v_add_f64_e32 v[147:148], v[147:148], v[159:160]
	v_add_f64_e32 v[149:150], v[149:150], v[155:156]
	s_wait_loadcnt_dscnt 0x800
	v_mul_f64_e32 v[155:156], v[6:7], v[32:33]
	v_mul_f64_e32 v[32:33], v[8:9], v[32:33]
	v_fma_f64 v[153:154], v[4:5], v[26:27], v[153:154]
	v_fma_f64 v[159:160], v[2:3], v[26:27], -v[28:29]
	ds_load_b128 v[2:5], v1 offset:1344
	scratch_load_b128 v[26:29], off, off offset:720
	;; [unrolled: 18-line block ×3, first 2 shown]
	v_add_f64_e32 v[147:148], v[147:148], v[157:158]
	v_add_f64_e32 v[149:150], v[149:150], v[155:156]
	v_fma_f64 v[153:154], v[8:9], v[143:144], v[153:154]
	v_fma_f64 v[157:158], v[6:7], v[143:144], -v[145:146]
	ds_load_b128 v[6:9], v1 offset:1392
	s_wait_loadcnt_dscnt 0x801
	v_mul_f64_e32 v[155:156], v[2:3], v[40:41]
	v_mul_f64_e32 v[40:41], v[4:5], v[40:41]
	scratch_load_b128 v[143:146], off, off offset:768
	v_add_f64_e32 v[147:148], v[147:148], v[159:160]
	v_add_f64_e32 v[149:150], v[149:150], v[151:152]
	v_fma_f64 v[155:156], v[4:5], v[38:39], v[155:156]
	v_fma_f64 v[38:39], v[2:3], v[38:39], -v[40:41]
	ds_load_b128 v[2:5], v1 offset:1408
	v_add_f64_e32 v[40:41], v[147:148], v[157:158]
	v_add_f64_e32 v[147:148], v[149:150], v[153:154]
	s_wait_loadcnt_dscnt 0x700
	v_mul_f64_e32 v[149:150], v[2:3], v[12:13]
	v_mul_f64_e32 v[12:13], v[4:5], v[12:13]
	s_delay_alu instid0(VALU_DEP_4) | instskip(NEXT) | instid1(VALU_DEP_4)
	v_add_f64_e32 v[38:39], v[40:41], v[38:39]
	v_add_f64_e32 v[40:41], v[147:148], v[155:156]
	s_delay_alu instid0(VALU_DEP_4) | instskip(NEXT) | instid1(VALU_DEP_4)
	v_fma_f64 v[147:148], v[4:5], v[10:11], v[149:150]
	v_fma_f64 v[149:150], v[2:3], v[10:11], -v[12:13]
	scratch_load_b128 v[10:13], off, off offset:128
	v_mul_f64_e32 v[151:152], v[6:7], v[141:142]
	v_mul_f64_e32 v[141:142], v[8:9], v[141:142]
	ds_load_b128 v[2:5], v1 offset:1440
	v_fma_f64 v[151:152], v[8:9], v[139:140], v[151:152]
	v_fma_f64 v[139:140], v[6:7], v[139:140], -v[141:142]
	ds_load_b128 v[6:9], v1 offset:1424
	s_wait_loadcnt_dscnt 0x700
	v_mul_f64_e32 v[141:142], v[6:7], v[16:17]
	v_mul_f64_e32 v[16:17], v[8:9], v[16:17]
	v_add_f64_e32 v[40:41], v[40:41], v[151:152]
	v_add_f64_e32 v[38:39], v[38:39], v[139:140]
	s_wait_loadcnt 0x6
	v_mul_f64_e32 v[139:140], v[2:3], v[20:21]
	v_mul_f64_e32 v[20:21], v[4:5], v[20:21]
	v_fma_f64 v[141:142], v[8:9], v[14:15], v[141:142]
	v_fma_f64 v[14:15], v[6:7], v[14:15], -v[16:17]
	ds_load_b128 v[6:9], v1 offset:1456
	v_add_f64_e32 v[16:17], v[38:39], v[149:150]
	v_add_f64_e32 v[38:39], v[40:41], v[147:148]
	v_fma_f64 v[139:140], v[4:5], v[18:19], v[139:140]
	v_fma_f64 v[18:19], v[2:3], v[18:19], -v[20:21]
	ds_load_b128 v[2:5], v1 offset:1472
	s_wait_loadcnt_dscnt 0x501
	v_mul_f64_e32 v[40:41], v[6:7], v[24:25]
	v_mul_f64_e32 v[24:25], v[8:9], v[24:25]
	s_wait_loadcnt_dscnt 0x400
	v_mul_f64_e32 v[20:21], v[2:3], v[28:29]
	v_mul_f64_e32 v[28:29], v[4:5], v[28:29]
	v_add_f64_e32 v[14:15], v[16:17], v[14:15]
	v_add_f64_e32 v[16:17], v[38:39], v[141:142]
	v_fma_f64 v[38:39], v[8:9], v[22:23], v[40:41]
	v_fma_f64 v[22:23], v[6:7], v[22:23], -v[24:25]
	ds_load_b128 v[6:9], v1 offset:1488
	v_fma_f64 v[20:21], v[4:5], v[26:27], v[20:21]
	v_fma_f64 v[26:27], v[2:3], v[26:27], -v[28:29]
	ds_load_b128 v[2:5], v1 offset:1504
	s_wait_loadcnt_dscnt 0x301
	v_mul_f64_e32 v[24:25], v[8:9], v[32:33]
	v_add_f64_e32 v[14:15], v[14:15], v[18:19]
	v_add_f64_e32 v[16:17], v[16:17], v[139:140]
	v_mul_f64_e32 v[18:19], v[6:7], v[32:33]
	s_wait_loadcnt_dscnt 0x200
	v_mul_f64_e32 v[28:29], v[4:5], v[36:37]
	v_fma_f64 v[24:25], v[6:7], v[30:31], -v[24:25]
	v_add_f64_e32 v[14:15], v[14:15], v[22:23]
	v_add_f64_e32 v[16:17], v[16:17], v[38:39]
	v_mul_f64_e32 v[22:23], v[2:3], v[36:37]
	v_fma_f64 v[18:19], v[8:9], v[30:31], v[18:19]
	ds_load_b128 v[6:9], v1 offset:1520
	v_fma_f64 v[1:2], v[2:3], v[34:35], -v[28:29]
	v_add_f64_e32 v[14:15], v[14:15], v[26:27]
	v_add_f64_e32 v[16:17], v[16:17], v[20:21]
	s_wait_loadcnt_dscnt 0x100
	v_mul_f64_e32 v[20:21], v[6:7], v[145:146]
	v_mul_f64_e32 v[26:27], v[8:9], v[145:146]
	v_fma_f64 v[4:5], v[4:5], v[34:35], v[22:23]
	v_add_f64_e32 v[14:15], v[14:15], v[24:25]
	v_add_f64_e32 v[16:17], v[16:17], v[18:19]
	v_fma_f64 v[8:9], v[8:9], v[143:144], v[20:21]
	v_fma_f64 v[6:7], v[6:7], v[143:144], -v[26:27]
	s_delay_alu instid0(VALU_DEP_4) | instskip(NEXT) | instid1(VALU_DEP_4)
	v_add_f64_e32 v[1:2], v[14:15], v[1:2]
	v_add_f64_e32 v[3:4], v[16:17], v[4:5]
	s_delay_alu instid0(VALU_DEP_2) | instskip(NEXT) | instid1(VALU_DEP_2)
	v_add_f64_e32 v[1:2], v[1:2], v[6:7]
	v_add_f64_e32 v[3:4], v[3:4], v[8:9]
	s_wait_loadcnt 0x0
	s_delay_alu instid0(VALU_DEP_2) | instskip(NEXT) | instid1(VALU_DEP_2)
	v_add_f64_e64 v[1:2], v[10:11], -v[1:2]
	v_add_f64_e64 v[3:4], v[12:13], -v[3:4]
	scratch_store_b128 off, v[1:4], off offset:128
	v_cmpx_lt_u32_e32 6, v0
	s_cbranch_execz .LBB111_289
; %bb.288:
	scratch_load_b128 v[1:4], off, s55
	v_mov_b32_e32 v5, 0
	s_delay_alu instid0(VALU_DEP_1)
	v_dual_mov_b32 v6, v5 :: v_dual_mov_b32 v7, v5
	v_mov_b32_e32 v8, v5
	scratch_store_b128 off, v[5:8], off offset:112
	s_wait_loadcnt 0x0
	ds_store_b128 v138, v[1:4]
.LBB111_289:
	s_wait_alu 0xfffe
	s_or_b32 exec_lo, exec_lo, s0
	s_wait_storecnt_dscnt 0x0
	s_barrier_signal -1
	s_barrier_wait -1
	global_inv scope:SCOPE_SE
	s_clause 0x7
	scratch_load_b128 v[2:5], off, off offset:128
	scratch_load_b128 v[6:9], off, off offset:144
	;; [unrolled: 1-line block ×8, first 2 shown]
	v_mov_b32_e32 v1, 0
	s_clause 0x1
	scratch_load_b128 v[34:37], off, off offset:256
	scratch_load_b128 v[143:146], off, off offset:272
	s_mov_b32 s0, exec_lo
	ds_load_b128 v[38:41], v1 offset:880
	ds_load_b128 v[139:142], v1 offset:896
	s_wait_loadcnt_dscnt 0x901
	v_mul_f64_e32 v[147:148], v[40:41], v[4:5]
	v_mul_f64_e32 v[4:5], v[38:39], v[4:5]
	s_wait_loadcnt_dscnt 0x800
	v_mul_f64_e32 v[149:150], v[139:140], v[8:9]
	v_mul_f64_e32 v[8:9], v[141:142], v[8:9]
	s_delay_alu instid0(VALU_DEP_4) | instskip(NEXT) | instid1(VALU_DEP_4)
	v_fma_f64 v[147:148], v[38:39], v[2:3], -v[147:148]
	v_fma_f64 v[151:152], v[40:41], v[2:3], v[4:5]
	ds_load_b128 v[2:5], v1 offset:912
	scratch_load_b128 v[38:41], off, off offset:288
	v_fma_f64 v[149:150], v[141:142], v[6:7], v[149:150]
	v_fma_f64 v[155:156], v[139:140], v[6:7], -v[8:9]
	ds_load_b128 v[6:9], v1 offset:928
	scratch_load_b128 v[139:142], off, off offset:304
	s_wait_loadcnt_dscnt 0x901
	v_mul_f64_e32 v[153:154], v[2:3], v[12:13]
	v_mul_f64_e32 v[12:13], v[4:5], v[12:13]
	s_wait_loadcnt_dscnt 0x800
	v_mul_f64_e32 v[157:158], v[6:7], v[16:17]
	v_mul_f64_e32 v[16:17], v[8:9], v[16:17]
	v_add_f64_e32 v[147:148], 0, v[147:148]
	v_add_f64_e32 v[151:152], 0, v[151:152]
	v_fma_f64 v[153:154], v[4:5], v[10:11], v[153:154]
	v_fma_f64 v[159:160], v[2:3], v[10:11], -v[12:13]
	ds_load_b128 v[2:5], v1 offset:944
	scratch_load_b128 v[10:13], off, off offset:320
	v_add_f64_e32 v[147:148], v[147:148], v[155:156]
	v_add_f64_e32 v[149:150], v[151:152], v[149:150]
	v_fma_f64 v[155:156], v[8:9], v[14:15], v[157:158]
	v_fma_f64 v[157:158], v[6:7], v[14:15], -v[16:17]
	ds_load_b128 v[6:9], v1 offset:960
	scratch_load_b128 v[14:17], off, off offset:336
	s_wait_loadcnt_dscnt 0x901
	v_mul_f64_e32 v[151:152], v[2:3], v[20:21]
	v_mul_f64_e32 v[20:21], v[4:5], v[20:21]
	v_add_f64_e32 v[147:148], v[147:148], v[159:160]
	v_add_f64_e32 v[149:150], v[149:150], v[153:154]
	s_wait_loadcnt_dscnt 0x800
	v_mul_f64_e32 v[153:154], v[6:7], v[24:25]
	v_mul_f64_e32 v[24:25], v[8:9], v[24:25]
	v_fma_f64 v[151:152], v[4:5], v[18:19], v[151:152]
	v_fma_f64 v[159:160], v[2:3], v[18:19], -v[20:21]
	ds_load_b128 v[2:5], v1 offset:976
	scratch_load_b128 v[18:21], off, off offset:352
	v_add_f64_e32 v[147:148], v[147:148], v[157:158]
	v_add_f64_e32 v[149:150], v[149:150], v[155:156]
	v_fma_f64 v[153:154], v[8:9], v[22:23], v[153:154]
	v_fma_f64 v[157:158], v[6:7], v[22:23], -v[24:25]
	ds_load_b128 v[6:9], v1 offset:992
	s_wait_loadcnt_dscnt 0x801
	v_mul_f64_e32 v[155:156], v[2:3], v[28:29]
	v_mul_f64_e32 v[28:29], v[4:5], v[28:29]
	scratch_load_b128 v[22:25], off, off offset:368
	v_add_f64_e32 v[147:148], v[147:148], v[159:160]
	v_add_f64_e32 v[149:150], v[149:150], v[151:152]
	s_wait_loadcnt_dscnt 0x800
	v_mul_f64_e32 v[151:152], v[6:7], v[32:33]
	v_mul_f64_e32 v[32:33], v[8:9], v[32:33]
	v_fma_f64 v[155:156], v[4:5], v[26:27], v[155:156]
	v_fma_f64 v[159:160], v[2:3], v[26:27], -v[28:29]
	ds_load_b128 v[2:5], v1 offset:1008
	scratch_load_b128 v[26:29], off, off offset:384
	v_add_f64_e32 v[147:148], v[147:148], v[157:158]
	v_add_f64_e32 v[149:150], v[149:150], v[153:154]
	v_fma_f64 v[151:152], v[8:9], v[30:31], v[151:152]
	v_fma_f64 v[157:158], v[6:7], v[30:31], -v[32:33]
	ds_load_b128 v[6:9], v1 offset:1024
	s_wait_loadcnt_dscnt 0x801
	v_mul_f64_e32 v[153:154], v[2:3], v[36:37]
	v_mul_f64_e32 v[36:37], v[4:5], v[36:37]
	scratch_load_b128 v[30:33], off, off offset:400
	v_add_f64_e32 v[147:148], v[147:148], v[159:160]
	v_add_f64_e32 v[149:150], v[149:150], v[155:156]
	s_wait_loadcnt_dscnt 0x800
	v_mul_f64_e32 v[155:156], v[6:7], v[145:146]
	v_mul_f64_e32 v[145:146], v[8:9], v[145:146]
	v_fma_f64 v[153:154], v[4:5], v[34:35], v[153:154]
	v_fma_f64 v[159:160], v[2:3], v[34:35], -v[36:37]
	ds_load_b128 v[2:5], v1 offset:1040
	scratch_load_b128 v[34:37], off, off offset:416
	v_add_f64_e32 v[147:148], v[147:148], v[157:158]
	v_add_f64_e32 v[149:150], v[149:150], v[151:152]
	v_fma_f64 v[155:156], v[8:9], v[143:144], v[155:156]
	v_fma_f64 v[157:158], v[6:7], v[143:144], -v[145:146]
	ds_load_b128 v[6:9], v1 offset:1056
	scratch_load_b128 v[143:146], off, off offset:432
	s_wait_loadcnt_dscnt 0x901
	v_mul_f64_e32 v[151:152], v[2:3], v[40:41]
	v_mul_f64_e32 v[40:41], v[4:5], v[40:41]
	v_add_f64_e32 v[147:148], v[147:148], v[159:160]
	v_add_f64_e32 v[149:150], v[149:150], v[153:154]
	s_wait_loadcnt_dscnt 0x800
	v_mul_f64_e32 v[153:154], v[6:7], v[141:142]
	v_mul_f64_e32 v[141:142], v[8:9], v[141:142]
	v_fma_f64 v[151:152], v[4:5], v[38:39], v[151:152]
	v_fma_f64 v[159:160], v[2:3], v[38:39], -v[40:41]
	ds_load_b128 v[2:5], v1 offset:1072
	scratch_load_b128 v[38:41], off, off offset:448
	v_add_f64_e32 v[147:148], v[147:148], v[157:158]
	v_add_f64_e32 v[149:150], v[149:150], v[155:156]
	v_fma_f64 v[153:154], v[8:9], v[139:140], v[153:154]
	v_fma_f64 v[157:158], v[6:7], v[139:140], -v[141:142]
	ds_load_b128 v[6:9], v1 offset:1088
	s_wait_loadcnt_dscnt 0x801
	v_mul_f64_e32 v[155:156], v[2:3], v[12:13]
	v_mul_f64_e32 v[12:13], v[4:5], v[12:13]
	scratch_load_b128 v[139:142], off, off offset:464
	v_add_f64_e32 v[147:148], v[147:148], v[159:160]
	v_add_f64_e32 v[149:150], v[149:150], v[151:152]
	s_wait_loadcnt_dscnt 0x800
	v_mul_f64_e32 v[151:152], v[6:7], v[16:17]
	v_mul_f64_e32 v[16:17], v[8:9], v[16:17]
	v_fma_f64 v[155:156], v[4:5], v[10:11], v[155:156]
	v_fma_f64 v[159:160], v[2:3], v[10:11], -v[12:13]
	ds_load_b128 v[2:5], v1 offset:1104
	scratch_load_b128 v[10:13], off, off offset:480
	v_add_f64_e32 v[147:148], v[147:148], v[157:158]
	v_add_f64_e32 v[149:150], v[149:150], v[153:154]
	v_fma_f64 v[151:152], v[8:9], v[14:15], v[151:152]
	v_fma_f64 v[157:158], v[6:7], v[14:15], -v[16:17]
	ds_load_b128 v[6:9], v1 offset:1120
	s_wait_loadcnt_dscnt 0x801
	v_mul_f64_e32 v[153:154], v[2:3], v[20:21]
	v_mul_f64_e32 v[20:21], v[4:5], v[20:21]
	scratch_load_b128 v[14:17], off, off offset:496
	;; [unrolled: 18-line block ×10, first 2 shown]
	v_add_f64_e32 v[147:148], v[147:148], v[159:160]
	v_add_f64_e32 v[149:150], v[149:150], v[151:152]
	s_wait_loadcnt_dscnt 0x800
	v_mul_f64_e32 v[151:152], v[6:7], v[141:142]
	v_mul_f64_e32 v[141:142], v[8:9], v[141:142]
	v_fma_f64 v[155:156], v[4:5], v[38:39], v[155:156]
	v_fma_f64 v[159:160], v[2:3], v[38:39], -v[40:41]
	ds_load_b128 v[2:5], v1 offset:1392
	scratch_load_b128 v[38:41], off, off offset:768
	v_add_f64_e32 v[147:148], v[147:148], v[157:158]
	v_add_f64_e32 v[149:150], v[149:150], v[153:154]
	v_fma_f64 v[151:152], v[8:9], v[139:140], v[151:152]
	v_fma_f64 v[139:140], v[6:7], v[139:140], -v[141:142]
	ds_load_b128 v[6:9], v1 offset:1408
	s_wait_loadcnt_dscnt 0x801
	v_mul_f64_e32 v[153:154], v[2:3], v[12:13]
	v_mul_f64_e32 v[12:13], v[4:5], v[12:13]
	v_add_f64_e32 v[141:142], v[147:148], v[159:160]
	v_add_f64_e32 v[147:148], v[149:150], v[155:156]
	s_wait_loadcnt_dscnt 0x700
	v_mul_f64_e32 v[149:150], v[6:7], v[16:17]
	v_mul_f64_e32 v[16:17], v[8:9], v[16:17]
	v_fma_f64 v[153:154], v[4:5], v[10:11], v[153:154]
	v_fma_f64 v[10:11], v[2:3], v[10:11], -v[12:13]
	ds_load_b128 v[2:5], v1 offset:1424
	v_add_f64_e32 v[12:13], v[141:142], v[139:140]
	v_add_f64_e32 v[139:140], v[147:148], v[151:152]
	v_fma_f64 v[147:148], v[8:9], v[14:15], v[149:150]
	v_fma_f64 v[14:15], v[6:7], v[14:15], -v[16:17]
	ds_load_b128 v[6:9], v1 offset:1440
	s_wait_loadcnt_dscnt 0x500
	v_mul_f64_e32 v[149:150], v[6:7], v[24:25]
	v_mul_f64_e32 v[24:25], v[8:9], v[24:25]
	v_add_f64_e32 v[16:17], v[12:13], v[10:11]
	v_add_f64_e32 v[139:140], v[139:140], v[153:154]
	scratch_load_b128 v[10:13], off, off offset:112
	v_mul_f64_e32 v[141:142], v[2:3], v[20:21]
	v_mul_f64_e32 v[20:21], v[4:5], v[20:21]
	v_add_f64_e32 v[14:15], v[16:17], v[14:15]
	v_add_f64_e32 v[16:17], v[139:140], v[147:148]
	v_fma_f64 v[139:140], v[8:9], v[22:23], v[149:150]
	v_fma_f64 v[141:142], v[4:5], v[18:19], v[141:142]
	v_fma_f64 v[18:19], v[2:3], v[18:19], -v[20:21]
	ds_load_b128 v[2:5], v1 offset:1456
	v_fma_f64 v[22:23], v[6:7], v[22:23], -v[24:25]
	ds_load_b128 v[6:9], v1 offset:1472
	s_wait_loadcnt_dscnt 0x501
	v_mul_f64_e32 v[20:21], v[2:3], v[28:29]
	v_mul_f64_e32 v[28:29], v[4:5], v[28:29]
	s_wait_loadcnt_dscnt 0x400
	v_mul_f64_e32 v[24:25], v[8:9], v[32:33]
	v_add_f64_e32 v[16:17], v[16:17], v[141:142]
	v_add_f64_e32 v[14:15], v[14:15], v[18:19]
	v_mul_f64_e32 v[18:19], v[6:7], v[32:33]
	v_fma_f64 v[20:21], v[4:5], v[26:27], v[20:21]
	v_fma_f64 v[26:27], v[2:3], v[26:27], -v[28:29]
	ds_load_b128 v[2:5], v1 offset:1488
	v_fma_f64 v[24:25], v[6:7], v[30:31], -v[24:25]
	v_add_f64_e32 v[16:17], v[16:17], v[139:140]
	v_add_f64_e32 v[14:15], v[14:15], v[22:23]
	v_fma_f64 v[18:19], v[8:9], v[30:31], v[18:19]
	ds_load_b128 v[6:9], v1 offset:1504
	s_wait_loadcnt_dscnt 0x301
	v_mul_f64_e32 v[22:23], v[2:3], v[36:37]
	v_mul_f64_e32 v[28:29], v[4:5], v[36:37]
	v_add_f64_e32 v[16:17], v[16:17], v[20:21]
	v_add_f64_e32 v[14:15], v[14:15], v[26:27]
	s_wait_loadcnt_dscnt 0x200
	v_mul_f64_e32 v[20:21], v[6:7], v[145:146]
	v_mul_f64_e32 v[26:27], v[8:9], v[145:146]
	v_fma_f64 v[22:23], v[4:5], v[34:35], v[22:23]
	v_fma_f64 v[28:29], v[2:3], v[34:35], -v[28:29]
	ds_load_b128 v[2:5], v1 offset:1520
	v_add_f64_e32 v[16:17], v[16:17], v[18:19]
	v_add_f64_e32 v[14:15], v[14:15], v[24:25]
	s_wait_loadcnt_dscnt 0x100
	v_mul_f64_e32 v[18:19], v[2:3], v[40:41]
	v_mul_f64_e32 v[24:25], v[4:5], v[40:41]
	v_fma_f64 v[8:9], v[8:9], v[143:144], v[20:21]
	v_fma_f64 v[6:7], v[6:7], v[143:144], -v[26:27]
	v_add_f64_e32 v[16:17], v[16:17], v[22:23]
	v_add_f64_e32 v[14:15], v[14:15], v[28:29]
	v_fma_f64 v[4:5], v[4:5], v[38:39], v[18:19]
	v_fma_f64 v[2:3], v[2:3], v[38:39], -v[24:25]
	s_delay_alu instid0(VALU_DEP_4) | instskip(NEXT) | instid1(VALU_DEP_4)
	v_add_f64_e32 v[8:9], v[16:17], v[8:9]
	v_add_f64_e32 v[6:7], v[14:15], v[6:7]
	s_delay_alu instid0(VALU_DEP_2) | instskip(NEXT) | instid1(VALU_DEP_2)
	v_add_f64_e32 v[4:5], v[8:9], v[4:5]
	v_add_f64_e32 v[2:3], v[6:7], v[2:3]
	s_wait_loadcnt 0x0
	s_delay_alu instid0(VALU_DEP_2) | instskip(NEXT) | instid1(VALU_DEP_2)
	v_add_f64_e64 v[4:5], v[12:13], -v[4:5]
	v_add_f64_e64 v[2:3], v[10:11], -v[2:3]
	scratch_store_b128 off, v[2:5], off offset:112
	v_cmpx_lt_u32_e32 5, v0
	s_cbranch_execz .LBB111_291
; %bb.290:
	scratch_load_b128 v[5:8], off, s56
	v_dual_mov_b32 v2, v1 :: v_dual_mov_b32 v3, v1
	v_mov_b32_e32 v4, v1
	scratch_store_b128 off, v[1:4], off offset:96
	s_wait_loadcnt 0x0
	ds_store_b128 v138, v[5:8]
.LBB111_291:
	s_wait_alu 0xfffe
	s_or_b32 exec_lo, exec_lo, s0
	s_wait_storecnt_dscnt 0x0
	s_barrier_signal -1
	s_barrier_wait -1
	global_inv scope:SCOPE_SE
	s_clause 0x7
	scratch_load_b128 v[2:5], off, off offset:112
	scratch_load_b128 v[6:9], off, off offset:128
	;; [unrolled: 1-line block ×8, first 2 shown]
	ds_load_b128 v[38:41], v1 offset:864
	ds_load_b128 v[139:142], v1 offset:880
	s_clause 0x1
	scratch_load_b128 v[34:37], off, off offset:240
	scratch_load_b128 v[143:146], off, off offset:256
	s_mov_b32 s0, exec_lo
	s_wait_loadcnt_dscnt 0x901
	v_mul_f64_e32 v[147:148], v[40:41], v[4:5]
	v_mul_f64_e32 v[4:5], v[38:39], v[4:5]
	s_wait_loadcnt_dscnt 0x800
	v_mul_f64_e32 v[149:150], v[139:140], v[8:9]
	v_mul_f64_e32 v[8:9], v[141:142], v[8:9]
	s_delay_alu instid0(VALU_DEP_4) | instskip(NEXT) | instid1(VALU_DEP_4)
	v_fma_f64 v[147:148], v[38:39], v[2:3], -v[147:148]
	v_fma_f64 v[151:152], v[40:41], v[2:3], v[4:5]
	ds_load_b128 v[2:5], v1 offset:896
	scratch_load_b128 v[38:41], off, off offset:272
	v_fma_f64 v[149:150], v[141:142], v[6:7], v[149:150]
	v_fma_f64 v[155:156], v[139:140], v[6:7], -v[8:9]
	ds_load_b128 v[6:9], v1 offset:912
	scratch_load_b128 v[139:142], off, off offset:288
	s_wait_loadcnt_dscnt 0x901
	v_mul_f64_e32 v[153:154], v[2:3], v[12:13]
	v_mul_f64_e32 v[12:13], v[4:5], v[12:13]
	s_wait_loadcnt_dscnt 0x800
	v_mul_f64_e32 v[157:158], v[6:7], v[16:17]
	v_mul_f64_e32 v[16:17], v[8:9], v[16:17]
	v_add_f64_e32 v[147:148], 0, v[147:148]
	v_add_f64_e32 v[151:152], 0, v[151:152]
	v_fma_f64 v[153:154], v[4:5], v[10:11], v[153:154]
	v_fma_f64 v[159:160], v[2:3], v[10:11], -v[12:13]
	ds_load_b128 v[2:5], v1 offset:928
	scratch_load_b128 v[10:13], off, off offset:304
	v_add_f64_e32 v[147:148], v[147:148], v[155:156]
	v_add_f64_e32 v[149:150], v[151:152], v[149:150]
	v_fma_f64 v[155:156], v[8:9], v[14:15], v[157:158]
	v_fma_f64 v[157:158], v[6:7], v[14:15], -v[16:17]
	ds_load_b128 v[6:9], v1 offset:944
	scratch_load_b128 v[14:17], off, off offset:320
	s_wait_loadcnt_dscnt 0x901
	v_mul_f64_e32 v[151:152], v[2:3], v[20:21]
	v_mul_f64_e32 v[20:21], v[4:5], v[20:21]
	v_add_f64_e32 v[147:148], v[147:148], v[159:160]
	v_add_f64_e32 v[149:150], v[149:150], v[153:154]
	s_wait_loadcnt_dscnt 0x800
	v_mul_f64_e32 v[153:154], v[6:7], v[24:25]
	v_mul_f64_e32 v[24:25], v[8:9], v[24:25]
	v_fma_f64 v[151:152], v[4:5], v[18:19], v[151:152]
	v_fma_f64 v[159:160], v[2:3], v[18:19], -v[20:21]
	ds_load_b128 v[2:5], v1 offset:960
	scratch_load_b128 v[18:21], off, off offset:336
	v_add_f64_e32 v[147:148], v[147:148], v[157:158]
	v_add_f64_e32 v[149:150], v[149:150], v[155:156]
	v_fma_f64 v[153:154], v[8:9], v[22:23], v[153:154]
	v_fma_f64 v[157:158], v[6:7], v[22:23], -v[24:25]
	ds_load_b128 v[6:9], v1 offset:976
	s_wait_loadcnt_dscnt 0x801
	v_mul_f64_e32 v[155:156], v[2:3], v[28:29]
	v_mul_f64_e32 v[28:29], v[4:5], v[28:29]
	scratch_load_b128 v[22:25], off, off offset:352
	v_add_f64_e32 v[147:148], v[147:148], v[159:160]
	v_add_f64_e32 v[149:150], v[149:150], v[151:152]
	s_wait_loadcnt_dscnt 0x800
	v_mul_f64_e32 v[151:152], v[6:7], v[32:33]
	v_mul_f64_e32 v[32:33], v[8:9], v[32:33]
	v_fma_f64 v[155:156], v[4:5], v[26:27], v[155:156]
	v_fma_f64 v[159:160], v[2:3], v[26:27], -v[28:29]
	ds_load_b128 v[2:5], v1 offset:992
	scratch_load_b128 v[26:29], off, off offset:368
	v_add_f64_e32 v[147:148], v[147:148], v[157:158]
	v_add_f64_e32 v[149:150], v[149:150], v[153:154]
	v_fma_f64 v[151:152], v[8:9], v[30:31], v[151:152]
	v_fma_f64 v[157:158], v[6:7], v[30:31], -v[32:33]
	ds_load_b128 v[6:9], v1 offset:1008
	s_wait_loadcnt_dscnt 0x801
	v_mul_f64_e32 v[153:154], v[2:3], v[36:37]
	v_mul_f64_e32 v[36:37], v[4:5], v[36:37]
	scratch_load_b128 v[30:33], off, off offset:384
	v_add_f64_e32 v[147:148], v[147:148], v[159:160]
	v_add_f64_e32 v[149:150], v[149:150], v[155:156]
	s_wait_loadcnt_dscnt 0x800
	v_mul_f64_e32 v[155:156], v[6:7], v[145:146]
	v_mul_f64_e32 v[145:146], v[8:9], v[145:146]
	v_fma_f64 v[153:154], v[4:5], v[34:35], v[153:154]
	v_fma_f64 v[159:160], v[2:3], v[34:35], -v[36:37]
	ds_load_b128 v[2:5], v1 offset:1024
	scratch_load_b128 v[34:37], off, off offset:400
	v_add_f64_e32 v[147:148], v[147:148], v[157:158]
	v_add_f64_e32 v[149:150], v[149:150], v[151:152]
	v_fma_f64 v[155:156], v[8:9], v[143:144], v[155:156]
	v_fma_f64 v[157:158], v[6:7], v[143:144], -v[145:146]
	ds_load_b128 v[6:9], v1 offset:1040
	scratch_load_b128 v[143:146], off, off offset:416
	s_wait_loadcnt_dscnt 0x901
	v_mul_f64_e32 v[151:152], v[2:3], v[40:41]
	v_mul_f64_e32 v[40:41], v[4:5], v[40:41]
	v_add_f64_e32 v[147:148], v[147:148], v[159:160]
	v_add_f64_e32 v[149:150], v[149:150], v[153:154]
	s_wait_loadcnt_dscnt 0x800
	v_mul_f64_e32 v[153:154], v[6:7], v[141:142]
	v_mul_f64_e32 v[141:142], v[8:9], v[141:142]
	v_fma_f64 v[151:152], v[4:5], v[38:39], v[151:152]
	v_fma_f64 v[159:160], v[2:3], v[38:39], -v[40:41]
	ds_load_b128 v[2:5], v1 offset:1056
	scratch_load_b128 v[38:41], off, off offset:432
	v_add_f64_e32 v[147:148], v[147:148], v[157:158]
	v_add_f64_e32 v[149:150], v[149:150], v[155:156]
	v_fma_f64 v[153:154], v[8:9], v[139:140], v[153:154]
	v_fma_f64 v[157:158], v[6:7], v[139:140], -v[141:142]
	ds_load_b128 v[6:9], v1 offset:1072
	s_wait_loadcnt_dscnt 0x801
	v_mul_f64_e32 v[155:156], v[2:3], v[12:13]
	v_mul_f64_e32 v[12:13], v[4:5], v[12:13]
	scratch_load_b128 v[139:142], off, off offset:448
	v_add_f64_e32 v[147:148], v[147:148], v[159:160]
	v_add_f64_e32 v[149:150], v[149:150], v[151:152]
	s_wait_loadcnt_dscnt 0x800
	v_mul_f64_e32 v[151:152], v[6:7], v[16:17]
	v_mul_f64_e32 v[16:17], v[8:9], v[16:17]
	v_fma_f64 v[155:156], v[4:5], v[10:11], v[155:156]
	v_fma_f64 v[159:160], v[2:3], v[10:11], -v[12:13]
	ds_load_b128 v[2:5], v1 offset:1088
	scratch_load_b128 v[10:13], off, off offset:464
	v_add_f64_e32 v[147:148], v[147:148], v[157:158]
	v_add_f64_e32 v[149:150], v[149:150], v[153:154]
	v_fma_f64 v[151:152], v[8:9], v[14:15], v[151:152]
	v_fma_f64 v[157:158], v[6:7], v[14:15], -v[16:17]
	ds_load_b128 v[6:9], v1 offset:1104
	s_wait_loadcnt_dscnt 0x801
	v_mul_f64_e32 v[153:154], v[2:3], v[20:21]
	v_mul_f64_e32 v[20:21], v[4:5], v[20:21]
	scratch_load_b128 v[14:17], off, off offset:480
	;; [unrolled: 18-line block ×11, first 2 shown]
	v_add_f64_e32 v[147:148], v[147:148], v[159:160]
	v_add_f64_e32 v[149:150], v[149:150], v[155:156]
	s_wait_loadcnt_dscnt 0x800
	v_mul_f64_e32 v[155:156], v[6:7], v[16:17]
	v_mul_f64_e32 v[16:17], v[8:9], v[16:17]
	v_fma_f64 v[153:154], v[4:5], v[10:11], v[153:154]
	v_fma_f64 v[10:11], v[2:3], v[10:11], -v[12:13]
	ds_load_b128 v[2:5], v1 offset:1408
	v_add_f64_e32 v[12:13], v[147:148], v[157:158]
	v_add_f64_e32 v[147:148], v[149:150], v[151:152]
	v_fma_f64 v[151:152], v[8:9], v[14:15], v[155:156]
	v_fma_f64 v[14:15], v[6:7], v[14:15], -v[16:17]
	ds_load_b128 v[6:9], v1 offset:1424
	s_wait_loadcnt_dscnt 0x701
	v_mul_f64_e32 v[149:150], v[2:3], v[20:21]
	v_mul_f64_e32 v[20:21], v[4:5], v[20:21]
	v_add_f64_e32 v[10:11], v[12:13], v[10:11]
	v_add_f64_e32 v[12:13], v[147:148], v[153:154]
	s_delay_alu instid0(VALU_DEP_4) | instskip(NEXT) | instid1(VALU_DEP_4)
	v_fma_f64 v[147:148], v[4:5], v[18:19], v[149:150]
	v_fma_f64 v[18:19], v[2:3], v[18:19], -v[20:21]
	ds_load_b128 v[2:5], v1 offset:1440
	v_add_f64_e32 v[14:15], v[10:11], v[14:15]
	v_add_f64_e32 v[20:21], v[12:13], v[151:152]
	scratch_load_b128 v[10:13], off, off offset:96
	s_wait_loadcnt_dscnt 0x701
	v_mul_f64_e32 v[16:17], v[6:7], v[24:25]
	v_mul_f64_e32 v[24:25], v[8:9], v[24:25]
	v_add_f64_e32 v[14:15], v[14:15], v[18:19]
	v_add_f64_e32 v[18:19], v[20:21], v[147:148]
	s_delay_alu instid0(VALU_DEP_4) | instskip(NEXT) | instid1(VALU_DEP_4)
	v_fma_f64 v[16:17], v[8:9], v[22:23], v[16:17]
	v_fma_f64 v[22:23], v[6:7], v[22:23], -v[24:25]
	ds_load_b128 v[6:9], v1 offset:1456
	s_wait_loadcnt_dscnt 0x601
	v_mul_f64_e32 v[149:150], v[2:3], v[28:29]
	v_mul_f64_e32 v[28:29], v[4:5], v[28:29]
	s_wait_loadcnt_dscnt 0x500
	v_mul_f64_e32 v[20:21], v[6:7], v[32:33]
	v_mul_f64_e32 v[24:25], v[8:9], v[32:33]
	v_add_f64_e32 v[16:17], v[18:19], v[16:17]
	v_add_f64_e32 v[14:15], v[14:15], v[22:23]
	v_fma_f64 v[32:33], v[4:5], v[26:27], v[149:150]
	v_fma_f64 v[26:27], v[2:3], v[26:27], -v[28:29]
	ds_load_b128 v[2:5], v1 offset:1472
	v_fma_f64 v[20:21], v[8:9], v[30:31], v[20:21]
	v_fma_f64 v[24:25], v[6:7], v[30:31], -v[24:25]
	ds_load_b128 v[6:9], v1 offset:1488
	s_wait_loadcnt_dscnt 0x401
	v_mul_f64_e32 v[18:19], v[2:3], v[36:37]
	v_mul_f64_e32 v[22:23], v[4:5], v[36:37]
	v_add_f64_e32 v[16:17], v[16:17], v[32:33]
	v_add_f64_e32 v[14:15], v[14:15], v[26:27]
	s_wait_loadcnt_dscnt 0x300
	v_mul_f64_e32 v[26:27], v[6:7], v[145:146]
	v_mul_f64_e32 v[28:29], v[8:9], v[145:146]
	v_fma_f64 v[18:19], v[4:5], v[34:35], v[18:19]
	v_fma_f64 v[22:23], v[2:3], v[34:35], -v[22:23]
	ds_load_b128 v[2:5], v1 offset:1504
	v_add_f64_e32 v[16:17], v[16:17], v[20:21]
	v_add_f64_e32 v[14:15], v[14:15], v[24:25]
	v_fma_f64 v[26:27], v[8:9], v[143:144], v[26:27]
	v_fma_f64 v[28:29], v[6:7], v[143:144], -v[28:29]
	ds_load_b128 v[6:9], v1 offset:1520
	s_wait_loadcnt_dscnt 0x201
	v_mul_f64_e32 v[20:21], v[2:3], v[40:41]
	v_mul_f64_e32 v[24:25], v[4:5], v[40:41]
	v_add_f64_e32 v[16:17], v[16:17], v[18:19]
	v_add_f64_e32 v[14:15], v[14:15], v[22:23]
	s_wait_loadcnt_dscnt 0x100
	v_mul_f64_e32 v[18:19], v[6:7], v[141:142]
	v_mul_f64_e32 v[22:23], v[8:9], v[141:142]
	v_fma_f64 v[4:5], v[4:5], v[38:39], v[20:21]
	v_fma_f64 v[1:2], v[2:3], v[38:39], -v[24:25]
	v_add_f64_e32 v[16:17], v[16:17], v[26:27]
	v_add_f64_e32 v[14:15], v[14:15], v[28:29]
	v_fma_f64 v[8:9], v[8:9], v[139:140], v[18:19]
	v_fma_f64 v[6:7], v[6:7], v[139:140], -v[22:23]
	s_delay_alu instid0(VALU_DEP_4) | instskip(NEXT) | instid1(VALU_DEP_4)
	v_add_f64_e32 v[3:4], v[16:17], v[4:5]
	v_add_f64_e32 v[1:2], v[14:15], v[1:2]
	s_delay_alu instid0(VALU_DEP_2) | instskip(NEXT) | instid1(VALU_DEP_2)
	v_add_f64_e32 v[3:4], v[3:4], v[8:9]
	v_add_f64_e32 v[1:2], v[1:2], v[6:7]
	s_wait_loadcnt 0x0
	s_delay_alu instid0(VALU_DEP_2) | instskip(NEXT) | instid1(VALU_DEP_2)
	v_add_f64_e64 v[3:4], v[12:13], -v[3:4]
	v_add_f64_e64 v[1:2], v[10:11], -v[1:2]
	scratch_store_b128 off, v[1:4], off offset:96
	v_cmpx_lt_u32_e32 4, v0
	s_cbranch_execz .LBB111_293
; %bb.292:
	scratch_load_b128 v[1:4], off, s4
	v_mov_b32_e32 v5, 0
	s_delay_alu instid0(VALU_DEP_1)
	v_dual_mov_b32 v6, v5 :: v_dual_mov_b32 v7, v5
	v_mov_b32_e32 v8, v5
	scratch_store_b128 off, v[5:8], off offset:80
	s_wait_loadcnt 0x0
	ds_store_b128 v138, v[1:4]
.LBB111_293:
	s_wait_alu 0xfffe
	s_or_b32 exec_lo, exec_lo, s0
	s_wait_storecnt_dscnt 0x0
	s_barrier_signal -1
	s_barrier_wait -1
	global_inv scope:SCOPE_SE
	s_clause 0x7
	scratch_load_b128 v[2:5], off, off offset:96
	scratch_load_b128 v[6:9], off, off offset:112
	;; [unrolled: 1-line block ×8, first 2 shown]
	v_mov_b32_e32 v1, 0
	s_clause 0x1
	scratch_load_b128 v[34:37], off, off offset:224
	scratch_load_b128 v[143:146], off, off offset:240
	s_mov_b32 s0, exec_lo
	ds_load_b128 v[38:41], v1 offset:848
	ds_load_b128 v[139:142], v1 offset:864
	s_wait_loadcnt_dscnt 0x901
	v_mul_f64_e32 v[147:148], v[40:41], v[4:5]
	v_mul_f64_e32 v[4:5], v[38:39], v[4:5]
	s_wait_loadcnt_dscnt 0x800
	v_mul_f64_e32 v[149:150], v[139:140], v[8:9]
	v_mul_f64_e32 v[8:9], v[141:142], v[8:9]
	s_delay_alu instid0(VALU_DEP_4) | instskip(NEXT) | instid1(VALU_DEP_4)
	v_fma_f64 v[147:148], v[38:39], v[2:3], -v[147:148]
	v_fma_f64 v[151:152], v[40:41], v[2:3], v[4:5]
	ds_load_b128 v[2:5], v1 offset:880
	scratch_load_b128 v[38:41], off, off offset:256
	v_fma_f64 v[149:150], v[141:142], v[6:7], v[149:150]
	v_fma_f64 v[155:156], v[139:140], v[6:7], -v[8:9]
	ds_load_b128 v[6:9], v1 offset:896
	scratch_load_b128 v[139:142], off, off offset:272
	s_wait_loadcnt_dscnt 0x901
	v_mul_f64_e32 v[153:154], v[2:3], v[12:13]
	v_mul_f64_e32 v[12:13], v[4:5], v[12:13]
	s_wait_loadcnt_dscnt 0x800
	v_mul_f64_e32 v[157:158], v[6:7], v[16:17]
	v_mul_f64_e32 v[16:17], v[8:9], v[16:17]
	v_add_f64_e32 v[147:148], 0, v[147:148]
	v_add_f64_e32 v[151:152], 0, v[151:152]
	v_fma_f64 v[153:154], v[4:5], v[10:11], v[153:154]
	v_fma_f64 v[159:160], v[2:3], v[10:11], -v[12:13]
	ds_load_b128 v[2:5], v1 offset:912
	scratch_load_b128 v[10:13], off, off offset:288
	v_add_f64_e32 v[147:148], v[147:148], v[155:156]
	v_add_f64_e32 v[149:150], v[151:152], v[149:150]
	v_fma_f64 v[155:156], v[8:9], v[14:15], v[157:158]
	v_fma_f64 v[157:158], v[6:7], v[14:15], -v[16:17]
	ds_load_b128 v[6:9], v1 offset:928
	scratch_load_b128 v[14:17], off, off offset:304
	s_wait_loadcnt_dscnt 0x901
	v_mul_f64_e32 v[151:152], v[2:3], v[20:21]
	v_mul_f64_e32 v[20:21], v[4:5], v[20:21]
	v_add_f64_e32 v[147:148], v[147:148], v[159:160]
	v_add_f64_e32 v[149:150], v[149:150], v[153:154]
	s_wait_loadcnt_dscnt 0x800
	v_mul_f64_e32 v[153:154], v[6:7], v[24:25]
	v_mul_f64_e32 v[24:25], v[8:9], v[24:25]
	v_fma_f64 v[151:152], v[4:5], v[18:19], v[151:152]
	v_fma_f64 v[159:160], v[2:3], v[18:19], -v[20:21]
	ds_load_b128 v[2:5], v1 offset:944
	scratch_load_b128 v[18:21], off, off offset:320
	v_add_f64_e32 v[147:148], v[147:148], v[157:158]
	v_add_f64_e32 v[149:150], v[149:150], v[155:156]
	v_fma_f64 v[153:154], v[8:9], v[22:23], v[153:154]
	v_fma_f64 v[157:158], v[6:7], v[22:23], -v[24:25]
	ds_load_b128 v[6:9], v1 offset:960
	s_wait_loadcnt_dscnt 0x801
	v_mul_f64_e32 v[155:156], v[2:3], v[28:29]
	v_mul_f64_e32 v[28:29], v[4:5], v[28:29]
	scratch_load_b128 v[22:25], off, off offset:336
	v_add_f64_e32 v[147:148], v[147:148], v[159:160]
	v_add_f64_e32 v[149:150], v[149:150], v[151:152]
	s_wait_loadcnt_dscnt 0x800
	v_mul_f64_e32 v[151:152], v[6:7], v[32:33]
	v_mul_f64_e32 v[32:33], v[8:9], v[32:33]
	v_fma_f64 v[155:156], v[4:5], v[26:27], v[155:156]
	v_fma_f64 v[159:160], v[2:3], v[26:27], -v[28:29]
	ds_load_b128 v[2:5], v1 offset:976
	scratch_load_b128 v[26:29], off, off offset:352
	v_add_f64_e32 v[147:148], v[147:148], v[157:158]
	v_add_f64_e32 v[149:150], v[149:150], v[153:154]
	v_fma_f64 v[151:152], v[8:9], v[30:31], v[151:152]
	v_fma_f64 v[157:158], v[6:7], v[30:31], -v[32:33]
	ds_load_b128 v[6:9], v1 offset:992
	s_wait_loadcnt_dscnt 0x801
	v_mul_f64_e32 v[153:154], v[2:3], v[36:37]
	v_mul_f64_e32 v[36:37], v[4:5], v[36:37]
	scratch_load_b128 v[30:33], off, off offset:368
	v_add_f64_e32 v[147:148], v[147:148], v[159:160]
	v_add_f64_e32 v[149:150], v[149:150], v[155:156]
	s_wait_loadcnt_dscnt 0x800
	v_mul_f64_e32 v[155:156], v[6:7], v[145:146]
	v_mul_f64_e32 v[145:146], v[8:9], v[145:146]
	v_fma_f64 v[153:154], v[4:5], v[34:35], v[153:154]
	v_fma_f64 v[159:160], v[2:3], v[34:35], -v[36:37]
	ds_load_b128 v[2:5], v1 offset:1008
	scratch_load_b128 v[34:37], off, off offset:384
	v_add_f64_e32 v[147:148], v[147:148], v[157:158]
	v_add_f64_e32 v[149:150], v[149:150], v[151:152]
	v_fma_f64 v[155:156], v[8:9], v[143:144], v[155:156]
	v_fma_f64 v[157:158], v[6:7], v[143:144], -v[145:146]
	ds_load_b128 v[6:9], v1 offset:1024
	scratch_load_b128 v[143:146], off, off offset:400
	s_wait_loadcnt_dscnt 0x901
	v_mul_f64_e32 v[151:152], v[2:3], v[40:41]
	v_mul_f64_e32 v[40:41], v[4:5], v[40:41]
	v_add_f64_e32 v[147:148], v[147:148], v[159:160]
	v_add_f64_e32 v[149:150], v[149:150], v[153:154]
	s_wait_loadcnt_dscnt 0x800
	v_mul_f64_e32 v[153:154], v[6:7], v[141:142]
	v_mul_f64_e32 v[141:142], v[8:9], v[141:142]
	v_fma_f64 v[151:152], v[4:5], v[38:39], v[151:152]
	v_fma_f64 v[159:160], v[2:3], v[38:39], -v[40:41]
	ds_load_b128 v[2:5], v1 offset:1040
	scratch_load_b128 v[38:41], off, off offset:416
	v_add_f64_e32 v[147:148], v[147:148], v[157:158]
	v_add_f64_e32 v[149:150], v[149:150], v[155:156]
	v_fma_f64 v[153:154], v[8:9], v[139:140], v[153:154]
	v_fma_f64 v[157:158], v[6:7], v[139:140], -v[141:142]
	ds_load_b128 v[6:9], v1 offset:1056
	s_wait_loadcnt_dscnt 0x801
	v_mul_f64_e32 v[155:156], v[2:3], v[12:13]
	v_mul_f64_e32 v[12:13], v[4:5], v[12:13]
	scratch_load_b128 v[139:142], off, off offset:432
	v_add_f64_e32 v[147:148], v[147:148], v[159:160]
	v_add_f64_e32 v[149:150], v[149:150], v[151:152]
	s_wait_loadcnt_dscnt 0x800
	v_mul_f64_e32 v[151:152], v[6:7], v[16:17]
	v_mul_f64_e32 v[16:17], v[8:9], v[16:17]
	v_fma_f64 v[155:156], v[4:5], v[10:11], v[155:156]
	v_fma_f64 v[159:160], v[2:3], v[10:11], -v[12:13]
	ds_load_b128 v[2:5], v1 offset:1072
	scratch_load_b128 v[10:13], off, off offset:448
	v_add_f64_e32 v[147:148], v[147:148], v[157:158]
	v_add_f64_e32 v[149:150], v[149:150], v[153:154]
	v_fma_f64 v[151:152], v[8:9], v[14:15], v[151:152]
	v_fma_f64 v[157:158], v[6:7], v[14:15], -v[16:17]
	ds_load_b128 v[6:9], v1 offset:1088
	s_wait_loadcnt_dscnt 0x801
	v_mul_f64_e32 v[153:154], v[2:3], v[20:21]
	v_mul_f64_e32 v[20:21], v[4:5], v[20:21]
	scratch_load_b128 v[14:17], off, off offset:464
	;; [unrolled: 18-line block ×11, first 2 shown]
	v_add_f64_e32 v[147:148], v[147:148], v[159:160]
	v_add_f64_e32 v[149:150], v[149:150], v[155:156]
	s_wait_loadcnt_dscnt 0x800
	v_mul_f64_e32 v[155:156], v[6:7], v[16:17]
	v_mul_f64_e32 v[16:17], v[8:9], v[16:17]
	v_fma_f64 v[153:154], v[4:5], v[10:11], v[153:154]
	v_fma_f64 v[159:160], v[2:3], v[10:11], -v[12:13]
	ds_load_b128 v[2:5], v1 offset:1392
	scratch_load_b128 v[10:13], off, off offset:768
	v_add_f64_e32 v[147:148], v[147:148], v[157:158]
	v_add_f64_e32 v[149:150], v[149:150], v[151:152]
	v_fma_f64 v[155:156], v[8:9], v[14:15], v[155:156]
	v_fma_f64 v[14:15], v[6:7], v[14:15], -v[16:17]
	ds_load_b128 v[6:9], v1 offset:1408
	s_wait_loadcnt_dscnt 0x801
	v_mul_f64_e32 v[151:152], v[2:3], v[20:21]
	v_mul_f64_e32 v[20:21], v[4:5], v[20:21]
	v_add_f64_e32 v[16:17], v[147:148], v[159:160]
	v_add_f64_e32 v[147:148], v[149:150], v[153:154]
	s_wait_loadcnt_dscnt 0x700
	v_mul_f64_e32 v[149:150], v[6:7], v[24:25]
	v_mul_f64_e32 v[24:25], v[8:9], v[24:25]
	v_fma_f64 v[151:152], v[4:5], v[18:19], v[151:152]
	v_fma_f64 v[18:19], v[2:3], v[18:19], -v[20:21]
	ds_load_b128 v[2:5], v1 offset:1424
	v_add_f64_e32 v[14:15], v[16:17], v[14:15]
	v_add_f64_e32 v[16:17], v[147:148], v[155:156]
	v_fma_f64 v[147:148], v[8:9], v[22:23], v[149:150]
	v_fma_f64 v[22:23], v[6:7], v[22:23], -v[24:25]
	ds_load_b128 v[6:9], v1 offset:1440
	s_wait_loadcnt_dscnt 0x500
	v_mul_f64_e32 v[149:150], v[6:7], v[32:33]
	v_mul_f64_e32 v[32:33], v[8:9], v[32:33]
	v_add_f64_e32 v[18:19], v[14:15], v[18:19]
	v_add_f64_e32 v[24:25], v[16:17], v[151:152]
	scratch_load_b128 v[14:17], off, off offset:80
	v_mul_f64_e32 v[20:21], v[2:3], v[28:29]
	v_mul_f64_e32 v[28:29], v[4:5], v[28:29]
	v_add_f64_e32 v[18:19], v[18:19], v[22:23]
	v_add_f64_e32 v[22:23], v[24:25], v[147:148]
	s_delay_alu instid0(VALU_DEP_4) | instskip(NEXT) | instid1(VALU_DEP_4)
	v_fma_f64 v[20:21], v[4:5], v[26:27], v[20:21]
	v_fma_f64 v[26:27], v[2:3], v[26:27], -v[28:29]
	ds_load_b128 v[2:5], v1 offset:1456
	s_wait_loadcnt_dscnt 0x500
	v_mul_f64_e32 v[24:25], v[2:3], v[36:37]
	v_mul_f64_e32 v[28:29], v[4:5], v[36:37]
	v_fma_f64 v[36:37], v[8:9], v[30:31], v[149:150]
	v_fma_f64 v[30:31], v[6:7], v[30:31], -v[32:33]
	ds_load_b128 v[6:9], v1 offset:1472
	v_add_f64_e32 v[20:21], v[22:23], v[20:21]
	v_add_f64_e32 v[18:19], v[18:19], v[26:27]
	v_fma_f64 v[24:25], v[4:5], v[34:35], v[24:25]
	v_fma_f64 v[28:29], v[2:3], v[34:35], -v[28:29]
	ds_load_b128 v[2:5], v1 offset:1488
	s_wait_loadcnt_dscnt 0x401
	v_mul_f64_e32 v[22:23], v[6:7], v[145:146]
	v_mul_f64_e32 v[26:27], v[8:9], v[145:146]
	v_add_f64_e32 v[20:21], v[20:21], v[36:37]
	v_add_f64_e32 v[18:19], v[18:19], v[30:31]
	s_wait_loadcnt_dscnt 0x300
	v_mul_f64_e32 v[30:31], v[2:3], v[40:41]
	v_mul_f64_e32 v[32:33], v[4:5], v[40:41]
	v_fma_f64 v[22:23], v[8:9], v[143:144], v[22:23]
	v_fma_f64 v[26:27], v[6:7], v[143:144], -v[26:27]
	ds_load_b128 v[6:9], v1 offset:1504
	v_add_f64_e32 v[20:21], v[20:21], v[24:25]
	v_add_f64_e32 v[18:19], v[18:19], v[28:29]
	v_fma_f64 v[30:31], v[4:5], v[38:39], v[30:31]
	v_fma_f64 v[32:33], v[2:3], v[38:39], -v[32:33]
	ds_load_b128 v[2:5], v1 offset:1520
	s_wait_loadcnt_dscnt 0x201
	v_mul_f64_e32 v[24:25], v[6:7], v[141:142]
	v_mul_f64_e32 v[28:29], v[8:9], v[141:142]
	v_add_f64_e32 v[20:21], v[20:21], v[22:23]
	v_add_f64_e32 v[18:19], v[18:19], v[26:27]
	s_wait_loadcnt_dscnt 0x100
	v_mul_f64_e32 v[22:23], v[2:3], v[12:13]
	v_mul_f64_e32 v[12:13], v[4:5], v[12:13]
	v_fma_f64 v[8:9], v[8:9], v[139:140], v[24:25]
	v_fma_f64 v[6:7], v[6:7], v[139:140], -v[28:29]
	v_add_f64_e32 v[20:21], v[20:21], v[30:31]
	v_add_f64_e32 v[18:19], v[18:19], v[32:33]
	v_fma_f64 v[4:5], v[4:5], v[10:11], v[22:23]
	v_fma_f64 v[2:3], v[2:3], v[10:11], -v[12:13]
	s_delay_alu instid0(VALU_DEP_4) | instskip(NEXT) | instid1(VALU_DEP_4)
	v_add_f64_e32 v[8:9], v[20:21], v[8:9]
	v_add_f64_e32 v[6:7], v[18:19], v[6:7]
	s_delay_alu instid0(VALU_DEP_2) | instskip(NEXT) | instid1(VALU_DEP_2)
	v_add_f64_e32 v[4:5], v[8:9], v[4:5]
	v_add_f64_e32 v[2:3], v[6:7], v[2:3]
	s_wait_loadcnt 0x0
	s_delay_alu instid0(VALU_DEP_2) | instskip(NEXT) | instid1(VALU_DEP_2)
	v_add_f64_e64 v[4:5], v[16:17], -v[4:5]
	v_add_f64_e64 v[2:3], v[14:15], -v[2:3]
	scratch_store_b128 off, v[2:5], off offset:80
	v_cmpx_lt_u32_e32 3, v0
	s_cbranch_execz .LBB111_295
; %bb.294:
	scratch_load_b128 v[5:8], off, s10
	v_dual_mov_b32 v2, v1 :: v_dual_mov_b32 v3, v1
	v_mov_b32_e32 v4, v1
	scratch_store_b128 off, v[1:4], off offset:64
	s_wait_loadcnt 0x0
	ds_store_b128 v138, v[5:8]
.LBB111_295:
	s_wait_alu 0xfffe
	s_or_b32 exec_lo, exec_lo, s0
	s_wait_storecnt_dscnt 0x0
	s_barrier_signal -1
	s_barrier_wait -1
	global_inv scope:SCOPE_SE
	s_clause 0x7
	scratch_load_b128 v[2:5], off, off offset:80
	scratch_load_b128 v[6:9], off, off offset:96
	;; [unrolled: 1-line block ×8, first 2 shown]
	ds_load_b128 v[38:41], v1 offset:832
	ds_load_b128 v[139:142], v1 offset:848
	s_clause 0x1
	scratch_load_b128 v[34:37], off, off offset:208
	scratch_load_b128 v[143:146], off, off offset:224
	s_mov_b32 s0, exec_lo
	s_wait_loadcnt_dscnt 0x901
	v_mul_f64_e32 v[147:148], v[40:41], v[4:5]
	v_mul_f64_e32 v[4:5], v[38:39], v[4:5]
	s_wait_loadcnt_dscnt 0x800
	v_mul_f64_e32 v[149:150], v[139:140], v[8:9]
	v_mul_f64_e32 v[8:9], v[141:142], v[8:9]
	s_delay_alu instid0(VALU_DEP_4) | instskip(NEXT) | instid1(VALU_DEP_4)
	v_fma_f64 v[147:148], v[38:39], v[2:3], -v[147:148]
	v_fma_f64 v[151:152], v[40:41], v[2:3], v[4:5]
	ds_load_b128 v[2:5], v1 offset:864
	scratch_load_b128 v[38:41], off, off offset:240
	v_fma_f64 v[149:150], v[141:142], v[6:7], v[149:150]
	v_fma_f64 v[155:156], v[139:140], v[6:7], -v[8:9]
	ds_load_b128 v[6:9], v1 offset:880
	scratch_load_b128 v[139:142], off, off offset:256
	s_wait_loadcnt_dscnt 0x901
	v_mul_f64_e32 v[153:154], v[2:3], v[12:13]
	v_mul_f64_e32 v[12:13], v[4:5], v[12:13]
	s_wait_loadcnt_dscnt 0x800
	v_mul_f64_e32 v[157:158], v[6:7], v[16:17]
	v_mul_f64_e32 v[16:17], v[8:9], v[16:17]
	v_add_f64_e32 v[147:148], 0, v[147:148]
	v_add_f64_e32 v[151:152], 0, v[151:152]
	v_fma_f64 v[153:154], v[4:5], v[10:11], v[153:154]
	v_fma_f64 v[159:160], v[2:3], v[10:11], -v[12:13]
	ds_load_b128 v[2:5], v1 offset:896
	scratch_load_b128 v[10:13], off, off offset:272
	v_add_f64_e32 v[147:148], v[147:148], v[155:156]
	v_add_f64_e32 v[149:150], v[151:152], v[149:150]
	v_fma_f64 v[155:156], v[8:9], v[14:15], v[157:158]
	v_fma_f64 v[157:158], v[6:7], v[14:15], -v[16:17]
	ds_load_b128 v[6:9], v1 offset:912
	scratch_load_b128 v[14:17], off, off offset:288
	s_wait_loadcnt_dscnt 0x901
	v_mul_f64_e32 v[151:152], v[2:3], v[20:21]
	v_mul_f64_e32 v[20:21], v[4:5], v[20:21]
	v_add_f64_e32 v[147:148], v[147:148], v[159:160]
	v_add_f64_e32 v[149:150], v[149:150], v[153:154]
	s_wait_loadcnt_dscnt 0x800
	v_mul_f64_e32 v[153:154], v[6:7], v[24:25]
	v_mul_f64_e32 v[24:25], v[8:9], v[24:25]
	v_fma_f64 v[151:152], v[4:5], v[18:19], v[151:152]
	v_fma_f64 v[159:160], v[2:3], v[18:19], -v[20:21]
	ds_load_b128 v[2:5], v1 offset:928
	scratch_load_b128 v[18:21], off, off offset:304
	v_add_f64_e32 v[147:148], v[147:148], v[157:158]
	v_add_f64_e32 v[149:150], v[149:150], v[155:156]
	v_fma_f64 v[153:154], v[8:9], v[22:23], v[153:154]
	v_fma_f64 v[157:158], v[6:7], v[22:23], -v[24:25]
	ds_load_b128 v[6:9], v1 offset:944
	s_wait_loadcnt_dscnt 0x801
	v_mul_f64_e32 v[155:156], v[2:3], v[28:29]
	v_mul_f64_e32 v[28:29], v[4:5], v[28:29]
	scratch_load_b128 v[22:25], off, off offset:320
	v_add_f64_e32 v[147:148], v[147:148], v[159:160]
	v_add_f64_e32 v[149:150], v[149:150], v[151:152]
	s_wait_loadcnt_dscnt 0x800
	v_mul_f64_e32 v[151:152], v[6:7], v[32:33]
	v_mul_f64_e32 v[32:33], v[8:9], v[32:33]
	v_fma_f64 v[155:156], v[4:5], v[26:27], v[155:156]
	v_fma_f64 v[159:160], v[2:3], v[26:27], -v[28:29]
	ds_load_b128 v[2:5], v1 offset:960
	scratch_load_b128 v[26:29], off, off offset:336
	v_add_f64_e32 v[147:148], v[147:148], v[157:158]
	v_add_f64_e32 v[149:150], v[149:150], v[153:154]
	v_fma_f64 v[151:152], v[8:9], v[30:31], v[151:152]
	v_fma_f64 v[157:158], v[6:7], v[30:31], -v[32:33]
	ds_load_b128 v[6:9], v1 offset:976
	s_wait_loadcnt_dscnt 0x801
	v_mul_f64_e32 v[153:154], v[2:3], v[36:37]
	v_mul_f64_e32 v[36:37], v[4:5], v[36:37]
	scratch_load_b128 v[30:33], off, off offset:352
	v_add_f64_e32 v[147:148], v[147:148], v[159:160]
	v_add_f64_e32 v[149:150], v[149:150], v[155:156]
	s_wait_loadcnt_dscnt 0x800
	v_mul_f64_e32 v[155:156], v[6:7], v[145:146]
	v_mul_f64_e32 v[145:146], v[8:9], v[145:146]
	v_fma_f64 v[153:154], v[4:5], v[34:35], v[153:154]
	v_fma_f64 v[159:160], v[2:3], v[34:35], -v[36:37]
	ds_load_b128 v[2:5], v1 offset:992
	scratch_load_b128 v[34:37], off, off offset:368
	v_add_f64_e32 v[147:148], v[147:148], v[157:158]
	v_add_f64_e32 v[149:150], v[149:150], v[151:152]
	v_fma_f64 v[155:156], v[8:9], v[143:144], v[155:156]
	v_fma_f64 v[157:158], v[6:7], v[143:144], -v[145:146]
	ds_load_b128 v[6:9], v1 offset:1008
	scratch_load_b128 v[143:146], off, off offset:384
	s_wait_loadcnt_dscnt 0x901
	v_mul_f64_e32 v[151:152], v[2:3], v[40:41]
	v_mul_f64_e32 v[40:41], v[4:5], v[40:41]
	v_add_f64_e32 v[147:148], v[147:148], v[159:160]
	v_add_f64_e32 v[149:150], v[149:150], v[153:154]
	s_wait_loadcnt_dscnt 0x800
	v_mul_f64_e32 v[153:154], v[6:7], v[141:142]
	v_mul_f64_e32 v[141:142], v[8:9], v[141:142]
	v_fma_f64 v[151:152], v[4:5], v[38:39], v[151:152]
	v_fma_f64 v[159:160], v[2:3], v[38:39], -v[40:41]
	ds_load_b128 v[2:5], v1 offset:1024
	scratch_load_b128 v[38:41], off, off offset:400
	v_add_f64_e32 v[147:148], v[147:148], v[157:158]
	v_add_f64_e32 v[149:150], v[149:150], v[155:156]
	v_fma_f64 v[153:154], v[8:9], v[139:140], v[153:154]
	v_fma_f64 v[157:158], v[6:7], v[139:140], -v[141:142]
	ds_load_b128 v[6:9], v1 offset:1040
	s_wait_loadcnt_dscnt 0x801
	v_mul_f64_e32 v[155:156], v[2:3], v[12:13]
	v_mul_f64_e32 v[12:13], v[4:5], v[12:13]
	scratch_load_b128 v[139:142], off, off offset:416
	v_add_f64_e32 v[147:148], v[147:148], v[159:160]
	v_add_f64_e32 v[149:150], v[149:150], v[151:152]
	s_wait_loadcnt_dscnt 0x800
	v_mul_f64_e32 v[151:152], v[6:7], v[16:17]
	v_mul_f64_e32 v[16:17], v[8:9], v[16:17]
	v_fma_f64 v[155:156], v[4:5], v[10:11], v[155:156]
	v_fma_f64 v[159:160], v[2:3], v[10:11], -v[12:13]
	ds_load_b128 v[2:5], v1 offset:1056
	scratch_load_b128 v[10:13], off, off offset:432
	v_add_f64_e32 v[147:148], v[147:148], v[157:158]
	v_add_f64_e32 v[149:150], v[149:150], v[153:154]
	v_fma_f64 v[151:152], v[8:9], v[14:15], v[151:152]
	v_fma_f64 v[157:158], v[6:7], v[14:15], -v[16:17]
	ds_load_b128 v[6:9], v1 offset:1072
	s_wait_loadcnt_dscnt 0x801
	v_mul_f64_e32 v[153:154], v[2:3], v[20:21]
	v_mul_f64_e32 v[20:21], v[4:5], v[20:21]
	scratch_load_b128 v[14:17], off, off offset:448
	;; [unrolled: 18-line block ×12, first 2 shown]
	v_add_f64_e32 v[147:148], v[147:148], v[159:160]
	v_add_f64_e32 v[149:150], v[149:150], v[153:154]
	s_wait_loadcnt_dscnt 0x800
	v_mul_f64_e32 v[153:154], v[6:7], v[24:25]
	v_mul_f64_e32 v[24:25], v[8:9], v[24:25]
	v_fma_f64 v[151:152], v[4:5], v[18:19], v[151:152]
	v_fma_f64 v[18:19], v[2:3], v[18:19], -v[20:21]
	ds_load_b128 v[2:5], v1 offset:1408
	v_add_f64_e32 v[20:21], v[147:148], v[157:158]
	v_add_f64_e32 v[147:148], v[149:150], v[155:156]
	v_fma_f64 v[153:154], v[8:9], v[22:23], v[153:154]
	v_fma_f64 v[22:23], v[6:7], v[22:23], -v[24:25]
	ds_load_b128 v[6:9], v1 offset:1424
	s_wait_loadcnt_dscnt 0x701
	v_mul_f64_e32 v[149:150], v[2:3], v[28:29]
	v_mul_f64_e32 v[28:29], v[4:5], v[28:29]
	v_add_f64_e32 v[18:19], v[20:21], v[18:19]
	v_add_f64_e32 v[20:21], v[147:148], v[151:152]
	s_delay_alu instid0(VALU_DEP_4) | instskip(NEXT) | instid1(VALU_DEP_4)
	v_fma_f64 v[147:148], v[4:5], v[26:27], v[149:150]
	v_fma_f64 v[26:27], v[2:3], v[26:27], -v[28:29]
	ds_load_b128 v[2:5], v1 offset:1440
	v_add_f64_e32 v[22:23], v[18:19], v[22:23]
	v_add_f64_e32 v[28:29], v[20:21], v[153:154]
	scratch_load_b128 v[18:21], off, off offset:64
	s_wait_loadcnt_dscnt 0x701
	v_mul_f64_e32 v[24:25], v[6:7], v[32:33]
	v_mul_f64_e32 v[32:33], v[8:9], v[32:33]
	v_add_f64_e32 v[22:23], v[22:23], v[26:27]
	v_add_f64_e32 v[26:27], v[28:29], v[147:148]
	s_delay_alu instid0(VALU_DEP_4) | instskip(NEXT) | instid1(VALU_DEP_4)
	v_fma_f64 v[24:25], v[8:9], v[30:31], v[24:25]
	v_fma_f64 v[30:31], v[6:7], v[30:31], -v[32:33]
	ds_load_b128 v[6:9], v1 offset:1456
	s_wait_loadcnt_dscnt 0x601
	v_mul_f64_e32 v[149:150], v[2:3], v[36:37]
	v_mul_f64_e32 v[36:37], v[4:5], v[36:37]
	s_wait_loadcnt_dscnt 0x500
	v_mul_f64_e32 v[28:29], v[6:7], v[145:146]
	v_mul_f64_e32 v[32:33], v[8:9], v[145:146]
	v_add_f64_e32 v[24:25], v[26:27], v[24:25]
	v_add_f64_e32 v[22:23], v[22:23], v[30:31]
	v_fma_f64 v[145:146], v[4:5], v[34:35], v[149:150]
	v_fma_f64 v[34:35], v[2:3], v[34:35], -v[36:37]
	ds_load_b128 v[2:5], v1 offset:1472
	v_fma_f64 v[28:29], v[8:9], v[143:144], v[28:29]
	v_fma_f64 v[32:33], v[6:7], v[143:144], -v[32:33]
	ds_load_b128 v[6:9], v1 offset:1488
	s_wait_loadcnt_dscnt 0x401
	v_mul_f64_e32 v[26:27], v[2:3], v[40:41]
	v_mul_f64_e32 v[30:31], v[4:5], v[40:41]
	v_add_f64_e32 v[24:25], v[24:25], v[145:146]
	v_add_f64_e32 v[22:23], v[22:23], v[34:35]
	s_wait_loadcnt_dscnt 0x300
	v_mul_f64_e32 v[34:35], v[6:7], v[141:142]
	v_mul_f64_e32 v[36:37], v[8:9], v[141:142]
	v_fma_f64 v[26:27], v[4:5], v[38:39], v[26:27]
	v_fma_f64 v[30:31], v[2:3], v[38:39], -v[30:31]
	ds_load_b128 v[2:5], v1 offset:1504
	v_add_f64_e32 v[24:25], v[24:25], v[28:29]
	v_add_f64_e32 v[22:23], v[22:23], v[32:33]
	v_fma_f64 v[32:33], v[8:9], v[139:140], v[34:35]
	v_fma_f64 v[34:35], v[6:7], v[139:140], -v[36:37]
	ds_load_b128 v[6:9], v1 offset:1520
	s_wait_loadcnt_dscnt 0x201
	v_mul_f64_e32 v[28:29], v[2:3], v[12:13]
	v_mul_f64_e32 v[12:13], v[4:5], v[12:13]
	v_add_f64_e32 v[24:25], v[24:25], v[26:27]
	v_add_f64_e32 v[22:23], v[22:23], v[30:31]
	s_wait_loadcnt_dscnt 0x100
	v_mul_f64_e32 v[26:27], v[6:7], v[16:17]
	v_mul_f64_e32 v[16:17], v[8:9], v[16:17]
	v_fma_f64 v[4:5], v[4:5], v[10:11], v[28:29]
	v_fma_f64 v[1:2], v[2:3], v[10:11], -v[12:13]
	v_add_f64_e32 v[12:13], v[24:25], v[32:33]
	v_add_f64_e32 v[10:11], v[22:23], v[34:35]
	v_fma_f64 v[8:9], v[8:9], v[14:15], v[26:27]
	v_fma_f64 v[6:7], v[6:7], v[14:15], -v[16:17]
	s_delay_alu instid0(VALU_DEP_4) | instskip(NEXT) | instid1(VALU_DEP_4)
	v_add_f64_e32 v[3:4], v[12:13], v[4:5]
	v_add_f64_e32 v[1:2], v[10:11], v[1:2]
	s_delay_alu instid0(VALU_DEP_2) | instskip(NEXT) | instid1(VALU_DEP_2)
	v_add_f64_e32 v[3:4], v[3:4], v[8:9]
	v_add_f64_e32 v[1:2], v[1:2], v[6:7]
	s_wait_loadcnt 0x0
	s_delay_alu instid0(VALU_DEP_2) | instskip(NEXT) | instid1(VALU_DEP_2)
	v_add_f64_e64 v[3:4], v[20:21], -v[3:4]
	v_add_f64_e64 v[1:2], v[18:19], -v[1:2]
	scratch_store_b128 off, v[1:4], off offset:64
	v_cmpx_lt_u32_e32 2, v0
	s_cbranch_execz .LBB111_297
; %bb.296:
	scratch_load_b128 v[1:4], off, s13
	v_mov_b32_e32 v5, 0
	s_delay_alu instid0(VALU_DEP_1)
	v_dual_mov_b32 v6, v5 :: v_dual_mov_b32 v7, v5
	v_mov_b32_e32 v8, v5
	scratch_store_b128 off, v[5:8], off offset:48
	s_wait_loadcnt 0x0
	ds_store_b128 v138, v[1:4]
.LBB111_297:
	s_wait_alu 0xfffe
	s_or_b32 exec_lo, exec_lo, s0
	s_wait_storecnt_dscnt 0x0
	s_barrier_signal -1
	s_barrier_wait -1
	global_inv scope:SCOPE_SE
	s_clause 0x7
	scratch_load_b128 v[2:5], off, off offset:64
	scratch_load_b128 v[6:9], off, off offset:80
	;; [unrolled: 1-line block ×8, first 2 shown]
	v_mov_b32_e32 v1, 0
	s_clause 0x1
	scratch_load_b128 v[34:37], off, off offset:192
	scratch_load_b128 v[143:146], off, off offset:208
	s_mov_b32 s0, exec_lo
	ds_load_b128 v[38:41], v1 offset:816
	ds_load_b128 v[139:142], v1 offset:832
	s_wait_loadcnt_dscnt 0x901
	v_mul_f64_e32 v[147:148], v[40:41], v[4:5]
	v_mul_f64_e32 v[4:5], v[38:39], v[4:5]
	s_wait_loadcnt_dscnt 0x800
	v_mul_f64_e32 v[149:150], v[139:140], v[8:9]
	v_mul_f64_e32 v[8:9], v[141:142], v[8:9]
	s_delay_alu instid0(VALU_DEP_4) | instskip(NEXT) | instid1(VALU_DEP_4)
	v_fma_f64 v[147:148], v[38:39], v[2:3], -v[147:148]
	v_fma_f64 v[151:152], v[40:41], v[2:3], v[4:5]
	ds_load_b128 v[2:5], v1 offset:848
	scratch_load_b128 v[38:41], off, off offset:224
	v_fma_f64 v[149:150], v[141:142], v[6:7], v[149:150]
	v_fma_f64 v[155:156], v[139:140], v[6:7], -v[8:9]
	ds_load_b128 v[6:9], v1 offset:864
	scratch_load_b128 v[139:142], off, off offset:240
	s_wait_loadcnt_dscnt 0x901
	v_mul_f64_e32 v[153:154], v[2:3], v[12:13]
	v_mul_f64_e32 v[12:13], v[4:5], v[12:13]
	s_wait_loadcnt_dscnt 0x800
	v_mul_f64_e32 v[157:158], v[6:7], v[16:17]
	v_mul_f64_e32 v[16:17], v[8:9], v[16:17]
	v_add_f64_e32 v[147:148], 0, v[147:148]
	v_add_f64_e32 v[151:152], 0, v[151:152]
	v_fma_f64 v[153:154], v[4:5], v[10:11], v[153:154]
	v_fma_f64 v[159:160], v[2:3], v[10:11], -v[12:13]
	ds_load_b128 v[2:5], v1 offset:880
	scratch_load_b128 v[10:13], off, off offset:256
	v_add_f64_e32 v[147:148], v[147:148], v[155:156]
	v_add_f64_e32 v[149:150], v[151:152], v[149:150]
	v_fma_f64 v[155:156], v[8:9], v[14:15], v[157:158]
	v_fma_f64 v[157:158], v[6:7], v[14:15], -v[16:17]
	ds_load_b128 v[6:9], v1 offset:896
	scratch_load_b128 v[14:17], off, off offset:272
	s_wait_loadcnt_dscnt 0x901
	v_mul_f64_e32 v[151:152], v[2:3], v[20:21]
	v_mul_f64_e32 v[20:21], v[4:5], v[20:21]
	v_add_f64_e32 v[147:148], v[147:148], v[159:160]
	v_add_f64_e32 v[149:150], v[149:150], v[153:154]
	s_wait_loadcnt_dscnt 0x800
	v_mul_f64_e32 v[153:154], v[6:7], v[24:25]
	v_mul_f64_e32 v[24:25], v[8:9], v[24:25]
	v_fma_f64 v[151:152], v[4:5], v[18:19], v[151:152]
	v_fma_f64 v[159:160], v[2:3], v[18:19], -v[20:21]
	ds_load_b128 v[2:5], v1 offset:912
	scratch_load_b128 v[18:21], off, off offset:288
	v_add_f64_e32 v[147:148], v[147:148], v[157:158]
	v_add_f64_e32 v[149:150], v[149:150], v[155:156]
	v_fma_f64 v[153:154], v[8:9], v[22:23], v[153:154]
	v_fma_f64 v[157:158], v[6:7], v[22:23], -v[24:25]
	ds_load_b128 v[6:9], v1 offset:928
	s_wait_loadcnt_dscnt 0x801
	v_mul_f64_e32 v[155:156], v[2:3], v[28:29]
	v_mul_f64_e32 v[28:29], v[4:5], v[28:29]
	scratch_load_b128 v[22:25], off, off offset:304
	v_add_f64_e32 v[147:148], v[147:148], v[159:160]
	v_add_f64_e32 v[149:150], v[149:150], v[151:152]
	s_wait_loadcnt_dscnt 0x800
	v_mul_f64_e32 v[151:152], v[6:7], v[32:33]
	v_mul_f64_e32 v[32:33], v[8:9], v[32:33]
	v_fma_f64 v[155:156], v[4:5], v[26:27], v[155:156]
	v_fma_f64 v[159:160], v[2:3], v[26:27], -v[28:29]
	ds_load_b128 v[2:5], v1 offset:944
	scratch_load_b128 v[26:29], off, off offset:320
	v_add_f64_e32 v[147:148], v[147:148], v[157:158]
	v_add_f64_e32 v[149:150], v[149:150], v[153:154]
	v_fma_f64 v[151:152], v[8:9], v[30:31], v[151:152]
	v_fma_f64 v[157:158], v[6:7], v[30:31], -v[32:33]
	ds_load_b128 v[6:9], v1 offset:960
	s_wait_loadcnt_dscnt 0x801
	v_mul_f64_e32 v[153:154], v[2:3], v[36:37]
	v_mul_f64_e32 v[36:37], v[4:5], v[36:37]
	scratch_load_b128 v[30:33], off, off offset:336
	v_add_f64_e32 v[147:148], v[147:148], v[159:160]
	v_add_f64_e32 v[149:150], v[149:150], v[155:156]
	s_wait_loadcnt_dscnt 0x800
	v_mul_f64_e32 v[155:156], v[6:7], v[145:146]
	v_mul_f64_e32 v[145:146], v[8:9], v[145:146]
	v_fma_f64 v[153:154], v[4:5], v[34:35], v[153:154]
	v_fma_f64 v[159:160], v[2:3], v[34:35], -v[36:37]
	ds_load_b128 v[2:5], v1 offset:976
	scratch_load_b128 v[34:37], off, off offset:352
	v_add_f64_e32 v[147:148], v[147:148], v[157:158]
	v_add_f64_e32 v[149:150], v[149:150], v[151:152]
	v_fma_f64 v[155:156], v[8:9], v[143:144], v[155:156]
	v_fma_f64 v[157:158], v[6:7], v[143:144], -v[145:146]
	ds_load_b128 v[6:9], v1 offset:992
	scratch_load_b128 v[143:146], off, off offset:368
	s_wait_loadcnt_dscnt 0x901
	v_mul_f64_e32 v[151:152], v[2:3], v[40:41]
	v_mul_f64_e32 v[40:41], v[4:5], v[40:41]
	v_add_f64_e32 v[147:148], v[147:148], v[159:160]
	v_add_f64_e32 v[149:150], v[149:150], v[153:154]
	s_wait_loadcnt_dscnt 0x800
	v_mul_f64_e32 v[153:154], v[6:7], v[141:142]
	v_mul_f64_e32 v[141:142], v[8:9], v[141:142]
	v_fma_f64 v[151:152], v[4:5], v[38:39], v[151:152]
	v_fma_f64 v[159:160], v[2:3], v[38:39], -v[40:41]
	ds_load_b128 v[2:5], v1 offset:1008
	scratch_load_b128 v[38:41], off, off offset:384
	v_add_f64_e32 v[147:148], v[147:148], v[157:158]
	v_add_f64_e32 v[149:150], v[149:150], v[155:156]
	v_fma_f64 v[153:154], v[8:9], v[139:140], v[153:154]
	v_fma_f64 v[157:158], v[6:7], v[139:140], -v[141:142]
	ds_load_b128 v[6:9], v1 offset:1024
	s_wait_loadcnt_dscnt 0x801
	v_mul_f64_e32 v[155:156], v[2:3], v[12:13]
	v_mul_f64_e32 v[12:13], v[4:5], v[12:13]
	scratch_load_b128 v[139:142], off, off offset:400
	v_add_f64_e32 v[147:148], v[147:148], v[159:160]
	v_add_f64_e32 v[149:150], v[149:150], v[151:152]
	s_wait_loadcnt_dscnt 0x800
	v_mul_f64_e32 v[151:152], v[6:7], v[16:17]
	v_mul_f64_e32 v[16:17], v[8:9], v[16:17]
	v_fma_f64 v[155:156], v[4:5], v[10:11], v[155:156]
	v_fma_f64 v[159:160], v[2:3], v[10:11], -v[12:13]
	ds_load_b128 v[2:5], v1 offset:1040
	scratch_load_b128 v[10:13], off, off offset:416
	v_add_f64_e32 v[147:148], v[147:148], v[157:158]
	v_add_f64_e32 v[149:150], v[149:150], v[153:154]
	v_fma_f64 v[151:152], v[8:9], v[14:15], v[151:152]
	v_fma_f64 v[157:158], v[6:7], v[14:15], -v[16:17]
	ds_load_b128 v[6:9], v1 offset:1056
	s_wait_loadcnt_dscnt 0x801
	v_mul_f64_e32 v[153:154], v[2:3], v[20:21]
	v_mul_f64_e32 v[20:21], v[4:5], v[20:21]
	scratch_load_b128 v[14:17], off, off offset:432
	;; [unrolled: 18-line block ×12, first 2 shown]
	v_add_f64_e32 v[147:148], v[147:148], v[159:160]
	v_add_f64_e32 v[149:150], v[149:150], v[153:154]
	s_wait_loadcnt_dscnt 0x800
	v_mul_f64_e32 v[153:154], v[6:7], v[24:25]
	v_mul_f64_e32 v[24:25], v[8:9], v[24:25]
	v_fma_f64 v[151:152], v[4:5], v[18:19], v[151:152]
	v_fma_f64 v[159:160], v[2:3], v[18:19], -v[20:21]
	ds_load_b128 v[2:5], v1 offset:1392
	scratch_load_b128 v[18:21], off, off offset:768
	v_add_f64_e32 v[147:148], v[147:148], v[157:158]
	v_add_f64_e32 v[149:150], v[149:150], v[155:156]
	v_fma_f64 v[153:154], v[8:9], v[22:23], v[153:154]
	v_fma_f64 v[22:23], v[6:7], v[22:23], -v[24:25]
	ds_load_b128 v[6:9], v1 offset:1408
	s_wait_loadcnt_dscnt 0x801
	v_mul_f64_e32 v[155:156], v[2:3], v[28:29]
	v_mul_f64_e32 v[28:29], v[4:5], v[28:29]
	v_add_f64_e32 v[24:25], v[147:148], v[159:160]
	v_add_f64_e32 v[147:148], v[149:150], v[151:152]
	s_wait_loadcnt_dscnt 0x700
	v_mul_f64_e32 v[149:150], v[6:7], v[32:33]
	v_mul_f64_e32 v[32:33], v[8:9], v[32:33]
	v_fma_f64 v[151:152], v[4:5], v[26:27], v[155:156]
	v_fma_f64 v[26:27], v[2:3], v[26:27], -v[28:29]
	ds_load_b128 v[2:5], v1 offset:1424
	v_add_f64_e32 v[22:23], v[24:25], v[22:23]
	v_add_f64_e32 v[24:25], v[147:148], v[153:154]
	v_fma_f64 v[147:148], v[8:9], v[30:31], v[149:150]
	v_fma_f64 v[30:31], v[6:7], v[30:31], -v[32:33]
	ds_load_b128 v[6:9], v1 offset:1440
	s_wait_loadcnt_dscnt 0x500
	v_mul_f64_e32 v[149:150], v[6:7], v[145:146]
	v_mul_f64_e32 v[145:146], v[8:9], v[145:146]
	v_add_f64_e32 v[26:27], v[22:23], v[26:27]
	v_add_f64_e32 v[32:33], v[24:25], v[151:152]
	scratch_load_b128 v[22:25], off, off offset:48
	v_mul_f64_e32 v[28:29], v[2:3], v[36:37]
	v_mul_f64_e32 v[36:37], v[4:5], v[36:37]
	v_add_f64_e32 v[26:27], v[26:27], v[30:31]
	v_add_f64_e32 v[30:31], v[32:33], v[147:148]
	s_delay_alu instid0(VALU_DEP_4) | instskip(NEXT) | instid1(VALU_DEP_4)
	v_fma_f64 v[28:29], v[4:5], v[34:35], v[28:29]
	v_fma_f64 v[34:35], v[2:3], v[34:35], -v[36:37]
	ds_load_b128 v[2:5], v1 offset:1456
	s_wait_loadcnt_dscnt 0x500
	v_mul_f64_e32 v[32:33], v[2:3], v[40:41]
	v_mul_f64_e32 v[36:37], v[4:5], v[40:41]
	v_fma_f64 v[40:41], v[8:9], v[143:144], v[149:150]
	v_fma_f64 v[143:144], v[6:7], v[143:144], -v[145:146]
	ds_load_b128 v[6:9], v1 offset:1472
	v_add_f64_e32 v[28:29], v[30:31], v[28:29]
	v_add_f64_e32 v[26:27], v[26:27], v[34:35]
	v_fma_f64 v[32:33], v[4:5], v[38:39], v[32:33]
	v_fma_f64 v[36:37], v[2:3], v[38:39], -v[36:37]
	ds_load_b128 v[2:5], v1 offset:1488
	s_wait_loadcnt_dscnt 0x401
	v_mul_f64_e32 v[30:31], v[6:7], v[141:142]
	v_mul_f64_e32 v[34:35], v[8:9], v[141:142]
	v_add_f64_e32 v[28:29], v[28:29], v[40:41]
	v_add_f64_e32 v[26:27], v[26:27], v[143:144]
	s_wait_loadcnt_dscnt 0x300
	v_mul_f64_e32 v[38:39], v[2:3], v[12:13]
	v_mul_f64_e32 v[12:13], v[4:5], v[12:13]
	v_fma_f64 v[30:31], v[8:9], v[139:140], v[30:31]
	v_fma_f64 v[34:35], v[6:7], v[139:140], -v[34:35]
	ds_load_b128 v[6:9], v1 offset:1504
	v_add_f64_e32 v[28:29], v[28:29], v[32:33]
	v_add_f64_e32 v[26:27], v[26:27], v[36:37]
	v_fma_f64 v[36:37], v[4:5], v[10:11], v[38:39]
	v_fma_f64 v[10:11], v[2:3], v[10:11], -v[12:13]
	ds_load_b128 v[2:5], v1 offset:1520
	s_wait_loadcnt_dscnt 0x201
	v_mul_f64_e32 v[32:33], v[6:7], v[16:17]
	v_mul_f64_e32 v[16:17], v[8:9], v[16:17]
	v_add_f64_e32 v[12:13], v[26:27], v[34:35]
	v_add_f64_e32 v[26:27], v[28:29], v[30:31]
	s_wait_loadcnt_dscnt 0x100
	v_mul_f64_e32 v[28:29], v[2:3], v[20:21]
	v_mul_f64_e32 v[20:21], v[4:5], v[20:21]
	v_fma_f64 v[8:9], v[8:9], v[14:15], v[32:33]
	v_fma_f64 v[6:7], v[6:7], v[14:15], -v[16:17]
	v_add_f64_e32 v[10:11], v[12:13], v[10:11]
	v_add_f64_e32 v[12:13], v[26:27], v[36:37]
	v_fma_f64 v[4:5], v[4:5], v[18:19], v[28:29]
	v_fma_f64 v[2:3], v[2:3], v[18:19], -v[20:21]
	s_delay_alu instid0(VALU_DEP_4) | instskip(NEXT) | instid1(VALU_DEP_4)
	v_add_f64_e32 v[6:7], v[10:11], v[6:7]
	v_add_f64_e32 v[8:9], v[12:13], v[8:9]
	s_delay_alu instid0(VALU_DEP_2) | instskip(NEXT) | instid1(VALU_DEP_2)
	v_add_f64_e32 v[2:3], v[6:7], v[2:3]
	v_add_f64_e32 v[4:5], v[8:9], v[4:5]
	s_wait_loadcnt 0x0
	s_delay_alu instid0(VALU_DEP_2) | instskip(NEXT) | instid1(VALU_DEP_2)
	v_add_f64_e64 v[2:3], v[22:23], -v[2:3]
	v_add_f64_e64 v[4:5], v[24:25], -v[4:5]
	scratch_store_b128 off, v[2:5], off offset:48
	v_cmpx_lt_u32_e32 1, v0
	s_cbranch_execz .LBB111_299
; %bb.298:
	scratch_load_b128 v[5:8], off, s15
	v_dual_mov_b32 v2, v1 :: v_dual_mov_b32 v3, v1
	v_mov_b32_e32 v4, v1
	scratch_store_b128 off, v[1:4], off offset:32
	s_wait_loadcnt 0x0
	ds_store_b128 v138, v[5:8]
.LBB111_299:
	s_wait_alu 0xfffe
	s_or_b32 exec_lo, exec_lo, s0
	s_wait_storecnt_dscnt 0x0
	s_barrier_signal -1
	s_barrier_wait -1
	global_inv scope:SCOPE_SE
	s_clause 0x7
	scratch_load_b128 v[2:5], off, off offset:48
	scratch_load_b128 v[6:9], off, off offset:64
	;; [unrolled: 1-line block ×8, first 2 shown]
	ds_load_b128 v[38:41], v1 offset:800
	ds_load_b128 v[139:142], v1 offset:816
	s_clause 0x1
	scratch_load_b128 v[34:37], off, off offset:176
	scratch_load_b128 v[143:146], off, off offset:192
	s_mov_b32 s0, exec_lo
	s_wait_loadcnt_dscnt 0x901
	v_mul_f64_e32 v[147:148], v[40:41], v[4:5]
	v_mul_f64_e32 v[4:5], v[38:39], v[4:5]
	s_wait_loadcnt_dscnt 0x800
	v_mul_f64_e32 v[149:150], v[139:140], v[8:9]
	v_mul_f64_e32 v[8:9], v[141:142], v[8:9]
	s_delay_alu instid0(VALU_DEP_4) | instskip(NEXT) | instid1(VALU_DEP_4)
	v_fma_f64 v[147:148], v[38:39], v[2:3], -v[147:148]
	v_fma_f64 v[151:152], v[40:41], v[2:3], v[4:5]
	ds_load_b128 v[2:5], v1 offset:832
	scratch_load_b128 v[38:41], off, off offset:208
	v_fma_f64 v[149:150], v[141:142], v[6:7], v[149:150]
	v_fma_f64 v[155:156], v[139:140], v[6:7], -v[8:9]
	ds_load_b128 v[6:9], v1 offset:848
	scratch_load_b128 v[139:142], off, off offset:224
	s_wait_loadcnt_dscnt 0x901
	v_mul_f64_e32 v[153:154], v[2:3], v[12:13]
	v_mul_f64_e32 v[12:13], v[4:5], v[12:13]
	s_wait_loadcnt_dscnt 0x800
	v_mul_f64_e32 v[157:158], v[6:7], v[16:17]
	v_mul_f64_e32 v[16:17], v[8:9], v[16:17]
	v_add_f64_e32 v[147:148], 0, v[147:148]
	v_add_f64_e32 v[151:152], 0, v[151:152]
	v_fma_f64 v[153:154], v[4:5], v[10:11], v[153:154]
	v_fma_f64 v[159:160], v[2:3], v[10:11], -v[12:13]
	ds_load_b128 v[2:5], v1 offset:864
	scratch_load_b128 v[10:13], off, off offset:240
	v_add_f64_e32 v[147:148], v[147:148], v[155:156]
	v_add_f64_e32 v[149:150], v[151:152], v[149:150]
	v_fma_f64 v[155:156], v[8:9], v[14:15], v[157:158]
	v_fma_f64 v[157:158], v[6:7], v[14:15], -v[16:17]
	ds_load_b128 v[6:9], v1 offset:880
	scratch_load_b128 v[14:17], off, off offset:256
	s_wait_loadcnt_dscnt 0x901
	v_mul_f64_e32 v[151:152], v[2:3], v[20:21]
	v_mul_f64_e32 v[20:21], v[4:5], v[20:21]
	v_add_f64_e32 v[147:148], v[147:148], v[159:160]
	v_add_f64_e32 v[149:150], v[149:150], v[153:154]
	s_wait_loadcnt_dscnt 0x800
	v_mul_f64_e32 v[153:154], v[6:7], v[24:25]
	v_mul_f64_e32 v[24:25], v[8:9], v[24:25]
	v_fma_f64 v[151:152], v[4:5], v[18:19], v[151:152]
	v_fma_f64 v[159:160], v[2:3], v[18:19], -v[20:21]
	ds_load_b128 v[2:5], v1 offset:896
	scratch_load_b128 v[18:21], off, off offset:272
	v_add_f64_e32 v[147:148], v[147:148], v[157:158]
	v_add_f64_e32 v[149:150], v[149:150], v[155:156]
	v_fma_f64 v[153:154], v[8:9], v[22:23], v[153:154]
	v_fma_f64 v[157:158], v[6:7], v[22:23], -v[24:25]
	ds_load_b128 v[6:9], v1 offset:912
	s_wait_loadcnt_dscnt 0x801
	v_mul_f64_e32 v[155:156], v[2:3], v[28:29]
	v_mul_f64_e32 v[28:29], v[4:5], v[28:29]
	scratch_load_b128 v[22:25], off, off offset:288
	v_add_f64_e32 v[147:148], v[147:148], v[159:160]
	v_add_f64_e32 v[149:150], v[149:150], v[151:152]
	s_wait_loadcnt_dscnt 0x800
	v_mul_f64_e32 v[151:152], v[6:7], v[32:33]
	v_mul_f64_e32 v[32:33], v[8:9], v[32:33]
	v_fma_f64 v[155:156], v[4:5], v[26:27], v[155:156]
	v_fma_f64 v[159:160], v[2:3], v[26:27], -v[28:29]
	ds_load_b128 v[2:5], v1 offset:928
	scratch_load_b128 v[26:29], off, off offset:304
	v_add_f64_e32 v[147:148], v[147:148], v[157:158]
	v_add_f64_e32 v[149:150], v[149:150], v[153:154]
	v_fma_f64 v[151:152], v[8:9], v[30:31], v[151:152]
	v_fma_f64 v[157:158], v[6:7], v[30:31], -v[32:33]
	ds_load_b128 v[6:9], v1 offset:944
	s_wait_loadcnt_dscnt 0x801
	v_mul_f64_e32 v[153:154], v[2:3], v[36:37]
	v_mul_f64_e32 v[36:37], v[4:5], v[36:37]
	scratch_load_b128 v[30:33], off, off offset:320
	v_add_f64_e32 v[147:148], v[147:148], v[159:160]
	v_add_f64_e32 v[149:150], v[149:150], v[155:156]
	s_wait_loadcnt_dscnt 0x800
	v_mul_f64_e32 v[155:156], v[6:7], v[145:146]
	v_mul_f64_e32 v[145:146], v[8:9], v[145:146]
	v_fma_f64 v[153:154], v[4:5], v[34:35], v[153:154]
	v_fma_f64 v[159:160], v[2:3], v[34:35], -v[36:37]
	ds_load_b128 v[2:5], v1 offset:960
	scratch_load_b128 v[34:37], off, off offset:336
	v_add_f64_e32 v[147:148], v[147:148], v[157:158]
	v_add_f64_e32 v[149:150], v[149:150], v[151:152]
	v_fma_f64 v[155:156], v[8:9], v[143:144], v[155:156]
	v_fma_f64 v[157:158], v[6:7], v[143:144], -v[145:146]
	ds_load_b128 v[6:9], v1 offset:976
	scratch_load_b128 v[143:146], off, off offset:352
	s_wait_loadcnt_dscnt 0x901
	v_mul_f64_e32 v[151:152], v[2:3], v[40:41]
	v_mul_f64_e32 v[40:41], v[4:5], v[40:41]
	v_add_f64_e32 v[147:148], v[147:148], v[159:160]
	v_add_f64_e32 v[149:150], v[149:150], v[153:154]
	s_wait_loadcnt_dscnt 0x800
	v_mul_f64_e32 v[153:154], v[6:7], v[141:142]
	v_mul_f64_e32 v[141:142], v[8:9], v[141:142]
	v_fma_f64 v[151:152], v[4:5], v[38:39], v[151:152]
	v_fma_f64 v[159:160], v[2:3], v[38:39], -v[40:41]
	ds_load_b128 v[2:5], v1 offset:992
	scratch_load_b128 v[38:41], off, off offset:368
	v_add_f64_e32 v[147:148], v[147:148], v[157:158]
	v_add_f64_e32 v[149:150], v[149:150], v[155:156]
	v_fma_f64 v[153:154], v[8:9], v[139:140], v[153:154]
	v_fma_f64 v[157:158], v[6:7], v[139:140], -v[141:142]
	ds_load_b128 v[6:9], v1 offset:1008
	s_wait_loadcnt_dscnt 0x801
	v_mul_f64_e32 v[155:156], v[2:3], v[12:13]
	v_mul_f64_e32 v[12:13], v[4:5], v[12:13]
	scratch_load_b128 v[139:142], off, off offset:384
	v_add_f64_e32 v[147:148], v[147:148], v[159:160]
	v_add_f64_e32 v[149:150], v[149:150], v[151:152]
	s_wait_loadcnt_dscnt 0x800
	v_mul_f64_e32 v[151:152], v[6:7], v[16:17]
	v_mul_f64_e32 v[16:17], v[8:9], v[16:17]
	v_fma_f64 v[155:156], v[4:5], v[10:11], v[155:156]
	v_fma_f64 v[159:160], v[2:3], v[10:11], -v[12:13]
	ds_load_b128 v[2:5], v1 offset:1024
	scratch_load_b128 v[10:13], off, off offset:400
	v_add_f64_e32 v[147:148], v[147:148], v[157:158]
	v_add_f64_e32 v[149:150], v[149:150], v[153:154]
	v_fma_f64 v[151:152], v[8:9], v[14:15], v[151:152]
	v_fma_f64 v[157:158], v[6:7], v[14:15], -v[16:17]
	ds_load_b128 v[6:9], v1 offset:1040
	s_wait_loadcnt_dscnt 0x801
	v_mul_f64_e32 v[153:154], v[2:3], v[20:21]
	v_mul_f64_e32 v[20:21], v[4:5], v[20:21]
	scratch_load_b128 v[14:17], off, off offset:416
	;; [unrolled: 18-line block ×13, first 2 shown]
	v_add_f64_e32 v[147:148], v[147:148], v[159:160]
	v_add_f64_e32 v[149:150], v[149:150], v[151:152]
	s_wait_loadcnt_dscnt 0x800
	v_mul_f64_e32 v[151:152], v[6:7], v[32:33]
	v_mul_f64_e32 v[32:33], v[8:9], v[32:33]
	v_fma_f64 v[155:156], v[4:5], v[26:27], v[155:156]
	v_fma_f64 v[26:27], v[2:3], v[26:27], -v[28:29]
	ds_load_b128 v[2:5], v1 offset:1408
	v_add_f64_e32 v[28:29], v[147:148], v[157:158]
	v_add_f64_e32 v[147:148], v[149:150], v[153:154]
	v_fma_f64 v[151:152], v[8:9], v[30:31], v[151:152]
	v_fma_f64 v[30:31], v[6:7], v[30:31], -v[32:33]
	ds_load_b128 v[6:9], v1 offset:1424
	s_wait_loadcnt_dscnt 0x701
	v_mul_f64_e32 v[149:150], v[2:3], v[36:37]
	v_mul_f64_e32 v[36:37], v[4:5], v[36:37]
	v_add_f64_e32 v[26:27], v[28:29], v[26:27]
	v_add_f64_e32 v[28:29], v[147:148], v[155:156]
	s_delay_alu instid0(VALU_DEP_4) | instskip(NEXT) | instid1(VALU_DEP_4)
	v_fma_f64 v[147:148], v[4:5], v[34:35], v[149:150]
	v_fma_f64 v[34:35], v[2:3], v[34:35], -v[36:37]
	ds_load_b128 v[2:5], v1 offset:1440
	v_add_f64_e32 v[30:31], v[26:27], v[30:31]
	v_add_f64_e32 v[36:37], v[28:29], v[151:152]
	scratch_load_b128 v[26:29], off, off offset:32
	s_wait_loadcnt_dscnt 0x701
	v_mul_f64_e32 v[32:33], v[6:7], v[145:146]
	v_mul_f64_e32 v[145:146], v[8:9], v[145:146]
	v_add_f64_e32 v[30:31], v[30:31], v[34:35]
	v_add_f64_e32 v[34:35], v[36:37], v[147:148]
	s_delay_alu instid0(VALU_DEP_4) | instskip(NEXT) | instid1(VALU_DEP_4)
	v_fma_f64 v[32:33], v[8:9], v[143:144], v[32:33]
	v_fma_f64 v[143:144], v[6:7], v[143:144], -v[145:146]
	ds_load_b128 v[6:9], v1 offset:1456
	s_wait_loadcnt_dscnt 0x601
	v_mul_f64_e32 v[149:150], v[2:3], v[40:41]
	v_mul_f64_e32 v[40:41], v[4:5], v[40:41]
	s_wait_loadcnt_dscnt 0x500
	v_mul_f64_e32 v[36:37], v[6:7], v[141:142]
	v_mul_f64_e32 v[141:142], v[8:9], v[141:142]
	v_add_f64_e32 v[32:33], v[34:35], v[32:33]
	v_add_f64_e32 v[30:31], v[30:31], v[143:144]
	v_fma_f64 v[145:146], v[4:5], v[38:39], v[149:150]
	v_fma_f64 v[38:39], v[2:3], v[38:39], -v[40:41]
	ds_load_b128 v[2:5], v1 offset:1472
	v_fma_f64 v[36:37], v[8:9], v[139:140], v[36:37]
	v_fma_f64 v[40:41], v[6:7], v[139:140], -v[141:142]
	ds_load_b128 v[6:9], v1 offset:1488
	s_wait_loadcnt_dscnt 0x401
	v_mul_f64_e32 v[34:35], v[2:3], v[12:13]
	v_mul_f64_e32 v[12:13], v[4:5], v[12:13]
	v_add_f64_e32 v[32:33], v[32:33], v[145:146]
	v_add_f64_e32 v[30:31], v[30:31], v[38:39]
	s_wait_loadcnt_dscnt 0x300
	v_mul_f64_e32 v[38:39], v[6:7], v[16:17]
	v_mul_f64_e32 v[16:17], v[8:9], v[16:17]
	v_fma_f64 v[34:35], v[4:5], v[10:11], v[34:35]
	v_fma_f64 v[10:11], v[2:3], v[10:11], -v[12:13]
	ds_load_b128 v[2:5], v1 offset:1504
	v_add_f64_e32 v[12:13], v[30:31], v[40:41]
	v_add_f64_e32 v[30:31], v[32:33], v[36:37]
	v_fma_f64 v[36:37], v[8:9], v[14:15], v[38:39]
	v_fma_f64 v[14:15], v[6:7], v[14:15], -v[16:17]
	ds_load_b128 v[6:9], v1 offset:1520
	s_wait_loadcnt_dscnt 0x201
	v_mul_f64_e32 v[32:33], v[2:3], v[20:21]
	v_mul_f64_e32 v[20:21], v[4:5], v[20:21]
	s_wait_loadcnt_dscnt 0x100
	v_mul_f64_e32 v[16:17], v[6:7], v[24:25]
	v_mul_f64_e32 v[24:25], v[8:9], v[24:25]
	v_add_f64_e32 v[10:11], v[12:13], v[10:11]
	v_add_f64_e32 v[12:13], v[30:31], v[34:35]
	v_fma_f64 v[4:5], v[4:5], v[18:19], v[32:33]
	v_fma_f64 v[1:2], v[2:3], v[18:19], -v[20:21]
	v_fma_f64 v[8:9], v[8:9], v[22:23], v[16:17]
	v_fma_f64 v[6:7], v[6:7], v[22:23], -v[24:25]
	v_add_f64_e32 v[10:11], v[10:11], v[14:15]
	v_add_f64_e32 v[12:13], v[12:13], v[36:37]
	s_delay_alu instid0(VALU_DEP_2) | instskip(NEXT) | instid1(VALU_DEP_2)
	v_add_f64_e32 v[1:2], v[10:11], v[1:2]
	v_add_f64_e32 v[3:4], v[12:13], v[4:5]
	s_delay_alu instid0(VALU_DEP_2) | instskip(NEXT) | instid1(VALU_DEP_2)
	v_add_f64_e32 v[1:2], v[1:2], v[6:7]
	v_add_f64_e32 v[3:4], v[3:4], v[8:9]
	s_wait_loadcnt 0x0
	s_delay_alu instid0(VALU_DEP_2) | instskip(NEXT) | instid1(VALU_DEP_2)
	v_add_f64_e64 v[1:2], v[26:27], -v[1:2]
	v_add_f64_e64 v[3:4], v[28:29], -v[3:4]
	scratch_store_b128 off, v[1:4], off offset:32
	v_cmpx_ne_u32_e32 0, v0
	s_cbranch_execz .LBB111_301
; %bb.300:
	scratch_load_b128 v[0:3], off, off offset:16
	v_mov_b32_e32 v4, 0
	s_delay_alu instid0(VALU_DEP_1)
	v_dual_mov_b32 v5, v4 :: v_dual_mov_b32 v6, v4
	v_mov_b32_e32 v7, v4
	scratch_store_b128 off, v[4:7], off offset:16
	s_wait_loadcnt 0x0
	ds_store_b128 v138, v[0:3]
.LBB111_301:
	s_wait_alu 0xfffe
	s_or_b32 exec_lo, exec_lo, s0
	s_wait_storecnt_dscnt 0x0
	s_barrier_signal -1
	s_barrier_wait -1
	global_inv scope:SCOPE_SE
	s_clause 0x7
	scratch_load_b128 v[0:3], off, off offset:32
	scratch_load_b128 v[4:7], off, off offset:48
	;; [unrolled: 1-line block ×8, first 2 shown]
	v_mov_b32_e32 v40, 0
	s_and_b32 vcc_lo, exec_lo, s12
	ds_load_b128 v[36:39], v40 offset:784
	s_clause 0x1
	scratch_load_b128 v[32:35], off, off offset:160
	scratch_load_b128 v[138:141], off, off offset:16
	ds_load_b128 v[142:145], v40 offset:800
	scratch_load_b128 v[146:149], off, off offset:176
	s_wait_loadcnt_dscnt 0xa01
	v_mul_f64_e32 v[150:151], v[38:39], v[2:3]
	v_mul_f64_e32 v[2:3], v[36:37], v[2:3]
	s_delay_alu instid0(VALU_DEP_2) | instskip(NEXT) | instid1(VALU_DEP_2)
	v_fma_f64 v[156:157], v[36:37], v[0:1], -v[150:151]
	v_fma_f64 v[158:159], v[38:39], v[0:1], v[2:3]
	ds_load_b128 v[0:3], v40 offset:816
	s_wait_loadcnt_dscnt 0x901
	v_mul_f64_e32 v[154:155], v[142:143], v[6:7]
	v_mul_f64_e32 v[6:7], v[144:145], v[6:7]
	scratch_load_b128 v[36:39], off, off offset:192
	ds_load_b128 v[150:153], v40 offset:832
	s_wait_loadcnt_dscnt 0x901
	v_mul_f64_e32 v[160:161], v[0:1], v[10:11]
	v_mul_f64_e32 v[10:11], v[2:3], v[10:11]
	v_fma_f64 v[144:145], v[144:145], v[4:5], v[154:155]
	v_fma_f64 v[142:143], v[142:143], v[4:5], -v[6:7]
	v_add_f64_e32 v[154:155], 0, v[156:157]
	v_add_f64_e32 v[156:157], 0, v[158:159]
	scratch_load_b128 v[4:7], off, off offset:208
	v_fma_f64 v[160:161], v[2:3], v[8:9], v[160:161]
	v_fma_f64 v[162:163], v[0:1], v[8:9], -v[10:11]
	ds_load_b128 v[0:3], v40 offset:848
	s_wait_loadcnt_dscnt 0x901
	v_mul_f64_e32 v[158:159], v[150:151], v[14:15]
	v_mul_f64_e32 v[14:15], v[152:153], v[14:15]
	scratch_load_b128 v[8:11], off, off offset:224
	v_add_f64_e32 v[154:155], v[154:155], v[142:143]
	v_add_f64_e32 v[156:157], v[156:157], v[144:145]
	s_wait_loadcnt_dscnt 0x900
	v_mul_f64_e32 v[164:165], v[0:1], v[18:19]
	v_mul_f64_e32 v[18:19], v[2:3], v[18:19]
	ds_load_b128 v[142:145], v40 offset:864
	v_fma_f64 v[152:153], v[152:153], v[12:13], v[158:159]
	v_fma_f64 v[150:151], v[150:151], v[12:13], -v[14:15]
	scratch_load_b128 v[12:15], off, off offset:240
	v_add_f64_e32 v[154:155], v[154:155], v[162:163]
	v_add_f64_e32 v[156:157], v[156:157], v[160:161]
	v_fma_f64 v[160:161], v[2:3], v[16:17], v[164:165]
	v_fma_f64 v[162:163], v[0:1], v[16:17], -v[18:19]
	ds_load_b128 v[0:3], v40 offset:880
	s_wait_loadcnt_dscnt 0x901
	v_mul_f64_e32 v[158:159], v[142:143], v[22:23]
	v_mul_f64_e32 v[22:23], v[144:145], v[22:23]
	scratch_load_b128 v[16:19], off, off offset:256
	s_wait_loadcnt_dscnt 0x900
	v_mul_f64_e32 v[164:165], v[0:1], v[26:27]
	v_mul_f64_e32 v[26:27], v[2:3], v[26:27]
	v_add_f64_e32 v[154:155], v[154:155], v[150:151]
	v_add_f64_e32 v[156:157], v[156:157], v[152:153]
	ds_load_b128 v[150:153], v40 offset:896
	v_fma_f64 v[144:145], v[144:145], v[20:21], v[158:159]
	v_fma_f64 v[142:143], v[142:143], v[20:21], -v[22:23]
	scratch_load_b128 v[20:23], off, off offset:272
	v_add_f64_e32 v[154:155], v[154:155], v[162:163]
	v_add_f64_e32 v[156:157], v[156:157], v[160:161]
	v_fma_f64 v[160:161], v[2:3], v[24:25], v[164:165]
	v_fma_f64 v[162:163], v[0:1], v[24:25], -v[26:27]
	ds_load_b128 v[0:3], v40 offset:912
	s_wait_loadcnt_dscnt 0x901
	v_mul_f64_e32 v[158:159], v[150:151], v[30:31]
	v_mul_f64_e32 v[30:31], v[152:153], v[30:31]
	scratch_load_b128 v[24:27], off, off offset:288
	s_wait_loadcnt_dscnt 0x900
	v_mul_f64_e32 v[164:165], v[0:1], v[34:35]
	v_mul_f64_e32 v[34:35], v[2:3], v[34:35]
	v_add_f64_e32 v[154:155], v[154:155], v[142:143]
	v_add_f64_e32 v[156:157], v[156:157], v[144:145]
	ds_load_b128 v[142:145], v40 offset:928
	v_fma_f64 v[152:153], v[152:153], v[28:29], v[158:159]
	v_fma_f64 v[150:151], v[150:151], v[28:29], -v[30:31]
	scratch_load_b128 v[28:31], off, off offset:304
	v_add_f64_e32 v[154:155], v[154:155], v[162:163]
	v_add_f64_e32 v[156:157], v[156:157], v[160:161]
	v_fma_f64 v[162:163], v[2:3], v[32:33], v[164:165]
	v_fma_f64 v[164:165], v[0:1], v[32:33], -v[34:35]
	ds_load_b128 v[0:3], v40 offset:944
	s_wait_loadcnt_dscnt 0x801
	v_mul_f64_e32 v[158:159], v[142:143], v[148:149]
	v_mul_f64_e32 v[160:161], v[144:145], v[148:149]
	scratch_load_b128 v[32:35], off, off offset:320
	v_add_f64_e32 v[154:155], v[154:155], v[150:151]
	v_add_f64_e32 v[152:153], v[156:157], v[152:153]
	ds_load_b128 v[148:151], v40 offset:960
	v_fma_f64 v[158:159], v[144:145], v[146:147], v[158:159]
	v_fma_f64 v[146:147], v[142:143], v[146:147], -v[160:161]
	scratch_load_b128 v[142:145], off, off offset:336
	s_wait_loadcnt_dscnt 0x901
	v_mul_f64_e32 v[156:157], v[0:1], v[38:39]
	v_mul_f64_e32 v[38:39], v[2:3], v[38:39]
	v_add_f64_e32 v[154:155], v[154:155], v[164:165]
	v_add_f64_e32 v[152:153], v[152:153], v[162:163]
	s_delay_alu instid0(VALU_DEP_4) | instskip(NEXT) | instid1(VALU_DEP_4)
	v_fma_f64 v[156:157], v[2:3], v[36:37], v[156:157]
	v_fma_f64 v[162:163], v[0:1], v[36:37], -v[38:39]
	ds_load_b128 v[0:3], v40 offset:976
	s_wait_loadcnt_dscnt 0x801
	v_mul_f64_e32 v[160:161], v[148:149], v[6:7]
	v_mul_f64_e32 v[6:7], v[150:151], v[6:7]
	scratch_load_b128 v[36:39], off, off offset:352
	s_wait_loadcnt_dscnt 0x800
	v_mul_f64_e32 v[164:165], v[0:1], v[10:11]
	v_add_f64_e32 v[146:147], v[154:155], v[146:147]
	v_add_f64_e32 v[158:159], v[152:153], v[158:159]
	v_mul_f64_e32 v[10:11], v[2:3], v[10:11]
	ds_load_b128 v[152:155], v40 offset:992
	v_fma_f64 v[150:151], v[150:151], v[4:5], v[160:161]
	v_fma_f64 v[148:149], v[148:149], v[4:5], -v[6:7]
	scratch_load_b128 v[4:7], off, off offset:368
	v_fma_f64 v[160:161], v[2:3], v[8:9], v[164:165]
	v_add_f64_e32 v[146:147], v[146:147], v[162:163]
	v_add_f64_e32 v[156:157], v[158:159], v[156:157]
	v_fma_f64 v[162:163], v[0:1], v[8:9], -v[10:11]
	ds_load_b128 v[0:3], v40 offset:1008
	s_wait_loadcnt_dscnt 0x801
	v_mul_f64_e32 v[158:159], v[152:153], v[14:15]
	v_mul_f64_e32 v[14:15], v[154:155], v[14:15]
	scratch_load_b128 v[8:11], off, off offset:384
	v_add_f64_e32 v[164:165], v[146:147], v[148:149]
	v_add_f64_e32 v[150:151], v[156:157], v[150:151]
	s_wait_loadcnt_dscnt 0x800
	v_mul_f64_e32 v[156:157], v[0:1], v[18:19]
	v_mul_f64_e32 v[18:19], v[2:3], v[18:19]
	v_fma_f64 v[154:155], v[154:155], v[12:13], v[158:159]
	v_fma_f64 v[152:153], v[152:153], v[12:13], -v[14:15]
	ds_load_b128 v[146:149], v40 offset:1024
	scratch_load_b128 v[12:15], off, off offset:400
	v_add_f64_e32 v[158:159], v[164:165], v[162:163]
	v_add_f64_e32 v[150:151], v[150:151], v[160:161]
	v_fma_f64 v[156:157], v[2:3], v[16:17], v[156:157]
	v_fma_f64 v[162:163], v[0:1], v[16:17], -v[18:19]
	ds_load_b128 v[0:3], v40 offset:1040
	s_wait_loadcnt_dscnt 0x801
	v_mul_f64_e32 v[160:161], v[146:147], v[22:23]
	v_mul_f64_e32 v[22:23], v[148:149], v[22:23]
	scratch_load_b128 v[16:19], off, off offset:416
	s_wait_loadcnt_dscnt 0x800
	v_mul_f64_e32 v[164:165], v[0:1], v[26:27]
	v_mul_f64_e32 v[26:27], v[2:3], v[26:27]
	v_add_f64_e32 v[158:159], v[158:159], v[152:153]
	v_add_f64_e32 v[154:155], v[150:151], v[154:155]
	ds_load_b128 v[150:153], v40 offset:1056
	v_fma_f64 v[148:149], v[148:149], v[20:21], v[160:161]
	v_fma_f64 v[146:147], v[146:147], v[20:21], -v[22:23]
	scratch_load_b128 v[20:23], off, off offset:432
	v_fma_f64 v[160:161], v[2:3], v[24:25], v[164:165]
	v_add_f64_e32 v[158:159], v[158:159], v[162:163]
	v_add_f64_e32 v[154:155], v[154:155], v[156:157]
	v_fma_f64 v[162:163], v[0:1], v[24:25], -v[26:27]
	ds_load_b128 v[0:3], v40 offset:1072
	s_wait_loadcnt_dscnt 0x801
	v_mul_f64_e32 v[156:157], v[150:151], v[30:31]
	v_mul_f64_e32 v[30:31], v[152:153], v[30:31]
	scratch_load_b128 v[24:27], off, off offset:448
	s_wait_loadcnt_dscnt 0x800
	v_mul_f64_e32 v[164:165], v[0:1], v[34:35]
	v_mul_f64_e32 v[34:35], v[2:3], v[34:35]
	v_add_f64_e32 v[158:159], v[158:159], v[146:147]
	v_add_f64_e32 v[154:155], v[154:155], v[148:149]
	ds_load_b128 v[146:149], v40 offset:1088
	v_fma_f64 v[152:153], v[152:153], v[28:29], v[156:157]
	v_fma_f64 v[150:151], v[150:151], v[28:29], -v[30:31]
	scratch_load_b128 v[28:31], off, off offset:464
	v_add_f64_e32 v[156:157], v[158:159], v[162:163]
	v_add_f64_e32 v[154:155], v[154:155], v[160:161]
	v_fma_f64 v[160:161], v[2:3], v[32:33], v[164:165]
	v_fma_f64 v[162:163], v[0:1], v[32:33], -v[34:35]
	ds_load_b128 v[0:3], v40 offset:1104
	s_wait_loadcnt_dscnt 0x801
	v_mul_f64_e32 v[158:159], v[146:147], v[144:145]
	v_mul_f64_e32 v[144:145], v[148:149], v[144:145]
	scratch_load_b128 v[32:35], off, off offset:480
	s_wait_loadcnt_dscnt 0x800
	v_mul_f64_e32 v[164:165], v[0:1], v[38:39]
	v_mul_f64_e32 v[38:39], v[2:3], v[38:39]
	v_add_f64_e32 v[156:157], v[156:157], v[150:151]
	v_add_f64_e32 v[154:155], v[154:155], v[152:153]
	ds_load_b128 v[150:153], v40 offset:1120
	v_fma_f64 v[148:149], v[148:149], v[142:143], v[158:159]
	v_fma_f64 v[146:147], v[146:147], v[142:143], -v[144:145]
	scratch_load_b128 v[142:145], off, off offset:496
	v_add_f64_e32 v[156:157], v[156:157], v[162:163]
	v_add_f64_e32 v[154:155], v[154:155], v[160:161]
	v_fma_f64 v[160:161], v[2:3], v[36:37], v[164:165]
	;; [unrolled: 18-line block ×6, first 2 shown]
	v_fma_f64 v[164:165], v[0:1], v[32:33], -v[34:35]
	ds_load_b128 v[0:3], v40 offset:1264
	s_wait_loadcnt_dscnt 0x801
	v_mul_f64_e32 v[158:159], v[150:151], v[144:145]
	v_mul_f64_e32 v[160:161], v[152:153], v[144:145]
	scratch_load_b128 v[32:35], off, off offset:640
	v_add_f64_e32 v[156:157], v[156:157], v[146:147]
	v_add_f64_e32 v[148:149], v[154:155], v[148:149]
	s_wait_loadcnt_dscnt 0x800
	v_mul_f64_e32 v[154:155], v[0:1], v[38:39]
	v_mul_f64_e32 v[38:39], v[2:3], v[38:39]
	ds_load_b128 v[144:147], v40 offset:1280
	v_fma_f64 v[152:153], v[152:153], v[142:143], v[158:159]
	v_fma_f64 v[142:143], v[150:151], v[142:143], -v[160:161]
	v_add_f64_e32 v[156:157], v[156:157], v[164:165]
	v_add_f64_e32 v[158:159], v[148:149], v[162:163]
	scratch_load_b128 v[148:151], off, off offset:656
	v_fma_f64 v[162:163], v[2:3], v[36:37], v[154:155]
	v_fma_f64 v[164:165], v[0:1], v[36:37], -v[38:39]
	ds_load_b128 v[0:3], v40 offset:1296
	s_wait_loadcnt_dscnt 0x801
	v_mul_f64_e32 v[160:161], v[144:145], v[6:7]
	v_mul_f64_e32 v[6:7], v[146:147], v[6:7]
	scratch_load_b128 v[36:39], off, off offset:672
	v_add_f64_e32 v[142:143], v[156:157], v[142:143]
	v_add_f64_e32 v[156:157], v[158:159], v[152:153]
	s_wait_loadcnt_dscnt 0x800
	v_mul_f64_e32 v[158:159], v[0:1], v[10:11]
	v_mul_f64_e32 v[10:11], v[2:3], v[10:11]
	ds_load_b128 v[152:155], v40 offset:1312
	v_fma_f64 v[146:147], v[146:147], v[4:5], v[160:161]
	v_fma_f64 v[144:145], v[144:145], v[4:5], -v[6:7]
	scratch_load_b128 v[4:7], off, off offset:688
	v_add_f64_e32 v[142:143], v[142:143], v[164:165]
	v_add_f64_e32 v[156:157], v[156:157], v[162:163]
	v_fma_f64 v[158:159], v[2:3], v[8:9], v[158:159]
	v_fma_f64 v[162:163], v[0:1], v[8:9], -v[10:11]
	ds_load_b128 v[0:3], v40 offset:1328
	s_wait_loadcnt_dscnt 0x801
	v_mul_f64_e32 v[160:161], v[152:153], v[14:15]
	v_mul_f64_e32 v[14:15], v[154:155], v[14:15]
	scratch_load_b128 v[8:11], off, off offset:704
	v_add_f64_e32 v[164:165], v[142:143], v[144:145]
	v_add_f64_e32 v[146:147], v[156:157], v[146:147]
	s_wait_loadcnt_dscnt 0x800
	v_mul_f64_e32 v[156:157], v[0:1], v[18:19]
	v_mul_f64_e32 v[18:19], v[2:3], v[18:19]
	ds_load_b128 v[142:145], v40 offset:1344
	v_fma_f64 v[154:155], v[154:155], v[12:13], v[160:161]
	v_fma_f64 v[152:153], v[152:153], v[12:13], -v[14:15]
	scratch_load_b128 v[12:15], off, off offset:720
	v_add_f64_e32 v[160:161], v[164:165], v[162:163]
	v_add_f64_e32 v[146:147], v[146:147], v[158:159]
	v_fma_f64 v[156:157], v[2:3], v[16:17], v[156:157]
	v_fma_f64 v[162:163], v[0:1], v[16:17], -v[18:19]
	ds_load_b128 v[0:3], v40 offset:1360
	s_wait_loadcnt_dscnt 0x801
	v_mul_f64_e32 v[158:159], v[142:143], v[22:23]
	v_mul_f64_e32 v[22:23], v[144:145], v[22:23]
	scratch_load_b128 v[16:19], off, off offset:736
	s_wait_loadcnt_dscnt 0x800
	v_mul_f64_e32 v[164:165], v[0:1], v[26:27]
	v_mul_f64_e32 v[26:27], v[2:3], v[26:27]
	v_add_f64_e32 v[160:161], v[160:161], v[152:153]
	v_add_f64_e32 v[146:147], v[146:147], v[154:155]
	ds_load_b128 v[152:155], v40 offset:1376
	v_fma_f64 v[144:145], v[144:145], v[20:21], v[158:159]
	v_fma_f64 v[142:143], v[142:143], v[20:21], -v[22:23]
	scratch_load_b128 v[20:23], off, off offset:752
	v_add_f64_e32 v[158:159], v[160:161], v[162:163]
	v_add_f64_e32 v[146:147], v[146:147], v[156:157]
	v_fma_f64 v[160:161], v[2:3], v[24:25], v[164:165]
	v_fma_f64 v[162:163], v[0:1], v[24:25], -v[26:27]
	ds_load_b128 v[0:3], v40 offset:1392
	s_wait_loadcnt_dscnt 0x801
	v_mul_f64_e32 v[156:157], v[152:153], v[30:31]
	v_mul_f64_e32 v[30:31], v[154:155], v[30:31]
	scratch_load_b128 v[24:27], off, off offset:768
	s_wait_loadcnt_dscnt 0x800
	v_mul_f64_e32 v[164:165], v[0:1], v[34:35]
	v_mul_f64_e32 v[34:35], v[2:3], v[34:35]
	v_add_f64_e32 v[158:159], v[158:159], v[142:143]
	v_add_f64_e32 v[146:147], v[146:147], v[144:145]
	ds_load_b128 v[142:145], v40 offset:1408
	v_fma_f64 v[154:155], v[154:155], v[28:29], v[156:157]
	v_fma_f64 v[28:29], v[152:153], v[28:29], -v[30:31]
	v_fma_f64 v[156:157], v[2:3], v[32:33], v[164:165]
	v_fma_f64 v[32:33], v[0:1], v[32:33], -v[34:35]
	v_add_f64_e32 v[30:31], v[158:159], v[162:163]
	v_add_f64_e32 v[146:147], v[146:147], v[160:161]
	s_wait_loadcnt_dscnt 0x700
	v_mul_f64_e32 v[152:153], v[142:143], v[150:151]
	v_mul_f64_e32 v[150:151], v[144:145], v[150:151]
	s_delay_alu instid0(VALU_DEP_4) | instskip(NEXT) | instid1(VALU_DEP_4)
	v_add_f64_e32 v[34:35], v[30:31], v[28:29]
	v_add_f64_e32 v[146:147], v[146:147], v[154:155]
	ds_load_b128 v[0:3], v40 offset:1424
	ds_load_b128 v[28:31], v40 offset:1440
	v_fma_f64 v[144:145], v[144:145], v[148:149], v[152:153]
	v_fma_f64 v[142:143], v[142:143], v[148:149], -v[150:151]
	s_wait_loadcnt_dscnt 0x601
	v_mul_f64_e32 v[154:155], v[0:1], v[38:39]
	v_mul_f64_e32 v[38:39], v[2:3], v[38:39]
	v_add_f64_e32 v[32:33], v[34:35], v[32:33]
	v_add_f64_e32 v[34:35], v[146:147], v[156:157]
	s_wait_loadcnt_dscnt 0x500
	v_mul_f64_e32 v[146:147], v[28:29], v[6:7]
	v_mul_f64_e32 v[6:7], v[30:31], v[6:7]
	v_fma_f64 v[148:149], v[2:3], v[36:37], v[154:155]
	v_fma_f64 v[36:37], v[0:1], v[36:37], -v[38:39]
	v_add_f64_e32 v[38:39], v[32:33], v[142:143]
	v_add_f64_e32 v[142:143], v[34:35], v[144:145]
	ds_load_b128 v[0:3], v40 offset:1456
	ds_load_b128 v[32:35], v40 offset:1472
	v_fma_f64 v[30:31], v[30:31], v[4:5], v[146:147]
	v_fma_f64 v[4:5], v[28:29], v[4:5], -v[6:7]
	s_wait_loadcnt_dscnt 0x401
	v_mul_f64_e32 v[144:145], v[0:1], v[10:11]
	v_mul_f64_e32 v[10:11], v[2:3], v[10:11]
	v_add_f64_e32 v[6:7], v[38:39], v[36:37]
	v_add_f64_e32 v[28:29], v[142:143], v[148:149]
	s_wait_loadcnt_dscnt 0x300
	v_mul_f64_e32 v[36:37], v[32:33], v[14:15]
	v_mul_f64_e32 v[14:15], v[34:35], v[14:15]
	v_fma_f64 v[38:39], v[2:3], v[8:9], v[144:145]
	v_fma_f64 v[8:9], v[0:1], v[8:9], -v[10:11]
	v_add_f64_e32 v[10:11], v[6:7], v[4:5]
	v_add_f64_e32 v[28:29], v[28:29], v[30:31]
	ds_load_b128 v[0:3], v40 offset:1488
	ds_load_b128 v[4:7], v40 offset:1504
	v_fma_f64 v[34:35], v[34:35], v[12:13], v[36:37]
	v_fma_f64 v[12:13], v[32:33], v[12:13], -v[14:15]
	s_wait_loadcnt_dscnt 0x201
	v_mul_f64_e32 v[30:31], v[0:1], v[18:19]
	v_mul_f64_e32 v[18:19], v[2:3], v[18:19]
	s_wait_loadcnt_dscnt 0x100
	v_mul_f64_e32 v[14:15], v[4:5], v[22:23]
	v_mul_f64_e32 v[22:23], v[6:7], v[22:23]
	v_add_f64_e32 v[8:9], v[10:11], v[8:9]
	v_add_f64_e32 v[10:11], v[28:29], v[38:39]
	v_fma_f64 v[28:29], v[2:3], v[16:17], v[30:31]
	v_fma_f64 v[16:17], v[0:1], v[16:17], -v[18:19]
	ds_load_b128 v[0:3], v40 offset:1520
	v_fma_f64 v[6:7], v[6:7], v[20:21], v[14:15]
	v_fma_f64 v[4:5], v[4:5], v[20:21], -v[22:23]
	v_add_f64_e32 v[8:9], v[8:9], v[12:13]
	v_add_f64_e32 v[10:11], v[10:11], v[34:35]
	s_wait_loadcnt_dscnt 0x0
	v_mul_f64_e32 v[12:13], v[0:1], v[26:27]
	v_mul_f64_e32 v[18:19], v[2:3], v[26:27]
	s_delay_alu instid0(VALU_DEP_4) | instskip(NEXT) | instid1(VALU_DEP_4)
	v_add_f64_e32 v[8:9], v[8:9], v[16:17]
	v_add_f64_e32 v[10:11], v[10:11], v[28:29]
	s_delay_alu instid0(VALU_DEP_4) | instskip(NEXT) | instid1(VALU_DEP_4)
	v_fma_f64 v[2:3], v[2:3], v[24:25], v[12:13]
	v_fma_f64 v[0:1], v[0:1], v[24:25], -v[18:19]
	s_delay_alu instid0(VALU_DEP_4) | instskip(NEXT) | instid1(VALU_DEP_4)
	v_add_f64_e32 v[4:5], v[8:9], v[4:5]
	v_add_f64_e32 v[6:7], v[10:11], v[6:7]
	s_delay_alu instid0(VALU_DEP_2) | instskip(NEXT) | instid1(VALU_DEP_2)
	v_add_f64_e32 v[0:1], v[4:5], v[0:1]
	v_add_f64_e32 v[2:3], v[6:7], v[2:3]
	s_delay_alu instid0(VALU_DEP_2) | instskip(NEXT) | instid1(VALU_DEP_2)
	v_add_f64_e64 v[0:1], v[138:139], -v[0:1]
	v_add_f64_e64 v[2:3], v[140:141], -v[2:3]
	scratch_store_b128 off, v[0:3], off offset:16
	s_wait_alu 0xfffe
	s_cbranch_vccz .LBB111_396
; %bb.302:
	global_load_b32 v0, v40, s[2:3] offset:184
	s_wait_loadcnt 0x0
	v_cmp_ne_u32_e32 vcc_lo, 47, v0
	s_cbranch_vccz .LBB111_304
; %bb.303:
	v_lshlrev_b32_e32 v0, 4, v0
	s_delay_alu instid0(VALU_DEP_1)
	v_add_nc_u32_e32 v8, 16, v0
	s_clause 0x1
	scratch_load_b128 v[0:3], v8, off offset:-16
	scratch_load_b128 v[4:7], off, s11
	s_wait_loadcnt 0x1
	scratch_store_b128 off, v[0:3], s11
	s_wait_loadcnt 0x0
	scratch_store_b128 v8, v[4:7], off offset:-16
.LBB111_304:
	v_mov_b32_e32 v0, 0
	global_load_b32 v1, v0, s[2:3] offset:180
	s_wait_loadcnt 0x0
	v_cmp_eq_u32_e32 vcc_lo, 46, v1
	s_cbranch_vccnz .LBB111_306
; %bb.305:
	v_lshlrev_b32_e32 v1, 4, v1
	s_delay_alu instid0(VALU_DEP_1)
	v_add_nc_u32_e32 v9, 16, v1
	s_clause 0x1
	scratch_load_b128 v[1:4], v9, off offset:-16
	scratch_load_b128 v[5:8], off, s14
	s_wait_loadcnt 0x1
	scratch_store_b128 off, v[1:4], s14
	s_wait_loadcnt 0x0
	scratch_store_b128 v9, v[5:8], off offset:-16
.LBB111_306:
	global_load_b32 v0, v0, s[2:3] offset:176
	s_wait_loadcnt 0x0
	v_cmp_eq_u32_e32 vcc_lo, 45, v0
	s_cbranch_vccnz .LBB111_308
; %bb.307:
	v_lshlrev_b32_e32 v0, 4, v0
	s_delay_alu instid0(VALU_DEP_1)
	v_add_nc_u32_e32 v8, 16, v0
	s_clause 0x1
	scratch_load_b128 v[0:3], v8, off offset:-16
	scratch_load_b128 v[4:7], off, s16
	s_wait_loadcnt 0x1
	scratch_store_b128 off, v[0:3], s16
	s_wait_loadcnt 0x0
	scratch_store_b128 v8, v[4:7], off offset:-16
.LBB111_308:
	v_mov_b32_e32 v0, 0
	global_load_b32 v1, v0, s[2:3] offset:172
	s_wait_loadcnt 0x0
	v_cmp_eq_u32_e32 vcc_lo, 44, v1
	s_cbranch_vccnz .LBB111_310
; %bb.309:
	v_lshlrev_b32_e32 v1, 4, v1
	s_delay_alu instid0(VALU_DEP_1)
	v_add_nc_u32_e32 v9, 16, v1
	s_clause 0x1
	scratch_load_b128 v[1:4], v9, off offset:-16
	scratch_load_b128 v[5:8], off, s17
	s_wait_loadcnt 0x1
	scratch_store_b128 off, v[1:4], s17
	s_wait_loadcnt 0x0
	scratch_store_b128 v9, v[5:8], off offset:-16
.LBB111_310:
	global_load_b32 v0, v0, s[2:3] offset:168
	s_wait_loadcnt 0x0
	v_cmp_eq_u32_e32 vcc_lo, 43, v0
	s_cbranch_vccnz .LBB111_312
; %bb.311:
	v_lshlrev_b32_e32 v0, 4, v0
	s_delay_alu instid0(VALU_DEP_1)
	v_add_nc_u32_e32 v8, 16, v0
	s_clause 0x1
	scratch_load_b128 v[0:3], v8, off offset:-16
	scratch_load_b128 v[4:7], off, s18
	s_wait_loadcnt 0x1
	scratch_store_b128 off, v[0:3], s18
	s_wait_loadcnt 0x0
	scratch_store_b128 v8, v[4:7], off offset:-16
.LBB111_312:
	;; [unrolled: 33-line block ×22, first 2 shown]
	v_mov_b32_e32 v0, 0
	global_load_b32 v1, v0, s[2:3] offset:4
	s_wait_loadcnt 0x0
	v_cmp_eq_u32_e32 vcc_lo, 2, v1
	s_cbranch_vccnz .LBB111_394
; %bb.393:
	v_lshlrev_b32_e32 v1, 4, v1
	s_delay_alu instid0(VALU_DEP_1)
	v_add_nc_u32_e32 v9, 16, v1
	s_clause 0x1
	scratch_load_b128 v[1:4], v9, off offset:-16
	scratch_load_b128 v[5:8], off, s15
	s_wait_loadcnt 0x1
	scratch_store_b128 off, v[1:4], s15
	s_wait_loadcnt 0x0
	scratch_store_b128 v9, v[5:8], off offset:-16
.LBB111_394:
	global_load_b32 v0, v0, s[2:3]
	s_wait_loadcnt 0x0
	v_cmp_eq_u32_e32 vcc_lo, 1, v0
	s_cbranch_vccnz .LBB111_396
; %bb.395:
	v_lshlrev_b32_e32 v0, 4, v0
	s_delay_alu instid0(VALU_DEP_1)
	v_add_nc_u32_e32 v8, 16, v0
	scratch_load_b128 v[0:3], v8, off offset:-16
	scratch_load_b128 v[4:7], off, off offset:16
	s_wait_loadcnt 0x1
	scratch_store_b128 off, v[0:3], off offset:16
	s_wait_loadcnt 0x0
	scratch_store_b128 v8, v[4:7], off offset:-16
.LBB111_396:
	scratch_load_b128 v[0:3], off, off offset:16
	s_wait_loadcnt 0x0
	flat_store_b128 v[42:43], v[0:3]
	scratch_load_b128 v[0:3], off, s15
	s_wait_loadcnt 0x0
	flat_store_b128 v[44:45], v[0:3]
	scratch_load_b128 v[0:3], off, s13
	;; [unrolled: 3-line block ×47, first 2 shown]
	s_wait_loadcnt 0x0
	flat_store_b128 v[136:137], v[0:3]
	s_nop 0
	s_sendmsg sendmsg(MSG_DEALLOC_VGPRS)
	s_endpgm
	.section	.rodata,"a",@progbits
	.p2align	6, 0x0
	.amdhsa_kernel _ZN9rocsolver6v33100L18getri_kernel_smallILi48E19rocblas_complex_numIdEPKPS3_EEvT1_iilPiilS8_bb
		.amdhsa_group_segment_fixed_size 1544
		.amdhsa_private_segment_fixed_size 800
		.amdhsa_kernarg_size 60
		.amdhsa_user_sgpr_count 2
		.amdhsa_user_sgpr_dispatch_ptr 0
		.amdhsa_user_sgpr_queue_ptr 0
		.amdhsa_user_sgpr_kernarg_segment_ptr 1
		.amdhsa_user_sgpr_dispatch_id 0
		.amdhsa_user_sgpr_private_segment_size 0
		.amdhsa_wavefront_size32 1
		.amdhsa_uses_dynamic_stack 0
		.amdhsa_enable_private_segment 1
		.amdhsa_system_sgpr_workgroup_id_x 1
		.amdhsa_system_sgpr_workgroup_id_y 0
		.amdhsa_system_sgpr_workgroup_id_z 0
		.amdhsa_system_sgpr_workgroup_info 0
		.amdhsa_system_vgpr_workitem_id 0
		.amdhsa_next_free_vgpr 166
		.amdhsa_next_free_sgpr 78
		.amdhsa_reserve_vcc 1
		.amdhsa_float_round_mode_32 0
		.amdhsa_float_round_mode_16_64 0
		.amdhsa_float_denorm_mode_32 3
		.amdhsa_float_denorm_mode_16_64 3
		.amdhsa_fp16_overflow 0
		.amdhsa_workgroup_processor_mode 1
		.amdhsa_memory_ordered 1
		.amdhsa_forward_progress 1
		.amdhsa_inst_pref_size 255
		.amdhsa_round_robin_scheduling 0
		.amdhsa_exception_fp_ieee_invalid_op 0
		.amdhsa_exception_fp_denorm_src 0
		.amdhsa_exception_fp_ieee_div_zero 0
		.amdhsa_exception_fp_ieee_overflow 0
		.amdhsa_exception_fp_ieee_underflow 0
		.amdhsa_exception_fp_ieee_inexact 0
		.amdhsa_exception_int_div_zero 0
	.end_amdhsa_kernel
	.section	.text._ZN9rocsolver6v33100L18getri_kernel_smallILi48E19rocblas_complex_numIdEPKPS3_EEvT1_iilPiilS8_bb,"axG",@progbits,_ZN9rocsolver6v33100L18getri_kernel_smallILi48E19rocblas_complex_numIdEPKPS3_EEvT1_iilPiilS8_bb,comdat
.Lfunc_end111:
	.size	_ZN9rocsolver6v33100L18getri_kernel_smallILi48E19rocblas_complex_numIdEPKPS3_EEvT1_iilPiilS8_bb, .Lfunc_end111-_ZN9rocsolver6v33100L18getri_kernel_smallILi48E19rocblas_complex_numIdEPKPS3_EEvT1_iilPiilS8_bb
                                        ; -- End function
	.set _ZN9rocsolver6v33100L18getri_kernel_smallILi48E19rocblas_complex_numIdEPKPS3_EEvT1_iilPiilS8_bb.num_vgpr, 166
	.set _ZN9rocsolver6v33100L18getri_kernel_smallILi48E19rocblas_complex_numIdEPKPS3_EEvT1_iilPiilS8_bb.num_agpr, 0
	.set _ZN9rocsolver6v33100L18getri_kernel_smallILi48E19rocblas_complex_numIdEPKPS3_EEvT1_iilPiilS8_bb.numbered_sgpr, 78
	.set _ZN9rocsolver6v33100L18getri_kernel_smallILi48E19rocblas_complex_numIdEPKPS3_EEvT1_iilPiilS8_bb.num_named_barrier, 0
	.set _ZN9rocsolver6v33100L18getri_kernel_smallILi48E19rocblas_complex_numIdEPKPS3_EEvT1_iilPiilS8_bb.private_seg_size, 800
	.set _ZN9rocsolver6v33100L18getri_kernel_smallILi48E19rocblas_complex_numIdEPKPS3_EEvT1_iilPiilS8_bb.uses_vcc, 1
	.set _ZN9rocsolver6v33100L18getri_kernel_smallILi48E19rocblas_complex_numIdEPKPS3_EEvT1_iilPiilS8_bb.uses_flat_scratch, 1
	.set _ZN9rocsolver6v33100L18getri_kernel_smallILi48E19rocblas_complex_numIdEPKPS3_EEvT1_iilPiilS8_bb.has_dyn_sized_stack, 0
	.set _ZN9rocsolver6v33100L18getri_kernel_smallILi48E19rocblas_complex_numIdEPKPS3_EEvT1_iilPiilS8_bb.has_recursion, 0
	.set _ZN9rocsolver6v33100L18getri_kernel_smallILi48E19rocblas_complex_numIdEPKPS3_EEvT1_iilPiilS8_bb.has_indirect_call, 0
	.section	.AMDGPU.csdata,"",@progbits
; Kernel info:
; codeLenInByte = 95636
; TotalNumSgprs: 80
; NumVgprs: 166
; ScratchSize: 800
; MemoryBound: 0
; FloatMode: 240
; IeeeMode: 1
; LDSByteSize: 1544 bytes/workgroup (compile time only)
; SGPRBlocks: 0
; VGPRBlocks: 20
; NumSGPRsForWavesPerEU: 80
; NumVGPRsForWavesPerEU: 166
; Occupancy: 9
; WaveLimiterHint : 1
; COMPUTE_PGM_RSRC2:SCRATCH_EN: 1
; COMPUTE_PGM_RSRC2:USER_SGPR: 2
; COMPUTE_PGM_RSRC2:TRAP_HANDLER: 0
; COMPUTE_PGM_RSRC2:TGID_X_EN: 1
; COMPUTE_PGM_RSRC2:TGID_Y_EN: 0
; COMPUTE_PGM_RSRC2:TGID_Z_EN: 0
; COMPUTE_PGM_RSRC2:TIDIG_COMP_CNT: 0
	.section	.text._ZN9rocsolver6v33100L18getri_kernel_smallILi49E19rocblas_complex_numIdEPKPS3_EEvT1_iilPiilS8_bb,"axG",@progbits,_ZN9rocsolver6v33100L18getri_kernel_smallILi49E19rocblas_complex_numIdEPKPS3_EEvT1_iilPiilS8_bb,comdat
	.globl	_ZN9rocsolver6v33100L18getri_kernel_smallILi49E19rocblas_complex_numIdEPKPS3_EEvT1_iilPiilS8_bb ; -- Begin function _ZN9rocsolver6v33100L18getri_kernel_smallILi49E19rocblas_complex_numIdEPKPS3_EEvT1_iilPiilS8_bb
	.p2align	8
	.type	_ZN9rocsolver6v33100L18getri_kernel_smallILi49E19rocblas_complex_numIdEPKPS3_EEvT1_iilPiilS8_bb,@function
_ZN9rocsolver6v33100L18getri_kernel_smallILi49E19rocblas_complex_numIdEPKPS3_EEvT1_iilPiilS8_bb: ; @_ZN9rocsolver6v33100L18getri_kernel_smallILi49E19rocblas_complex_numIdEPKPS3_EEvT1_iilPiilS8_bb
; %bb.0:
	s_mov_b32 s2, exec_lo
	v_cmpx_gt_u32_e32 49, v0
	s_cbranch_execz .LBB112_210
; %bb.1:
	s_clause 0x1
	s_load_b32 s13, s[0:1], 0x38
	s_load_b64 s[2:3], s[0:1], 0x0
	s_mov_b32 s8, ttmp9
	s_load_b128 s[4:7], s[0:1], 0x28
	s_wait_kmcnt 0x0
	s_bitcmp1_b32 s13, 8
	s_cselect_b32 s12, -1, 0
	s_ashr_i32 s9, ttmp9, 31
	s_delay_alu instid0(SALU_CYCLE_1) | instskip(NEXT) | instid1(SALU_CYCLE_1)
	s_lshl_b64 s[10:11], s[8:9], 3
	s_add_nc_u64 s[2:3], s[2:3], s[10:11]
	s_load_b64 s[10:11], s[2:3], 0x0
	s_bfe_u32 s2, s13, 0x10008
	s_delay_alu instid0(SALU_CYCLE_1)
	s_cmp_eq_u32 s2, 0
                                        ; implicit-def: $sgpr2_sgpr3
	s_cbranch_scc1 .LBB112_3
; %bb.2:
	s_load_b96 s[16:18], s[0:1], 0x18
	s_mul_u64 s[2:3], s[4:5], s[8:9]
	s_delay_alu instid0(SALU_CYCLE_1)
	s_lshl_b64 s[2:3], s[2:3], 2
	s_wait_kmcnt 0x0
	s_ashr_i32 s5, s18, 31
	s_mov_b32 s4, s18
	s_add_nc_u64 s[2:3], s[16:17], s[2:3]
	s_lshl_b64 s[4:5], s[4:5], 2
	s_delay_alu instid0(SALU_CYCLE_1)
	s_add_nc_u64 s[2:3], s[2:3], s[4:5]
.LBB112_3:
	s_clause 0x1
	s_load_b64 s[4:5], s[0:1], 0x8
	s_load_b32 s58, s[0:1], 0x38
	v_lshlrev_b32_e32 v13, 4, v0
	s_movk_i32 s14, 0x90
	s_movk_i32 s16, 0xa0
	;; [unrolled: 1-line block ×17, first 2 shown]
	s_wait_kmcnt 0x0
	s_ashr_i32 s1, s4, 31
	s_mov_b32 s0, s4
	v_add3_u32 v5, s5, s5, v0
	s_lshl_b64 s[0:1], s[0:1], 4
	s_movk_i32 s33, 0x1a0
	s_add_nc_u64 s[0:1], s[10:11], s[0:1]
	s_ashr_i32 s11, s5, 31
	v_add_co_u32 v42, s4, s0, v13
	s_wait_alu 0xf1ff
	v_add_co_ci_u32_e64 v43, null, s1, 0, s4
	s_mov_b32 s10, s5
	v_ashrrev_i32_e32 v6, 31, v5
	s_lshl_b64 s[10:11], s[10:11], 4
	flat_load_b128 v[1:4], v[42:43]
	v_add_co_u32 v44, vcc_lo, v42, s10
	s_delay_alu instid0(VALU_DEP_1)
	v_add_co_ci_u32_e64 v45, null, s11, v43, vcc_lo
	v_lshlrev_b64_e32 v[6:7], 4, v[5:6]
	v_add_nc_u32_e32 v5, s5, v5
	s_movk_i32 s11, 0x80
	s_movk_i32 s34, 0x1b0
	;; [unrolled: 1-line block ×4, first 2 shown]
	v_add_co_u32 v46, vcc_lo, s0, v6
	s_wait_alu 0xfffd
	v_add_co_ci_u32_e64 v47, null, s1, v7, vcc_lo
	v_ashrrev_i32_e32 v6, 31, v5
	s_movk_i32 s61, 0x1e0
	s_movk_i32 s62, 0x1f0
	;; [unrolled: 1-line block ×4, first 2 shown]
	v_lshlrev_b64_e32 v[6:7], 4, v[5:6]
	v_add_nc_u32_e32 v5, s5, v5
	s_movk_i32 s65, 0x220
	s_movk_i32 s66, 0x230
	;; [unrolled: 1-line block ×4, first 2 shown]
	v_add_co_u32 v48, vcc_lo, s0, v6
	s_wait_alu 0xfffd
	v_add_co_ci_u32_e64 v49, null, s1, v7, vcc_lo
	v_ashrrev_i32_e32 v6, 31, v5
	s_movk_i32 s69, 0x260
	s_movk_i32 s70, 0x270
	s_movk_i32 s71, 0x280
	s_movk_i32 s72, 0x290
	v_lshlrev_b64_e32 v[6:7], 4, v[5:6]
	v_add_nc_u32_e32 v5, s5, v5
	s_movk_i32 s73, 0x2a0
	s_movk_i32 s74, 0x2b0
	;; [unrolled: 1-line block ×4, first 2 shown]
	v_add_co_u32 v50, vcc_lo, s0, v6
	s_wait_alu 0xfffd
	v_add_co_ci_u32_e64 v51, null, s1, v7, vcc_lo
	v_ashrrev_i32_e32 v6, 31, v5
	s_movk_i32 s77, 0x2e0
	s_movk_i32 s78, 0x2f0
	;; [unrolled: 1-line block ×3, first 2 shown]
	s_wait_alu 0xfffe
	s_add_co_i32 s54, s11, 16
	v_lshlrev_b64_e32 v[6:7], 4, v[5:6]
	v_add_nc_u32_e32 v5, s5, v5
	s_add_co_i32 s53, s14, 16
	s_add_co_i32 s52, s16, 16
	s_add_co_i32 s51, s17, 16
	s_add_co_i32 s50, s18, 16
	v_add_co_u32 v52, vcc_lo, s0, v6
	s_wait_alu 0xfffd
	v_add_co_ci_u32_e64 v53, null, s1, v7, vcc_lo
	v_ashrrev_i32_e32 v6, 31, v5
	s_add_co_i32 s49, s19, 16
	s_add_co_i32 s48, s20, 16
	s_add_co_i32 s47, s21, 16
	s_add_co_i32 s46, s22, 16
	v_lshlrev_b64_e32 v[6:7], 4, v[5:6]
	v_add_nc_u32_e32 v5, s5, v5
	s_add_co_i32 s45, s23, 16
	s_add_co_i32 s44, s24, 16
	s_add_co_i32 s43, s25, 16
	s_add_co_i32 s42, s26, 16
	v_add_co_u32 v54, vcc_lo, s0, v6
	s_wait_alu 0xfffd
	v_add_co_ci_u32_e64 v55, null, s1, v7, vcc_lo
	v_ashrrev_i32_e32 v6, 31, v5
	s_add_co_i32 s41, s27, 16
	s_add_co_i32 s40, s28, 16
	s_add_co_i32 s39, s29, 16
	;; [unrolled: 14-line block ×5, first 2 shown]
	s_mov_b32 s15, 32
	v_lshlrev_b64_e32 v[6:7], 4, v[5:6]
	v_add_nc_u32_e32 v5, s5, v5
	s_mov_b32 s13, 48
	s_mov_b32 s10, 64
	s_movk_i32 s4, 0x50
	s_delay_alu instid0(VALU_DEP_2) | instskip(SKIP_3) | instid1(VALU_DEP_1)
	v_add_co_u32 v62, vcc_lo, s0, v6
	s_wait_alu 0xfffd
	v_add_co_ci_u32_e64 v63, null, s1, v7, vcc_lo
	v_ashrrev_i32_e32 v6, 31, v5
	v_lshlrev_b64_e32 v[6:7], 4, v[5:6]
	v_add_nc_u32_e32 v5, s5, v5
	s_delay_alu instid0(VALU_DEP_2) | instskip(SKIP_1) | instid1(VALU_DEP_3)
	v_add_co_u32 v64, vcc_lo, s0, v6
	s_wait_alu 0xfffd
	v_add_co_ci_u32_e64 v65, null, s1, v7, vcc_lo
	s_delay_alu instid0(VALU_DEP_3) | instskip(NEXT) | instid1(VALU_DEP_1)
	v_ashrrev_i32_e32 v6, 31, v5
	v_lshlrev_b64_e32 v[6:7], 4, v[5:6]
	v_add_nc_u32_e32 v5, s5, v5
	s_delay_alu instid0(VALU_DEP_2) | instskip(SKIP_1) | instid1(VALU_DEP_3)
	v_add_co_u32 v66, vcc_lo, s0, v6
	s_wait_alu 0xfffd
	v_add_co_ci_u32_e64 v67, null, s1, v7, vcc_lo
	s_delay_alu instid0(VALU_DEP_3) | instskip(NEXT) | instid1(VALU_DEP_1)
	;; [unrolled: 8-line block ×12, first 2 shown]
	v_ashrrev_i32_e32 v6, 31, v5
	v_lshlrev_b64_e32 v[6:7], 4, v[5:6]
	s_wait_loadcnt_dscnt 0x0
	scratch_store_b128 off, v[1:4], off offset:16
	flat_load_b128 v[1:4], v[44:45]
	v_add_nc_u32_e32 v5, s5, v5
	v_add_co_u32 v88, vcc_lo, s0, v6
	s_wait_alu 0xfffd
	v_add_co_ci_u32_e64 v89, null, s1, v7, vcc_lo
	s_delay_alu instid0(VALU_DEP_3) | instskip(NEXT) | instid1(VALU_DEP_1)
	v_ashrrev_i32_e32 v6, 31, v5
	v_lshlrev_b64_e32 v[6:7], 4, v[5:6]
	v_add_nc_u32_e32 v5, s5, v5
	s_delay_alu instid0(VALU_DEP_2) | instskip(SKIP_1) | instid1(VALU_DEP_3)
	v_add_co_u32 v90, vcc_lo, s0, v6
	s_wait_alu 0xfffd
	v_add_co_ci_u32_e64 v91, null, s1, v7, vcc_lo
	s_delay_alu instid0(VALU_DEP_3) | instskip(NEXT) | instid1(VALU_DEP_1)
	v_ashrrev_i32_e32 v6, 31, v5
	v_lshlrev_b64_e32 v[6:7], 4, v[5:6]
	v_add_nc_u32_e32 v5, s5, v5
	s_delay_alu instid0(VALU_DEP_2) | instskip(SKIP_1) | instid1(VALU_DEP_3)
	;; [unrolled: 8-line block ×20, first 2 shown]
	v_add_co_u32 v128, vcc_lo, s0, v6
	s_wait_alu 0xfffd
	v_add_co_ci_u32_e64 v129, null, s1, v7, vcc_lo
	s_delay_alu instid0(VALU_DEP_3) | instskip(NEXT) | instid1(VALU_DEP_1)
	v_ashrrev_i32_e32 v6, 31, v5
	v_lshlrev_b64_e32 v[6:7], 4, v[5:6]
	v_add_nc_u32_e32 v5, s5, v5
	s_delay_alu instid0(VALU_DEP_2)
	v_add_co_u32 v130, vcc_lo, s0, v6
	s_wait_loadcnt_dscnt 0x0
	scratch_store_b128 off, v[1:4], off offset:32
	flat_load_b128 v[1:4], v[46:47]
	s_wait_alu 0xfffd
	v_add_co_ci_u32_e64 v131, null, s1, v7, vcc_lo
	v_ashrrev_i32_e32 v6, 31, v5
	s_delay_alu instid0(VALU_DEP_1) | instskip(SKIP_1) | instid1(VALU_DEP_2)
	v_lshlrev_b64_e32 v[6:7], 4, v[5:6]
	v_add_nc_u32_e32 v5, s5, v5
	v_add_co_u32 v132, vcc_lo, s0, v6
	s_wait_alu 0xfffd
	s_delay_alu instid0(VALU_DEP_3) | instskip(NEXT) | instid1(VALU_DEP_3)
	v_add_co_ci_u32_e64 v133, null, s1, v7, vcc_lo
	v_ashrrev_i32_e32 v6, 31, v5
	s_delay_alu instid0(VALU_DEP_1) | instskip(SKIP_1) | instid1(VALU_DEP_2)
	v_lshlrev_b64_e32 v[6:7], 4, v[5:6]
	v_add_nc_u32_e32 v5, s5, v5
	v_add_co_u32 v134, vcc_lo, s0, v6
	s_wait_alu 0xfffd
	s_delay_alu instid0(VALU_DEP_3) | instskip(NEXT) | instid1(VALU_DEP_3)
	v_add_co_ci_u32_e64 v135, null, s1, v7, vcc_lo
	v_ashrrev_i32_e32 v6, 31, v5
	s_delay_alu instid0(VALU_DEP_1)
	v_lshlrev_b64_e32 v[6:7], 4, v[5:6]
	v_add_nc_u32_e32 v5, s5, v5
	s_movk_i32 s5, 0x70
	s_wait_alu 0xfffe
	s_add_co_i32 s55, s5, 16
	s_add_co_i32 s5, s79, 16
	v_add_co_u32 v136, vcc_lo, s0, v6
	s_wait_alu 0xfffd
	v_add_co_ci_u32_e64 v137, null, s1, v7, vcc_lo
	v_ashrrev_i32_e32 v6, 31, v5
	s_delay_alu instid0(VALU_DEP_1) | instskip(NEXT) | instid1(VALU_DEP_1)
	v_lshlrev_b64_e32 v[5:6], 4, v[5:6]
	v_add_co_u32 v138, vcc_lo, s0, v5
	s_wait_alu 0xfffd
	s_delay_alu instid0(VALU_DEP_2)
	v_add_co_ci_u32_e64 v139, null, s1, v6, vcc_lo
	s_movk_i32 s0, 0x50
	s_movk_i32 s1, 0x60
	s_wait_alu 0xfffe
	s_add_co_i32 s57, s0, 16
	s_add_co_i32 s56, s1, 16
	s_bitcmp0_b32 s58, 0
	s_mov_b32 s1, -1
	s_wait_loadcnt_dscnt 0x0
	scratch_store_b128 off, v[1:4], off offset:48
	flat_load_b128 v[1:4], v[48:49]
	s_wait_loadcnt_dscnt 0x0
	scratch_store_b128 off, v[1:4], off offset:64
	flat_load_b128 v[1:4], v[50:51]
	;; [unrolled: 3-line block ×46, first 2 shown]
	s_wait_loadcnt_dscnt 0x0
	scratch_store_b128 off, v[1:4], off offset:784
	s_cbranch_scc1 .LBB112_208
; %bb.4:
	v_cmp_eq_u32_e64 s0, 0, v0
	s_and_saveexec_b32 s1, s0
; %bb.5:
	v_mov_b32_e32 v1, 0
	ds_store_b32 v1, v1 offset:1568
; %bb.6:
	s_wait_alu 0xfffe
	s_or_b32 exec_lo, exec_lo, s1
	s_wait_storecnt_dscnt 0x0
	s_barrier_signal -1
	s_barrier_wait -1
	global_inv scope:SCOPE_SE
	scratch_load_b128 v[1:4], v13, off offset:16
	s_wait_loadcnt 0x0
	v_cmp_eq_f64_e32 vcc_lo, 0, v[1:2]
	v_cmp_eq_f64_e64 s1, 0, v[3:4]
	s_and_b32 s1, vcc_lo, s1
	s_wait_alu 0xfffe
	s_and_saveexec_b32 s58, s1
	s_cbranch_execz .LBB112_10
; %bb.7:
	v_mov_b32_e32 v1, 0
	s_mov_b32 s59, 0
	ds_load_b32 v2, v1 offset:1568
	s_wait_dscnt 0x0
	v_readfirstlane_b32 s1, v2
	v_add_nc_u32_e32 v2, 1, v0
	s_cmp_eq_u32 s1, 0
	s_delay_alu instid0(VALU_DEP_1) | instskip(SKIP_1) | instid1(SALU_CYCLE_1)
	v_cmp_gt_i32_e32 vcc_lo, s1, v2
	s_cselect_b32 s60, -1, 0
	s_or_b32 s60, s60, vcc_lo
	s_delay_alu instid0(SALU_CYCLE_1)
	s_and_b32 exec_lo, exec_lo, s60
	s_cbranch_execz .LBB112_10
; %bb.8:
	v_mov_b32_e32 v3, s1
.LBB112_9:                              ; =>This Inner Loop Header: Depth=1
	ds_cmpstore_rtn_b32 v3, v1, v2, v3 offset:1568
	s_wait_dscnt 0x0
	v_cmp_ne_u32_e32 vcc_lo, 0, v3
	v_cmp_le_i32_e64 s1, v3, v2
	s_and_b32 s1, vcc_lo, s1
	s_wait_alu 0xfffe
	s_and_b32 s1, exec_lo, s1
	s_wait_alu 0xfffe
	s_or_b32 s59, s1, s59
	s_delay_alu instid0(SALU_CYCLE_1)
	s_and_not1_b32 exec_lo, exec_lo, s59
	s_cbranch_execnz .LBB112_9
.LBB112_10:
	s_or_b32 exec_lo, exec_lo, s58
	v_mov_b32_e32 v1, 0
	s_barrier_signal -1
	s_barrier_wait -1
	global_inv scope:SCOPE_SE
	ds_load_b32 v2, v1 offset:1568
	s_and_saveexec_b32 s1, s0
	s_cbranch_execz .LBB112_12
; %bb.11:
	s_lshl_b64 s[58:59], s[8:9], 2
	s_delay_alu instid0(SALU_CYCLE_1)
	s_add_nc_u64 s[58:59], s[6:7], s[58:59]
	s_wait_dscnt 0x0
	global_store_b32 v1, v2, s[58:59]
.LBB112_12:
	s_wait_alu 0xfffe
	s_or_b32 exec_lo, exec_lo, s1
	s_wait_dscnt 0x0
	v_cmp_ne_u32_e32 vcc_lo, 0, v2
	s_mov_b32 s1, 0
	s_cbranch_vccnz .LBB112_208
; %bb.13:
	v_add_nc_u32_e32 v14, 16, v13
                                        ; implicit-def: $vgpr1_vgpr2
                                        ; implicit-def: $vgpr9_vgpr10
	scratch_load_b128 v[5:8], v14, off
	s_wait_loadcnt 0x0
	v_cmp_ngt_f64_e64 s1, |v[5:6]|, |v[7:8]|
	s_wait_alu 0xfffe
	s_and_saveexec_b32 s58, s1
	s_delay_alu instid0(SALU_CYCLE_1)
	s_xor_b32 s1, exec_lo, s58
	s_cbranch_execz .LBB112_15
; %bb.14:
	v_div_scale_f64 v[1:2], null, v[7:8], v[7:8], v[5:6]
	v_div_scale_f64 v[11:12], vcc_lo, v[5:6], v[7:8], v[5:6]
	s_delay_alu instid0(VALU_DEP_2) | instskip(NEXT) | instid1(TRANS32_DEP_1)
	v_rcp_f64_e32 v[3:4], v[1:2]
	v_fma_f64 v[9:10], -v[1:2], v[3:4], 1.0
	s_delay_alu instid0(VALU_DEP_1) | instskip(NEXT) | instid1(VALU_DEP_1)
	v_fma_f64 v[3:4], v[3:4], v[9:10], v[3:4]
	v_fma_f64 v[9:10], -v[1:2], v[3:4], 1.0
	s_delay_alu instid0(VALU_DEP_1) | instskip(NEXT) | instid1(VALU_DEP_1)
	v_fma_f64 v[3:4], v[3:4], v[9:10], v[3:4]
	v_mul_f64_e32 v[9:10], v[11:12], v[3:4]
	s_delay_alu instid0(VALU_DEP_1) | instskip(SKIP_1) | instid1(VALU_DEP_1)
	v_fma_f64 v[1:2], -v[1:2], v[9:10], v[11:12]
	s_wait_alu 0xfffd
	v_div_fmas_f64 v[1:2], v[1:2], v[3:4], v[9:10]
	s_delay_alu instid0(VALU_DEP_1) | instskip(NEXT) | instid1(VALU_DEP_1)
	v_div_fixup_f64 v[1:2], v[1:2], v[7:8], v[5:6]
	v_fma_f64 v[3:4], v[5:6], v[1:2], v[7:8]
	s_delay_alu instid0(VALU_DEP_1) | instskip(SKIP_1) | instid1(VALU_DEP_2)
	v_div_scale_f64 v[5:6], null, v[3:4], v[3:4], 1.0
	v_div_scale_f64 v[11:12], vcc_lo, 1.0, v[3:4], 1.0
	v_rcp_f64_e32 v[7:8], v[5:6]
	s_delay_alu instid0(TRANS32_DEP_1) | instskip(NEXT) | instid1(VALU_DEP_1)
	v_fma_f64 v[9:10], -v[5:6], v[7:8], 1.0
	v_fma_f64 v[7:8], v[7:8], v[9:10], v[7:8]
	s_delay_alu instid0(VALU_DEP_1) | instskip(NEXT) | instid1(VALU_DEP_1)
	v_fma_f64 v[9:10], -v[5:6], v[7:8], 1.0
	v_fma_f64 v[7:8], v[7:8], v[9:10], v[7:8]
	s_delay_alu instid0(VALU_DEP_1) | instskip(NEXT) | instid1(VALU_DEP_1)
	v_mul_f64_e32 v[9:10], v[11:12], v[7:8]
	v_fma_f64 v[5:6], -v[5:6], v[9:10], v[11:12]
	s_wait_alu 0xfffd
	s_delay_alu instid0(VALU_DEP_1) | instskip(NEXT) | instid1(VALU_DEP_1)
	v_div_fmas_f64 v[5:6], v[5:6], v[7:8], v[9:10]
	v_div_fixup_f64 v[3:4], v[5:6], v[3:4], 1.0
                                        ; implicit-def: $vgpr5_vgpr6
	s_delay_alu instid0(VALU_DEP_1) | instskip(SKIP_1) | instid1(VALU_DEP_2)
	v_mul_f64_e32 v[1:2], v[1:2], v[3:4]
	v_xor_b32_e32 v4, 0x80000000, v4
	v_xor_b32_e32 v10, 0x80000000, v2
	s_delay_alu instid0(VALU_DEP_3)
	v_mov_b32_e32 v9, v1
.LBB112_15:
	s_wait_alu 0xfffe
	s_and_not1_saveexec_b32 s1, s1
	s_cbranch_execz .LBB112_17
; %bb.16:
	v_div_scale_f64 v[1:2], null, v[5:6], v[5:6], v[7:8]
	v_div_scale_f64 v[11:12], vcc_lo, v[7:8], v[5:6], v[7:8]
	s_delay_alu instid0(VALU_DEP_2) | instskip(NEXT) | instid1(TRANS32_DEP_1)
	v_rcp_f64_e32 v[3:4], v[1:2]
	v_fma_f64 v[9:10], -v[1:2], v[3:4], 1.0
	s_delay_alu instid0(VALU_DEP_1) | instskip(NEXT) | instid1(VALU_DEP_1)
	v_fma_f64 v[3:4], v[3:4], v[9:10], v[3:4]
	v_fma_f64 v[9:10], -v[1:2], v[3:4], 1.0
	s_delay_alu instid0(VALU_DEP_1) | instskip(NEXT) | instid1(VALU_DEP_1)
	v_fma_f64 v[3:4], v[3:4], v[9:10], v[3:4]
	v_mul_f64_e32 v[9:10], v[11:12], v[3:4]
	s_delay_alu instid0(VALU_DEP_1) | instskip(SKIP_1) | instid1(VALU_DEP_1)
	v_fma_f64 v[1:2], -v[1:2], v[9:10], v[11:12]
	s_wait_alu 0xfffd
	v_div_fmas_f64 v[1:2], v[1:2], v[3:4], v[9:10]
	s_delay_alu instid0(VALU_DEP_1) | instskip(NEXT) | instid1(VALU_DEP_1)
	v_div_fixup_f64 v[3:4], v[1:2], v[5:6], v[7:8]
	v_fma_f64 v[1:2], v[7:8], v[3:4], v[5:6]
	s_delay_alu instid0(VALU_DEP_1) | instskip(NEXT) | instid1(VALU_DEP_1)
	v_div_scale_f64 v[5:6], null, v[1:2], v[1:2], 1.0
	v_rcp_f64_e32 v[7:8], v[5:6]
	s_delay_alu instid0(TRANS32_DEP_1) | instskip(NEXT) | instid1(VALU_DEP_1)
	v_fma_f64 v[9:10], -v[5:6], v[7:8], 1.0
	v_fma_f64 v[7:8], v[7:8], v[9:10], v[7:8]
	s_delay_alu instid0(VALU_DEP_1) | instskip(NEXT) | instid1(VALU_DEP_1)
	v_fma_f64 v[9:10], -v[5:6], v[7:8], 1.0
	v_fma_f64 v[7:8], v[7:8], v[9:10], v[7:8]
	v_div_scale_f64 v[9:10], vcc_lo, 1.0, v[1:2], 1.0
	s_delay_alu instid0(VALU_DEP_1) | instskip(NEXT) | instid1(VALU_DEP_1)
	v_mul_f64_e32 v[11:12], v[9:10], v[7:8]
	v_fma_f64 v[5:6], -v[5:6], v[11:12], v[9:10]
	s_wait_alu 0xfffd
	s_delay_alu instid0(VALU_DEP_1) | instskip(NEXT) | instid1(VALU_DEP_1)
	v_div_fmas_f64 v[5:6], v[5:6], v[7:8], v[11:12]
	v_div_fixup_f64 v[1:2], v[5:6], v[1:2], 1.0
	s_delay_alu instid0(VALU_DEP_1)
	v_mul_f64_e64 v[3:4], v[3:4], -v[1:2]
	v_xor_b32_e32 v10, 0x80000000, v2
	v_mov_b32_e32 v9, v1
.LBB112_17:
	s_wait_alu 0xfffe
	s_or_b32 exec_lo, exec_lo, s1
	scratch_store_b128 v14, v[1:4], off
	scratch_load_b128 v[15:18], off, s15
	v_xor_b32_e32 v12, 0x80000000, v4
	v_mov_b32_e32 v11, v3
	v_add_nc_u32_e32 v5, 0x310, v13
	ds_store_b128 v13, v[9:12]
	s_wait_loadcnt 0x0
	ds_store_b128 v13, v[15:18] offset:784
	s_wait_storecnt_dscnt 0x0
	s_barrier_signal -1
	s_barrier_wait -1
	global_inv scope:SCOPE_SE
	s_and_saveexec_b32 s1, s0
	s_cbranch_execz .LBB112_19
; %bb.18:
	scratch_load_b128 v[1:4], v14, off
	ds_load_b128 v[6:9], v5
	v_mov_b32_e32 v10, 0
	ds_load_b128 v[15:18], v10 offset:16
	s_wait_loadcnt_dscnt 0x1
	v_mul_f64_e32 v[10:11], v[6:7], v[3:4]
	v_mul_f64_e32 v[3:4], v[8:9], v[3:4]
	s_delay_alu instid0(VALU_DEP_2) | instskip(NEXT) | instid1(VALU_DEP_2)
	v_fma_f64 v[8:9], v[8:9], v[1:2], v[10:11]
	v_fma_f64 v[1:2], v[6:7], v[1:2], -v[3:4]
	s_delay_alu instid0(VALU_DEP_2) | instskip(NEXT) | instid1(VALU_DEP_2)
	v_add_f64_e32 v[3:4], 0, v[8:9]
	v_add_f64_e32 v[1:2], 0, v[1:2]
	s_wait_dscnt 0x0
	s_delay_alu instid0(VALU_DEP_2) | instskip(NEXT) | instid1(VALU_DEP_2)
	v_mul_f64_e32 v[6:7], v[3:4], v[17:18]
	v_mul_f64_e32 v[8:9], v[1:2], v[17:18]
	s_delay_alu instid0(VALU_DEP_2) | instskip(NEXT) | instid1(VALU_DEP_2)
	v_fma_f64 v[1:2], v[1:2], v[15:16], -v[6:7]
	v_fma_f64 v[3:4], v[3:4], v[15:16], v[8:9]
	scratch_store_b128 off, v[1:4], off offset:32
.LBB112_19:
	s_wait_alu 0xfffe
	s_or_b32 exec_lo, exec_lo, s1
	s_wait_loadcnt 0x0
	s_wait_storecnt 0x0
	s_barrier_signal -1
	s_barrier_wait -1
	global_inv scope:SCOPE_SE
	scratch_load_b128 v[1:4], off, s13
	s_mov_b32 s1, exec_lo
	s_wait_loadcnt 0x0
	ds_store_b128 v5, v[1:4]
	s_wait_dscnt 0x0
	s_barrier_signal -1
	s_barrier_wait -1
	global_inv scope:SCOPE_SE
	v_cmpx_gt_u32_e32 2, v0
	s_cbranch_execz .LBB112_23
; %bb.20:
	scratch_load_b128 v[1:4], v14, off
	ds_load_b128 v[6:9], v5
	s_wait_loadcnt_dscnt 0x0
	v_mul_f64_e32 v[10:11], v[8:9], v[3:4]
	v_mul_f64_e32 v[3:4], v[6:7], v[3:4]
	s_delay_alu instid0(VALU_DEP_2) | instskip(NEXT) | instid1(VALU_DEP_2)
	v_fma_f64 v[6:7], v[6:7], v[1:2], -v[10:11]
	v_fma_f64 v[3:4], v[8:9], v[1:2], v[3:4]
	s_delay_alu instid0(VALU_DEP_2) | instskip(NEXT) | instid1(VALU_DEP_2)
	v_add_f64_e32 v[1:2], 0, v[6:7]
	v_add_f64_e32 v[3:4], 0, v[3:4]
	s_and_saveexec_b32 s58, s0
	s_cbranch_execz .LBB112_22
; %bb.21:
	scratch_load_b128 v[6:9], off, off offset:32
	v_mov_b32_e32 v10, 0
	ds_load_b128 v[15:18], v10 offset:800
	s_wait_loadcnt_dscnt 0x0
	v_mul_f64_e32 v[10:11], v[15:16], v[8:9]
	v_mul_f64_e32 v[8:9], v[17:18], v[8:9]
	s_delay_alu instid0(VALU_DEP_2) | instskip(NEXT) | instid1(VALU_DEP_2)
	v_fma_f64 v[10:11], v[17:18], v[6:7], v[10:11]
	v_fma_f64 v[6:7], v[15:16], v[6:7], -v[8:9]
	s_delay_alu instid0(VALU_DEP_2) | instskip(NEXT) | instid1(VALU_DEP_2)
	v_add_f64_e32 v[3:4], v[3:4], v[10:11]
	v_add_f64_e32 v[1:2], v[1:2], v[6:7]
.LBB112_22:
	s_or_b32 exec_lo, exec_lo, s58
	v_mov_b32_e32 v6, 0
	ds_load_b128 v[6:9], v6 offset:32
	s_wait_dscnt 0x0
	v_mul_f64_e32 v[10:11], v[3:4], v[8:9]
	v_mul_f64_e32 v[8:9], v[1:2], v[8:9]
	s_delay_alu instid0(VALU_DEP_2) | instskip(NEXT) | instid1(VALU_DEP_2)
	v_fma_f64 v[1:2], v[1:2], v[6:7], -v[10:11]
	v_fma_f64 v[3:4], v[3:4], v[6:7], v[8:9]
	scratch_store_b128 off, v[1:4], off offset:48
.LBB112_23:
	s_wait_alu 0xfffe
	s_or_b32 exec_lo, exec_lo, s1
	s_wait_loadcnt 0x0
	s_wait_storecnt 0x0
	s_barrier_signal -1
	s_barrier_wait -1
	global_inv scope:SCOPE_SE
	scratch_load_b128 v[1:4], off, s10
	v_add_nc_u32_e32 v6, -1, v0
	s_mov_b32 s0, exec_lo
	s_wait_loadcnt 0x0
	ds_store_b128 v5, v[1:4]
	s_wait_dscnt 0x0
	s_barrier_signal -1
	s_barrier_wait -1
	global_inv scope:SCOPE_SE
	v_cmpx_gt_u32_e32 3, v0
	s_cbranch_execz .LBB112_27
; %bb.24:
	v_dual_mov_b32 v1, 0 :: v_dual_add_nc_u32 v8, 0x310, v13
	v_mov_b32_e32 v3, 0
	v_dual_mov_b32 v2, 0 :: v_dual_add_nc_u32 v7, -1, v0
	v_mov_b32_e32 v4, 0
	v_or_b32_e32 v9, 8, v14
	s_mov_b32 s1, 0
.LBB112_25:                             ; =>This Inner Loop Header: Depth=1
	scratch_load_b128 v[15:18], v9, off offset:-8
	ds_load_b128 v[19:22], v8
	v_add_nc_u32_e32 v7, 1, v7
	v_add_nc_u32_e32 v8, 16, v8
	v_add_nc_u32_e32 v9, 16, v9
	s_delay_alu instid0(VALU_DEP_3)
	v_cmp_lt_u32_e32 vcc_lo, 1, v7
	s_wait_alu 0xfffe
	s_or_b32 s1, vcc_lo, s1
	s_wait_loadcnt_dscnt 0x0
	v_mul_f64_e32 v[10:11], v[21:22], v[17:18]
	v_mul_f64_e32 v[17:18], v[19:20], v[17:18]
	s_delay_alu instid0(VALU_DEP_2) | instskip(NEXT) | instid1(VALU_DEP_2)
	v_fma_f64 v[10:11], v[19:20], v[15:16], -v[10:11]
	v_fma_f64 v[15:16], v[21:22], v[15:16], v[17:18]
	s_delay_alu instid0(VALU_DEP_2) | instskip(NEXT) | instid1(VALU_DEP_2)
	v_add_f64_e32 v[3:4], v[3:4], v[10:11]
	v_add_f64_e32 v[1:2], v[1:2], v[15:16]
	s_wait_alu 0xfffe
	s_and_not1_b32 exec_lo, exec_lo, s1
	s_cbranch_execnz .LBB112_25
; %bb.26:
	s_or_b32 exec_lo, exec_lo, s1
	v_mov_b32_e32 v7, 0
	ds_load_b128 v[7:10], v7 offset:48
	s_wait_dscnt 0x0
	v_mul_f64_e32 v[11:12], v[1:2], v[9:10]
	v_mul_f64_e32 v[15:16], v[3:4], v[9:10]
	s_delay_alu instid0(VALU_DEP_2) | instskip(NEXT) | instid1(VALU_DEP_2)
	v_fma_f64 v[9:10], v[3:4], v[7:8], -v[11:12]
	v_fma_f64 v[11:12], v[1:2], v[7:8], v[15:16]
	scratch_store_b128 off, v[9:12], off offset:64
.LBB112_27:
	s_wait_alu 0xfffe
	s_or_b32 exec_lo, exec_lo, s0
	s_wait_loadcnt 0x0
	s_wait_storecnt 0x0
	s_barrier_signal -1
	s_barrier_wait -1
	global_inv scope:SCOPE_SE
	scratch_load_b128 v[1:4], off, s4
	s_mov_b32 s0, exec_lo
	s_wait_loadcnt 0x0
	ds_store_b128 v5, v[1:4]
	s_wait_dscnt 0x0
	s_barrier_signal -1
	s_barrier_wait -1
	global_inv scope:SCOPE_SE
	v_cmpx_gt_u32_e32 4, v0
	s_cbranch_execz .LBB112_31
; %bb.28:
	v_dual_mov_b32 v1, 0 :: v_dual_add_nc_u32 v8, 0x310, v13
	v_mov_b32_e32 v3, 0
	v_dual_mov_b32 v2, 0 :: v_dual_add_nc_u32 v7, -1, v0
	v_mov_b32_e32 v4, 0
	v_or_b32_e32 v9, 8, v14
	s_mov_b32 s1, 0
.LBB112_29:                             ; =>This Inner Loop Header: Depth=1
	scratch_load_b128 v[15:18], v9, off offset:-8
	ds_load_b128 v[19:22], v8
	v_add_nc_u32_e32 v7, 1, v7
	v_add_nc_u32_e32 v8, 16, v8
	v_add_nc_u32_e32 v9, 16, v9
	s_delay_alu instid0(VALU_DEP_3)
	v_cmp_lt_u32_e32 vcc_lo, 2, v7
	s_wait_alu 0xfffe
	s_or_b32 s1, vcc_lo, s1
	s_wait_loadcnt_dscnt 0x0
	v_mul_f64_e32 v[10:11], v[21:22], v[17:18]
	v_mul_f64_e32 v[17:18], v[19:20], v[17:18]
	s_delay_alu instid0(VALU_DEP_2) | instskip(NEXT) | instid1(VALU_DEP_2)
	v_fma_f64 v[10:11], v[19:20], v[15:16], -v[10:11]
	v_fma_f64 v[15:16], v[21:22], v[15:16], v[17:18]
	s_delay_alu instid0(VALU_DEP_2) | instskip(NEXT) | instid1(VALU_DEP_2)
	v_add_f64_e32 v[3:4], v[3:4], v[10:11]
	v_add_f64_e32 v[1:2], v[1:2], v[15:16]
	s_wait_alu 0xfffe
	s_and_not1_b32 exec_lo, exec_lo, s1
	s_cbranch_execnz .LBB112_29
; %bb.30:
	s_or_b32 exec_lo, exec_lo, s1
	v_mov_b32_e32 v7, 0
	ds_load_b128 v[7:10], v7 offset:64
	s_wait_dscnt 0x0
	v_mul_f64_e32 v[11:12], v[1:2], v[9:10]
	v_mul_f64_e32 v[15:16], v[3:4], v[9:10]
	s_delay_alu instid0(VALU_DEP_2) | instskip(NEXT) | instid1(VALU_DEP_2)
	v_fma_f64 v[9:10], v[3:4], v[7:8], -v[11:12]
	v_fma_f64 v[11:12], v[1:2], v[7:8], v[15:16]
	scratch_store_b128 off, v[9:12], off offset:80
.LBB112_31:
	s_wait_alu 0xfffe
	s_or_b32 exec_lo, exec_lo, s0
	s_wait_loadcnt 0x0
	s_wait_storecnt 0x0
	s_barrier_signal -1
	s_barrier_wait -1
	global_inv scope:SCOPE_SE
	scratch_load_b128 v[1:4], off, s57
	;; [unrolled: 58-line block ×19, first 2 shown]
	s_mov_b32 s0, exec_lo
	s_wait_loadcnt 0x0
	ds_store_b128 v5, v[1:4]
	s_wait_dscnt 0x0
	s_barrier_signal -1
	s_barrier_wait -1
	global_inv scope:SCOPE_SE
	v_cmpx_gt_u32_e32 22, v0
	s_cbranch_execz .LBB112_103
; %bb.100:
	v_dual_mov_b32 v1, 0 :: v_dual_add_nc_u32 v8, 0x310, v13
	v_mov_b32_e32 v3, 0
	v_dual_mov_b32 v2, 0 :: v_dual_add_nc_u32 v7, -1, v0
	v_mov_b32_e32 v4, 0
	v_or_b32_e32 v9, 8, v14
	s_mov_b32 s1, 0
.LBB112_101:                            ; =>This Inner Loop Header: Depth=1
	scratch_load_b128 v[15:18], v9, off offset:-8
	ds_load_b128 v[19:22], v8
	v_add_nc_u32_e32 v7, 1, v7
	v_add_nc_u32_e32 v8, 16, v8
	v_add_nc_u32_e32 v9, 16, v9
	s_delay_alu instid0(VALU_DEP_3)
	v_cmp_lt_u32_e32 vcc_lo, 20, v7
	s_wait_alu 0xfffe
	s_or_b32 s1, vcc_lo, s1
	s_wait_loadcnt_dscnt 0x0
	v_mul_f64_e32 v[10:11], v[21:22], v[17:18]
	v_mul_f64_e32 v[17:18], v[19:20], v[17:18]
	s_delay_alu instid0(VALU_DEP_2) | instskip(NEXT) | instid1(VALU_DEP_2)
	v_fma_f64 v[10:11], v[19:20], v[15:16], -v[10:11]
	v_fma_f64 v[15:16], v[21:22], v[15:16], v[17:18]
	s_delay_alu instid0(VALU_DEP_2) | instskip(NEXT) | instid1(VALU_DEP_2)
	v_add_f64_e32 v[3:4], v[3:4], v[10:11]
	v_add_f64_e32 v[1:2], v[1:2], v[15:16]
	s_wait_alu 0xfffe
	s_and_not1_b32 exec_lo, exec_lo, s1
	s_cbranch_execnz .LBB112_101
; %bb.102:
	s_or_b32 exec_lo, exec_lo, s1
	v_mov_b32_e32 v7, 0
	ds_load_b128 v[7:10], v7 offset:352
	s_wait_dscnt 0x0
	v_mul_f64_e32 v[11:12], v[1:2], v[9:10]
	v_mul_f64_e32 v[15:16], v[3:4], v[9:10]
	s_delay_alu instid0(VALU_DEP_2) | instskip(NEXT) | instid1(VALU_DEP_2)
	v_fma_f64 v[9:10], v[3:4], v[7:8], -v[11:12]
	v_fma_f64 v[11:12], v[1:2], v[7:8], v[15:16]
	scratch_store_b128 off, v[9:12], off offset:368
.LBB112_103:
	s_wait_alu 0xfffe
	s_or_b32 exec_lo, exec_lo, s0
	s_wait_loadcnt 0x0
	s_wait_storecnt 0x0
	s_barrier_signal -1
	s_barrier_wait -1
	global_inv scope:SCOPE_SE
	scratch_load_b128 v[1:4], off, s39
	s_mov_b32 s0, exec_lo
	s_wait_loadcnt 0x0
	ds_store_b128 v5, v[1:4]
	s_wait_dscnt 0x0
	s_barrier_signal -1
	s_barrier_wait -1
	global_inv scope:SCOPE_SE
	v_cmpx_gt_u32_e32 23, v0
	s_cbranch_execz .LBB112_107
; %bb.104:
	v_dual_mov_b32 v1, 0 :: v_dual_add_nc_u32 v8, 0x310, v13
	v_mov_b32_e32 v3, 0
	v_dual_mov_b32 v2, 0 :: v_dual_add_nc_u32 v7, -1, v0
	v_mov_b32_e32 v4, 0
	v_or_b32_e32 v9, 8, v14
	s_mov_b32 s1, 0
.LBB112_105:                            ; =>This Inner Loop Header: Depth=1
	scratch_load_b128 v[15:18], v9, off offset:-8
	ds_load_b128 v[19:22], v8
	v_add_nc_u32_e32 v7, 1, v7
	v_add_nc_u32_e32 v8, 16, v8
	v_add_nc_u32_e32 v9, 16, v9
	s_delay_alu instid0(VALU_DEP_3)
	v_cmp_lt_u32_e32 vcc_lo, 21, v7
	s_wait_alu 0xfffe
	s_or_b32 s1, vcc_lo, s1
	s_wait_loadcnt_dscnt 0x0
	v_mul_f64_e32 v[10:11], v[21:22], v[17:18]
	v_mul_f64_e32 v[17:18], v[19:20], v[17:18]
	s_delay_alu instid0(VALU_DEP_2) | instskip(NEXT) | instid1(VALU_DEP_2)
	v_fma_f64 v[10:11], v[19:20], v[15:16], -v[10:11]
	v_fma_f64 v[15:16], v[21:22], v[15:16], v[17:18]
	s_delay_alu instid0(VALU_DEP_2) | instskip(NEXT) | instid1(VALU_DEP_2)
	v_add_f64_e32 v[3:4], v[3:4], v[10:11]
	v_add_f64_e32 v[1:2], v[1:2], v[15:16]
	s_wait_alu 0xfffe
	s_and_not1_b32 exec_lo, exec_lo, s1
	s_cbranch_execnz .LBB112_105
; %bb.106:
	s_or_b32 exec_lo, exec_lo, s1
	v_mov_b32_e32 v7, 0
	ds_load_b128 v[7:10], v7 offset:368
	s_wait_dscnt 0x0
	v_mul_f64_e32 v[11:12], v[1:2], v[9:10]
	v_mul_f64_e32 v[15:16], v[3:4], v[9:10]
	s_delay_alu instid0(VALU_DEP_2) | instskip(NEXT) | instid1(VALU_DEP_2)
	v_fma_f64 v[9:10], v[3:4], v[7:8], -v[11:12]
	v_fma_f64 v[11:12], v[1:2], v[7:8], v[15:16]
	scratch_store_b128 off, v[9:12], off offset:384
.LBB112_107:
	s_wait_alu 0xfffe
	s_or_b32 exec_lo, exec_lo, s0
	s_wait_loadcnt 0x0
	s_wait_storecnt 0x0
	s_barrier_signal -1
	s_barrier_wait -1
	global_inv scope:SCOPE_SE
	scratch_load_b128 v[1:4], off, s38
	s_mov_b32 s0, exec_lo
	s_wait_loadcnt 0x0
	ds_store_b128 v5, v[1:4]
	s_wait_dscnt 0x0
	s_barrier_signal -1
	s_barrier_wait -1
	global_inv scope:SCOPE_SE
	v_cmpx_gt_u32_e32 24, v0
	s_cbranch_execz .LBB112_111
; %bb.108:
	v_dual_mov_b32 v1, 0 :: v_dual_add_nc_u32 v8, 0x310, v13
	v_mov_b32_e32 v3, 0
	v_dual_mov_b32 v2, 0 :: v_dual_add_nc_u32 v7, -1, v0
	v_mov_b32_e32 v4, 0
	v_or_b32_e32 v9, 8, v14
	s_mov_b32 s1, 0
.LBB112_109:                            ; =>This Inner Loop Header: Depth=1
	scratch_load_b128 v[15:18], v9, off offset:-8
	ds_load_b128 v[19:22], v8
	v_add_nc_u32_e32 v7, 1, v7
	v_add_nc_u32_e32 v8, 16, v8
	v_add_nc_u32_e32 v9, 16, v9
	s_delay_alu instid0(VALU_DEP_3)
	v_cmp_lt_u32_e32 vcc_lo, 22, v7
	s_wait_alu 0xfffe
	s_or_b32 s1, vcc_lo, s1
	s_wait_loadcnt_dscnt 0x0
	v_mul_f64_e32 v[10:11], v[21:22], v[17:18]
	v_mul_f64_e32 v[17:18], v[19:20], v[17:18]
	s_delay_alu instid0(VALU_DEP_2) | instskip(NEXT) | instid1(VALU_DEP_2)
	v_fma_f64 v[10:11], v[19:20], v[15:16], -v[10:11]
	v_fma_f64 v[15:16], v[21:22], v[15:16], v[17:18]
	s_delay_alu instid0(VALU_DEP_2) | instskip(NEXT) | instid1(VALU_DEP_2)
	v_add_f64_e32 v[3:4], v[3:4], v[10:11]
	v_add_f64_e32 v[1:2], v[1:2], v[15:16]
	s_wait_alu 0xfffe
	s_and_not1_b32 exec_lo, exec_lo, s1
	s_cbranch_execnz .LBB112_109
; %bb.110:
	s_or_b32 exec_lo, exec_lo, s1
	v_mov_b32_e32 v7, 0
	ds_load_b128 v[7:10], v7 offset:384
	s_wait_dscnt 0x0
	v_mul_f64_e32 v[11:12], v[1:2], v[9:10]
	v_mul_f64_e32 v[15:16], v[3:4], v[9:10]
	s_delay_alu instid0(VALU_DEP_2) | instskip(NEXT) | instid1(VALU_DEP_2)
	v_fma_f64 v[9:10], v[3:4], v[7:8], -v[11:12]
	v_fma_f64 v[11:12], v[1:2], v[7:8], v[15:16]
	scratch_store_b128 off, v[9:12], off offset:400
.LBB112_111:
	s_wait_alu 0xfffe
	s_or_b32 exec_lo, exec_lo, s0
	s_wait_loadcnt 0x0
	s_wait_storecnt 0x0
	s_barrier_signal -1
	s_barrier_wait -1
	global_inv scope:SCOPE_SE
	scratch_load_b128 v[1:4], off, s37
	s_mov_b32 s0, exec_lo
	s_wait_loadcnt 0x0
	ds_store_b128 v5, v[1:4]
	s_wait_dscnt 0x0
	s_barrier_signal -1
	s_barrier_wait -1
	global_inv scope:SCOPE_SE
	v_cmpx_gt_u32_e32 25, v0
	s_cbranch_execz .LBB112_115
; %bb.112:
	v_dual_mov_b32 v1, 0 :: v_dual_add_nc_u32 v8, 0x310, v13
	v_mov_b32_e32 v3, 0
	v_dual_mov_b32 v2, 0 :: v_dual_add_nc_u32 v7, -1, v0
	v_mov_b32_e32 v4, 0
	v_or_b32_e32 v9, 8, v14
	s_mov_b32 s1, 0
.LBB112_113:                            ; =>This Inner Loop Header: Depth=1
	scratch_load_b128 v[15:18], v9, off offset:-8
	ds_load_b128 v[19:22], v8
	v_add_nc_u32_e32 v7, 1, v7
	v_add_nc_u32_e32 v8, 16, v8
	v_add_nc_u32_e32 v9, 16, v9
	s_delay_alu instid0(VALU_DEP_3)
	v_cmp_lt_u32_e32 vcc_lo, 23, v7
	s_wait_alu 0xfffe
	s_or_b32 s1, vcc_lo, s1
	s_wait_loadcnt_dscnt 0x0
	v_mul_f64_e32 v[10:11], v[21:22], v[17:18]
	v_mul_f64_e32 v[17:18], v[19:20], v[17:18]
	s_delay_alu instid0(VALU_DEP_2) | instskip(NEXT) | instid1(VALU_DEP_2)
	v_fma_f64 v[10:11], v[19:20], v[15:16], -v[10:11]
	v_fma_f64 v[15:16], v[21:22], v[15:16], v[17:18]
	s_delay_alu instid0(VALU_DEP_2) | instskip(NEXT) | instid1(VALU_DEP_2)
	v_add_f64_e32 v[3:4], v[3:4], v[10:11]
	v_add_f64_e32 v[1:2], v[1:2], v[15:16]
	s_wait_alu 0xfffe
	s_and_not1_b32 exec_lo, exec_lo, s1
	s_cbranch_execnz .LBB112_113
; %bb.114:
	s_or_b32 exec_lo, exec_lo, s1
	v_mov_b32_e32 v7, 0
	ds_load_b128 v[7:10], v7 offset:400
	s_wait_dscnt 0x0
	v_mul_f64_e32 v[11:12], v[1:2], v[9:10]
	v_mul_f64_e32 v[15:16], v[3:4], v[9:10]
	s_delay_alu instid0(VALU_DEP_2) | instskip(NEXT) | instid1(VALU_DEP_2)
	v_fma_f64 v[9:10], v[3:4], v[7:8], -v[11:12]
	v_fma_f64 v[11:12], v[1:2], v[7:8], v[15:16]
	scratch_store_b128 off, v[9:12], off offset:416
.LBB112_115:
	s_wait_alu 0xfffe
	s_or_b32 exec_lo, exec_lo, s0
	s_wait_loadcnt 0x0
	s_wait_storecnt 0x0
	s_barrier_signal -1
	s_barrier_wait -1
	global_inv scope:SCOPE_SE
	scratch_load_b128 v[1:4], off, s36
	s_mov_b32 s0, exec_lo
	s_wait_loadcnt 0x0
	ds_store_b128 v5, v[1:4]
	s_wait_dscnt 0x0
	s_barrier_signal -1
	s_barrier_wait -1
	global_inv scope:SCOPE_SE
	v_cmpx_gt_u32_e32 26, v0
	s_cbranch_execz .LBB112_119
; %bb.116:
	v_dual_mov_b32 v1, 0 :: v_dual_add_nc_u32 v8, 0x310, v13
	v_mov_b32_e32 v3, 0
	v_dual_mov_b32 v2, 0 :: v_dual_add_nc_u32 v7, -1, v0
	v_mov_b32_e32 v4, 0
	v_or_b32_e32 v9, 8, v14
	s_mov_b32 s1, 0
.LBB112_117:                            ; =>This Inner Loop Header: Depth=1
	scratch_load_b128 v[15:18], v9, off offset:-8
	ds_load_b128 v[19:22], v8
	v_add_nc_u32_e32 v7, 1, v7
	v_add_nc_u32_e32 v8, 16, v8
	v_add_nc_u32_e32 v9, 16, v9
	s_delay_alu instid0(VALU_DEP_3)
	v_cmp_lt_u32_e32 vcc_lo, 24, v7
	s_wait_alu 0xfffe
	s_or_b32 s1, vcc_lo, s1
	s_wait_loadcnt_dscnt 0x0
	v_mul_f64_e32 v[10:11], v[21:22], v[17:18]
	v_mul_f64_e32 v[17:18], v[19:20], v[17:18]
	s_delay_alu instid0(VALU_DEP_2) | instskip(NEXT) | instid1(VALU_DEP_2)
	v_fma_f64 v[10:11], v[19:20], v[15:16], -v[10:11]
	v_fma_f64 v[15:16], v[21:22], v[15:16], v[17:18]
	s_delay_alu instid0(VALU_DEP_2) | instskip(NEXT) | instid1(VALU_DEP_2)
	v_add_f64_e32 v[3:4], v[3:4], v[10:11]
	v_add_f64_e32 v[1:2], v[1:2], v[15:16]
	s_wait_alu 0xfffe
	s_and_not1_b32 exec_lo, exec_lo, s1
	s_cbranch_execnz .LBB112_117
; %bb.118:
	s_or_b32 exec_lo, exec_lo, s1
	v_mov_b32_e32 v7, 0
	ds_load_b128 v[7:10], v7 offset:416
	s_wait_dscnt 0x0
	v_mul_f64_e32 v[11:12], v[1:2], v[9:10]
	v_mul_f64_e32 v[15:16], v[3:4], v[9:10]
	s_delay_alu instid0(VALU_DEP_2) | instskip(NEXT) | instid1(VALU_DEP_2)
	v_fma_f64 v[9:10], v[3:4], v[7:8], -v[11:12]
	v_fma_f64 v[11:12], v[1:2], v[7:8], v[15:16]
	scratch_store_b128 off, v[9:12], off offset:432
.LBB112_119:
	s_wait_alu 0xfffe
	s_or_b32 exec_lo, exec_lo, s0
	s_wait_loadcnt 0x0
	s_wait_storecnt 0x0
	s_barrier_signal -1
	s_barrier_wait -1
	global_inv scope:SCOPE_SE
	scratch_load_b128 v[1:4], off, s35
	s_mov_b32 s0, exec_lo
	s_wait_loadcnt 0x0
	ds_store_b128 v5, v[1:4]
	s_wait_dscnt 0x0
	s_barrier_signal -1
	s_barrier_wait -1
	global_inv scope:SCOPE_SE
	v_cmpx_gt_u32_e32 27, v0
	s_cbranch_execz .LBB112_123
; %bb.120:
	v_dual_mov_b32 v1, 0 :: v_dual_add_nc_u32 v8, 0x310, v13
	v_mov_b32_e32 v3, 0
	v_dual_mov_b32 v2, 0 :: v_dual_add_nc_u32 v7, -1, v0
	v_mov_b32_e32 v4, 0
	v_or_b32_e32 v9, 8, v14
	s_mov_b32 s1, 0
.LBB112_121:                            ; =>This Inner Loop Header: Depth=1
	scratch_load_b128 v[15:18], v9, off offset:-8
	ds_load_b128 v[19:22], v8
	v_add_nc_u32_e32 v7, 1, v7
	v_add_nc_u32_e32 v8, 16, v8
	v_add_nc_u32_e32 v9, 16, v9
	s_delay_alu instid0(VALU_DEP_3)
	v_cmp_lt_u32_e32 vcc_lo, 25, v7
	s_wait_alu 0xfffe
	s_or_b32 s1, vcc_lo, s1
	s_wait_loadcnt_dscnt 0x0
	v_mul_f64_e32 v[10:11], v[21:22], v[17:18]
	v_mul_f64_e32 v[17:18], v[19:20], v[17:18]
	s_delay_alu instid0(VALU_DEP_2) | instskip(NEXT) | instid1(VALU_DEP_2)
	v_fma_f64 v[10:11], v[19:20], v[15:16], -v[10:11]
	v_fma_f64 v[15:16], v[21:22], v[15:16], v[17:18]
	s_delay_alu instid0(VALU_DEP_2) | instskip(NEXT) | instid1(VALU_DEP_2)
	v_add_f64_e32 v[3:4], v[3:4], v[10:11]
	v_add_f64_e32 v[1:2], v[1:2], v[15:16]
	s_wait_alu 0xfffe
	s_and_not1_b32 exec_lo, exec_lo, s1
	s_cbranch_execnz .LBB112_121
; %bb.122:
	s_or_b32 exec_lo, exec_lo, s1
	v_mov_b32_e32 v7, 0
	ds_load_b128 v[7:10], v7 offset:432
	s_wait_dscnt 0x0
	v_mul_f64_e32 v[11:12], v[1:2], v[9:10]
	v_mul_f64_e32 v[15:16], v[3:4], v[9:10]
	s_delay_alu instid0(VALU_DEP_2) | instskip(NEXT) | instid1(VALU_DEP_2)
	v_fma_f64 v[9:10], v[3:4], v[7:8], -v[11:12]
	v_fma_f64 v[11:12], v[1:2], v[7:8], v[15:16]
	scratch_store_b128 off, v[9:12], off offset:448
.LBB112_123:
	s_wait_alu 0xfffe
	s_or_b32 exec_lo, exec_lo, s0
	s_wait_loadcnt 0x0
	s_wait_storecnt 0x0
	s_barrier_signal -1
	s_barrier_wait -1
	global_inv scope:SCOPE_SE
	scratch_load_b128 v[1:4], off, s34
	s_mov_b32 s0, exec_lo
	s_wait_loadcnt 0x0
	ds_store_b128 v5, v[1:4]
	s_wait_dscnt 0x0
	s_barrier_signal -1
	s_barrier_wait -1
	global_inv scope:SCOPE_SE
	v_cmpx_gt_u32_e32 28, v0
	s_cbranch_execz .LBB112_127
; %bb.124:
	v_dual_mov_b32 v1, 0 :: v_dual_add_nc_u32 v8, 0x310, v13
	v_mov_b32_e32 v3, 0
	v_dual_mov_b32 v2, 0 :: v_dual_add_nc_u32 v7, -1, v0
	v_mov_b32_e32 v4, 0
	v_or_b32_e32 v9, 8, v14
	s_mov_b32 s1, 0
.LBB112_125:                            ; =>This Inner Loop Header: Depth=1
	scratch_load_b128 v[15:18], v9, off offset:-8
	ds_load_b128 v[19:22], v8
	v_add_nc_u32_e32 v7, 1, v7
	v_add_nc_u32_e32 v8, 16, v8
	v_add_nc_u32_e32 v9, 16, v9
	s_delay_alu instid0(VALU_DEP_3)
	v_cmp_lt_u32_e32 vcc_lo, 26, v7
	s_wait_alu 0xfffe
	s_or_b32 s1, vcc_lo, s1
	s_wait_loadcnt_dscnt 0x0
	v_mul_f64_e32 v[10:11], v[21:22], v[17:18]
	v_mul_f64_e32 v[17:18], v[19:20], v[17:18]
	s_delay_alu instid0(VALU_DEP_2) | instskip(NEXT) | instid1(VALU_DEP_2)
	v_fma_f64 v[10:11], v[19:20], v[15:16], -v[10:11]
	v_fma_f64 v[15:16], v[21:22], v[15:16], v[17:18]
	s_delay_alu instid0(VALU_DEP_2) | instskip(NEXT) | instid1(VALU_DEP_2)
	v_add_f64_e32 v[3:4], v[3:4], v[10:11]
	v_add_f64_e32 v[1:2], v[1:2], v[15:16]
	s_wait_alu 0xfffe
	s_and_not1_b32 exec_lo, exec_lo, s1
	s_cbranch_execnz .LBB112_125
; %bb.126:
	s_or_b32 exec_lo, exec_lo, s1
	v_mov_b32_e32 v7, 0
	ds_load_b128 v[7:10], v7 offset:448
	s_wait_dscnt 0x0
	v_mul_f64_e32 v[11:12], v[1:2], v[9:10]
	v_mul_f64_e32 v[15:16], v[3:4], v[9:10]
	s_delay_alu instid0(VALU_DEP_2) | instskip(NEXT) | instid1(VALU_DEP_2)
	v_fma_f64 v[9:10], v[3:4], v[7:8], -v[11:12]
	v_fma_f64 v[11:12], v[1:2], v[7:8], v[15:16]
	scratch_store_b128 off, v[9:12], off offset:464
.LBB112_127:
	s_wait_alu 0xfffe
	s_or_b32 exec_lo, exec_lo, s0
	s_wait_loadcnt 0x0
	s_wait_storecnt 0x0
	s_barrier_signal -1
	s_barrier_wait -1
	global_inv scope:SCOPE_SE
	scratch_load_b128 v[1:4], off, s33
	s_mov_b32 s0, exec_lo
	s_wait_loadcnt 0x0
	ds_store_b128 v5, v[1:4]
	s_wait_dscnt 0x0
	s_barrier_signal -1
	s_barrier_wait -1
	global_inv scope:SCOPE_SE
	v_cmpx_gt_u32_e32 29, v0
	s_cbranch_execz .LBB112_131
; %bb.128:
	v_dual_mov_b32 v1, 0 :: v_dual_add_nc_u32 v8, 0x310, v13
	v_mov_b32_e32 v3, 0
	v_dual_mov_b32 v2, 0 :: v_dual_add_nc_u32 v7, -1, v0
	v_mov_b32_e32 v4, 0
	v_or_b32_e32 v9, 8, v14
	s_mov_b32 s1, 0
.LBB112_129:                            ; =>This Inner Loop Header: Depth=1
	scratch_load_b128 v[15:18], v9, off offset:-8
	ds_load_b128 v[19:22], v8
	v_add_nc_u32_e32 v7, 1, v7
	v_add_nc_u32_e32 v8, 16, v8
	v_add_nc_u32_e32 v9, 16, v9
	s_delay_alu instid0(VALU_DEP_3)
	v_cmp_lt_u32_e32 vcc_lo, 27, v7
	s_wait_alu 0xfffe
	s_or_b32 s1, vcc_lo, s1
	s_wait_loadcnt_dscnt 0x0
	v_mul_f64_e32 v[10:11], v[21:22], v[17:18]
	v_mul_f64_e32 v[17:18], v[19:20], v[17:18]
	s_delay_alu instid0(VALU_DEP_2) | instskip(NEXT) | instid1(VALU_DEP_2)
	v_fma_f64 v[10:11], v[19:20], v[15:16], -v[10:11]
	v_fma_f64 v[15:16], v[21:22], v[15:16], v[17:18]
	s_delay_alu instid0(VALU_DEP_2) | instskip(NEXT) | instid1(VALU_DEP_2)
	v_add_f64_e32 v[3:4], v[3:4], v[10:11]
	v_add_f64_e32 v[1:2], v[1:2], v[15:16]
	s_wait_alu 0xfffe
	s_and_not1_b32 exec_lo, exec_lo, s1
	s_cbranch_execnz .LBB112_129
; %bb.130:
	s_or_b32 exec_lo, exec_lo, s1
	v_mov_b32_e32 v7, 0
	ds_load_b128 v[7:10], v7 offset:464
	s_wait_dscnt 0x0
	v_mul_f64_e32 v[11:12], v[1:2], v[9:10]
	v_mul_f64_e32 v[15:16], v[3:4], v[9:10]
	s_delay_alu instid0(VALU_DEP_2) | instskip(NEXT) | instid1(VALU_DEP_2)
	v_fma_f64 v[9:10], v[3:4], v[7:8], -v[11:12]
	v_fma_f64 v[11:12], v[1:2], v[7:8], v[15:16]
	scratch_store_b128 off, v[9:12], off offset:480
.LBB112_131:
	s_wait_alu 0xfffe
	s_or_b32 exec_lo, exec_lo, s0
	s_wait_loadcnt 0x0
	s_wait_storecnt 0x0
	s_barrier_signal -1
	s_barrier_wait -1
	global_inv scope:SCOPE_SE
	scratch_load_b128 v[1:4], off, s31
	s_mov_b32 s0, exec_lo
	s_wait_loadcnt 0x0
	ds_store_b128 v5, v[1:4]
	s_wait_dscnt 0x0
	s_barrier_signal -1
	s_barrier_wait -1
	global_inv scope:SCOPE_SE
	v_cmpx_gt_u32_e32 30, v0
	s_cbranch_execz .LBB112_135
; %bb.132:
	v_dual_mov_b32 v1, 0 :: v_dual_add_nc_u32 v8, 0x310, v13
	v_mov_b32_e32 v3, 0
	v_dual_mov_b32 v2, 0 :: v_dual_add_nc_u32 v7, -1, v0
	v_mov_b32_e32 v4, 0
	v_or_b32_e32 v9, 8, v14
	s_mov_b32 s1, 0
.LBB112_133:                            ; =>This Inner Loop Header: Depth=1
	scratch_load_b128 v[15:18], v9, off offset:-8
	ds_load_b128 v[19:22], v8
	v_add_nc_u32_e32 v7, 1, v7
	v_add_nc_u32_e32 v8, 16, v8
	v_add_nc_u32_e32 v9, 16, v9
	s_delay_alu instid0(VALU_DEP_3)
	v_cmp_lt_u32_e32 vcc_lo, 28, v7
	s_wait_alu 0xfffe
	s_or_b32 s1, vcc_lo, s1
	s_wait_loadcnt_dscnt 0x0
	v_mul_f64_e32 v[10:11], v[21:22], v[17:18]
	v_mul_f64_e32 v[17:18], v[19:20], v[17:18]
	s_delay_alu instid0(VALU_DEP_2) | instskip(NEXT) | instid1(VALU_DEP_2)
	v_fma_f64 v[10:11], v[19:20], v[15:16], -v[10:11]
	v_fma_f64 v[15:16], v[21:22], v[15:16], v[17:18]
	s_delay_alu instid0(VALU_DEP_2) | instskip(NEXT) | instid1(VALU_DEP_2)
	v_add_f64_e32 v[3:4], v[3:4], v[10:11]
	v_add_f64_e32 v[1:2], v[1:2], v[15:16]
	s_wait_alu 0xfffe
	s_and_not1_b32 exec_lo, exec_lo, s1
	s_cbranch_execnz .LBB112_133
; %bb.134:
	s_or_b32 exec_lo, exec_lo, s1
	v_mov_b32_e32 v7, 0
	ds_load_b128 v[7:10], v7 offset:480
	s_wait_dscnt 0x0
	v_mul_f64_e32 v[11:12], v[1:2], v[9:10]
	v_mul_f64_e32 v[15:16], v[3:4], v[9:10]
	s_delay_alu instid0(VALU_DEP_2) | instskip(NEXT) | instid1(VALU_DEP_2)
	v_fma_f64 v[9:10], v[3:4], v[7:8], -v[11:12]
	v_fma_f64 v[11:12], v[1:2], v[7:8], v[15:16]
	scratch_store_b128 off, v[9:12], off offset:496
.LBB112_135:
	s_wait_alu 0xfffe
	s_or_b32 exec_lo, exec_lo, s0
	s_wait_loadcnt 0x0
	s_wait_storecnt 0x0
	s_barrier_signal -1
	s_barrier_wait -1
	global_inv scope:SCOPE_SE
	scratch_load_b128 v[1:4], off, s30
	s_mov_b32 s0, exec_lo
	s_wait_loadcnt 0x0
	ds_store_b128 v5, v[1:4]
	s_wait_dscnt 0x0
	s_barrier_signal -1
	s_barrier_wait -1
	global_inv scope:SCOPE_SE
	v_cmpx_gt_u32_e32 31, v0
	s_cbranch_execz .LBB112_139
; %bb.136:
	v_dual_mov_b32 v1, 0 :: v_dual_add_nc_u32 v8, 0x310, v13
	v_mov_b32_e32 v3, 0
	v_dual_mov_b32 v2, 0 :: v_dual_add_nc_u32 v7, -1, v0
	v_mov_b32_e32 v4, 0
	v_or_b32_e32 v9, 8, v14
	s_mov_b32 s1, 0
.LBB112_137:                            ; =>This Inner Loop Header: Depth=1
	scratch_load_b128 v[15:18], v9, off offset:-8
	ds_load_b128 v[19:22], v8
	v_add_nc_u32_e32 v7, 1, v7
	v_add_nc_u32_e32 v8, 16, v8
	v_add_nc_u32_e32 v9, 16, v9
	s_delay_alu instid0(VALU_DEP_3)
	v_cmp_lt_u32_e32 vcc_lo, 29, v7
	s_wait_alu 0xfffe
	s_or_b32 s1, vcc_lo, s1
	s_wait_loadcnt_dscnt 0x0
	v_mul_f64_e32 v[10:11], v[21:22], v[17:18]
	v_mul_f64_e32 v[17:18], v[19:20], v[17:18]
	s_delay_alu instid0(VALU_DEP_2) | instskip(NEXT) | instid1(VALU_DEP_2)
	v_fma_f64 v[10:11], v[19:20], v[15:16], -v[10:11]
	v_fma_f64 v[15:16], v[21:22], v[15:16], v[17:18]
	s_delay_alu instid0(VALU_DEP_2) | instskip(NEXT) | instid1(VALU_DEP_2)
	v_add_f64_e32 v[3:4], v[3:4], v[10:11]
	v_add_f64_e32 v[1:2], v[1:2], v[15:16]
	s_wait_alu 0xfffe
	s_and_not1_b32 exec_lo, exec_lo, s1
	s_cbranch_execnz .LBB112_137
; %bb.138:
	s_or_b32 exec_lo, exec_lo, s1
	v_mov_b32_e32 v7, 0
	ds_load_b128 v[7:10], v7 offset:496
	s_wait_dscnt 0x0
	v_mul_f64_e32 v[11:12], v[1:2], v[9:10]
	v_mul_f64_e32 v[15:16], v[3:4], v[9:10]
	s_delay_alu instid0(VALU_DEP_2) | instskip(NEXT) | instid1(VALU_DEP_2)
	v_fma_f64 v[9:10], v[3:4], v[7:8], -v[11:12]
	v_fma_f64 v[11:12], v[1:2], v[7:8], v[15:16]
	scratch_store_b128 off, v[9:12], off offset:512
.LBB112_139:
	s_wait_alu 0xfffe
	s_or_b32 exec_lo, exec_lo, s0
	s_wait_loadcnt 0x0
	s_wait_storecnt 0x0
	s_barrier_signal -1
	s_barrier_wait -1
	global_inv scope:SCOPE_SE
	scratch_load_b128 v[1:4], off, s29
	s_mov_b32 s0, exec_lo
	s_wait_loadcnt 0x0
	ds_store_b128 v5, v[1:4]
	s_wait_dscnt 0x0
	s_barrier_signal -1
	s_barrier_wait -1
	global_inv scope:SCOPE_SE
	v_cmpx_gt_u32_e32 32, v0
	s_cbranch_execz .LBB112_143
; %bb.140:
	v_dual_mov_b32 v1, 0 :: v_dual_add_nc_u32 v8, 0x310, v13
	v_mov_b32_e32 v3, 0
	v_dual_mov_b32 v2, 0 :: v_dual_add_nc_u32 v7, -1, v0
	v_mov_b32_e32 v4, 0
	v_or_b32_e32 v9, 8, v14
	s_mov_b32 s1, 0
.LBB112_141:                            ; =>This Inner Loop Header: Depth=1
	scratch_load_b128 v[15:18], v9, off offset:-8
	ds_load_b128 v[19:22], v8
	v_add_nc_u32_e32 v7, 1, v7
	v_add_nc_u32_e32 v8, 16, v8
	v_add_nc_u32_e32 v9, 16, v9
	s_delay_alu instid0(VALU_DEP_3)
	v_cmp_lt_u32_e32 vcc_lo, 30, v7
	s_wait_alu 0xfffe
	s_or_b32 s1, vcc_lo, s1
	s_wait_loadcnt_dscnt 0x0
	v_mul_f64_e32 v[10:11], v[21:22], v[17:18]
	v_mul_f64_e32 v[17:18], v[19:20], v[17:18]
	s_delay_alu instid0(VALU_DEP_2) | instskip(NEXT) | instid1(VALU_DEP_2)
	v_fma_f64 v[10:11], v[19:20], v[15:16], -v[10:11]
	v_fma_f64 v[15:16], v[21:22], v[15:16], v[17:18]
	s_delay_alu instid0(VALU_DEP_2) | instskip(NEXT) | instid1(VALU_DEP_2)
	v_add_f64_e32 v[3:4], v[3:4], v[10:11]
	v_add_f64_e32 v[1:2], v[1:2], v[15:16]
	s_wait_alu 0xfffe
	s_and_not1_b32 exec_lo, exec_lo, s1
	s_cbranch_execnz .LBB112_141
; %bb.142:
	s_or_b32 exec_lo, exec_lo, s1
	v_mov_b32_e32 v7, 0
	ds_load_b128 v[7:10], v7 offset:512
	s_wait_dscnt 0x0
	v_mul_f64_e32 v[11:12], v[1:2], v[9:10]
	v_mul_f64_e32 v[15:16], v[3:4], v[9:10]
	s_delay_alu instid0(VALU_DEP_2) | instskip(NEXT) | instid1(VALU_DEP_2)
	v_fma_f64 v[9:10], v[3:4], v[7:8], -v[11:12]
	v_fma_f64 v[11:12], v[1:2], v[7:8], v[15:16]
	scratch_store_b128 off, v[9:12], off offset:528
.LBB112_143:
	s_wait_alu 0xfffe
	s_or_b32 exec_lo, exec_lo, s0
	s_wait_loadcnt 0x0
	s_wait_storecnt 0x0
	s_barrier_signal -1
	s_barrier_wait -1
	global_inv scope:SCOPE_SE
	scratch_load_b128 v[1:4], off, s28
	s_mov_b32 s0, exec_lo
	s_wait_loadcnt 0x0
	ds_store_b128 v5, v[1:4]
	s_wait_dscnt 0x0
	s_barrier_signal -1
	s_barrier_wait -1
	global_inv scope:SCOPE_SE
	v_cmpx_gt_u32_e32 33, v0
	s_cbranch_execz .LBB112_147
; %bb.144:
	v_dual_mov_b32 v1, 0 :: v_dual_add_nc_u32 v8, 0x310, v13
	v_mov_b32_e32 v3, 0
	v_dual_mov_b32 v2, 0 :: v_dual_add_nc_u32 v7, -1, v0
	v_mov_b32_e32 v4, 0
	v_or_b32_e32 v9, 8, v14
	s_mov_b32 s1, 0
.LBB112_145:                            ; =>This Inner Loop Header: Depth=1
	scratch_load_b128 v[15:18], v9, off offset:-8
	ds_load_b128 v[19:22], v8
	v_add_nc_u32_e32 v7, 1, v7
	v_add_nc_u32_e32 v8, 16, v8
	v_add_nc_u32_e32 v9, 16, v9
	s_delay_alu instid0(VALU_DEP_3)
	v_cmp_lt_u32_e32 vcc_lo, 31, v7
	s_wait_alu 0xfffe
	s_or_b32 s1, vcc_lo, s1
	s_wait_loadcnt_dscnt 0x0
	v_mul_f64_e32 v[10:11], v[21:22], v[17:18]
	v_mul_f64_e32 v[17:18], v[19:20], v[17:18]
	s_delay_alu instid0(VALU_DEP_2) | instskip(NEXT) | instid1(VALU_DEP_2)
	v_fma_f64 v[10:11], v[19:20], v[15:16], -v[10:11]
	v_fma_f64 v[15:16], v[21:22], v[15:16], v[17:18]
	s_delay_alu instid0(VALU_DEP_2) | instskip(NEXT) | instid1(VALU_DEP_2)
	v_add_f64_e32 v[3:4], v[3:4], v[10:11]
	v_add_f64_e32 v[1:2], v[1:2], v[15:16]
	s_wait_alu 0xfffe
	s_and_not1_b32 exec_lo, exec_lo, s1
	s_cbranch_execnz .LBB112_145
; %bb.146:
	s_or_b32 exec_lo, exec_lo, s1
	v_mov_b32_e32 v7, 0
	ds_load_b128 v[7:10], v7 offset:528
	s_wait_dscnt 0x0
	v_mul_f64_e32 v[11:12], v[1:2], v[9:10]
	v_mul_f64_e32 v[15:16], v[3:4], v[9:10]
	s_delay_alu instid0(VALU_DEP_2) | instskip(NEXT) | instid1(VALU_DEP_2)
	v_fma_f64 v[9:10], v[3:4], v[7:8], -v[11:12]
	v_fma_f64 v[11:12], v[1:2], v[7:8], v[15:16]
	scratch_store_b128 off, v[9:12], off offset:544
.LBB112_147:
	s_wait_alu 0xfffe
	s_or_b32 exec_lo, exec_lo, s0
	s_wait_loadcnt 0x0
	s_wait_storecnt 0x0
	s_barrier_signal -1
	s_barrier_wait -1
	global_inv scope:SCOPE_SE
	scratch_load_b128 v[1:4], off, s27
	s_mov_b32 s0, exec_lo
	s_wait_loadcnt 0x0
	ds_store_b128 v5, v[1:4]
	s_wait_dscnt 0x0
	s_barrier_signal -1
	s_barrier_wait -1
	global_inv scope:SCOPE_SE
	v_cmpx_gt_u32_e32 34, v0
	s_cbranch_execz .LBB112_151
; %bb.148:
	v_dual_mov_b32 v1, 0 :: v_dual_add_nc_u32 v8, 0x310, v13
	v_mov_b32_e32 v3, 0
	v_dual_mov_b32 v2, 0 :: v_dual_add_nc_u32 v7, -1, v0
	v_mov_b32_e32 v4, 0
	v_or_b32_e32 v9, 8, v14
	s_mov_b32 s1, 0
.LBB112_149:                            ; =>This Inner Loop Header: Depth=1
	scratch_load_b128 v[15:18], v9, off offset:-8
	ds_load_b128 v[19:22], v8
	v_add_nc_u32_e32 v7, 1, v7
	v_add_nc_u32_e32 v8, 16, v8
	v_add_nc_u32_e32 v9, 16, v9
	s_delay_alu instid0(VALU_DEP_3)
	v_cmp_lt_u32_e32 vcc_lo, 32, v7
	s_wait_alu 0xfffe
	s_or_b32 s1, vcc_lo, s1
	s_wait_loadcnt_dscnt 0x0
	v_mul_f64_e32 v[10:11], v[21:22], v[17:18]
	v_mul_f64_e32 v[17:18], v[19:20], v[17:18]
	s_delay_alu instid0(VALU_DEP_2) | instskip(NEXT) | instid1(VALU_DEP_2)
	v_fma_f64 v[10:11], v[19:20], v[15:16], -v[10:11]
	v_fma_f64 v[15:16], v[21:22], v[15:16], v[17:18]
	s_delay_alu instid0(VALU_DEP_2) | instskip(NEXT) | instid1(VALU_DEP_2)
	v_add_f64_e32 v[3:4], v[3:4], v[10:11]
	v_add_f64_e32 v[1:2], v[1:2], v[15:16]
	s_wait_alu 0xfffe
	s_and_not1_b32 exec_lo, exec_lo, s1
	s_cbranch_execnz .LBB112_149
; %bb.150:
	s_or_b32 exec_lo, exec_lo, s1
	v_mov_b32_e32 v7, 0
	ds_load_b128 v[7:10], v7 offset:544
	s_wait_dscnt 0x0
	v_mul_f64_e32 v[11:12], v[1:2], v[9:10]
	v_mul_f64_e32 v[15:16], v[3:4], v[9:10]
	s_delay_alu instid0(VALU_DEP_2) | instskip(NEXT) | instid1(VALU_DEP_2)
	v_fma_f64 v[9:10], v[3:4], v[7:8], -v[11:12]
	v_fma_f64 v[11:12], v[1:2], v[7:8], v[15:16]
	scratch_store_b128 off, v[9:12], off offset:560
.LBB112_151:
	s_wait_alu 0xfffe
	s_or_b32 exec_lo, exec_lo, s0
	s_wait_loadcnt 0x0
	s_wait_storecnt 0x0
	s_barrier_signal -1
	s_barrier_wait -1
	global_inv scope:SCOPE_SE
	scratch_load_b128 v[1:4], off, s26
	s_mov_b32 s0, exec_lo
	s_wait_loadcnt 0x0
	ds_store_b128 v5, v[1:4]
	s_wait_dscnt 0x0
	s_barrier_signal -1
	s_barrier_wait -1
	global_inv scope:SCOPE_SE
	v_cmpx_gt_u32_e32 35, v0
	s_cbranch_execz .LBB112_155
; %bb.152:
	v_dual_mov_b32 v1, 0 :: v_dual_add_nc_u32 v8, 0x310, v13
	v_mov_b32_e32 v3, 0
	v_dual_mov_b32 v2, 0 :: v_dual_add_nc_u32 v7, -1, v0
	v_mov_b32_e32 v4, 0
	v_or_b32_e32 v9, 8, v14
	s_mov_b32 s1, 0
.LBB112_153:                            ; =>This Inner Loop Header: Depth=1
	scratch_load_b128 v[15:18], v9, off offset:-8
	ds_load_b128 v[19:22], v8
	v_add_nc_u32_e32 v7, 1, v7
	v_add_nc_u32_e32 v8, 16, v8
	v_add_nc_u32_e32 v9, 16, v9
	s_delay_alu instid0(VALU_DEP_3)
	v_cmp_lt_u32_e32 vcc_lo, 33, v7
	s_wait_alu 0xfffe
	s_or_b32 s1, vcc_lo, s1
	s_wait_loadcnt_dscnt 0x0
	v_mul_f64_e32 v[10:11], v[21:22], v[17:18]
	v_mul_f64_e32 v[17:18], v[19:20], v[17:18]
	s_delay_alu instid0(VALU_DEP_2) | instskip(NEXT) | instid1(VALU_DEP_2)
	v_fma_f64 v[10:11], v[19:20], v[15:16], -v[10:11]
	v_fma_f64 v[15:16], v[21:22], v[15:16], v[17:18]
	s_delay_alu instid0(VALU_DEP_2) | instskip(NEXT) | instid1(VALU_DEP_2)
	v_add_f64_e32 v[3:4], v[3:4], v[10:11]
	v_add_f64_e32 v[1:2], v[1:2], v[15:16]
	s_wait_alu 0xfffe
	s_and_not1_b32 exec_lo, exec_lo, s1
	s_cbranch_execnz .LBB112_153
; %bb.154:
	s_or_b32 exec_lo, exec_lo, s1
	v_mov_b32_e32 v7, 0
	ds_load_b128 v[7:10], v7 offset:560
	s_wait_dscnt 0x0
	v_mul_f64_e32 v[11:12], v[1:2], v[9:10]
	v_mul_f64_e32 v[15:16], v[3:4], v[9:10]
	s_delay_alu instid0(VALU_DEP_2) | instskip(NEXT) | instid1(VALU_DEP_2)
	v_fma_f64 v[9:10], v[3:4], v[7:8], -v[11:12]
	v_fma_f64 v[11:12], v[1:2], v[7:8], v[15:16]
	scratch_store_b128 off, v[9:12], off offset:576
.LBB112_155:
	s_wait_alu 0xfffe
	s_or_b32 exec_lo, exec_lo, s0
	s_wait_loadcnt 0x0
	s_wait_storecnt 0x0
	s_barrier_signal -1
	s_barrier_wait -1
	global_inv scope:SCOPE_SE
	scratch_load_b128 v[1:4], off, s25
	s_mov_b32 s0, exec_lo
	s_wait_loadcnt 0x0
	ds_store_b128 v5, v[1:4]
	s_wait_dscnt 0x0
	s_barrier_signal -1
	s_barrier_wait -1
	global_inv scope:SCOPE_SE
	v_cmpx_gt_u32_e32 36, v0
	s_cbranch_execz .LBB112_159
; %bb.156:
	v_dual_mov_b32 v1, 0 :: v_dual_add_nc_u32 v8, 0x310, v13
	v_mov_b32_e32 v3, 0
	v_dual_mov_b32 v2, 0 :: v_dual_add_nc_u32 v7, -1, v0
	v_mov_b32_e32 v4, 0
	v_or_b32_e32 v9, 8, v14
	s_mov_b32 s1, 0
.LBB112_157:                            ; =>This Inner Loop Header: Depth=1
	scratch_load_b128 v[15:18], v9, off offset:-8
	ds_load_b128 v[19:22], v8
	v_add_nc_u32_e32 v7, 1, v7
	v_add_nc_u32_e32 v8, 16, v8
	v_add_nc_u32_e32 v9, 16, v9
	s_delay_alu instid0(VALU_DEP_3)
	v_cmp_lt_u32_e32 vcc_lo, 34, v7
	s_wait_alu 0xfffe
	s_or_b32 s1, vcc_lo, s1
	s_wait_loadcnt_dscnt 0x0
	v_mul_f64_e32 v[10:11], v[21:22], v[17:18]
	v_mul_f64_e32 v[17:18], v[19:20], v[17:18]
	s_delay_alu instid0(VALU_DEP_2) | instskip(NEXT) | instid1(VALU_DEP_2)
	v_fma_f64 v[10:11], v[19:20], v[15:16], -v[10:11]
	v_fma_f64 v[15:16], v[21:22], v[15:16], v[17:18]
	s_delay_alu instid0(VALU_DEP_2) | instskip(NEXT) | instid1(VALU_DEP_2)
	v_add_f64_e32 v[3:4], v[3:4], v[10:11]
	v_add_f64_e32 v[1:2], v[1:2], v[15:16]
	s_wait_alu 0xfffe
	s_and_not1_b32 exec_lo, exec_lo, s1
	s_cbranch_execnz .LBB112_157
; %bb.158:
	s_or_b32 exec_lo, exec_lo, s1
	v_mov_b32_e32 v7, 0
	ds_load_b128 v[7:10], v7 offset:576
	s_wait_dscnt 0x0
	v_mul_f64_e32 v[11:12], v[1:2], v[9:10]
	v_mul_f64_e32 v[15:16], v[3:4], v[9:10]
	s_delay_alu instid0(VALU_DEP_2) | instskip(NEXT) | instid1(VALU_DEP_2)
	v_fma_f64 v[9:10], v[3:4], v[7:8], -v[11:12]
	v_fma_f64 v[11:12], v[1:2], v[7:8], v[15:16]
	scratch_store_b128 off, v[9:12], off offset:592
.LBB112_159:
	s_wait_alu 0xfffe
	s_or_b32 exec_lo, exec_lo, s0
	s_wait_loadcnt 0x0
	s_wait_storecnt 0x0
	s_barrier_signal -1
	s_barrier_wait -1
	global_inv scope:SCOPE_SE
	scratch_load_b128 v[1:4], off, s24
	s_mov_b32 s0, exec_lo
	s_wait_loadcnt 0x0
	ds_store_b128 v5, v[1:4]
	s_wait_dscnt 0x0
	s_barrier_signal -1
	s_barrier_wait -1
	global_inv scope:SCOPE_SE
	v_cmpx_gt_u32_e32 37, v0
	s_cbranch_execz .LBB112_163
; %bb.160:
	v_dual_mov_b32 v1, 0 :: v_dual_add_nc_u32 v8, 0x310, v13
	v_mov_b32_e32 v3, 0
	v_dual_mov_b32 v2, 0 :: v_dual_add_nc_u32 v7, -1, v0
	v_mov_b32_e32 v4, 0
	v_or_b32_e32 v9, 8, v14
	s_mov_b32 s1, 0
.LBB112_161:                            ; =>This Inner Loop Header: Depth=1
	scratch_load_b128 v[15:18], v9, off offset:-8
	ds_load_b128 v[19:22], v8
	v_add_nc_u32_e32 v7, 1, v7
	v_add_nc_u32_e32 v8, 16, v8
	v_add_nc_u32_e32 v9, 16, v9
	s_delay_alu instid0(VALU_DEP_3)
	v_cmp_lt_u32_e32 vcc_lo, 35, v7
	s_wait_alu 0xfffe
	s_or_b32 s1, vcc_lo, s1
	s_wait_loadcnt_dscnt 0x0
	v_mul_f64_e32 v[10:11], v[21:22], v[17:18]
	v_mul_f64_e32 v[17:18], v[19:20], v[17:18]
	s_delay_alu instid0(VALU_DEP_2) | instskip(NEXT) | instid1(VALU_DEP_2)
	v_fma_f64 v[10:11], v[19:20], v[15:16], -v[10:11]
	v_fma_f64 v[15:16], v[21:22], v[15:16], v[17:18]
	s_delay_alu instid0(VALU_DEP_2) | instskip(NEXT) | instid1(VALU_DEP_2)
	v_add_f64_e32 v[3:4], v[3:4], v[10:11]
	v_add_f64_e32 v[1:2], v[1:2], v[15:16]
	s_wait_alu 0xfffe
	s_and_not1_b32 exec_lo, exec_lo, s1
	s_cbranch_execnz .LBB112_161
; %bb.162:
	s_or_b32 exec_lo, exec_lo, s1
	v_mov_b32_e32 v7, 0
	ds_load_b128 v[7:10], v7 offset:592
	s_wait_dscnt 0x0
	v_mul_f64_e32 v[11:12], v[1:2], v[9:10]
	v_mul_f64_e32 v[15:16], v[3:4], v[9:10]
	s_delay_alu instid0(VALU_DEP_2) | instskip(NEXT) | instid1(VALU_DEP_2)
	v_fma_f64 v[9:10], v[3:4], v[7:8], -v[11:12]
	v_fma_f64 v[11:12], v[1:2], v[7:8], v[15:16]
	scratch_store_b128 off, v[9:12], off offset:608
.LBB112_163:
	s_wait_alu 0xfffe
	s_or_b32 exec_lo, exec_lo, s0
	s_wait_loadcnt 0x0
	s_wait_storecnt 0x0
	s_barrier_signal -1
	s_barrier_wait -1
	global_inv scope:SCOPE_SE
	scratch_load_b128 v[1:4], off, s23
	s_mov_b32 s0, exec_lo
	s_wait_loadcnt 0x0
	ds_store_b128 v5, v[1:4]
	s_wait_dscnt 0x0
	s_barrier_signal -1
	s_barrier_wait -1
	global_inv scope:SCOPE_SE
	v_cmpx_gt_u32_e32 38, v0
	s_cbranch_execz .LBB112_167
; %bb.164:
	v_dual_mov_b32 v1, 0 :: v_dual_add_nc_u32 v8, 0x310, v13
	v_mov_b32_e32 v3, 0
	v_dual_mov_b32 v2, 0 :: v_dual_add_nc_u32 v7, -1, v0
	v_mov_b32_e32 v4, 0
	v_or_b32_e32 v9, 8, v14
	s_mov_b32 s1, 0
.LBB112_165:                            ; =>This Inner Loop Header: Depth=1
	scratch_load_b128 v[15:18], v9, off offset:-8
	ds_load_b128 v[19:22], v8
	v_add_nc_u32_e32 v7, 1, v7
	v_add_nc_u32_e32 v8, 16, v8
	v_add_nc_u32_e32 v9, 16, v9
	s_delay_alu instid0(VALU_DEP_3)
	v_cmp_lt_u32_e32 vcc_lo, 36, v7
	s_wait_alu 0xfffe
	s_or_b32 s1, vcc_lo, s1
	s_wait_loadcnt_dscnt 0x0
	v_mul_f64_e32 v[10:11], v[21:22], v[17:18]
	v_mul_f64_e32 v[17:18], v[19:20], v[17:18]
	s_delay_alu instid0(VALU_DEP_2) | instskip(NEXT) | instid1(VALU_DEP_2)
	v_fma_f64 v[10:11], v[19:20], v[15:16], -v[10:11]
	v_fma_f64 v[15:16], v[21:22], v[15:16], v[17:18]
	s_delay_alu instid0(VALU_DEP_2) | instskip(NEXT) | instid1(VALU_DEP_2)
	v_add_f64_e32 v[3:4], v[3:4], v[10:11]
	v_add_f64_e32 v[1:2], v[1:2], v[15:16]
	s_wait_alu 0xfffe
	s_and_not1_b32 exec_lo, exec_lo, s1
	s_cbranch_execnz .LBB112_165
; %bb.166:
	s_or_b32 exec_lo, exec_lo, s1
	v_mov_b32_e32 v7, 0
	ds_load_b128 v[7:10], v7 offset:608
	s_wait_dscnt 0x0
	v_mul_f64_e32 v[11:12], v[1:2], v[9:10]
	v_mul_f64_e32 v[15:16], v[3:4], v[9:10]
	s_delay_alu instid0(VALU_DEP_2) | instskip(NEXT) | instid1(VALU_DEP_2)
	v_fma_f64 v[9:10], v[3:4], v[7:8], -v[11:12]
	v_fma_f64 v[11:12], v[1:2], v[7:8], v[15:16]
	scratch_store_b128 off, v[9:12], off offset:624
.LBB112_167:
	s_wait_alu 0xfffe
	s_or_b32 exec_lo, exec_lo, s0
	s_wait_loadcnt 0x0
	s_wait_storecnt 0x0
	s_barrier_signal -1
	s_barrier_wait -1
	global_inv scope:SCOPE_SE
	scratch_load_b128 v[1:4], off, s22
	s_mov_b32 s0, exec_lo
	s_wait_loadcnt 0x0
	ds_store_b128 v5, v[1:4]
	s_wait_dscnt 0x0
	s_barrier_signal -1
	s_barrier_wait -1
	global_inv scope:SCOPE_SE
	v_cmpx_gt_u32_e32 39, v0
	s_cbranch_execz .LBB112_171
; %bb.168:
	v_dual_mov_b32 v1, 0 :: v_dual_add_nc_u32 v8, 0x310, v13
	v_mov_b32_e32 v3, 0
	v_dual_mov_b32 v2, 0 :: v_dual_add_nc_u32 v7, -1, v0
	v_mov_b32_e32 v4, 0
	v_or_b32_e32 v9, 8, v14
	s_mov_b32 s1, 0
.LBB112_169:                            ; =>This Inner Loop Header: Depth=1
	scratch_load_b128 v[15:18], v9, off offset:-8
	ds_load_b128 v[19:22], v8
	v_add_nc_u32_e32 v7, 1, v7
	v_add_nc_u32_e32 v8, 16, v8
	v_add_nc_u32_e32 v9, 16, v9
	s_delay_alu instid0(VALU_DEP_3)
	v_cmp_lt_u32_e32 vcc_lo, 37, v7
	s_wait_alu 0xfffe
	s_or_b32 s1, vcc_lo, s1
	s_wait_loadcnt_dscnt 0x0
	v_mul_f64_e32 v[10:11], v[21:22], v[17:18]
	v_mul_f64_e32 v[17:18], v[19:20], v[17:18]
	s_delay_alu instid0(VALU_DEP_2) | instskip(NEXT) | instid1(VALU_DEP_2)
	v_fma_f64 v[10:11], v[19:20], v[15:16], -v[10:11]
	v_fma_f64 v[15:16], v[21:22], v[15:16], v[17:18]
	s_delay_alu instid0(VALU_DEP_2) | instskip(NEXT) | instid1(VALU_DEP_2)
	v_add_f64_e32 v[3:4], v[3:4], v[10:11]
	v_add_f64_e32 v[1:2], v[1:2], v[15:16]
	s_wait_alu 0xfffe
	s_and_not1_b32 exec_lo, exec_lo, s1
	s_cbranch_execnz .LBB112_169
; %bb.170:
	s_or_b32 exec_lo, exec_lo, s1
	v_mov_b32_e32 v7, 0
	ds_load_b128 v[7:10], v7 offset:624
	s_wait_dscnt 0x0
	v_mul_f64_e32 v[11:12], v[1:2], v[9:10]
	v_mul_f64_e32 v[15:16], v[3:4], v[9:10]
	s_delay_alu instid0(VALU_DEP_2) | instskip(NEXT) | instid1(VALU_DEP_2)
	v_fma_f64 v[9:10], v[3:4], v[7:8], -v[11:12]
	v_fma_f64 v[11:12], v[1:2], v[7:8], v[15:16]
	scratch_store_b128 off, v[9:12], off offset:640
.LBB112_171:
	s_wait_alu 0xfffe
	s_or_b32 exec_lo, exec_lo, s0
	s_wait_loadcnt 0x0
	s_wait_storecnt 0x0
	s_barrier_signal -1
	s_barrier_wait -1
	global_inv scope:SCOPE_SE
	scratch_load_b128 v[1:4], off, s21
	s_mov_b32 s0, exec_lo
	s_wait_loadcnt 0x0
	ds_store_b128 v5, v[1:4]
	s_wait_dscnt 0x0
	s_barrier_signal -1
	s_barrier_wait -1
	global_inv scope:SCOPE_SE
	v_cmpx_gt_u32_e32 40, v0
	s_cbranch_execz .LBB112_175
; %bb.172:
	v_dual_mov_b32 v1, 0 :: v_dual_add_nc_u32 v8, 0x310, v13
	v_mov_b32_e32 v3, 0
	v_dual_mov_b32 v2, 0 :: v_dual_add_nc_u32 v7, -1, v0
	v_mov_b32_e32 v4, 0
	v_or_b32_e32 v9, 8, v14
	s_mov_b32 s1, 0
.LBB112_173:                            ; =>This Inner Loop Header: Depth=1
	scratch_load_b128 v[15:18], v9, off offset:-8
	ds_load_b128 v[19:22], v8
	v_add_nc_u32_e32 v7, 1, v7
	v_add_nc_u32_e32 v8, 16, v8
	v_add_nc_u32_e32 v9, 16, v9
	s_delay_alu instid0(VALU_DEP_3)
	v_cmp_lt_u32_e32 vcc_lo, 38, v7
	s_wait_alu 0xfffe
	s_or_b32 s1, vcc_lo, s1
	s_wait_loadcnt_dscnt 0x0
	v_mul_f64_e32 v[10:11], v[21:22], v[17:18]
	v_mul_f64_e32 v[17:18], v[19:20], v[17:18]
	s_delay_alu instid0(VALU_DEP_2) | instskip(NEXT) | instid1(VALU_DEP_2)
	v_fma_f64 v[10:11], v[19:20], v[15:16], -v[10:11]
	v_fma_f64 v[15:16], v[21:22], v[15:16], v[17:18]
	s_delay_alu instid0(VALU_DEP_2) | instskip(NEXT) | instid1(VALU_DEP_2)
	v_add_f64_e32 v[3:4], v[3:4], v[10:11]
	v_add_f64_e32 v[1:2], v[1:2], v[15:16]
	s_wait_alu 0xfffe
	s_and_not1_b32 exec_lo, exec_lo, s1
	s_cbranch_execnz .LBB112_173
; %bb.174:
	s_or_b32 exec_lo, exec_lo, s1
	v_mov_b32_e32 v7, 0
	ds_load_b128 v[7:10], v7 offset:640
	s_wait_dscnt 0x0
	v_mul_f64_e32 v[11:12], v[1:2], v[9:10]
	v_mul_f64_e32 v[15:16], v[3:4], v[9:10]
	s_delay_alu instid0(VALU_DEP_2) | instskip(NEXT) | instid1(VALU_DEP_2)
	v_fma_f64 v[9:10], v[3:4], v[7:8], -v[11:12]
	v_fma_f64 v[11:12], v[1:2], v[7:8], v[15:16]
	scratch_store_b128 off, v[9:12], off offset:656
.LBB112_175:
	s_wait_alu 0xfffe
	s_or_b32 exec_lo, exec_lo, s0
	s_wait_loadcnt 0x0
	s_wait_storecnt 0x0
	s_barrier_signal -1
	s_barrier_wait -1
	global_inv scope:SCOPE_SE
	scratch_load_b128 v[1:4], off, s20
	s_mov_b32 s0, exec_lo
	s_wait_loadcnt 0x0
	ds_store_b128 v5, v[1:4]
	s_wait_dscnt 0x0
	s_barrier_signal -1
	s_barrier_wait -1
	global_inv scope:SCOPE_SE
	v_cmpx_gt_u32_e32 41, v0
	s_cbranch_execz .LBB112_179
; %bb.176:
	v_dual_mov_b32 v1, 0 :: v_dual_add_nc_u32 v8, 0x310, v13
	v_mov_b32_e32 v3, 0
	v_dual_mov_b32 v2, 0 :: v_dual_add_nc_u32 v7, -1, v0
	v_mov_b32_e32 v4, 0
	v_or_b32_e32 v9, 8, v14
	s_mov_b32 s1, 0
.LBB112_177:                            ; =>This Inner Loop Header: Depth=1
	scratch_load_b128 v[15:18], v9, off offset:-8
	ds_load_b128 v[19:22], v8
	v_add_nc_u32_e32 v7, 1, v7
	v_add_nc_u32_e32 v8, 16, v8
	v_add_nc_u32_e32 v9, 16, v9
	s_delay_alu instid0(VALU_DEP_3)
	v_cmp_lt_u32_e32 vcc_lo, 39, v7
	s_wait_alu 0xfffe
	s_or_b32 s1, vcc_lo, s1
	s_wait_loadcnt_dscnt 0x0
	v_mul_f64_e32 v[10:11], v[21:22], v[17:18]
	v_mul_f64_e32 v[17:18], v[19:20], v[17:18]
	s_delay_alu instid0(VALU_DEP_2) | instskip(NEXT) | instid1(VALU_DEP_2)
	v_fma_f64 v[10:11], v[19:20], v[15:16], -v[10:11]
	v_fma_f64 v[15:16], v[21:22], v[15:16], v[17:18]
	s_delay_alu instid0(VALU_DEP_2) | instskip(NEXT) | instid1(VALU_DEP_2)
	v_add_f64_e32 v[3:4], v[3:4], v[10:11]
	v_add_f64_e32 v[1:2], v[1:2], v[15:16]
	s_wait_alu 0xfffe
	s_and_not1_b32 exec_lo, exec_lo, s1
	s_cbranch_execnz .LBB112_177
; %bb.178:
	s_or_b32 exec_lo, exec_lo, s1
	v_mov_b32_e32 v7, 0
	ds_load_b128 v[7:10], v7 offset:656
	s_wait_dscnt 0x0
	v_mul_f64_e32 v[11:12], v[1:2], v[9:10]
	v_mul_f64_e32 v[15:16], v[3:4], v[9:10]
	s_delay_alu instid0(VALU_DEP_2) | instskip(NEXT) | instid1(VALU_DEP_2)
	v_fma_f64 v[9:10], v[3:4], v[7:8], -v[11:12]
	v_fma_f64 v[11:12], v[1:2], v[7:8], v[15:16]
	scratch_store_b128 off, v[9:12], off offset:672
.LBB112_179:
	s_wait_alu 0xfffe
	s_or_b32 exec_lo, exec_lo, s0
	s_wait_loadcnt 0x0
	s_wait_storecnt 0x0
	s_barrier_signal -1
	s_barrier_wait -1
	global_inv scope:SCOPE_SE
	scratch_load_b128 v[1:4], off, s19
	s_mov_b32 s0, exec_lo
	s_wait_loadcnt 0x0
	ds_store_b128 v5, v[1:4]
	s_wait_dscnt 0x0
	s_barrier_signal -1
	s_barrier_wait -1
	global_inv scope:SCOPE_SE
	v_cmpx_gt_u32_e32 42, v0
	s_cbranch_execz .LBB112_183
; %bb.180:
	v_dual_mov_b32 v1, 0 :: v_dual_add_nc_u32 v8, 0x310, v13
	v_mov_b32_e32 v3, 0
	v_dual_mov_b32 v2, 0 :: v_dual_add_nc_u32 v7, -1, v0
	v_mov_b32_e32 v4, 0
	v_or_b32_e32 v9, 8, v14
	s_mov_b32 s1, 0
.LBB112_181:                            ; =>This Inner Loop Header: Depth=1
	scratch_load_b128 v[15:18], v9, off offset:-8
	ds_load_b128 v[19:22], v8
	v_add_nc_u32_e32 v7, 1, v7
	v_add_nc_u32_e32 v8, 16, v8
	v_add_nc_u32_e32 v9, 16, v9
	s_delay_alu instid0(VALU_DEP_3)
	v_cmp_lt_u32_e32 vcc_lo, 40, v7
	s_wait_alu 0xfffe
	s_or_b32 s1, vcc_lo, s1
	s_wait_loadcnt_dscnt 0x0
	v_mul_f64_e32 v[10:11], v[21:22], v[17:18]
	v_mul_f64_e32 v[17:18], v[19:20], v[17:18]
	s_delay_alu instid0(VALU_DEP_2) | instskip(NEXT) | instid1(VALU_DEP_2)
	v_fma_f64 v[10:11], v[19:20], v[15:16], -v[10:11]
	v_fma_f64 v[15:16], v[21:22], v[15:16], v[17:18]
	s_delay_alu instid0(VALU_DEP_2) | instskip(NEXT) | instid1(VALU_DEP_2)
	v_add_f64_e32 v[3:4], v[3:4], v[10:11]
	v_add_f64_e32 v[1:2], v[1:2], v[15:16]
	s_wait_alu 0xfffe
	s_and_not1_b32 exec_lo, exec_lo, s1
	s_cbranch_execnz .LBB112_181
; %bb.182:
	s_or_b32 exec_lo, exec_lo, s1
	v_mov_b32_e32 v7, 0
	ds_load_b128 v[7:10], v7 offset:672
	s_wait_dscnt 0x0
	v_mul_f64_e32 v[11:12], v[1:2], v[9:10]
	v_mul_f64_e32 v[15:16], v[3:4], v[9:10]
	s_delay_alu instid0(VALU_DEP_2) | instskip(NEXT) | instid1(VALU_DEP_2)
	v_fma_f64 v[9:10], v[3:4], v[7:8], -v[11:12]
	v_fma_f64 v[11:12], v[1:2], v[7:8], v[15:16]
	scratch_store_b128 off, v[9:12], off offset:688
.LBB112_183:
	s_wait_alu 0xfffe
	s_or_b32 exec_lo, exec_lo, s0
	s_wait_loadcnt 0x0
	s_wait_storecnt 0x0
	s_barrier_signal -1
	s_barrier_wait -1
	global_inv scope:SCOPE_SE
	scratch_load_b128 v[1:4], off, s18
	s_mov_b32 s0, exec_lo
	s_wait_loadcnt 0x0
	ds_store_b128 v5, v[1:4]
	s_wait_dscnt 0x0
	s_barrier_signal -1
	s_barrier_wait -1
	global_inv scope:SCOPE_SE
	v_cmpx_gt_u32_e32 43, v0
	s_cbranch_execz .LBB112_187
; %bb.184:
	v_dual_mov_b32 v1, 0 :: v_dual_add_nc_u32 v8, 0x310, v13
	v_mov_b32_e32 v3, 0
	v_dual_mov_b32 v2, 0 :: v_dual_add_nc_u32 v7, -1, v0
	v_mov_b32_e32 v4, 0
	v_or_b32_e32 v9, 8, v14
	s_mov_b32 s1, 0
.LBB112_185:                            ; =>This Inner Loop Header: Depth=1
	scratch_load_b128 v[15:18], v9, off offset:-8
	ds_load_b128 v[19:22], v8
	v_add_nc_u32_e32 v7, 1, v7
	v_add_nc_u32_e32 v8, 16, v8
	v_add_nc_u32_e32 v9, 16, v9
	s_delay_alu instid0(VALU_DEP_3)
	v_cmp_lt_u32_e32 vcc_lo, 41, v7
	s_wait_alu 0xfffe
	s_or_b32 s1, vcc_lo, s1
	s_wait_loadcnt_dscnt 0x0
	v_mul_f64_e32 v[10:11], v[21:22], v[17:18]
	v_mul_f64_e32 v[17:18], v[19:20], v[17:18]
	s_delay_alu instid0(VALU_DEP_2) | instskip(NEXT) | instid1(VALU_DEP_2)
	v_fma_f64 v[10:11], v[19:20], v[15:16], -v[10:11]
	v_fma_f64 v[15:16], v[21:22], v[15:16], v[17:18]
	s_delay_alu instid0(VALU_DEP_2) | instskip(NEXT) | instid1(VALU_DEP_2)
	v_add_f64_e32 v[3:4], v[3:4], v[10:11]
	v_add_f64_e32 v[1:2], v[1:2], v[15:16]
	s_wait_alu 0xfffe
	s_and_not1_b32 exec_lo, exec_lo, s1
	s_cbranch_execnz .LBB112_185
; %bb.186:
	s_or_b32 exec_lo, exec_lo, s1
	v_mov_b32_e32 v7, 0
	ds_load_b128 v[7:10], v7 offset:688
	s_wait_dscnt 0x0
	v_mul_f64_e32 v[11:12], v[1:2], v[9:10]
	v_mul_f64_e32 v[15:16], v[3:4], v[9:10]
	s_delay_alu instid0(VALU_DEP_2) | instskip(NEXT) | instid1(VALU_DEP_2)
	v_fma_f64 v[9:10], v[3:4], v[7:8], -v[11:12]
	v_fma_f64 v[11:12], v[1:2], v[7:8], v[15:16]
	scratch_store_b128 off, v[9:12], off offset:704
.LBB112_187:
	s_wait_alu 0xfffe
	s_or_b32 exec_lo, exec_lo, s0
	s_wait_loadcnt 0x0
	s_wait_storecnt 0x0
	s_barrier_signal -1
	s_barrier_wait -1
	global_inv scope:SCOPE_SE
	scratch_load_b128 v[1:4], off, s17
	s_mov_b32 s0, exec_lo
	s_wait_loadcnt 0x0
	ds_store_b128 v5, v[1:4]
	s_wait_dscnt 0x0
	s_barrier_signal -1
	s_barrier_wait -1
	global_inv scope:SCOPE_SE
	v_cmpx_gt_u32_e32 44, v0
	s_cbranch_execz .LBB112_191
; %bb.188:
	v_dual_mov_b32 v1, 0 :: v_dual_add_nc_u32 v8, 0x310, v13
	v_mov_b32_e32 v3, 0
	v_dual_mov_b32 v2, 0 :: v_dual_add_nc_u32 v7, -1, v0
	v_mov_b32_e32 v4, 0
	v_or_b32_e32 v9, 8, v14
	s_mov_b32 s1, 0
.LBB112_189:                            ; =>This Inner Loop Header: Depth=1
	scratch_load_b128 v[15:18], v9, off offset:-8
	ds_load_b128 v[19:22], v8
	v_add_nc_u32_e32 v7, 1, v7
	v_add_nc_u32_e32 v8, 16, v8
	v_add_nc_u32_e32 v9, 16, v9
	s_delay_alu instid0(VALU_DEP_3)
	v_cmp_lt_u32_e32 vcc_lo, 42, v7
	s_wait_alu 0xfffe
	s_or_b32 s1, vcc_lo, s1
	s_wait_loadcnt_dscnt 0x0
	v_mul_f64_e32 v[10:11], v[21:22], v[17:18]
	v_mul_f64_e32 v[17:18], v[19:20], v[17:18]
	s_delay_alu instid0(VALU_DEP_2) | instskip(NEXT) | instid1(VALU_DEP_2)
	v_fma_f64 v[10:11], v[19:20], v[15:16], -v[10:11]
	v_fma_f64 v[15:16], v[21:22], v[15:16], v[17:18]
	s_delay_alu instid0(VALU_DEP_2) | instskip(NEXT) | instid1(VALU_DEP_2)
	v_add_f64_e32 v[3:4], v[3:4], v[10:11]
	v_add_f64_e32 v[1:2], v[1:2], v[15:16]
	s_wait_alu 0xfffe
	s_and_not1_b32 exec_lo, exec_lo, s1
	s_cbranch_execnz .LBB112_189
; %bb.190:
	s_or_b32 exec_lo, exec_lo, s1
	v_mov_b32_e32 v7, 0
	ds_load_b128 v[7:10], v7 offset:704
	s_wait_dscnt 0x0
	v_mul_f64_e32 v[11:12], v[1:2], v[9:10]
	v_mul_f64_e32 v[15:16], v[3:4], v[9:10]
	s_delay_alu instid0(VALU_DEP_2) | instskip(NEXT) | instid1(VALU_DEP_2)
	v_fma_f64 v[9:10], v[3:4], v[7:8], -v[11:12]
	v_fma_f64 v[11:12], v[1:2], v[7:8], v[15:16]
	scratch_store_b128 off, v[9:12], off offset:720
.LBB112_191:
	s_wait_alu 0xfffe
	s_or_b32 exec_lo, exec_lo, s0
	s_wait_loadcnt 0x0
	s_wait_storecnt 0x0
	s_barrier_signal -1
	s_barrier_wait -1
	global_inv scope:SCOPE_SE
	scratch_load_b128 v[1:4], off, s16
	s_mov_b32 s0, exec_lo
	s_wait_loadcnt 0x0
	ds_store_b128 v5, v[1:4]
	s_wait_dscnt 0x0
	s_barrier_signal -1
	s_barrier_wait -1
	global_inv scope:SCOPE_SE
	v_cmpx_gt_u32_e32 45, v0
	s_cbranch_execz .LBB112_195
; %bb.192:
	v_dual_mov_b32 v1, 0 :: v_dual_add_nc_u32 v8, 0x310, v13
	v_mov_b32_e32 v3, 0
	v_dual_mov_b32 v2, 0 :: v_dual_add_nc_u32 v7, -1, v0
	v_mov_b32_e32 v4, 0
	v_or_b32_e32 v9, 8, v14
	s_mov_b32 s1, 0
.LBB112_193:                            ; =>This Inner Loop Header: Depth=1
	scratch_load_b128 v[15:18], v9, off offset:-8
	ds_load_b128 v[19:22], v8
	v_add_nc_u32_e32 v7, 1, v7
	v_add_nc_u32_e32 v8, 16, v8
	v_add_nc_u32_e32 v9, 16, v9
	s_delay_alu instid0(VALU_DEP_3)
	v_cmp_lt_u32_e32 vcc_lo, 43, v7
	s_wait_alu 0xfffe
	s_or_b32 s1, vcc_lo, s1
	s_wait_loadcnt_dscnt 0x0
	v_mul_f64_e32 v[10:11], v[21:22], v[17:18]
	v_mul_f64_e32 v[17:18], v[19:20], v[17:18]
	s_delay_alu instid0(VALU_DEP_2) | instskip(NEXT) | instid1(VALU_DEP_2)
	v_fma_f64 v[10:11], v[19:20], v[15:16], -v[10:11]
	v_fma_f64 v[15:16], v[21:22], v[15:16], v[17:18]
	s_delay_alu instid0(VALU_DEP_2) | instskip(NEXT) | instid1(VALU_DEP_2)
	v_add_f64_e32 v[3:4], v[3:4], v[10:11]
	v_add_f64_e32 v[1:2], v[1:2], v[15:16]
	s_wait_alu 0xfffe
	s_and_not1_b32 exec_lo, exec_lo, s1
	s_cbranch_execnz .LBB112_193
; %bb.194:
	s_or_b32 exec_lo, exec_lo, s1
	v_mov_b32_e32 v7, 0
	ds_load_b128 v[7:10], v7 offset:720
	s_wait_dscnt 0x0
	v_mul_f64_e32 v[11:12], v[1:2], v[9:10]
	v_mul_f64_e32 v[15:16], v[3:4], v[9:10]
	s_delay_alu instid0(VALU_DEP_2) | instskip(NEXT) | instid1(VALU_DEP_2)
	v_fma_f64 v[9:10], v[3:4], v[7:8], -v[11:12]
	v_fma_f64 v[11:12], v[1:2], v[7:8], v[15:16]
	scratch_store_b128 off, v[9:12], off offset:736
.LBB112_195:
	s_wait_alu 0xfffe
	s_or_b32 exec_lo, exec_lo, s0
	s_wait_loadcnt 0x0
	s_wait_storecnt 0x0
	s_barrier_signal -1
	s_barrier_wait -1
	global_inv scope:SCOPE_SE
	scratch_load_b128 v[1:4], off, s14
	s_mov_b32 s0, exec_lo
	s_wait_loadcnt 0x0
	ds_store_b128 v5, v[1:4]
	s_wait_dscnt 0x0
	s_barrier_signal -1
	s_barrier_wait -1
	global_inv scope:SCOPE_SE
	v_cmpx_gt_u32_e32 46, v0
	s_cbranch_execz .LBB112_199
; %bb.196:
	v_dual_mov_b32 v1, 0 :: v_dual_add_nc_u32 v8, 0x310, v13
	v_mov_b32_e32 v3, 0
	v_dual_mov_b32 v2, 0 :: v_dual_add_nc_u32 v7, -1, v0
	v_mov_b32_e32 v4, 0
	v_or_b32_e32 v9, 8, v14
	s_mov_b32 s1, 0
.LBB112_197:                            ; =>This Inner Loop Header: Depth=1
	scratch_load_b128 v[15:18], v9, off offset:-8
	ds_load_b128 v[19:22], v8
	v_add_nc_u32_e32 v7, 1, v7
	v_add_nc_u32_e32 v8, 16, v8
	v_add_nc_u32_e32 v9, 16, v9
	s_delay_alu instid0(VALU_DEP_3)
	v_cmp_lt_u32_e32 vcc_lo, 44, v7
	s_wait_alu 0xfffe
	s_or_b32 s1, vcc_lo, s1
	s_wait_loadcnt_dscnt 0x0
	v_mul_f64_e32 v[10:11], v[21:22], v[17:18]
	v_mul_f64_e32 v[17:18], v[19:20], v[17:18]
	s_delay_alu instid0(VALU_DEP_2) | instskip(NEXT) | instid1(VALU_DEP_2)
	v_fma_f64 v[10:11], v[19:20], v[15:16], -v[10:11]
	v_fma_f64 v[15:16], v[21:22], v[15:16], v[17:18]
	s_delay_alu instid0(VALU_DEP_2) | instskip(NEXT) | instid1(VALU_DEP_2)
	v_add_f64_e32 v[3:4], v[3:4], v[10:11]
	v_add_f64_e32 v[1:2], v[1:2], v[15:16]
	s_wait_alu 0xfffe
	s_and_not1_b32 exec_lo, exec_lo, s1
	s_cbranch_execnz .LBB112_197
; %bb.198:
	s_or_b32 exec_lo, exec_lo, s1
	v_mov_b32_e32 v7, 0
	ds_load_b128 v[7:10], v7 offset:736
	s_wait_dscnt 0x0
	v_mul_f64_e32 v[11:12], v[1:2], v[9:10]
	v_mul_f64_e32 v[15:16], v[3:4], v[9:10]
	s_delay_alu instid0(VALU_DEP_2) | instskip(NEXT) | instid1(VALU_DEP_2)
	v_fma_f64 v[9:10], v[3:4], v[7:8], -v[11:12]
	v_fma_f64 v[11:12], v[1:2], v[7:8], v[15:16]
	scratch_store_b128 off, v[9:12], off offset:752
.LBB112_199:
	s_wait_alu 0xfffe
	s_or_b32 exec_lo, exec_lo, s0
	s_wait_loadcnt 0x0
	s_wait_storecnt 0x0
	s_barrier_signal -1
	s_barrier_wait -1
	global_inv scope:SCOPE_SE
	scratch_load_b128 v[1:4], off, s11
	s_mov_b32 s0, exec_lo
	s_wait_loadcnt 0x0
	ds_store_b128 v5, v[1:4]
	s_wait_dscnt 0x0
	s_barrier_signal -1
	s_barrier_wait -1
	global_inv scope:SCOPE_SE
	v_cmpx_gt_u32_e32 47, v0
	s_cbranch_execz .LBB112_203
; %bb.200:
	v_dual_mov_b32 v1, 0 :: v_dual_add_nc_u32 v8, 0x310, v13
	v_mov_b32_e32 v3, 0
	v_dual_mov_b32 v2, 0 :: v_dual_add_nc_u32 v7, -1, v0
	v_mov_b32_e32 v4, 0
	v_or_b32_e32 v9, 8, v14
	s_mov_b32 s1, 0
.LBB112_201:                            ; =>This Inner Loop Header: Depth=1
	scratch_load_b128 v[10:13], v9, off offset:-8
	ds_load_b128 v[15:18], v8
	v_add_nc_u32_e32 v7, 1, v7
	v_add_nc_u32_e32 v8, 16, v8
	v_add_nc_u32_e32 v9, 16, v9
	s_delay_alu instid0(VALU_DEP_3)
	v_cmp_lt_u32_e32 vcc_lo, 45, v7
	s_wait_alu 0xfffe
	s_or_b32 s1, vcc_lo, s1
	s_wait_loadcnt_dscnt 0x0
	v_mul_f64_e32 v[19:20], v[17:18], v[12:13]
	v_mul_f64_e32 v[12:13], v[15:16], v[12:13]
	s_delay_alu instid0(VALU_DEP_2) | instskip(NEXT) | instid1(VALU_DEP_2)
	v_fma_f64 v[15:16], v[15:16], v[10:11], -v[19:20]
	v_fma_f64 v[10:11], v[17:18], v[10:11], v[12:13]
	s_delay_alu instid0(VALU_DEP_2) | instskip(NEXT) | instid1(VALU_DEP_2)
	v_add_f64_e32 v[3:4], v[3:4], v[15:16]
	v_add_f64_e32 v[1:2], v[1:2], v[10:11]
	s_wait_alu 0xfffe
	s_and_not1_b32 exec_lo, exec_lo, s1
	s_cbranch_execnz .LBB112_201
; %bb.202:
	s_or_b32 exec_lo, exec_lo, s1
	v_mov_b32_e32 v7, 0
	ds_load_b128 v[7:10], v7 offset:752
	s_wait_dscnt 0x0
	v_mul_f64_e32 v[11:12], v[1:2], v[9:10]
	v_mul_f64_e32 v[15:16], v[3:4], v[9:10]
	s_delay_alu instid0(VALU_DEP_2) | instskip(NEXT) | instid1(VALU_DEP_2)
	v_fma_f64 v[9:10], v[3:4], v[7:8], -v[11:12]
	v_fma_f64 v[11:12], v[1:2], v[7:8], v[15:16]
	scratch_store_b128 off, v[9:12], off offset:768
.LBB112_203:
	s_wait_alu 0xfffe
	s_or_b32 exec_lo, exec_lo, s0
	s_wait_loadcnt 0x0
	s_wait_storecnt 0x0
	s_barrier_signal -1
	s_barrier_wait -1
	global_inv scope:SCOPE_SE
	scratch_load_b128 v[1:4], off, s5
	s_mov_b32 s0, exec_lo
	s_wait_loadcnt 0x0
	ds_store_b128 v5, v[1:4]
	s_wait_dscnt 0x0
	s_barrier_signal -1
	s_barrier_wait -1
	global_inv scope:SCOPE_SE
	v_cmpx_ne_u32_e32 48, v0
	s_cbranch_execz .LBB112_207
; %bb.204:
	v_mov_b32_e32 v1, 0
	v_dual_mov_b32 v2, 0 :: v_dual_mov_b32 v3, 0
	v_mov_b32_e32 v4, 0
	v_or_b32_e32 v7, 8, v14
	s_mov_b32 s1, 0
.LBB112_205:                            ; =>This Inner Loop Header: Depth=1
	scratch_load_b128 v[8:11], v7, off offset:-8
	ds_load_b128 v[12:15], v5
	v_add_nc_u32_e32 v6, 1, v6
	v_add_nc_u32_e32 v5, 16, v5
	;; [unrolled: 1-line block ×3, first 2 shown]
	s_delay_alu instid0(VALU_DEP_3)
	v_cmp_lt_u32_e32 vcc_lo, 46, v6
	s_wait_alu 0xfffe
	s_or_b32 s1, vcc_lo, s1
	s_wait_loadcnt_dscnt 0x0
	v_mul_f64_e32 v[16:17], v[14:15], v[10:11]
	v_mul_f64_e32 v[10:11], v[12:13], v[10:11]
	s_delay_alu instid0(VALU_DEP_2) | instskip(NEXT) | instid1(VALU_DEP_2)
	v_fma_f64 v[12:13], v[12:13], v[8:9], -v[16:17]
	v_fma_f64 v[8:9], v[14:15], v[8:9], v[10:11]
	s_delay_alu instid0(VALU_DEP_2) | instskip(NEXT) | instid1(VALU_DEP_2)
	v_add_f64_e32 v[3:4], v[3:4], v[12:13]
	v_add_f64_e32 v[1:2], v[1:2], v[8:9]
	s_wait_alu 0xfffe
	s_and_not1_b32 exec_lo, exec_lo, s1
	s_cbranch_execnz .LBB112_205
; %bb.206:
	s_or_b32 exec_lo, exec_lo, s1
	v_mov_b32_e32 v5, 0
	ds_load_b128 v[5:8], v5 offset:768
	s_wait_dscnt 0x0
	v_mul_f64_e32 v[9:10], v[1:2], v[7:8]
	v_mul_f64_e32 v[7:8], v[3:4], v[7:8]
	s_delay_alu instid0(VALU_DEP_2) | instskip(NEXT) | instid1(VALU_DEP_2)
	v_fma_f64 v[3:4], v[3:4], v[5:6], -v[9:10]
	v_fma_f64 v[5:6], v[1:2], v[5:6], v[7:8]
	scratch_store_b128 off, v[3:6], off offset:784
.LBB112_207:
	s_wait_alu 0xfffe
	s_or_b32 exec_lo, exec_lo, s0
	s_mov_b32 s1, -1
	s_wait_loadcnt 0x0
	s_wait_storecnt 0x0
	s_barrier_signal -1
	s_barrier_wait -1
	global_inv scope:SCOPE_SE
.LBB112_208:
	s_wait_alu 0xfffe
	s_and_b32 vcc_lo, exec_lo, s1
	s_wait_alu 0xfffe
	s_cbranch_vccz .LBB112_210
; %bb.209:
	v_mov_b32_e32 v1, 0
	s_lshl_b64 s[0:1], s[8:9], 2
	s_wait_alu 0xfffe
	s_add_nc_u64 s[0:1], s[6:7], s[0:1]
	global_load_b32 v1, v1, s[0:1]
	s_wait_loadcnt 0x0
	v_cmp_ne_u32_e32 vcc_lo, 0, v1
	s_cbranch_vccz .LBB112_211
.LBB112_210:
	s_nop 0
	s_sendmsg sendmsg(MSG_DEALLOC_VGPRS)
	s_endpgm
.LBB112_211:
	v_lshl_add_u32 v140, v0, 4, 0x310
	s_mov_b32 s0, exec_lo
	v_cmpx_eq_u32_e32 48, v0
	s_cbranch_execz .LBB112_213
; %bb.212:
	scratch_load_b128 v[1:4], off, s11
	v_mov_b32_e32 v5, 0
	s_delay_alu instid0(VALU_DEP_1)
	v_dual_mov_b32 v6, v5 :: v_dual_mov_b32 v7, v5
	v_mov_b32_e32 v8, v5
	scratch_store_b128 off, v[5:8], off offset:768
	s_wait_loadcnt 0x0
	ds_store_b128 v140, v[1:4]
.LBB112_213:
	s_wait_alu 0xfffe
	s_or_b32 exec_lo, exec_lo, s0
	s_wait_storecnt_dscnt 0x0
	s_barrier_signal -1
	s_barrier_wait -1
	global_inv scope:SCOPE_SE
	s_clause 0x1
	scratch_load_b128 v[2:5], off, off offset:784
	scratch_load_b128 v[6:9], off, off offset:768
	v_mov_b32_e32 v1, 0
	s_mov_b32 s0, exec_lo
	ds_load_b128 v[10:13], v1 offset:1552
	s_wait_loadcnt_dscnt 0x100
	v_mul_f64_e32 v[14:15], v[12:13], v[4:5]
	v_mul_f64_e32 v[4:5], v[10:11], v[4:5]
	s_delay_alu instid0(VALU_DEP_2) | instskip(NEXT) | instid1(VALU_DEP_2)
	v_fma_f64 v[10:11], v[10:11], v[2:3], -v[14:15]
	v_fma_f64 v[2:3], v[12:13], v[2:3], v[4:5]
	s_delay_alu instid0(VALU_DEP_2) | instskip(NEXT) | instid1(VALU_DEP_2)
	v_add_f64_e32 v[4:5], 0, v[10:11]
	v_add_f64_e32 v[10:11], 0, v[2:3]
	s_wait_loadcnt 0x0
	s_delay_alu instid0(VALU_DEP_2) | instskip(NEXT) | instid1(VALU_DEP_2)
	v_add_f64_e64 v[2:3], v[6:7], -v[4:5]
	v_add_f64_e64 v[4:5], v[8:9], -v[10:11]
	scratch_store_b128 off, v[2:5], off offset:768
	v_cmpx_lt_u32_e32 46, v0
	s_cbranch_execz .LBB112_215
; %bb.214:
	scratch_load_b128 v[5:8], off, s14
	v_dual_mov_b32 v2, v1 :: v_dual_mov_b32 v3, v1
	v_mov_b32_e32 v4, v1
	scratch_store_b128 off, v[1:4], off offset:752
	s_wait_loadcnt 0x0
	ds_store_b128 v140, v[5:8]
.LBB112_215:
	s_wait_alu 0xfffe
	s_or_b32 exec_lo, exec_lo, s0
	s_wait_storecnt_dscnt 0x0
	s_barrier_signal -1
	s_barrier_wait -1
	global_inv scope:SCOPE_SE
	s_clause 0x2
	scratch_load_b128 v[2:5], off, off offset:768
	scratch_load_b128 v[6:9], off, off offset:784
	scratch_load_b128 v[10:13], off, off offset:752
	ds_load_b128 v[14:17], v1 offset:1536
	ds_load_b128 v[18:21], v1 offset:1552
	s_mov_b32 s0, exec_lo
	s_wait_loadcnt_dscnt 0x201
	v_mul_f64_e32 v[22:23], v[16:17], v[4:5]
	v_mul_f64_e32 v[4:5], v[14:15], v[4:5]
	s_wait_loadcnt_dscnt 0x100
	v_mul_f64_e32 v[24:25], v[18:19], v[8:9]
	v_mul_f64_e32 v[8:9], v[20:21], v[8:9]
	s_delay_alu instid0(VALU_DEP_4) | instskip(NEXT) | instid1(VALU_DEP_4)
	v_fma_f64 v[14:15], v[14:15], v[2:3], -v[22:23]
	v_fma_f64 v[1:2], v[16:17], v[2:3], v[4:5]
	s_delay_alu instid0(VALU_DEP_4) | instskip(NEXT) | instid1(VALU_DEP_4)
	v_fma_f64 v[3:4], v[20:21], v[6:7], v[24:25]
	v_fma_f64 v[5:6], v[18:19], v[6:7], -v[8:9]
	s_delay_alu instid0(VALU_DEP_4) | instskip(NEXT) | instid1(VALU_DEP_4)
	v_add_f64_e32 v[7:8], 0, v[14:15]
	v_add_f64_e32 v[1:2], 0, v[1:2]
	s_delay_alu instid0(VALU_DEP_2) | instskip(NEXT) | instid1(VALU_DEP_2)
	v_add_f64_e32 v[5:6], v[7:8], v[5:6]
	v_add_f64_e32 v[3:4], v[1:2], v[3:4]
	s_wait_loadcnt 0x0
	s_delay_alu instid0(VALU_DEP_2) | instskip(NEXT) | instid1(VALU_DEP_2)
	v_add_f64_e64 v[1:2], v[10:11], -v[5:6]
	v_add_f64_e64 v[3:4], v[12:13], -v[3:4]
	scratch_store_b128 off, v[1:4], off offset:752
	v_cmpx_lt_u32_e32 45, v0
	s_cbranch_execz .LBB112_217
; %bb.216:
	scratch_load_b128 v[1:4], off, s16
	v_mov_b32_e32 v5, 0
	s_delay_alu instid0(VALU_DEP_1)
	v_dual_mov_b32 v6, v5 :: v_dual_mov_b32 v7, v5
	v_mov_b32_e32 v8, v5
	scratch_store_b128 off, v[5:8], off offset:736
	s_wait_loadcnt 0x0
	ds_store_b128 v140, v[1:4]
.LBB112_217:
	s_wait_alu 0xfffe
	s_or_b32 exec_lo, exec_lo, s0
	s_wait_storecnt_dscnt 0x0
	s_barrier_signal -1
	s_barrier_wait -1
	global_inv scope:SCOPE_SE
	s_clause 0x3
	scratch_load_b128 v[2:5], off, off offset:752
	scratch_load_b128 v[6:9], off, off offset:768
	;; [unrolled: 1-line block ×4, first 2 shown]
	v_mov_b32_e32 v1, 0
	ds_load_b128 v[18:21], v1 offset:1520
	ds_load_b128 v[22:25], v1 offset:1536
	s_mov_b32 s0, exec_lo
	s_wait_loadcnt_dscnt 0x301
	v_mul_f64_e32 v[26:27], v[20:21], v[4:5]
	v_mul_f64_e32 v[4:5], v[18:19], v[4:5]
	s_wait_loadcnt_dscnt 0x200
	v_mul_f64_e32 v[28:29], v[22:23], v[8:9]
	v_mul_f64_e32 v[8:9], v[24:25], v[8:9]
	s_delay_alu instid0(VALU_DEP_4) | instskip(NEXT) | instid1(VALU_DEP_4)
	v_fma_f64 v[18:19], v[18:19], v[2:3], -v[26:27]
	v_fma_f64 v[20:21], v[20:21], v[2:3], v[4:5]
	ds_load_b128 v[2:5], v1 offset:1552
	v_fma_f64 v[24:25], v[24:25], v[6:7], v[28:29]
	v_fma_f64 v[6:7], v[22:23], v[6:7], -v[8:9]
	s_wait_loadcnt_dscnt 0x100
	v_mul_f64_e32 v[26:27], v[2:3], v[12:13]
	v_mul_f64_e32 v[12:13], v[4:5], v[12:13]
	v_add_f64_e32 v[8:9], 0, v[18:19]
	v_add_f64_e32 v[18:19], 0, v[20:21]
	s_delay_alu instid0(VALU_DEP_4) | instskip(NEXT) | instid1(VALU_DEP_4)
	v_fma_f64 v[4:5], v[4:5], v[10:11], v[26:27]
	v_fma_f64 v[2:3], v[2:3], v[10:11], -v[12:13]
	s_delay_alu instid0(VALU_DEP_4) | instskip(NEXT) | instid1(VALU_DEP_4)
	v_add_f64_e32 v[6:7], v[8:9], v[6:7]
	v_add_f64_e32 v[8:9], v[18:19], v[24:25]
	s_delay_alu instid0(VALU_DEP_2) | instskip(NEXT) | instid1(VALU_DEP_2)
	v_add_f64_e32 v[2:3], v[6:7], v[2:3]
	v_add_f64_e32 v[4:5], v[8:9], v[4:5]
	s_wait_loadcnt 0x0
	s_delay_alu instid0(VALU_DEP_2) | instskip(NEXT) | instid1(VALU_DEP_2)
	v_add_f64_e64 v[2:3], v[14:15], -v[2:3]
	v_add_f64_e64 v[4:5], v[16:17], -v[4:5]
	scratch_store_b128 off, v[2:5], off offset:736
	v_cmpx_lt_u32_e32 44, v0
	s_cbranch_execz .LBB112_219
; %bb.218:
	scratch_load_b128 v[5:8], off, s17
	v_dual_mov_b32 v2, v1 :: v_dual_mov_b32 v3, v1
	v_mov_b32_e32 v4, v1
	scratch_store_b128 off, v[1:4], off offset:720
	s_wait_loadcnt 0x0
	ds_store_b128 v140, v[5:8]
.LBB112_219:
	s_wait_alu 0xfffe
	s_or_b32 exec_lo, exec_lo, s0
	s_wait_storecnt_dscnt 0x0
	s_barrier_signal -1
	s_barrier_wait -1
	global_inv scope:SCOPE_SE
	s_clause 0x4
	scratch_load_b128 v[2:5], off, off offset:736
	scratch_load_b128 v[6:9], off, off offset:752
	;; [unrolled: 1-line block ×5, first 2 shown]
	ds_load_b128 v[22:25], v1 offset:1504
	ds_load_b128 v[26:29], v1 offset:1520
	s_mov_b32 s0, exec_lo
	s_wait_loadcnt_dscnt 0x401
	v_mul_f64_e32 v[30:31], v[24:25], v[4:5]
	v_mul_f64_e32 v[4:5], v[22:23], v[4:5]
	s_wait_loadcnt_dscnt 0x300
	v_mul_f64_e32 v[32:33], v[26:27], v[8:9]
	v_mul_f64_e32 v[8:9], v[28:29], v[8:9]
	s_delay_alu instid0(VALU_DEP_4) | instskip(NEXT) | instid1(VALU_DEP_4)
	v_fma_f64 v[30:31], v[22:23], v[2:3], -v[30:31]
	v_fma_f64 v[34:35], v[24:25], v[2:3], v[4:5]
	ds_load_b128 v[2:5], v1 offset:1536
	ds_load_b128 v[22:25], v1 offset:1552
	v_fma_f64 v[28:29], v[28:29], v[6:7], v[32:33]
	v_fma_f64 v[6:7], v[26:27], v[6:7], -v[8:9]
	s_wait_loadcnt_dscnt 0x201
	v_mul_f64_e32 v[36:37], v[2:3], v[12:13]
	v_mul_f64_e32 v[12:13], v[4:5], v[12:13]
	v_add_f64_e32 v[8:9], 0, v[30:31]
	v_add_f64_e32 v[26:27], 0, v[34:35]
	s_wait_loadcnt_dscnt 0x100
	v_mul_f64_e32 v[30:31], v[22:23], v[16:17]
	v_mul_f64_e32 v[16:17], v[24:25], v[16:17]
	v_fma_f64 v[4:5], v[4:5], v[10:11], v[36:37]
	v_fma_f64 v[1:2], v[2:3], v[10:11], -v[12:13]
	v_add_f64_e32 v[6:7], v[8:9], v[6:7]
	v_add_f64_e32 v[8:9], v[26:27], v[28:29]
	v_fma_f64 v[10:11], v[24:25], v[14:15], v[30:31]
	v_fma_f64 v[12:13], v[22:23], v[14:15], -v[16:17]
	s_delay_alu instid0(VALU_DEP_4) | instskip(NEXT) | instid1(VALU_DEP_4)
	v_add_f64_e32 v[1:2], v[6:7], v[1:2]
	v_add_f64_e32 v[3:4], v[8:9], v[4:5]
	s_delay_alu instid0(VALU_DEP_2) | instskip(NEXT) | instid1(VALU_DEP_2)
	v_add_f64_e32 v[1:2], v[1:2], v[12:13]
	v_add_f64_e32 v[3:4], v[3:4], v[10:11]
	s_wait_loadcnt 0x0
	s_delay_alu instid0(VALU_DEP_2) | instskip(NEXT) | instid1(VALU_DEP_2)
	v_add_f64_e64 v[1:2], v[18:19], -v[1:2]
	v_add_f64_e64 v[3:4], v[20:21], -v[3:4]
	scratch_store_b128 off, v[1:4], off offset:720
	v_cmpx_lt_u32_e32 43, v0
	s_cbranch_execz .LBB112_221
; %bb.220:
	scratch_load_b128 v[1:4], off, s18
	v_mov_b32_e32 v5, 0
	s_delay_alu instid0(VALU_DEP_1)
	v_dual_mov_b32 v6, v5 :: v_dual_mov_b32 v7, v5
	v_mov_b32_e32 v8, v5
	scratch_store_b128 off, v[5:8], off offset:704
	s_wait_loadcnt 0x0
	ds_store_b128 v140, v[1:4]
.LBB112_221:
	s_wait_alu 0xfffe
	s_or_b32 exec_lo, exec_lo, s0
	s_wait_storecnt_dscnt 0x0
	s_barrier_signal -1
	s_barrier_wait -1
	global_inv scope:SCOPE_SE
	s_clause 0x5
	scratch_load_b128 v[2:5], off, off offset:720
	scratch_load_b128 v[6:9], off, off offset:736
	scratch_load_b128 v[10:13], off, off offset:752
	scratch_load_b128 v[14:17], off, off offset:768
	scratch_load_b128 v[18:21], off, off offset:784
	scratch_load_b128 v[22:25], off, off offset:704
	v_mov_b32_e32 v1, 0
	ds_load_b128 v[26:29], v1 offset:1488
	ds_load_b128 v[30:33], v1 offset:1504
	s_mov_b32 s0, exec_lo
	s_wait_loadcnt_dscnt 0x501
	v_mul_f64_e32 v[34:35], v[28:29], v[4:5]
	v_mul_f64_e32 v[4:5], v[26:27], v[4:5]
	s_wait_loadcnt_dscnt 0x400
	v_mul_f64_e32 v[36:37], v[30:31], v[8:9]
	v_mul_f64_e32 v[8:9], v[32:33], v[8:9]
	s_delay_alu instid0(VALU_DEP_4) | instskip(NEXT) | instid1(VALU_DEP_4)
	v_fma_f64 v[34:35], v[26:27], v[2:3], -v[34:35]
	v_fma_f64 v[38:39], v[28:29], v[2:3], v[4:5]
	ds_load_b128 v[2:5], v1 offset:1520
	ds_load_b128 v[26:29], v1 offset:1536
	v_fma_f64 v[32:33], v[32:33], v[6:7], v[36:37]
	v_fma_f64 v[6:7], v[30:31], v[6:7], -v[8:9]
	s_wait_loadcnt_dscnt 0x301
	v_mul_f64_e32 v[40:41], v[2:3], v[12:13]
	v_mul_f64_e32 v[12:13], v[4:5], v[12:13]
	v_add_f64_e32 v[8:9], 0, v[34:35]
	v_add_f64_e32 v[30:31], 0, v[38:39]
	s_wait_loadcnt_dscnt 0x200
	v_mul_f64_e32 v[34:35], v[26:27], v[16:17]
	v_mul_f64_e32 v[16:17], v[28:29], v[16:17]
	v_fma_f64 v[36:37], v[4:5], v[10:11], v[40:41]
	v_fma_f64 v[10:11], v[2:3], v[10:11], -v[12:13]
	ds_load_b128 v[2:5], v1 offset:1552
	v_add_f64_e32 v[6:7], v[8:9], v[6:7]
	v_add_f64_e32 v[8:9], v[30:31], v[32:33]
	v_fma_f64 v[28:29], v[28:29], v[14:15], v[34:35]
	v_fma_f64 v[14:15], v[26:27], v[14:15], -v[16:17]
	s_wait_loadcnt_dscnt 0x100
	v_mul_f64_e32 v[12:13], v[2:3], v[20:21]
	v_mul_f64_e32 v[20:21], v[4:5], v[20:21]
	v_add_f64_e32 v[6:7], v[6:7], v[10:11]
	v_add_f64_e32 v[8:9], v[8:9], v[36:37]
	s_delay_alu instid0(VALU_DEP_4) | instskip(NEXT) | instid1(VALU_DEP_4)
	v_fma_f64 v[4:5], v[4:5], v[18:19], v[12:13]
	v_fma_f64 v[2:3], v[2:3], v[18:19], -v[20:21]
	s_delay_alu instid0(VALU_DEP_4) | instskip(NEXT) | instid1(VALU_DEP_4)
	v_add_f64_e32 v[6:7], v[6:7], v[14:15]
	v_add_f64_e32 v[8:9], v[8:9], v[28:29]
	s_delay_alu instid0(VALU_DEP_2) | instskip(NEXT) | instid1(VALU_DEP_2)
	v_add_f64_e32 v[2:3], v[6:7], v[2:3]
	v_add_f64_e32 v[4:5], v[8:9], v[4:5]
	s_wait_loadcnt 0x0
	s_delay_alu instid0(VALU_DEP_2) | instskip(NEXT) | instid1(VALU_DEP_2)
	v_add_f64_e64 v[2:3], v[22:23], -v[2:3]
	v_add_f64_e64 v[4:5], v[24:25], -v[4:5]
	scratch_store_b128 off, v[2:5], off offset:704
	v_cmpx_lt_u32_e32 42, v0
	s_cbranch_execz .LBB112_223
; %bb.222:
	scratch_load_b128 v[5:8], off, s19
	v_dual_mov_b32 v2, v1 :: v_dual_mov_b32 v3, v1
	v_mov_b32_e32 v4, v1
	scratch_store_b128 off, v[1:4], off offset:688
	s_wait_loadcnt 0x0
	ds_store_b128 v140, v[5:8]
.LBB112_223:
	s_wait_alu 0xfffe
	s_or_b32 exec_lo, exec_lo, s0
	s_wait_storecnt_dscnt 0x0
	s_barrier_signal -1
	s_barrier_wait -1
	global_inv scope:SCOPE_SE
	s_clause 0x5
	scratch_load_b128 v[2:5], off, off offset:704
	scratch_load_b128 v[6:9], off, off offset:720
	;; [unrolled: 1-line block ×6, first 2 shown]
	ds_load_b128 v[26:29], v1 offset:1472
	ds_load_b128 v[34:37], v1 offset:1488
	scratch_load_b128 v[30:33], off, off offset:688
	s_mov_b32 s0, exec_lo
	s_wait_loadcnt_dscnt 0x601
	v_mul_f64_e32 v[38:39], v[28:29], v[4:5]
	v_mul_f64_e32 v[4:5], v[26:27], v[4:5]
	s_wait_loadcnt_dscnt 0x500
	v_mul_f64_e32 v[40:41], v[34:35], v[8:9]
	v_mul_f64_e32 v[8:9], v[36:37], v[8:9]
	s_delay_alu instid0(VALU_DEP_4) | instskip(NEXT) | instid1(VALU_DEP_4)
	v_fma_f64 v[38:39], v[26:27], v[2:3], -v[38:39]
	v_fma_f64 v[141:142], v[28:29], v[2:3], v[4:5]
	ds_load_b128 v[2:5], v1 offset:1504
	ds_load_b128 v[26:29], v1 offset:1520
	v_fma_f64 v[36:37], v[36:37], v[6:7], v[40:41]
	v_fma_f64 v[6:7], v[34:35], v[6:7], -v[8:9]
	s_wait_loadcnt_dscnt 0x401
	v_mul_f64_e32 v[143:144], v[2:3], v[12:13]
	v_mul_f64_e32 v[12:13], v[4:5], v[12:13]
	v_add_f64_e32 v[8:9], 0, v[38:39]
	v_add_f64_e32 v[34:35], 0, v[141:142]
	s_wait_loadcnt_dscnt 0x300
	v_mul_f64_e32 v[38:39], v[26:27], v[16:17]
	v_mul_f64_e32 v[16:17], v[28:29], v[16:17]
	v_fma_f64 v[40:41], v[4:5], v[10:11], v[143:144]
	v_fma_f64 v[10:11], v[2:3], v[10:11], -v[12:13]
	v_add_f64_e32 v[12:13], v[8:9], v[6:7]
	v_add_f64_e32 v[34:35], v[34:35], v[36:37]
	ds_load_b128 v[2:5], v1 offset:1536
	ds_load_b128 v[6:9], v1 offset:1552
	v_fma_f64 v[28:29], v[28:29], v[14:15], v[38:39]
	v_fma_f64 v[14:15], v[26:27], v[14:15], -v[16:17]
	s_wait_loadcnt_dscnt 0x201
	v_mul_f64_e32 v[36:37], v[2:3], v[20:21]
	v_mul_f64_e32 v[20:21], v[4:5], v[20:21]
	s_wait_loadcnt_dscnt 0x100
	v_mul_f64_e32 v[16:17], v[6:7], v[24:25]
	v_mul_f64_e32 v[24:25], v[8:9], v[24:25]
	v_add_f64_e32 v[10:11], v[12:13], v[10:11]
	v_add_f64_e32 v[12:13], v[34:35], v[40:41]
	v_fma_f64 v[4:5], v[4:5], v[18:19], v[36:37]
	v_fma_f64 v[1:2], v[2:3], v[18:19], -v[20:21]
	v_fma_f64 v[8:9], v[8:9], v[22:23], v[16:17]
	v_fma_f64 v[6:7], v[6:7], v[22:23], -v[24:25]
	v_add_f64_e32 v[10:11], v[10:11], v[14:15]
	v_add_f64_e32 v[12:13], v[12:13], v[28:29]
	s_delay_alu instid0(VALU_DEP_2) | instskip(NEXT) | instid1(VALU_DEP_2)
	v_add_f64_e32 v[1:2], v[10:11], v[1:2]
	v_add_f64_e32 v[3:4], v[12:13], v[4:5]
	s_delay_alu instid0(VALU_DEP_2) | instskip(NEXT) | instid1(VALU_DEP_2)
	v_add_f64_e32 v[1:2], v[1:2], v[6:7]
	v_add_f64_e32 v[3:4], v[3:4], v[8:9]
	s_wait_loadcnt 0x0
	s_delay_alu instid0(VALU_DEP_2) | instskip(NEXT) | instid1(VALU_DEP_2)
	v_add_f64_e64 v[1:2], v[30:31], -v[1:2]
	v_add_f64_e64 v[3:4], v[32:33], -v[3:4]
	scratch_store_b128 off, v[1:4], off offset:688
	v_cmpx_lt_u32_e32 41, v0
	s_cbranch_execz .LBB112_225
; %bb.224:
	scratch_load_b128 v[1:4], off, s20
	v_mov_b32_e32 v5, 0
	s_delay_alu instid0(VALU_DEP_1)
	v_dual_mov_b32 v6, v5 :: v_dual_mov_b32 v7, v5
	v_mov_b32_e32 v8, v5
	scratch_store_b128 off, v[5:8], off offset:672
	s_wait_loadcnt 0x0
	ds_store_b128 v140, v[1:4]
.LBB112_225:
	s_wait_alu 0xfffe
	s_or_b32 exec_lo, exec_lo, s0
	s_wait_storecnt_dscnt 0x0
	s_barrier_signal -1
	s_barrier_wait -1
	global_inv scope:SCOPE_SE
	s_clause 0x6
	scratch_load_b128 v[2:5], off, off offset:688
	scratch_load_b128 v[6:9], off, off offset:704
	;; [unrolled: 1-line block ×7, first 2 shown]
	v_mov_b32_e32 v1, 0
	scratch_load_b128 v[34:37], off, off offset:672
	s_mov_b32 s0, exec_lo
	ds_load_b128 v[30:33], v1 offset:1456
	ds_load_b128 v[38:41], v1 offset:1472
	s_wait_loadcnt_dscnt 0x701
	v_mul_f64_e32 v[141:142], v[32:33], v[4:5]
	v_mul_f64_e32 v[4:5], v[30:31], v[4:5]
	s_wait_loadcnt_dscnt 0x600
	v_mul_f64_e32 v[143:144], v[38:39], v[8:9]
	v_mul_f64_e32 v[8:9], v[40:41], v[8:9]
	s_delay_alu instid0(VALU_DEP_4) | instskip(NEXT) | instid1(VALU_DEP_4)
	v_fma_f64 v[141:142], v[30:31], v[2:3], -v[141:142]
	v_fma_f64 v[145:146], v[32:33], v[2:3], v[4:5]
	ds_load_b128 v[2:5], v1 offset:1488
	ds_load_b128 v[30:33], v1 offset:1504
	v_fma_f64 v[40:41], v[40:41], v[6:7], v[143:144]
	v_fma_f64 v[6:7], v[38:39], v[6:7], -v[8:9]
	s_wait_loadcnt_dscnt 0x501
	v_mul_f64_e32 v[147:148], v[2:3], v[12:13]
	v_mul_f64_e32 v[12:13], v[4:5], v[12:13]
	v_add_f64_e32 v[8:9], 0, v[141:142]
	v_add_f64_e32 v[38:39], 0, v[145:146]
	s_wait_loadcnt_dscnt 0x400
	v_mul_f64_e32 v[141:142], v[30:31], v[16:17]
	v_mul_f64_e32 v[16:17], v[32:33], v[16:17]
	v_fma_f64 v[143:144], v[4:5], v[10:11], v[147:148]
	v_fma_f64 v[10:11], v[2:3], v[10:11], -v[12:13]
	v_add_f64_e32 v[12:13], v[8:9], v[6:7]
	v_add_f64_e32 v[38:39], v[38:39], v[40:41]
	ds_load_b128 v[2:5], v1 offset:1520
	ds_load_b128 v[6:9], v1 offset:1536
	v_fma_f64 v[32:33], v[32:33], v[14:15], v[141:142]
	v_fma_f64 v[14:15], v[30:31], v[14:15], -v[16:17]
	s_wait_loadcnt_dscnt 0x301
	v_mul_f64_e32 v[40:41], v[2:3], v[20:21]
	v_mul_f64_e32 v[20:21], v[4:5], v[20:21]
	s_wait_loadcnt_dscnt 0x200
	v_mul_f64_e32 v[16:17], v[6:7], v[24:25]
	v_mul_f64_e32 v[24:25], v[8:9], v[24:25]
	v_add_f64_e32 v[10:11], v[12:13], v[10:11]
	v_add_f64_e32 v[12:13], v[38:39], v[143:144]
	v_fma_f64 v[30:31], v[4:5], v[18:19], v[40:41]
	v_fma_f64 v[18:19], v[2:3], v[18:19], -v[20:21]
	ds_load_b128 v[2:5], v1 offset:1552
	v_fma_f64 v[8:9], v[8:9], v[22:23], v[16:17]
	v_fma_f64 v[6:7], v[6:7], v[22:23], -v[24:25]
	v_add_f64_e32 v[10:11], v[10:11], v[14:15]
	v_add_f64_e32 v[12:13], v[12:13], v[32:33]
	s_wait_loadcnt_dscnt 0x100
	v_mul_f64_e32 v[14:15], v[2:3], v[28:29]
	v_mul_f64_e32 v[20:21], v[4:5], v[28:29]
	s_delay_alu instid0(VALU_DEP_4) | instskip(NEXT) | instid1(VALU_DEP_4)
	v_add_f64_e32 v[10:11], v[10:11], v[18:19]
	v_add_f64_e32 v[12:13], v[12:13], v[30:31]
	s_delay_alu instid0(VALU_DEP_4) | instskip(NEXT) | instid1(VALU_DEP_4)
	v_fma_f64 v[4:5], v[4:5], v[26:27], v[14:15]
	v_fma_f64 v[2:3], v[2:3], v[26:27], -v[20:21]
	s_delay_alu instid0(VALU_DEP_4) | instskip(NEXT) | instid1(VALU_DEP_4)
	v_add_f64_e32 v[6:7], v[10:11], v[6:7]
	v_add_f64_e32 v[8:9], v[12:13], v[8:9]
	s_delay_alu instid0(VALU_DEP_2) | instskip(NEXT) | instid1(VALU_DEP_2)
	v_add_f64_e32 v[2:3], v[6:7], v[2:3]
	v_add_f64_e32 v[4:5], v[8:9], v[4:5]
	s_wait_loadcnt 0x0
	s_delay_alu instid0(VALU_DEP_2) | instskip(NEXT) | instid1(VALU_DEP_2)
	v_add_f64_e64 v[2:3], v[34:35], -v[2:3]
	v_add_f64_e64 v[4:5], v[36:37], -v[4:5]
	scratch_store_b128 off, v[2:5], off offset:672
	v_cmpx_lt_u32_e32 40, v0
	s_cbranch_execz .LBB112_227
; %bb.226:
	scratch_load_b128 v[5:8], off, s21
	v_dual_mov_b32 v2, v1 :: v_dual_mov_b32 v3, v1
	v_mov_b32_e32 v4, v1
	scratch_store_b128 off, v[1:4], off offset:656
	s_wait_loadcnt 0x0
	ds_store_b128 v140, v[5:8]
.LBB112_227:
	s_wait_alu 0xfffe
	s_or_b32 exec_lo, exec_lo, s0
	s_wait_storecnt_dscnt 0x0
	s_barrier_signal -1
	s_barrier_wait -1
	global_inv scope:SCOPE_SE
	s_clause 0x7
	scratch_load_b128 v[2:5], off, off offset:672
	scratch_load_b128 v[6:9], off, off offset:688
	scratch_load_b128 v[10:13], off, off offset:704
	scratch_load_b128 v[14:17], off, off offset:720
	scratch_load_b128 v[18:21], off, off offset:736
	scratch_load_b128 v[22:25], off, off offset:752
	scratch_load_b128 v[26:29], off, off offset:768
	scratch_load_b128 v[30:33], off, off offset:784
	ds_load_b128 v[34:37], v1 offset:1440
	ds_load_b128 v[38:41], v1 offset:1456
	scratch_load_b128 v[141:144], off, off offset:656
	s_mov_b32 s0, exec_lo
	s_wait_loadcnt_dscnt 0x801
	v_mul_f64_e32 v[145:146], v[36:37], v[4:5]
	v_mul_f64_e32 v[4:5], v[34:35], v[4:5]
	s_wait_loadcnt_dscnt 0x700
	v_mul_f64_e32 v[147:148], v[38:39], v[8:9]
	v_mul_f64_e32 v[8:9], v[40:41], v[8:9]
	s_delay_alu instid0(VALU_DEP_4) | instskip(NEXT) | instid1(VALU_DEP_4)
	v_fma_f64 v[145:146], v[34:35], v[2:3], -v[145:146]
	v_fma_f64 v[149:150], v[36:37], v[2:3], v[4:5]
	ds_load_b128 v[2:5], v1 offset:1472
	ds_load_b128 v[34:37], v1 offset:1488
	v_fma_f64 v[40:41], v[40:41], v[6:7], v[147:148]
	v_fma_f64 v[6:7], v[38:39], v[6:7], -v[8:9]
	s_wait_loadcnt_dscnt 0x601
	v_mul_f64_e32 v[151:152], v[2:3], v[12:13]
	v_mul_f64_e32 v[12:13], v[4:5], v[12:13]
	v_add_f64_e32 v[8:9], 0, v[145:146]
	v_add_f64_e32 v[38:39], 0, v[149:150]
	s_wait_loadcnt_dscnt 0x500
	v_mul_f64_e32 v[145:146], v[34:35], v[16:17]
	v_mul_f64_e32 v[16:17], v[36:37], v[16:17]
	v_fma_f64 v[147:148], v[4:5], v[10:11], v[151:152]
	v_fma_f64 v[10:11], v[2:3], v[10:11], -v[12:13]
	v_add_f64_e32 v[12:13], v[8:9], v[6:7]
	v_add_f64_e32 v[38:39], v[38:39], v[40:41]
	ds_load_b128 v[2:5], v1 offset:1504
	ds_load_b128 v[6:9], v1 offset:1520
	v_fma_f64 v[36:37], v[36:37], v[14:15], v[145:146]
	v_fma_f64 v[14:15], v[34:35], v[14:15], -v[16:17]
	s_wait_loadcnt_dscnt 0x401
	v_mul_f64_e32 v[40:41], v[2:3], v[20:21]
	v_mul_f64_e32 v[20:21], v[4:5], v[20:21]
	s_wait_loadcnt_dscnt 0x300
	v_mul_f64_e32 v[16:17], v[6:7], v[24:25]
	v_mul_f64_e32 v[24:25], v[8:9], v[24:25]
	v_add_f64_e32 v[10:11], v[12:13], v[10:11]
	v_add_f64_e32 v[12:13], v[38:39], v[147:148]
	v_fma_f64 v[34:35], v[4:5], v[18:19], v[40:41]
	v_fma_f64 v[18:19], v[2:3], v[18:19], -v[20:21]
	v_fma_f64 v[8:9], v[8:9], v[22:23], v[16:17]
	v_fma_f64 v[6:7], v[6:7], v[22:23], -v[24:25]
	v_add_f64_e32 v[14:15], v[10:11], v[14:15]
	v_add_f64_e32 v[20:21], v[12:13], v[36:37]
	ds_load_b128 v[2:5], v1 offset:1536
	ds_load_b128 v[10:13], v1 offset:1552
	s_wait_loadcnt_dscnt 0x201
	v_mul_f64_e32 v[36:37], v[2:3], v[28:29]
	v_mul_f64_e32 v[28:29], v[4:5], v[28:29]
	v_add_f64_e32 v[14:15], v[14:15], v[18:19]
	v_add_f64_e32 v[16:17], v[20:21], v[34:35]
	s_wait_loadcnt_dscnt 0x100
	v_mul_f64_e32 v[18:19], v[10:11], v[32:33]
	v_mul_f64_e32 v[20:21], v[12:13], v[32:33]
	v_fma_f64 v[4:5], v[4:5], v[26:27], v[36:37]
	v_fma_f64 v[1:2], v[2:3], v[26:27], -v[28:29]
	v_add_f64_e32 v[6:7], v[14:15], v[6:7]
	v_add_f64_e32 v[8:9], v[16:17], v[8:9]
	v_fma_f64 v[12:13], v[12:13], v[30:31], v[18:19]
	v_fma_f64 v[10:11], v[10:11], v[30:31], -v[20:21]
	s_delay_alu instid0(VALU_DEP_4) | instskip(NEXT) | instid1(VALU_DEP_4)
	v_add_f64_e32 v[1:2], v[6:7], v[1:2]
	v_add_f64_e32 v[3:4], v[8:9], v[4:5]
	s_delay_alu instid0(VALU_DEP_2) | instskip(NEXT) | instid1(VALU_DEP_2)
	v_add_f64_e32 v[1:2], v[1:2], v[10:11]
	v_add_f64_e32 v[3:4], v[3:4], v[12:13]
	s_wait_loadcnt 0x0
	s_delay_alu instid0(VALU_DEP_2) | instskip(NEXT) | instid1(VALU_DEP_2)
	v_add_f64_e64 v[1:2], v[141:142], -v[1:2]
	v_add_f64_e64 v[3:4], v[143:144], -v[3:4]
	scratch_store_b128 off, v[1:4], off offset:656
	v_cmpx_lt_u32_e32 39, v0
	s_cbranch_execz .LBB112_229
; %bb.228:
	scratch_load_b128 v[1:4], off, s22
	v_mov_b32_e32 v5, 0
	s_delay_alu instid0(VALU_DEP_1)
	v_dual_mov_b32 v6, v5 :: v_dual_mov_b32 v7, v5
	v_mov_b32_e32 v8, v5
	scratch_store_b128 off, v[5:8], off offset:640
	s_wait_loadcnt 0x0
	ds_store_b128 v140, v[1:4]
.LBB112_229:
	s_wait_alu 0xfffe
	s_or_b32 exec_lo, exec_lo, s0
	s_wait_storecnt_dscnt 0x0
	s_barrier_signal -1
	s_barrier_wait -1
	global_inv scope:SCOPE_SE
	s_clause 0x7
	scratch_load_b128 v[2:5], off, off offset:656
	scratch_load_b128 v[6:9], off, off offset:672
	;; [unrolled: 1-line block ×8, first 2 shown]
	v_mov_b32_e32 v1, 0
	s_mov_b32 s0, exec_lo
	ds_load_b128 v[34:37], v1 offset:1424
	s_clause 0x1
	scratch_load_b128 v[38:41], off, off offset:784
	scratch_load_b128 v[141:144], off, off offset:640
	ds_load_b128 v[145:148], v1 offset:1440
	s_wait_loadcnt_dscnt 0x901
	v_mul_f64_e32 v[149:150], v[36:37], v[4:5]
	v_mul_f64_e32 v[4:5], v[34:35], v[4:5]
	s_wait_loadcnt_dscnt 0x800
	v_mul_f64_e32 v[151:152], v[145:146], v[8:9]
	v_mul_f64_e32 v[8:9], v[147:148], v[8:9]
	s_delay_alu instid0(VALU_DEP_4) | instskip(NEXT) | instid1(VALU_DEP_4)
	v_fma_f64 v[149:150], v[34:35], v[2:3], -v[149:150]
	v_fma_f64 v[153:154], v[36:37], v[2:3], v[4:5]
	ds_load_b128 v[2:5], v1 offset:1456
	ds_load_b128 v[34:37], v1 offset:1472
	v_fma_f64 v[147:148], v[147:148], v[6:7], v[151:152]
	v_fma_f64 v[6:7], v[145:146], v[6:7], -v[8:9]
	s_wait_loadcnt_dscnt 0x701
	v_mul_f64_e32 v[155:156], v[2:3], v[12:13]
	v_mul_f64_e32 v[12:13], v[4:5], v[12:13]
	v_add_f64_e32 v[8:9], 0, v[149:150]
	v_add_f64_e32 v[145:146], 0, v[153:154]
	s_wait_loadcnt_dscnt 0x600
	v_mul_f64_e32 v[149:150], v[34:35], v[16:17]
	v_mul_f64_e32 v[16:17], v[36:37], v[16:17]
	v_fma_f64 v[151:152], v[4:5], v[10:11], v[155:156]
	v_fma_f64 v[10:11], v[2:3], v[10:11], -v[12:13]
	v_add_f64_e32 v[12:13], v[8:9], v[6:7]
	v_add_f64_e32 v[145:146], v[145:146], v[147:148]
	ds_load_b128 v[2:5], v1 offset:1488
	ds_load_b128 v[6:9], v1 offset:1504
	v_fma_f64 v[36:37], v[36:37], v[14:15], v[149:150]
	v_fma_f64 v[14:15], v[34:35], v[14:15], -v[16:17]
	s_wait_loadcnt_dscnt 0x501
	v_mul_f64_e32 v[147:148], v[2:3], v[20:21]
	v_mul_f64_e32 v[20:21], v[4:5], v[20:21]
	s_wait_loadcnt_dscnt 0x400
	v_mul_f64_e32 v[16:17], v[6:7], v[24:25]
	v_mul_f64_e32 v[24:25], v[8:9], v[24:25]
	v_add_f64_e32 v[10:11], v[12:13], v[10:11]
	v_add_f64_e32 v[12:13], v[145:146], v[151:152]
	v_fma_f64 v[34:35], v[4:5], v[18:19], v[147:148]
	v_fma_f64 v[18:19], v[2:3], v[18:19], -v[20:21]
	v_fma_f64 v[8:9], v[8:9], v[22:23], v[16:17]
	v_fma_f64 v[6:7], v[6:7], v[22:23], -v[24:25]
	v_add_f64_e32 v[14:15], v[10:11], v[14:15]
	v_add_f64_e32 v[20:21], v[12:13], v[36:37]
	ds_load_b128 v[2:5], v1 offset:1520
	ds_load_b128 v[10:13], v1 offset:1536
	s_wait_loadcnt_dscnt 0x301
	v_mul_f64_e32 v[36:37], v[2:3], v[28:29]
	v_mul_f64_e32 v[28:29], v[4:5], v[28:29]
	v_add_f64_e32 v[14:15], v[14:15], v[18:19]
	v_add_f64_e32 v[16:17], v[20:21], v[34:35]
	s_wait_loadcnt_dscnt 0x200
	v_mul_f64_e32 v[18:19], v[10:11], v[32:33]
	v_mul_f64_e32 v[20:21], v[12:13], v[32:33]
	v_fma_f64 v[22:23], v[4:5], v[26:27], v[36:37]
	v_fma_f64 v[24:25], v[2:3], v[26:27], -v[28:29]
	ds_load_b128 v[2:5], v1 offset:1552
	v_add_f64_e32 v[6:7], v[14:15], v[6:7]
	v_add_f64_e32 v[8:9], v[16:17], v[8:9]
	v_fma_f64 v[12:13], v[12:13], v[30:31], v[18:19]
	v_fma_f64 v[10:11], v[10:11], v[30:31], -v[20:21]
	s_wait_loadcnt_dscnt 0x100
	v_mul_f64_e32 v[14:15], v[2:3], v[40:41]
	v_mul_f64_e32 v[16:17], v[4:5], v[40:41]
	v_add_f64_e32 v[6:7], v[6:7], v[24:25]
	v_add_f64_e32 v[8:9], v[8:9], v[22:23]
	s_delay_alu instid0(VALU_DEP_4) | instskip(NEXT) | instid1(VALU_DEP_4)
	v_fma_f64 v[4:5], v[4:5], v[38:39], v[14:15]
	v_fma_f64 v[2:3], v[2:3], v[38:39], -v[16:17]
	s_delay_alu instid0(VALU_DEP_4) | instskip(NEXT) | instid1(VALU_DEP_4)
	v_add_f64_e32 v[6:7], v[6:7], v[10:11]
	v_add_f64_e32 v[8:9], v[8:9], v[12:13]
	s_delay_alu instid0(VALU_DEP_2) | instskip(NEXT) | instid1(VALU_DEP_2)
	v_add_f64_e32 v[2:3], v[6:7], v[2:3]
	v_add_f64_e32 v[4:5], v[8:9], v[4:5]
	s_wait_loadcnt 0x0
	s_delay_alu instid0(VALU_DEP_2) | instskip(NEXT) | instid1(VALU_DEP_2)
	v_add_f64_e64 v[2:3], v[141:142], -v[2:3]
	v_add_f64_e64 v[4:5], v[143:144], -v[4:5]
	scratch_store_b128 off, v[2:5], off offset:640
	v_cmpx_lt_u32_e32 38, v0
	s_cbranch_execz .LBB112_231
; %bb.230:
	scratch_load_b128 v[5:8], off, s23
	v_dual_mov_b32 v2, v1 :: v_dual_mov_b32 v3, v1
	v_mov_b32_e32 v4, v1
	scratch_store_b128 off, v[1:4], off offset:624
	s_wait_loadcnt 0x0
	ds_store_b128 v140, v[5:8]
.LBB112_231:
	s_wait_alu 0xfffe
	s_or_b32 exec_lo, exec_lo, s0
	s_wait_storecnt_dscnt 0x0
	s_barrier_signal -1
	s_barrier_wait -1
	global_inv scope:SCOPE_SE
	s_clause 0x8
	scratch_load_b128 v[2:5], off, off offset:640
	scratch_load_b128 v[6:9], off, off offset:656
	;; [unrolled: 1-line block ×9, first 2 shown]
	ds_load_b128 v[38:41], v1 offset:1408
	ds_load_b128 v[141:144], v1 offset:1424
	s_clause 0x1
	scratch_load_b128 v[145:148], off, off offset:624
	scratch_load_b128 v[149:152], off, off offset:784
	s_mov_b32 s0, exec_lo
	s_wait_loadcnt_dscnt 0xa01
	v_mul_f64_e32 v[153:154], v[40:41], v[4:5]
	v_mul_f64_e32 v[4:5], v[38:39], v[4:5]
	s_wait_loadcnt_dscnt 0x900
	v_mul_f64_e32 v[155:156], v[141:142], v[8:9]
	v_mul_f64_e32 v[8:9], v[143:144], v[8:9]
	s_delay_alu instid0(VALU_DEP_4) | instskip(NEXT) | instid1(VALU_DEP_4)
	v_fma_f64 v[153:154], v[38:39], v[2:3], -v[153:154]
	v_fma_f64 v[157:158], v[40:41], v[2:3], v[4:5]
	ds_load_b128 v[2:5], v1 offset:1440
	ds_load_b128 v[38:41], v1 offset:1456
	v_fma_f64 v[143:144], v[143:144], v[6:7], v[155:156]
	v_fma_f64 v[6:7], v[141:142], v[6:7], -v[8:9]
	s_wait_loadcnt_dscnt 0x801
	v_mul_f64_e32 v[159:160], v[2:3], v[12:13]
	v_mul_f64_e32 v[12:13], v[4:5], v[12:13]
	v_add_f64_e32 v[8:9], 0, v[153:154]
	v_add_f64_e32 v[141:142], 0, v[157:158]
	s_wait_loadcnt_dscnt 0x700
	v_mul_f64_e32 v[153:154], v[38:39], v[16:17]
	v_mul_f64_e32 v[16:17], v[40:41], v[16:17]
	v_fma_f64 v[155:156], v[4:5], v[10:11], v[159:160]
	v_fma_f64 v[10:11], v[2:3], v[10:11], -v[12:13]
	v_add_f64_e32 v[12:13], v[8:9], v[6:7]
	v_add_f64_e32 v[141:142], v[141:142], v[143:144]
	ds_load_b128 v[2:5], v1 offset:1472
	ds_load_b128 v[6:9], v1 offset:1488
	v_fma_f64 v[40:41], v[40:41], v[14:15], v[153:154]
	v_fma_f64 v[14:15], v[38:39], v[14:15], -v[16:17]
	s_wait_loadcnt_dscnt 0x601
	v_mul_f64_e32 v[143:144], v[2:3], v[20:21]
	v_mul_f64_e32 v[20:21], v[4:5], v[20:21]
	s_wait_loadcnt_dscnt 0x500
	v_mul_f64_e32 v[16:17], v[6:7], v[24:25]
	v_mul_f64_e32 v[24:25], v[8:9], v[24:25]
	v_add_f64_e32 v[10:11], v[12:13], v[10:11]
	v_add_f64_e32 v[12:13], v[141:142], v[155:156]
	v_fma_f64 v[38:39], v[4:5], v[18:19], v[143:144]
	v_fma_f64 v[18:19], v[2:3], v[18:19], -v[20:21]
	v_fma_f64 v[8:9], v[8:9], v[22:23], v[16:17]
	v_fma_f64 v[6:7], v[6:7], v[22:23], -v[24:25]
	v_add_f64_e32 v[14:15], v[10:11], v[14:15]
	v_add_f64_e32 v[20:21], v[12:13], v[40:41]
	ds_load_b128 v[2:5], v1 offset:1504
	ds_load_b128 v[10:13], v1 offset:1520
	s_wait_loadcnt_dscnt 0x401
	v_mul_f64_e32 v[40:41], v[2:3], v[28:29]
	v_mul_f64_e32 v[28:29], v[4:5], v[28:29]
	v_add_f64_e32 v[14:15], v[14:15], v[18:19]
	v_add_f64_e32 v[16:17], v[20:21], v[38:39]
	s_wait_loadcnt_dscnt 0x300
	v_mul_f64_e32 v[18:19], v[10:11], v[32:33]
	v_mul_f64_e32 v[20:21], v[12:13], v[32:33]
	v_fma_f64 v[22:23], v[4:5], v[26:27], v[40:41]
	v_fma_f64 v[24:25], v[2:3], v[26:27], -v[28:29]
	v_add_f64_e32 v[14:15], v[14:15], v[6:7]
	v_add_f64_e32 v[16:17], v[16:17], v[8:9]
	ds_load_b128 v[2:5], v1 offset:1536
	ds_load_b128 v[6:9], v1 offset:1552
	v_fma_f64 v[12:13], v[12:13], v[30:31], v[18:19]
	v_fma_f64 v[10:11], v[10:11], v[30:31], -v[20:21]
	s_wait_loadcnt_dscnt 0x201
	v_mul_f64_e32 v[26:27], v[2:3], v[36:37]
	v_mul_f64_e32 v[28:29], v[4:5], v[36:37]
	s_wait_loadcnt_dscnt 0x0
	v_mul_f64_e32 v[18:19], v[6:7], v[151:152]
	v_mul_f64_e32 v[20:21], v[8:9], v[151:152]
	v_add_f64_e32 v[14:15], v[14:15], v[24:25]
	v_add_f64_e32 v[16:17], v[16:17], v[22:23]
	v_fma_f64 v[4:5], v[4:5], v[34:35], v[26:27]
	v_fma_f64 v[1:2], v[2:3], v[34:35], -v[28:29]
	v_fma_f64 v[8:9], v[8:9], v[149:150], v[18:19]
	v_fma_f64 v[6:7], v[6:7], v[149:150], -v[20:21]
	v_add_f64_e32 v[10:11], v[14:15], v[10:11]
	v_add_f64_e32 v[12:13], v[16:17], v[12:13]
	s_delay_alu instid0(VALU_DEP_2) | instskip(NEXT) | instid1(VALU_DEP_2)
	v_add_f64_e32 v[1:2], v[10:11], v[1:2]
	v_add_f64_e32 v[3:4], v[12:13], v[4:5]
	s_delay_alu instid0(VALU_DEP_2) | instskip(NEXT) | instid1(VALU_DEP_2)
	;; [unrolled: 3-line block ×3, first 2 shown]
	v_add_f64_e64 v[1:2], v[145:146], -v[1:2]
	v_add_f64_e64 v[3:4], v[147:148], -v[3:4]
	scratch_store_b128 off, v[1:4], off offset:624
	v_cmpx_lt_u32_e32 37, v0
	s_cbranch_execz .LBB112_233
; %bb.232:
	scratch_load_b128 v[1:4], off, s24
	v_mov_b32_e32 v5, 0
	s_delay_alu instid0(VALU_DEP_1)
	v_dual_mov_b32 v6, v5 :: v_dual_mov_b32 v7, v5
	v_mov_b32_e32 v8, v5
	scratch_store_b128 off, v[5:8], off offset:608
	s_wait_loadcnt 0x0
	ds_store_b128 v140, v[1:4]
.LBB112_233:
	s_wait_alu 0xfffe
	s_or_b32 exec_lo, exec_lo, s0
	s_wait_storecnt_dscnt 0x0
	s_barrier_signal -1
	s_barrier_wait -1
	global_inv scope:SCOPE_SE
	s_clause 0x7
	scratch_load_b128 v[2:5], off, off offset:624
	scratch_load_b128 v[6:9], off, off offset:640
	scratch_load_b128 v[10:13], off, off offset:656
	scratch_load_b128 v[14:17], off, off offset:672
	scratch_load_b128 v[18:21], off, off offset:688
	scratch_load_b128 v[22:25], off, off offset:704
	scratch_load_b128 v[26:29], off, off offset:720
	scratch_load_b128 v[30:33], off, off offset:736
	v_mov_b32_e32 v1, 0
	s_mov_b32 s0, exec_lo
	ds_load_b128 v[34:37], v1 offset:1392
	s_clause 0x1
	scratch_load_b128 v[38:41], off, off offset:752
	scratch_load_b128 v[141:144], off, off offset:608
	ds_load_b128 v[145:148], v1 offset:1408
	scratch_load_b128 v[149:152], off, off offset:768
	s_wait_loadcnt_dscnt 0xa01
	v_mul_f64_e32 v[153:154], v[36:37], v[4:5]
	v_mul_f64_e32 v[4:5], v[34:35], v[4:5]
	s_delay_alu instid0(VALU_DEP_2) | instskip(NEXT) | instid1(VALU_DEP_2)
	v_fma_f64 v[159:160], v[34:35], v[2:3], -v[153:154]
	v_fma_f64 v[161:162], v[36:37], v[2:3], v[4:5]
	ds_load_b128 v[2:5], v1 offset:1424
	s_wait_loadcnt_dscnt 0x901
	v_mul_f64_e32 v[157:158], v[145:146], v[8:9]
	v_mul_f64_e32 v[8:9], v[147:148], v[8:9]
	scratch_load_b128 v[34:37], off, off offset:784
	ds_load_b128 v[153:156], v1 offset:1440
	s_wait_loadcnt_dscnt 0x901
	v_mul_f64_e32 v[163:164], v[2:3], v[12:13]
	v_mul_f64_e32 v[12:13], v[4:5], v[12:13]
	v_fma_f64 v[147:148], v[147:148], v[6:7], v[157:158]
	v_fma_f64 v[6:7], v[145:146], v[6:7], -v[8:9]
	v_add_f64_e32 v[8:9], 0, v[159:160]
	v_add_f64_e32 v[145:146], 0, v[161:162]
	s_wait_loadcnt_dscnt 0x800
	v_mul_f64_e32 v[157:158], v[153:154], v[16:17]
	v_mul_f64_e32 v[16:17], v[155:156], v[16:17]
	v_fma_f64 v[159:160], v[4:5], v[10:11], v[163:164]
	v_fma_f64 v[10:11], v[2:3], v[10:11], -v[12:13]
	v_add_f64_e32 v[12:13], v[8:9], v[6:7]
	v_add_f64_e32 v[145:146], v[145:146], v[147:148]
	ds_load_b128 v[2:5], v1 offset:1456
	ds_load_b128 v[6:9], v1 offset:1472
	v_fma_f64 v[155:156], v[155:156], v[14:15], v[157:158]
	v_fma_f64 v[14:15], v[153:154], v[14:15], -v[16:17]
	s_wait_loadcnt_dscnt 0x701
	v_mul_f64_e32 v[147:148], v[2:3], v[20:21]
	v_mul_f64_e32 v[20:21], v[4:5], v[20:21]
	s_wait_loadcnt_dscnt 0x600
	v_mul_f64_e32 v[16:17], v[6:7], v[24:25]
	v_mul_f64_e32 v[24:25], v[8:9], v[24:25]
	v_add_f64_e32 v[10:11], v[12:13], v[10:11]
	v_add_f64_e32 v[12:13], v[145:146], v[159:160]
	v_fma_f64 v[145:146], v[4:5], v[18:19], v[147:148]
	v_fma_f64 v[18:19], v[2:3], v[18:19], -v[20:21]
	v_fma_f64 v[8:9], v[8:9], v[22:23], v[16:17]
	v_fma_f64 v[6:7], v[6:7], v[22:23], -v[24:25]
	v_add_f64_e32 v[14:15], v[10:11], v[14:15]
	v_add_f64_e32 v[20:21], v[12:13], v[155:156]
	ds_load_b128 v[2:5], v1 offset:1488
	ds_load_b128 v[10:13], v1 offset:1504
	s_wait_loadcnt_dscnt 0x501
	v_mul_f64_e32 v[147:148], v[2:3], v[28:29]
	v_mul_f64_e32 v[28:29], v[4:5], v[28:29]
	v_add_f64_e32 v[14:15], v[14:15], v[18:19]
	v_add_f64_e32 v[16:17], v[20:21], v[145:146]
	s_wait_loadcnt_dscnt 0x400
	v_mul_f64_e32 v[18:19], v[10:11], v[32:33]
	v_mul_f64_e32 v[20:21], v[12:13], v[32:33]
	v_fma_f64 v[22:23], v[4:5], v[26:27], v[147:148]
	v_fma_f64 v[24:25], v[2:3], v[26:27], -v[28:29]
	v_add_f64_e32 v[14:15], v[14:15], v[6:7]
	v_add_f64_e32 v[16:17], v[16:17], v[8:9]
	ds_load_b128 v[2:5], v1 offset:1520
	ds_load_b128 v[6:9], v1 offset:1536
	v_fma_f64 v[12:13], v[12:13], v[30:31], v[18:19]
	v_fma_f64 v[10:11], v[10:11], v[30:31], -v[20:21]
	s_wait_loadcnt_dscnt 0x301
	v_mul_f64_e32 v[26:27], v[2:3], v[40:41]
	v_mul_f64_e32 v[28:29], v[4:5], v[40:41]
	s_wait_loadcnt_dscnt 0x100
	v_mul_f64_e32 v[18:19], v[6:7], v[151:152]
	v_mul_f64_e32 v[20:21], v[8:9], v[151:152]
	v_add_f64_e32 v[14:15], v[14:15], v[24:25]
	v_add_f64_e32 v[16:17], v[16:17], v[22:23]
	v_fma_f64 v[22:23], v[4:5], v[38:39], v[26:27]
	v_fma_f64 v[24:25], v[2:3], v[38:39], -v[28:29]
	ds_load_b128 v[2:5], v1 offset:1552
	v_fma_f64 v[8:9], v[8:9], v[149:150], v[18:19]
	v_fma_f64 v[6:7], v[6:7], v[149:150], -v[20:21]
	v_add_f64_e32 v[10:11], v[14:15], v[10:11]
	v_add_f64_e32 v[12:13], v[16:17], v[12:13]
	s_wait_loadcnt_dscnt 0x0
	v_mul_f64_e32 v[14:15], v[2:3], v[36:37]
	v_mul_f64_e32 v[16:17], v[4:5], v[36:37]
	s_delay_alu instid0(VALU_DEP_4) | instskip(NEXT) | instid1(VALU_DEP_4)
	v_add_f64_e32 v[10:11], v[10:11], v[24:25]
	v_add_f64_e32 v[12:13], v[12:13], v[22:23]
	s_delay_alu instid0(VALU_DEP_4) | instskip(NEXT) | instid1(VALU_DEP_4)
	v_fma_f64 v[4:5], v[4:5], v[34:35], v[14:15]
	v_fma_f64 v[2:3], v[2:3], v[34:35], -v[16:17]
	s_delay_alu instid0(VALU_DEP_4) | instskip(NEXT) | instid1(VALU_DEP_4)
	v_add_f64_e32 v[6:7], v[10:11], v[6:7]
	v_add_f64_e32 v[8:9], v[12:13], v[8:9]
	s_delay_alu instid0(VALU_DEP_2) | instskip(NEXT) | instid1(VALU_DEP_2)
	v_add_f64_e32 v[2:3], v[6:7], v[2:3]
	v_add_f64_e32 v[4:5], v[8:9], v[4:5]
	s_delay_alu instid0(VALU_DEP_2) | instskip(NEXT) | instid1(VALU_DEP_2)
	v_add_f64_e64 v[2:3], v[141:142], -v[2:3]
	v_add_f64_e64 v[4:5], v[143:144], -v[4:5]
	scratch_store_b128 off, v[2:5], off offset:608
	v_cmpx_lt_u32_e32 36, v0
	s_cbranch_execz .LBB112_235
; %bb.234:
	scratch_load_b128 v[5:8], off, s25
	v_dual_mov_b32 v2, v1 :: v_dual_mov_b32 v3, v1
	v_mov_b32_e32 v4, v1
	scratch_store_b128 off, v[1:4], off offset:592
	s_wait_loadcnt 0x0
	ds_store_b128 v140, v[5:8]
.LBB112_235:
	s_wait_alu 0xfffe
	s_or_b32 exec_lo, exec_lo, s0
	s_wait_storecnt_dscnt 0x0
	s_barrier_signal -1
	s_barrier_wait -1
	global_inv scope:SCOPE_SE
	s_clause 0x8
	scratch_load_b128 v[2:5], off, off offset:608
	scratch_load_b128 v[6:9], off, off offset:624
	;; [unrolled: 1-line block ×9, first 2 shown]
	ds_load_b128 v[38:41], v1 offset:1376
	ds_load_b128 v[141:144], v1 offset:1392
	s_clause 0x1
	scratch_load_b128 v[145:148], off, off offset:592
	scratch_load_b128 v[149:152], off, off offset:752
	s_mov_b32 s0, exec_lo
	s_wait_loadcnt_dscnt 0xa01
	v_mul_f64_e32 v[153:154], v[40:41], v[4:5]
	v_mul_f64_e32 v[4:5], v[38:39], v[4:5]
	s_wait_loadcnt_dscnt 0x900
	v_mul_f64_e32 v[157:158], v[141:142], v[8:9]
	v_mul_f64_e32 v[8:9], v[143:144], v[8:9]
	s_delay_alu instid0(VALU_DEP_4) | instskip(NEXT) | instid1(VALU_DEP_4)
	v_fma_f64 v[159:160], v[38:39], v[2:3], -v[153:154]
	v_fma_f64 v[161:162], v[40:41], v[2:3], v[4:5]
	ds_load_b128 v[2:5], v1 offset:1408
	ds_load_b128 v[153:156], v1 offset:1424
	scratch_load_b128 v[38:41], off, off offset:768
	v_fma_f64 v[143:144], v[143:144], v[6:7], v[157:158]
	v_fma_f64 v[141:142], v[141:142], v[6:7], -v[8:9]
	scratch_load_b128 v[6:9], off, off offset:784
	s_wait_loadcnt_dscnt 0xa01
	v_mul_f64_e32 v[163:164], v[2:3], v[12:13]
	v_mul_f64_e32 v[12:13], v[4:5], v[12:13]
	v_add_f64_e32 v[157:158], 0, v[159:160]
	v_add_f64_e32 v[159:160], 0, v[161:162]
	s_wait_loadcnt_dscnt 0x900
	v_mul_f64_e32 v[161:162], v[153:154], v[16:17]
	v_mul_f64_e32 v[16:17], v[155:156], v[16:17]
	v_fma_f64 v[163:164], v[4:5], v[10:11], v[163:164]
	v_fma_f64 v[165:166], v[2:3], v[10:11], -v[12:13]
	ds_load_b128 v[2:5], v1 offset:1440
	ds_load_b128 v[10:13], v1 offset:1456
	v_add_f64_e32 v[141:142], v[157:158], v[141:142]
	v_add_f64_e32 v[143:144], v[159:160], v[143:144]
	v_fma_f64 v[155:156], v[155:156], v[14:15], v[161:162]
	v_fma_f64 v[14:15], v[153:154], v[14:15], -v[16:17]
	s_wait_loadcnt_dscnt 0x801
	v_mul_f64_e32 v[157:158], v[2:3], v[20:21]
	v_mul_f64_e32 v[20:21], v[4:5], v[20:21]
	v_add_f64_e32 v[16:17], v[141:142], v[165:166]
	v_add_f64_e32 v[141:142], v[143:144], v[163:164]
	s_wait_loadcnt_dscnt 0x700
	v_mul_f64_e32 v[143:144], v[10:11], v[24:25]
	v_mul_f64_e32 v[24:25], v[12:13], v[24:25]
	v_fma_f64 v[153:154], v[4:5], v[18:19], v[157:158]
	v_fma_f64 v[18:19], v[2:3], v[18:19], -v[20:21]
	v_add_f64_e32 v[20:21], v[16:17], v[14:15]
	v_add_f64_e32 v[141:142], v[141:142], v[155:156]
	ds_load_b128 v[2:5], v1 offset:1472
	ds_load_b128 v[14:17], v1 offset:1488
	v_fma_f64 v[12:13], v[12:13], v[22:23], v[143:144]
	v_fma_f64 v[10:11], v[10:11], v[22:23], -v[24:25]
	s_wait_loadcnt_dscnt 0x601
	v_mul_f64_e32 v[155:156], v[2:3], v[28:29]
	v_mul_f64_e32 v[28:29], v[4:5], v[28:29]
	s_wait_loadcnt_dscnt 0x500
	v_mul_f64_e32 v[22:23], v[14:15], v[32:33]
	v_mul_f64_e32 v[24:25], v[16:17], v[32:33]
	v_add_f64_e32 v[18:19], v[20:21], v[18:19]
	v_add_f64_e32 v[20:21], v[141:142], v[153:154]
	v_fma_f64 v[32:33], v[4:5], v[26:27], v[155:156]
	v_fma_f64 v[26:27], v[2:3], v[26:27], -v[28:29]
	v_fma_f64 v[16:17], v[16:17], v[30:31], v[22:23]
	v_fma_f64 v[14:15], v[14:15], v[30:31], -v[24:25]
	v_add_f64_e32 v[18:19], v[18:19], v[10:11]
	v_add_f64_e32 v[20:21], v[20:21], v[12:13]
	ds_load_b128 v[2:5], v1 offset:1504
	ds_load_b128 v[10:13], v1 offset:1520
	s_wait_loadcnt_dscnt 0x401
	v_mul_f64_e32 v[28:29], v[2:3], v[36:37]
	v_mul_f64_e32 v[36:37], v[4:5], v[36:37]
	s_wait_loadcnt_dscnt 0x200
	v_mul_f64_e32 v[22:23], v[10:11], v[151:152]
	v_mul_f64_e32 v[24:25], v[12:13], v[151:152]
	v_add_f64_e32 v[18:19], v[18:19], v[26:27]
	v_add_f64_e32 v[20:21], v[20:21], v[32:33]
	v_fma_f64 v[26:27], v[4:5], v[34:35], v[28:29]
	v_fma_f64 v[28:29], v[2:3], v[34:35], -v[36:37]
	v_fma_f64 v[12:13], v[12:13], v[149:150], v[22:23]
	v_fma_f64 v[10:11], v[10:11], v[149:150], -v[24:25]
	v_add_f64_e32 v[18:19], v[18:19], v[14:15]
	v_add_f64_e32 v[20:21], v[20:21], v[16:17]
	ds_load_b128 v[2:5], v1 offset:1536
	ds_load_b128 v[14:17], v1 offset:1552
	s_wait_loadcnt_dscnt 0x101
	v_mul_f64_e32 v[30:31], v[2:3], v[40:41]
	v_mul_f64_e32 v[32:33], v[4:5], v[40:41]
	s_wait_loadcnt_dscnt 0x0
	v_mul_f64_e32 v[22:23], v[14:15], v[8:9]
	v_mul_f64_e32 v[8:9], v[16:17], v[8:9]
	v_add_f64_e32 v[18:19], v[18:19], v[28:29]
	v_add_f64_e32 v[20:21], v[20:21], v[26:27]
	v_fma_f64 v[4:5], v[4:5], v[38:39], v[30:31]
	v_fma_f64 v[1:2], v[2:3], v[38:39], -v[32:33]
	v_fma_f64 v[16:17], v[16:17], v[6:7], v[22:23]
	v_fma_f64 v[6:7], v[14:15], v[6:7], -v[8:9]
	v_add_f64_e32 v[10:11], v[18:19], v[10:11]
	v_add_f64_e32 v[12:13], v[20:21], v[12:13]
	s_delay_alu instid0(VALU_DEP_2) | instskip(NEXT) | instid1(VALU_DEP_2)
	v_add_f64_e32 v[1:2], v[10:11], v[1:2]
	v_add_f64_e32 v[3:4], v[12:13], v[4:5]
	s_delay_alu instid0(VALU_DEP_2) | instskip(NEXT) | instid1(VALU_DEP_2)
	;; [unrolled: 3-line block ×3, first 2 shown]
	v_add_f64_e64 v[1:2], v[145:146], -v[1:2]
	v_add_f64_e64 v[3:4], v[147:148], -v[3:4]
	scratch_store_b128 off, v[1:4], off offset:592
	v_cmpx_lt_u32_e32 35, v0
	s_cbranch_execz .LBB112_237
; %bb.236:
	scratch_load_b128 v[1:4], off, s26
	v_mov_b32_e32 v5, 0
	s_delay_alu instid0(VALU_DEP_1)
	v_dual_mov_b32 v6, v5 :: v_dual_mov_b32 v7, v5
	v_mov_b32_e32 v8, v5
	scratch_store_b128 off, v[5:8], off offset:576
	s_wait_loadcnt 0x0
	ds_store_b128 v140, v[1:4]
.LBB112_237:
	s_wait_alu 0xfffe
	s_or_b32 exec_lo, exec_lo, s0
	s_wait_storecnt_dscnt 0x0
	s_barrier_signal -1
	s_barrier_wait -1
	global_inv scope:SCOPE_SE
	s_clause 0x7
	scratch_load_b128 v[2:5], off, off offset:592
	scratch_load_b128 v[6:9], off, off offset:608
	;; [unrolled: 1-line block ×8, first 2 shown]
	v_mov_b32_e32 v1, 0
	s_clause 0x1
	scratch_load_b128 v[38:41], off, off offset:720
	scratch_load_b128 v[145:148], off, off offset:736
	s_mov_b32 s0, exec_lo
	ds_load_b128 v[34:37], v1 offset:1360
	ds_load_b128 v[141:144], v1 offset:1376
	s_wait_loadcnt_dscnt 0x901
	v_mul_f64_e32 v[149:150], v[36:37], v[4:5]
	v_mul_f64_e32 v[4:5], v[34:35], v[4:5]
	s_wait_loadcnt_dscnt 0x800
	v_mul_f64_e32 v[151:152], v[141:142], v[8:9]
	v_mul_f64_e32 v[8:9], v[143:144], v[8:9]
	s_delay_alu instid0(VALU_DEP_4) | instskip(NEXT) | instid1(VALU_DEP_4)
	v_fma_f64 v[149:150], v[34:35], v[2:3], -v[149:150]
	v_fma_f64 v[153:154], v[36:37], v[2:3], v[4:5]
	ds_load_b128 v[2:5], v1 offset:1392
	scratch_load_b128 v[34:37], off, off offset:752
	v_fma_f64 v[151:152], v[143:144], v[6:7], v[151:152]
	v_fma_f64 v[157:158], v[141:142], v[6:7], -v[8:9]
	ds_load_b128 v[6:9], v1 offset:1408
	scratch_load_b128 v[141:144], off, off offset:768
	s_wait_loadcnt_dscnt 0x901
	v_mul_f64_e32 v[155:156], v[2:3], v[12:13]
	v_mul_f64_e32 v[12:13], v[4:5], v[12:13]
	s_wait_loadcnt_dscnt 0x800
	v_mul_f64_e32 v[159:160], v[6:7], v[16:17]
	v_mul_f64_e32 v[16:17], v[8:9], v[16:17]
	v_add_f64_e32 v[149:150], 0, v[149:150]
	v_add_f64_e32 v[153:154], 0, v[153:154]
	v_fma_f64 v[155:156], v[4:5], v[10:11], v[155:156]
	v_fma_f64 v[161:162], v[2:3], v[10:11], -v[12:13]
	ds_load_b128 v[2:5], v1 offset:1424
	scratch_load_b128 v[10:13], off, off offset:784
	v_add_f64_e32 v[149:150], v[149:150], v[157:158]
	v_add_f64_e32 v[151:152], v[153:154], v[151:152]
	v_fma_f64 v[157:158], v[8:9], v[14:15], v[159:160]
	v_fma_f64 v[14:15], v[6:7], v[14:15], -v[16:17]
	ds_load_b128 v[6:9], v1 offset:1440
	s_wait_loadcnt_dscnt 0x801
	v_mul_f64_e32 v[153:154], v[2:3], v[20:21]
	v_mul_f64_e32 v[20:21], v[4:5], v[20:21]
	v_add_f64_e32 v[16:17], v[149:150], v[161:162]
	v_add_f64_e32 v[149:150], v[151:152], v[155:156]
	s_wait_loadcnt_dscnt 0x700
	v_mul_f64_e32 v[151:152], v[6:7], v[24:25]
	v_mul_f64_e32 v[24:25], v[8:9], v[24:25]
	v_fma_f64 v[153:154], v[4:5], v[18:19], v[153:154]
	v_fma_f64 v[18:19], v[2:3], v[18:19], -v[20:21]
	ds_load_b128 v[2:5], v1 offset:1456
	v_add_f64_e32 v[14:15], v[16:17], v[14:15]
	v_add_f64_e32 v[16:17], v[149:150], v[157:158]
	v_fma_f64 v[149:150], v[8:9], v[22:23], v[151:152]
	v_fma_f64 v[22:23], v[6:7], v[22:23], -v[24:25]
	ds_load_b128 v[6:9], v1 offset:1472
	s_wait_loadcnt_dscnt 0x601
	v_mul_f64_e32 v[20:21], v[2:3], v[28:29]
	v_mul_f64_e32 v[28:29], v[4:5], v[28:29]
	s_wait_loadcnt_dscnt 0x500
	v_mul_f64_e32 v[151:152], v[6:7], v[32:33]
	v_mul_f64_e32 v[32:33], v[8:9], v[32:33]
	v_add_f64_e32 v[18:19], v[14:15], v[18:19]
	v_add_f64_e32 v[24:25], v[16:17], v[153:154]
	scratch_load_b128 v[14:17], off, off offset:576
	v_fma_f64 v[20:21], v[4:5], v[26:27], v[20:21]
	v_fma_f64 v[26:27], v[2:3], v[26:27], -v[28:29]
	ds_load_b128 v[2:5], v1 offset:1488
	s_wait_loadcnt_dscnt 0x500
	v_mul_f64_e32 v[28:29], v[4:5], v[40:41]
	v_add_f64_e32 v[18:19], v[18:19], v[22:23]
	v_add_f64_e32 v[22:23], v[24:25], v[149:150]
	v_mul_f64_e32 v[24:25], v[2:3], v[40:41]
	v_fma_f64 v[40:41], v[8:9], v[30:31], v[151:152]
	v_fma_f64 v[30:31], v[6:7], v[30:31], -v[32:33]
	ds_load_b128 v[6:9], v1 offset:1504
	v_fma_f64 v[28:29], v[2:3], v[38:39], -v[28:29]
	v_add_f64_e32 v[18:19], v[18:19], v[26:27]
	v_add_f64_e32 v[20:21], v[22:23], v[20:21]
	v_fma_f64 v[24:25], v[4:5], v[38:39], v[24:25]
	ds_load_b128 v[2:5], v1 offset:1520
	s_wait_loadcnt_dscnt 0x401
	v_mul_f64_e32 v[22:23], v[6:7], v[147:148]
	v_mul_f64_e32 v[26:27], v[8:9], v[147:148]
	v_add_f64_e32 v[18:19], v[18:19], v[30:31]
	v_add_f64_e32 v[20:21], v[20:21], v[40:41]
	s_delay_alu instid0(VALU_DEP_4) | instskip(NEXT) | instid1(VALU_DEP_4)
	v_fma_f64 v[22:23], v[8:9], v[145:146], v[22:23]
	v_fma_f64 v[26:27], v[6:7], v[145:146], -v[26:27]
	ds_load_b128 v[6:9], v1 offset:1536
	s_wait_loadcnt_dscnt 0x301
	v_mul_f64_e32 v[30:31], v[2:3], v[36:37]
	v_mul_f64_e32 v[32:33], v[4:5], v[36:37]
	v_add_f64_e32 v[18:19], v[18:19], v[28:29]
	v_add_f64_e32 v[20:21], v[20:21], v[24:25]
	s_delay_alu instid0(VALU_DEP_4) | instskip(NEXT) | instid1(VALU_DEP_4)
	v_fma_f64 v[30:31], v[4:5], v[34:35], v[30:31]
	v_fma_f64 v[32:33], v[2:3], v[34:35], -v[32:33]
	ds_load_b128 v[2:5], v1 offset:1552
	s_wait_loadcnt_dscnt 0x201
	v_mul_f64_e32 v[24:25], v[6:7], v[143:144]
	v_mul_f64_e32 v[28:29], v[8:9], v[143:144]
	v_add_f64_e32 v[18:19], v[18:19], v[26:27]
	v_add_f64_e32 v[20:21], v[20:21], v[22:23]
	s_wait_loadcnt_dscnt 0x100
	v_mul_f64_e32 v[22:23], v[2:3], v[12:13]
	v_mul_f64_e32 v[12:13], v[4:5], v[12:13]
	v_fma_f64 v[8:9], v[8:9], v[141:142], v[24:25]
	v_fma_f64 v[6:7], v[6:7], v[141:142], -v[28:29]
	v_add_f64_e32 v[18:19], v[18:19], v[32:33]
	v_add_f64_e32 v[20:21], v[20:21], v[30:31]
	v_fma_f64 v[4:5], v[4:5], v[10:11], v[22:23]
	v_fma_f64 v[2:3], v[2:3], v[10:11], -v[12:13]
	s_delay_alu instid0(VALU_DEP_4) | instskip(NEXT) | instid1(VALU_DEP_4)
	v_add_f64_e32 v[6:7], v[18:19], v[6:7]
	v_add_f64_e32 v[8:9], v[20:21], v[8:9]
	s_delay_alu instid0(VALU_DEP_2) | instskip(NEXT) | instid1(VALU_DEP_2)
	v_add_f64_e32 v[2:3], v[6:7], v[2:3]
	v_add_f64_e32 v[4:5], v[8:9], v[4:5]
	s_wait_loadcnt 0x0
	s_delay_alu instid0(VALU_DEP_2) | instskip(NEXT) | instid1(VALU_DEP_2)
	v_add_f64_e64 v[2:3], v[14:15], -v[2:3]
	v_add_f64_e64 v[4:5], v[16:17], -v[4:5]
	scratch_store_b128 off, v[2:5], off offset:576
	v_cmpx_lt_u32_e32 34, v0
	s_cbranch_execz .LBB112_239
; %bb.238:
	scratch_load_b128 v[5:8], off, s27
	v_dual_mov_b32 v2, v1 :: v_dual_mov_b32 v3, v1
	v_mov_b32_e32 v4, v1
	scratch_store_b128 off, v[1:4], off offset:560
	s_wait_loadcnt 0x0
	ds_store_b128 v140, v[5:8]
.LBB112_239:
	s_wait_alu 0xfffe
	s_or_b32 exec_lo, exec_lo, s0
	s_wait_storecnt_dscnt 0x0
	s_barrier_signal -1
	s_barrier_wait -1
	global_inv scope:SCOPE_SE
	s_clause 0x7
	scratch_load_b128 v[2:5], off, off offset:576
	scratch_load_b128 v[6:9], off, off offset:592
	;; [unrolled: 1-line block ×8, first 2 shown]
	ds_load_b128 v[34:37], v1 offset:1344
	ds_load_b128 v[141:144], v1 offset:1360
	s_clause 0x1
	scratch_load_b128 v[38:41], off, off offset:704
	scratch_load_b128 v[145:148], off, off offset:720
	s_mov_b32 s0, exec_lo
	s_wait_loadcnt_dscnt 0x901
	v_mul_f64_e32 v[149:150], v[36:37], v[4:5]
	v_mul_f64_e32 v[4:5], v[34:35], v[4:5]
	s_wait_loadcnt_dscnt 0x800
	v_mul_f64_e32 v[151:152], v[141:142], v[8:9]
	v_mul_f64_e32 v[8:9], v[143:144], v[8:9]
	s_delay_alu instid0(VALU_DEP_4) | instskip(NEXT) | instid1(VALU_DEP_4)
	v_fma_f64 v[149:150], v[34:35], v[2:3], -v[149:150]
	v_fma_f64 v[153:154], v[36:37], v[2:3], v[4:5]
	ds_load_b128 v[2:5], v1 offset:1376
	scratch_load_b128 v[34:37], off, off offset:736
	v_fma_f64 v[151:152], v[143:144], v[6:7], v[151:152]
	v_fma_f64 v[157:158], v[141:142], v[6:7], -v[8:9]
	ds_load_b128 v[6:9], v1 offset:1392
	scratch_load_b128 v[141:144], off, off offset:752
	s_wait_loadcnt_dscnt 0x901
	v_mul_f64_e32 v[155:156], v[2:3], v[12:13]
	v_mul_f64_e32 v[12:13], v[4:5], v[12:13]
	s_wait_loadcnt_dscnt 0x800
	v_mul_f64_e32 v[159:160], v[6:7], v[16:17]
	v_mul_f64_e32 v[16:17], v[8:9], v[16:17]
	v_add_f64_e32 v[149:150], 0, v[149:150]
	v_add_f64_e32 v[153:154], 0, v[153:154]
	v_fma_f64 v[155:156], v[4:5], v[10:11], v[155:156]
	v_fma_f64 v[161:162], v[2:3], v[10:11], -v[12:13]
	ds_load_b128 v[2:5], v1 offset:1408
	scratch_load_b128 v[10:13], off, off offset:768
	v_add_f64_e32 v[149:150], v[149:150], v[157:158]
	v_add_f64_e32 v[151:152], v[153:154], v[151:152]
	v_fma_f64 v[157:158], v[8:9], v[14:15], v[159:160]
	v_fma_f64 v[159:160], v[6:7], v[14:15], -v[16:17]
	ds_load_b128 v[6:9], v1 offset:1424
	scratch_load_b128 v[14:17], off, off offset:784
	s_wait_loadcnt_dscnt 0x901
	v_mul_f64_e32 v[153:154], v[2:3], v[20:21]
	v_mul_f64_e32 v[20:21], v[4:5], v[20:21]
	v_add_f64_e32 v[149:150], v[149:150], v[161:162]
	v_add_f64_e32 v[151:152], v[151:152], v[155:156]
	s_wait_loadcnt_dscnt 0x800
	v_mul_f64_e32 v[155:156], v[6:7], v[24:25]
	v_mul_f64_e32 v[24:25], v[8:9], v[24:25]
	v_fma_f64 v[153:154], v[4:5], v[18:19], v[153:154]
	v_fma_f64 v[18:19], v[2:3], v[18:19], -v[20:21]
	ds_load_b128 v[2:5], v1 offset:1440
	v_add_f64_e32 v[20:21], v[149:150], v[159:160]
	v_add_f64_e32 v[149:150], v[151:152], v[157:158]
	v_fma_f64 v[155:156], v[8:9], v[22:23], v[155:156]
	v_fma_f64 v[22:23], v[6:7], v[22:23], -v[24:25]
	ds_load_b128 v[6:9], v1 offset:1456
	s_wait_loadcnt_dscnt 0x701
	v_mul_f64_e32 v[151:152], v[2:3], v[28:29]
	v_mul_f64_e32 v[28:29], v[4:5], v[28:29]
	s_wait_loadcnt_dscnt 0x600
	v_mul_f64_e32 v[24:25], v[6:7], v[32:33]
	v_mul_f64_e32 v[32:33], v[8:9], v[32:33]
	v_add_f64_e32 v[18:19], v[20:21], v[18:19]
	v_add_f64_e32 v[20:21], v[149:150], v[153:154]
	v_fma_f64 v[149:150], v[4:5], v[26:27], v[151:152]
	v_fma_f64 v[26:27], v[2:3], v[26:27], -v[28:29]
	ds_load_b128 v[2:5], v1 offset:1472
	v_fma_f64 v[24:25], v[8:9], v[30:31], v[24:25]
	v_fma_f64 v[30:31], v[6:7], v[30:31], -v[32:33]
	ds_load_b128 v[6:9], v1 offset:1488
	v_add_f64_e32 v[22:23], v[18:19], v[22:23]
	v_add_f64_e32 v[28:29], v[20:21], v[155:156]
	scratch_load_b128 v[18:21], off, off offset:560
	s_wait_loadcnt_dscnt 0x601
	v_mul_f64_e32 v[151:152], v[2:3], v[40:41]
	v_mul_f64_e32 v[40:41], v[4:5], v[40:41]
	s_wait_loadcnt_dscnt 0x500
	v_mul_f64_e32 v[32:33], v[8:9], v[147:148]
	v_add_f64_e32 v[22:23], v[22:23], v[26:27]
	v_add_f64_e32 v[26:27], v[28:29], v[149:150]
	v_mul_f64_e32 v[28:29], v[6:7], v[147:148]
	v_fma_f64 v[147:148], v[4:5], v[38:39], v[151:152]
	v_fma_f64 v[38:39], v[2:3], v[38:39], -v[40:41]
	ds_load_b128 v[2:5], v1 offset:1504
	v_fma_f64 v[32:33], v[6:7], v[145:146], -v[32:33]
	v_add_f64_e32 v[22:23], v[22:23], v[30:31]
	v_add_f64_e32 v[24:25], v[26:27], v[24:25]
	v_fma_f64 v[28:29], v[8:9], v[145:146], v[28:29]
	ds_load_b128 v[6:9], v1 offset:1520
	s_wait_loadcnt_dscnt 0x401
	v_mul_f64_e32 v[26:27], v[2:3], v[36:37]
	v_mul_f64_e32 v[30:31], v[4:5], v[36:37]
	s_wait_loadcnt_dscnt 0x300
	v_mul_f64_e32 v[36:37], v[6:7], v[143:144]
	v_add_f64_e32 v[22:23], v[22:23], v[38:39]
	v_add_f64_e32 v[24:25], v[24:25], v[147:148]
	v_mul_f64_e32 v[38:39], v[8:9], v[143:144]
	v_fma_f64 v[26:27], v[4:5], v[34:35], v[26:27]
	v_fma_f64 v[30:31], v[2:3], v[34:35], -v[30:31]
	ds_load_b128 v[2:5], v1 offset:1536
	v_add_f64_e32 v[22:23], v[22:23], v[32:33]
	v_add_f64_e32 v[24:25], v[24:25], v[28:29]
	v_fma_f64 v[32:33], v[8:9], v[141:142], v[36:37]
	v_fma_f64 v[34:35], v[6:7], v[141:142], -v[38:39]
	ds_load_b128 v[6:9], v1 offset:1552
	s_wait_loadcnt_dscnt 0x201
	v_mul_f64_e32 v[28:29], v[2:3], v[12:13]
	v_mul_f64_e32 v[12:13], v[4:5], v[12:13]
	v_add_f64_e32 v[22:23], v[22:23], v[30:31]
	v_add_f64_e32 v[24:25], v[24:25], v[26:27]
	s_wait_loadcnt_dscnt 0x100
	v_mul_f64_e32 v[26:27], v[6:7], v[16:17]
	v_mul_f64_e32 v[16:17], v[8:9], v[16:17]
	v_fma_f64 v[4:5], v[4:5], v[10:11], v[28:29]
	v_fma_f64 v[1:2], v[2:3], v[10:11], -v[12:13]
	v_add_f64_e32 v[10:11], v[22:23], v[34:35]
	v_add_f64_e32 v[12:13], v[24:25], v[32:33]
	v_fma_f64 v[8:9], v[8:9], v[14:15], v[26:27]
	v_fma_f64 v[6:7], v[6:7], v[14:15], -v[16:17]
	s_delay_alu instid0(VALU_DEP_4) | instskip(NEXT) | instid1(VALU_DEP_4)
	v_add_f64_e32 v[1:2], v[10:11], v[1:2]
	v_add_f64_e32 v[3:4], v[12:13], v[4:5]
	s_delay_alu instid0(VALU_DEP_2) | instskip(NEXT) | instid1(VALU_DEP_2)
	v_add_f64_e32 v[1:2], v[1:2], v[6:7]
	v_add_f64_e32 v[3:4], v[3:4], v[8:9]
	s_wait_loadcnt 0x0
	s_delay_alu instid0(VALU_DEP_2) | instskip(NEXT) | instid1(VALU_DEP_2)
	v_add_f64_e64 v[1:2], v[18:19], -v[1:2]
	v_add_f64_e64 v[3:4], v[20:21], -v[3:4]
	scratch_store_b128 off, v[1:4], off offset:560
	v_cmpx_lt_u32_e32 33, v0
	s_cbranch_execz .LBB112_241
; %bb.240:
	scratch_load_b128 v[1:4], off, s28
	v_mov_b32_e32 v5, 0
	s_delay_alu instid0(VALU_DEP_1)
	v_dual_mov_b32 v6, v5 :: v_dual_mov_b32 v7, v5
	v_mov_b32_e32 v8, v5
	scratch_store_b128 off, v[5:8], off offset:544
	s_wait_loadcnt 0x0
	ds_store_b128 v140, v[1:4]
.LBB112_241:
	s_wait_alu 0xfffe
	s_or_b32 exec_lo, exec_lo, s0
	s_wait_storecnt_dscnt 0x0
	s_barrier_signal -1
	s_barrier_wait -1
	global_inv scope:SCOPE_SE
	s_clause 0x7
	scratch_load_b128 v[2:5], off, off offset:560
	scratch_load_b128 v[6:9], off, off offset:576
	;; [unrolled: 1-line block ×8, first 2 shown]
	v_mov_b32_e32 v1, 0
	s_clause 0x1
	scratch_load_b128 v[38:41], off, off offset:688
	scratch_load_b128 v[145:148], off, off offset:704
	s_mov_b32 s0, exec_lo
	ds_load_b128 v[34:37], v1 offset:1328
	ds_load_b128 v[141:144], v1 offset:1344
	s_wait_loadcnt_dscnt 0x901
	v_mul_f64_e32 v[149:150], v[36:37], v[4:5]
	v_mul_f64_e32 v[4:5], v[34:35], v[4:5]
	s_wait_loadcnt_dscnt 0x800
	v_mul_f64_e32 v[151:152], v[141:142], v[8:9]
	v_mul_f64_e32 v[8:9], v[143:144], v[8:9]
	s_delay_alu instid0(VALU_DEP_4) | instskip(NEXT) | instid1(VALU_DEP_4)
	v_fma_f64 v[149:150], v[34:35], v[2:3], -v[149:150]
	v_fma_f64 v[153:154], v[36:37], v[2:3], v[4:5]
	ds_load_b128 v[2:5], v1 offset:1360
	scratch_load_b128 v[34:37], off, off offset:720
	v_fma_f64 v[151:152], v[143:144], v[6:7], v[151:152]
	v_fma_f64 v[157:158], v[141:142], v[6:7], -v[8:9]
	ds_load_b128 v[6:9], v1 offset:1376
	scratch_load_b128 v[141:144], off, off offset:736
	s_wait_loadcnt_dscnt 0x901
	v_mul_f64_e32 v[155:156], v[2:3], v[12:13]
	v_mul_f64_e32 v[12:13], v[4:5], v[12:13]
	s_wait_loadcnt_dscnt 0x800
	v_mul_f64_e32 v[159:160], v[6:7], v[16:17]
	v_mul_f64_e32 v[16:17], v[8:9], v[16:17]
	v_add_f64_e32 v[149:150], 0, v[149:150]
	v_add_f64_e32 v[153:154], 0, v[153:154]
	v_fma_f64 v[155:156], v[4:5], v[10:11], v[155:156]
	v_fma_f64 v[161:162], v[2:3], v[10:11], -v[12:13]
	ds_load_b128 v[2:5], v1 offset:1392
	scratch_load_b128 v[10:13], off, off offset:752
	v_add_f64_e32 v[149:150], v[149:150], v[157:158]
	v_add_f64_e32 v[151:152], v[153:154], v[151:152]
	v_fma_f64 v[157:158], v[8:9], v[14:15], v[159:160]
	v_fma_f64 v[159:160], v[6:7], v[14:15], -v[16:17]
	ds_load_b128 v[6:9], v1 offset:1408
	scratch_load_b128 v[14:17], off, off offset:768
	s_wait_loadcnt_dscnt 0x901
	v_mul_f64_e32 v[153:154], v[2:3], v[20:21]
	v_mul_f64_e32 v[20:21], v[4:5], v[20:21]
	v_add_f64_e32 v[149:150], v[149:150], v[161:162]
	v_add_f64_e32 v[151:152], v[151:152], v[155:156]
	s_wait_loadcnt_dscnt 0x800
	v_mul_f64_e32 v[155:156], v[6:7], v[24:25]
	v_mul_f64_e32 v[24:25], v[8:9], v[24:25]
	v_fma_f64 v[153:154], v[4:5], v[18:19], v[153:154]
	v_fma_f64 v[161:162], v[2:3], v[18:19], -v[20:21]
	ds_load_b128 v[2:5], v1 offset:1424
	scratch_load_b128 v[18:21], off, off offset:784
	v_add_f64_e32 v[149:150], v[149:150], v[159:160]
	v_add_f64_e32 v[151:152], v[151:152], v[157:158]
	v_fma_f64 v[155:156], v[8:9], v[22:23], v[155:156]
	v_fma_f64 v[22:23], v[6:7], v[22:23], -v[24:25]
	ds_load_b128 v[6:9], v1 offset:1440
	s_wait_loadcnt_dscnt 0x801
	v_mul_f64_e32 v[157:158], v[2:3], v[28:29]
	v_mul_f64_e32 v[28:29], v[4:5], v[28:29]
	v_add_f64_e32 v[24:25], v[149:150], v[161:162]
	v_add_f64_e32 v[149:150], v[151:152], v[153:154]
	s_wait_loadcnt_dscnt 0x700
	v_mul_f64_e32 v[151:152], v[6:7], v[32:33]
	v_mul_f64_e32 v[32:33], v[8:9], v[32:33]
	v_fma_f64 v[153:154], v[4:5], v[26:27], v[157:158]
	v_fma_f64 v[26:27], v[2:3], v[26:27], -v[28:29]
	ds_load_b128 v[2:5], v1 offset:1456
	v_add_f64_e32 v[22:23], v[24:25], v[22:23]
	v_add_f64_e32 v[24:25], v[149:150], v[155:156]
	v_fma_f64 v[149:150], v[8:9], v[30:31], v[151:152]
	v_fma_f64 v[30:31], v[6:7], v[30:31], -v[32:33]
	ds_load_b128 v[6:9], v1 offset:1472
	s_wait_loadcnt_dscnt 0x500
	v_mul_f64_e32 v[151:152], v[6:7], v[147:148]
	v_mul_f64_e32 v[147:148], v[8:9], v[147:148]
	v_add_f64_e32 v[26:27], v[22:23], v[26:27]
	v_add_f64_e32 v[32:33], v[24:25], v[153:154]
	scratch_load_b128 v[22:25], off, off offset:544
	v_mul_f64_e32 v[28:29], v[2:3], v[40:41]
	v_mul_f64_e32 v[40:41], v[4:5], v[40:41]
	v_add_f64_e32 v[26:27], v[26:27], v[30:31]
	v_add_f64_e32 v[30:31], v[32:33], v[149:150]
	s_delay_alu instid0(VALU_DEP_4) | instskip(NEXT) | instid1(VALU_DEP_4)
	v_fma_f64 v[28:29], v[4:5], v[38:39], v[28:29]
	v_fma_f64 v[38:39], v[2:3], v[38:39], -v[40:41]
	ds_load_b128 v[2:5], v1 offset:1488
	v_fma_f64 v[40:41], v[8:9], v[145:146], v[151:152]
	v_fma_f64 v[145:146], v[6:7], v[145:146], -v[147:148]
	ds_load_b128 v[6:9], v1 offset:1504
	s_wait_loadcnt_dscnt 0x501
	v_mul_f64_e32 v[32:33], v[2:3], v[36:37]
	v_mul_f64_e32 v[36:37], v[4:5], v[36:37]
	v_add_f64_e32 v[28:29], v[30:31], v[28:29]
	v_add_f64_e32 v[26:27], v[26:27], v[38:39]
	s_wait_loadcnt_dscnt 0x400
	v_mul_f64_e32 v[30:31], v[6:7], v[143:144]
	v_mul_f64_e32 v[38:39], v[8:9], v[143:144]
	v_fma_f64 v[32:33], v[4:5], v[34:35], v[32:33]
	v_fma_f64 v[34:35], v[2:3], v[34:35], -v[36:37]
	ds_load_b128 v[2:5], v1 offset:1520
	v_add_f64_e32 v[28:29], v[28:29], v[40:41]
	v_add_f64_e32 v[26:27], v[26:27], v[145:146]
	v_fma_f64 v[30:31], v[8:9], v[141:142], v[30:31]
	v_fma_f64 v[38:39], v[6:7], v[141:142], -v[38:39]
	ds_load_b128 v[6:9], v1 offset:1536
	s_wait_loadcnt_dscnt 0x301
	v_mul_f64_e32 v[36:37], v[2:3], v[12:13]
	v_mul_f64_e32 v[12:13], v[4:5], v[12:13]
	v_add_f64_e32 v[28:29], v[28:29], v[32:33]
	v_add_f64_e32 v[26:27], v[26:27], v[34:35]
	s_wait_loadcnt_dscnt 0x200
	v_mul_f64_e32 v[32:33], v[6:7], v[16:17]
	v_mul_f64_e32 v[16:17], v[8:9], v[16:17]
	v_fma_f64 v[34:35], v[4:5], v[10:11], v[36:37]
	v_fma_f64 v[10:11], v[2:3], v[10:11], -v[12:13]
	ds_load_b128 v[2:5], v1 offset:1552
	v_add_f64_e32 v[12:13], v[26:27], v[38:39]
	v_add_f64_e32 v[26:27], v[28:29], v[30:31]
	s_wait_loadcnt_dscnt 0x100
	v_mul_f64_e32 v[28:29], v[2:3], v[20:21]
	v_mul_f64_e32 v[20:21], v[4:5], v[20:21]
	v_fma_f64 v[8:9], v[8:9], v[14:15], v[32:33]
	v_fma_f64 v[6:7], v[6:7], v[14:15], -v[16:17]
	v_add_f64_e32 v[10:11], v[12:13], v[10:11]
	v_add_f64_e32 v[12:13], v[26:27], v[34:35]
	v_fma_f64 v[4:5], v[4:5], v[18:19], v[28:29]
	v_fma_f64 v[2:3], v[2:3], v[18:19], -v[20:21]
	s_delay_alu instid0(VALU_DEP_4) | instskip(NEXT) | instid1(VALU_DEP_4)
	v_add_f64_e32 v[6:7], v[10:11], v[6:7]
	v_add_f64_e32 v[8:9], v[12:13], v[8:9]
	s_delay_alu instid0(VALU_DEP_2) | instskip(NEXT) | instid1(VALU_DEP_2)
	v_add_f64_e32 v[2:3], v[6:7], v[2:3]
	v_add_f64_e32 v[4:5], v[8:9], v[4:5]
	s_wait_loadcnt 0x0
	s_delay_alu instid0(VALU_DEP_2) | instskip(NEXT) | instid1(VALU_DEP_2)
	v_add_f64_e64 v[2:3], v[22:23], -v[2:3]
	v_add_f64_e64 v[4:5], v[24:25], -v[4:5]
	scratch_store_b128 off, v[2:5], off offset:544
	v_cmpx_lt_u32_e32 32, v0
	s_cbranch_execz .LBB112_243
; %bb.242:
	scratch_load_b128 v[5:8], off, s29
	v_dual_mov_b32 v2, v1 :: v_dual_mov_b32 v3, v1
	v_mov_b32_e32 v4, v1
	scratch_store_b128 off, v[1:4], off offset:528
	s_wait_loadcnt 0x0
	ds_store_b128 v140, v[5:8]
.LBB112_243:
	s_wait_alu 0xfffe
	s_or_b32 exec_lo, exec_lo, s0
	s_wait_storecnt_dscnt 0x0
	s_barrier_signal -1
	s_barrier_wait -1
	global_inv scope:SCOPE_SE
	s_clause 0x7
	scratch_load_b128 v[2:5], off, off offset:544
	scratch_load_b128 v[6:9], off, off offset:560
	;; [unrolled: 1-line block ×8, first 2 shown]
	ds_load_b128 v[34:37], v1 offset:1312
	ds_load_b128 v[141:144], v1 offset:1328
	s_clause 0x1
	scratch_load_b128 v[38:41], off, off offset:672
	scratch_load_b128 v[145:148], off, off offset:688
	s_mov_b32 s0, exec_lo
	s_wait_loadcnt_dscnt 0x901
	v_mul_f64_e32 v[149:150], v[36:37], v[4:5]
	v_mul_f64_e32 v[4:5], v[34:35], v[4:5]
	s_wait_loadcnt_dscnt 0x800
	v_mul_f64_e32 v[151:152], v[141:142], v[8:9]
	v_mul_f64_e32 v[8:9], v[143:144], v[8:9]
	s_delay_alu instid0(VALU_DEP_4) | instskip(NEXT) | instid1(VALU_DEP_4)
	v_fma_f64 v[149:150], v[34:35], v[2:3], -v[149:150]
	v_fma_f64 v[153:154], v[36:37], v[2:3], v[4:5]
	ds_load_b128 v[2:5], v1 offset:1344
	scratch_load_b128 v[34:37], off, off offset:704
	v_fma_f64 v[151:152], v[143:144], v[6:7], v[151:152]
	v_fma_f64 v[157:158], v[141:142], v[6:7], -v[8:9]
	ds_load_b128 v[6:9], v1 offset:1360
	scratch_load_b128 v[141:144], off, off offset:720
	s_wait_loadcnt_dscnt 0x901
	v_mul_f64_e32 v[155:156], v[2:3], v[12:13]
	v_mul_f64_e32 v[12:13], v[4:5], v[12:13]
	s_wait_loadcnt_dscnt 0x800
	v_mul_f64_e32 v[159:160], v[6:7], v[16:17]
	v_mul_f64_e32 v[16:17], v[8:9], v[16:17]
	v_add_f64_e32 v[149:150], 0, v[149:150]
	v_add_f64_e32 v[153:154], 0, v[153:154]
	v_fma_f64 v[155:156], v[4:5], v[10:11], v[155:156]
	v_fma_f64 v[161:162], v[2:3], v[10:11], -v[12:13]
	ds_load_b128 v[2:5], v1 offset:1376
	scratch_load_b128 v[10:13], off, off offset:736
	v_add_f64_e32 v[149:150], v[149:150], v[157:158]
	v_add_f64_e32 v[151:152], v[153:154], v[151:152]
	v_fma_f64 v[157:158], v[8:9], v[14:15], v[159:160]
	v_fma_f64 v[159:160], v[6:7], v[14:15], -v[16:17]
	ds_load_b128 v[6:9], v1 offset:1392
	scratch_load_b128 v[14:17], off, off offset:752
	s_wait_loadcnt_dscnt 0x901
	v_mul_f64_e32 v[153:154], v[2:3], v[20:21]
	v_mul_f64_e32 v[20:21], v[4:5], v[20:21]
	v_add_f64_e32 v[149:150], v[149:150], v[161:162]
	v_add_f64_e32 v[151:152], v[151:152], v[155:156]
	s_wait_loadcnt_dscnt 0x800
	v_mul_f64_e32 v[155:156], v[6:7], v[24:25]
	v_mul_f64_e32 v[24:25], v[8:9], v[24:25]
	v_fma_f64 v[153:154], v[4:5], v[18:19], v[153:154]
	v_fma_f64 v[161:162], v[2:3], v[18:19], -v[20:21]
	ds_load_b128 v[2:5], v1 offset:1408
	scratch_load_b128 v[18:21], off, off offset:768
	v_add_f64_e32 v[149:150], v[149:150], v[159:160]
	v_add_f64_e32 v[151:152], v[151:152], v[157:158]
	v_fma_f64 v[155:156], v[8:9], v[22:23], v[155:156]
	v_fma_f64 v[159:160], v[6:7], v[22:23], -v[24:25]
	ds_load_b128 v[6:9], v1 offset:1424
	s_wait_loadcnt_dscnt 0x801
	v_mul_f64_e32 v[157:158], v[2:3], v[28:29]
	v_mul_f64_e32 v[28:29], v[4:5], v[28:29]
	scratch_load_b128 v[22:25], off, off offset:784
	v_add_f64_e32 v[149:150], v[149:150], v[161:162]
	v_add_f64_e32 v[151:152], v[151:152], v[153:154]
	s_wait_loadcnt_dscnt 0x800
	v_mul_f64_e32 v[153:154], v[6:7], v[32:33]
	v_mul_f64_e32 v[32:33], v[8:9], v[32:33]
	v_fma_f64 v[157:158], v[4:5], v[26:27], v[157:158]
	v_fma_f64 v[26:27], v[2:3], v[26:27], -v[28:29]
	ds_load_b128 v[2:5], v1 offset:1440
	v_add_f64_e32 v[28:29], v[149:150], v[159:160]
	v_add_f64_e32 v[149:150], v[151:152], v[155:156]
	v_fma_f64 v[153:154], v[8:9], v[30:31], v[153:154]
	v_fma_f64 v[30:31], v[6:7], v[30:31], -v[32:33]
	ds_load_b128 v[6:9], v1 offset:1456
	s_wait_loadcnt_dscnt 0x701
	v_mul_f64_e32 v[151:152], v[2:3], v[40:41]
	v_mul_f64_e32 v[40:41], v[4:5], v[40:41]
	v_add_f64_e32 v[26:27], v[28:29], v[26:27]
	v_add_f64_e32 v[28:29], v[149:150], v[157:158]
	s_delay_alu instid0(VALU_DEP_4) | instskip(NEXT) | instid1(VALU_DEP_4)
	v_fma_f64 v[149:150], v[4:5], v[38:39], v[151:152]
	v_fma_f64 v[38:39], v[2:3], v[38:39], -v[40:41]
	ds_load_b128 v[2:5], v1 offset:1472
	v_add_f64_e32 v[30:31], v[26:27], v[30:31]
	v_add_f64_e32 v[40:41], v[28:29], v[153:154]
	scratch_load_b128 v[26:29], off, off offset:528
	s_wait_loadcnt_dscnt 0x701
	v_mul_f64_e32 v[32:33], v[6:7], v[147:148]
	v_mul_f64_e32 v[147:148], v[8:9], v[147:148]
	v_add_f64_e32 v[30:31], v[30:31], v[38:39]
	v_add_f64_e32 v[38:39], v[40:41], v[149:150]
	s_delay_alu instid0(VALU_DEP_4) | instskip(NEXT) | instid1(VALU_DEP_4)
	v_fma_f64 v[32:33], v[8:9], v[145:146], v[32:33]
	v_fma_f64 v[145:146], v[6:7], v[145:146], -v[147:148]
	ds_load_b128 v[6:9], v1 offset:1488
	s_wait_loadcnt_dscnt 0x601
	v_mul_f64_e32 v[151:152], v[2:3], v[36:37]
	v_mul_f64_e32 v[36:37], v[4:5], v[36:37]
	s_wait_loadcnt_dscnt 0x500
	v_mul_f64_e32 v[40:41], v[6:7], v[143:144]
	v_mul_f64_e32 v[143:144], v[8:9], v[143:144]
	v_add_f64_e32 v[32:33], v[38:39], v[32:33]
	v_add_f64_e32 v[30:31], v[30:31], v[145:146]
	v_fma_f64 v[147:148], v[4:5], v[34:35], v[151:152]
	v_fma_f64 v[34:35], v[2:3], v[34:35], -v[36:37]
	ds_load_b128 v[2:5], v1 offset:1504
	v_fma_f64 v[38:39], v[8:9], v[141:142], v[40:41]
	v_fma_f64 v[40:41], v[6:7], v[141:142], -v[143:144]
	ds_load_b128 v[6:9], v1 offset:1520
	s_wait_loadcnt_dscnt 0x401
	v_mul_f64_e32 v[36:37], v[2:3], v[12:13]
	v_mul_f64_e32 v[12:13], v[4:5], v[12:13]
	v_add_f64_e32 v[32:33], v[32:33], v[147:148]
	v_add_f64_e32 v[30:31], v[30:31], v[34:35]
	s_wait_loadcnt_dscnt 0x300
	v_mul_f64_e32 v[34:35], v[6:7], v[16:17]
	v_mul_f64_e32 v[16:17], v[8:9], v[16:17]
	v_fma_f64 v[36:37], v[4:5], v[10:11], v[36:37]
	v_fma_f64 v[10:11], v[2:3], v[10:11], -v[12:13]
	ds_load_b128 v[2:5], v1 offset:1536
	v_add_f64_e32 v[12:13], v[30:31], v[40:41]
	v_add_f64_e32 v[30:31], v[32:33], v[38:39]
	v_fma_f64 v[34:35], v[8:9], v[14:15], v[34:35]
	v_fma_f64 v[14:15], v[6:7], v[14:15], -v[16:17]
	ds_load_b128 v[6:9], v1 offset:1552
	s_wait_loadcnt_dscnt 0x201
	v_mul_f64_e32 v[32:33], v[2:3], v[20:21]
	v_mul_f64_e32 v[20:21], v[4:5], v[20:21]
	s_wait_loadcnt_dscnt 0x100
	v_mul_f64_e32 v[16:17], v[6:7], v[24:25]
	v_mul_f64_e32 v[24:25], v[8:9], v[24:25]
	v_add_f64_e32 v[10:11], v[12:13], v[10:11]
	v_add_f64_e32 v[12:13], v[30:31], v[36:37]
	v_fma_f64 v[4:5], v[4:5], v[18:19], v[32:33]
	v_fma_f64 v[1:2], v[2:3], v[18:19], -v[20:21]
	v_fma_f64 v[8:9], v[8:9], v[22:23], v[16:17]
	v_fma_f64 v[6:7], v[6:7], v[22:23], -v[24:25]
	v_add_f64_e32 v[10:11], v[10:11], v[14:15]
	v_add_f64_e32 v[12:13], v[12:13], v[34:35]
	s_delay_alu instid0(VALU_DEP_2) | instskip(NEXT) | instid1(VALU_DEP_2)
	v_add_f64_e32 v[1:2], v[10:11], v[1:2]
	v_add_f64_e32 v[3:4], v[12:13], v[4:5]
	s_delay_alu instid0(VALU_DEP_2) | instskip(NEXT) | instid1(VALU_DEP_2)
	v_add_f64_e32 v[1:2], v[1:2], v[6:7]
	v_add_f64_e32 v[3:4], v[3:4], v[8:9]
	s_wait_loadcnt 0x0
	s_delay_alu instid0(VALU_DEP_2) | instskip(NEXT) | instid1(VALU_DEP_2)
	v_add_f64_e64 v[1:2], v[26:27], -v[1:2]
	v_add_f64_e64 v[3:4], v[28:29], -v[3:4]
	scratch_store_b128 off, v[1:4], off offset:528
	v_cmpx_lt_u32_e32 31, v0
	s_cbranch_execz .LBB112_245
; %bb.244:
	scratch_load_b128 v[1:4], off, s30
	v_mov_b32_e32 v5, 0
	s_delay_alu instid0(VALU_DEP_1)
	v_dual_mov_b32 v6, v5 :: v_dual_mov_b32 v7, v5
	v_mov_b32_e32 v8, v5
	scratch_store_b128 off, v[5:8], off offset:512
	s_wait_loadcnt 0x0
	ds_store_b128 v140, v[1:4]
.LBB112_245:
	s_wait_alu 0xfffe
	s_or_b32 exec_lo, exec_lo, s0
	s_wait_storecnt_dscnt 0x0
	s_barrier_signal -1
	s_barrier_wait -1
	global_inv scope:SCOPE_SE
	s_clause 0x7
	scratch_load_b128 v[2:5], off, off offset:528
	scratch_load_b128 v[6:9], off, off offset:544
	;; [unrolled: 1-line block ×8, first 2 shown]
	v_mov_b32_e32 v1, 0
	s_clause 0x1
	scratch_load_b128 v[38:41], off, off offset:656
	scratch_load_b128 v[145:148], off, off offset:672
	s_mov_b32 s0, exec_lo
	ds_load_b128 v[34:37], v1 offset:1296
	ds_load_b128 v[141:144], v1 offset:1312
	s_wait_loadcnt_dscnt 0x901
	v_mul_f64_e32 v[149:150], v[36:37], v[4:5]
	v_mul_f64_e32 v[4:5], v[34:35], v[4:5]
	s_wait_loadcnt_dscnt 0x800
	v_mul_f64_e32 v[151:152], v[141:142], v[8:9]
	v_mul_f64_e32 v[8:9], v[143:144], v[8:9]
	s_delay_alu instid0(VALU_DEP_4) | instskip(NEXT) | instid1(VALU_DEP_4)
	v_fma_f64 v[149:150], v[34:35], v[2:3], -v[149:150]
	v_fma_f64 v[153:154], v[36:37], v[2:3], v[4:5]
	ds_load_b128 v[2:5], v1 offset:1328
	scratch_load_b128 v[34:37], off, off offset:688
	v_fma_f64 v[151:152], v[143:144], v[6:7], v[151:152]
	v_fma_f64 v[157:158], v[141:142], v[6:7], -v[8:9]
	ds_load_b128 v[6:9], v1 offset:1344
	scratch_load_b128 v[141:144], off, off offset:704
	s_wait_loadcnt_dscnt 0x901
	v_mul_f64_e32 v[155:156], v[2:3], v[12:13]
	v_mul_f64_e32 v[12:13], v[4:5], v[12:13]
	s_wait_loadcnt_dscnt 0x800
	v_mul_f64_e32 v[159:160], v[6:7], v[16:17]
	v_mul_f64_e32 v[16:17], v[8:9], v[16:17]
	v_add_f64_e32 v[149:150], 0, v[149:150]
	v_add_f64_e32 v[153:154], 0, v[153:154]
	v_fma_f64 v[155:156], v[4:5], v[10:11], v[155:156]
	v_fma_f64 v[161:162], v[2:3], v[10:11], -v[12:13]
	ds_load_b128 v[2:5], v1 offset:1360
	scratch_load_b128 v[10:13], off, off offset:720
	v_add_f64_e32 v[149:150], v[149:150], v[157:158]
	v_add_f64_e32 v[151:152], v[153:154], v[151:152]
	v_fma_f64 v[157:158], v[8:9], v[14:15], v[159:160]
	v_fma_f64 v[159:160], v[6:7], v[14:15], -v[16:17]
	ds_load_b128 v[6:9], v1 offset:1376
	scratch_load_b128 v[14:17], off, off offset:736
	s_wait_loadcnt_dscnt 0x901
	v_mul_f64_e32 v[153:154], v[2:3], v[20:21]
	v_mul_f64_e32 v[20:21], v[4:5], v[20:21]
	v_add_f64_e32 v[149:150], v[149:150], v[161:162]
	v_add_f64_e32 v[151:152], v[151:152], v[155:156]
	s_wait_loadcnt_dscnt 0x800
	v_mul_f64_e32 v[155:156], v[6:7], v[24:25]
	v_mul_f64_e32 v[24:25], v[8:9], v[24:25]
	v_fma_f64 v[153:154], v[4:5], v[18:19], v[153:154]
	v_fma_f64 v[161:162], v[2:3], v[18:19], -v[20:21]
	ds_load_b128 v[2:5], v1 offset:1392
	scratch_load_b128 v[18:21], off, off offset:752
	v_add_f64_e32 v[149:150], v[149:150], v[159:160]
	v_add_f64_e32 v[151:152], v[151:152], v[157:158]
	v_fma_f64 v[155:156], v[8:9], v[22:23], v[155:156]
	v_fma_f64 v[159:160], v[6:7], v[22:23], -v[24:25]
	ds_load_b128 v[6:9], v1 offset:1408
	s_wait_loadcnt_dscnt 0x801
	v_mul_f64_e32 v[157:158], v[2:3], v[28:29]
	v_mul_f64_e32 v[28:29], v[4:5], v[28:29]
	scratch_load_b128 v[22:25], off, off offset:768
	v_add_f64_e32 v[149:150], v[149:150], v[161:162]
	v_add_f64_e32 v[151:152], v[151:152], v[153:154]
	s_wait_loadcnt_dscnt 0x800
	v_mul_f64_e32 v[153:154], v[6:7], v[32:33]
	v_mul_f64_e32 v[32:33], v[8:9], v[32:33]
	v_fma_f64 v[157:158], v[4:5], v[26:27], v[157:158]
	v_fma_f64 v[161:162], v[2:3], v[26:27], -v[28:29]
	ds_load_b128 v[2:5], v1 offset:1424
	scratch_load_b128 v[26:29], off, off offset:784
	v_add_f64_e32 v[149:150], v[149:150], v[159:160]
	v_add_f64_e32 v[151:152], v[151:152], v[155:156]
	v_fma_f64 v[153:154], v[8:9], v[30:31], v[153:154]
	v_fma_f64 v[30:31], v[6:7], v[30:31], -v[32:33]
	ds_load_b128 v[6:9], v1 offset:1440
	s_wait_loadcnt_dscnt 0x801
	v_mul_f64_e32 v[155:156], v[2:3], v[40:41]
	v_mul_f64_e32 v[40:41], v[4:5], v[40:41]
	v_add_f64_e32 v[32:33], v[149:150], v[161:162]
	v_add_f64_e32 v[149:150], v[151:152], v[157:158]
	s_wait_loadcnt_dscnt 0x700
	v_mul_f64_e32 v[151:152], v[6:7], v[147:148]
	v_mul_f64_e32 v[147:148], v[8:9], v[147:148]
	v_fma_f64 v[155:156], v[4:5], v[38:39], v[155:156]
	v_fma_f64 v[38:39], v[2:3], v[38:39], -v[40:41]
	ds_load_b128 v[2:5], v1 offset:1456
	v_add_f64_e32 v[30:31], v[32:33], v[30:31]
	v_add_f64_e32 v[32:33], v[149:150], v[153:154]
	v_fma_f64 v[149:150], v[8:9], v[145:146], v[151:152]
	v_fma_f64 v[145:146], v[6:7], v[145:146], -v[147:148]
	ds_load_b128 v[6:9], v1 offset:1472
	s_wait_loadcnt_dscnt 0x500
	v_mul_f64_e32 v[151:152], v[6:7], v[143:144]
	v_mul_f64_e32 v[143:144], v[8:9], v[143:144]
	v_add_f64_e32 v[38:39], v[30:31], v[38:39]
	v_add_f64_e32 v[147:148], v[32:33], v[155:156]
	scratch_load_b128 v[30:33], off, off offset:512
	v_mul_f64_e32 v[40:41], v[2:3], v[36:37]
	v_mul_f64_e32 v[36:37], v[4:5], v[36:37]
	s_delay_alu instid0(VALU_DEP_2) | instskip(NEXT) | instid1(VALU_DEP_2)
	v_fma_f64 v[40:41], v[4:5], v[34:35], v[40:41]
	v_fma_f64 v[34:35], v[2:3], v[34:35], -v[36:37]
	v_add_f64_e32 v[36:37], v[38:39], v[145:146]
	v_add_f64_e32 v[38:39], v[147:148], v[149:150]
	ds_load_b128 v[2:5], v1 offset:1488
	v_fma_f64 v[147:148], v[8:9], v[141:142], v[151:152]
	v_fma_f64 v[141:142], v[6:7], v[141:142], -v[143:144]
	ds_load_b128 v[6:9], v1 offset:1504
	s_wait_loadcnt_dscnt 0x501
	v_mul_f64_e32 v[145:146], v[2:3], v[12:13]
	v_mul_f64_e32 v[12:13], v[4:5], v[12:13]
	v_add_f64_e32 v[34:35], v[36:37], v[34:35]
	v_add_f64_e32 v[36:37], v[38:39], v[40:41]
	s_wait_loadcnt_dscnt 0x400
	v_mul_f64_e32 v[38:39], v[6:7], v[16:17]
	v_mul_f64_e32 v[16:17], v[8:9], v[16:17]
	v_fma_f64 v[40:41], v[4:5], v[10:11], v[145:146]
	v_fma_f64 v[10:11], v[2:3], v[10:11], -v[12:13]
	ds_load_b128 v[2:5], v1 offset:1520
	v_add_f64_e32 v[12:13], v[34:35], v[141:142]
	v_add_f64_e32 v[34:35], v[36:37], v[147:148]
	v_fma_f64 v[38:39], v[8:9], v[14:15], v[38:39]
	v_fma_f64 v[14:15], v[6:7], v[14:15], -v[16:17]
	ds_load_b128 v[6:9], v1 offset:1536
	s_wait_loadcnt_dscnt 0x301
	v_mul_f64_e32 v[36:37], v[2:3], v[20:21]
	v_mul_f64_e32 v[20:21], v[4:5], v[20:21]
	s_wait_loadcnt_dscnt 0x200
	v_mul_f64_e32 v[16:17], v[6:7], v[24:25]
	v_mul_f64_e32 v[24:25], v[8:9], v[24:25]
	v_add_f64_e32 v[10:11], v[12:13], v[10:11]
	v_add_f64_e32 v[12:13], v[34:35], v[40:41]
	v_fma_f64 v[34:35], v[4:5], v[18:19], v[36:37]
	v_fma_f64 v[18:19], v[2:3], v[18:19], -v[20:21]
	ds_load_b128 v[2:5], v1 offset:1552
	v_fma_f64 v[8:9], v[8:9], v[22:23], v[16:17]
	v_fma_f64 v[6:7], v[6:7], v[22:23], -v[24:25]
	s_wait_loadcnt_dscnt 0x100
	v_mul_f64_e32 v[20:21], v[4:5], v[28:29]
	v_add_f64_e32 v[10:11], v[10:11], v[14:15]
	v_add_f64_e32 v[12:13], v[12:13], v[38:39]
	v_mul_f64_e32 v[14:15], v[2:3], v[28:29]
	s_delay_alu instid0(VALU_DEP_4) | instskip(NEXT) | instid1(VALU_DEP_4)
	v_fma_f64 v[2:3], v[2:3], v[26:27], -v[20:21]
	v_add_f64_e32 v[10:11], v[10:11], v[18:19]
	s_delay_alu instid0(VALU_DEP_4) | instskip(NEXT) | instid1(VALU_DEP_4)
	v_add_f64_e32 v[12:13], v[12:13], v[34:35]
	v_fma_f64 v[4:5], v[4:5], v[26:27], v[14:15]
	s_delay_alu instid0(VALU_DEP_3) | instskip(NEXT) | instid1(VALU_DEP_3)
	v_add_f64_e32 v[6:7], v[10:11], v[6:7]
	v_add_f64_e32 v[8:9], v[12:13], v[8:9]
	s_delay_alu instid0(VALU_DEP_2) | instskip(NEXT) | instid1(VALU_DEP_2)
	v_add_f64_e32 v[2:3], v[6:7], v[2:3]
	v_add_f64_e32 v[4:5], v[8:9], v[4:5]
	s_wait_loadcnt 0x0
	s_delay_alu instid0(VALU_DEP_2) | instskip(NEXT) | instid1(VALU_DEP_2)
	v_add_f64_e64 v[2:3], v[30:31], -v[2:3]
	v_add_f64_e64 v[4:5], v[32:33], -v[4:5]
	scratch_store_b128 off, v[2:5], off offset:512
	v_cmpx_lt_u32_e32 30, v0
	s_cbranch_execz .LBB112_247
; %bb.246:
	scratch_load_b128 v[5:8], off, s31
	v_dual_mov_b32 v2, v1 :: v_dual_mov_b32 v3, v1
	v_mov_b32_e32 v4, v1
	scratch_store_b128 off, v[1:4], off offset:496
	s_wait_loadcnt 0x0
	ds_store_b128 v140, v[5:8]
.LBB112_247:
	s_wait_alu 0xfffe
	s_or_b32 exec_lo, exec_lo, s0
	s_wait_storecnt_dscnt 0x0
	s_barrier_signal -1
	s_barrier_wait -1
	global_inv scope:SCOPE_SE
	s_clause 0x7
	scratch_load_b128 v[2:5], off, off offset:512
	scratch_load_b128 v[6:9], off, off offset:528
	;; [unrolled: 1-line block ×8, first 2 shown]
	ds_load_b128 v[34:37], v1 offset:1280
	ds_load_b128 v[141:144], v1 offset:1296
	s_clause 0x1
	scratch_load_b128 v[38:41], off, off offset:640
	scratch_load_b128 v[145:148], off, off offset:656
	s_mov_b32 s0, exec_lo
	s_wait_loadcnt_dscnt 0x901
	v_mul_f64_e32 v[149:150], v[36:37], v[4:5]
	v_mul_f64_e32 v[4:5], v[34:35], v[4:5]
	s_wait_loadcnt_dscnt 0x800
	v_mul_f64_e32 v[151:152], v[141:142], v[8:9]
	v_mul_f64_e32 v[8:9], v[143:144], v[8:9]
	s_delay_alu instid0(VALU_DEP_4) | instskip(NEXT) | instid1(VALU_DEP_4)
	v_fma_f64 v[149:150], v[34:35], v[2:3], -v[149:150]
	v_fma_f64 v[153:154], v[36:37], v[2:3], v[4:5]
	scratch_load_b128 v[34:37], off, off offset:672
	ds_load_b128 v[2:5], v1 offset:1312
	v_fma_f64 v[151:152], v[143:144], v[6:7], v[151:152]
	v_fma_f64 v[157:158], v[141:142], v[6:7], -v[8:9]
	ds_load_b128 v[6:9], v1 offset:1328
	scratch_load_b128 v[141:144], off, off offset:688
	s_wait_loadcnt_dscnt 0x901
	v_mul_f64_e32 v[155:156], v[2:3], v[12:13]
	v_mul_f64_e32 v[12:13], v[4:5], v[12:13]
	s_wait_loadcnt_dscnt 0x800
	v_mul_f64_e32 v[159:160], v[6:7], v[16:17]
	v_mul_f64_e32 v[16:17], v[8:9], v[16:17]
	v_add_f64_e32 v[149:150], 0, v[149:150]
	v_add_f64_e32 v[153:154], 0, v[153:154]
	v_fma_f64 v[155:156], v[4:5], v[10:11], v[155:156]
	v_fma_f64 v[161:162], v[2:3], v[10:11], -v[12:13]
	ds_load_b128 v[2:5], v1 offset:1344
	scratch_load_b128 v[10:13], off, off offset:704
	v_add_f64_e32 v[149:150], v[149:150], v[157:158]
	v_add_f64_e32 v[151:152], v[153:154], v[151:152]
	v_fma_f64 v[157:158], v[8:9], v[14:15], v[159:160]
	v_fma_f64 v[159:160], v[6:7], v[14:15], -v[16:17]
	ds_load_b128 v[6:9], v1 offset:1360
	scratch_load_b128 v[14:17], off, off offset:720
	s_wait_loadcnt_dscnt 0x901
	v_mul_f64_e32 v[153:154], v[2:3], v[20:21]
	v_mul_f64_e32 v[20:21], v[4:5], v[20:21]
	v_add_f64_e32 v[149:150], v[149:150], v[161:162]
	v_add_f64_e32 v[151:152], v[151:152], v[155:156]
	s_wait_loadcnt_dscnt 0x800
	v_mul_f64_e32 v[155:156], v[6:7], v[24:25]
	v_mul_f64_e32 v[24:25], v[8:9], v[24:25]
	v_fma_f64 v[153:154], v[4:5], v[18:19], v[153:154]
	v_fma_f64 v[161:162], v[2:3], v[18:19], -v[20:21]
	ds_load_b128 v[2:5], v1 offset:1376
	scratch_load_b128 v[18:21], off, off offset:736
	v_add_f64_e32 v[149:150], v[149:150], v[159:160]
	v_add_f64_e32 v[151:152], v[151:152], v[157:158]
	v_fma_f64 v[155:156], v[8:9], v[22:23], v[155:156]
	v_fma_f64 v[159:160], v[6:7], v[22:23], -v[24:25]
	ds_load_b128 v[6:9], v1 offset:1392
	s_wait_loadcnt_dscnt 0x801
	v_mul_f64_e32 v[157:158], v[2:3], v[28:29]
	v_mul_f64_e32 v[28:29], v[4:5], v[28:29]
	scratch_load_b128 v[22:25], off, off offset:752
	v_add_f64_e32 v[149:150], v[149:150], v[161:162]
	v_add_f64_e32 v[151:152], v[151:152], v[153:154]
	s_wait_loadcnt_dscnt 0x800
	v_mul_f64_e32 v[153:154], v[6:7], v[32:33]
	v_mul_f64_e32 v[32:33], v[8:9], v[32:33]
	v_fma_f64 v[157:158], v[4:5], v[26:27], v[157:158]
	v_fma_f64 v[161:162], v[2:3], v[26:27], -v[28:29]
	ds_load_b128 v[2:5], v1 offset:1408
	scratch_load_b128 v[26:29], off, off offset:768
	v_add_f64_e32 v[149:150], v[149:150], v[159:160]
	v_add_f64_e32 v[151:152], v[151:152], v[155:156]
	v_fma_f64 v[153:154], v[8:9], v[30:31], v[153:154]
	v_fma_f64 v[159:160], v[6:7], v[30:31], -v[32:33]
	ds_load_b128 v[6:9], v1 offset:1424
	s_wait_loadcnt_dscnt 0x801
	v_mul_f64_e32 v[155:156], v[2:3], v[40:41]
	v_mul_f64_e32 v[40:41], v[4:5], v[40:41]
	scratch_load_b128 v[30:33], off, off offset:784
	v_add_f64_e32 v[149:150], v[149:150], v[161:162]
	v_add_f64_e32 v[151:152], v[151:152], v[157:158]
	v_fma_f64 v[155:156], v[4:5], v[38:39], v[155:156]
	v_fma_f64 v[38:39], v[2:3], v[38:39], -v[40:41]
	ds_load_b128 v[2:5], v1 offset:1440
	v_add_f64_e32 v[40:41], v[149:150], v[159:160]
	v_add_f64_e32 v[149:150], v[151:152], v[153:154]
	s_wait_loadcnt_dscnt 0x700
	v_mul_f64_e32 v[151:152], v[2:3], v[36:37]
	v_mul_f64_e32 v[36:37], v[4:5], v[36:37]
	s_delay_alu instid0(VALU_DEP_4) | instskip(NEXT) | instid1(VALU_DEP_4)
	v_add_f64_e32 v[38:39], v[40:41], v[38:39]
	v_add_f64_e32 v[40:41], v[149:150], v[155:156]
	s_delay_alu instid0(VALU_DEP_4) | instskip(NEXT) | instid1(VALU_DEP_4)
	v_fma_f64 v[149:150], v[4:5], v[34:35], v[151:152]
	v_fma_f64 v[151:152], v[2:3], v[34:35], -v[36:37]
	scratch_load_b128 v[34:37], off, off offset:496
	v_mul_f64_e32 v[157:158], v[6:7], v[147:148]
	v_mul_f64_e32 v[147:148], v[8:9], v[147:148]
	ds_load_b128 v[2:5], v1 offset:1472
	v_fma_f64 v[153:154], v[8:9], v[145:146], v[157:158]
	v_fma_f64 v[145:146], v[6:7], v[145:146], -v[147:148]
	ds_load_b128 v[6:9], v1 offset:1456
	s_wait_loadcnt_dscnt 0x700
	v_mul_f64_e32 v[147:148], v[6:7], v[143:144]
	v_mul_f64_e32 v[143:144], v[8:9], v[143:144]
	v_add_f64_e32 v[40:41], v[40:41], v[153:154]
	v_add_f64_e32 v[38:39], v[38:39], v[145:146]
	s_wait_loadcnt 0x6
	v_mul_f64_e32 v[145:146], v[2:3], v[12:13]
	v_mul_f64_e32 v[12:13], v[4:5], v[12:13]
	v_fma_f64 v[147:148], v[8:9], v[141:142], v[147:148]
	v_fma_f64 v[141:142], v[6:7], v[141:142], -v[143:144]
	ds_load_b128 v[6:9], v1 offset:1488
	v_add_f64_e32 v[40:41], v[40:41], v[149:150]
	v_add_f64_e32 v[38:39], v[38:39], v[151:152]
	v_fma_f64 v[145:146], v[4:5], v[10:11], v[145:146]
	v_fma_f64 v[10:11], v[2:3], v[10:11], -v[12:13]
	ds_load_b128 v[2:5], v1 offset:1504
	s_wait_loadcnt_dscnt 0x501
	v_mul_f64_e32 v[143:144], v[6:7], v[16:17]
	v_mul_f64_e32 v[16:17], v[8:9], v[16:17]
	v_add_f64_e32 v[12:13], v[38:39], v[141:142]
	v_add_f64_e32 v[38:39], v[40:41], v[147:148]
	s_wait_loadcnt_dscnt 0x400
	v_mul_f64_e32 v[40:41], v[2:3], v[20:21]
	v_mul_f64_e32 v[20:21], v[4:5], v[20:21]
	v_fma_f64 v[141:142], v[8:9], v[14:15], v[143:144]
	v_fma_f64 v[14:15], v[6:7], v[14:15], -v[16:17]
	ds_load_b128 v[6:9], v1 offset:1520
	v_add_f64_e32 v[10:11], v[12:13], v[10:11]
	v_add_f64_e32 v[12:13], v[38:39], v[145:146]
	v_fma_f64 v[38:39], v[4:5], v[18:19], v[40:41]
	v_fma_f64 v[18:19], v[2:3], v[18:19], -v[20:21]
	ds_load_b128 v[2:5], v1 offset:1536
	s_wait_loadcnt_dscnt 0x301
	v_mul_f64_e32 v[16:17], v[6:7], v[24:25]
	v_mul_f64_e32 v[24:25], v[8:9], v[24:25]
	s_wait_loadcnt_dscnt 0x200
	v_mul_f64_e32 v[20:21], v[4:5], v[28:29]
	v_add_f64_e32 v[10:11], v[10:11], v[14:15]
	v_add_f64_e32 v[12:13], v[12:13], v[141:142]
	v_mul_f64_e32 v[14:15], v[2:3], v[28:29]
	v_fma_f64 v[16:17], v[8:9], v[22:23], v[16:17]
	v_fma_f64 v[22:23], v[6:7], v[22:23], -v[24:25]
	ds_load_b128 v[6:9], v1 offset:1552
	v_fma_f64 v[1:2], v[2:3], v[26:27], -v[20:21]
	s_wait_loadcnt_dscnt 0x100
	v_mul_f64_e32 v[24:25], v[8:9], v[32:33]
	v_add_f64_e32 v[10:11], v[10:11], v[18:19]
	v_add_f64_e32 v[12:13], v[12:13], v[38:39]
	v_mul_f64_e32 v[18:19], v[6:7], v[32:33]
	v_fma_f64 v[4:5], v[4:5], v[26:27], v[14:15]
	v_fma_f64 v[6:7], v[6:7], v[30:31], -v[24:25]
	v_add_f64_e32 v[10:11], v[10:11], v[22:23]
	v_add_f64_e32 v[12:13], v[12:13], v[16:17]
	v_fma_f64 v[8:9], v[8:9], v[30:31], v[18:19]
	s_delay_alu instid0(VALU_DEP_3) | instskip(NEXT) | instid1(VALU_DEP_3)
	v_add_f64_e32 v[1:2], v[10:11], v[1:2]
	v_add_f64_e32 v[3:4], v[12:13], v[4:5]
	s_delay_alu instid0(VALU_DEP_2) | instskip(NEXT) | instid1(VALU_DEP_2)
	v_add_f64_e32 v[1:2], v[1:2], v[6:7]
	v_add_f64_e32 v[3:4], v[3:4], v[8:9]
	s_wait_loadcnt 0x0
	s_delay_alu instid0(VALU_DEP_2) | instskip(NEXT) | instid1(VALU_DEP_2)
	v_add_f64_e64 v[1:2], v[34:35], -v[1:2]
	v_add_f64_e64 v[3:4], v[36:37], -v[3:4]
	scratch_store_b128 off, v[1:4], off offset:496
	v_cmpx_lt_u32_e32 29, v0
	s_cbranch_execz .LBB112_249
; %bb.248:
	scratch_load_b128 v[1:4], off, s33
	v_mov_b32_e32 v5, 0
	s_delay_alu instid0(VALU_DEP_1)
	v_dual_mov_b32 v6, v5 :: v_dual_mov_b32 v7, v5
	v_mov_b32_e32 v8, v5
	scratch_store_b128 off, v[5:8], off offset:480
	s_wait_loadcnt 0x0
	ds_store_b128 v140, v[1:4]
.LBB112_249:
	s_wait_alu 0xfffe
	s_or_b32 exec_lo, exec_lo, s0
	s_wait_storecnt_dscnt 0x0
	s_barrier_signal -1
	s_barrier_wait -1
	global_inv scope:SCOPE_SE
	s_clause 0x7
	scratch_load_b128 v[2:5], off, off offset:496
	scratch_load_b128 v[6:9], off, off offset:512
	;; [unrolled: 1-line block ×8, first 2 shown]
	v_mov_b32_e32 v1, 0
	s_clause 0x1
	scratch_load_b128 v[38:41], off, off offset:624
	scratch_load_b128 v[145:148], off, off offset:640
	s_mov_b32 s0, exec_lo
	ds_load_b128 v[34:37], v1 offset:1264
	ds_load_b128 v[141:144], v1 offset:1280
	s_wait_loadcnt_dscnt 0x901
	v_mul_f64_e32 v[149:150], v[36:37], v[4:5]
	v_mul_f64_e32 v[4:5], v[34:35], v[4:5]
	s_wait_loadcnt_dscnt 0x800
	v_mul_f64_e32 v[151:152], v[141:142], v[8:9]
	v_mul_f64_e32 v[8:9], v[143:144], v[8:9]
	s_delay_alu instid0(VALU_DEP_4) | instskip(NEXT) | instid1(VALU_DEP_4)
	v_fma_f64 v[149:150], v[34:35], v[2:3], -v[149:150]
	v_fma_f64 v[153:154], v[36:37], v[2:3], v[4:5]
	ds_load_b128 v[2:5], v1 offset:1296
	scratch_load_b128 v[34:37], off, off offset:656
	v_fma_f64 v[151:152], v[143:144], v[6:7], v[151:152]
	v_fma_f64 v[157:158], v[141:142], v[6:7], -v[8:9]
	ds_load_b128 v[6:9], v1 offset:1312
	scratch_load_b128 v[141:144], off, off offset:672
	s_wait_loadcnt_dscnt 0x901
	v_mul_f64_e32 v[155:156], v[2:3], v[12:13]
	v_mul_f64_e32 v[12:13], v[4:5], v[12:13]
	s_wait_loadcnt_dscnt 0x800
	v_mul_f64_e32 v[159:160], v[6:7], v[16:17]
	v_mul_f64_e32 v[16:17], v[8:9], v[16:17]
	v_add_f64_e32 v[149:150], 0, v[149:150]
	v_add_f64_e32 v[153:154], 0, v[153:154]
	v_fma_f64 v[155:156], v[4:5], v[10:11], v[155:156]
	v_fma_f64 v[161:162], v[2:3], v[10:11], -v[12:13]
	ds_load_b128 v[2:5], v1 offset:1328
	scratch_load_b128 v[10:13], off, off offset:688
	v_add_f64_e32 v[149:150], v[149:150], v[157:158]
	v_add_f64_e32 v[151:152], v[153:154], v[151:152]
	v_fma_f64 v[157:158], v[8:9], v[14:15], v[159:160]
	v_fma_f64 v[159:160], v[6:7], v[14:15], -v[16:17]
	ds_load_b128 v[6:9], v1 offset:1344
	scratch_load_b128 v[14:17], off, off offset:704
	s_wait_loadcnt_dscnt 0x901
	v_mul_f64_e32 v[153:154], v[2:3], v[20:21]
	v_mul_f64_e32 v[20:21], v[4:5], v[20:21]
	v_add_f64_e32 v[149:150], v[149:150], v[161:162]
	v_add_f64_e32 v[151:152], v[151:152], v[155:156]
	s_wait_loadcnt_dscnt 0x800
	v_mul_f64_e32 v[155:156], v[6:7], v[24:25]
	v_mul_f64_e32 v[24:25], v[8:9], v[24:25]
	v_fma_f64 v[153:154], v[4:5], v[18:19], v[153:154]
	v_fma_f64 v[161:162], v[2:3], v[18:19], -v[20:21]
	ds_load_b128 v[2:5], v1 offset:1360
	scratch_load_b128 v[18:21], off, off offset:720
	v_add_f64_e32 v[149:150], v[149:150], v[159:160]
	v_add_f64_e32 v[151:152], v[151:152], v[157:158]
	v_fma_f64 v[155:156], v[8:9], v[22:23], v[155:156]
	v_fma_f64 v[159:160], v[6:7], v[22:23], -v[24:25]
	ds_load_b128 v[6:9], v1 offset:1376
	s_wait_loadcnt_dscnt 0x801
	v_mul_f64_e32 v[157:158], v[2:3], v[28:29]
	v_mul_f64_e32 v[28:29], v[4:5], v[28:29]
	scratch_load_b128 v[22:25], off, off offset:736
	v_add_f64_e32 v[149:150], v[149:150], v[161:162]
	v_add_f64_e32 v[151:152], v[151:152], v[153:154]
	s_wait_loadcnt_dscnt 0x800
	v_mul_f64_e32 v[153:154], v[6:7], v[32:33]
	v_mul_f64_e32 v[32:33], v[8:9], v[32:33]
	v_fma_f64 v[157:158], v[4:5], v[26:27], v[157:158]
	v_fma_f64 v[161:162], v[2:3], v[26:27], -v[28:29]
	ds_load_b128 v[2:5], v1 offset:1392
	scratch_load_b128 v[26:29], off, off offset:752
	v_add_f64_e32 v[149:150], v[149:150], v[159:160]
	v_add_f64_e32 v[151:152], v[151:152], v[155:156]
	v_fma_f64 v[153:154], v[8:9], v[30:31], v[153:154]
	v_fma_f64 v[159:160], v[6:7], v[30:31], -v[32:33]
	ds_load_b128 v[6:9], v1 offset:1408
	s_wait_loadcnt_dscnt 0x801
	v_mul_f64_e32 v[155:156], v[2:3], v[40:41]
	v_mul_f64_e32 v[40:41], v[4:5], v[40:41]
	scratch_load_b128 v[30:33], off, off offset:768
	v_add_f64_e32 v[149:150], v[149:150], v[161:162]
	v_add_f64_e32 v[151:152], v[151:152], v[157:158]
	s_wait_loadcnt_dscnt 0x800
	v_mul_f64_e32 v[157:158], v[6:7], v[147:148]
	v_mul_f64_e32 v[147:148], v[8:9], v[147:148]
	v_fma_f64 v[155:156], v[4:5], v[38:39], v[155:156]
	v_fma_f64 v[161:162], v[2:3], v[38:39], -v[40:41]
	ds_load_b128 v[2:5], v1 offset:1424
	scratch_load_b128 v[38:41], off, off offset:784
	v_add_f64_e32 v[149:150], v[149:150], v[159:160]
	v_add_f64_e32 v[151:152], v[151:152], v[153:154]
	v_fma_f64 v[157:158], v[8:9], v[145:146], v[157:158]
	v_fma_f64 v[145:146], v[6:7], v[145:146], -v[147:148]
	ds_load_b128 v[6:9], v1 offset:1440
	s_wait_loadcnt_dscnt 0x801
	v_mul_f64_e32 v[153:154], v[2:3], v[36:37]
	v_mul_f64_e32 v[36:37], v[4:5], v[36:37]
	v_add_f64_e32 v[147:148], v[149:150], v[161:162]
	v_add_f64_e32 v[149:150], v[151:152], v[155:156]
	s_wait_loadcnt_dscnt 0x700
	v_mul_f64_e32 v[151:152], v[6:7], v[143:144]
	v_mul_f64_e32 v[143:144], v[8:9], v[143:144]
	v_fma_f64 v[153:154], v[4:5], v[34:35], v[153:154]
	v_fma_f64 v[34:35], v[2:3], v[34:35], -v[36:37]
	ds_load_b128 v[2:5], v1 offset:1456
	v_add_f64_e32 v[36:37], v[147:148], v[145:146]
	v_add_f64_e32 v[145:146], v[149:150], v[157:158]
	v_fma_f64 v[149:150], v[8:9], v[141:142], v[151:152]
	v_fma_f64 v[141:142], v[6:7], v[141:142], -v[143:144]
	ds_load_b128 v[6:9], v1 offset:1472
	s_wait_loadcnt_dscnt 0x500
	v_mul_f64_e32 v[151:152], v[6:7], v[16:17]
	v_mul_f64_e32 v[16:17], v[8:9], v[16:17]
	v_add_f64_e32 v[143:144], v[36:37], v[34:35]
	v_add_f64_e32 v[145:146], v[145:146], v[153:154]
	scratch_load_b128 v[34:37], off, off offset:480
	v_mul_f64_e32 v[147:148], v[2:3], v[12:13]
	v_mul_f64_e32 v[12:13], v[4:5], v[12:13]
	s_delay_alu instid0(VALU_DEP_2) | instskip(NEXT) | instid1(VALU_DEP_2)
	v_fma_f64 v[147:148], v[4:5], v[10:11], v[147:148]
	v_fma_f64 v[10:11], v[2:3], v[10:11], -v[12:13]
	v_add_f64_e32 v[12:13], v[143:144], v[141:142]
	v_add_f64_e32 v[141:142], v[145:146], v[149:150]
	ds_load_b128 v[2:5], v1 offset:1488
	v_fma_f64 v[145:146], v[8:9], v[14:15], v[151:152]
	v_fma_f64 v[14:15], v[6:7], v[14:15], -v[16:17]
	ds_load_b128 v[6:9], v1 offset:1504
	s_wait_loadcnt_dscnt 0x501
	v_mul_f64_e32 v[143:144], v[2:3], v[20:21]
	v_mul_f64_e32 v[20:21], v[4:5], v[20:21]
	s_wait_loadcnt_dscnt 0x400
	v_mul_f64_e32 v[16:17], v[6:7], v[24:25]
	v_mul_f64_e32 v[24:25], v[8:9], v[24:25]
	v_add_f64_e32 v[10:11], v[12:13], v[10:11]
	v_add_f64_e32 v[12:13], v[141:142], v[147:148]
	v_fma_f64 v[141:142], v[4:5], v[18:19], v[143:144]
	v_fma_f64 v[18:19], v[2:3], v[18:19], -v[20:21]
	ds_load_b128 v[2:5], v1 offset:1520
	v_fma_f64 v[16:17], v[8:9], v[22:23], v[16:17]
	v_fma_f64 v[22:23], v[6:7], v[22:23], -v[24:25]
	ds_load_b128 v[6:9], v1 offset:1536
	v_add_f64_e32 v[10:11], v[10:11], v[14:15]
	v_add_f64_e32 v[12:13], v[12:13], v[145:146]
	s_wait_loadcnt_dscnt 0x301
	v_mul_f64_e32 v[14:15], v[2:3], v[28:29]
	v_mul_f64_e32 v[20:21], v[4:5], v[28:29]
	s_wait_loadcnt_dscnt 0x200
	v_mul_f64_e32 v[24:25], v[8:9], v[32:33]
	v_add_f64_e32 v[10:11], v[10:11], v[18:19]
	v_add_f64_e32 v[12:13], v[12:13], v[141:142]
	v_mul_f64_e32 v[18:19], v[6:7], v[32:33]
	v_fma_f64 v[14:15], v[4:5], v[26:27], v[14:15]
	v_fma_f64 v[20:21], v[2:3], v[26:27], -v[20:21]
	ds_load_b128 v[2:5], v1 offset:1552
	v_fma_f64 v[6:7], v[6:7], v[30:31], -v[24:25]
	v_add_f64_e32 v[10:11], v[10:11], v[22:23]
	v_add_f64_e32 v[12:13], v[12:13], v[16:17]
	s_wait_loadcnt_dscnt 0x100
	v_mul_f64_e32 v[16:17], v[2:3], v[40:41]
	v_mul_f64_e32 v[22:23], v[4:5], v[40:41]
	v_fma_f64 v[8:9], v[8:9], v[30:31], v[18:19]
	v_add_f64_e32 v[10:11], v[10:11], v[20:21]
	v_add_f64_e32 v[12:13], v[12:13], v[14:15]
	v_fma_f64 v[4:5], v[4:5], v[38:39], v[16:17]
	v_fma_f64 v[2:3], v[2:3], v[38:39], -v[22:23]
	s_delay_alu instid0(VALU_DEP_4) | instskip(NEXT) | instid1(VALU_DEP_4)
	v_add_f64_e32 v[6:7], v[10:11], v[6:7]
	v_add_f64_e32 v[8:9], v[12:13], v[8:9]
	s_delay_alu instid0(VALU_DEP_2) | instskip(NEXT) | instid1(VALU_DEP_2)
	v_add_f64_e32 v[2:3], v[6:7], v[2:3]
	v_add_f64_e32 v[4:5], v[8:9], v[4:5]
	s_wait_loadcnt 0x0
	s_delay_alu instid0(VALU_DEP_2) | instskip(NEXT) | instid1(VALU_DEP_2)
	v_add_f64_e64 v[2:3], v[34:35], -v[2:3]
	v_add_f64_e64 v[4:5], v[36:37], -v[4:5]
	scratch_store_b128 off, v[2:5], off offset:480
	v_cmpx_lt_u32_e32 28, v0
	s_cbranch_execz .LBB112_251
; %bb.250:
	scratch_load_b128 v[5:8], off, s34
	v_dual_mov_b32 v2, v1 :: v_dual_mov_b32 v3, v1
	v_mov_b32_e32 v4, v1
	scratch_store_b128 off, v[1:4], off offset:464
	s_wait_loadcnt 0x0
	ds_store_b128 v140, v[5:8]
.LBB112_251:
	s_wait_alu 0xfffe
	s_or_b32 exec_lo, exec_lo, s0
	s_wait_storecnt_dscnt 0x0
	s_barrier_signal -1
	s_barrier_wait -1
	global_inv scope:SCOPE_SE
	s_clause 0x7
	scratch_load_b128 v[2:5], off, off offset:480
	scratch_load_b128 v[6:9], off, off offset:496
	;; [unrolled: 1-line block ×8, first 2 shown]
	ds_load_b128 v[34:37], v1 offset:1248
	ds_load_b128 v[141:144], v1 offset:1264
	s_clause 0x1
	scratch_load_b128 v[38:41], off, off offset:608
	scratch_load_b128 v[145:148], off, off offset:624
	s_mov_b32 s0, exec_lo
	s_wait_loadcnt_dscnt 0x901
	v_mul_f64_e32 v[149:150], v[36:37], v[4:5]
	v_mul_f64_e32 v[4:5], v[34:35], v[4:5]
	s_wait_loadcnt_dscnt 0x800
	v_mul_f64_e32 v[151:152], v[141:142], v[8:9]
	v_mul_f64_e32 v[8:9], v[143:144], v[8:9]
	s_delay_alu instid0(VALU_DEP_4) | instskip(NEXT) | instid1(VALU_DEP_4)
	v_fma_f64 v[149:150], v[34:35], v[2:3], -v[149:150]
	v_fma_f64 v[153:154], v[36:37], v[2:3], v[4:5]
	ds_load_b128 v[2:5], v1 offset:1280
	scratch_load_b128 v[34:37], off, off offset:640
	v_fma_f64 v[151:152], v[143:144], v[6:7], v[151:152]
	v_fma_f64 v[157:158], v[141:142], v[6:7], -v[8:9]
	ds_load_b128 v[6:9], v1 offset:1296
	scratch_load_b128 v[141:144], off, off offset:656
	s_wait_loadcnt_dscnt 0x901
	v_mul_f64_e32 v[155:156], v[2:3], v[12:13]
	v_mul_f64_e32 v[12:13], v[4:5], v[12:13]
	s_wait_loadcnt_dscnt 0x800
	v_mul_f64_e32 v[159:160], v[6:7], v[16:17]
	v_mul_f64_e32 v[16:17], v[8:9], v[16:17]
	v_add_f64_e32 v[149:150], 0, v[149:150]
	v_add_f64_e32 v[153:154], 0, v[153:154]
	v_fma_f64 v[155:156], v[4:5], v[10:11], v[155:156]
	v_fma_f64 v[161:162], v[2:3], v[10:11], -v[12:13]
	scratch_load_b128 v[10:13], off, off offset:672
	ds_load_b128 v[2:5], v1 offset:1312
	v_add_f64_e32 v[149:150], v[149:150], v[157:158]
	v_add_f64_e32 v[151:152], v[153:154], v[151:152]
	v_fma_f64 v[157:158], v[8:9], v[14:15], v[159:160]
	v_fma_f64 v[159:160], v[6:7], v[14:15], -v[16:17]
	ds_load_b128 v[6:9], v1 offset:1328
	scratch_load_b128 v[14:17], off, off offset:688
	s_wait_loadcnt_dscnt 0x901
	v_mul_f64_e32 v[153:154], v[2:3], v[20:21]
	v_mul_f64_e32 v[20:21], v[4:5], v[20:21]
	v_add_f64_e32 v[149:150], v[149:150], v[161:162]
	v_add_f64_e32 v[151:152], v[151:152], v[155:156]
	s_wait_loadcnt_dscnt 0x800
	v_mul_f64_e32 v[155:156], v[6:7], v[24:25]
	v_mul_f64_e32 v[24:25], v[8:9], v[24:25]
	v_fma_f64 v[153:154], v[4:5], v[18:19], v[153:154]
	v_fma_f64 v[161:162], v[2:3], v[18:19], -v[20:21]
	ds_load_b128 v[2:5], v1 offset:1344
	scratch_load_b128 v[18:21], off, off offset:704
	v_add_f64_e32 v[149:150], v[149:150], v[159:160]
	v_add_f64_e32 v[151:152], v[151:152], v[157:158]
	v_fma_f64 v[155:156], v[8:9], v[22:23], v[155:156]
	v_fma_f64 v[159:160], v[6:7], v[22:23], -v[24:25]
	ds_load_b128 v[6:9], v1 offset:1360
	s_wait_loadcnt_dscnt 0x801
	v_mul_f64_e32 v[157:158], v[2:3], v[28:29]
	v_mul_f64_e32 v[28:29], v[4:5], v[28:29]
	scratch_load_b128 v[22:25], off, off offset:720
	v_add_f64_e32 v[149:150], v[149:150], v[161:162]
	v_add_f64_e32 v[151:152], v[151:152], v[153:154]
	s_wait_loadcnt_dscnt 0x800
	v_mul_f64_e32 v[153:154], v[6:7], v[32:33]
	v_mul_f64_e32 v[32:33], v[8:9], v[32:33]
	v_fma_f64 v[157:158], v[4:5], v[26:27], v[157:158]
	v_fma_f64 v[161:162], v[2:3], v[26:27], -v[28:29]
	ds_load_b128 v[2:5], v1 offset:1376
	scratch_load_b128 v[26:29], off, off offset:736
	v_add_f64_e32 v[149:150], v[149:150], v[159:160]
	v_add_f64_e32 v[151:152], v[151:152], v[155:156]
	v_fma_f64 v[153:154], v[8:9], v[30:31], v[153:154]
	v_fma_f64 v[159:160], v[6:7], v[30:31], -v[32:33]
	ds_load_b128 v[6:9], v1 offset:1392
	s_wait_loadcnt_dscnt 0x801
	v_mul_f64_e32 v[155:156], v[2:3], v[40:41]
	v_mul_f64_e32 v[40:41], v[4:5], v[40:41]
	scratch_load_b128 v[30:33], off, off offset:752
	v_add_f64_e32 v[149:150], v[149:150], v[161:162]
	v_add_f64_e32 v[151:152], v[151:152], v[157:158]
	s_wait_loadcnt_dscnt 0x800
	v_mul_f64_e32 v[157:158], v[6:7], v[147:148]
	v_mul_f64_e32 v[147:148], v[8:9], v[147:148]
	v_fma_f64 v[155:156], v[4:5], v[38:39], v[155:156]
	v_fma_f64 v[161:162], v[2:3], v[38:39], -v[40:41]
	ds_load_b128 v[2:5], v1 offset:1408
	scratch_load_b128 v[38:41], off, off offset:768
	v_add_f64_e32 v[149:150], v[149:150], v[159:160]
	v_add_f64_e32 v[151:152], v[151:152], v[153:154]
	v_fma_f64 v[157:158], v[8:9], v[145:146], v[157:158]
	v_fma_f64 v[159:160], v[6:7], v[145:146], -v[147:148]
	ds_load_b128 v[6:9], v1 offset:1424
	scratch_load_b128 v[145:148], off, off offset:784
	s_wait_loadcnt_dscnt 0x901
	v_mul_f64_e32 v[153:154], v[2:3], v[36:37]
	v_mul_f64_e32 v[36:37], v[4:5], v[36:37]
	v_add_f64_e32 v[149:150], v[149:150], v[161:162]
	v_add_f64_e32 v[151:152], v[151:152], v[155:156]
	s_delay_alu instid0(VALU_DEP_4) | instskip(NEXT) | instid1(VALU_DEP_4)
	v_fma_f64 v[153:154], v[4:5], v[34:35], v[153:154]
	v_fma_f64 v[34:35], v[2:3], v[34:35], -v[36:37]
	ds_load_b128 v[2:5], v1 offset:1440
	v_add_f64_e32 v[36:37], v[149:150], v[159:160]
	v_add_f64_e32 v[149:150], v[151:152], v[157:158]
	s_wait_loadcnt_dscnt 0x700
	v_mul_f64_e32 v[151:152], v[2:3], v[12:13]
	v_mul_f64_e32 v[12:13], v[4:5], v[12:13]
	s_delay_alu instid0(VALU_DEP_4) | instskip(NEXT) | instid1(VALU_DEP_4)
	v_add_f64_e32 v[34:35], v[36:37], v[34:35]
	v_add_f64_e32 v[36:37], v[149:150], v[153:154]
	s_delay_alu instid0(VALU_DEP_4) | instskip(NEXT) | instid1(VALU_DEP_4)
	v_fma_f64 v[149:150], v[4:5], v[10:11], v[151:152]
	v_fma_f64 v[151:152], v[2:3], v[10:11], -v[12:13]
	scratch_load_b128 v[10:13], off, off offset:464
	v_mul_f64_e32 v[155:156], v[6:7], v[143:144]
	v_mul_f64_e32 v[143:144], v[8:9], v[143:144]
	ds_load_b128 v[2:5], v1 offset:1472
	v_fma_f64 v[155:156], v[8:9], v[141:142], v[155:156]
	v_fma_f64 v[141:142], v[6:7], v[141:142], -v[143:144]
	ds_load_b128 v[6:9], v1 offset:1456
	s_wait_loadcnt_dscnt 0x700
	v_mul_f64_e32 v[143:144], v[6:7], v[16:17]
	v_mul_f64_e32 v[16:17], v[8:9], v[16:17]
	v_add_f64_e32 v[36:37], v[36:37], v[155:156]
	v_add_f64_e32 v[34:35], v[34:35], v[141:142]
	s_wait_loadcnt 0x6
	v_mul_f64_e32 v[141:142], v[2:3], v[20:21]
	v_mul_f64_e32 v[20:21], v[4:5], v[20:21]
	v_fma_f64 v[143:144], v[8:9], v[14:15], v[143:144]
	v_fma_f64 v[14:15], v[6:7], v[14:15], -v[16:17]
	ds_load_b128 v[6:9], v1 offset:1488
	v_add_f64_e32 v[16:17], v[34:35], v[151:152]
	v_add_f64_e32 v[34:35], v[36:37], v[149:150]
	v_fma_f64 v[141:142], v[4:5], v[18:19], v[141:142]
	v_fma_f64 v[18:19], v[2:3], v[18:19], -v[20:21]
	ds_load_b128 v[2:5], v1 offset:1504
	s_wait_loadcnt_dscnt 0x501
	v_mul_f64_e32 v[36:37], v[6:7], v[24:25]
	v_mul_f64_e32 v[24:25], v[8:9], v[24:25]
	s_wait_loadcnt_dscnt 0x400
	v_mul_f64_e32 v[20:21], v[2:3], v[28:29]
	v_mul_f64_e32 v[28:29], v[4:5], v[28:29]
	v_add_f64_e32 v[14:15], v[16:17], v[14:15]
	v_add_f64_e32 v[16:17], v[34:35], v[143:144]
	v_fma_f64 v[34:35], v[8:9], v[22:23], v[36:37]
	v_fma_f64 v[22:23], v[6:7], v[22:23], -v[24:25]
	ds_load_b128 v[6:9], v1 offset:1520
	v_fma_f64 v[20:21], v[4:5], v[26:27], v[20:21]
	v_fma_f64 v[26:27], v[2:3], v[26:27], -v[28:29]
	ds_load_b128 v[2:5], v1 offset:1536
	s_wait_loadcnt_dscnt 0x301
	v_mul_f64_e32 v[24:25], v[8:9], v[32:33]
	v_add_f64_e32 v[14:15], v[14:15], v[18:19]
	v_add_f64_e32 v[16:17], v[16:17], v[141:142]
	v_mul_f64_e32 v[18:19], v[6:7], v[32:33]
	s_wait_loadcnt_dscnt 0x200
	v_mul_f64_e32 v[28:29], v[4:5], v[40:41]
	v_fma_f64 v[24:25], v[6:7], v[30:31], -v[24:25]
	v_add_f64_e32 v[14:15], v[14:15], v[22:23]
	v_add_f64_e32 v[16:17], v[16:17], v[34:35]
	v_mul_f64_e32 v[22:23], v[2:3], v[40:41]
	v_fma_f64 v[18:19], v[8:9], v[30:31], v[18:19]
	ds_load_b128 v[6:9], v1 offset:1552
	v_fma_f64 v[1:2], v[2:3], v[38:39], -v[28:29]
	v_add_f64_e32 v[14:15], v[14:15], v[26:27]
	v_add_f64_e32 v[16:17], v[16:17], v[20:21]
	s_wait_loadcnt_dscnt 0x100
	v_mul_f64_e32 v[20:21], v[6:7], v[147:148]
	v_mul_f64_e32 v[26:27], v[8:9], v[147:148]
	v_fma_f64 v[4:5], v[4:5], v[38:39], v[22:23]
	v_add_f64_e32 v[14:15], v[14:15], v[24:25]
	v_add_f64_e32 v[16:17], v[16:17], v[18:19]
	v_fma_f64 v[8:9], v[8:9], v[145:146], v[20:21]
	v_fma_f64 v[6:7], v[6:7], v[145:146], -v[26:27]
	s_delay_alu instid0(VALU_DEP_4) | instskip(NEXT) | instid1(VALU_DEP_4)
	v_add_f64_e32 v[1:2], v[14:15], v[1:2]
	v_add_f64_e32 v[3:4], v[16:17], v[4:5]
	s_delay_alu instid0(VALU_DEP_2) | instskip(NEXT) | instid1(VALU_DEP_2)
	v_add_f64_e32 v[1:2], v[1:2], v[6:7]
	v_add_f64_e32 v[3:4], v[3:4], v[8:9]
	s_wait_loadcnt 0x0
	s_delay_alu instid0(VALU_DEP_2) | instskip(NEXT) | instid1(VALU_DEP_2)
	v_add_f64_e64 v[1:2], v[10:11], -v[1:2]
	v_add_f64_e64 v[3:4], v[12:13], -v[3:4]
	scratch_store_b128 off, v[1:4], off offset:464
	v_cmpx_lt_u32_e32 27, v0
	s_cbranch_execz .LBB112_253
; %bb.252:
	scratch_load_b128 v[1:4], off, s35
	v_mov_b32_e32 v5, 0
	s_delay_alu instid0(VALU_DEP_1)
	v_dual_mov_b32 v6, v5 :: v_dual_mov_b32 v7, v5
	v_mov_b32_e32 v8, v5
	scratch_store_b128 off, v[5:8], off offset:448
	s_wait_loadcnt 0x0
	ds_store_b128 v140, v[1:4]
.LBB112_253:
	s_wait_alu 0xfffe
	s_or_b32 exec_lo, exec_lo, s0
	s_wait_storecnt_dscnt 0x0
	s_barrier_signal -1
	s_barrier_wait -1
	global_inv scope:SCOPE_SE
	s_clause 0x7
	scratch_load_b128 v[2:5], off, off offset:464
	scratch_load_b128 v[6:9], off, off offset:480
	;; [unrolled: 1-line block ×8, first 2 shown]
	v_mov_b32_e32 v1, 0
	s_clause 0x1
	scratch_load_b128 v[38:41], off, off offset:592
	scratch_load_b128 v[145:148], off, off offset:608
	s_mov_b32 s0, exec_lo
	ds_load_b128 v[34:37], v1 offset:1232
	ds_load_b128 v[141:144], v1 offset:1248
	s_wait_loadcnt_dscnt 0x901
	v_mul_f64_e32 v[149:150], v[36:37], v[4:5]
	v_mul_f64_e32 v[4:5], v[34:35], v[4:5]
	s_wait_loadcnt_dscnt 0x800
	v_mul_f64_e32 v[151:152], v[141:142], v[8:9]
	v_mul_f64_e32 v[8:9], v[143:144], v[8:9]
	s_delay_alu instid0(VALU_DEP_4) | instskip(NEXT) | instid1(VALU_DEP_4)
	v_fma_f64 v[149:150], v[34:35], v[2:3], -v[149:150]
	v_fma_f64 v[153:154], v[36:37], v[2:3], v[4:5]
	ds_load_b128 v[2:5], v1 offset:1264
	scratch_load_b128 v[34:37], off, off offset:624
	v_fma_f64 v[151:152], v[143:144], v[6:7], v[151:152]
	v_fma_f64 v[157:158], v[141:142], v[6:7], -v[8:9]
	ds_load_b128 v[6:9], v1 offset:1280
	scratch_load_b128 v[141:144], off, off offset:640
	s_wait_loadcnt_dscnt 0x901
	v_mul_f64_e32 v[155:156], v[2:3], v[12:13]
	v_mul_f64_e32 v[12:13], v[4:5], v[12:13]
	s_wait_loadcnt_dscnt 0x800
	v_mul_f64_e32 v[159:160], v[6:7], v[16:17]
	v_mul_f64_e32 v[16:17], v[8:9], v[16:17]
	v_add_f64_e32 v[149:150], 0, v[149:150]
	v_add_f64_e32 v[153:154], 0, v[153:154]
	v_fma_f64 v[155:156], v[4:5], v[10:11], v[155:156]
	v_fma_f64 v[161:162], v[2:3], v[10:11], -v[12:13]
	ds_load_b128 v[2:5], v1 offset:1296
	scratch_load_b128 v[10:13], off, off offset:656
	v_add_f64_e32 v[149:150], v[149:150], v[157:158]
	v_add_f64_e32 v[151:152], v[153:154], v[151:152]
	v_fma_f64 v[157:158], v[8:9], v[14:15], v[159:160]
	v_fma_f64 v[159:160], v[6:7], v[14:15], -v[16:17]
	ds_load_b128 v[6:9], v1 offset:1312
	scratch_load_b128 v[14:17], off, off offset:672
	s_wait_loadcnt_dscnt 0x901
	v_mul_f64_e32 v[153:154], v[2:3], v[20:21]
	v_mul_f64_e32 v[20:21], v[4:5], v[20:21]
	v_add_f64_e32 v[149:150], v[149:150], v[161:162]
	v_add_f64_e32 v[151:152], v[151:152], v[155:156]
	s_wait_loadcnt_dscnt 0x800
	v_mul_f64_e32 v[155:156], v[6:7], v[24:25]
	v_mul_f64_e32 v[24:25], v[8:9], v[24:25]
	v_fma_f64 v[153:154], v[4:5], v[18:19], v[153:154]
	v_fma_f64 v[161:162], v[2:3], v[18:19], -v[20:21]
	ds_load_b128 v[2:5], v1 offset:1328
	scratch_load_b128 v[18:21], off, off offset:688
	v_add_f64_e32 v[149:150], v[149:150], v[159:160]
	v_add_f64_e32 v[151:152], v[151:152], v[157:158]
	v_fma_f64 v[155:156], v[8:9], v[22:23], v[155:156]
	v_fma_f64 v[159:160], v[6:7], v[22:23], -v[24:25]
	ds_load_b128 v[6:9], v1 offset:1344
	s_wait_loadcnt_dscnt 0x801
	v_mul_f64_e32 v[157:158], v[2:3], v[28:29]
	v_mul_f64_e32 v[28:29], v[4:5], v[28:29]
	scratch_load_b128 v[22:25], off, off offset:704
	v_add_f64_e32 v[149:150], v[149:150], v[161:162]
	v_add_f64_e32 v[151:152], v[151:152], v[153:154]
	s_wait_loadcnt_dscnt 0x800
	v_mul_f64_e32 v[153:154], v[6:7], v[32:33]
	v_mul_f64_e32 v[32:33], v[8:9], v[32:33]
	v_fma_f64 v[157:158], v[4:5], v[26:27], v[157:158]
	v_fma_f64 v[161:162], v[2:3], v[26:27], -v[28:29]
	ds_load_b128 v[2:5], v1 offset:1360
	scratch_load_b128 v[26:29], off, off offset:720
	v_add_f64_e32 v[149:150], v[149:150], v[159:160]
	v_add_f64_e32 v[151:152], v[151:152], v[155:156]
	v_fma_f64 v[153:154], v[8:9], v[30:31], v[153:154]
	v_fma_f64 v[159:160], v[6:7], v[30:31], -v[32:33]
	ds_load_b128 v[6:9], v1 offset:1376
	s_wait_loadcnt_dscnt 0x801
	v_mul_f64_e32 v[155:156], v[2:3], v[40:41]
	v_mul_f64_e32 v[40:41], v[4:5], v[40:41]
	scratch_load_b128 v[30:33], off, off offset:736
	v_add_f64_e32 v[149:150], v[149:150], v[161:162]
	v_add_f64_e32 v[151:152], v[151:152], v[157:158]
	s_wait_loadcnt_dscnt 0x800
	v_mul_f64_e32 v[157:158], v[6:7], v[147:148]
	v_mul_f64_e32 v[147:148], v[8:9], v[147:148]
	v_fma_f64 v[155:156], v[4:5], v[38:39], v[155:156]
	v_fma_f64 v[161:162], v[2:3], v[38:39], -v[40:41]
	ds_load_b128 v[2:5], v1 offset:1392
	scratch_load_b128 v[38:41], off, off offset:752
	v_add_f64_e32 v[149:150], v[149:150], v[159:160]
	v_add_f64_e32 v[151:152], v[151:152], v[153:154]
	v_fma_f64 v[157:158], v[8:9], v[145:146], v[157:158]
	v_fma_f64 v[159:160], v[6:7], v[145:146], -v[147:148]
	ds_load_b128 v[6:9], v1 offset:1408
	scratch_load_b128 v[145:148], off, off offset:768
	s_wait_loadcnt_dscnt 0x901
	v_mul_f64_e32 v[153:154], v[2:3], v[36:37]
	v_mul_f64_e32 v[36:37], v[4:5], v[36:37]
	v_add_f64_e32 v[149:150], v[149:150], v[161:162]
	v_add_f64_e32 v[151:152], v[151:152], v[155:156]
	s_wait_loadcnt_dscnt 0x800
	v_mul_f64_e32 v[155:156], v[6:7], v[143:144]
	v_mul_f64_e32 v[143:144], v[8:9], v[143:144]
	v_fma_f64 v[153:154], v[4:5], v[34:35], v[153:154]
	v_fma_f64 v[161:162], v[2:3], v[34:35], -v[36:37]
	ds_load_b128 v[2:5], v1 offset:1424
	scratch_load_b128 v[34:37], off, off offset:784
	v_add_f64_e32 v[149:150], v[149:150], v[159:160]
	v_add_f64_e32 v[151:152], v[151:152], v[157:158]
	v_fma_f64 v[155:156], v[8:9], v[141:142], v[155:156]
	v_fma_f64 v[141:142], v[6:7], v[141:142], -v[143:144]
	ds_load_b128 v[6:9], v1 offset:1440
	s_wait_loadcnt_dscnt 0x801
	v_mul_f64_e32 v[157:158], v[2:3], v[12:13]
	v_mul_f64_e32 v[12:13], v[4:5], v[12:13]
	v_add_f64_e32 v[143:144], v[149:150], v[161:162]
	v_add_f64_e32 v[149:150], v[151:152], v[153:154]
	s_wait_loadcnt_dscnt 0x700
	v_mul_f64_e32 v[151:152], v[6:7], v[16:17]
	v_mul_f64_e32 v[16:17], v[8:9], v[16:17]
	v_fma_f64 v[153:154], v[4:5], v[10:11], v[157:158]
	v_fma_f64 v[10:11], v[2:3], v[10:11], -v[12:13]
	ds_load_b128 v[2:5], v1 offset:1456
	v_add_f64_e32 v[12:13], v[143:144], v[141:142]
	v_add_f64_e32 v[141:142], v[149:150], v[155:156]
	v_fma_f64 v[149:150], v[8:9], v[14:15], v[151:152]
	v_fma_f64 v[14:15], v[6:7], v[14:15], -v[16:17]
	ds_load_b128 v[6:9], v1 offset:1472
	s_wait_loadcnt_dscnt 0x500
	v_mul_f64_e32 v[151:152], v[6:7], v[24:25]
	v_mul_f64_e32 v[24:25], v[8:9], v[24:25]
	v_add_f64_e32 v[16:17], v[12:13], v[10:11]
	v_add_f64_e32 v[141:142], v[141:142], v[153:154]
	scratch_load_b128 v[10:13], off, off offset:448
	v_mul_f64_e32 v[143:144], v[2:3], v[20:21]
	v_mul_f64_e32 v[20:21], v[4:5], v[20:21]
	v_add_f64_e32 v[14:15], v[16:17], v[14:15]
	v_add_f64_e32 v[16:17], v[141:142], v[149:150]
	v_fma_f64 v[141:142], v[8:9], v[22:23], v[151:152]
	v_fma_f64 v[143:144], v[4:5], v[18:19], v[143:144]
	v_fma_f64 v[18:19], v[2:3], v[18:19], -v[20:21]
	ds_load_b128 v[2:5], v1 offset:1488
	v_fma_f64 v[22:23], v[6:7], v[22:23], -v[24:25]
	ds_load_b128 v[6:9], v1 offset:1504
	s_wait_loadcnt_dscnt 0x501
	v_mul_f64_e32 v[20:21], v[2:3], v[28:29]
	v_mul_f64_e32 v[28:29], v[4:5], v[28:29]
	s_wait_loadcnt_dscnt 0x400
	v_mul_f64_e32 v[24:25], v[8:9], v[32:33]
	v_add_f64_e32 v[16:17], v[16:17], v[143:144]
	v_add_f64_e32 v[14:15], v[14:15], v[18:19]
	v_mul_f64_e32 v[18:19], v[6:7], v[32:33]
	v_fma_f64 v[20:21], v[4:5], v[26:27], v[20:21]
	v_fma_f64 v[26:27], v[2:3], v[26:27], -v[28:29]
	ds_load_b128 v[2:5], v1 offset:1520
	v_fma_f64 v[24:25], v[6:7], v[30:31], -v[24:25]
	v_add_f64_e32 v[16:17], v[16:17], v[141:142]
	v_add_f64_e32 v[14:15], v[14:15], v[22:23]
	v_fma_f64 v[18:19], v[8:9], v[30:31], v[18:19]
	ds_load_b128 v[6:9], v1 offset:1536
	s_wait_loadcnt_dscnt 0x301
	v_mul_f64_e32 v[22:23], v[2:3], v[40:41]
	v_mul_f64_e32 v[28:29], v[4:5], v[40:41]
	v_add_f64_e32 v[16:17], v[16:17], v[20:21]
	v_add_f64_e32 v[14:15], v[14:15], v[26:27]
	s_wait_loadcnt_dscnt 0x200
	v_mul_f64_e32 v[20:21], v[6:7], v[147:148]
	v_mul_f64_e32 v[26:27], v[8:9], v[147:148]
	v_fma_f64 v[22:23], v[4:5], v[38:39], v[22:23]
	v_fma_f64 v[28:29], v[2:3], v[38:39], -v[28:29]
	ds_load_b128 v[2:5], v1 offset:1552
	v_add_f64_e32 v[16:17], v[16:17], v[18:19]
	v_add_f64_e32 v[14:15], v[14:15], v[24:25]
	s_wait_loadcnt_dscnt 0x100
	v_mul_f64_e32 v[18:19], v[2:3], v[36:37]
	v_mul_f64_e32 v[24:25], v[4:5], v[36:37]
	v_fma_f64 v[8:9], v[8:9], v[145:146], v[20:21]
	v_fma_f64 v[6:7], v[6:7], v[145:146], -v[26:27]
	v_add_f64_e32 v[16:17], v[16:17], v[22:23]
	v_add_f64_e32 v[14:15], v[14:15], v[28:29]
	v_fma_f64 v[4:5], v[4:5], v[34:35], v[18:19]
	v_fma_f64 v[2:3], v[2:3], v[34:35], -v[24:25]
	s_delay_alu instid0(VALU_DEP_4) | instskip(NEXT) | instid1(VALU_DEP_4)
	v_add_f64_e32 v[8:9], v[16:17], v[8:9]
	v_add_f64_e32 v[6:7], v[14:15], v[6:7]
	s_delay_alu instid0(VALU_DEP_2) | instskip(NEXT) | instid1(VALU_DEP_2)
	v_add_f64_e32 v[4:5], v[8:9], v[4:5]
	v_add_f64_e32 v[2:3], v[6:7], v[2:3]
	s_wait_loadcnt 0x0
	s_delay_alu instid0(VALU_DEP_2) | instskip(NEXT) | instid1(VALU_DEP_2)
	v_add_f64_e64 v[4:5], v[12:13], -v[4:5]
	v_add_f64_e64 v[2:3], v[10:11], -v[2:3]
	scratch_store_b128 off, v[2:5], off offset:448
	v_cmpx_lt_u32_e32 26, v0
	s_cbranch_execz .LBB112_255
; %bb.254:
	scratch_load_b128 v[5:8], off, s36
	v_dual_mov_b32 v2, v1 :: v_dual_mov_b32 v3, v1
	v_mov_b32_e32 v4, v1
	scratch_store_b128 off, v[1:4], off offset:432
	s_wait_loadcnt 0x0
	ds_store_b128 v140, v[5:8]
.LBB112_255:
	s_wait_alu 0xfffe
	s_or_b32 exec_lo, exec_lo, s0
	s_wait_storecnt_dscnt 0x0
	s_barrier_signal -1
	s_barrier_wait -1
	global_inv scope:SCOPE_SE
	s_clause 0x7
	scratch_load_b128 v[2:5], off, off offset:448
	scratch_load_b128 v[6:9], off, off offset:464
	;; [unrolled: 1-line block ×8, first 2 shown]
	ds_load_b128 v[34:37], v1 offset:1216
	ds_load_b128 v[141:144], v1 offset:1232
	s_clause 0x1
	scratch_load_b128 v[38:41], off, off offset:576
	scratch_load_b128 v[145:148], off, off offset:592
	s_mov_b32 s0, exec_lo
	s_wait_loadcnt_dscnt 0x901
	v_mul_f64_e32 v[149:150], v[36:37], v[4:5]
	v_mul_f64_e32 v[4:5], v[34:35], v[4:5]
	s_wait_loadcnt_dscnt 0x800
	v_mul_f64_e32 v[151:152], v[141:142], v[8:9]
	v_mul_f64_e32 v[8:9], v[143:144], v[8:9]
	s_delay_alu instid0(VALU_DEP_4) | instskip(NEXT) | instid1(VALU_DEP_4)
	v_fma_f64 v[149:150], v[34:35], v[2:3], -v[149:150]
	v_fma_f64 v[153:154], v[36:37], v[2:3], v[4:5]
	ds_load_b128 v[2:5], v1 offset:1248
	scratch_load_b128 v[34:37], off, off offset:608
	v_fma_f64 v[151:152], v[143:144], v[6:7], v[151:152]
	v_fma_f64 v[157:158], v[141:142], v[6:7], -v[8:9]
	ds_load_b128 v[6:9], v1 offset:1264
	scratch_load_b128 v[141:144], off, off offset:624
	s_wait_loadcnt_dscnt 0x901
	v_mul_f64_e32 v[155:156], v[2:3], v[12:13]
	v_mul_f64_e32 v[12:13], v[4:5], v[12:13]
	s_wait_loadcnt_dscnt 0x800
	v_mul_f64_e32 v[159:160], v[6:7], v[16:17]
	v_mul_f64_e32 v[16:17], v[8:9], v[16:17]
	v_add_f64_e32 v[149:150], 0, v[149:150]
	v_add_f64_e32 v[153:154], 0, v[153:154]
	v_fma_f64 v[155:156], v[4:5], v[10:11], v[155:156]
	v_fma_f64 v[161:162], v[2:3], v[10:11], -v[12:13]
	ds_load_b128 v[2:5], v1 offset:1280
	scratch_load_b128 v[10:13], off, off offset:640
	v_add_f64_e32 v[149:150], v[149:150], v[157:158]
	v_add_f64_e32 v[151:152], v[153:154], v[151:152]
	v_fma_f64 v[157:158], v[8:9], v[14:15], v[159:160]
	v_fma_f64 v[159:160], v[6:7], v[14:15], -v[16:17]
	ds_load_b128 v[6:9], v1 offset:1296
	scratch_load_b128 v[14:17], off, off offset:656
	s_wait_loadcnt_dscnt 0x901
	v_mul_f64_e32 v[153:154], v[2:3], v[20:21]
	v_mul_f64_e32 v[20:21], v[4:5], v[20:21]
	v_add_f64_e32 v[149:150], v[149:150], v[161:162]
	v_add_f64_e32 v[151:152], v[151:152], v[155:156]
	s_wait_loadcnt_dscnt 0x800
	v_mul_f64_e32 v[155:156], v[6:7], v[24:25]
	v_mul_f64_e32 v[24:25], v[8:9], v[24:25]
	v_fma_f64 v[153:154], v[4:5], v[18:19], v[153:154]
	v_fma_f64 v[161:162], v[2:3], v[18:19], -v[20:21]
	ds_load_b128 v[2:5], v1 offset:1312
	scratch_load_b128 v[18:21], off, off offset:672
	v_add_f64_e32 v[149:150], v[149:150], v[159:160]
	v_add_f64_e32 v[151:152], v[151:152], v[157:158]
	v_fma_f64 v[155:156], v[8:9], v[22:23], v[155:156]
	v_fma_f64 v[159:160], v[6:7], v[22:23], -v[24:25]
	ds_load_b128 v[6:9], v1 offset:1328
	s_wait_loadcnt_dscnt 0x801
	v_mul_f64_e32 v[157:158], v[2:3], v[28:29]
	v_mul_f64_e32 v[28:29], v[4:5], v[28:29]
	scratch_load_b128 v[22:25], off, off offset:688
	v_add_f64_e32 v[149:150], v[149:150], v[161:162]
	v_add_f64_e32 v[151:152], v[151:152], v[153:154]
	s_wait_loadcnt_dscnt 0x800
	v_mul_f64_e32 v[153:154], v[6:7], v[32:33]
	v_mul_f64_e32 v[32:33], v[8:9], v[32:33]
	v_fma_f64 v[157:158], v[4:5], v[26:27], v[157:158]
	v_fma_f64 v[161:162], v[2:3], v[26:27], -v[28:29]
	ds_load_b128 v[2:5], v1 offset:1344
	scratch_load_b128 v[26:29], off, off offset:704
	v_add_f64_e32 v[149:150], v[149:150], v[159:160]
	v_add_f64_e32 v[151:152], v[151:152], v[155:156]
	v_fma_f64 v[153:154], v[8:9], v[30:31], v[153:154]
	v_fma_f64 v[159:160], v[6:7], v[30:31], -v[32:33]
	ds_load_b128 v[6:9], v1 offset:1360
	s_wait_loadcnt_dscnt 0x801
	v_mul_f64_e32 v[155:156], v[2:3], v[40:41]
	v_mul_f64_e32 v[40:41], v[4:5], v[40:41]
	scratch_load_b128 v[30:33], off, off offset:720
	v_add_f64_e32 v[149:150], v[149:150], v[161:162]
	v_add_f64_e32 v[151:152], v[151:152], v[157:158]
	s_wait_loadcnt_dscnt 0x800
	v_mul_f64_e32 v[157:158], v[6:7], v[147:148]
	v_mul_f64_e32 v[147:148], v[8:9], v[147:148]
	v_fma_f64 v[155:156], v[4:5], v[38:39], v[155:156]
	v_fma_f64 v[161:162], v[2:3], v[38:39], -v[40:41]
	ds_load_b128 v[2:5], v1 offset:1376
	scratch_load_b128 v[38:41], off, off offset:736
	v_add_f64_e32 v[149:150], v[149:150], v[159:160]
	v_add_f64_e32 v[151:152], v[151:152], v[153:154]
	v_fma_f64 v[157:158], v[8:9], v[145:146], v[157:158]
	v_fma_f64 v[159:160], v[6:7], v[145:146], -v[147:148]
	ds_load_b128 v[6:9], v1 offset:1392
	scratch_load_b128 v[145:148], off, off offset:752
	s_wait_loadcnt_dscnt 0x901
	v_mul_f64_e32 v[153:154], v[2:3], v[36:37]
	v_mul_f64_e32 v[36:37], v[4:5], v[36:37]
	v_add_f64_e32 v[149:150], v[149:150], v[161:162]
	v_add_f64_e32 v[151:152], v[151:152], v[155:156]
	s_wait_loadcnt_dscnt 0x800
	v_mul_f64_e32 v[155:156], v[6:7], v[143:144]
	v_mul_f64_e32 v[143:144], v[8:9], v[143:144]
	v_fma_f64 v[153:154], v[4:5], v[34:35], v[153:154]
	v_fma_f64 v[161:162], v[2:3], v[34:35], -v[36:37]
	ds_load_b128 v[2:5], v1 offset:1408
	scratch_load_b128 v[34:37], off, off offset:768
	v_add_f64_e32 v[149:150], v[149:150], v[159:160]
	v_add_f64_e32 v[151:152], v[151:152], v[157:158]
	v_fma_f64 v[155:156], v[8:9], v[141:142], v[155:156]
	v_fma_f64 v[159:160], v[6:7], v[141:142], -v[143:144]
	ds_load_b128 v[6:9], v1 offset:1424
	s_wait_loadcnt_dscnt 0x801
	v_mul_f64_e32 v[157:158], v[2:3], v[12:13]
	v_mul_f64_e32 v[12:13], v[4:5], v[12:13]
	scratch_load_b128 v[141:144], off, off offset:784
	v_add_f64_e32 v[149:150], v[149:150], v[161:162]
	v_add_f64_e32 v[151:152], v[151:152], v[153:154]
	s_wait_loadcnt_dscnt 0x800
	v_mul_f64_e32 v[153:154], v[6:7], v[16:17]
	v_mul_f64_e32 v[16:17], v[8:9], v[16:17]
	v_fma_f64 v[157:158], v[4:5], v[10:11], v[157:158]
	v_fma_f64 v[10:11], v[2:3], v[10:11], -v[12:13]
	ds_load_b128 v[2:5], v1 offset:1440
	v_add_f64_e32 v[12:13], v[149:150], v[159:160]
	v_add_f64_e32 v[149:150], v[151:152], v[155:156]
	v_fma_f64 v[153:154], v[8:9], v[14:15], v[153:154]
	v_fma_f64 v[14:15], v[6:7], v[14:15], -v[16:17]
	ds_load_b128 v[6:9], v1 offset:1456
	s_wait_loadcnt_dscnt 0x701
	v_mul_f64_e32 v[151:152], v[2:3], v[20:21]
	v_mul_f64_e32 v[20:21], v[4:5], v[20:21]
	v_add_f64_e32 v[10:11], v[12:13], v[10:11]
	v_add_f64_e32 v[12:13], v[149:150], v[157:158]
	s_delay_alu instid0(VALU_DEP_4) | instskip(NEXT) | instid1(VALU_DEP_4)
	v_fma_f64 v[149:150], v[4:5], v[18:19], v[151:152]
	v_fma_f64 v[18:19], v[2:3], v[18:19], -v[20:21]
	ds_load_b128 v[2:5], v1 offset:1472
	v_add_f64_e32 v[14:15], v[10:11], v[14:15]
	v_add_f64_e32 v[20:21], v[12:13], v[153:154]
	scratch_load_b128 v[10:13], off, off offset:432
	s_wait_loadcnt_dscnt 0x701
	v_mul_f64_e32 v[16:17], v[6:7], v[24:25]
	v_mul_f64_e32 v[24:25], v[8:9], v[24:25]
	v_add_f64_e32 v[14:15], v[14:15], v[18:19]
	v_add_f64_e32 v[18:19], v[20:21], v[149:150]
	s_delay_alu instid0(VALU_DEP_4) | instskip(NEXT) | instid1(VALU_DEP_4)
	v_fma_f64 v[16:17], v[8:9], v[22:23], v[16:17]
	v_fma_f64 v[22:23], v[6:7], v[22:23], -v[24:25]
	ds_load_b128 v[6:9], v1 offset:1488
	s_wait_loadcnt_dscnt 0x601
	v_mul_f64_e32 v[151:152], v[2:3], v[28:29]
	v_mul_f64_e32 v[28:29], v[4:5], v[28:29]
	s_wait_loadcnt_dscnt 0x500
	v_mul_f64_e32 v[20:21], v[6:7], v[32:33]
	v_mul_f64_e32 v[24:25], v[8:9], v[32:33]
	v_add_f64_e32 v[16:17], v[18:19], v[16:17]
	v_add_f64_e32 v[14:15], v[14:15], v[22:23]
	v_fma_f64 v[32:33], v[4:5], v[26:27], v[151:152]
	v_fma_f64 v[26:27], v[2:3], v[26:27], -v[28:29]
	ds_load_b128 v[2:5], v1 offset:1504
	v_fma_f64 v[20:21], v[8:9], v[30:31], v[20:21]
	v_fma_f64 v[24:25], v[6:7], v[30:31], -v[24:25]
	ds_load_b128 v[6:9], v1 offset:1520
	s_wait_loadcnt_dscnt 0x401
	v_mul_f64_e32 v[18:19], v[2:3], v[40:41]
	v_mul_f64_e32 v[22:23], v[4:5], v[40:41]
	v_add_f64_e32 v[16:17], v[16:17], v[32:33]
	v_add_f64_e32 v[14:15], v[14:15], v[26:27]
	s_wait_loadcnt_dscnt 0x300
	v_mul_f64_e32 v[26:27], v[6:7], v[147:148]
	v_mul_f64_e32 v[28:29], v[8:9], v[147:148]
	v_fma_f64 v[18:19], v[4:5], v[38:39], v[18:19]
	v_fma_f64 v[22:23], v[2:3], v[38:39], -v[22:23]
	ds_load_b128 v[2:5], v1 offset:1536
	v_add_f64_e32 v[16:17], v[16:17], v[20:21]
	v_add_f64_e32 v[14:15], v[14:15], v[24:25]
	v_fma_f64 v[26:27], v[8:9], v[145:146], v[26:27]
	v_fma_f64 v[28:29], v[6:7], v[145:146], -v[28:29]
	ds_load_b128 v[6:9], v1 offset:1552
	s_wait_loadcnt_dscnt 0x201
	v_mul_f64_e32 v[20:21], v[2:3], v[36:37]
	v_mul_f64_e32 v[24:25], v[4:5], v[36:37]
	v_add_f64_e32 v[16:17], v[16:17], v[18:19]
	v_add_f64_e32 v[14:15], v[14:15], v[22:23]
	s_wait_loadcnt_dscnt 0x100
	v_mul_f64_e32 v[18:19], v[6:7], v[143:144]
	v_mul_f64_e32 v[22:23], v[8:9], v[143:144]
	v_fma_f64 v[4:5], v[4:5], v[34:35], v[20:21]
	v_fma_f64 v[1:2], v[2:3], v[34:35], -v[24:25]
	v_add_f64_e32 v[16:17], v[16:17], v[26:27]
	v_add_f64_e32 v[14:15], v[14:15], v[28:29]
	v_fma_f64 v[8:9], v[8:9], v[141:142], v[18:19]
	v_fma_f64 v[6:7], v[6:7], v[141:142], -v[22:23]
	s_delay_alu instid0(VALU_DEP_4) | instskip(NEXT) | instid1(VALU_DEP_4)
	v_add_f64_e32 v[3:4], v[16:17], v[4:5]
	v_add_f64_e32 v[1:2], v[14:15], v[1:2]
	s_delay_alu instid0(VALU_DEP_2) | instskip(NEXT) | instid1(VALU_DEP_2)
	v_add_f64_e32 v[3:4], v[3:4], v[8:9]
	v_add_f64_e32 v[1:2], v[1:2], v[6:7]
	s_wait_loadcnt 0x0
	s_delay_alu instid0(VALU_DEP_2) | instskip(NEXT) | instid1(VALU_DEP_2)
	v_add_f64_e64 v[3:4], v[12:13], -v[3:4]
	v_add_f64_e64 v[1:2], v[10:11], -v[1:2]
	scratch_store_b128 off, v[1:4], off offset:432
	v_cmpx_lt_u32_e32 25, v0
	s_cbranch_execz .LBB112_257
; %bb.256:
	scratch_load_b128 v[1:4], off, s37
	v_mov_b32_e32 v5, 0
	s_delay_alu instid0(VALU_DEP_1)
	v_dual_mov_b32 v6, v5 :: v_dual_mov_b32 v7, v5
	v_mov_b32_e32 v8, v5
	scratch_store_b128 off, v[5:8], off offset:416
	s_wait_loadcnt 0x0
	ds_store_b128 v140, v[1:4]
.LBB112_257:
	s_wait_alu 0xfffe
	s_or_b32 exec_lo, exec_lo, s0
	s_wait_storecnt_dscnt 0x0
	s_barrier_signal -1
	s_barrier_wait -1
	global_inv scope:SCOPE_SE
	s_clause 0x7
	scratch_load_b128 v[2:5], off, off offset:432
	scratch_load_b128 v[6:9], off, off offset:448
	;; [unrolled: 1-line block ×8, first 2 shown]
	v_mov_b32_e32 v1, 0
	s_clause 0x1
	scratch_load_b128 v[38:41], off, off offset:560
	scratch_load_b128 v[145:148], off, off offset:576
	s_mov_b32 s0, exec_lo
	ds_load_b128 v[34:37], v1 offset:1200
	ds_load_b128 v[141:144], v1 offset:1216
	s_wait_loadcnt_dscnt 0x901
	v_mul_f64_e32 v[149:150], v[36:37], v[4:5]
	v_mul_f64_e32 v[4:5], v[34:35], v[4:5]
	s_wait_loadcnt_dscnt 0x800
	v_mul_f64_e32 v[151:152], v[141:142], v[8:9]
	v_mul_f64_e32 v[8:9], v[143:144], v[8:9]
	s_delay_alu instid0(VALU_DEP_4) | instskip(NEXT) | instid1(VALU_DEP_4)
	v_fma_f64 v[149:150], v[34:35], v[2:3], -v[149:150]
	v_fma_f64 v[153:154], v[36:37], v[2:3], v[4:5]
	ds_load_b128 v[2:5], v1 offset:1232
	scratch_load_b128 v[34:37], off, off offset:592
	v_fma_f64 v[151:152], v[143:144], v[6:7], v[151:152]
	v_fma_f64 v[157:158], v[141:142], v[6:7], -v[8:9]
	ds_load_b128 v[6:9], v1 offset:1248
	scratch_load_b128 v[141:144], off, off offset:608
	s_wait_loadcnt_dscnt 0x901
	v_mul_f64_e32 v[155:156], v[2:3], v[12:13]
	v_mul_f64_e32 v[12:13], v[4:5], v[12:13]
	s_wait_loadcnt_dscnt 0x800
	v_mul_f64_e32 v[159:160], v[6:7], v[16:17]
	v_mul_f64_e32 v[16:17], v[8:9], v[16:17]
	v_add_f64_e32 v[149:150], 0, v[149:150]
	v_add_f64_e32 v[153:154], 0, v[153:154]
	v_fma_f64 v[155:156], v[4:5], v[10:11], v[155:156]
	v_fma_f64 v[161:162], v[2:3], v[10:11], -v[12:13]
	ds_load_b128 v[2:5], v1 offset:1264
	scratch_load_b128 v[10:13], off, off offset:624
	v_add_f64_e32 v[149:150], v[149:150], v[157:158]
	v_add_f64_e32 v[151:152], v[153:154], v[151:152]
	v_fma_f64 v[157:158], v[8:9], v[14:15], v[159:160]
	v_fma_f64 v[159:160], v[6:7], v[14:15], -v[16:17]
	ds_load_b128 v[6:9], v1 offset:1280
	scratch_load_b128 v[14:17], off, off offset:640
	s_wait_loadcnt_dscnt 0x901
	v_mul_f64_e32 v[153:154], v[2:3], v[20:21]
	v_mul_f64_e32 v[20:21], v[4:5], v[20:21]
	v_add_f64_e32 v[149:150], v[149:150], v[161:162]
	v_add_f64_e32 v[151:152], v[151:152], v[155:156]
	s_wait_loadcnt_dscnt 0x800
	v_mul_f64_e32 v[155:156], v[6:7], v[24:25]
	v_mul_f64_e32 v[24:25], v[8:9], v[24:25]
	v_fma_f64 v[153:154], v[4:5], v[18:19], v[153:154]
	v_fma_f64 v[161:162], v[2:3], v[18:19], -v[20:21]
	ds_load_b128 v[2:5], v1 offset:1296
	scratch_load_b128 v[18:21], off, off offset:656
	v_add_f64_e32 v[149:150], v[149:150], v[159:160]
	v_add_f64_e32 v[151:152], v[151:152], v[157:158]
	v_fma_f64 v[155:156], v[8:9], v[22:23], v[155:156]
	v_fma_f64 v[159:160], v[6:7], v[22:23], -v[24:25]
	ds_load_b128 v[6:9], v1 offset:1312
	s_wait_loadcnt_dscnt 0x801
	v_mul_f64_e32 v[157:158], v[2:3], v[28:29]
	v_mul_f64_e32 v[28:29], v[4:5], v[28:29]
	scratch_load_b128 v[22:25], off, off offset:672
	v_add_f64_e32 v[149:150], v[149:150], v[161:162]
	v_add_f64_e32 v[151:152], v[151:152], v[153:154]
	s_wait_loadcnt_dscnt 0x800
	v_mul_f64_e32 v[153:154], v[6:7], v[32:33]
	v_mul_f64_e32 v[32:33], v[8:9], v[32:33]
	v_fma_f64 v[157:158], v[4:5], v[26:27], v[157:158]
	v_fma_f64 v[161:162], v[2:3], v[26:27], -v[28:29]
	ds_load_b128 v[2:5], v1 offset:1328
	scratch_load_b128 v[26:29], off, off offset:688
	v_add_f64_e32 v[149:150], v[149:150], v[159:160]
	v_add_f64_e32 v[151:152], v[151:152], v[155:156]
	v_fma_f64 v[153:154], v[8:9], v[30:31], v[153:154]
	v_fma_f64 v[159:160], v[6:7], v[30:31], -v[32:33]
	ds_load_b128 v[6:9], v1 offset:1344
	s_wait_loadcnt_dscnt 0x801
	v_mul_f64_e32 v[155:156], v[2:3], v[40:41]
	v_mul_f64_e32 v[40:41], v[4:5], v[40:41]
	scratch_load_b128 v[30:33], off, off offset:704
	v_add_f64_e32 v[149:150], v[149:150], v[161:162]
	v_add_f64_e32 v[151:152], v[151:152], v[157:158]
	s_wait_loadcnt_dscnt 0x800
	v_mul_f64_e32 v[157:158], v[6:7], v[147:148]
	v_mul_f64_e32 v[147:148], v[8:9], v[147:148]
	v_fma_f64 v[155:156], v[4:5], v[38:39], v[155:156]
	v_fma_f64 v[161:162], v[2:3], v[38:39], -v[40:41]
	ds_load_b128 v[2:5], v1 offset:1360
	scratch_load_b128 v[38:41], off, off offset:720
	v_add_f64_e32 v[149:150], v[149:150], v[159:160]
	v_add_f64_e32 v[151:152], v[151:152], v[153:154]
	v_fma_f64 v[157:158], v[8:9], v[145:146], v[157:158]
	v_fma_f64 v[159:160], v[6:7], v[145:146], -v[147:148]
	ds_load_b128 v[6:9], v1 offset:1376
	scratch_load_b128 v[145:148], off, off offset:736
	s_wait_loadcnt_dscnt 0x901
	v_mul_f64_e32 v[153:154], v[2:3], v[36:37]
	v_mul_f64_e32 v[36:37], v[4:5], v[36:37]
	v_add_f64_e32 v[149:150], v[149:150], v[161:162]
	v_add_f64_e32 v[151:152], v[151:152], v[155:156]
	s_wait_loadcnt_dscnt 0x800
	v_mul_f64_e32 v[155:156], v[6:7], v[143:144]
	v_mul_f64_e32 v[143:144], v[8:9], v[143:144]
	v_fma_f64 v[153:154], v[4:5], v[34:35], v[153:154]
	v_fma_f64 v[161:162], v[2:3], v[34:35], -v[36:37]
	ds_load_b128 v[2:5], v1 offset:1392
	scratch_load_b128 v[34:37], off, off offset:752
	v_add_f64_e32 v[149:150], v[149:150], v[159:160]
	v_add_f64_e32 v[151:152], v[151:152], v[157:158]
	v_fma_f64 v[155:156], v[8:9], v[141:142], v[155:156]
	v_fma_f64 v[159:160], v[6:7], v[141:142], -v[143:144]
	ds_load_b128 v[6:9], v1 offset:1408
	s_wait_loadcnt_dscnt 0x801
	v_mul_f64_e32 v[157:158], v[2:3], v[12:13]
	v_mul_f64_e32 v[12:13], v[4:5], v[12:13]
	scratch_load_b128 v[141:144], off, off offset:768
	v_add_f64_e32 v[149:150], v[149:150], v[161:162]
	v_add_f64_e32 v[151:152], v[151:152], v[153:154]
	s_wait_loadcnt_dscnt 0x800
	v_mul_f64_e32 v[153:154], v[6:7], v[16:17]
	v_mul_f64_e32 v[16:17], v[8:9], v[16:17]
	v_fma_f64 v[157:158], v[4:5], v[10:11], v[157:158]
	v_fma_f64 v[161:162], v[2:3], v[10:11], -v[12:13]
	ds_load_b128 v[2:5], v1 offset:1424
	scratch_load_b128 v[10:13], off, off offset:784
	v_add_f64_e32 v[149:150], v[149:150], v[159:160]
	v_add_f64_e32 v[151:152], v[151:152], v[155:156]
	v_fma_f64 v[153:154], v[8:9], v[14:15], v[153:154]
	v_fma_f64 v[14:15], v[6:7], v[14:15], -v[16:17]
	ds_load_b128 v[6:9], v1 offset:1440
	s_wait_loadcnt_dscnt 0x801
	v_mul_f64_e32 v[155:156], v[2:3], v[20:21]
	v_mul_f64_e32 v[20:21], v[4:5], v[20:21]
	v_add_f64_e32 v[16:17], v[149:150], v[161:162]
	v_add_f64_e32 v[149:150], v[151:152], v[157:158]
	s_wait_loadcnt_dscnt 0x700
	v_mul_f64_e32 v[151:152], v[6:7], v[24:25]
	v_mul_f64_e32 v[24:25], v[8:9], v[24:25]
	v_fma_f64 v[155:156], v[4:5], v[18:19], v[155:156]
	v_fma_f64 v[18:19], v[2:3], v[18:19], -v[20:21]
	ds_load_b128 v[2:5], v1 offset:1456
	v_add_f64_e32 v[14:15], v[16:17], v[14:15]
	v_add_f64_e32 v[16:17], v[149:150], v[153:154]
	v_fma_f64 v[149:150], v[8:9], v[22:23], v[151:152]
	v_fma_f64 v[22:23], v[6:7], v[22:23], -v[24:25]
	ds_load_b128 v[6:9], v1 offset:1472
	s_wait_loadcnt_dscnt 0x500
	v_mul_f64_e32 v[151:152], v[6:7], v[32:33]
	v_mul_f64_e32 v[32:33], v[8:9], v[32:33]
	v_add_f64_e32 v[18:19], v[14:15], v[18:19]
	v_add_f64_e32 v[24:25], v[16:17], v[155:156]
	scratch_load_b128 v[14:17], off, off offset:416
	v_mul_f64_e32 v[20:21], v[2:3], v[28:29]
	v_mul_f64_e32 v[28:29], v[4:5], v[28:29]
	v_add_f64_e32 v[18:19], v[18:19], v[22:23]
	v_add_f64_e32 v[22:23], v[24:25], v[149:150]
	s_delay_alu instid0(VALU_DEP_4) | instskip(NEXT) | instid1(VALU_DEP_4)
	v_fma_f64 v[20:21], v[4:5], v[26:27], v[20:21]
	v_fma_f64 v[26:27], v[2:3], v[26:27], -v[28:29]
	ds_load_b128 v[2:5], v1 offset:1488
	s_wait_loadcnt_dscnt 0x500
	v_mul_f64_e32 v[24:25], v[2:3], v[40:41]
	v_mul_f64_e32 v[28:29], v[4:5], v[40:41]
	v_fma_f64 v[40:41], v[8:9], v[30:31], v[151:152]
	v_fma_f64 v[30:31], v[6:7], v[30:31], -v[32:33]
	ds_load_b128 v[6:9], v1 offset:1504
	v_add_f64_e32 v[20:21], v[22:23], v[20:21]
	v_add_f64_e32 v[18:19], v[18:19], v[26:27]
	v_fma_f64 v[24:25], v[4:5], v[38:39], v[24:25]
	v_fma_f64 v[28:29], v[2:3], v[38:39], -v[28:29]
	ds_load_b128 v[2:5], v1 offset:1520
	s_wait_loadcnt_dscnt 0x401
	v_mul_f64_e32 v[22:23], v[6:7], v[147:148]
	v_mul_f64_e32 v[26:27], v[8:9], v[147:148]
	v_add_f64_e32 v[20:21], v[20:21], v[40:41]
	v_add_f64_e32 v[18:19], v[18:19], v[30:31]
	s_wait_loadcnt_dscnt 0x300
	v_mul_f64_e32 v[30:31], v[2:3], v[36:37]
	v_mul_f64_e32 v[32:33], v[4:5], v[36:37]
	v_fma_f64 v[22:23], v[8:9], v[145:146], v[22:23]
	v_fma_f64 v[26:27], v[6:7], v[145:146], -v[26:27]
	ds_load_b128 v[6:9], v1 offset:1536
	v_add_f64_e32 v[20:21], v[20:21], v[24:25]
	v_add_f64_e32 v[18:19], v[18:19], v[28:29]
	v_fma_f64 v[30:31], v[4:5], v[34:35], v[30:31]
	v_fma_f64 v[32:33], v[2:3], v[34:35], -v[32:33]
	ds_load_b128 v[2:5], v1 offset:1552
	s_wait_loadcnt_dscnt 0x201
	v_mul_f64_e32 v[24:25], v[6:7], v[143:144]
	v_mul_f64_e32 v[28:29], v[8:9], v[143:144]
	v_add_f64_e32 v[20:21], v[20:21], v[22:23]
	v_add_f64_e32 v[18:19], v[18:19], v[26:27]
	s_wait_loadcnt_dscnt 0x100
	v_mul_f64_e32 v[22:23], v[2:3], v[12:13]
	v_mul_f64_e32 v[12:13], v[4:5], v[12:13]
	v_fma_f64 v[8:9], v[8:9], v[141:142], v[24:25]
	v_fma_f64 v[6:7], v[6:7], v[141:142], -v[28:29]
	v_add_f64_e32 v[20:21], v[20:21], v[30:31]
	v_add_f64_e32 v[18:19], v[18:19], v[32:33]
	v_fma_f64 v[4:5], v[4:5], v[10:11], v[22:23]
	v_fma_f64 v[2:3], v[2:3], v[10:11], -v[12:13]
	s_delay_alu instid0(VALU_DEP_4) | instskip(NEXT) | instid1(VALU_DEP_4)
	v_add_f64_e32 v[8:9], v[20:21], v[8:9]
	v_add_f64_e32 v[6:7], v[18:19], v[6:7]
	s_delay_alu instid0(VALU_DEP_2) | instskip(NEXT) | instid1(VALU_DEP_2)
	v_add_f64_e32 v[4:5], v[8:9], v[4:5]
	v_add_f64_e32 v[2:3], v[6:7], v[2:3]
	s_wait_loadcnt 0x0
	s_delay_alu instid0(VALU_DEP_2) | instskip(NEXT) | instid1(VALU_DEP_2)
	v_add_f64_e64 v[4:5], v[16:17], -v[4:5]
	v_add_f64_e64 v[2:3], v[14:15], -v[2:3]
	scratch_store_b128 off, v[2:5], off offset:416
	v_cmpx_lt_u32_e32 24, v0
	s_cbranch_execz .LBB112_259
; %bb.258:
	scratch_load_b128 v[5:8], off, s38
	v_dual_mov_b32 v2, v1 :: v_dual_mov_b32 v3, v1
	v_mov_b32_e32 v4, v1
	scratch_store_b128 off, v[1:4], off offset:400
	s_wait_loadcnt 0x0
	ds_store_b128 v140, v[5:8]
.LBB112_259:
	s_wait_alu 0xfffe
	s_or_b32 exec_lo, exec_lo, s0
	s_wait_storecnt_dscnt 0x0
	s_barrier_signal -1
	s_barrier_wait -1
	global_inv scope:SCOPE_SE
	s_clause 0x7
	scratch_load_b128 v[2:5], off, off offset:416
	scratch_load_b128 v[6:9], off, off offset:432
	;; [unrolled: 1-line block ×8, first 2 shown]
	ds_load_b128 v[34:37], v1 offset:1184
	ds_load_b128 v[141:144], v1 offset:1200
	s_clause 0x1
	scratch_load_b128 v[38:41], off, off offset:544
	scratch_load_b128 v[145:148], off, off offset:560
	s_mov_b32 s0, exec_lo
	s_wait_loadcnt_dscnt 0x901
	v_mul_f64_e32 v[149:150], v[36:37], v[4:5]
	v_mul_f64_e32 v[4:5], v[34:35], v[4:5]
	s_wait_loadcnt_dscnt 0x800
	v_mul_f64_e32 v[151:152], v[141:142], v[8:9]
	v_mul_f64_e32 v[8:9], v[143:144], v[8:9]
	s_delay_alu instid0(VALU_DEP_4) | instskip(NEXT) | instid1(VALU_DEP_4)
	v_fma_f64 v[149:150], v[34:35], v[2:3], -v[149:150]
	v_fma_f64 v[153:154], v[36:37], v[2:3], v[4:5]
	ds_load_b128 v[2:5], v1 offset:1216
	scratch_load_b128 v[34:37], off, off offset:576
	v_fma_f64 v[151:152], v[143:144], v[6:7], v[151:152]
	v_fma_f64 v[157:158], v[141:142], v[6:7], -v[8:9]
	ds_load_b128 v[6:9], v1 offset:1232
	scratch_load_b128 v[141:144], off, off offset:592
	s_wait_loadcnt_dscnt 0x901
	v_mul_f64_e32 v[155:156], v[2:3], v[12:13]
	v_mul_f64_e32 v[12:13], v[4:5], v[12:13]
	s_wait_loadcnt_dscnt 0x800
	v_mul_f64_e32 v[159:160], v[6:7], v[16:17]
	v_mul_f64_e32 v[16:17], v[8:9], v[16:17]
	v_add_f64_e32 v[149:150], 0, v[149:150]
	v_add_f64_e32 v[153:154], 0, v[153:154]
	v_fma_f64 v[155:156], v[4:5], v[10:11], v[155:156]
	v_fma_f64 v[161:162], v[2:3], v[10:11], -v[12:13]
	ds_load_b128 v[2:5], v1 offset:1248
	scratch_load_b128 v[10:13], off, off offset:608
	v_add_f64_e32 v[149:150], v[149:150], v[157:158]
	v_add_f64_e32 v[151:152], v[153:154], v[151:152]
	v_fma_f64 v[157:158], v[8:9], v[14:15], v[159:160]
	v_fma_f64 v[159:160], v[6:7], v[14:15], -v[16:17]
	ds_load_b128 v[6:9], v1 offset:1264
	scratch_load_b128 v[14:17], off, off offset:624
	s_wait_loadcnt_dscnt 0x901
	v_mul_f64_e32 v[153:154], v[2:3], v[20:21]
	v_mul_f64_e32 v[20:21], v[4:5], v[20:21]
	v_add_f64_e32 v[149:150], v[149:150], v[161:162]
	v_add_f64_e32 v[151:152], v[151:152], v[155:156]
	s_wait_loadcnt_dscnt 0x800
	v_mul_f64_e32 v[155:156], v[6:7], v[24:25]
	v_mul_f64_e32 v[24:25], v[8:9], v[24:25]
	v_fma_f64 v[153:154], v[4:5], v[18:19], v[153:154]
	v_fma_f64 v[161:162], v[2:3], v[18:19], -v[20:21]
	ds_load_b128 v[2:5], v1 offset:1280
	scratch_load_b128 v[18:21], off, off offset:640
	v_add_f64_e32 v[149:150], v[149:150], v[159:160]
	v_add_f64_e32 v[151:152], v[151:152], v[157:158]
	v_fma_f64 v[155:156], v[8:9], v[22:23], v[155:156]
	v_fma_f64 v[159:160], v[6:7], v[22:23], -v[24:25]
	ds_load_b128 v[6:9], v1 offset:1296
	s_wait_loadcnt_dscnt 0x801
	v_mul_f64_e32 v[157:158], v[2:3], v[28:29]
	v_mul_f64_e32 v[28:29], v[4:5], v[28:29]
	scratch_load_b128 v[22:25], off, off offset:656
	v_add_f64_e32 v[149:150], v[149:150], v[161:162]
	v_add_f64_e32 v[151:152], v[151:152], v[153:154]
	s_wait_loadcnt_dscnt 0x800
	v_mul_f64_e32 v[153:154], v[6:7], v[32:33]
	v_mul_f64_e32 v[32:33], v[8:9], v[32:33]
	v_fma_f64 v[157:158], v[4:5], v[26:27], v[157:158]
	v_fma_f64 v[161:162], v[2:3], v[26:27], -v[28:29]
	ds_load_b128 v[2:5], v1 offset:1312
	scratch_load_b128 v[26:29], off, off offset:672
	v_add_f64_e32 v[149:150], v[149:150], v[159:160]
	v_add_f64_e32 v[151:152], v[151:152], v[155:156]
	v_fma_f64 v[153:154], v[8:9], v[30:31], v[153:154]
	v_fma_f64 v[159:160], v[6:7], v[30:31], -v[32:33]
	ds_load_b128 v[6:9], v1 offset:1328
	s_wait_loadcnt_dscnt 0x801
	v_mul_f64_e32 v[155:156], v[2:3], v[40:41]
	v_mul_f64_e32 v[40:41], v[4:5], v[40:41]
	scratch_load_b128 v[30:33], off, off offset:688
	v_add_f64_e32 v[149:150], v[149:150], v[161:162]
	v_add_f64_e32 v[151:152], v[151:152], v[157:158]
	s_wait_loadcnt_dscnt 0x800
	v_mul_f64_e32 v[157:158], v[6:7], v[147:148]
	v_mul_f64_e32 v[147:148], v[8:9], v[147:148]
	v_fma_f64 v[155:156], v[4:5], v[38:39], v[155:156]
	v_fma_f64 v[161:162], v[2:3], v[38:39], -v[40:41]
	ds_load_b128 v[2:5], v1 offset:1344
	scratch_load_b128 v[38:41], off, off offset:704
	v_add_f64_e32 v[149:150], v[149:150], v[159:160]
	v_add_f64_e32 v[151:152], v[151:152], v[153:154]
	v_fma_f64 v[157:158], v[8:9], v[145:146], v[157:158]
	v_fma_f64 v[159:160], v[6:7], v[145:146], -v[147:148]
	ds_load_b128 v[6:9], v1 offset:1360
	scratch_load_b128 v[145:148], off, off offset:720
	s_wait_loadcnt_dscnt 0x901
	v_mul_f64_e32 v[153:154], v[2:3], v[36:37]
	v_mul_f64_e32 v[36:37], v[4:5], v[36:37]
	v_add_f64_e32 v[149:150], v[149:150], v[161:162]
	v_add_f64_e32 v[151:152], v[151:152], v[155:156]
	s_wait_loadcnt_dscnt 0x800
	v_mul_f64_e32 v[155:156], v[6:7], v[143:144]
	v_mul_f64_e32 v[143:144], v[8:9], v[143:144]
	v_fma_f64 v[153:154], v[4:5], v[34:35], v[153:154]
	v_fma_f64 v[161:162], v[2:3], v[34:35], -v[36:37]
	ds_load_b128 v[2:5], v1 offset:1376
	scratch_load_b128 v[34:37], off, off offset:736
	v_add_f64_e32 v[149:150], v[149:150], v[159:160]
	v_add_f64_e32 v[151:152], v[151:152], v[157:158]
	v_fma_f64 v[155:156], v[8:9], v[141:142], v[155:156]
	v_fma_f64 v[159:160], v[6:7], v[141:142], -v[143:144]
	ds_load_b128 v[6:9], v1 offset:1392
	s_wait_loadcnt_dscnt 0x801
	v_mul_f64_e32 v[157:158], v[2:3], v[12:13]
	v_mul_f64_e32 v[12:13], v[4:5], v[12:13]
	scratch_load_b128 v[141:144], off, off offset:752
	v_add_f64_e32 v[149:150], v[149:150], v[161:162]
	v_add_f64_e32 v[151:152], v[151:152], v[153:154]
	s_wait_loadcnt_dscnt 0x800
	v_mul_f64_e32 v[153:154], v[6:7], v[16:17]
	v_mul_f64_e32 v[16:17], v[8:9], v[16:17]
	v_fma_f64 v[157:158], v[4:5], v[10:11], v[157:158]
	v_fma_f64 v[161:162], v[2:3], v[10:11], -v[12:13]
	ds_load_b128 v[2:5], v1 offset:1408
	scratch_load_b128 v[10:13], off, off offset:768
	v_add_f64_e32 v[149:150], v[149:150], v[159:160]
	v_add_f64_e32 v[151:152], v[151:152], v[155:156]
	v_fma_f64 v[153:154], v[8:9], v[14:15], v[153:154]
	v_fma_f64 v[159:160], v[6:7], v[14:15], -v[16:17]
	ds_load_b128 v[6:9], v1 offset:1424
	s_wait_loadcnt_dscnt 0x801
	v_mul_f64_e32 v[155:156], v[2:3], v[20:21]
	v_mul_f64_e32 v[20:21], v[4:5], v[20:21]
	scratch_load_b128 v[14:17], off, off offset:784
	v_add_f64_e32 v[149:150], v[149:150], v[161:162]
	v_add_f64_e32 v[151:152], v[151:152], v[157:158]
	s_wait_loadcnt_dscnt 0x800
	v_mul_f64_e32 v[157:158], v[6:7], v[24:25]
	v_mul_f64_e32 v[24:25], v[8:9], v[24:25]
	v_fma_f64 v[155:156], v[4:5], v[18:19], v[155:156]
	v_fma_f64 v[18:19], v[2:3], v[18:19], -v[20:21]
	ds_load_b128 v[2:5], v1 offset:1440
	v_add_f64_e32 v[20:21], v[149:150], v[159:160]
	v_add_f64_e32 v[149:150], v[151:152], v[153:154]
	v_fma_f64 v[153:154], v[8:9], v[22:23], v[157:158]
	v_fma_f64 v[22:23], v[6:7], v[22:23], -v[24:25]
	ds_load_b128 v[6:9], v1 offset:1456
	s_wait_loadcnt_dscnt 0x701
	v_mul_f64_e32 v[151:152], v[2:3], v[28:29]
	v_mul_f64_e32 v[28:29], v[4:5], v[28:29]
	v_add_f64_e32 v[18:19], v[20:21], v[18:19]
	v_add_f64_e32 v[20:21], v[149:150], v[155:156]
	s_delay_alu instid0(VALU_DEP_4) | instskip(NEXT) | instid1(VALU_DEP_4)
	v_fma_f64 v[149:150], v[4:5], v[26:27], v[151:152]
	v_fma_f64 v[26:27], v[2:3], v[26:27], -v[28:29]
	ds_load_b128 v[2:5], v1 offset:1472
	v_add_f64_e32 v[22:23], v[18:19], v[22:23]
	v_add_f64_e32 v[28:29], v[20:21], v[153:154]
	scratch_load_b128 v[18:21], off, off offset:400
	s_wait_loadcnt_dscnt 0x701
	v_mul_f64_e32 v[24:25], v[6:7], v[32:33]
	v_mul_f64_e32 v[32:33], v[8:9], v[32:33]
	v_add_f64_e32 v[22:23], v[22:23], v[26:27]
	v_add_f64_e32 v[26:27], v[28:29], v[149:150]
	s_delay_alu instid0(VALU_DEP_4) | instskip(NEXT) | instid1(VALU_DEP_4)
	v_fma_f64 v[24:25], v[8:9], v[30:31], v[24:25]
	v_fma_f64 v[30:31], v[6:7], v[30:31], -v[32:33]
	ds_load_b128 v[6:9], v1 offset:1488
	s_wait_loadcnt_dscnt 0x601
	v_mul_f64_e32 v[151:152], v[2:3], v[40:41]
	v_mul_f64_e32 v[40:41], v[4:5], v[40:41]
	s_wait_loadcnt_dscnt 0x500
	v_mul_f64_e32 v[28:29], v[6:7], v[147:148]
	v_mul_f64_e32 v[32:33], v[8:9], v[147:148]
	v_add_f64_e32 v[24:25], v[26:27], v[24:25]
	v_add_f64_e32 v[22:23], v[22:23], v[30:31]
	v_fma_f64 v[147:148], v[4:5], v[38:39], v[151:152]
	v_fma_f64 v[38:39], v[2:3], v[38:39], -v[40:41]
	ds_load_b128 v[2:5], v1 offset:1504
	v_fma_f64 v[28:29], v[8:9], v[145:146], v[28:29]
	v_fma_f64 v[32:33], v[6:7], v[145:146], -v[32:33]
	ds_load_b128 v[6:9], v1 offset:1520
	s_wait_loadcnt_dscnt 0x401
	v_mul_f64_e32 v[26:27], v[2:3], v[36:37]
	v_mul_f64_e32 v[30:31], v[4:5], v[36:37]
	v_add_f64_e32 v[24:25], v[24:25], v[147:148]
	v_add_f64_e32 v[22:23], v[22:23], v[38:39]
	s_wait_loadcnt_dscnt 0x300
	v_mul_f64_e32 v[36:37], v[6:7], v[143:144]
	v_mul_f64_e32 v[38:39], v[8:9], v[143:144]
	v_fma_f64 v[26:27], v[4:5], v[34:35], v[26:27]
	v_fma_f64 v[30:31], v[2:3], v[34:35], -v[30:31]
	ds_load_b128 v[2:5], v1 offset:1536
	v_add_f64_e32 v[24:25], v[24:25], v[28:29]
	v_add_f64_e32 v[22:23], v[22:23], v[32:33]
	v_fma_f64 v[32:33], v[8:9], v[141:142], v[36:37]
	v_fma_f64 v[34:35], v[6:7], v[141:142], -v[38:39]
	ds_load_b128 v[6:9], v1 offset:1552
	s_wait_loadcnt_dscnt 0x201
	v_mul_f64_e32 v[28:29], v[2:3], v[12:13]
	v_mul_f64_e32 v[12:13], v[4:5], v[12:13]
	v_add_f64_e32 v[24:25], v[24:25], v[26:27]
	v_add_f64_e32 v[22:23], v[22:23], v[30:31]
	s_wait_loadcnt_dscnt 0x100
	v_mul_f64_e32 v[26:27], v[6:7], v[16:17]
	v_mul_f64_e32 v[16:17], v[8:9], v[16:17]
	v_fma_f64 v[4:5], v[4:5], v[10:11], v[28:29]
	v_fma_f64 v[1:2], v[2:3], v[10:11], -v[12:13]
	v_add_f64_e32 v[12:13], v[24:25], v[32:33]
	v_add_f64_e32 v[10:11], v[22:23], v[34:35]
	v_fma_f64 v[8:9], v[8:9], v[14:15], v[26:27]
	v_fma_f64 v[6:7], v[6:7], v[14:15], -v[16:17]
	s_delay_alu instid0(VALU_DEP_4) | instskip(NEXT) | instid1(VALU_DEP_4)
	v_add_f64_e32 v[3:4], v[12:13], v[4:5]
	v_add_f64_e32 v[1:2], v[10:11], v[1:2]
	s_delay_alu instid0(VALU_DEP_2) | instskip(NEXT) | instid1(VALU_DEP_2)
	v_add_f64_e32 v[3:4], v[3:4], v[8:9]
	v_add_f64_e32 v[1:2], v[1:2], v[6:7]
	s_wait_loadcnt 0x0
	s_delay_alu instid0(VALU_DEP_2) | instskip(NEXT) | instid1(VALU_DEP_2)
	v_add_f64_e64 v[3:4], v[20:21], -v[3:4]
	v_add_f64_e64 v[1:2], v[18:19], -v[1:2]
	scratch_store_b128 off, v[1:4], off offset:400
	v_cmpx_lt_u32_e32 23, v0
	s_cbranch_execz .LBB112_261
; %bb.260:
	scratch_load_b128 v[1:4], off, s39
	v_mov_b32_e32 v5, 0
	s_delay_alu instid0(VALU_DEP_1)
	v_dual_mov_b32 v6, v5 :: v_dual_mov_b32 v7, v5
	v_mov_b32_e32 v8, v5
	scratch_store_b128 off, v[5:8], off offset:384
	s_wait_loadcnt 0x0
	ds_store_b128 v140, v[1:4]
.LBB112_261:
	s_wait_alu 0xfffe
	s_or_b32 exec_lo, exec_lo, s0
	s_wait_storecnt_dscnt 0x0
	s_barrier_signal -1
	s_barrier_wait -1
	global_inv scope:SCOPE_SE
	s_clause 0x7
	scratch_load_b128 v[2:5], off, off offset:400
	scratch_load_b128 v[6:9], off, off offset:416
	;; [unrolled: 1-line block ×8, first 2 shown]
	v_mov_b32_e32 v1, 0
	s_clause 0x1
	scratch_load_b128 v[38:41], off, off offset:528
	scratch_load_b128 v[145:148], off, off offset:544
	s_mov_b32 s0, exec_lo
	ds_load_b128 v[34:37], v1 offset:1168
	ds_load_b128 v[141:144], v1 offset:1184
	s_wait_loadcnt_dscnt 0x901
	v_mul_f64_e32 v[149:150], v[36:37], v[4:5]
	v_mul_f64_e32 v[4:5], v[34:35], v[4:5]
	s_wait_loadcnt_dscnt 0x800
	v_mul_f64_e32 v[151:152], v[141:142], v[8:9]
	v_mul_f64_e32 v[8:9], v[143:144], v[8:9]
	s_delay_alu instid0(VALU_DEP_4) | instskip(NEXT) | instid1(VALU_DEP_4)
	v_fma_f64 v[149:150], v[34:35], v[2:3], -v[149:150]
	v_fma_f64 v[153:154], v[36:37], v[2:3], v[4:5]
	ds_load_b128 v[2:5], v1 offset:1200
	scratch_load_b128 v[34:37], off, off offset:560
	v_fma_f64 v[151:152], v[143:144], v[6:7], v[151:152]
	v_fma_f64 v[157:158], v[141:142], v[6:7], -v[8:9]
	ds_load_b128 v[6:9], v1 offset:1216
	scratch_load_b128 v[141:144], off, off offset:576
	s_wait_loadcnt_dscnt 0x901
	v_mul_f64_e32 v[155:156], v[2:3], v[12:13]
	v_mul_f64_e32 v[12:13], v[4:5], v[12:13]
	s_wait_loadcnt_dscnt 0x800
	v_mul_f64_e32 v[159:160], v[6:7], v[16:17]
	v_mul_f64_e32 v[16:17], v[8:9], v[16:17]
	v_add_f64_e32 v[149:150], 0, v[149:150]
	v_add_f64_e32 v[153:154], 0, v[153:154]
	v_fma_f64 v[155:156], v[4:5], v[10:11], v[155:156]
	v_fma_f64 v[161:162], v[2:3], v[10:11], -v[12:13]
	ds_load_b128 v[2:5], v1 offset:1232
	scratch_load_b128 v[10:13], off, off offset:592
	v_add_f64_e32 v[149:150], v[149:150], v[157:158]
	v_add_f64_e32 v[151:152], v[153:154], v[151:152]
	v_fma_f64 v[157:158], v[8:9], v[14:15], v[159:160]
	v_fma_f64 v[159:160], v[6:7], v[14:15], -v[16:17]
	ds_load_b128 v[6:9], v1 offset:1248
	scratch_load_b128 v[14:17], off, off offset:608
	s_wait_loadcnt_dscnt 0x901
	v_mul_f64_e32 v[153:154], v[2:3], v[20:21]
	v_mul_f64_e32 v[20:21], v[4:5], v[20:21]
	v_add_f64_e32 v[149:150], v[149:150], v[161:162]
	v_add_f64_e32 v[151:152], v[151:152], v[155:156]
	s_wait_loadcnt_dscnt 0x800
	v_mul_f64_e32 v[155:156], v[6:7], v[24:25]
	v_mul_f64_e32 v[24:25], v[8:9], v[24:25]
	v_fma_f64 v[153:154], v[4:5], v[18:19], v[153:154]
	v_fma_f64 v[161:162], v[2:3], v[18:19], -v[20:21]
	ds_load_b128 v[2:5], v1 offset:1264
	scratch_load_b128 v[18:21], off, off offset:624
	v_add_f64_e32 v[149:150], v[149:150], v[159:160]
	v_add_f64_e32 v[151:152], v[151:152], v[157:158]
	v_fma_f64 v[155:156], v[8:9], v[22:23], v[155:156]
	v_fma_f64 v[159:160], v[6:7], v[22:23], -v[24:25]
	ds_load_b128 v[6:9], v1 offset:1280
	s_wait_loadcnt_dscnt 0x801
	v_mul_f64_e32 v[157:158], v[2:3], v[28:29]
	v_mul_f64_e32 v[28:29], v[4:5], v[28:29]
	scratch_load_b128 v[22:25], off, off offset:640
	v_add_f64_e32 v[149:150], v[149:150], v[161:162]
	v_add_f64_e32 v[151:152], v[151:152], v[153:154]
	s_wait_loadcnt_dscnt 0x800
	v_mul_f64_e32 v[153:154], v[6:7], v[32:33]
	v_mul_f64_e32 v[32:33], v[8:9], v[32:33]
	v_fma_f64 v[157:158], v[4:5], v[26:27], v[157:158]
	v_fma_f64 v[161:162], v[2:3], v[26:27], -v[28:29]
	ds_load_b128 v[2:5], v1 offset:1296
	scratch_load_b128 v[26:29], off, off offset:656
	v_add_f64_e32 v[149:150], v[149:150], v[159:160]
	v_add_f64_e32 v[151:152], v[151:152], v[155:156]
	v_fma_f64 v[153:154], v[8:9], v[30:31], v[153:154]
	v_fma_f64 v[159:160], v[6:7], v[30:31], -v[32:33]
	ds_load_b128 v[6:9], v1 offset:1312
	s_wait_loadcnt_dscnt 0x801
	v_mul_f64_e32 v[155:156], v[2:3], v[40:41]
	v_mul_f64_e32 v[40:41], v[4:5], v[40:41]
	scratch_load_b128 v[30:33], off, off offset:672
	v_add_f64_e32 v[149:150], v[149:150], v[161:162]
	v_add_f64_e32 v[151:152], v[151:152], v[157:158]
	s_wait_loadcnt_dscnt 0x800
	v_mul_f64_e32 v[157:158], v[6:7], v[147:148]
	v_mul_f64_e32 v[147:148], v[8:9], v[147:148]
	v_fma_f64 v[155:156], v[4:5], v[38:39], v[155:156]
	v_fma_f64 v[161:162], v[2:3], v[38:39], -v[40:41]
	ds_load_b128 v[2:5], v1 offset:1328
	scratch_load_b128 v[38:41], off, off offset:688
	v_add_f64_e32 v[149:150], v[149:150], v[159:160]
	v_add_f64_e32 v[151:152], v[151:152], v[153:154]
	v_fma_f64 v[157:158], v[8:9], v[145:146], v[157:158]
	v_fma_f64 v[159:160], v[6:7], v[145:146], -v[147:148]
	ds_load_b128 v[6:9], v1 offset:1344
	scratch_load_b128 v[145:148], off, off offset:704
	s_wait_loadcnt_dscnt 0x901
	v_mul_f64_e32 v[153:154], v[2:3], v[36:37]
	v_mul_f64_e32 v[36:37], v[4:5], v[36:37]
	v_add_f64_e32 v[149:150], v[149:150], v[161:162]
	v_add_f64_e32 v[151:152], v[151:152], v[155:156]
	s_wait_loadcnt_dscnt 0x800
	v_mul_f64_e32 v[155:156], v[6:7], v[143:144]
	v_mul_f64_e32 v[143:144], v[8:9], v[143:144]
	v_fma_f64 v[153:154], v[4:5], v[34:35], v[153:154]
	v_fma_f64 v[161:162], v[2:3], v[34:35], -v[36:37]
	ds_load_b128 v[2:5], v1 offset:1360
	scratch_load_b128 v[34:37], off, off offset:720
	v_add_f64_e32 v[149:150], v[149:150], v[159:160]
	v_add_f64_e32 v[151:152], v[151:152], v[157:158]
	v_fma_f64 v[155:156], v[8:9], v[141:142], v[155:156]
	v_fma_f64 v[159:160], v[6:7], v[141:142], -v[143:144]
	ds_load_b128 v[6:9], v1 offset:1376
	s_wait_loadcnt_dscnt 0x801
	v_mul_f64_e32 v[157:158], v[2:3], v[12:13]
	v_mul_f64_e32 v[12:13], v[4:5], v[12:13]
	scratch_load_b128 v[141:144], off, off offset:736
	v_add_f64_e32 v[149:150], v[149:150], v[161:162]
	v_add_f64_e32 v[151:152], v[151:152], v[153:154]
	s_wait_loadcnt_dscnt 0x800
	v_mul_f64_e32 v[153:154], v[6:7], v[16:17]
	v_mul_f64_e32 v[16:17], v[8:9], v[16:17]
	v_fma_f64 v[157:158], v[4:5], v[10:11], v[157:158]
	v_fma_f64 v[161:162], v[2:3], v[10:11], -v[12:13]
	ds_load_b128 v[2:5], v1 offset:1392
	scratch_load_b128 v[10:13], off, off offset:752
	v_add_f64_e32 v[149:150], v[149:150], v[159:160]
	v_add_f64_e32 v[151:152], v[151:152], v[155:156]
	v_fma_f64 v[153:154], v[8:9], v[14:15], v[153:154]
	v_fma_f64 v[159:160], v[6:7], v[14:15], -v[16:17]
	ds_load_b128 v[6:9], v1 offset:1408
	s_wait_loadcnt_dscnt 0x801
	v_mul_f64_e32 v[155:156], v[2:3], v[20:21]
	v_mul_f64_e32 v[20:21], v[4:5], v[20:21]
	scratch_load_b128 v[14:17], off, off offset:768
	v_add_f64_e32 v[149:150], v[149:150], v[161:162]
	v_add_f64_e32 v[151:152], v[151:152], v[157:158]
	s_wait_loadcnt_dscnt 0x800
	v_mul_f64_e32 v[157:158], v[6:7], v[24:25]
	v_mul_f64_e32 v[24:25], v[8:9], v[24:25]
	v_fma_f64 v[155:156], v[4:5], v[18:19], v[155:156]
	v_fma_f64 v[161:162], v[2:3], v[18:19], -v[20:21]
	ds_load_b128 v[2:5], v1 offset:1424
	scratch_load_b128 v[18:21], off, off offset:784
	v_add_f64_e32 v[149:150], v[149:150], v[159:160]
	v_add_f64_e32 v[151:152], v[151:152], v[153:154]
	v_fma_f64 v[157:158], v[8:9], v[22:23], v[157:158]
	v_fma_f64 v[22:23], v[6:7], v[22:23], -v[24:25]
	ds_load_b128 v[6:9], v1 offset:1440
	s_wait_loadcnt_dscnt 0x801
	v_mul_f64_e32 v[153:154], v[2:3], v[28:29]
	v_mul_f64_e32 v[28:29], v[4:5], v[28:29]
	v_add_f64_e32 v[24:25], v[149:150], v[161:162]
	v_add_f64_e32 v[149:150], v[151:152], v[155:156]
	s_wait_loadcnt_dscnt 0x700
	v_mul_f64_e32 v[151:152], v[6:7], v[32:33]
	v_mul_f64_e32 v[32:33], v[8:9], v[32:33]
	v_fma_f64 v[153:154], v[4:5], v[26:27], v[153:154]
	v_fma_f64 v[26:27], v[2:3], v[26:27], -v[28:29]
	ds_load_b128 v[2:5], v1 offset:1456
	v_add_f64_e32 v[22:23], v[24:25], v[22:23]
	v_add_f64_e32 v[24:25], v[149:150], v[157:158]
	v_fma_f64 v[149:150], v[8:9], v[30:31], v[151:152]
	v_fma_f64 v[30:31], v[6:7], v[30:31], -v[32:33]
	ds_load_b128 v[6:9], v1 offset:1472
	s_wait_loadcnt_dscnt 0x500
	v_mul_f64_e32 v[151:152], v[6:7], v[147:148]
	v_mul_f64_e32 v[147:148], v[8:9], v[147:148]
	v_add_f64_e32 v[26:27], v[22:23], v[26:27]
	v_add_f64_e32 v[32:33], v[24:25], v[153:154]
	scratch_load_b128 v[22:25], off, off offset:384
	v_mul_f64_e32 v[28:29], v[2:3], v[40:41]
	v_mul_f64_e32 v[40:41], v[4:5], v[40:41]
	v_add_f64_e32 v[26:27], v[26:27], v[30:31]
	v_add_f64_e32 v[30:31], v[32:33], v[149:150]
	s_delay_alu instid0(VALU_DEP_4) | instskip(NEXT) | instid1(VALU_DEP_4)
	v_fma_f64 v[28:29], v[4:5], v[38:39], v[28:29]
	v_fma_f64 v[38:39], v[2:3], v[38:39], -v[40:41]
	ds_load_b128 v[2:5], v1 offset:1488
	v_fma_f64 v[40:41], v[8:9], v[145:146], v[151:152]
	v_fma_f64 v[145:146], v[6:7], v[145:146], -v[147:148]
	ds_load_b128 v[6:9], v1 offset:1504
	s_wait_loadcnt_dscnt 0x501
	v_mul_f64_e32 v[32:33], v[2:3], v[36:37]
	v_mul_f64_e32 v[36:37], v[4:5], v[36:37]
	v_add_f64_e32 v[28:29], v[30:31], v[28:29]
	v_add_f64_e32 v[26:27], v[26:27], v[38:39]
	s_wait_loadcnt_dscnt 0x400
	v_mul_f64_e32 v[30:31], v[6:7], v[143:144]
	v_mul_f64_e32 v[38:39], v[8:9], v[143:144]
	v_fma_f64 v[32:33], v[4:5], v[34:35], v[32:33]
	v_fma_f64 v[34:35], v[2:3], v[34:35], -v[36:37]
	ds_load_b128 v[2:5], v1 offset:1520
	v_add_f64_e32 v[28:29], v[28:29], v[40:41]
	v_add_f64_e32 v[26:27], v[26:27], v[145:146]
	v_fma_f64 v[30:31], v[8:9], v[141:142], v[30:31]
	v_fma_f64 v[38:39], v[6:7], v[141:142], -v[38:39]
	ds_load_b128 v[6:9], v1 offset:1536
	s_wait_loadcnt_dscnt 0x301
	v_mul_f64_e32 v[36:37], v[2:3], v[12:13]
	v_mul_f64_e32 v[12:13], v[4:5], v[12:13]
	v_add_f64_e32 v[28:29], v[28:29], v[32:33]
	v_add_f64_e32 v[26:27], v[26:27], v[34:35]
	s_wait_loadcnt_dscnt 0x200
	v_mul_f64_e32 v[32:33], v[6:7], v[16:17]
	v_mul_f64_e32 v[16:17], v[8:9], v[16:17]
	v_fma_f64 v[34:35], v[4:5], v[10:11], v[36:37]
	v_fma_f64 v[10:11], v[2:3], v[10:11], -v[12:13]
	ds_load_b128 v[2:5], v1 offset:1552
	v_add_f64_e32 v[12:13], v[26:27], v[38:39]
	v_add_f64_e32 v[26:27], v[28:29], v[30:31]
	s_wait_loadcnt_dscnt 0x100
	v_mul_f64_e32 v[28:29], v[2:3], v[20:21]
	v_mul_f64_e32 v[20:21], v[4:5], v[20:21]
	v_fma_f64 v[8:9], v[8:9], v[14:15], v[32:33]
	v_fma_f64 v[6:7], v[6:7], v[14:15], -v[16:17]
	v_add_f64_e32 v[10:11], v[12:13], v[10:11]
	v_add_f64_e32 v[12:13], v[26:27], v[34:35]
	v_fma_f64 v[4:5], v[4:5], v[18:19], v[28:29]
	v_fma_f64 v[2:3], v[2:3], v[18:19], -v[20:21]
	s_delay_alu instid0(VALU_DEP_4) | instskip(NEXT) | instid1(VALU_DEP_4)
	v_add_f64_e32 v[6:7], v[10:11], v[6:7]
	v_add_f64_e32 v[8:9], v[12:13], v[8:9]
	s_delay_alu instid0(VALU_DEP_2) | instskip(NEXT) | instid1(VALU_DEP_2)
	v_add_f64_e32 v[2:3], v[6:7], v[2:3]
	v_add_f64_e32 v[4:5], v[8:9], v[4:5]
	s_wait_loadcnt 0x0
	s_delay_alu instid0(VALU_DEP_2) | instskip(NEXT) | instid1(VALU_DEP_2)
	v_add_f64_e64 v[2:3], v[22:23], -v[2:3]
	v_add_f64_e64 v[4:5], v[24:25], -v[4:5]
	scratch_store_b128 off, v[2:5], off offset:384
	v_cmpx_lt_u32_e32 22, v0
	s_cbranch_execz .LBB112_263
; %bb.262:
	scratch_load_b128 v[5:8], off, s40
	v_dual_mov_b32 v2, v1 :: v_dual_mov_b32 v3, v1
	v_mov_b32_e32 v4, v1
	scratch_store_b128 off, v[1:4], off offset:368
	s_wait_loadcnt 0x0
	ds_store_b128 v140, v[5:8]
.LBB112_263:
	s_wait_alu 0xfffe
	s_or_b32 exec_lo, exec_lo, s0
	s_wait_storecnt_dscnt 0x0
	s_barrier_signal -1
	s_barrier_wait -1
	global_inv scope:SCOPE_SE
	s_clause 0x7
	scratch_load_b128 v[2:5], off, off offset:384
	scratch_load_b128 v[6:9], off, off offset:400
	scratch_load_b128 v[10:13], off, off offset:416
	scratch_load_b128 v[14:17], off, off offset:432
	scratch_load_b128 v[18:21], off, off offset:448
	scratch_load_b128 v[22:25], off, off offset:464
	scratch_load_b128 v[26:29], off, off offset:480
	scratch_load_b128 v[30:33], off, off offset:496
	ds_load_b128 v[34:37], v1 offset:1152
	ds_load_b128 v[141:144], v1 offset:1168
	s_clause 0x1
	scratch_load_b128 v[38:41], off, off offset:512
	scratch_load_b128 v[145:148], off, off offset:528
	s_mov_b32 s0, exec_lo
	s_wait_loadcnt_dscnt 0x901
	v_mul_f64_e32 v[149:150], v[36:37], v[4:5]
	v_mul_f64_e32 v[4:5], v[34:35], v[4:5]
	s_wait_loadcnt_dscnt 0x800
	v_mul_f64_e32 v[151:152], v[141:142], v[8:9]
	v_mul_f64_e32 v[8:9], v[143:144], v[8:9]
	s_delay_alu instid0(VALU_DEP_4) | instskip(NEXT) | instid1(VALU_DEP_4)
	v_fma_f64 v[149:150], v[34:35], v[2:3], -v[149:150]
	v_fma_f64 v[153:154], v[36:37], v[2:3], v[4:5]
	ds_load_b128 v[2:5], v1 offset:1184
	scratch_load_b128 v[34:37], off, off offset:544
	v_fma_f64 v[151:152], v[143:144], v[6:7], v[151:152]
	v_fma_f64 v[157:158], v[141:142], v[6:7], -v[8:9]
	ds_load_b128 v[6:9], v1 offset:1200
	scratch_load_b128 v[141:144], off, off offset:560
	s_wait_loadcnt_dscnt 0x901
	v_mul_f64_e32 v[155:156], v[2:3], v[12:13]
	v_mul_f64_e32 v[12:13], v[4:5], v[12:13]
	s_wait_loadcnt_dscnt 0x800
	v_mul_f64_e32 v[159:160], v[6:7], v[16:17]
	v_mul_f64_e32 v[16:17], v[8:9], v[16:17]
	v_add_f64_e32 v[149:150], 0, v[149:150]
	v_add_f64_e32 v[153:154], 0, v[153:154]
	v_fma_f64 v[155:156], v[4:5], v[10:11], v[155:156]
	v_fma_f64 v[161:162], v[2:3], v[10:11], -v[12:13]
	ds_load_b128 v[2:5], v1 offset:1216
	scratch_load_b128 v[10:13], off, off offset:576
	v_add_f64_e32 v[149:150], v[149:150], v[157:158]
	v_add_f64_e32 v[151:152], v[153:154], v[151:152]
	v_fma_f64 v[157:158], v[8:9], v[14:15], v[159:160]
	v_fma_f64 v[159:160], v[6:7], v[14:15], -v[16:17]
	ds_load_b128 v[6:9], v1 offset:1232
	scratch_load_b128 v[14:17], off, off offset:592
	s_wait_loadcnt_dscnt 0x901
	v_mul_f64_e32 v[153:154], v[2:3], v[20:21]
	v_mul_f64_e32 v[20:21], v[4:5], v[20:21]
	v_add_f64_e32 v[149:150], v[149:150], v[161:162]
	v_add_f64_e32 v[151:152], v[151:152], v[155:156]
	s_wait_loadcnt_dscnt 0x800
	v_mul_f64_e32 v[155:156], v[6:7], v[24:25]
	v_mul_f64_e32 v[24:25], v[8:9], v[24:25]
	v_fma_f64 v[153:154], v[4:5], v[18:19], v[153:154]
	v_fma_f64 v[161:162], v[2:3], v[18:19], -v[20:21]
	ds_load_b128 v[2:5], v1 offset:1248
	scratch_load_b128 v[18:21], off, off offset:608
	v_add_f64_e32 v[149:150], v[149:150], v[159:160]
	v_add_f64_e32 v[151:152], v[151:152], v[157:158]
	v_fma_f64 v[155:156], v[8:9], v[22:23], v[155:156]
	v_fma_f64 v[159:160], v[6:7], v[22:23], -v[24:25]
	ds_load_b128 v[6:9], v1 offset:1264
	s_wait_loadcnt_dscnt 0x801
	v_mul_f64_e32 v[157:158], v[2:3], v[28:29]
	v_mul_f64_e32 v[28:29], v[4:5], v[28:29]
	scratch_load_b128 v[22:25], off, off offset:624
	v_add_f64_e32 v[149:150], v[149:150], v[161:162]
	v_add_f64_e32 v[151:152], v[151:152], v[153:154]
	s_wait_loadcnt_dscnt 0x800
	v_mul_f64_e32 v[153:154], v[6:7], v[32:33]
	v_mul_f64_e32 v[32:33], v[8:9], v[32:33]
	v_fma_f64 v[157:158], v[4:5], v[26:27], v[157:158]
	v_fma_f64 v[161:162], v[2:3], v[26:27], -v[28:29]
	ds_load_b128 v[2:5], v1 offset:1280
	scratch_load_b128 v[26:29], off, off offset:640
	v_add_f64_e32 v[149:150], v[149:150], v[159:160]
	v_add_f64_e32 v[151:152], v[151:152], v[155:156]
	v_fma_f64 v[153:154], v[8:9], v[30:31], v[153:154]
	v_fma_f64 v[159:160], v[6:7], v[30:31], -v[32:33]
	ds_load_b128 v[6:9], v1 offset:1296
	s_wait_loadcnt_dscnt 0x801
	v_mul_f64_e32 v[155:156], v[2:3], v[40:41]
	v_mul_f64_e32 v[40:41], v[4:5], v[40:41]
	scratch_load_b128 v[30:33], off, off offset:656
	v_add_f64_e32 v[149:150], v[149:150], v[161:162]
	v_add_f64_e32 v[151:152], v[151:152], v[157:158]
	s_wait_loadcnt_dscnt 0x800
	v_mul_f64_e32 v[157:158], v[6:7], v[147:148]
	v_mul_f64_e32 v[147:148], v[8:9], v[147:148]
	v_fma_f64 v[155:156], v[4:5], v[38:39], v[155:156]
	v_fma_f64 v[161:162], v[2:3], v[38:39], -v[40:41]
	ds_load_b128 v[2:5], v1 offset:1312
	scratch_load_b128 v[38:41], off, off offset:672
	v_add_f64_e32 v[149:150], v[149:150], v[159:160]
	v_add_f64_e32 v[151:152], v[151:152], v[153:154]
	v_fma_f64 v[157:158], v[8:9], v[145:146], v[157:158]
	v_fma_f64 v[159:160], v[6:7], v[145:146], -v[147:148]
	ds_load_b128 v[6:9], v1 offset:1328
	scratch_load_b128 v[145:148], off, off offset:688
	s_wait_loadcnt_dscnt 0x901
	v_mul_f64_e32 v[153:154], v[2:3], v[36:37]
	v_mul_f64_e32 v[36:37], v[4:5], v[36:37]
	v_add_f64_e32 v[149:150], v[149:150], v[161:162]
	v_add_f64_e32 v[151:152], v[151:152], v[155:156]
	s_wait_loadcnt_dscnt 0x800
	v_mul_f64_e32 v[155:156], v[6:7], v[143:144]
	v_mul_f64_e32 v[143:144], v[8:9], v[143:144]
	v_fma_f64 v[153:154], v[4:5], v[34:35], v[153:154]
	v_fma_f64 v[161:162], v[2:3], v[34:35], -v[36:37]
	ds_load_b128 v[2:5], v1 offset:1344
	scratch_load_b128 v[34:37], off, off offset:704
	v_add_f64_e32 v[149:150], v[149:150], v[159:160]
	v_add_f64_e32 v[151:152], v[151:152], v[157:158]
	v_fma_f64 v[155:156], v[8:9], v[141:142], v[155:156]
	v_fma_f64 v[159:160], v[6:7], v[141:142], -v[143:144]
	ds_load_b128 v[6:9], v1 offset:1360
	s_wait_loadcnt_dscnt 0x801
	v_mul_f64_e32 v[157:158], v[2:3], v[12:13]
	v_mul_f64_e32 v[12:13], v[4:5], v[12:13]
	scratch_load_b128 v[141:144], off, off offset:720
	v_add_f64_e32 v[149:150], v[149:150], v[161:162]
	v_add_f64_e32 v[151:152], v[151:152], v[153:154]
	s_wait_loadcnt_dscnt 0x800
	v_mul_f64_e32 v[153:154], v[6:7], v[16:17]
	v_mul_f64_e32 v[16:17], v[8:9], v[16:17]
	v_fma_f64 v[157:158], v[4:5], v[10:11], v[157:158]
	v_fma_f64 v[161:162], v[2:3], v[10:11], -v[12:13]
	ds_load_b128 v[2:5], v1 offset:1376
	scratch_load_b128 v[10:13], off, off offset:736
	v_add_f64_e32 v[149:150], v[149:150], v[159:160]
	v_add_f64_e32 v[151:152], v[151:152], v[155:156]
	v_fma_f64 v[153:154], v[8:9], v[14:15], v[153:154]
	v_fma_f64 v[159:160], v[6:7], v[14:15], -v[16:17]
	ds_load_b128 v[6:9], v1 offset:1392
	s_wait_loadcnt_dscnt 0x801
	v_mul_f64_e32 v[155:156], v[2:3], v[20:21]
	v_mul_f64_e32 v[20:21], v[4:5], v[20:21]
	scratch_load_b128 v[14:17], off, off offset:752
	;; [unrolled: 18-line block ×3, first 2 shown]
	v_add_f64_e32 v[149:150], v[149:150], v[161:162]
	v_add_f64_e32 v[151:152], v[151:152], v[155:156]
	s_wait_loadcnt_dscnt 0x800
	v_mul_f64_e32 v[155:156], v[6:7], v[32:33]
	v_mul_f64_e32 v[32:33], v[8:9], v[32:33]
	v_fma_f64 v[153:154], v[4:5], v[26:27], v[153:154]
	v_fma_f64 v[26:27], v[2:3], v[26:27], -v[28:29]
	ds_load_b128 v[2:5], v1 offset:1440
	v_add_f64_e32 v[28:29], v[149:150], v[159:160]
	v_add_f64_e32 v[149:150], v[151:152], v[157:158]
	v_fma_f64 v[155:156], v[8:9], v[30:31], v[155:156]
	v_fma_f64 v[30:31], v[6:7], v[30:31], -v[32:33]
	ds_load_b128 v[6:9], v1 offset:1456
	s_wait_loadcnt_dscnt 0x701
	v_mul_f64_e32 v[151:152], v[2:3], v[40:41]
	v_mul_f64_e32 v[40:41], v[4:5], v[40:41]
	v_add_f64_e32 v[26:27], v[28:29], v[26:27]
	v_add_f64_e32 v[28:29], v[149:150], v[153:154]
	s_delay_alu instid0(VALU_DEP_4) | instskip(NEXT) | instid1(VALU_DEP_4)
	v_fma_f64 v[149:150], v[4:5], v[38:39], v[151:152]
	v_fma_f64 v[38:39], v[2:3], v[38:39], -v[40:41]
	ds_load_b128 v[2:5], v1 offset:1472
	v_add_f64_e32 v[30:31], v[26:27], v[30:31]
	v_add_f64_e32 v[40:41], v[28:29], v[155:156]
	scratch_load_b128 v[26:29], off, off offset:368
	s_wait_loadcnt_dscnt 0x701
	v_mul_f64_e32 v[32:33], v[6:7], v[147:148]
	v_mul_f64_e32 v[147:148], v[8:9], v[147:148]
	v_add_f64_e32 v[30:31], v[30:31], v[38:39]
	v_add_f64_e32 v[38:39], v[40:41], v[149:150]
	s_delay_alu instid0(VALU_DEP_4) | instskip(NEXT) | instid1(VALU_DEP_4)
	v_fma_f64 v[32:33], v[8:9], v[145:146], v[32:33]
	v_fma_f64 v[145:146], v[6:7], v[145:146], -v[147:148]
	ds_load_b128 v[6:9], v1 offset:1488
	s_wait_loadcnt_dscnt 0x601
	v_mul_f64_e32 v[151:152], v[2:3], v[36:37]
	v_mul_f64_e32 v[36:37], v[4:5], v[36:37]
	s_wait_loadcnt_dscnt 0x500
	v_mul_f64_e32 v[40:41], v[6:7], v[143:144]
	v_mul_f64_e32 v[143:144], v[8:9], v[143:144]
	v_add_f64_e32 v[32:33], v[38:39], v[32:33]
	v_add_f64_e32 v[30:31], v[30:31], v[145:146]
	v_fma_f64 v[147:148], v[4:5], v[34:35], v[151:152]
	v_fma_f64 v[34:35], v[2:3], v[34:35], -v[36:37]
	ds_load_b128 v[2:5], v1 offset:1504
	v_fma_f64 v[38:39], v[8:9], v[141:142], v[40:41]
	v_fma_f64 v[40:41], v[6:7], v[141:142], -v[143:144]
	ds_load_b128 v[6:9], v1 offset:1520
	s_wait_loadcnt_dscnt 0x401
	v_mul_f64_e32 v[36:37], v[2:3], v[12:13]
	v_mul_f64_e32 v[12:13], v[4:5], v[12:13]
	v_add_f64_e32 v[32:33], v[32:33], v[147:148]
	v_add_f64_e32 v[30:31], v[30:31], v[34:35]
	s_wait_loadcnt_dscnt 0x300
	v_mul_f64_e32 v[34:35], v[6:7], v[16:17]
	v_mul_f64_e32 v[16:17], v[8:9], v[16:17]
	v_fma_f64 v[36:37], v[4:5], v[10:11], v[36:37]
	v_fma_f64 v[10:11], v[2:3], v[10:11], -v[12:13]
	ds_load_b128 v[2:5], v1 offset:1536
	v_add_f64_e32 v[12:13], v[30:31], v[40:41]
	v_add_f64_e32 v[30:31], v[32:33], v[38:39]
	v_fma_f64 v[34:35], v[8:9], v[14:15], v[34:35]
	v_fma_f64 v[14:15], v[6:7], v[14:15], -v[16:17]
	ds_load_b128 v[6:9], v1 offset:1552
	s_wait_loadcnt_dscnt 0x201
	v_mul_f64_e32 v[32:33], v[2:3], v[20:21]
	v_mul_f64_e32 v[20:21], v[4:5], v[20:21]
	s_wait_loadcnt_dscnt 0x100
	v_mul_f64_e32 v[16:17], v[6:7], v[24:25]
	v_mul_f64_e32 v[24:25], v[8:9], v[24:25]
	v_add_f64_e32 v[10:11], v[12:13], v[10:11]
	v_add_f64_e32 v[12:13], v[30:31], v[36:37]
	v_fma_f64 v[4:5], v[4:5], v[18:19], v[32:33]
	v_fma_f64 v[1:2], v[2:3], v[18:19], -v[20:21]
	v_fma_f64 v[8:9], v[8:9], v[22:23], v[16:17]
	v_fma_f64 v[6:7], v[6:7], v[22:23], -v[24:25]
	v_add_f64_e32 v[10:11], v[10:11], v[14:15]
	v_add_f64_e32 v[12:13], v[12:13], v[34:35]
	s_delay_alu instid0(VALU_DEP_2) | instskip(NEXT) | instid1(VALU_DEP_2)
	v_add_f64_e32 v[1:2], v[10:11], v[1:2]
	v_add_f64_e32 v[3:4], v[12:13], v[4:5]
	s_delay_alu instid0(VALU_DEP_2) | instskip(NEXT) | instid1(VALU_DEP_2)
	v_add_f64_e32 v[1:2], v[1:2], v[6:7]
	v_add_f64_e32 v[3:4], v[3:4], v[8:9]
	s_wait_loadcnt 0x0
	s_delay_alu instid0(VALU_DEP_2) | instskip(NEXT) | instid1(VALU_DEP_2)
	v_add_f64_e64 v[1:2], v[26:27], -v[1:2]
	v_add_f64_e64 v[3:4], v[28:29], -v[3:4]
	scratch_store_b128 off, v[1:4], off offset:368
	v_cmpx_lt_u32_e32 21, v0
	s_cbranch_execz .LBB112_265
; %bb.264:
	scratch_load_b128 v[1:4], off, s41
	v_mov_b32_e32 v5, 0
	s_delay_alu instid0(VALU_DEP_1)
	v_dual_mov_b32 v6, v5 :: v_dual_mov_b32 v7, v5
	v_mov_b32_e32 v8, v5
	scratch_store_b128 off, v[5:8], off offset:352
	s_wait_loadcnt 0x0
	ds_store_b128 v140, v[1:4]
.LBB112_265:
	s_wait_alu 0xfffe
	s_or_b32 exec_lo, exec_lo, s0
	s_wait_storecnt_dscnt 0x0
	s_barrier_signal -1
	s_barrier_wait -1
	global_inv scope:SCOPE_SE
	s_clause 0x7
	scratch_load_b128 v[2:5], off, off offset:368
	scratch_load_b128 v[6:9], off, off offset:384
	scratch_load_b128 v[10:13], off, off offset:400
	scratch_load_b128 v[14:17], off, off offset:416
	scratch_load_b128 v[18:21], off, off offset:432
	scratch_load_b128 v[22:25], off, off offset:448
	scratch_load_b128 v[26:29], off, off offset:464
	scratch_load_b128 v[30:33], off, off offset:480
	v_mov_b32_e32 v1, 0
	s_clause 0x1
	scratch_load_b128 v[38:41], off, off offset:496
	scratch_load_b128 v[145:148], off, off offset:512
	s_mov_b32 s0, exec_lo
	ds_load_b128 v[34:37], v1 offset:1136
	ds_load_b128 v[141:144], v1 offset:1152
	s_wait_loadcnt_dscnt 0x901
	v_mul_f64_e32 v[149:150], v[36:37], v[4:5]
	v_mul_f64_e32 v[4:5], v[34:35], v[4:5]
	s_wait_loadcnt_dscnt 0x800
	v_mul_f64_e32 v[151:152], v[141:142], v[8:9]
	v_mul_f64_e32 v[8:9], v[143:144], v[8:9]
	s_delay_alu instid0(VALU_DEP_4) | instskip(NEXT) | instid1(VALU_DEP_4)
	v_fma_f64 v[149:150], v[34:35], v[2:3], -v[149:150]
	v_fma_f64 v[153:154], v[36:37], v[2:3], v[4:5]
	ds_load_b128 v[2:5], v1 offset:1168
	scratch_load_b128 v[34:37], off, off offset:528
	v_fma_f64 v[151:152], v[143:144], v[6:7], v[151:152]
	v_fma_f64 v[157:158], v[141:142], v[6:7], -v[8:9]
	ds_load_b128 v[6:9], v1 offset:1184
	scratch_load_b128 v[141:144], off, off offset:544
	s_wait_loadcnt_dscnt 0x901
	v_mul_f64_e32 v[155:156], v[2:3], v[12:13]
	v_mul_f64_e32 v[12:13], v[4:5], v[12:13]
	s_wait_loadcnt_dscnt 0x800
	v_mul_f64_e32 v[159:160], v[6:7], v[16:17]
	v_mul_f64_e32 v[16:17], v[8:9], v[16:17]
	v_add_f64_e32 v[149:150], 0, v[149:150]
	v_add_f64_e32 v[153:154], 0, v[153:154]
	v_fma_f64 v[155:156], v[4:5], v[10:11], v[155:156]
	v_fma_f64 v[161:162], v[2:3], v[10:11], -v[12:13]
	ds_load_b128 v[2:5], v1 offset:1200
	scratch_load_b128 v[10:13], off, off offset:560
	v_add_f64_e32 v[149:150], v[149:150], v[157:158]
	v_add_f64_e32 v[151:152], v[153:154], v[151:152]
	v_fma_f64 v[157:158], v[8:9], v[14:15], v[159:160]
	v_fma_f64 v[159:160], v[6:7], v[14:15], -v[16:17]
	ds_load_b128 v[6:9], v1 offset:1216
	scratch_load_b128 v[14:17], off, off offset:576
	s_wait_loadcnt_dscnt 0x901
	v_mul_f64_e32 v[153:154], v[2:3], v[20:21]
	v_mul_f64_e32 v[20:21], v[4:5], v[20:21]
	v_add_f64_e32 v[149:150], v[149:150], v[161:162]
	v_add_f64_e32 v[151:152], v[151:152], v[155:156]
	s_wait_loadcnt_dscnt 0x800
	v_mul_f64_e32 v[155:156], v[6:7], v[24:25]
	v_mul_f64_e32 v[24:25], v[8:9], v[24:25]
	v_fma_f64 v[153:154], v[4:5], v[18:19], v[153:154]
	v_fma_f64 v[161:162], v[2:3], v[18:19], -v[20:21]
	ds_load_b128 v[2:5], v1 offset:1232
	scratch_load_b128 v[18:21], off, off offset:592
	v_add_f64_e32 v[149:150], v[149:150], v[159:160]
	v_add_f64_e32 v[151:152], v[151:152], v[157:158]
	v_fma_f64 v[155:156], v[8:9], v[22:23], v[155:156]
	v_fma_f64 v[159:160], v[6:7], v[22:23], -v[24:25]
	ds_load_b128 v[6:9], v1 offset:1248
	s_wait_loadcnt_dscnt 0x801
	v_mul_f64_e32 v[157:158], v[2:3], v[28:29]
	v_mul_f64_e32 v[28:29], v[4:5], v[28:29]
	scratch_load_b128 v[22:25], off, off offset:608
	v_add_f64_e32 v[149:150], v[149:150], v[161:162]
	v_add_f64_e32 v[151:152], v[151:152], v[153:154]
	s_wait_loadcnt_dscnt 0x800
	v_mul_f64_e32 v[153:154], v[6:7], v[32:33]
	v_mul_f64_e32 v[32:33], v[8:9], v[32:33]
	v_fma_f64 v[157:158], v[4:5], v[26:27], v[157:158]
	v_fma_f64 v[161:162], v[2:3], v[26:27], -v[28:29]
	ds_load_b128 v[2:5], v1 offset:1264
	scratch_load_b128 v[26:29], off, off offset:624
	v_add_f64_e32 v[149:150], v[149:150], v[159:160]
	v_add_f64_e32 v[151:152], v[151:152], v[155:156]
	v_fma_f64 v[153:154], v[8:9], v[30:31], v[153:154]
	v_fma_f64 v[159:160], v[6:7], v[30:31], -v[32:33]
	ds_load_b128 v[6:9], v1 offset:1280
	s_wait_loadcnt_dscnt 0x801
	v_mul_f64_e32 v[155:156], v[2:3], v[40:41]
	v_mul_f64_e32 v[40:41], v[4:5], v[40:41]
	scratch_load_b128 v[30:33], off, off offset:640
	v_add_f64_e32 v[149:150], v[149:150], v[161:162]
	v_add_f64_e32 v[151:152], v[151:152], v[157:158]
	s_wait_loadcnt_dscnt 0x800
	v_mul_f64_e32 v[157:158], v[6:7], v[147:148]
	v_mul_f64_e32 v[147:148], v[8:9], v[147:148]
	v_fma_f64 v[155:156], v[4:5], v[38:39], v[155:156]
	v_fma_f64 v[161:162], v[2:3], v[38:39], -v[40:41]
	ds_load_b128 v[2:5], v1 offset:1296
	scratch_load_b128 v[38:41], off, off offset:656
	v_add_f64_e32 v[149:150], v[149:150], v[159:160]
	v_add_f64_e32 v[151:152], v[151:152], v[153:154]
	v_fma_f64 v[157:158], v[8:9], v[145:146], v[157:158]
	v_fma_f64 v[159:160], v[6:7], v[145:146], -v[147:148]
	ds_load_b128 v[6:9], v1 offset:1312
	scratch_load_b128 v[145:148], off, off offset:672
	s_wait_loadcnt_dscnt 0x901
	v_mul_f64_e32 v[153:154], v[2:3], v[36:37]
	v_mul_f64_e32 v[36:37], v[4:5], v[36:37]
	v_add_f64_e32 v[149:150], v[149:150], v[161:162]
	v_add_f64_e32 v[151:152], v[151:152], v[155:156]
	s_wait_loadcnt_dscnt 0x800
	v_mul_f64_e32 v[155:156], v[6:7], v[143:144]
	v_mul_f64_e32 v[143:144], v[8:9], v[143:144]
	v_fma_f64 v[153:154], v[4:5], v[34:35], v[153:154]
	v_fma_f64 v[161:162], v[2:3], v[34:35], -v[36:37]
	ds_load_b128 v[2:5], v1 offset:1328
	scratch_load_b128 v[34:37], off, off offset:688
	v_add_f64_e32 v[149:150], v[149:150], v[159:160]
	v_add_f64_e32 v[151:152], v[151:152], v[157:158]
	v_fma_f64 v[155:156], v[8:9], v[141:142], v[155:156]
	v_fma_f64 v[159:160], v[6:7], v[141:142], -v[143:144]
	ds_load_b128 v[6:9], v1 offset:1344
	s_wait_loadcnt_dscnt 0x801
	v_mul_f64_e32 v[157:158], v[2:3], v[12:13]
	v_mul_f64_e32 v[12:13], v[4:5], v[12:13]
	scratch_load_b128 v[141:144], off, off offset:704
	v_add_f64_e32 v[149:150], v[149:150], v[161:162]
	v_add_f64_e32 v[151:152], v[151:152], v[153:154]
	s_wait_loadcnt_dscnt 0x800
	v_mul_f64_e32 v[153:154], v[6:7], v[16:17]
	v_mul_f64_e32 v[16:17], v[8:9], v[16:17]
	v_fma_f64 v[157:158], v[4:5], v[10:11], v[157:158]
	v_fma_f64 v[161:162], v[2:3], v[10:11], -v[12:13]
	ds_load_b128 v[2:5], v1 offset:1360
	scratch_load_b128 v[10:13], off, off offset:720
	v_add_f64_e32 v[149:150], v[149:150], v[159:160]
	v_add_f64_e32 v[151:152], v[151:152], v[155:156]
	v_fma_f64 v[153:154], v[8:9], v[14:15], v[153:154]
	v_fma_f64 v[159:160], v[6:7], v[14:15], -v[16:17]
	ds_load_b128 v[6:9], v1 offset:1376
	s_wait_loadcnt_dscnt 0x801
	v_mul_f64_e32 v[155:156], v[2:3], v[20:21]
	v_mul_f64_e32 v[20:21], v[4:5], v[20:21]
	scratch_load_b128 v[14:17], off, off offset:736
	;; [unrolled: 18-line block ×3, first 2 shown]
	v_add_f64_e32 v[149:150], v[149:150], v[161:162]
	v_add_f64_e32 v[151:152], v[151:152], v[155:156]
	s_wait_loadcnt_dscnt 0x800
	v_mul_f64_e32 v[155:156], v[6:7], v[32:33]
	v_mul_f64_e32 v[32:33], v[8:9], v[32:33]
	v_fma_f64 v[153:154], v[4:5], v[26:27], v[153:154]
	v_fma_f64 v[161:162], v[2:3], v[26:27], -v[28:29]
	ds_load_b128 v[2:5], v1 offset:1424
	scratch_load_b128 v[26:29], off, off offset:784
	v_add_f64_e32 v[149:150], v[149:150], v[159:160]
	v_add_f64_e32 v[151:152], v[151:152], v[157:158]
	v_fma_f64 v[155:156], v[8:9], v[30:31], v[155:156]
	v_fma_f64 v[30:31], v[6:7], v[30:31], -v[32:33]
	ds_load_b128 v[6:9], v1 offset:1440
	s_wait_loadcnt_dscnt 0x801
	v_mul_f64_e32 v[157:158], v[2:3], v[40:41]
	v_mul_f64_e32 v[40:41], v[4:5], v[40:41]
	v_add_f64_e32 v[32:33], v[149:150], v[161:162]
	v_add_f64_e32 v[149:150], v[151:152], v[153:154]
	s_wait_loadcnt_dscnt 0x700
	v_mul_f64_e32 v[151:152], v[6:7], v[147:148]
	v_mul_f64_e32 v[147:148], v[8:9], v[147:148]
	v_fma_f64 v[153:154], v[4:5], v[38:39], v[157:158]
	v_fma_f64 v[38:39], v[2:3], v[38:39], -v[40:41]
	ds_load_b128 v[2:5], v1 offset:1456
	v_add_f64_e32 v[30:31], v[32:33], v[30:31]
	v_add_f64_e32 v[32:33], v[149:150], v[155:156]
	v_fma_f64 v[149:150], v[8:9], v[145:146], v[151:152]
	v_fma_f64 v[145:146], v[6:7], v[145:146], -v[147:148]
	ds_load_b128 v[6:9], v1 offset:1472
	s_wait_loadcnt_dscnt 0x500
	v_mul_f64_e32 v[151:152], v[6:7], v[143:144]
	v_mul_f64_e32 v[143:144], v[8:9], v[143:144]
	v_add_f64_e32 v[38:39], v[30:31], v[38:39]
	v_add_f64_e32 v[147:148], v[32:33], v[153:154]
	scratch_load_b128 v[30:33], off, off offset:352
	v_mul_f64_e32 v[40:41], v[2:3], v[36:37]
	v_mul_f64_e32 v[36:37], v[4:5], v[36:37]
	s_delay_alu instid0(VALU_DEP_2) | instskip(NEXT) | instid1(VALU_DEP_2)
	v_fma_f64 v[40:41], v[4:5], v[34:35], v[40:41]
	v_fma_f64 v[34:35], v[2:3], v[34:35], -v[36:37]
	v_add_f64_e32 v[36:37], v[38:39], v[145:146]
	v_add_f64_e32 v[38:39], v[147:148], v[149:150]
	ds_load_b128 v[2:5], v1 offset:1488
	v_fma_f64 v[147:148], v[8:9], v[141:142], v[151:152]
	v_fma_f64 v[141:142], v[6:7], v[141:142], -v[143:144]
	ds_load_b128 v[6:9], v1 offset:1504
	s_wait_loadcnt_dscnt 0x501
	v_mul_f64_e32 v[145:146], v[2:3], v[12:13]
	v_mul_f64_e32 v[12:13], v[4:5], v[12:13]
	v_add_f64_e32 v[34:35], v[36:37], v[34:35]
	v_add_f64_e32 v[36:37], v[38:39], v[40:41]
	s_wait_loadcnt_dscnt 0x400
	v_mul_f64_e32 v[38:39], v[6:7], v[16:17]
	v_mul_f64_e32 v[16:17], v[8:9], v[16:17]
	v_fma_f64 v[40:41], v[4:5], v[10:11], v[145:146]
	v_fma_f64 v[10:11], v[2:3], v[10:11], -v[12:13]
	ds_load_b128 v[2:5], v1 offset:1520
	v_add_f64_e32 v[12:13], v[34:35], v[141:142]
	v_add_f64_e32 v[34:35], v[36:37], v[147:148]
	v_fma_f64 v[38:39], v[8:9], v[14:15], v[38:39]
	v_fma_f64 v[14:15], v[6:7], v[14:15], -v[16:17]
	ds_load_b128 v[6:9], v1 offset:1536
	s_wait_loadcnt_dscnt 0x301
	v_mul_f64_e32 v[36:37], v[2:3], v[20:21]
	v_mul_f64_e32 v[20:21], v[4:5], v[20:21]
	s_wait_loadcnt_dscnt 0x200
	v_mul_f64_e32 v[16:17], v[6:7], v[24:25]
	v_mul_f64_e32 v[24:25], v[8:9], v[24:25]
	v_add_f64_e32 v[10:11], v[12:13], v[10:11]
	v_add_f64_e32 v[12:13], v[34:35], v[40:41]
	v_fma_f64 v[34:35], v[4:5], v[18:19], v[36:37]
	v_fma_f64 v[18:19], v[2:3], v[18:19], -v[20:21]
	ds_load_b128 v[2:5], v1 offset:1552
	v_fma_f64 v[8:9], v[8:9], v[22:23], v[16:17]
	v_fma_f64 v[6:7], v[6:7], v[22:23], -v[24:25]
	s_wait_loadcnt_dscnt 0x100
	v_mul_f64_e32 v[20:21], v[4:5], v[28:29]
	v_add_f64_e32 v[10:11], v[10:11], v[14:15]
	v_add_f64_e32 v[12:13], v[12:13], v[38:39]
	v_mul_f64_e32 v[14:15], v[2:3], v[28:29]
	s_delay_alu instid0(VALU_DEP_4) | instskip(NEXT) | instid1(VALU_DEP_4)
	v_fma_f64 v[2:3], v[2:3], v[26:27], -v[20:21]
	v_add_f64_e32 v[10:11], v[10:11], v[18:19]
	s_delay_alu instid0(VALU_DEP_4) | instskip(NEXT) | instid1(VALU_DEP_4)
	v_add_f64_e32 v[12:13], v[12:13], v[34:35]
	v_fma_f64 v[4:5], v[4:5], v[26:27], v[14:15]
	s_delay_alu instid0(VALU_DEP_3) | instskip(NEXT) | instid1(VALU_DEP_3)
	v_add_f64_e32 v[6:7], v[10:11], v[6:7]
	v_add_f64_e32 v[8:9], v[12:13], v[8:9]
	s_delay_alu instid0(VALU_DEP_2) | instskip(NEXT) | instid1(VALU_DEP_2)
	v_add_f64_e32 v[2:3], v[6:7], v[2:3]
	v_add_f64_e32 v[4:5], v[8:9], v[4:5]
	s_wait_loadcnt 0x0
	s_delay_alu instid0(VALU_DEP_2) | instskip(NEXT) | instid1(VALU_DEP_2)
	v_add_f64_e64 v[2:3], v[30:31], -v[2:3]
	v_add_f64_e64 v[4:5], v[32:33], -v[4:5]
	scratch_store_b128 off, v[2:5], off offset:352
	v_cmpx_lt_u32_e32 20, v0
	s_cbranch_execz .LBB112_267
; %bb.266:
	scratch_load_b128 v[5:8], off, s42
	v_dual_mov_b32 v2, v1 :: v_dual_mov_b32 v3, v1
	v_mov_b32_e32 v4, v1
	scratch_store_b128 off, v[1:4], off offset:336
	s_wait_loadcnt 0x0
	ds_store_b128 v140, v[5:8]
.LBB112_267:
	s_wait_alu 0xfffe
	s_or_b32 exec_lo, exec_lo, s0
	s_wait_storecnt_dscnt 0x0
	s_barrier_signal -1
	s_barrier_wait -1
	global_inv scope:SCOPE_SE
	s_clause 0x7
	scratch_load_b128 v[2:5], off, off offset:352
	scratch_load_b128 v[6:9], off, off offset:368
	;; [unrolled: 1-line block ×8, first 2 shown]
	ds_load_b128 v[34:37], v1 offset:1120
	ds_load_b128 v[141:144], v1 offset:1136
	s_clause 0x1
	scratch_load_b128 v[38:41], off, off offset:480
	scratch_load_b128 v[145:148], off, off offset:496
	s_mov_b32 s0, exec_lo
	s_wait_loadcnt_dscnt 0x901
	v_mul_f64_e32 v[149:150], v[36:37], v[4:5]
	v_mul_f64_e32 v[4:5], v[34:35], v[4:5]
	s_wait_loadcnt_dscnt 0x800
	v_mul_f64_e32 v[151:152], v[141:142], v[8:9]
	v_mul_f64_e32 v[8:9], v[143:144], v[8:9]
	s_delay_alu instid0(VALU_DEP_4) | instskip(NEXT) | instid1(VALU_DEP_4)
	v_fma_f64 v[149:150], v[34:35], v[2:3], -v[149:150]
	v_fma_f64 v[153:154], v[36:37], v[2:3], v[4:5]
	scratch_load_b128 v[34:37], off, off offset:512
	ds_load_b128 v[2:5], v1 offset:1152
	v_fma_f64 v[151:152], v[143:144], v[6:7], v[151:152]
	v_fma_f64 v[157:158], v[141:142], v[6:7], -v[8:9]
	ds_load_b128 v[6:9], v1 offset:1168
	scratch_load_b128 v[141:144], off, off offset:528
	s_wait_loadcnt_dscnt 0x901
	v_mul_f64_e32 v[155:156], v[2:3], v[12:13]
	v_mul_f64_e32 v[12:13], v[4:5], v[12:13]
	s_wait_loadcnt_dscnt 0x800
	v_mul_f64_e32 v[159:160], v[6:7], v[16:17]
	v_mul_f64_e32 v[16:17], v[8:9], v[16:17]
	v_add_f64_e32 v[149:150], 0, v[149:150]
	v_add_f64_e32 v[153:154], 0, v[153:154]
	v_fma_f64 v[155:156], v[4:5], v[10:11], v[155:156]
	v_fma_f64 v[161:162], v[2:3], v[10:11], -v[12:13]
	ds_load_b128 v[2:5], v1 offset:1184
	scratch_load_b128 v[10:13], off, off offset:544
	v_add_f64_e32 v[149:150], v[149:150], v[157:158]
	v_add_f64_e32 v[151:152], v[153:154], v[151:152]
	v_fma_f64 v[157:158], v[8:9], v[14:15], v[159:160]
	v_fma_f64 v[159:160], v[6:7], v[14:15], -v[16:17]
	ds_load_b128 v[6:9], v1 offset:1200
	scratch_load_b128 v[14:17], off, off offset:560
	s_wait_loadcnt_dscnt 0x901
	v_mul_f64_e32 v[153:154], v[2:3], v[20:21]
	v_mul_f64_e32 v[20:21], v[4:5], v[20:21]
	v_add_f64_e32 v[149:150], v[149:150], v[161:162]
	v_add_f64_e32 v[151:152], v[151:152], v[155:156]
	s_wait_loadcnt_dscnt 0x800
	v_mul_f64_e32 v[155:156], v[6:7], v[24:25]
	v_mul_f64_e32 v[24:25], v[8:9], v[24:25]
	v_fma_f64 v[153:154], v[4:5], v[18:19], v[153:154]
	v_fma_f64 v[161:162], v[2:3], v[18:19], -v[20:21]
	ds_load_b128 v[2:5], v1 offset:1216
	scratch_load_b128 v[18:21], off, off offset:576
	v_add_f64_e32 v[149:150], v[149:150], v[159:160]
	v_add_f64_e32 v[151:152], v[151:152], v[157:158]
	v_fma_f64 v[155:156], v[8:9], v[22:23], v[155:156]
	v_fma_f64 v[159:160], v[6:7], v[22:23], -v[24:25]
	ds_load_b128 v[6:9], v1 offset:1232
	s_wait_loadcnt_dscnt 0x801
	v_mul_f64_e32 v[157:158], v[2:3], v[28:29]
	v_mul_f64_e32 v[28:29], v[4:5], v[28:29]
	scratch_load_b128 v[22:25], off, off offset:592
	v_add_f64_e32 v[149:150], v[149:150], v[161:162]
	v_add_f64_e32 v[151:152], v[151:152], v[153:154]
	s_wait_loadcnt_dscnt 0x800
	v_mul_f64_e32 v[153:154], v[6:7], v[32:33]
	v_mul_f64_e32 v[32:33], v[8:9], v[32:33]
	v_fma_f64 v[157:158], v[4:5], v[26:27], v[157:158]
	v_fma_f64 v[161:162], v[2:3], v[26:27], -v[28:29]
	ds_load_b128 v[2:5], v1 offset:1248
	scratch_load_b128 v[26:29], off, off offset:608
	v_add_f64_e32 v[149:150], v[149:150], v[159:160]
	v_add_f64_e32 v[151:152], v[151:152], v[155:156]
	v_fma_f64 v[153:154], v[8:9], v[30:31], v[153:154]
	v_fma_f64 v[159:160], v[6:7], v[30:31], -v[32:33]
	ds_load_b128 v[6:9], v1 offset:1264
	s_wait_loadcnt_dscnt 0x801
	v_mul_f64_e32 v[155:156], v[2:3], v[40:41]
	v_mul_f64_e32 v[40:41], v[4:5], v[40:41]
	scratch_load_b128 v[30:33], off, off offset:624
	v_add_f64_e32 v[149:150], v[149:150], v[161:162]
	v_add_f64_e32 v[151:152], v[151:152], v[157:158]
	s_wait_loadcnt_dscnt 0x800
	v_mul_f64_e32 v[157:158], v[6:7], v[147:148]
	v_mul_f64_e32 v[147:148], v[8:9], v[147:148]
	v_fma_f64 v[155:156], v[4:5], v[38:39], v[155:156]
	v_fma_f64 v[161:162], v[2:3], v[38:39], -v[40:41]
	ds_load_b128 v[2:5], v1 offset:1280
	scratch_load_b128 v[38:41], off, off offset:640
	v_add_f64_e32 v[149:150], v[149:150], v[159:160]
	v_add_f64_e32 v[151:152], v[151:152], v[153:154]
	v_fma_f64 v[157:158], v[8:9], v[145:146], v[157:158]
	v_fma_f64 v[159:160], v[6:7], v[145:146], -v[147:148]
	ds_load_b128 v[6:9], v1 offset:1296
	scratch_load_b128 v[145:148], off, off offset:656
	s_wait_loadcnt_dscnt 0x901
	v_mul_f64_e32 v[153:154], v[2:3], v[36:37]
	v_mul_f64_e32 v[36:37], v[4:5], v[36:37]
	v_add_f64_e32 v[149:150], v[149:150], v[161:162]
	v_add_f64_e32 v[151:152], v[151:152], v[155:156]
	s_wait_loadcnt_dscnt 0x800
	v_mul_f64_e32 v[155:156], v[6:7], v[143:144]
	v_mul_f64_e32 v[143:144], v[8:9], v[143:144]
	v_fma_f64 v[153:154], v[4:5], v[34:35], v[153:154]
	v_fma_f64 v[161:162], v[2:3], v[34:35], -v[36:37]
	scratch_load_b128 v[34:37], off, off offset:672
	ds_load_b128 v[2:5], v1 offset:1312
	v_add_f64_e32 v[149:150], v[149:150], v[159:160]
	v_add_f64_e32 v[151:152], v[151:152], v[157:158]
	v_fma_f64 v[155:156], v[8:9], v[141:142], v[155:156]
	v_fma_f64 v[159:160], v[6:7], v[141:142], -v[143:144]
	ds_load_b128 v[6:9], v1 offset:1328
	s_wait_loadcnt_dscnt 0x801
	v_mul_f64_e32 v[157:158], v[2:3], v[12:13]
	v_mul_f64_e32 v[12:13], v[4:5], v[12:13]
	scratch_load_b128 v[141:144], off, off offset:688
	v_add_f64_e32 v[149:150], v[149:150], v[161:162]
	v_add_f64_e32 v[151:152], v[151:152], v[153:154]
	s_wait_loadcnt_dscnt 0x800
	v_mul_f64_e32 v[153:154], v[6:7], v[16:17]
	v_mul_f64_e32 v[16:17], v[8:9], v[16:17]
	v_fma_f64 v[157:158], v[4:5], v[10:11], v[157:158]
	v_fma_f64 v[161:162], v[2:3], v[10:11], -v[12:13]
	ds_load_b128 v[2:5], v1 offset:1344
	scratch_load_b128 v[10:13], off, off offset:704
	v_add_f64_e32 v[149:150], v[149:150], v[159:160]
	v_add_f64_e32 v[151:152], v[151:152], v[155:156]
	v_fma_f64 v[153:154], v[8:9], v[14:15], v[153:154]
	v_fma_f64 v[159:160], v[6:7], v[14:15], -v[16:17]
	ds_load_b128 v[6:9], v1 offset:1360
	s_wait_loadcnt_dscnt 0x801
	v_mul_f64_e32 v[155:156], v[2:3], v[20:21]
	v_mul_f64_e32 v[20:21], v[4:5], v[20:21]
	scratch_load_b128 v[14:17], off, off offset:720
	v_add_f64_e32 v[149:150], v[149:150], v[161:162]
	v_add_f64_e32 v[151:152], v[151:152], v[157:158]
	s_wait_loadcnt_dscnt 0x800
	v_mul_f64_e32 v[157:158], v[6:7], v[24:25]
	v_mul_f64_e32 v[24:25], v[8:9], v[24:25]
	v_fma_f64 v[155:156], v[4:5], v[18:19], v[155:156]
	v_fma_f64 v[161:162], v[2:3], v[18:19], -v[20:21]
	ds_load_b128 v[2:5], v1 offset:1376
	scratch_load_b128 v[18:21], off, off offset:736
	;; [unrolled: 18-line block ×3, first 2 shown]
	v_add_f64_e32 v[149:150], v[149:150], v[159:160]
	v_add_f64_e32 v[151:152], v[151:152], v[157:158]
	v_fma_f64 v[155:156], v[8:9], v[30:31], v[155:156]
	v_fma_f64 v[159:160], v[6:7], v[30:31], -v[32:33]
	ds_load_b128 v[6:9], v1 offset:1424
	s_wait_loadcnt_dscnt 0x801
	v_mul_f64_e32 v[157:158], v[2:3], v[40:41]
	v_mul_f64_e32 v[40:41], v[4:5], v[40:41]
	scratch_load_b128 v[30:33], off, off offset:784
	v_add_f64_e32 v[149:150], v[149:150], v[161:162]
	v_add_f64_e32 v[151:152], v[151:152], v[153:154]
	v_fma_f64 v[157:158], v[4:5], v[38:39], v[157:158]
	v_fma_f64 v[38:39], v[2:3], v[38:39], -v[40:41]
	ds_load_b128 v[2:5], v1 offset:1440
	v_add_f64_e32 v[40:41], v[149:150], v[159:160]
	v_add_f64_e32 v[149:150], v[151:152], v[155:156]
	s_wait_loadcnt_dscnt 0x700
	v_mul_f64_e32 v[151:152], v[2:3], v[36:37]
	v_mul_f64_e32 v[36:37], v[4:5], v[36:37]
	s_delay_alu instid0(VALU_DEP_4) | instskip(NEXT) | instid1(VALU_DEP_4)
	v_add_f64_e32 v[38:39], v[40:41], v[38:39]
	v_add_f64_e32 v[40:41], v[149:150], v[157:158]
	s_delay_alu instid0(VALU_DEP_4) | instskip(NEXT) | instid1(VALU_DEP_4)
	v_fma_f64 v[149:150], v[4:5], v[34:35], v[151:152]
	v_fma_f64 v[151:152], v[2:3], v[34:35], -v[36:37]
	scratch_load_b128 v[34:37], off, off offset:336
	v_mul_f64_e32 v[153:154], v[6:7], v[147:148]
	v_mul_f64_e32 v[147:148], v[8:9], v[147:148]
	ds_load_b128 v[2:5], v1 offset:1472
	v_fma_f64 v[153:154], v[8:9], v[145:146], v[153:154]
	v_fma_f64 v[145:146], v[6:7], v[145:146], -v[147:148]
	ds_load_b128 v[6:9], v1 offset:1456
	s_wait_loadcnt_dscnt 0x700
	v_mul_f64_e32 v[147:148], v[6:7], v[143:144]
	v_mul_f64_e32 v[143:144], v[8:9], v[143:144]
	v_add_f64_e32 v[40:41], v[40:41], v[153:154]
	v_add_f64_e32 v[38:39], v[38:39], v[145:146]
	s_wait_loadcnt 0x6
	v_mul_f64_e32 v[145:146], v[2:3], v[12:13]
	v_mul_f64_e32 v[12:13], v[4:5], v[12:13]
	v_fma_f64 v[147:148], v[8:9], v[141:142], v[147:148]
	v_fma_f64 v[141:142], v[6:7], v[141:142], -v[143:144]
	ds_load_b128 v[6:9], v1 offset:1488
	v_add_f64_e32 v[40:41], v[40:41], v[149:150]
	v_add_f64_e32 v[38:39], v[38:39], v[151:152]
	v_fma_f64 v[145:146], v[4:5], v[10:11], v[145:146]
	v_fma_f64 v[10:11], v[2:3], v[10:11], -v[12:13]
	ds_load_b128 v[2:5], v1 offset:1504
	s_wait_loadcnt_dscnt 0x501
	v_mul_f64_e32 v[143:144], v[6:7], v[16:17]
	v_mul_f64_e32 v[16:17], v[8:9], v[16:17]
	v_add_f64_e32 v[12:13], v[38:39], v[141:142]
	v_add_f64_e32 v[38:39], v[40:41], v[147:148]
	s_wait_loadcnt_dscnt 0x400
	v_mul_f64_e32 v[40:41], v[2:3], v[20:21]
	v_mul_f64_e32 v[20:21], v[4:5], v[20:21]
	v_fma_f64 v[141:142], v[8:9], v[14:15], v[143:144]
	v_fma_f64 v[14:15], v[6:7], v[14:15], -v[16:17]
	ds_load_b128 v[6:9], v1 offset:1520
	v_add_f64_e32 v[10:11], v[12:13], v[10:11]
	v_add_f64_e32 v[12:13], v[38:39], v[145:146]
	v_fma_f64 v[38:39], v[4:5], v[18:19], v[40:41]
	v_fma_f64 v[18:19], v[2:3], v[18:19], -v[20:21]
	ds_load_b128 v[2:5], v1 offset:1536
	s_wait_loadcnt_dscnt 0x301
	v_mul_f64_e32 v[16:17], v[6:7], v[24:25]
	v_mul_f64_e32 v[24:25], v[8:9], v[24:25]
	s_wait_loadcnt_dscnt 0x200
	v_mul_f64_e32 v[20:21], v[4:5], v[28:29]
	v_add_f64_e32 v[10:11], v[10:11], v[14:15]
	v_add_f64_e32 v[12:13], v[12:13], v[141:142]
	v_mul_f64_e32 v[14:15], v[2:3], v[28:29]
	v_fma_f64 v[16:17], v[8:9], v[22:23], v[16:17]
	v_fma_f64 v[22:23], v[6:7], v[22:23], -v[24:25]
	ds_load_b128 v[6:9], v1 offset:1552
	v_fma_f64 v[1:2], v[2:3], v[26:27], -v[20:21]
	s_wait_loadcnt_dscnt 0x100
	v_mul_f64_e32 v[24:25], v[8:9], v[32:33]
	v_add_f64_e32 v[10:11], v[10:11], v[18:19]
	v_add_f64_e32 v[12:13], v[12:13], v[38:39]
	v_mul_f64_e32 v[18:19], v[6:7], v[32:33]
	v_fma_f64 v[4:5], v[4:5], v[26:27], v[14:15]
	v_fma_f64 v[6:7], v[6:7], v[30:31], -v[24:25]
	v_add_f64_e32 v[10:11], v[10:11], v[22:23]
	v_add_f64_e32 v[12:13], v[12:13], v[16:17]
	v_fma_f64 v[8:9], v[8:9], v[30:31], v[18:19]
	s_delay_alu instid0(VALU_DEP_3) | instskip(NEXT) | instid1(VALU_DEP_3)
	v_add_f64_e32 v[1:2], v[10:11], v[1:2]
	v_add_f64_e32 v[3:4], v[12:13], v[4:5]
	s_delay_alu instid0(VALU_DEP_2) | instskip(NEXT) | instid1(VALU_DEP_2)
	v_add_f64_e32 v[1:2], v[1:2], v[6:7]
	v_add_f64_e32 v[3:4], v[3:4], v[8:9]
	s_wait_loadcnt 0x0
	s_delay_alu instid0(VALU_DEP_2) | instskip(NEXT) | instid1(VALU_DEP_2)
	v_add_f64_e64 v[1:2], v[34:35], -v[1:2]
	v_add_f64_e64 v[3:4], v[36:37], -v[3:4]
	scratch_store_b128 off, v[1:4], off offset:336
	v_cmpx_lt_u32_e32 19, v0
	s_cbranch_execz .LBB112_269
; %bb.268:
	scratch_load_b128 v[1:4], off, s43
	v_mov_b32_e32 v5, 0
	s_delay_alu instid0(VALU_DEP_1)
	v_dual_mov_b32 v6, v5 :: v_dual_mov_b32 v7, v5
	v_mov_b32_e32 v8, v5
	scratch_store_b128 off, v[5:8], off offset:320
	s_wait_loadcnt 0x0
	ds_store_b128 v140, v[1:4]
.LBB112_269:
	s_wait_alu 0xfffe
	s_or_b32 exec_lo, exec_lo, s0
	s_wait_storecnt_dscnt 0x0
	s_barrier_signal -1
	s_barrier_wait -1
	global_inv scope:SCOPE_SE
	s_clause 0x7
	scratch_load_b128 v[2:5], off, off offset:336
	scratch_load_b128 v[6:9], off, off offset:352
	;; [unrolled: 1-line block ×8, first 2 shown]
	v_mov_b32_e32 v1, 0
	s_clause 0x1
	scratch_load_b128 v[38:41], off, off offset:464
	scratch_load_b128 v[145:148], off, off offset:480
	s_mov_b32 s0, exec_lo
	ds_load_b128 v[34:37], v1 offset:1104
	ds_load_b128 v[141:144], v1 offset:1120
	s_wait_loadcnt_dscnt 0x901
	v_mul_f64_e32 v[149:150], v[36:37], v[4:5]
	v_mul_f64_e32 v[4:5], v[34:35], v[4:5]
	s_wait_loadcnt_dscnt 0x800
	v_mul_f64_e32 v[151:152], v[141:142], v[8:9]
	v_mul_f64_e32 v[8:9], v[143:144], v[8:9]
	s_delay_alu instid0(VALU_DEP_4) | instskip(NEXT) | instid1(VALU_DEP_4)
	v_fma_f64 v[149:150], v[34:35], v[2:3], -v[149:150]
	v_fma_f64 v[153:154], v[36:37], v[2:3], v[4:5]
	ds_load_b128 v[2:5], v1 offset:1136
	scratch_load_b128 v[34:37], off, off offset:496
	v_fma_f64 v[151:152], v[143:144], v[6:7], v[151:152]
	v_fma_f64 v[157:158], v[141:142], v[6:7], -v[8:9]
	ds_load_b128 v[6:9], v1 offset:1152
	scratch_load_b128 v[141:144], off, off offset:512
	s_wait_loadcnt_dscnt 0x901
	v_mul_f64_e32 v[155:156], v[2:3], v[12:13]
	v_mul_f64_e32 v[12:13], v[4:5], v[12:13]
	s_wait_loadcnt_dscnt 0x800
	v_mul_f64_e32 v[159:160], v[6:7], v[16:17]
	v_mul_f64_e32 v[16:17], v[8:9], v[16:17]
	v_add_f64_e32 v[149:150], 0, v[149:150]
	v_add_f64_e32 v[153:154], 0, v[153:154]
	v_fma_f64 v[155:156], v[4:5], v[10:11], v[155:156]
	v_fma_f64 v[161:162], v[2:3], v[10:11], -v[12:13]
	ds_load_b128 v[2:5], v1 offset:1168
	scratch_load_b128 v[10:13], off, off offset:528
	v_add_f64_e32 v[149:150], v[149:150], v[157:158]
	v_add_f64_e32 v[151:152], v[153:154], v[151:152]
	v_fma_f64 v[157:158], v[8:9], v[14:15], v[159:160]
	v_fma_f64 v[159:160], v[6:7], v[14:15], -v[16:17]
	ds_load_b128 v[6:9], v1 offset:1184
	scratch_load_b128 v[14:17], off, off offset:544
	s_wait_loadcnt_dscnt 0x901
	v_mul_f64_e32 v[153:154], v[2:3], v[20:21]
	v_mul_f64_e32 v[20:21], v[4:5], v[20:21]
	v_add_f64_e32 v[149:150], v[149:150], v[161:162]
	v_add_f64_e32 v[151:152], v[151:152], v[155:156]
	s_wait_loadcnt_dscnt 0x800
	v_mul_f64_e32 v[155:156], v[6:7], v[24:25]
	v_mul_f64_e32 v[24:25], v[8:9], v[24:25]
	v_fma_f64 v[153:154], v[4:5], v[18:19], v[153:154]
	v_fma_f64 v[161:162], v[2:3], v[18:19], -v[20:21]
	ds_load_b128 v[2:5], v1 offset:1200
	scratch_load_b128 v[18:21], off, off offset:560
	v_add_f64_e32 v[149:150], v[149:150], v[159:160]
	v_add_f64_e32 v[151:152], v[151:152], v[157:158]
	v_fma_f64 v[155:156], v[8:9], v[22:23], v[155:156]
	v_fma_f64 v[159:160], v[6:7], v[22:23], -v[24:25]
	ds_load_b128 v[6:9], v1 offset:1216
	s_wait_loadcnt_dscnt 0x801
	v_mul_f64_e32 v[157:158], v[2:3], v[28:29]
	v_mul_f64_e32 v[28:29], v[4:5], v[28:29]
	scratch_load_b128 v[22:25], off, off offset:576
	v_add_f64_e32 v[149:150], v[149:150], v[161:162]
	v_add_f64_e32 v[151:152], v[151:152], v[153:154]
	s_wait_loadcnt_dscnt 0x800
	v_mul_f64_e32 v[153:154], v[6:7], v[32:33]
	v_mul_f64_e32 v[32:33], v[8:9], v[32:33]
	v_fma_f64 v[157:158], v[4:5], v[26:27], v[157:158]
	v_fma_f64 v[161:162], v[2:3], v[26:27], -v[28:29]
	ds_load_b128 v[2:5], v1 offset:1232
	scratch_load_b128 v[26:29], off, off offset:592
	v_add_f64_e32 v[149:150], v[149:150], v[159:160]
	v_add_f64_e32 v[151:152], v[151:152], v[155:156]
	v_fma_f64 v[153:154], v[8:9], v[30:31], v[153:154]
	v_fma_f64 v[159:160], v[6:7], v[30:31], -v[32:33]
	ds_load_b128 v[6:9], v1 offset:1248
	s_wait_loadcnt_dscnt 0x801
	v_mul_f64_e32 v[155:156], v[2:3], v[40:41]
	v_mul_f64_e32 v[40:41], v[4:5], v[40:41]
	scratch_load_b128 v[30:33], off, off offset:608
	v_add_f64_e32 v[149:150], v[149:150], v[161:162]
	v_add_f64_e32 v[151:152], v[151:152], v[157:158]
	s_wait_loadcnt_dscnt 0x800
	v_mul_f64_e32 v[157:158], v[6:7], v[147:148]
	v_mul_f64_e32 v[147:148], v[8:9], v[147:148]
	v_fma_f64 v[155:156], v[4:5], v[38:39], v[155:156]
	v_fma_f64 v[161:162], v[2:3], v[38:39], -v[40:41]
	ds_load_b128 v[2:5], v1 offset:1264
	scratch_load_b128 v[38:41], off, off offset:624
	v_add_f64_e32 v[149:150], v[149:150], v[159:160]
	v_add_f64_e32 v[151:152], v[151:152], v[153:154]
	v_fma_f64 v[157:158], v[8:9], v[145:146], v[157:158]
	v_fma_f64 v[159:160], v[6:7], v[145:146], -v[147:148]
	ds_load_b128 v[6:9], v1 offset:1280
	scratch_load_b128 v[145:148], off, off offset:640
	s_wait_loadcnt_dscnt 0x901
	v_mul_f64_e32 v[153:154], v[2:3], v[36:37]
	v_mul_f64_e32 v[36:37], v[4:5], v[36:37]
	v_add_f64_e32 v[149:150], v[149:150], v[161:162]
	v_add_f64_e32 v[151:152], v[151:152], v[155:156]
	s_wait_loadcnt_dscnt 0x800
	v_mul_f64_e32 v[155:156], v[6:7], v[143:144]
	v_mul_f64_e32 v[143:144], v[8:9], v[143:144]
	v_fma_f64 v[153:154], v[4:5], v[34:35], v[153:154]
	v_fma_f64 v[161:162], v[2:3], v[34:35], -v[36:37]
	ds_load_b128 v[2:5], v1 offset:1296
	scratch_load_b128 v[34:37], off, off offset:656
	v_add_f64_e32 v[149:150], v[149:150], v[159:160]
	v_add_f64_e32 v[151:152], v[151:152], v[157:158]
	v_fma_f64 v[155:156], v[8:9], v[141:142], v[155:156]
	v_fma_f64 v[159:160], v[6:7], v[141:142], -v[143:144]
	ds_load_b128 v[6:9], v1 offset:1312
	s_wait_loadcnt_dscnt 0x801
	v_mul_f64_e32 v[157:158], v[2:3], v[12:13]
	v_mul_f64_e32 v[12:13], v[4:5], v[12:13]
	scratch_load_b128 v[141:144], off, off offset:672
	v_add_f64_e32 v[149:150], v[149:150], v[161:162]
	v_add_f64_e32 v[151:152], v[151:152], v[153:154]
	s_wait_loadcnt_dscnt 0x800
	v_mul_f64_e32 v[153:154], v[6:7], v[16:17]
	v_mul_f64_e32 v[16:17], v[8:9], v[16:17]
	v_fma_f64 v[157:158], v[4:5], v[10:11], v[157:158]
	v_fma_f64 v[161:162], v[2:3], v[10:11], -v[12:13]
	ds_load_b128 v[2:5], v1 offset:1328
	scratch_load_b128 v[10:13], off, off offset:688
	v_add_f64_e32 v[149:150], v[149:150], v[159:160]
	v_add_f64_e32 v[151:152], v[151:152], v[155:156]
	v_fma_f64 v[153:154], v[8:9], v[14:15], v[153:154]
	v_fma_f64 v[159:160], v[6:7], v[14:15], -v[16:17]
	ds_load_b128 v[6:9], v1 offset:1344
	s_wait_loadcnt_dscnt 0x801
	v_mul_f64_e32 v[155:156], v[2:3], v[20:21]
	v_mul_f64_e32 v[20:21], v[4:5], v[20:21]
	scratch_load_b128 v[14:17], off, off offset:704
	;; [unrolled: 18-line block ×4, first 2 shown]
	v_add_f64_e32 v[149:150], v[149:150], v[161:162]
	v_add_f64_e32 v[151:152], v[151:152], v[153:154]
	s_wait_loadcnt_dscnt 0x800
	v_mul_f64_e32 v[153:154], v[6:7], v[147:148]
	v_mul_f64_e32 v[147:148], v[8:9], v[147:148]
	v_fma_f64 v[157:158], v[4:5], v[38:39], v[157:158]
	v_fma_f64 v[161:162], v[2:3], v[38:39], -v[40:41]
	ds_load_b128 v[2:5], v1 offset:1424
	scratch_load_b128 v[38:41], off, off offset:784
	v_add_f64_e32 v[149:150], v[149:150], v[159:160]
	v_add_f64_e32 v[151:152], v[151:152], v[155:156]
	v_fma_f64 v[153:154], v[8:9], v[145:146], v[153:154]
	v_fma_f64 v[145:146], v[6:7], v[145:146], -v[147:148]
	ds_load_b128 v[6:9], v1 offset:1440
	s_wait_loadcnt_dscnt 0x801
	v_mul_f64_e32 v[155:156], v[2:3], v[36:37]
	v_mul_f64_e32 v[36:37], v[4:5], v[36:37]
	v_add_f64_e32 v[147:148], v[149:150], v[161:162]
	v_add_f64_e32 v[149:150], v[151:152], v[157:158]
	s_wait_loadcnt_dscnt 0x700
	v_mul_f64_e32 v[151:152], v[6:7], v[143:144]
	v_mul_f64_e32 v[143:144], v[8:9], v[143:144]
	v_fma_f64 v[155:156], v[4:5], v[34:35], v[155:156]
	v_fma_f64 v[34:35], v[2:3], v[34:35], -v[36:37]
	ds_load_b128 v[2:5], v1 offset:1456
	v_add_f64_e32 v[36:37], v[147:148], v[145:146]
	v_add_f64_e32 v[145:146], v[149:150], v[153:154]
	v_fma_f64 v[149:150], v[8:9], v[141:142], v[151:152]
	v_fma_f64 v[141:142], v[6:7], v[141:142], -v[143:144]
	ds_load_b128 v[6:9], v1 offset:1472
	s_wait_loadcnt_dscnt 0x500
	v_mul_f64_e32 v[151:152], v[6:7], v[16:17]
	v_mul_f64_e32 v[16:17], v[8:9], v[16:17]
	v_add_f64_e32 v[143:144], v[36:37], v[34:35]
	v_add_f64_e32 v[145:146], v[145:146], v[155:156]
	scratch_load_b128 v[34:37], off, off offset:320
	v_mul_f64_e32 v[147:148], v[2:3], v[12:13]
	v_mul_f64_e32 v[12:13], v[4:5], v[12:13]
	s_delay_alu instid0(VALU_DEP_2) | instskip(NEXT) | instid1(VALU_DEP_2)
	v_fma_f64 v[147:148], v[4:5], v[10:11], v[147:148]
	v_fma_f64 v[10:11], v[2:3], v[10:11], -v[12:13]
	v_add_f64_e32 v[12:13], v[143:144], v[141:142]
	v_add_f64_e32 v[141:142], v[145:146], v[149:150]
	ds_load_b128 v[2:5], v1 offset:1488
	v_fma_f64 v[145:146], v[8:9], v[14:15], v[151:152]
	v_fma_f64 v[14:15], v[6:7], v[14:15], -v[16:17]
	ds_load_b128 v[6:9], v1 offset:1504
	s_wait_loadcnt_dscnt 0x501
	v_mul_f64_e32 v[143:144], v[2:3], v[20:21]
	v_mul_f64_e32 v[20:21], v[4:5], v[20:21]
	s_wait_loadcnt_dscnt 0x400
	v_mul_f64_e32 v[16:17], v[6:7], v[24:25]
	v_mul_f64_e32 v[24:25], v[8:9], v[24:25]
	v_add_f64_e32 v[10:11], v[12:13], v[10:11]
	v_add_f64_e32 v[12:13], v[141:142], v[147:148]
	v_fma_f64 v[141:142], v[4:5], v[18:19], v[143:144]
	v_fma_f64 v[18:19], v[2:3], v[18:19], -v[20:21]
	ds_load_b128 v[2:5], v1 offset:1520
	v_fma_f64 v[16:17], v[8:9], v[22:23], v[16:17]
	v_fma_f64 v[22:23], v[6:7], v[22:23], -v[24:25]
	ds_load_b128 v[6:9], v1 offset:1536
	v_add_f64_e32 v[10:11], v[10:11], v[14:15]
	v_add_f64_e32 v[12:13], v[12:13], v[145:146]
	s_wait_loadcnt_dscnt 0x301
	v_mul_f64_e32 v[14:15], v[2:3], v[28:29]
	v_mul_f64_e32 v[20:21], v[4:5], v[28:29]
	s_wait_loadcnt_dscnt 0x200
	v_mul_f64_e32 v[24:25], v[8:9], v[32:33]
	v_add_f64_e32 v[10:11], v[10:11], v[18:19]
	v_add_f64_e32 v[12:13], v[12:13], v[141:142]
	v_mul_f64_e32 v[18:19], v[6:7], v[32:33]
	v_fma_f64 v[14:15], v[4:5], v[26:27], v[14:15]
	v_fma_f64 v[20:21], v[2:3], v[26:27], -v[20:21]
	ds_load_b128 v[2:5], v1 offset:1552
	v_fma_f64 v[6:7], v[6:7], v[30:31], -v[24:25]
	v_add_f64_e32 v[10:11], v[10:11], v[22:23]
	v_add_f64_e32 v[12:13], v[12:13], v[16:17]
	s_wait_loadcnt_dscnt 0x100
	v_mul_f64_e32 v[16:17], v[2:3], v[40:41]
	v_mul_f64_e32 v[22:23], v[4:5], v[40:41]
	v_fma_f64 v[8:9], v[8:9], v[30:31], v[18:19]
	v_add_f64_e32 v[10:11], v[10:11], v[20:21]
	v_add_f64_e32 v[12:13], v[12:13], v[14:15]
	v_fma_f64 v[4:5], v[4:5], v[38:39], v[16:17]
	v_fma_f64 v[2:3], v[2:3], v[38:39], -v[22:23]
	s_delay_alu instid0(VALU_DEP_4) | instskip(NEXT) | instid1(VALU_DEP_4)
	v_add_f64_e32 v[6:7], v[10:11], v[6:7]
	v_add_f64_e32 v[8:9], v[12:13], v[8:9]
	s_delay_alu instid0(VALU_DEP_2) | instskip(NEXT) | instid1(VALU_DEP_2)
	v_add_f64_e32 v[2:3], v[6:7], v[2:3]
	v_add_f64_e32 v[4:5], v[8:9], v[4:5]
	s_wait_loadcnt 0x0
	s_delay_alu instid0(VALU_DEP_2) | instskip(NEXT) | instid1(VALU_DEP_2)
	v_add_f64_e64 v[2:3], v[34:35], -v[2:3]
	v_add_f64_e64 v[4:5], v[36:37], -v[4:5]
	scratch_store_b128 off, v[2:5], off offset:320
	v_cmpx_lt_u32_e32 18, v0
	s_cbranch_execz .LBB112_271
; %bb.270:
	scratch_load_b128 v[5:8], off, s44
	v_dual_mov_b32 v2, v1 :: v_dual_mov_b32 v3, v1
	v_mov_b32_e32 v4, v1
	scratch_store_b128 off, v[1:4], off offset:304
	s_wait_loadcnt 0x0
	ds_store_b128 v140, v[5:8]
.LBB112_271:
	s_wait_alu 0xfffe
	s_or_b32 exec_lo, exec_lo, s0
	s_wait_storecnt_dscnt 0x0
	s_barrier_signal -1
	s_barrier_wait -1
	global_inv scope:SCOPE_SE
	s_clause 0x7
	scratch_load_b128 v[2:5], off, off offset:320
	scratch_load_b128 v[6:9], off, off offset:336
	scratch_load_b128 v[10:13], off, off offset:352
	scratch_load_b128 v[14:17], off, off offset:368
	scratch_load_b128 v[18:21], off, off offset:384
	scratch_load_b128 v[22:25], off, off offset:400
	scratch_load_b128 v[26:29], off, off offset:416
	scratch_load_b128 v[30:33], off, off offset:432
	ds_load_b128 v[34:37], v1 offset:1088
	ds_load_b128 v[141:144], v1 offset:1104
	s_clause 0x1
	scratch_load_b128 v[38:41], off, off offset:448
	scratch_load_b128 v[145:148], off, off offset:464
	s_mov_b32 s0, exec_lo
	s_wait_loadcnt_dscnt 0x901
	v_mul_f64_e32 v[149:150], v[36:37], v[4:5]
	v_mul_f64_e32 v[4:5], v[34:35], v[4:5]
	s_wait_loadcnt_dscnt 0x800
	v_mul_f64_e32 v[151:152], v[141:142], v[8:9]
	v_mul_f64_e32 v[8:9], v[143:144], v[8:9]
	s_delay_alu instid0(VALU_DEP_4) | instskip(NEXT) | instid1(VALU_DEP_4)
	v_fma_f64 v[149:150], v[34:35], v[2:3], -v[149:150]
	v_fma_f64 v[153:154], v[36:37], v[2:3], v[4:5]
	ds_load_b128 v[2:5], v1 offset:1120
	scratch_load_b128 v[34:37], off, off offset:480
	v_fma_f64 v[151:152], v[143:144], v[6:7], v[151:152]
	v_fma_f64 v[157:158], v[141:142], v[6:7], -v[8:9]
	ds_load_b128 v[6:9], v1 offset:1136
	scratch_load_b128 v[141:144], off, off offset:496
	s_wait_loadcnt_dscnt 0x901
	v_mul_f64_e32 v[155:156], v[2:3], v[12:13]
	v_mul_f64_e32 v[12:13], v[4:5], v[12:13]
	s_wait_loadcnt_dscnt 0x800
	v_mul_f64_e32 v[159:160], v[6:7], v[16:17]
	v_mul_f64_e32 v[16:17], v[8:9], v[16:17]
	v_add_f64_e32 v[149:150], 0, v[149:150]
	v_add_f64_e32 v[153:154], 0, v[153:154]
	v_fma_f64 v[155:156], v[4:5], v[10:11], v[155:156]
	v_fma_f64 v[161:162], v[2:3], v[10:11], -v[12:13]
	scratch_load_b128 v[10:13], off, off offset:512
	ds_load_b128 v[2:5], v1 offset:1152
	v_add_f64_e32 v[149:150], v[149:150], v[157:158]
	v_add_f64_e32 v[151:152], v[153:154], v[151:152]
	v_fma_f64 v[157:158], v[8:9], v[14:15], v[159:160]
	v_fma_f64 v[159:160], v[6:7], v[14:15], -v[16:17]
	ds_load_b128 v[6:9], v1 offset:1168
	scratch_load_b128 v[14:17], off, off offset:528
	s_wait_loadcnt_dscnt 0x901
	v_mul_f64_e32 v[153:154], v[2:3], v[20:21]
	v_mul_f64_e32 v[20:21], v[4:5], v[20:21]
	v_add_f64_e32 v[149:150], v[149:150], v[161:162]
	v_add_f64_e32 v[151:152], v[151:152], v[155:156]
	s_wait_loadcnt_dscnt 0x800
	v_mul_f64_e32 v[155:156], v[6:7], v[24:25]
	v_mul_f64_e32 v[24:25], v[8:9], v[24:25]
	v_fma_f64 v[153:154], v[4:5], v[18:19], v[153:154]
	v_fma_f64 v[161:162], v[2:3], v[18:19], -v[20:21]
	ds_load_b128 v[2:5], v1 offset:1184
	scratch_load_b128 v[18:21], off, off offset:544
	v_add_f64_e32 v[149:150], v[149:150], v[159:160]
	v_add_f64_e32 v[151:152], v[151:152], v[157:158]
	v_fma_f64 v[155:156], v[8:9], v[22:23], v[155:156]
	v_fma_f64 v[159:160], v[6:7], v[22:23], -v[24:25]
	ds_load_b128 v[6:9], v1 offset:1200
	s_wait_loadcnt_dscnt 0x801
	v_mul_f64_e32 v[157:158], v[2:3], v[28:29]
	v_mul_f64_e32 v[28:29], v[4:5], v[28:29]
	scratch_load_b128 v[22:25], off, off offset:560
	v_add_f64_e32 v[149:150], v[149:150], v[161:162]
	v_add_f64_e32 v[151:152], v[151:152], v[153:154]
	s_wait_loadcnt_dscnt 0x800
	v_mul_f64_e32 v[153:154], v[6:7], v[32:33]
	v_mul_f64_e32 v[32:33], v[8:9], v[32:33]
	v_fma_f64 v[157:158], v[4:5], v[26:27], v[157:158]
	v_fma_f64 v[161:162], v[2:3], v[26:27], -v[28:29]
	ds_load_b128 v[2:5], v1 offset:1216
	scratch_load_b128 v[26:29], off, off offset:576
	v_add_f64_e32 v[149:150], v[149:150], v[159:160]
	v_add_f64_e32 v[151:152], v[151:152], v[155:156]
	v_fma_f64 v[153:154], v[8:9], v[30:31], v[153:154]
	v_fma_f64 v[159:160], v[6:7], v[30:31], -v[32:33]
	ds_load_b128 v[6:9], v1 offset:1232
	s_wait_loadcnt_dscnt 0x801
	v_mul_f64_e32 v[155:156], v[2:3], v[40:41]
	v_mul_f64_e32 v[40:41], v[4:5], v[40:41]
	scratch_load_b128 v[30:33], off, off offset:592
	v_add_f64_e32 v[149:150], v[149:150], v[161:162]
	v_add_f64_e32 v[151:152], v[151:152], v[157:158]
	s_wait_loadcnt_dscnt 0x800
	v_mul_f64_e32 v[157:158], v[6:7], v[147:148]
	v_mul_f64_e32 v[147:148], v[8:9], v[147:148]
	v_fma_f64 v[155:156], v[4:5], v[38:39], v[155:156]
	v_fma_f64 v[161:162], v[2:3], v[38:39], -v[40:41]
	ds_load_b128 v[2:5], v1 offset:1248
	scratch_load_b128 v[38:41], off, off offset:608
	v_add_f64_e32 v[149:150], v[149:150], v[159:160]
	v_add_f64_e32 v[151:152], v[151:152], v[153:154]
	v_fma_f64 v[157:158], v[8:9], v[145:146], v[157:158]
	v_fma_f64 v[159:160], v[6:7], v[145:146], -v[147:148]
	ds_load_b128 v[6:9], v1 offset:1264
	scratch_load_b128 v[145:148], off, off offset:624
	s_wait_loadcnt_dscnt 0x901
	v_mul_f64_e32 v[153:154], v[2:3], v[36:37]
	v_mul_f64_e32 v[36:37], v[4:5], v[36:37]
	v_add_f64_e32 v[149:150], v[149:150], v[161:162]
	v_add_f64_e32 v[151:152], v[151:152], v[155:156]
	s_wait_loadcnt_dscnt 0x800
	v_mul_f64_e32 v[155:156], v[6:7], v[143:144]
	v_mul_f64_e32 v[143:144], v[8:9], v[143:144]
	v_fma_f64 v[153:154], v[4:5], v[34:35], v[153:154]
	v_fma_f64 v[161:162], v[2:3], v[34:35], -v[36:37]
	ds_load_b128 v[2:5], v1 offset:1280
	scratch_load_b128 v[34:37], off, off offset:640
	v_add_f64_e32 v[149:150], v[149:150], v[159:160]
	v_add_f64_e32 v[151:152], v[151:152], v[157:158]
	v_fma_f64 v[155:156], v[8:9], v[141:142], v[155:156]
	v_fma_f64 v[159:160], v[6:7], v[141:142], -v[143:144]
	ds_load_b128 v[6:9], v1 offset:1296
	s_wait_loadcnt_dscnt 0x801
	v_mul_f64_e32 v[157:158], v[2:3], v[12:13]
	v_mul_f64_e32 v[12:13], v[4:5], v[12:13]
	scratch_load_b128 v[141:144], off, off offset:656
	v_add_f64_e32 v[149:150], v[149:150], v[161:162]
	v_add_f64_e32 v[151:152], v[151:152], v[153:154]
	s_wait_loadcnt_dscnt 0x800
	v_mul_f64_e32 v[153:154], v[6:7], v[16:17]
	v_mul_f64_e32 v[16:17], v[8:9], v[16:17]
	v_fma_f64 v[157:158], v[4:5], v[10:11], v[157:158]
	v_fma_f64 v[161:162], v[2:3], v[10:11], -v[12:13]
	scratch_load_b128 v[10:13], off, off offset:672
	ds_load_b128 v[2:5], v1 offset:1312
	v_add_f64_e32 v[149:150], v[149:150], v[159:160]
	v_add_f64_e32 v[151:152], v[151:152], v[155:156]
	v_fma_f64 v[153:154], v[8:9], v[14:15], v[153:154]
	v_fma_f64 v[159:160], v[6:7], v[14:15], -v[16:17]
	ds_load_b128 v[6:9], v1 offset:1328
	s_wait_loadcnt_dscnt 0x801
	v_mul_f64_e32 v[155:156], v[2:3], v[20:21]
	v_mul_f64_e32 v[20:21], v[4:5], v[20:21]
	scratch_load_b128 v[14:17], off, off offset:688
	v_add_f64_e32 v[149:150], v[149:150], v[161:162]
	v_add_f64_e32 v[151:152], v[151:152], v[157:158]
	s_wait_loadcnt_dscnt 0x800
	v_mul_f64_e32 v[157:158], v[6:7], v[24:25]
	v_mul_f64_e32 v[24:25], v[8:9], v[24:25]
	v_fma_f64 v[155:156], v[4:5], v[18:19], v[155:156]
	v_fma_f64 v[161:162], v[2:3], v[18:19], -v[20:21]
	ds_load_b128 v[2:5], v1 offset:1344
	scratch_load_b128 v[18:21], off, off offset:704
	v_add_f64_e32 v[149:150], v[149:150], v[159:160]
	v_add_f64_e32 v[151:152], v[151:152], v[153:154]
	v_fma_f64 v[157:158], v[8:9], v[22:23], v[157:158]
	v_fma_f64 v[159:160], v[6:7], v[22:23], -v[24:25]
	ds_load_b128 v[6:9], v1 offset:1360
	s_wait_loadcnt_dscnt 0x801
	v_mul_f64_e32 v[153:154], v[2:3], v[28:29]
	v_mul_f64_e32 v[28:29], v[4:5], v[28:29]
	scratch_load_b128 v[22:25], off, off offset:720
	v_add_f64_e32 v[149:150], v[149:150], v[161:162]
	v_add_f64_e32 v[151:152], v[151:152], v[155:156]
	s_wait_loadcnt_dscnt 0x800
	v_mul_f64_e32 v[155:156], v[6:7], v[32:33]
	v_mul_f64_e32 v[32:33], v[8:9], v[32:33]
	v_fma_f64 v[153:154], v[4:5], v[26:27], v[153:154]
	v_fma_f64 v[161:162], v[2:3], v[26:27], -v[28:29]
	ds_load_b128 v[2:5], v1 offset:1376
	scratch_load_b128 v[26:29], off, off offset:736
	;; [unrolled: 18-line block ×3, first 2 shown]
	v_add_f64_e32 v[149:150], v[149:150], v[159:160]
	v_add_f64_e32 v[151:152], v[151:152], v[155:156]
	v_fma_f64 v[153:154], v[8:9], v[145:146], v[153:154]
	v_fma_f64 v[159:160], v[6:7], v[145:146], -v[147:148]
	ds_load_b128 v[6:9], v1 offset:1424
	s_wait_loadcnt_dscnt 0x801
	v_mul_f64_e32 v[155:156], v[2:3], v[36:37]
	v_mul_f64_e32 v[36:37], v[4:5], v[36:37]
	scratch_load_b128 v[145:148], off, off offset:784
	v_add_f64_e32 v[149:150], v[149:150], v[161:162]
	v_add_f64_e32 v[151:152], v[151:152], v[157:158]
	v_fma_f64 v[155:156], v[4:5], v[34:35], v[155:156]
	v_fma_f64 v[34:35], v[2:3], v[34:35], -v[36:37]
	ds_load_b128 v[2:5], v1 offset:1440
	v_add_f64_e32 v[36:37], v[149:150], v[159:160]
	v_add_f64_e32 v[149:150], v[151:152], v[153:154]
	s_wait_loadcnt_dscnt 0x700
	v_mul_f64_e32 v[151:152], v[2:3], v[12:13]
	v_mul_f64_e32 v[12:13], v[4:5], v[12:13]
	s_delay_alu instid0(VALU_DEP_4) | instskip(NEXT) | instid1(VALU_DEP_4)
	v_add_f64_e32 v[34:35], v[36:37], v[34:35]
	v_add_f64_e32 v[36:37], v[149:150], v[155:156]
	s_delay_alu instid0(VALU_DEP_4) | instskip(NEXT) | instid1(VALU_DEP_4)
	v_fma_f64 v[149:150], v[4:5], v[10:11], v[151:152]
	v_fma_f64 v[151:152], v[2:3], v[10:11], -v[12:13]
	scratch_load_b128 v[10:13], off, off offset:304
	v_mul_f64_e32 v[157:158], v[6:7], v[143:144]
	v_mul_f64_e32 v[143:144], v[8:9], v[143:144]
	ds_load_b128 v[2:5], v1 offset:1472
	v_fma_f64 v[153:154], v[8:9], v[141:142], v[157:158]
	v_fma_f64 v[141:142], v[6:7], v[141:142], -v[143:144]
	ds_load_b128 v[6:9], v1 offset:1456
	s_wait_loadcnt_dscnt 0x700
	v_mul_f64_e32 v[143:144], v[6:7], v[16:17]
	v_mul_f64_e32 v[16:17], v[8:9], v[16:17]
	v_add_f64_e32 v[36:37], v[36:37], v[153:154]
	v_add_f64_e32 v[34:35], v[34:35], v[141:142]
	s_wait_loadcnt 0x6
	v_mul_f64_e32 v[141:142], v[2:3], v[20:21]
	v_mul_f64_e32 v[20:21], v[4:5], v[20:21]
	v_fma_f64 v[143:144], v[8:9], v[14:15], v[143:144]
	v_fma_f64 v[14:15], v[6:7], v[14:15], -v[16:17]
	ds_load_b128 v[6:9], v1 offset:1488
	v_add_f64_e32 v[16:17], v[34:35], v[151:152]
	v_add_f64_e32 v[34:35], v[36:37], v[149:150]
	v_fma_f64 v[141:142], v[4:5], v[18:19], v[141:142]
	v_fma_f64 v[18:19], v[2:3], v[18:19], -v[20:21]
	ds_load_b128 v[2:5], v1 offset:1504
	s_wait_loadcnt_dscnt 0x501
	v_mul_f64_e32 v[36:37], v[6:7], v[24:25]
	v_mul_f64_e32 v[24:25], v[8:9], v[24:25]
	s_wait_loadcnt_dscnt 0x400
	v_mul_f64_e32 v[20:21], v[2:3], v[28:29]
	v_mul_f64_e32 v[28:29], v[4:5], v[28:29]
	v_add_f64_e32 v[14:15], v[16:17], v[14:15]
	v_add_f64_e32 v[16:17], v[34:35], v[143:144]
	v_fma_f64 v[34:35], v[8:9], v[22:23], v[36:37]
	v_fma_f64 v[22:23], v[6:7], v[22:23], -v[24:25]
	ds_load_b128 v[6:9], v1 offset:1520
	v_fma_f64 v[20:21], v[4:5], v[26:27], v[20:21]
	v_fma_f64 v[26:27], v[2:3], v[26:27], -v[28:29]
	ds_load_b128 v[2:5], v1 offset:1536
	s_wait_loadcnt_dscnt 0x301
	v_mul_f64_e32 v[24:25], v[8:9], v[32:33]
	v_add_f64_e32 v[14:15], v[14:15], v[18:19]
	v_add_f64_e32 v[16:17], v[16:17], v[141:142]
	v_mul_f64_e32 v[18:19], v[6:7], v[32:33]
	s_wait_loadcnt_dscnt 0x200
	v_mul_f64_e32 v[28:29], v[4:5], v[40:41]
	v_fma_f64 v[24:25], v[6:7], v[30:31], -v[24:25]
	v_add_f64_e32 v[14:15], v[14:15], v[22:23]
	v_add_f64_e32 v[16:17], v[16:17], v[34:35]
	v_mul_f64_e32 v[22:23], v[2:3], v[40:41]
	v_fma_f64 v[18:19], v[8:9], v[30:31], v[18:19]
	ds_load_b128 v[6:9], v1 offset:1552
	v_fma_f64 v[1:2], v[2:3], v[38:39], -v[28:29]
	v_add_f64_e32 v[14:15], v[14:15], v[26:27]
	v_add_f64_e32 v[16:17], v[16:17], v[20:21]
	s_wait_loadcnt_dscnt 0x100
	v_mul_f64_e32 v[20:21], v[6:7], v[147:148]
	v_mul_f64_e32 v[26:27], v[8:9], v[147:148]
	v_fma_f64 v[4:5], v[4:5], v[38:39], v[22:23]
	v_add_f64_e32 v[14:15], v[14:15], v[24:25]
	v_add_f64_e32 v[16:17], v[16:17], v[18:19]
	v_fma_f64 v[8:9], v[8:9], v[145:146], v[20:21]
	v_fma_f64 v[6:7], v[6:7], v[145:146], -v[26:27]
	s_delay_alu instid0(VALU_DEP_4) | instskip(NEXT) | instid1(VALU_DEP_4)
	v_add_f64_e32 v[1:2], v[14:15], v[1:2]
	v_add_f64_e32 v[3:4], v[16:17], v[4:5]
	s_delay_alu instid0(VALU_DEP_2) | instskip(NEXT) | instid1(VALU_DEP_2)
	v_add_f64_e32 v[1:2], v[1:2], v[6:7]
	v_add_f64_e32 v[3:4], v[3:4], v[8:9]
	s_wait_loadcnt 0x0
	s_delay_alu instid0(VALU_DEP_2) | instskip(NEXT) | instid1(VALU_DEP_2)
	v_add_f64_e64 v[1:2], v[10:11], -v[1:2]
	v_add_f64_e64 v[3:4], v[12:13], -v[3:4]
	scratch_store_b128 off, v[1:4], off offset:304
	v_cmpx_lt_u32_e32 17, v0
	s_cbranch_execz .LBB112_273
; %bb.272:
	scratch_load_b128 v[1:4], off, s45
	v_mov_b32_e32 v5, 0
	s_delay_alu instid0(VALU_DEP_1)
	v_dual_mov_b32 v6, v5 :: v_dual_mov_b32 v7, v5
	v_mov_b32_e32 v8, v5
	scratch_store_b128 off, v[5:8], off offset:288
	s_wait_loadcnt 0x0
	ds_store_b128 v140, v[1:4]
.LBB112_273:
	s_wait_alu 0xfffe
	s_or_b32 exec_lo, exec_lo, s0
	s_wait_storecnt_dscnt 0x0
	s_barrier_signal -1
	s_barrier_wait -1
	global_inv scope:SCOPE_SE
	s_clause 0x7
	scratch_load_b128 v[2:5], off, off offset:304
	scratch_load_b128 v[6:9], off, off offset:320
	;; [unrolled: 1-line block ×8, first 2 shown]
	v_mov_b32_e32 v1, 0
	s_clause 0x1
	scratch_load_b128 v[38:41], off, off offset:432
	scratch_load_b128 v[145:148], off, off offset:448
	s_mov_b32 s0, exec_lo
	ds_load_b128 v[34:37], v1 offset:1072
	ds_load_b128 v[141:144], v1 offset:1088
	s_wait_loadcnt_dscnt 0x901
	v_mul_f64_e32 v[149:150], v[36:37], v[4:5]
	v_mul_f64_e32 v[4:5], v[34:35], v[4:5]
	s_wait_loadcnt_dscnt 0x800
	v_mul_f64_e32 v[151:152], v[141:142], v[8:9]
	v_mul_f64_e32 v[8:9], v[143:144], v[8:9]
	s_delay_alu instid0(VALU_DEP_4) | instskip(NEXT) | instid1(VALU_DEP_4)
	v_fma_f64 v[149:150], v[34:35], v[2:3], -v[149:150]
	v_fma_f64 v[153:154], v[36:37], v[2:3], v[4:5]
	ds_load_b128 v[2:5], v1 offset:1104
	scratch_load_b128 v[34:37], off, off offset:464
	v_fma_f64 v[151:152], v[143:144], v[6:7], v[151:152]
	v_fma_f64 v[157:158], v[141:142], v[6:7], -v[8:9]
	ds_load_b128 v[6:9], v1 offset:1120
	scratch_load_b128 v[141:144], off, off offset:480
	s_wait_loadcnt_dscnt 0x901
	v_mul_f64_e32 v[155:156], v[2:3], v[12:13]
	v_mul_f64_e32 v[12:13], v[4:5], v[12:13]
	s_wait_loadcnt_dscnt 0x800
	v_mul_f64_e32 v[159:160], v[6:7], v[16:17]
	v_mul_f64_e32 v[16:17], v[8:9], v[16:17]
	v_add_f64_e32 v[149:150], 0, v[149:150]
	v_add_f64_e32 v[153:154], 0, v[153:154]
	v_fma_f64 v[155:156], v[4:5], v[10:11], v[155:156]
	v_fma_f64 v[161:162], v[2:3], v[10:11], -v[12:13]
	ds_load_b128 v[2:5], v1 offset:1136
	scratch_load_b128 v[10:13], off, off offset:496
	v_add_f64_e32 v[149:150], v[149:150], v[157:158]
	v_add_f64_e32 v[151:152], v[153:154], v[151:152]
	v_fma_f64 v[157:158], v[8:9], v[14:15], v[159:160]
	v_fma_f64 v[159:160], v[6:7], v[14:15], -v[16:17]
	ds_load_b128 v[6:9], v1 offset:1152
	scratch_load_b128 v[14:17], off, off offset:512
	s_wait_loadcnt_dscnt 0x901
	v_mul_f64_e32 v[153:154], v[2:3], v[20:21]
	v_mul_f64_e32 v[20:21], v[4:5], v[20:21]
	v_add_f64_e32 v[149:150], v[149:150], v[161:162]
	v_add_f64_e32 v[151:152], v[151:152], v[155:156]
	s_wait_loadcnt_dscnt 0x800
	v_mul_f64_e32 v[155:156], v[6:7], v[24:25]
	v_mul_f64_e32 v[24:25], v[8:9], v[24:25]
	v_fma_f64 v[153:154], v[4:5], v[18:19], v[153:154]
	v_fma_f64 v[161:162], v[2:3], v[18:19], -v[20:21]
	ds_load_b128 v[2:5], v1 offset:1168
	scratch_load_b128 v[18:21], off, off offset:528
	v_add_f64_e32 v[149:150], v[149:150], v[159:160]
	v_add_f64_e32 v[151:152], v[151:152], v[157:158]
	v_fma_f64 v[155:156], v[8:9], v[22:23], v[155:156]
	v_fma_f64 v[159:160], v[6:7], v[22:23], -v[24:25]
	ds_load_b128 v[6:9], v1 offset:1184
	s_wait_loadcnt_dscnt 0x801
	v_mul_f64_e32 v[157:158], v[2:3], v[28:29]
	v_mul_f64_e32 v[28:29], v[4:5], v[28:29]
	scratch_load_b128 v[22:25], off, off offset:544
	v_add_f64_e32 v[149:150], v[149:150], v[161:162]
	v_add_f64_e32 v[151:152], v[151:152], v[153:154]
	s_wait_loadcnt_dscnt 0x800
	v_mul_f64_e32 v[153:154], v[6:7], v[32:33]
	v_mul_f64_e32 v[32:33], v[8:9], v[32:33]
	v_fma_f64 v[157:158], v[4:5], v[26:27], v[157:158]
	v_fma_f64 v[161:162], v[2:3], v[26:27], -v[28:29]
	ds_load_b128 v[2:5], v1 offset:1200
	scratch_load_b128 v[26:29], off, off offset:560
	v_add_f64_e32 v[149:150], v[149:150], v[159:160]
	v_add_f64_e32 v[151:152], v[151:152], v[155:156]
	v_fma_f64 v[153:154], v[8:9], v[30:31], v[153:154]
	v_fma_f64 v[159:160], v[6:7], v[30:31], -v[32:33]
	ds_load_b128 v[6:9], v1 offset:1216
	s_wait_loadcnt_dscnt 0x801
	v_mul_f64_e32 v[155:156], v[2:3], v[40:41]
	v_mul_f64_e32 v[40:41], v[4:5], v[40:41]
	scratch_load_b128 v[30:33], off, off offset:576
	v_add_f64_e32 v[149:150], v[149:150], v[161:162]
	v_add_f64_e32 v[151:152], v[151:152], v[157:158]
	s_wait_loadcnt_dscnt 0x800
	v_mul_f64_e32 v[157:158], v[6:7], v[147:148]
	v_mul_f64_e32 v[147:148], v[8:9], v[147:148]
	v_fma_f64 v[155:156], v[4:5], v[38:39], v[155:156]
	v_fma_f64 v[161:162], v[2:3], v[38:39], -v[40:41]
	ds_load_b128 v[2:5], v1 offset:1232
	scratch_load_b128 v[38:41], off, off offset:592
	v_add_f64_e32 v[149:150], v[149:150], v[159:160]
	v_add_f64_e32 v[151:152], v[151:152], v[153:154]
	v_fma_f64 v[157:158], v[8:9], v[145:146], v[157:158]
	v_fma_f64 v[159:160], v[6:7], v[145:146], -v[147:148]
	ds_load_b128 v[6:9], v1 offset:1248
	scratch_load_b128 v[145:148], off, off offset:608
	s_wait_loadcnt_dscnt 0x901
	v_mul_f64_e32 v[153:154], v[2:3], v[36:37]
	v_mul_f64_e32 v[36:37], v[4:5], v[36:37]
	v_add_f64_e32 v[149:150], v[149:150], v[161:162]
	v_add_f64_e32 v[151:152], v[151:152], v[155:156]
	s_wait_loadcnt_dscnt 0x800
	v_mul_f64_e32 v[155:156], v[6:7], v[143:144]
	v_mul_f64_e32 v[143:144], v[8:9], v[143:144]
	v_fma_f64 v[153:154], v[4:5], v[34:35], v[153:154]
	v_fma_f64 v[161:162], v[2:3], v[34:35], -v[36:37]
	ds_load_b128 v[2:5], v1 offset:1264
	scratch_load_b128 v[34:37], off, off offset:624
	v_add_f64_e32 v[149:150], v[149:150], v[159:160]
	v_add_f64_e32 v[151:152], v[151:152], v[157:158]
	v_fma_f64 v[155:156], v[8:9], v[141:142], v[155:156]
	v_fma_f64 v[159:160], v[6:7], v[141:142], -v[143:144]
	ds_load_b128 v[6:9], v1 offset:1280
	s_wait_loadcnt_dscnt 0x801
	v_mul_f64_e32 v[157:158], v[2:3], v[12:13]
	v_mul_f64_e32 v[12:13], v[4:5], v[12:13]
	scratch_load_b128 v[141:144], off, off offset:640
	v_add_f64_e32 v[149:150], v[149:150], v[161:162]
	v_add_f64_e32 v[151:152], v[151:152], v[153:154]
	s_wait_loadcnt_dscnt 0x800
	v_mul_f64_e32 v[153:154], v[6:7], v[16:17]
	v_mul_f64_e32 v[16:17], v[8:9], v[16:17]
	v_fma_f64 v[157:158], v[4:5], v[10:11], v[157:158]
	v_fma_f64 v[161:162], v[2:3], v[10:11], -v[12:13]
	ds_load_b128 v[2:5], v1 offset:1296
	scratch_load_b128 v[10:13], off, off offset:656
	v_add_f64_e32 v[149:150], v[149:150], v[159:160]
	v_add_f64_e32 v[151:152], v[151:152], v[155:156]
	v_fma_f64 v[153:154], v[8:9], v[14:15], v[153:154]
	v_fma_f64 v[159:160], v[6:7], v[14:15], -v[16:17]
	ds_load_b128 v[6:9], v1 offset:1312
	s_wait_loadcnt_dscnt 0x801
	v_mul_f64_e32 v[155:156], v[2:3], v[20:21]
	v_mul_f64_e32 v[20:21], v[4:5], v[20:21]
	scratch_load_b128 v[14:17], off, off offset:672
	v_add_f64_e32 v[149:150], v[149:150], v[161:162]
	v_add_f64_e32 v[151:152], v[151:152], v[157:158]
	s_wait_loadcnt_dscnt 0x800
	v_mul_f64_e32 v[157:158], v[6:7], v[24:25]
	v_mul_f64_e32 v[24:25], v[8:9], v[24:25]
	v_fma_f64 v[155:156], v[4:5], v[18:19], v[155:156]
	v_fma_f64 v[161:162], v[2:3], v[18:19], -v[20:21]
	ds_load_b128 v[2:5], v1 offset:1328
	scratch_load_b128 v[18:21], off, off offset:688
	v_add_f64_e32 v[149:150], v[149:150], v[159:160]
	v_add_f64_e32 v[151:152], v[151:152], v[153:154]
	v_fma_f64 v[157:158], v[8:9], v[22:23], v[157:158]
	v_fma_f64 v[159:160], v[6:7], v[22:23], -v[24:25]
	ds_load_b128 v[6:9], v1 offset:1344
	s_wait_loadcnt_dscnt 0x801
	v_mul_f64_e32 v[153:154], v[2:3], v[28:29]
	v_mul_f64_e32 v[28:29], v[4:5], v[28:29]
	scratch_load_b128 v[22:25], off, off offset:704
	v_add_f64_e32 v[149:150], v[149:150], v[161:162]
	v_add_f64_e32 v[151:152], v[151:152], v[155:156]
	s_wait_loadcnt_dscnt 0x800
	v_mul_f64_e32 v[155:156], v[6:7], v[32:33]
	v_mul_f64_e32 v[32:33], v[8:9], v[32:33]
	v_fma_f64 v[153:154], v[4:5], v[26:27], v[153:154]
	v_fma_f64 v[161:162], v[2:3], v[26:27], -v[28:29]
	ds_load_b128 v[2:5], v1 offset:1360
	scratch_load_b128 v[26:29], off, off offset:720
	v_add_f64_e32 v[149:150], v[149:150], v[159:160]
	v_add_f64_e32 v[151:152], v[151:152], v[157:158]
	v_fma_f64 v[155:156], v[8:9], v[30:31], v[155:156]
	v_fma_f64 v[159:160], v[6:7], v[30:31], -v[32:33]
	ds_load_b128 v[6:9], v1 offset:1376
	s_wait_loadcnt_dscnt 0x801
	v_mul_f64_e32 v[157:158], v[2:3], v[40:41]
	v_mul_f64_e32 v[40:41], v[4:5], v[40:41]
	scratch_load_b128 v[30:33], off, off offset:736
	v_add_f64_e32 v[149:150], v[149:150], v[161:162]
	v_add_f64_e32 v[151:152], v[151:152], v[153:154]
	s_wait_loadcnt_dscnt 0x800
	v_mul_f64_e32 v[153:154], v[6:7], v[147:148]
	v_mul_f64_e32 v[147:148], v[8:9], v[147:148]
	v_fma_f64 v[157:158], v[4:5], v[38:39], v[157:158]
	v_fma_f64 v[161:162], v[2:3], v[38:39], -v[40:41]
	ds_load_b128 v[2:5], v1 offset:1392
	scratch_load_b128 v[38:41], off, off offset:752
	v_add_f64_e32 v[149:150], v[149:150], v[159:160]
	v_add_f64_e32 v[151:152], v[151:152], v[155:156]
	v_fma_f64 v[153:154], v[8:9], v[145:146], v[153:154]
	v_fma_f64 v[159:160], v[6:7], v[145:146], -v[147:148]
	ds_load_b128 v[6:9], v1 offset:1408
	s_wait_loadcnt_dscnt 0x801
	v_mul_f64_e32 v[155:156], v[2:3], v[36:37]
	v_mul_f64_e32 v[36:37], v[4:5], v[36:37]
	scratch_load_b128 v[145:148], off, off offset:768
	v_add_f64_e32 v[149:150], v[149:150], v[161:162]
	v_add_f64_e32 v[151:152], v[151:152], v[157:158]
	s_wait_loadcnt_dscnt 0x800
	v_mul_f64_e32 v[157:158], v[6:7], v[143:144]
	v_mul_f64_e32 v[143:144], v[8:9], v[143:144]
	v_fma_f64 v[155:156], v[4:5], v[34:35], v[155:156]
	v_fma_f64 v[161:162], v[2:3], v[34:35], -v[36:37]
	ds_load_b128 v[2:5], v1 offset:1424
	scratch_load_b128 v[34:37], off, off offset:784
	v_add_f64_e32 v[149:150], v[149:150], v[159:160]
	v_add_f64_e32 v[151:152], v[151:152], v[153:154]
	v_fma_f64 v[157:158], v[8:9], v[141:142], v[157:158]
	v_fma_f64 v[141:142], v[6:7], v[141:142], -v[143:144]
	ds_load_b128 v[6:9], v1 offset:1440
	s_wait_loadcnt_dscnt 0x801
	v_mul_f64_e32 v[153:154], v[2:3], v[12:13]
	v_mul_f64_e32 v[12:13], v[4:5], v[12:13]
	v_add_f64_e32 v[143:144], v[149:150], v[161:162]
	v_add_f64_e32 v[149:150], v[151:152], v[155:156]
	s_wait_loadcnt_dscnt 0x700
	v_mul_f64_e32 v[151:152], v[6:7], v[16:17]
	v_mul_f64_e32 v[16:17], v[8:9], v[16:17]
	v_fma_f64 v[153:154], v[4:5], v[10:11], v[153:154]
	v_fma_f64 v[10:11], v[2:3], v[10:11], -v[12:13]
	ds_load_b128 v[2:5], v1 offset:1456
	v_add_f64_e32 v[12:13], v[143:144], v[141:142]
	v_add_f64_e32 v[141:142], v[149:150], v[157:158]
	v_fma_f64 v[149:150], v[8:9], v[14:15], v[151:152]
	v_fma_f64 v[14:15], v[6:7], v[14:15], -v[16:17]
	ds_load_b128 v[6:9], v1 offset:1472
	s_wait_loadcnt_dscnt 0x500
	v_mul_f64_e32 v[151:152], v[6:7], v[24:25]
	v_mul_f64_e32 v[24:25], v[8:9], v[24:25]
	v_add_f64_e32 v[16:17], v[12:13], v[10:11]
	v_add_f64_e32 v[141:142], v[141:142], v[153:154]
	scratch_load_b128 v[10:13], off, off offset:288
	v_mul_f64_e32 v[143:144], v[2:3], v[20:21]
	v_mul_f64_e32 v[20:21], v[4:5], v[20:21]
	v_add_f64_e32 v[14:15], v[16:17], v[14:15]
	v_add_f64_e32 v[16:17], v[141:142], v[149:150]
	v_fma_f64 v[141:142], v[8:9], v[22:23], v[151:152]
	v_fma_f64 v[143:144], v[4:5], v[18:19], v[143:144]
	v_fma_f64 v[18:19], v[2:3], v[18:19], -v[20:21]
	ds_load_b128 v[2:5], v1 offset:1488
	v_fma_f64 v[22:23], v[6:7], v[22:23], -v[24:25]
	ds_load_b128 v[6:9], v1 offset:1504
	s_wait_loadcnt_dscnt 0x501
	v_mul_f64_e32 v[20:21], v[2:3], v[28:29]
	v_mul_f64_e32 v[28:29], v[4:5], v[28:29]
	s_wait_loadcnt_dscnt 0x400
	v_mul_f64_e32 v[24:25], v[8:9], v[32:33]
	v_add_f64_e32 v[16:17], v[16:17], v[143:144]
	v_add_f64_e32 v[14:15], v[14:15], v[18:19]
	v_mul_f64_e32 v[18:19], v[6:7], v[32:33]
	v_fma_f64 v[20:21], v[4:5], v[26:27], v[20:21]
	v_fma_f64 v[26:27], v[2:3], v[26:27], -v[28:29]
	ds_load_b128 v[2:5], v1 offset:1520
	v_fma_f64 v[24:25], v[6:7], v[30:31], -v[24:25]
	v_add_f64_e32 v[16:17], v[16:17], v[141:142]
	v_add_f64_e32 v[14:15], v[14:15], v[22:23]
	v_fma_f64 v[18:19], v[8:9], v[30:31], v[18:19]
	ds_load_b128 v[6:9], v1 offset:1536
	s_wait_loadcnt_dscnt 0x301
	v_mul_f64_e32 v[22:23], v[2:3], v[40:41]
	v_mul_f64_e32 v[28:29], v[4:5], v[40:41]
	v_add_f64_e32 v[16:17], v[16:17], v[20:21]
	v_add_f64_e32 v[14:15], v[14:15], v[26:27]
	s_wait_loadcnt_dscnt 0x200
	v_mul_f64_e32 v[20:21], v[6:7], v[147:148]
	v_mul_f64_e32 v[26:27], v[8:9], v[147:148]
	v_fma_f64 v[22:23], v[4:5], v[38:39], v[22:23]
	v_fma_f64 v[28:29], v[2:3], v[38:39], -v[28:29]
	ds_load_b128 v[2:5], v1 offset:1552
	v_add_f64_e32 v[16:17], v[16:17], v[18:19]
	v_add_f64_e32 v[14:15], v[14:15], v[24:25]
	s_wait_loadcnt_dscnt 0x100
	v_mul_f64_e32 v[18:19], v[2:3], v[36:37]
	v_mul_f64_e32 v[24:25], v[4:5], v[36:37]
	v_fma_f64 v[8:9], v[8:9], v[145:146], v[20:21]
	v_fma_f64 v[6:7], v[6:7], v[145:146], -v[26:27]
	v_add_f64_e32 v[16:17], v[16:17], v[22:23]
	v_add_f64_e32 v[14:15], v[14:15], v[28:29]
	v_fma_f64 v[4:5], v[4:5], v[34:35], v[18:19]
	v_fma_f64 v[2:3], v[2:3], v[34:35], -v[24:25]
	s_delay_alu instid0(VALU_DEP_4) | instskip(NEXT) | instid1(VALU_DEP_4)
	v_add_f64_e32 v[8:9], v[16:17], v[8:9]
	v_add_f64_e32 v[6:7], v[14:15], v[6:7]
	s_delay_alu instid0(VALU_DEP_2) | instskip(NEXT) | instid1(VALU_DEP_2)
	v_add_f64_e32 v[4:5], v[8:9], v[4:5]
	v_add_f64_e32 v[2:3], v[6:7], v[2:3]
	s_wait_loadcnt 0x0
	s_delay_alu instid0(VALU_DEP_2) | instskip(NEXT) | instid1(VALU_DEP_2)
	v_add_f64_e64 v[4:5], v[12:13], -v[4:5]
	v_add_f64_e64 v[2:3], v[10:11], -v[2:3]
	scratch_store_b128 off, v[2:5], off offset:288
	v_cmpx_lt_u32_e32 16, v0
	s_cbranch_execz .LBB112_275
; %bb.274:
	scratch_load_b128 v[5:8], off, s46
	v_dual_mov_b32 v2, v1 :: v_dual_mov_b32 v3, v1
	v_mov_b32_e32 v4, v1
	scratch_store_b128 off, v[1:4], off offset:272
	s_wait_loadcnt 0x0
	ds_store_b128 v140, v[5:8]
.LBB112_275:
	s_wait_alu 0xfffe
	s_or_b32 exec_lo, exec_lo, s0
	s_wait_storecnt_dscnt 0x0
	s_barrier_signal -1
	s_barrier_wait -1
	global_inv scope:SCOPE_SE
	s_clause 0x7
	scratch_load_b128 v[2:5], off, off offset:288
	scratch_load_b128 v[6:9], off, off offset:304
	;; [unrolled: 1-line block ×8, first 2 shown]
	ds_load_b128 v[34:37], v1 offset:1056
	ds_load_b128 v[141:144], v1 offset:1072
	s_clause 0x1
	scratch_load_b128 v[38:41], off, off offset:416
	scratch_load_b128 v[145:148], off, off offset:432
	s_mov_b32 s0, exec_lo
	s_wait_loadcnt_dscnt 0x901
	v_mul_f64_e32 v[149:150], v[36:37], v[4:5]
	v_mul_f64_e32 v[4:5], v[34:35], v[4:5]
	s_wait_loadcnt_dscnt 0x800
	v_mul_f64_e32 v[151:152], v[141:142], v[8:9]
	v_mul_f64_e32 v[8:9], v[143:144], v[8:9]
	s_delay_alu instid0(VALU_DEP_4) | instskip(NEXT) | instid1(VALU_DEP_4)
	v_fma_f64 v[149:150], v[34:35], v[2:3], -v[149:150]
	v_fma_f64 v[153:154], v[36:37], v[2:3], v[4:5]
	ds_load_b128 v[2:5], v1 offset:1088
	scratch_load_b128 v[34:37], off, off offset:448
	v_fma_f64 v[151:152], v[143:144], v[6:7], v[151:152]
	v_fma_f64 v[157:158], v[141:142], v[6:7], -v[8:9]
	ds_load_b128 v[6:9], v1 offset:1104
	scratch_load_b128 v[141:144], off, off offset:464
	s_wait_loadcnt_dscnt 0x901
	v_mul_f64_e32 v[155:156], v[2:3], v[12:13]
	v_mul_f64_e32 v[12:13], v[4:5], v[12:13]
	s_wait_loadcnt_dscnt 0x800
	v_mul_f64_e32 v[159:160], v[6:7], v[16:17]
	v_mul_f64_e32 v[16:17], v[8:9], v[16:17]
	v_add_f64_e32 v[149:150], 0, v[149:150]
	v_add_f64_e32 v[153:154], 0, v[153:154]
	v_fma_f64 v[155:156], v[4:5], v[10:11], v[155:156]
	v_fma_f64 v[161:162], v[2:3], v[10:11], -v[12:13]
	ds_load_b128 v[2:5], v1 offset:1120
	scratch_load_b128 v[10:13], off, off offset:480
	v_add_f64_e32 v[149:150], v[149:150], v[157:158]
	v_add_f64_e32 v[151:152], v[153:154], v[151:152]
	v_fma_f64 v[157:158], v[8:9], v[14:15], v[159:160]
	v_fma_f64 v[159:160], v[6:7], v[14:15], -v[16:17]
	ds_load_b128 v[6:9], v1 offset:1136
	scratch_load_b128 v[14:17], off, off offset:496
	s_wait_loadcnt_dscnt 0x901
	v_mul_f64_e32 v[153:154], v[2:3], v[20:21]
	v_mul_f64_e32 v[20:21], v[4:5], v[20:21]
	v_add_f64_e32 v[149:150], v[149:150], v[161:162]
	v_add_f64_e32 v[151:152], v[151:152], v[155:156]
	s_wait_loadcnt_dscnt 0x800
	v_mul_f64_e32 v[155:156], v[6:7], v[24:25]
	v_mul_f64_e32 v[24:25], v[8:9], v[24:25]
	v_fma_f64 v[153:154], v[4:5], v[18:19], v[153:154]
	v_fma_f64 v[161:162], v[2:3], v[18:19], -v[20:21]
	ds_load_b128 v[2:5], v1 offset:1152
	scratch_load_b128 v[18:21], off, off offset:512
	v_add_f64_e32 v[149:150], v[149:150], v[159:160]
	v_add_f64_e32 v[151:152], v[151:152], v[157:158]
	v_fma_f64 v[155:156], v[8:9], v[22:23], v[155:156]
	v_fma_f64 v[159:160], v[6:7], v[22:23], -v[24:25]
	ds_load_b128 v[6:9], v1 offset:1168
	s_wait_loadcnt_dscnt 0x801
	v_mul_f64_e32 v[157:158], v[2:3], v[28:29]
	v_mul_f64_e32 v[28:29], v[4:5], v[28:29]
	scratch_load_b128 v[22:25], off, off offset:528
	v_add_f64_e32 v[149:150], v[149:150], v[161:162]
	v_add_f64_e32 v[151:152], v[151:152], v[153:154]
	s_wait_loadcnt_dscnt 0x800
	v_mul_f64_e32 v[153:154], v[6:7], v[32:33]
	v_mul_f64_e32 v[32:33], v[8:9], v[32:33]
	v_fma_f64 v[157:158], v[4:5], v[26:27], v[157:158]
	v_fma_f64 v[161:162], v[2:3], v[26:27], -v[28:29]
	ds_load_b128 v[2:5], v1 offset:1184
	scratch_load_b128 v[26:29], off, off offset:544
	v_add_f64_e32 v[149:150], v[149:150], v[159:160]
	v_add_f64_e32 v[151:152], v[151:152], v[155:156]
	v_fma_f64 v[153:154], v[8:9], v[30:31], v[153:154]
	v_fma_f64 v[159:160], v[6:7], v[30:31], -v[32:33]
	ds_load_b128 v[6:9], v1 offset:1200
	s_wait_loadcnt_dscnt 0x801
	v_mul_f64_e32 v[155:156], v[2:3], v[40:41]
	v_mul_f64_e32 v[40:41], v[4:5], v[40:41]
	scratch_load_b128 v[30:33], off, off offset:560
	v_add_f64_e32 v[149:150], v[149:150], v[161:162]
	v_add_f64_e32 v[151:152], v[151:152], v[157:158]
	s_wait_loadcnt_dscnt 0x800
	v_mul_f64_e32 v[157:158], v[6:7], v[147:148]
	v_mul_f64_e32 v[147:148], v[8:9], v[147:148]
	v_fma_f64 v[155:156], v[4:5], v[38:39], v[155:156]
	v_fma_f64 v[161:162], v[2:3], v[38:39], -v[40:41]
	ds_load_b128 v[2:5], v1 offset:1216
	scratch_load_b128 v[38:41], off, off offset:576
	v_add_f64_e32 v[149:150], v[149:150], v[159:160]
	v_add_f64_e32 v[151:152], v[151:152], v[153:154]
	v_fma_f64 v[157:158], v[8:9], v[145:146], v[157:158]
	v_fma_f64 v[159:160], v[6:7], v[145:146], -v[147:148]
	ds_load_b128 v[6:9], v1 offset:1232
	scratch_load_b128 v[145:148], off, off offset:592
	s_wait_loadcnt_dscnt 0x901
	v_mul_f64_e32 v[153:154], v[2:3], v[36:37]
	v_mul_f64_e32 v[36:37], v[4:5], v[36:37]
	v_add_f64_e32 v[149:150], v[149:150], v[161:162]
	v_add_f64_e32 v[151:152], v[151:152], v[155:156]
	s_wait_loadcnt_dscnt 0x800
	v_mul_f64_e32 v[155:156], v[6:7], v[143:144]
	v_mul_f64_e32 v[143:144], v[8:9], v[143:144]
	v_fma_f64 v[153:154], v[4:5], v[34:35], v[153:154]
	v_fma_f64 v[161:162], v[2:3], v[34:35], -v[36:37]
	ds_load_b128 v[2:5], v1 offset:1248
	scratch_load_b128 v[34:37], off, off offset:608
	v_add_f64_e32 v[149:150], v[149:150], v[159:160]
	v_add_f64_e32 v[151:152], v[151:152], v[157:158]
	v_fma_f64 v[155:156], v[8:9], v[141:142], v[155:156]
	v_fma_f64 v[159:160], v[6:7], v[141:142], -v[143:144]
	ds_load_b128 v[6:9], v1 offset:1264
	s_wait_loadcnt_dscnt 0x801
	v_mul_f64_e32 v[157:158], v[2:3], v[12:13]
	v_mul_f64_e32 v[12:13], v[4:5], v[12:13]
	scratch_load_b128 v[141:144], off, off offset:624
	v_add_f64_e32 v[149:150], v[149:150], v[161:162]
	v_add_f64_e32 v[151:152], v[151:152], v[153:154]
	s_wait_loadcnt_dscnt 0x800
	v_mul_f64_e32 v[153:154], v[6:7], v[16:17]
	v_mul_f64_e32 v[16:17], v[8:9], v[16:17]
	v_fma_f64 v[157:158], v[4:5], v[10:11], v[157:158]
	v_fma_f64 v[161:162], v[2:3], v[10:11], -v[12:13]
	ds_load_b128 v[2:5], v1 offset:1280
	scratch_load_b128 v[10:13], off, off offset:640
	v_add_f64_e32 v[149:150], v[149:150], v[159:160]
	v_add_f64_e32 v[151:152], v[151:152], v[155:156]
	v_fma_f64 v[153:154], v[8:9], v[14:15], v[153:154]
	v_fma_f64 v[159:160], v[6:7], v[14:15], -v[16:17]
	ds_load_b128 v[6:9], v1 offset:1296
	s_wait_loadcnt_dscnt 0x801
	v_mul_f64_e32 v[155:156], v[2:3], v[20:21]
	v_mul_f64_e32 v[20:21], v[4:5], v[20:21]
	scratch_load_b128 v[14:17], off, off offset:656
	;; [unrolled: 18-line block ×6, first 2 shown]
	v_add_f64_e32 v[149:150], v[149:150], v[161:162]
	v_add_f64_e32 v[151:152], v[151:152], v[155:156]
	s_wait_loadcnt_dscnt 0x800
	v_mul_f64_e32 v[155:156], v[6:7], v[16:17]
	v_mul_f64_e32 v[16:17], v[8:9], v[16:17]
	v_fma_f64 v[153:154], v[4:5], v[10:11], v[153:154]
	v_fma_f64 v[10:11], v[2:3], v[10:11], -v[12:13]
	ds_load_b128 v[2:5], v1 offset:1440
	v_add_f64_e32 v[12:13], v[149:150], v[159:160]
	v_add_f64_e32 v[149:150], v[151:152], v[157:158]
	v_fma_f64 v[155:156], v[8:9], v[14:15], v[155:156]
	v_fma_f64 v[14:15], v[6:7], v[14:15], -v[16:17]
	ds_load_b128 v[6:9], v1 offset:1456
	s_wait_loadcnt_dscnt 0x701
	v_mul_f64_e32 v[151:152], v[2:3], v[20:21]
	v_mul_f64_e32 v[20:21], v[4:5], v[20:21]
	v_add_f64_e32 v[10:11], v[12:13], v[10:11]
	v_add_f64_e32 v[12:13], v[149:150], v[153:154]
	s_delay_alu instid0(VALU_DEP_4) | instskip(NEXT) | instid1(VALU_DEP_4)
	v_fma_f64 v[149:150], v[4:5], v[18:19], v[151:152]
	v_fma_f64 v[18:19], v[2:3], v[18:19], -v[20:21]
	ds_load_b128 v[2:5], v1 offset:1472
	v_add_f64_e32 v[14:15], v[10:11], v[14:15]
	v_add_f64_e32 v[20:21], v[12:13], v[155:156]
	scratch_load_b128 v[10:13], off, off offset:272
	s_wait_loadcnt_dscnt 0x701
	v_mul_f64_e32 v[16:17], v[6:7], v[24:25]
	v_mul_f64_e32 v[24:25], v[8:9], v[24:25]
	v_add_f64_e32 v[14:15], v[14:15], v[18:19]
	v_add_f64_e32 v[18:19], v[20:21], v[149:150]
	s_delay_alu instid0(VALU_DEP_4) | instskip(NEXT) | instid1(VALU_DEP_4)
	v_fma_f64 v[16:17], v[8:9], v[22:23], v[16:17]
	v_fma_f64 v[22:23], v[6:7], v[22:23], -v[24:25]
	ds_load_b128 v[6:9], v1 offset:1488
	s_wait_loadcnt_dscnt 0x601
	v_mul_f64_e32 v[151:152], v[2:3], v[28:29]
	v_mul_f64_e32 v[28:29], v[4:5], v[28:29]
	s_wait_loadcnt_dscnt 0x500
	v_mul_f64_e32 v[20:21], v[6:7], v[32:33]
	v_mul_f64_e32 v[24:25], v[8:9], v[32:33]
	v_add_f64_e32 v[16:17], v[18:19], v[16:17]
	v_add_f64_e32 v[14:15], v[14:15], v[22:23]
	v_fma_f64 v[32:33], v[4:5], v[26:27], v[151:152]
	v_fma_f64 v[26:27], v[2:3], v[26:27], -v[28:29]
	ds_load_b128 v[2:5], v1 offset:1504
	v_fma_f64 v[20:21], v[8:9], v[30:31], v[20:21]
	v_fma_f64 v[24:25], v[6:7], v[30:31], -v[24:25]
	ds_load_b128 v[6:9], v1 offset:1520
	s_wait_loadcnt_dscnt 0x401
	v_mul_f64_e32 v[18:19], v[2:3], v[40:41]
	v_mul_f64_e32 v[22:23], v[4:5], v[40:41]
	v_add_f64_e32 v[16:17], v[16:17], v[32:33]
	v_add_f64_e32 v[14:15], v[14:15], v[26:27]
	s_wait_loadcnt_dscnt 0x300
	v_mul_f64_e32 v[26:27], v[6:7], v[147:148]
	v_mul_f64_e32 v[28:29], v[8:9], v[147:148]
	v_fma_f64 v[18:19], v[4:5], v[38:39], v[18:19]
	v_fma_f64 v[22:23], v[2:3], v[38:39], -v[22:23]
	ds_load_b128 v[2:5], v1 offset:1536
	v_add_f64_e32 v[16:17], v[16:17], v[20:21]
	v_add_f64_e32 v[14:15], v[14:15], v[24:25]
	v_fma_f64 v[26:27], v[8:9], v[145:146], v[26:27]
	v_fma_f64 v[28:29], v[6:7], v[145:146], -v[28:29]
	ds_load_b128 v[6:9], v1 offset:1552
	s_wait_loadcnt_dscnt 0x201
	v_mul_f64_e32 v[20:21], v[2:3], v[36:37]
	v_mul_f64_e32 v[24:25], v[4:5], v[36:37]
	v_add_f64_e32 v[16:17], v[16:17], v[18:19]
	v_add_f64_e32 v[14:15], v[14:15], v[22:23]
	s_wait_loadcnt_dscnt 0x100
	v_mul_f64_e32 v[18:19], v[6:7], v[143:144]
	v_mul_f64_e32 v[22:23], v[8:9], v[143:144]
	v_fma_f64 v[4:5], v[4:5], v[34:35], v[20:21]
	v_fma_f64 v[1:2], v[2:3], v[34:35], -v[24:25]
	v_add_f64_e32 v[16:17], v[16:17], v[26:27]
	v_add_f64_e32 v[14:15], v[14:15], v[28:29]
	v_fma_f64 v[8:9], v[8:9], v[141:142], v[18:19]
	v_fma_f64 v[6:7], v[6:7], v[141:142], -v[22:23]
	s_delay_alu instid0(VALU_DEP_4) | instskip(NEXT) | instid1(VALU_DEP_4)
	v_add_f64_e32 v[3:4], v[16:17], v[4:5]
	v_add_f64_e32 v[1:2], v[14:15], v[1:2]
	s_delay_alu instid0(VALU_DEP_2) | instskip(NEXT) | instid1(VALU_DEP_2)
	v_add_f64_e32 v[3:4], v[3:4], v[8:9]
	v_add_f64_e32 v[1:2], v[1:2], v[6:7]
	s_wait_loadcnt 0x0
	s_delay_alu instid0(VALU_DEP_2) | instskip(NEXT) | instid1(VALU_DEP_2)
	v_add_f64_e64 v[3:4], v[12:13], -v[3:4]
	v_add_f64_e64 v[1:2], v[10:11], -v[1:2]
	scratch_store_b128 off, v[1:4], off offset:272
	v_cmpx_lt_u32_e32 15, v0
	s_cbranch_execz .LBB112_277
; %bb.276:
	scratch_load_b128 v[1:4], off, s47
	v_mov_b32_e32 v5, 0
	s_delay_alu instid0(VALU_DEP_1)
	v_dual_mov_b32 v6, v5 :: v_dual_mov_b32 v7, v5
	v_mov_b32_e32 v8, v5
	scratch_store_b128 off, v[5:8], off offset:256
	s_wait_loadcnt 0x0
	ds_store_b128 v140, v[1:4]
.LBB112_277:
	s_wait_alu 0xfffe
	s_or_b32 exec_lo, exec_lo, s0
	s_wait_storecnt_dscnt 0x0
	s_barrier_signal -1
	s_barrier_wait -1
	global_inv scope:SCOPE_SE
	s_clause 0x7
	scratch_load_b128 v[2:5], off, off offset:272
	scratch_load_b128 v[6:9], off, off offset:288
	;; [unrolled: 1-line block ×8, first 2 shown]
	v_mov_b32_e32 v1, 0
	s_clause 0x1
	scratch_load_b128 v[38:41], off, off offset:400
	scratch_load_b128 v[145:148], off, off offset:416
	s_mov_b32 s0, exec_lo
	ds_load_b128 v[34:37], v1 offset:1040
	ds_load_b128 v[141:144], v1 offset:1056
	s_wait_loadcnt_dscnt 0x901
	v_mul_f64_e32 v[149:150], v[36:37], v[4:5]
	v_mul_f64_e32 v[4:5], v[34:35], v[4:5]
	s_wait_loadcnt_dscnt 0x800
	v_mul_f64_e32 v[151:152], v[141:142], v[8:9]
	v_mul_f64_e32 v[8:9], v[143:144], v[8:9]
	s_delay_alu instid0(VALU_DEP_4) | instskip(NEXT) | instid1(VALU_DEP_4)
	v_fma_f64 v[149:150], v[34:35], v[2:3], -v[149:150]
	v_fma_f64 v[153:154], v[36:37], v[2:3], v[4:5]
	ds_load_b128 v[2:5], v1 offset:1072
	scratch_load_b128 v[34:37], off, off offset:432
	v_fma_f64 v[151:152], v[143:144], v[6:7], v[151:152]
	v_fma_f64 v[157:158], v[141:142], v[6:7], -v[8:9]
	ds_load_b128 v[6:9], v1 offset:1088
	scratch_load_b128 v[141:144], off, off offset:448
	s_wait_loadcnt_dscnt 0x901
	v_mul_f64_e32 v[155:156], v[2:3], v[12:13]
	v_mul_f64_e32 v[12:13], v[4:5], v[12:13]
	s_wait_loadcnt_dscnt 0x800
	v_mul_f64_e32 v[159:160], v[6:7], v[16:17]
	v_mul_f64_e32 v[16:17], v[8:9], v[16:17]
	v_add_f64_e32 v[149:150], 0, v[149:150]
	v_add_f64_e32 v[153:154], 0, v[153:154]
	v_fma_f64 v[155:156], v[4:5], v[10:11], v[155:156]
	v_fma_f64 v[161:162], v[2:3], v[10:11], -v[12:13]
	ds_load_b128 v[2:5], v1 offset:1104
	scratch_load_b128 v[10:13], off, off offset:464
	v_add_f64_e32 v[149:150], v[149:150], v[157:158]
	v_add_f64_e32 v[151:152], v[153:154], v[151:152]
	v_fma_f64 v[157:158], v[8:9], v[14:15], v[159:160]
	v_fma_f64 v[159:160], v[6:7], v[14:15], -v[16:17]
	ds_load_b128 v[6:9], v1 offset:1120
	scratch_load_b128 v[14:17], off, off offset:480
	s_wait_loadcnt_dscnt 0x901
	v_mul_f64_e32 v[153:154], v[2:3], v[20:21]
	v_mul_f64_e32 v[20:21], v[4:5], v[20:21]
	v_add_f64_e32 v[149:150], v[149:150], v[161:162]
	v_add_f64_e32 v[151:152], v[151:152], v[155:156]
	s_wait_loadcnt_dscnt 0x800
	v_mul_f64_e32 v[155:156], v[6:7], v[24:25]
	v_mul_f64_e32 v[24:25], v[8:9], v[24:25]
	v_fma_f64 v[153:154], v[4:5], v[18:19], v[153:154]
	v_fma_f64 v[161:162], v[2:3], v[18:19], -v[20:21]
	ds_load_b128 v[2:5], v1 offset:1136
	scratch_load_b128 v[18:21], off, off offset:496
	v_add_f64_e32 v[149:150], v[149:150], v[159:160]
	v_add_f64_e32 v[151:152], v[151:152], v[157:158]
	v_fma_f64 v[155:156], v[8:9], v[22:23], v[155:156]
	v_fma_f64 v[159:160], v[6:7], v[22:23], -v[24:25]
	ds_load_b128 v[6:9], v1 offset:1152
	s_wait_loadcnt_dscnt 0x801
	v_mul_f64_e32 v[157:158], v[2:3], v[28:29]
	v_mul_f64_e32 v[28:29], v[4:5], v[28:29]
	scratch_load_b128 v[22:25], off, off offset:512
	v_add_f64_e32 v[149:150], v[149:150], v[161:162]
	v_add_f64_e32 v[151:152], v[151:152], v[153:154]
	s_wait_loadcnt_dscnt 0x800
	v_mul_f64_e32 v[153:154], v[6:7], v[32:33]
	v_mul_f64_e32 v[32:33], v[8:9], v[32:33]
	v_fma_f64 v[157:158], v[4:5], v[26:27], v[157:158]
	v_fma_f64 v[161:162], v[2:3], v[26:27], -v[28:29]
	ds_load_b128 v[2:5], v1 offset:1168
	scratch_load_b128 v[26:29], off, off offset:528
	v_add_f64_e32 v[149:150], v[149:150], v[159:160]
	v_add_f64_e32 v[151:152], v[151:152], v[155:156]
	v_fma_f64 v[153:154], v[8:9], v[30:31], v[153:154]
	v_fma_f64 v[159:160], v[6:7], v[30:31], -v[32:33]
	ds_load_b128 v[6:9], v1 offset:1184
	s_wait_loadcnt_dscnt 0x801
	v_mul_f64_e32 v[155:156], v[2:3], v[40:41]
	v_mul_f64_e32 v[40:41], v[4:5], v[40:41]
	scratch_load_b128 v[30:33], off, off offset:544
	v_add_f64_e32 v[149:150], v[149:150], v[161:162]
	v_add_f64_e32 v[151:152], v[151:152], v[157:158]
	s_wait_loadcnt_dscnt 0x800
	v_mul_f64_e32 v[157:158], v[6:7], v[147:148]
	v_mul_f64_e32 v[147:148], v[8:9], v[147:148]
	v_fma_f64 v[155:156], v[4:5], v[38:39], v[155:156]
	v_fma_f64 v[161:162], v[2:3], v[38:39], -v[40:41]
	ds_load_b128 v[2:5], v1 offset:1200
	scratch_load_b128 v[38:41], off, off offset:560
	v_add_f64_e32 v[149:150], v[149:150], v[159:160]
	v_add_f64_e32 v[151:152], v[151:152], v[153:154]
	v_fma_f64 v[157:158], v[8:9], v[145:146], v[157:158]
	v_fma_f64 v[159:160], v[6:7], v[145:146], -v[147:148]
	ds_load_b128 v[6:9], v1 offset:1216
	scratch_load_b128 v[145:148], off, off offset:576
	s_wait_loadcnt_dscnt 0x901
	v_mul_f64_e32 v[153:154], v[2:3], v[36:37]
	v_mul_f64_e32 v[36:37], v[4:5], v[36:37]
	v_add_f64_e32 v[149:150], v[149:150], v[161:162]
	v_add_f64_e32 v[151:152], v[151:152], v[155:156]
	s_wait_loadcnt_dscnt 0x800
	v_mul_f64_e32 v[155:156], v[6:7], v[143:144]
	v_mul_f64_e32 v[143:144], v[8:9], v[143:144]
	v_fma_f64 v[153:154], v[4:5], v[34:35], v[153:154]
	v_fma_f64 v[161:162], v[2:3], v[34:35], -v[36:37]
	ds_load_b128 v[2:5], v1 offset:1232
	scratch_load_b128 v[34:37], off, off offset:592
	v_add_f64_e32 v[149:150], v[149:150], v[159:160]
	v_add_f64_e32 v[151:152], v[151:152], v[157:158]
	v_fma_f64 v[155:156], v[8:9], v[141:142], v[155:156]
	v_fma_f64 v[159:160], v[6:7], v[141:142], -v[143:144]
	ds_load_b128 v[6:9], v1 offset:1248
	s_wait_loadcnt_dscnt 0x801
	v_mul_f64_e32 v[157:158], v[2:3], v[12:13]
	v_mul_f64_e32 v[12:13], v[4:5], v[12:13]
	scratch_load_b128 v[141:144], off, off offset:608
	v_add_f64_e32 v[149:150], v[149:150], v[161:162]
	v_add_f64_e32 v[151:152], v[151:152], v[153:154]
	s_wait_loadcnt_dscnt 0x800
	v_mul_f64_e32 v[153:154], v[6:7], v[16:17]
	v_mul_f64_e32 v[16:17], v[8:9], v[16:17]
	v_fma_f64 v[157:158], v[4:5], v[10:11], v[157:158]
	v_fma_f64 v[161:162], v[2:3], v[10:11], -v[12:13]
	ds_load_b128 v[2:5], v1 offset:1264
	scratch_load_b128 v[10:13], off, off offset:624
	v_add_f64_e32 v[149:150], v[149:150], v[159:160]
	v_add_f64_e32 v[151:152], v[151:152], v[155:156]
	v_fma_f64 v[153:154], v[8:9], v[14:15], v[153:154]
	v_fma_f64 v[159:160], v[6:7], v[14:15], -v[16:17]
	ds_load_b128 v[6:9], v1 offset:1280
	s_wait_loadcnt_dscnt 0x801
	v_mul_f64_e32 v[155:156], v[2:3], v[20:21]
	v_mul_f64_e32 v[20:21], v[4:5], v[20:21]
	scratch_load_b128 v[14:17], off, off offset:640
	;; [unrolled: 18-line block ×6, first 2 shown]
	v_add_f64_e32 v[149:150], v[149:150], v[161:162]
	v_add_f64_e32 v[151:152], v[151:152], v[155:156]
	s_wait_loadcnt_dscnt 0x800
	v_mul_f64_e32 v[155:156], v[6:7], v[16:17]
	v_mul_f64_e32 v[16:17], v[8:9], v[16:17]
	v_fma_f64 v[153:154], v[4:5], v[10:11], v[153:154]
	v_fma_f64 v[161:162], v[2:3], v[10:11], -v[12:13]
	ds_load_b128 v[2:5], v1 offset:1424
	scratch_load_b128 v[10:13], off, off offset:784
	v_add_f64_e32 v[149:150], v[149:150], v[159:160]
	v_add_f64_e32 v[151:152], v[151:152], v[157:158]
	v_fma_f64 v[155:156], v[8:9], v[14:15], v[155:156]
	v_fma_f64 v[14:15], v[6:7], v[14:15], -v[16:17]
	ds_load_b128 v[6:9], v1 offset:1440
	s_wait_loadcnt_dscnt 0x801
	v_mul_f64_e32 v[157:158], v[2:3], v[20:21]
	v_mul_f64_e32 v[20:21], v[4:5], v[20:21]
	v_add_f64_e32 v[16:17], v[149:150], v[161:162]
	v_add_f64_e32 v[149:150], v[151:152], v[153:154]
	s_wait_loadcnt_dscnt 0x700
	v_mul_f64_e32 v[151:152], v[6:7], v[24:25]
	v_mul_f64_e32 v[24:25], v[8:9], v[24:25]
	v_fma_f64 v[153:154], v[4:5], v[18:19], v[157:158]
	v_fma_f64 v[18:19], v[2:3], v[18:19], -v[20:21]
	ds_load_b128 v[2:5], v1 offset:1456
	v_add_f64_e32 v[14:15], v[16:17], v[14:15]
	v_add_f64_e32 v[16:17], v[149:150], v[155:156]
	v_fma_f64 v[149:150], v[8:9], v[22:23], v[151:152]
	v_fma_f64 v[22:23], v[6:7], v[22:23], -v[24:25]
	ds_load_b128 v[6:9], v1 offset:1472
	s_wait_loadcnt_dscnt 0x500
	v_mul_f64_e32 v[151:152], v[6:7], v[32:33]
	v_mul_f64_e32 v[32:33], v[8:9], v[32:33]
	v_add_f64_e32 v[18:19], v[14:15], v[18:19]
	v_add_f64_e32 v[24:25], v[16:17], v[153:154]
	scratch_load_b128 v[14:17], off, off offset:256
	v_mul_f64_e32 v[20:21], v[2:3], v[28:29]
	v_mul_f64_e32 v[28:29], v[4:5], v[28:29]
	v_add_f64_e32 v[18:19], v[18:19], v[22:23]
	v_add_f64_e32 v[22:23], v[24:25], v[149:150]
	s_delay_alu instid0(VALU_DEP_4) | instskip(NEXT) | instid1(VALU_DEP_4)
	v_fma_f64 v[20:21], v[4:5], v[26:27], v[20:21]
	v_fma_f64 v[26:27], v[2:3], v[26:27], -v[28:29]
	ds_load_b128 v[2:5], v1 offset:1488
	s_wait_loadcnt_dscnt 0x500
	v_mul_f64_e32 v[24:25], v[2:3], v[40:41]
	v_mul_f64_e32 v[28:29], v[4:5], v[40:41]
	v_fma_f64 v[40:41], v[8:9], v[30:31], v[151:152]
	v_fma_f64 v[30:31], v[6:7], v[30:31], -v[32:33]
	ds_load_b128 v[6:9], v1 offset:1504
	v_add_f64_e32 v[20:21], v[22:23], v[20:21]
	v_add_f64_e32 v[18:19], v[18:19], v[26:27]
	v_fma_f64 v[24:25], v[4:5], v[38:39], v[24:25]
	v_fma_f64 v[28:29], v[2:3], v[38:39], -v[28:29]
	ds_load_b128 v[2:5], v1 offset:1520
	s_wait_loadcnt_dscnt 0x401
	v_mul_f64_e32 v[22:23], v[6:7], v[147:148]
	v_mul_f64_e32 v[26:27], v[8:9], v[147:148]
	v_add_f64_e32 v[20:21], v[20:21], v[40:41]
	v_add_f64_e32 v[18:19], v[18:19], v[30:31]
	s_wait_loadcnt_dscnt 0x300
	v_mul_f64_e32 v[30:31], v[2:3], v[36:37]
	v_mul_f64_e32 v[32:33], v[4:5], v[36:37]
	v_fma_f64 v[22:23], v[8:9], v[145:146], v[22:23]
	v_fma_f64 v[26:27], v[6:7], v[145:146], -v[26:27]
	ds_load_b128 v[6:9], v1 offset:1536
	v_add_f64_e32 v[20:21], v[20:21], v[24:25]
	v_add_f64_e32 v[18:19], v[18:19], v[28:29]
	v_fma_f64 v[30:31], v[4:5], v[34:35], v[30:31]
	v_fma_f64 v[32:33], v[2:3], v[34:35], -v[32:33]
	ds_load_b128 v[2:5], v1 offset:1552
	s_wait_loadcnt_dscnt 0x201
	v_mul_f64_e32 v[24:25], v[6:7], v[143:144]
	v_mul_f64_e32 v[28:29], v[8:9], v[143:144]
	v_add_f64_e32 v[20:21], v[20:21], v[22:23]
	v_add_f64_e32 v[18:19], v[18:19], v[26:27]
	s_wait_loadcnt_dscnt 0x100
	v_mul_f64_e32 v[22:23], v[2:3], v[12:13]
	v_mul_f64_e32 v[12:13], v[4:5], v[12:13]
	v_fma_f64 v[8:9], v[8:9], v[141:142], v[24:25]
	v_fma_f64 v[6:7], v[6:7], v[141:142], -v[28:29]
	v_add_f64_e32 v[20:21], v[20:21], v[30:31]
	v_add_f64_e32 v[18:19], v[18:19], v[32:33]
	v_fma_f64 v[4:5], v[4:5], v[10:11], v[22:23]
	v_fma_f64 v[2:3], v[2:3], v[10:11], -v[12:13]
	s_delay_alu instid0(VALU_DEP_4) | instskip(NEXT) | instid1(VALU_DEP_4)
	v_add_f64_e32 v[8:9], v[20:21], v[8:9]
	v_add_f64_e32 v[6:7], v[18:19], v[6:7]
	s_delay_alu instid0(VALU_DEP_2) | instskip(NEXT) | instid1(VALU_DEP_2)
	v_add_f64_e32 v[4:5], v[8:9], v[4:5]
	v_add_f64_e32 v[2:3], v[6:7], v[2:3]
	s_wait_loadcnt 0x0
	s_delay_alu instid0(VALU_DEP_2) | instskip(NEXT) | instid1(VALU_DEP_2)
	v_add_f64_e64 v[4:5], v[16:17], -v[4:5]
	v_add_f64_e64 v[2:3], v[14:15], -v[2:3]
	scratch_store_b128 off, v[2:5], off offset:256
	v_cmpx_lt_u32_e32 14, v0
	s_cbranch_execz .LBB112_279
; %bb.278:
	scratch_load_b128 v[5:8], off, s48
	v_dual_mov_b32 v2, v1 :: v_dual_mov_b32 v3, v1
	v_mov_b32_e32 v4, v1
	scratch_store_b128 off, v[1:4], off offset:240
	s_wait_loadcnt 0x0
	ds_store_b128 v140, v[5:8]
.LBB112_279:
	s_wait_alu 0xfffe
	s_or_b32 exec_lo, exec_lo, s0
	s_wait_storecnt_dscnt 0x0
	s_barrier_signal -1
	s_barrier_wait -1
	global_inv scope:SCOPE_SE
	s_clause 0x7
	scratch_load_b128 v[2:5], off, off offset:256
	scratch_load_b128 v[6:9], off, off offset:272
	;; [unrolled: 1-line block ×8, first 2 shown]
	ds_load_b128 v[38:41], v1 offset:1024
	ds_load_b128 v[141:144], v1 offset:1040
	s_clause 0x1
	scratch_load_b128 v[34:37], off, off offset:384
	scratch_load_b128 v[145:148], off, off offset:400
	s_mov_b32 s0, exec_lo
	s_wait_loadcnt_dscnt 0x901
	v_mul_f64_e32 v[149:150], v[40:41], v[4:5]
	v_mul_f64_e32 v[4:5], v[38:39], v[4:5]
	s_wait_loadcnt_dscnt 0x800
	v_mul_f64_e32 v[151:152], v[141:142], v[8:9]
	v_mul_f64_e32 v[8:9], v[143:144], v[8:9]
	s_delay_alu instid0(VALU_DEP_4) | instskip(NEXT) | instid1(VALU_DEP_4)
	v_fma_f64 v[149:150], v[38:39], v[2:3], -v[149:150]
	v_fma_f64 v[153:154], v[40:41], v[2:3], v[4:5]
	ds_load_b128 v[2:5], v1 offset:1056
	scratch_load_b128 v[38:41], off, off offset:416
	v_fma_f64 v[151:152], v[143:144], v[6:7], v[151:152]
	v_fma_f64 v[157:158], v[141:142], v[6:7], -v[8:9]
	ds_load_b128 v[6:9], v1 offset:1072
	scratch_load_b128 v[141:144], off, off offset:432
	s_wait_loadcnt_dscnt 0x901
	v_mul_f64_e32 v[155:156], v[2:3], v[12:13]
	v_mul_f64_e32 v[12:13], v[4:5], v[12:13]
	s_wait_loadcnt_dscnt 0x800
	v_mul_f64_e32 v[159:160], v[6:7], v[16:17]
	v_mul_f64_e32 v[16:17], v[8:9], v[16:17]
	v_add_f64_e32 v[149:150], 0, v[149:150]
	v_add_f64_e32 v[153:154], 0, v[153:154]
	v_fma_f64 v[155:156], v[4:5], v[10:11], v[155:156]
	v_fma_f64 v[161:162], v[2:3], v[10:11], -v[12:13]
	ds_load_b128 v[2:5], v1 offset:1088
	scratch_load_b128 v[10:13], off, off offset:448
	v_add_f64_e32 v[149:150], v[149:150], v[157:158]
	v_add_f64_e32 v[151:152], v[153:154], v[151:152]
	v_fma_f64 v[157:158], v[8:9], v[14:15], v[159:160]
	v_fma_f64 v[159:160], v[6:7], v[14:15], -v[16:17]
	ds_load_b128 v[6:9], v1 offset:1104
	scratch_load_b128 v[14:17], off, off offset:464
	s_wait_loadcnt_dscnt 0x901
	v_mul_f64_e32 v[153:154], v[2:3], v[20:21]
	v_mul_f64_e32 v[20:21], v[4:5], v[20:21]
	v_add_f64_e32 v[149:150], v[149:150], v[161:162]
	v_add_f64_e32 v[151:152], v[151:152], v[155:156]
	s_wait_loadcnt_dscnt 0x800
	v_mul_f64_e32 v[155:156], v[6:7], v[24:25]
	v_mul_f64_e32 v[24:25], v[8:9], v[24:25]
	v_fma_f64 v[153:154], v[4:5], v[18:19], v[153:154]
	v_fma_f64 v[161:162], v[2:3], v[18:19], -v[20:21]
	ds_load_b128 v[2:5], v1 offset:1120
	scratch_load_b128 v[18:21], off, off offset:480
	v_add_f64_e32 v[149:150], v[149:150], v[159:160]
	v_add_f64_e32 v[151:152], v[151:152], v[157:158]
	v_fma_f64 v[155:156], v[8:9], v[22:23], v[155:156]
	v_fma_f64 v[159:160], v[6:7], v[22:23], -v[24:25]
	ds_load_b128 v[6:9], v1 offset:1136
	s_wait_loadcnt_dscnt 0x801
	v_mul_f64_e32 v[157:158], v[2:3], v[28:29]
	v_mul_f64_e32 v[28:29], v[4:5], v[28:29]
	scratch_load_b128 v[22:25], off, off offset:496
	v_add_f64_e32 v[149:150], v[149:150], v[161:162]
	v_add_f64_e32 v[151:152], v[151:152], v[153:154]
	s_wait_loadcnt_dscnt 0x800
	v_mul_f64_e32 v[153:154], v[6:7], v[32:33]
	v_mul_f64_e32 v[32:33], v[8:9], v[32:33]
	v_fma_f64 v[157:158], v[4:5], v[26:27], v[157:158]
	v_fma_f64 v[161:162], v[2:3], v[26:27], -v[28:29]
	ds_load_b128 v[2:5], v1 offset:1152
	scratch_load_b128 v[26:29], off, off offset:512
	v_add_f64_e32 v[149:150], v[149:150], v[159:160]
	v_add_f64_e32 v[151:152], v[151:152], v[155:156]
	v_fma_f64 v[153:154], v[8:9], v[30:31], v[153:154]
	v_fma_f64 v[159:160], v[6:7], v[30:31], -v[32:33]
	ds_load_b128 v[6:9], v1 offset:1168
	s_wait_loadcnt_dscnt 0x801
	v_mul_f64_e32 v[155:156], v[2:3], v[36:37]
	v_mul_f64_e32 v[36:37], v[4:5], v[36:37]
	scratch_load_b128 v[30:33], off, off offset:528
	v_add_f64_e32 v[149:150], v[149:150], v[161:162]
	v_add_f64_e32 v[151:152], v[151:152], v[157:158]
	s_wait_loadcnt_dscnt 0x800
	v_mul_f64_e32 v[157:158], v[6:7], v[147:148]
	v_mul_f64_e32 v[147:148], v[8:9], v[147:148]
	v_fma_f64 v[155:156], v[4:5], v[34:35], v[155:156]
	v_fma_f64 v[161:162], v[2:3], v[34:35], -v[36:37]
	ds_load_b128 v[2:5], v1 offset:1184
	scratch_load_b128 v[34:37], off, off offset:544
	v_add_f64_e32 v[149:150], v[149:150], v[159:160]
	v_add_f64_e32 v[151:152], v[151:152], v[153:154]
	v_fma_f64 v[157:158], v[8:9], v[145:146], v[157:158]
	v_fma_f64 v[159:160], v[6:7], v[145:146], -v[147:148]
	ds_load_b128 v[6:9], v1 offset:1200
	scratch_load_b128 v[145:148], off, off offset:560
	s_wait_loadcnt_dscnt 0x901
	v_mul_f64_e32 v[153:154], v[2:3], v[40:41]
	v_mul_f64_e32 v[40:41], v[4:5], v[40:41]
	v_add_f64_e32 v[149:150], v[149:150], v[161:162]
	v_add_f64_e32 v[151:152], v[151:152], v[155:156]
	s_wait_loadcnt_dscnt 0x800
	v_mul_f64_e32 v[155:156], v[6:7], v[143:144]
	v_mul_f64_e32 v[143:144], v[8:9], v[143:144]
	v_fma_f64 v[153:154], v[4:5], v[38:39], v[153:154]
	v_fma_f64 v[161:162], v[2:3], v[38:39], -v[40:41]
	ds_load_b128 v[2:5], v1 offset:1216
	scratch_load_b128 v[38:41], off, off offset:576
	v_add_f64_e32 v[149:150], v[149:150], v[159:160]
	v_add_f64_e32 v[151:152], v[151:152], v[157:158]
	v_fma_f64 v[155:156], v[8:9], v[141:142], v[155:156]
	v_fma_f64 v[159:160], v[6:7], v[141:142], -v[143:144]
	ds_load_b128 v[6:9], v1 offset:1232
	s_wait_loadcnt_dscnt 0x801
	v_mul_f64_e32 v[157:158], v[2:3], v[12:13]
	v_mul_f64_e32 v[12:13], v[4:5], v[12:13]
	scratch_load_b128 v[141:144], off, off offset:592
	v_add_f64_e32 v[149:150], v[149:150], v[161:162]
	v_add_f64_e32 v[151:152], v[151:152], v[153:154]
	s_wait_loadcnt_dscnt 0x800
	v_mul_f64_e32 v[153:154], v[6:7], v[16:17]
	v_mul_f64_e32 v[16:17], v[8:9], v[16:17]
	v_fma_f64 v[157:158], v[4:5], v[10:11], v[157:158]
	v_fma_f64 v[161:162], v[2:3], v[10:11], -v[12:13]
	ds_load_b128 v[2:5], v1 offset:1248
	scratch_load_b128 v[10:13], off, off offset:608
	v_add_f64_e32 v[149:150], v[149:150], v[159:160]
	v_add_f64_e32 v[151:152], v[151:152], v[155:156]
	v_fma_f64 v[153:154], v[8:9], v[14:15], v[153:154]
	v_fma_f64 v[159:160], v[6:7], v[14:15], -v[16:17]
	ds_load_b128 v[6:9], v1 offset:1264
	s_wait_loadcnt_dscnt 0x801
	v_mul_f64_e32 v[155:156], v[2:3], v[20:21]
	v_mul_f64_e32 v[20:21], v[4:5], v[20:21]
	scratch_load_b128 v[14:17], off, off offset:624
	;; [unrolled: 18-line block ×7, first 2 shown]
	v_add_f64_e32 v[149:150], v[149:150], v[161:162]
	v_add_f64_e32 v[151:152], v[151:152], v[153:154]
	s_wait_loadcnt_dscnt 0x800
	v_mul_f64_e32 v[153:154], v[6:7], v[24:25]
	v_mul_f64_e32 v[24:25], v[8:9], v[24:25]
	v_fma_f64 v[157:158], v[4:5], v[18:19], v[157:158]
	v_fma_f64 v[18:19], v[2:3], v[18:19], -v[20:21]
	ds_load_b128 v[2:5], v1 offset:1440
	v_add_f64_e32 v[20:21], v[149:150], v[159:160]
	v_add_f64_e32 v[149:150], v[151:152], v[155:156]
	v_fma_f64 v[153:154], v[8:9], v[22:23], v[153:154]
	v_fma_f64 v[22:23], v[6:7], v[22:23], -v[24:25]
	ds_load_b128 v[6:9], v1 offset:1456
	s_wait_loadcnt_dscnt 0x701
	v_mul_f64_e32 v[151:152], v[2:3], v[28:29]
	v_mul_f64_e32 v[28:29], v[4:5], v[28:29]
	v_add_f64_e32 v[18:19], v[20:21], v[18:19]
	v_add_f64_e32 v[20:21], v[149:150], v[157:158]
	s_delay_alu instid0(VALU_DEP_4) | instskip(NEXT) | instid1(VALU_DEP_4)
	v_fma_f64 v[149:150], v[4:5], v[26:27], v[151:152]
	v_fma_f64 v[26:27], v[2:3], v[26:27], -v[28:29]
	ds_load_b128 v[2:5], v1 offset:1472
	v_add_f64_e32 v[22:23], v[18:19], v[22:23]
	v_add_f64_e32 v[28:29], v[20:21], v[153:154]
	scratch_load_b128 v[18:21], off, off offset:240
	s_wait_loadcnt_dscnt 0x701
	v_mul_f64_e32 v[24:25], v[6:7], v[32:33]
	v_mul_f64_e32 v[32:33], v[8:9], v[32:33]
	v_add_f64_e32 v[22:23], v[22:23], v[26:27]
	v_add_f64_e32 v[26:27], v[28:29], v[149:150]
	s_delay_alu instid0(VALU_DEP_4) | instskip(NEXT) | instid1(VALU_DEP_4)
	v_fma_f64 v[24:25], v[8:9], v[30:31], v[24:25]
	v_fma_f64 v[30:31], v[6:7], v[30:31], -v[32:33]
	ds_load_b128 v[6:9], v1 offset:1488
	s_wait_loadcnt_dscnt 0x601
	v_mul_f64_e32 v[151:152], v[2:3], v[36:37]
	v_mul_f64_e32 v[36:37], v[4:5], v[36:37]
	s_wait_loadcnt_dscnt 0x500
	v_mul_f64_e32 v[28:29], v[6:7], v[147:148]
	v_mul_f64_e32 v[32:33], v[8:9], v[147:148]
	v_add_f64_e32 v[24:25], v[26:27], v[24:25]
	v_add_f64_e32 v[22:23], v[22:23], v[30:31]
	v_fma_f64 v[147:148], v[4:5], v[34:35], v[151:152]
	v_fma_f64 v[34:35], v[2:3], v[34:35], -v[36:37]
	ds_load_b128 v[2:5], v1 offset:1504
	v_fma_f64 v[28:29], v[8:9], v[145:146], v[28:29]
	v_fma_f64 v[32:33], v[6:7], v[145:146], -v[32:33]
	ds_load_b128 v[6:9], v1 offset:1520
	s_wait_loadcnt_dscnt 0x401
	v_mul_f64_e32 v[26:27], v[2:3], v[40:41]
	v_mul_f64_e32 v[30:31], v[4:5], v[40:41]
	v_add_f64_e32 v[24:25], v[24:25], v[147:148]
	v_add_f64_e32 v[22:23], v[22:23], v[34:35]
	s_wait_loadcnt_dscnt 0x300
	v_mul_f64_e32 v[34:35], v[6:7], v[143:144]
	v_mul_f64_e32 v[36:37], v[8:9], v[143:144]
	v_fma_f64 v[26:27], v[4:5], v[38:39], v[26:27]
	v_fma_f64 v[30:31], v[2:3], v[38:39], -v[30:31]
	ds_load_b128 v[2:5], v1 offset:1536
	v_add_f64_e32 v[24:25], v[24:25], v[28:29]
	v_add_f64_e32 v[22:23], v[22:23], v[32:33]
	v_fma_f64 v[32:33], v[8:9], v[141:142], v[34:35]
	v_fma_f64 v[34:35], v[6:7], v[141:142], -v[36:37]
	ds_load_b128 v[6:9], v1 offset:1552
	s_wait_loadcnt_dscnt 0x201
	v_mul_f64_e32 v[28:29], v[2:3], v[12:13]
	v_mul_f64_e32 v[12:13], v[4:5], v[12:13]
	v_add_f64_e32 v[24:25], v[24:25], v[26:27]
	v_add_f64_e32 v[22:23], v[22:23], v[30:31]
	s_wait_loadcnt_dscnt 0x100
	v_mul_f64_e32 v[26:27], v[6:7], v[16:17]
	v_mul_f64_e32 v[16:17], v[8:9], v[16:17]
	v_fma_f64 v[4:5], v[4:5], v[10:11], v[28:29]
	v_fma_f64 v[1:2], v[2:3], v[10:11], -v[12:13]
	v_add_f64_e32 v[12:13], v[24:25], v[32:33]
	v_add_f64_e32 v[10:11], v[22:23], v[34:35]
	v_fma_f64 v[8:9], v[8:9], v[14:15], v[26:27]
	v_fma_f64 v[6:7], v[6:7], v[14:15], -v[16:17]
	s_delay_alu instid0(VALU_DEP_4) | instskip(NEXT) | instid1(VALU_DEP_4)
	v_add_f64_e32 v[3:4], v[12:13], v[4:5]
	v_add_f64_e32 v[1:2], v[10:11], v[1:2]
	s_delay_alu instid0(VALU_DEP_2) | instskip(NEXT) | instid1(VALU_DEP_2)
	v_add_f64_e32 v[3:4], v[3:4], v[8:9]
	v_add_f64_e32 v[1:2], v[1:2], v[6:7]
	s_wait_loadcnt 0x0
	s_delay_alu instid0(VALU_DEP_2) | instskip(NEXT) | instid1(VALU_DEP_2)
	v_add_f64_e64 v[3:4], v[20:21], -v[3:4]
	v_add_f64_e64 v[1:2], v[18:19], -v[1:2]
	scratch_store_b128 off, v[1:4], off offset:240
	v_cmpx_lt_u32_e32 13, v0
	s_cbranch_execz .LBB112_281
; %bb.280:
	scratch_load_b128 v[1:4], off, s49
	v_mov_b32_e32 v5, 0
	s_delay_alu instid0(VALU_DEP_1)
	v_dual_mov_b32 v6, v5 :: v_dual_mov_b32 v7, v5
	v_mov_b32_e32 v8, v5
	scratch_store_b128 off, v[5:8], off offset:224
	s_wait_loadcnt 0x0
	ds_store_b128 v140, v[1:4]
.LBB112_281:
	s_wait_alu 0xfffe
	s_or_b32 exec_lo, exec_lo, s0
	s_wait_storecnt_dscnt 0x0
	s_barrier_signal -1
	s_barrier_wait -1
	global_inv scope:SCOPE_SE
	s_clause 0x7
	scratch_load_b128 v[2:5], off, off offset:240
	scratch_load_b128 v[6:9], off, off offset:256
	;; [unrolled: 1-line block ×8, first 2 shown]
	v_mov_b32_e32 v1, 0
	s_clause 0x1
	scratch_load_b128 v[34:37], off, off offset:368
	scratch_load_b128 v[145:148], off, off offset:384
	s_mov_b32 s0, exec_lo
	ds_load_b128 v[38:41], v1 offset:1008
	ds_load_b128 v[141:144], v1 offset:1024
	s_wait_loadcnt_dscnt 0x901
	v_mul_f64_e32 v[149:150], v[40:41], v[4:5]
	v_mul_f64_e32 v[4:5], v[38:39], v[4:5]
	s_wait_loadcnt_dscnt 0x800
	v_mul_f64_e32 v[151:152], v[141:142], v[8:9]
	v_mul_f64_e32 v[8:9], v[143:144], v[8:9]
	s_delay_alu instid0(VALU_DEP_4) | instskip(NEXT) | instid1(VALU_DEP_4)
	v_fma_f64 v[149:150], v[38:39], v[2:3], -v[149:150]
	v_fma_f64 v[153:154], v[40:41], v[2:3], v[4:5]
	ds_load_b128 v[2:5], v1 offset:1040
	scratch_load_b128 v[38:41], off, off offset:400
	v_fma_f64 v[151:152], v[143:144], v[6:7], v[151:152]
	v_fma_f64 v[157:158], v[141:142], v[6:7], -v[8:9]
	ds_load_b128 v[6:9], v1 offset:1056
	scratch_load_b128 v[141:144], off, off offset:416
	s_wait_loadcnt_dscnt 0x901
	v_mul_f64_e32 v[155:156], v[2:3], v[12:13]
	v_mul_f64_e32 v[12:13], v[4:5], v[12:13]
	s_wait_loadcnt_dscnt 0x800
	v_mul_f64_e32 v[159:160], v[6:7], v[16:17]
	v_mul_f64_e32 v[16:17], v[8:9], v[16:17]
	v_add_f64_e32 v[149:150], 0, v[149:150]
	v_add_f64_e32 v[153:154], 0, v[153:154]
	v_fma_f64 v[155:156], v[4:5], v[10:11], v[155:156]
	v_fma_f64 v[161:162], v[2:3], v[10:11], -v[12:13]
	ds_load_b128 v[2:5], v1 offset:1072
	scratch_load_b128 v[10:13], off, off offset:432
	v_add_f64_e32 v[149:150], v[149:150], v[157:158]
	v_add_f64_e32 v[151:152], v[153:154], v[151:152]
	v_fma_f64 v[157:158], v[8:9], v[14:15], v[159:160]
	v_fma_f64 v[159:160], v[6:7], v[14:15], -v[16:17]
	ds_load_b128 v[6:9], v1 offset:1088
	scratch_load_b128 v[14:17], off, off offset:448
	s_wait_loadcnt_dscnt 0x901
	v_mul_f64_e32 v[153:154], v[2:3], v[20:21]
	v_mul_f64_e32 v[20:21], v[4:5], v[20:21]
	v_add_f64_e32 v[149:150], v[149:150], v[161:162]
	v_add_f64_e32 v[151:152], v[151:152], v[155:156]
	s_wait_loadcnt_dscnt 0x800
	v_mul_f64_e32 v[155:156], v[6:7], v[24:25]
	v_mul_f64_e32 v[24:25], v[8:9], v[24:25]
	v_fma_f64 v[153:154], v[4:5], v[18:19], v[153:154]
	v_fma_f64 v[161:162], v[2:3], v[18:19], -v[20:21]
	ds_load_b128 v[2:5], v1 offset:1104
	scratch_load_b128 v[18:21], off, off offset:464
	v_add_f64_e32 v[149:150], v[149:150], v[159:160]
	v_add_f64_e32 v[151:152], v[151:152], v[157:158]
	v_fma_f64 v[155:156], v[8:9], v[22:23], v[155:156]
	v_fma_f64 v[159:160], v[6:7], v[22:23], -v[24:25]
	ds_load_b128 v[6:9], v1 offset:1120
	s_wait_loadcnt_dscnt 0x801
	v_mul_f64_e32 v[157:158], v[2:3], v[28:29]
	v_mul_f64_e32 v[28:29], v[4:5], v[28:29]
	scratch_load_b128 v[22:25], off, off offset:480
	v_add_f64_e32 v[149:150], v[149:150], v[161:162]
	v_add_f64_e32 v[151:152], v[151:152], v[153:154]
	s_wait_loadcnt_dscnt 0x800
	v_mul_f64_e32 v[153:154], v[6:7], v[32:33]
	v_mul_f64_e32 v[32:33], v[8:9], v[32:33]
	v_fma_f64 v[157:158], v[4:5], v[26:27], v[157:158]
	v_fma_f64 v[161:162], v[2:3], v[26:27], -v[28:29]
	ds_load_b128 v[2:5], v1 offset:1136
	scratch_load_b128 v[26:29], off, off offset:496
	v_add_f64_e32 v[149:150], v[149:150], v[159:160]
	v_add_f64_e32 v[151:152], v[151:152], v[155:156]
	v_fma_f64 v[153:154], v[8:9], v[30:31], v[153:154]
	v_fma_f64 v[159:160], v[6:7], v[30:31], -v[32:33]
	ds_load_b128 v[6:9], v1 offset:1152
	s_wait_loadcnt_dscnt 0x801
	v_mul_f64_e32 v[155:156], v[2:3], v[36:37]
	v_mul_f64_e32 v[36:37], v[4:5], v[36:37]
	scratch_load_b128 v[30:33], off, off offset:512
	v_add_f64_e32 v[149:150], v[149:150], v[161:162]
	v_add_f64_e32 v[151:152], v[151:152], v[157:158]
	s_wait_loadcnt_dscnt 0x800
	v_mul_f64_e32 v[157:158], v[6:7], v[147:148]
	v_mul_f64_e32 v[147:148], v[8:9], v[147:148]
	v_fma_f64 v[155:156], v[4:5], v[34:35], v[155:156]
	v_fma_f64 v[161:162], v[2:3], v[34:35], -v[36:37]
	ds_load_b128 v[2:5], v1 offset:1168
	scratch_load_b128 v[34:37], off, off offset:528
	v_add_f64_e32 v[149:150], v[149:150], v[159:160]
	v_add_f64_e32 v[151:152], v[151:152], v[153:154]
	v_fma_f64 v[157:158], v[8:9], v[145:146], v[157:158]
	v_fma_f64 v[159:160], v[6:7], v[145:146], -v[147:148]
	ds_load_b128 v[6:9], v1 offset:1184
	scratch_load_b128 v[145:148], off, off offset:544
	s_wait_loadcnt_dscnt 0x901
	v_mul_f64_e32 v[153:154], v[2:3], v[40:41]
	v_mul_f64_e32 v[40:41], v[4:5], v[40:41]
	v_add_f64_e32 v[149:150], v[149:150], v[161:162]
	v_add_f64_e32 v[151:152], v[151:152], v[155:156]
	s_wait_loadcnt_dscnt 0x800
	v_mul_f64_e32 v[155:156], v[6:7], v[143:144]
	v_mul_f64_e32 v[143:144], v[8:9], v[143:144]
	v_fma_f64 v[153:154], v[4:5], v[38:39], v[153:154]
	v_fma_f64 v[161:162], v[2:3], v[38:39], -v[40:41]
	ds_load_b128 v[2:5], v1 offset:1200
	scratch_load_b128 v[38:41], off, off offset:560
	v_add_f64_e32 v[149:150], v[149:150], v[159:160]
	v_add_f64_e32 v[151:152], v[151:152], v[157:158]
	v_fma_f64 v[155:156], v[8:9], v[141:142], v[155:156]
	v_fma_f64 v[159:160], v[6:7], v[141:142], -v[143:144]
	ds_load_b128 v[6:9], v1 offset:1216
	s_wait_loadcnt_dscnt 0x801
	v_mul_f64_e32 v[157:158], v[2:3], v[12:13]
	v_mul_f64_e32 v[12:13], v[4:5], v[12:13]
	scratch_load_b128 v[141:144], off, off offset:576
	v_add_f64_e32 v[149:150], v[149:150], v[161:162]
	v_add_f64_e32 v[151:152], v[151:152], v[153:154]
	s_wait_loadcnt_dscnt 0x800
	v_mul_f64_e32 v[153:154], v[6:7], v[16:17]
	v_mul_f64_e32 v[16:17], v[8:9], v[16:17]
	v_fma_f64 v[157:158], v[4:5], v[10:11], v[157:158]
	v_fma_f64 v[161:162], v[2:3], v[10:11], -v[12:13]
	ds_load_b128 v[2:5], v1 offset:1232
	scratch_load_b128 v[10:13], off, off offset:592
	v_add_f64_e32 v[149:150], v[149:150], v[159:160]
	v_add_f64_e32 v[151:152], v[151:152], v[155:156]
	v_fma_f64 v[153:154], v[8:9], v[14:15], v[153:154]
	v_fma_f64 v[159:160], v[6:7], v[14:15], -v[16:17]
	ds_load_b128 v[6:9], v1 offset:1248
	s_wait_loadcnt_dscnt 0x801
	v_mul_f64_e32 v[155:156], v[2:3], v[20:21]
	v_mul_f64_e32 v[20:21], v[4:5], v[20:21]
	scratch_load_b128 v[14:17], off, off offset:608
	;; [unrolled: 18-line block ×7, first 2 shown]
	v_add_f64_e32 v[149:150], v[149:150], v[161:162]
	v_add_f64_e32 v[151:152], v[151:152], v[153:154]
	s_wait_loadcnt_dscnt 0x800
	v_mul_f64_e32 v[153:154], v[6:7], v[24:25]
	v_mul_f64_e32 v[24:25], v[8:9], v[24:25]
	v_fma_f64 v[157:158], v[4:5], v[18:19], v[157:158]
	v_fma_f64 v[161:162], v[2:3], v[18:19], -v[20:21]
	ds_load_b128 v[2:5], v1 offset:1424
	scratch_load_b128 v[18:21], off, off offset:784
	v_add_f64_e32 v[149:150], v[149:150], v[159:160]
	v_add_f64_e32 v[151:152], v[151:152], v[155:156]
	v_fma_f64 v[153:154], v[8:9], v[22:23], v[153:154]
	v_fma_f64 v[22:23], v[6:7], v[22:23], -v[24:25]
	ds_load_b128 v[6:9], v1 offset:1440
	s_wait_loadcnt_dscnt 0x801
	v_mul_f64_e32 v[155:156], v[2:3], v[28:29]
	v_mul_f64_e32 v[28:29], v[4:5], v[28:29]
	v_add_f64_e32 v[24:25], v[149:150], v[161:162]
	v_add_f64_e32 v[149:150], v[151:152], v[157:158]
	s_wait_loadcnt_dscnt 0x700
	v_mul_f64_e32 v[151:152], v[6:7], v[32:33]
	v_mul_f64_e32 v[32:33], v[8:9], v[32:33]
	v_fma_f64 v[155:156], v[4:5], v[26:27], v[155:156]
	v_fma_f64 v[26:27], v[2:3], v[26:27], -v[28:29]
	ds_load_b128 v[2:5], v1 offset:1456
	v_add_f64_e32 v[22:23], v[24:25], v[22:23]
	v_add_f64_e32 v[24:25], v[149:150], v[153:154]
	v_fma_f64 v[149:150], v[8:9], v[30:31], v[151:152]
	v_fma_f64 v[30:31], v[6:7], v[30:31], -v[32:33]
	ds_load_b128 v[6:9], v1 offset:1472
	s_wait_loadcnt_dscnt 0x500
	v_mul_f64_e32 v[151:152], v[6:7], v[147:148]
	v_mul_f64_e32 v[147:148], v[8:9], v[147:148]
	v_add_f64_e32 v[26:27], v[22:23], v[26:27]
	v_add_f64_e32 v[32:33], v[24:25], v[155:156]
	scratch_load_b128 v[22:25], off, off offset:224
	v_mul_f64_e32 v[28:29], v[2:3], v[36:37]
	v_mul_f64_e32 v[36:37], v[4:5], v[36:37]
	v_add_f64_e32 v[26:27], v[26:27], v[30:31]
	v_add_f64_e32 v[30:31], v[32:33], v[149:150]
	s_delay_alu instid0(VALU_DEP_4) | instskip(NEXT) | instid1(VALU_DEP_4)
	v_fma_f64 v[28:29], v[4:5], v[34:35], v[28:29]
	v_fma_f64 v[34:35], v[2:3], v[34:35], -v[36:37]
	ds_load_b128 v[2:5], v1 offset:1488
	s_wait_loadcnt_dscnt 0x500
	v_mul_f64_e32 v[32:33], v[2:3], v[40:41]
	v_mul_f64_e32 v[36:37], v[4:5], v[40:41]
	v_fma_f64 v[40:41], v[8:9], v[145:146], v[151:152]
	v_fma_f64 v[145:146], v[6:7], v[145:146], -v[147:148]
	ds_load_b128 v[6:9], v1 offset:1504
	v_add_f64_e32 v[28:29], v[30:31], v[28:29]
	v_add_f64_e32 v[26:27], v[26:27], v[34:35]
	v_fma_f64 v[32:33], v[4:5], v[38:39], v[32:33]
	v_fma_f64 v[36:37], v[2:3], v[38:39], -v[36:37]
	ds_load_b128 v[2:5], v1 offset:1520
	s_wait_loadcnt_dscnt 0x401
	v_mul_f64_e32 v[30:31], v[6:7], v[143:144]
	v_mul_f64_e32 v[34:35], v[8:9], v[143:144]
	v_add_f64_e32 v[28:29], v[28:29], v[40:41]
	v_add_f64_e32 v[26:27], v[26:27], v[145:146]
	s_wait_loadcnt_dscnt 0x300
	v_mul_f64_e32 v[38:39], v[2:3], v[12:13]
	v_mul_f64_e32 v[12:13], v[4:5], v[12:13]
	v_fma_f64 v[30:31], v[8:9], v[141:142], v[30:31]
	v_fma_f64 v[34:35], v[6:7], v[141:142], -v[34:35]
	ds_load_b128 v[6:9], v1 offset:1536
	v_add_f64_e32 v[28:29], v[28:29], v[32:33]
	v_add_f64_e32 v[26:27], v[26:27], v[36:37]
	v_fma_f64 v[36:37], v[4:5], v[10:11], v[38:39]
	v_fma_f64 v[10:11], v[2:3], v[10:11], -v[12:13]
	ds_load_b128 v[2:5], v1 offset:1552
	s_wait_loadcnt_dscnt 0x201
	v_mul_f64_e32 v[32:33], v[6:7], v[16:17]
	v_mul_f64_e32 v[16:17], v[8:9], v[16:17]
	v_add_f64_e32 v[12:13], v[26:27], v[34:35]
	v_add_f64_e32 v[26:27], v[28:29], v[30:31]
	s_wait_loadcnt_dscnt 0x100
	v_mul_f64_e32 v[28:29], v[2:3], v[20:21]
	v_mul_f64_e32 v[20:21], v[4:5], v[20:21]
	v_fma_f64 v[8:9], v[8:9], v[14:15], v[32:33]
	v_fma_f64 v[6:7], v[6:7], v[14:15], -v[16:17]
	v_add_f64_e32 v[10:11], v[12:13], v[10:11]
	v_add_f64_e32 v[12:13], v[26:27], v[36:37]
	v_fma_f64 v[4:5], v[4:5], v[18:19], v[28:29]
	v_fma_f64 v[2:3], v[2:3], v[18:19], -v[20:21]
	s_delay_alu instid0(VALU_DEP_4) | instskip(NEXT) | instid1(VALU_DEP_4)
	v_add_f64_e32 v[6:7], v[10:11], v[6:7]
	v_add_f64_e32 v[8:9], v[12:13], v[8:9]
	s_delay_alu instid0(VALU_DEP_2) | instskip(NEXT) | instid1(VALU_DEP_2)
	v_add_f64_e32 v[2:3], v[6:7], v[2:3]
	v_add_f64_e32 v[4:5], v[8:9], v[4:5]
	s_wait_loadcnt 0x0
	s_delay_alu instid0(VALU_DEP_2) | instskip(NEXT) | instid1(VALU_DEP_2)
	v_add_f64_e64 v[2:3], v[22:23], -v[2:3]
	v_add_f64_e64 v[4:5], v[24:25], -v[4:5]
	scratch_store_b128 off, v[2:5], off offset:224
	v_cmpx_lt_u32_e32 12, v0
	s_cbranch_execz .LBB112_283
; %bb.282:
	scratch_load_b128 v[5:8], off, s50
	v_dual_mov_b32 v2, v1 :: v_dual_mov_b32 v3, v1
	v_mov_b32_e32 v4, v1
	scratch_store_b128 off, v[1:4], off offset:208
	s_wait_loadcnt 0x0
	ds_store_b128 v140, v[5:8]
.LBB112_283:
	s_wait_alu 0xfffe
	s_or_b32 exec_lo, exec_lo, s0
	s_wait_storecnt_dscnt 0x0
	s_barrier_signal -1
	s_barrier_wait -1
	global_inv scope:SCOPE_SE
	s_clause 0x7
	scratch_load_b128 v[2:5], off, off offset:224
	scratch_load_b128 v[6:9], off, off offset:240
	;; [unrolled: 1-line block ×8, first 2 shown]
	ds_load_b128 v[38:41], v1 offset:992
	ds_load_b128 v[141:144], v1 offset:1008
	s_clause 0x1
	scratch_load_b128 v[34:37], off, off offset:352
	scratch_load_b128 v[145:148], off, off offset:368
	s_mov_b32 s0, exec_lo
	s_wait_loadcnt_dscnt 0x901
	v_mul_f64_e32 v[149:150], v[40:41], v[4:5]
	v_mul_f64_e32 v[4:5], v[38:39], v[4:5]
	s_wait_loadcnt_dscnt 0x800
	v_mul_f64_e32 v[151:152], v[141:142], v[8:9]
	v_mul_f64_e32 v[8:9], v[143:144], v[8:9]
	s_delay_alu instid0(VALU_DEP_4) | instskip(NEXT) | instid1(VALU_DEP_4)
	v_fma_f64 v[149:150], v[38:39], v[2:3], -v[149:150]
	v_fma_f64 v[153:154], v[40:41], v[2:3], v[4:5]
	ds_load_b128 v[2:5], v1 offset:1024
	scratch_load_b128 v[38:41], off, off offset:384
	v_fma_f64 v[151:152], v[143:144], v[6:7], v[151:152]
	v_fma_f64 v[157:158], v[141:142], v[6:7], -v[8:9]
	ds_load_b128 v[6:9], v1 offset:1040
	scratch_load_b128 v[141:144], off, off offset:400
	s_wait_loadcnt_dscnt 0x901
	v_mul_f64_e32 v[155:156], v[2:3], v[12:13]
	v_mul_f64_e32 v[12:13], v[4:5], v[12:13]
	s_wait_loadcnt_dscnt 0x800
	v_mul_f64_e32 v[159:160], v[6:7], v[16:17]
	v_mul_f64_e32 v[16:17], v[8:9], v[16:17]
	v_add_f64_e32 v[149:150], 0, v[149:150]
	v_add_f64_e32 v[153:154], 0, v[153:154]
	v_fma_f64 v[155:156], v[4:5], v[10:11], v[155:156]
	v_fma_f64 v[161:162], v[2:3], v[10:11], -v[12:13]
	ds_load_b128 v[2:5], v1 offset:1056
	scratch_load_b128 v[10:13], off, off offset:416
	v_add_f64_e32 v[149:150], v[149:150], v[157:158]
	v_add_f64_e32 v[151:152], v[153:154], v[151:152]
	v_fma_f64 v[157:158], v[8:9], v[14:15], v[159:160]
	v_fma_f64 v[159:160], v[6:7], v[14:15], -v[16:17]
	ds_load_b128 v[6:9], v1 offset:1072
	scratch_load_b128 v[14:17], off, off offset:432
	s_wait_loadcnt_dscnt 0x901
	v_mul_f64_e32 v[153:154], v[2:3], v[20:21]
	v_mul_f64_e32 v[20:21], v[4:5], v[20:21]
	v_add_f64_e32 v[149:150], v[149:150], v[161:162]
	v_add_f64_e32 v[151:152], v[151:152], v[155:156]
	s_wait_loadcnt_dscnt 0x800
	v_mul_f64_e32 v[155:156], v[6:7], v[24:25]
	v_mul_f64_e32 v[24:25], v[8:9], v[24:25]
	v_fma_f64 v[153:154], v[4:5], v[18:19], v[153:154]
	v_fma_f64 v[161:162], v[2:3], v[18:19], -v[20:21]
	ds_load_b128 v[2:5], v1 offset:1088
	scratch_load_b128 v[18:21], off, off offset:448
	v_add_f64_e32 v[149:150], v[149:150], v[159:160]
	v_add_f64_e32 v[151:152], v[151:152], v[157:158]
	v_fma_f64 v[155:156], v[8:9], v[22:23], v[155:156]
	v_fma_f64 v[159:160], v[6:7], v[22:23], -v[24:25]
	ds_load_b128 v[6:9], v1 offset:1104
	s_wait_loadcnt_dscnt 0x801
	v_mul_f64_e32 v[157:158], v[2:3], v[28:29]
	v_mul_f64_e32 v[28:29], v[4:5], v[28:29]
	scratch_load_b128 v[22:25], off, off offset:464
	v_add_f64_e32 v[149:150], v[149:150], v[161:162]
	v_add_f64_e32 v[151:152], v[151:152], v[153:154]
	s_wait_loadcnt_dscnt 0x800
	v_mul_f64_e32 v[153:154], v[6:7], v[32:33]
	v_mul_f64_e32 v[32:33], v[8:9], v[32:33]
	v_fma_f64 v[157:158], v[4:5], v[26:27], v[157:158]
	v_fma_f64 v[161:162], v[2:3], v[26:27], -v[28:29]
	ds_load_b128 v[2:5], v1 offset:1120
	scratch_load_b128 v[26:29], off, off offset:480
	v_add_f64_e32 v[149:150], v[149:150], v[159:160]
	v_add_f64_e32 v[151:152], v[151:152], v[155:156]
	v_fma_f64 v[153:154], v[8:9], v[30:31], v[153:154]
	v_fma_f64 v[159:160], v[6:7], v[30:31], -v[32:33]
	ds_load_b128 v[6:9], v1 offset:1136
	s_wait_loadcnt_dscnt 0x801
	v_mul_f64_e32 v[155:156], v[2:3], v[36:37]
	v_mul_f64_e32 v[36:37], v[4:5], v[36:37]
	scratch_load_b128 v[30:33], off, off offset:496
	v_add_f64_e32 v[149:150], v[149:150], v[161:162]
	v_add_f64_e32 v[151:152], v[151:152], v[157:158]
	s_wait_loadcnt_dscnt 0x800
	v_mul_f64_e32 v[157:158], v[6:7], v[147:148]
	v_mul_f64_e32 v[147:148], v[8:9], v[147:148]
	v_fma_f64 v[155:156], v[4:5], v[34:35], v[155:156]
	v_fma_f64 v[161:162], v[2:3], v[34:35], -v[36:37]
	ds_load_b128 v[2:5], v1 offset:1152
	scratch_load_b128 v[34:37], off, off offset:512
	v_add_f64_e32 v[149:150], v[149:150], v[159:160]
	v_add_f64_e32 v[151:152], v[151:152], v[153:154]
	v_fma_f64 v[157:158], v[8:9], v[145:146], v[157:158]
	v_fma_f64 v[159:160], v[6:7], v[145:146], -v[147:148]
	ds_load_b128 v[6:9], v1 offset:1168
	scratch_load_b128 v[145:148], off, off offset:528
	s_wait_loadcnt_dscnt 0x901
	v_mul_f64_e32 v[153:154], v[2:3], v[40:41]
	v_mul_f64_e32 v[40:41], v[4:5], v[40:41]
	v_add_f64_e32 v[149:150], v[149:150], v[161:162]
	v_add_f64_e32 v[151:152], v[151:152], v[155:156]
	s_wait_loadcnt_dscnt 0x800
	v_mul_f64_e32 v[155:156], v[6:7], v[143:144]
	v_mul_f64_e32 v[143:144], v[8:9], v[143:144]
	v_fma_f64 v[153:154], v[4:5], v[38:39], v[153:154]
	v_fma_f64 v[161:162], v[2:3], v[38:39], -v[40:41]
	ds_load_b128 v[2:5], v1 offset:1184
	scratch_load_b128 v[38:41], off, off offset:544
	v_add_f64_e32 v[149:150], v[149:150], v[159:160]
	v_add_f64_e32 v[151:152], v[151:152], v[157:158]
	v_fma_f64 v[155:156], v[8:9], v[141:142], v[155:156]
	v_fma_f64 v[159:160], v[6:7], v[141:142], -v[143:144]
	ds_load_b128 v[6:9], v1 offset:1200
	s_wait_loadcnt_dscnt 0x801
	v_mul_f64_e32 v[157:158], v[2:3], v[12:13]
	v_mul_f64_e32 v[12:13], v[4:5], v[12:13]
	scratch_load_b128 v[141:144], off, off offset:560
	v_add_f64_e32 v[149:150], v[149:150], v[161:162]
	v_add_f64_e32 v[151:152], v[151:152], v[153:154]
	s_wait_loadcnt_dscnt 0x800
	v_mul_f64_e32 v[153:154], v[6:7], v[16:17]
	v_mul_f64_e32 v[16:17], v[8:9], v[16:17]
	v_fma_f64 v[157:158], v[4:5], v[10:11], v[157:158]
	v_fma_f64 v[161:162], v[2:3], v[10:11], -v[12:13]
	ds_load_b128 v[2:5], v1 offset:1216
	scratch_load_b128 v[10:13], off, off offset:576
	v_add_f64_e32 v[149:150], v[149:150], v[159:160]
	v_add_f64_e32 v[151:152], v[151:152], v[155:156]
	v_fma_f64 v[153:154], v[8:9], v[14:15], v[153:154]
	v_fma_f64 v[159:160], v[6:7], v[14:15], -v[16:17]
	ds_load_b128 v[6:9], v1 offset:1232
	s_wait_loadcnt_dscnt 0x801
	v_mul_f64_e32 v[155:156], v[2:3], v[20:21]
	v_mul_f64_e32 v[20:21], v[4:5], v[20:21]
	scratch_load_b128 v[14:17], off, off offset:592
	;; [unrolled: 18-line block ×8, first 2 shown]
	v_add_f64_e32 v[149:150], v[149:150], v[161:162]
	v_add_f64_e32 v[151:152], v[151:152], v[157:158]
	s_wait_loadcnt_dscnt 0x800
	v_mul_f64_e32 v[157:158], v[6:7], v[32:33]
	v_mul_f64_e32 v[32:33], v[8:9], v[32:33]
	v_fma_f64 v[155:156], v[4:5], v[26:27], v[155:156]
	v_fma_f64 v[26:27], v[2:3], v[26:27], -v[28:29]
	ds_load_b128 v[2:5], v1 offset:1440
	v_add_f64_e32 v[28:29], v[149:150], v[159:160]
	v_add_f64_e32 v[149:150], v[151:152], v[153:154]
	v_fma_f64 v[153:154], v[8:9], v[30:31], v[157:158]
	v_fma_f64 v[30:31], v[6:7], v[30:31], -v[32:33]
	ds_load_b128 v[6:9], v1 offset:1456
	s_wait_loadcnt_dscnt 0x701
	v_mul_f64_e32 v[151:152], v[2:3], v[36:37]
	v_mul_f64_e32 v[36:37], v[4:5], v[36:37]
	v_add_f64_e32 v[26:27], v[28:29], v[26:27]
	v_add_f64_e32 v[28:29], v[149:150], v[155:156]
	s_delay_alu instid0(VALU_DEP_4) | instskip(NEXT) | instid1(VALU_DEP_4)
	v_fma_f64 v[149:150], v[4:5], v[34:35], v[151:152]
	v_fma_f64 v[34:35], v[2:3], v[34:35], -v[36:37]
	ds_load_b128 v[2:5], v1 offset:1472
	v_add_f64_e32 v[30:31], v[26:27], v[30:31]
	v_add_f64_e32 v[36:37], v[28:29], v[153:154]
	scratch_load_b128 v[26:29], off, off offset:208
	s_wait_loadcnt_dscnt 0x701
	v_mul_f64_e32 v[32:33], v[6:7], v[147:148]
	v_mul_f64_e32 v[147:148], v[8:9], v[147:148]
	v_add_f64_e32 v[30:31], v[30:31], v[34:35]
	v_add_f64_e32 v[34:35], v[36:37], v[149:150]
	s_delay_alu instid0(VALU_DEP_4) | instskip(NEXT) | instid1(VALU_DEP_4)
	v_fma_f64 v[32:33], v[8:9], v[145:146], v[32:33]
	v_fma_f64 v[145:146], v[6:7], v[145:146], -v[147:148]
	ds_load_b128 v[6:9], v1 offset:1488
	s_wait_loadcnt_dscnt 0x601
	v_mul_f64_e32 v[151:152], v[2:3], v[40:41]
	v_mul_f64_e32 v[40:41], v[4:5], v[40:41]
	s_wait_loadcnt_dscnt 0x500
	v_mul_f64_e32 v[36:37], v[6:7], v[143:144]
	v_mul_f64_e32 v[143:144], v[8:9], v[143:144]
	v_add_f64_e32 v[32:33], v[34:35], v[32:33]
	v_add_f64_e32 v[30:31], v[30:31], v[145:146]
	v_fma_f64 v[147:148], v[4:5], v[38:39], v[151:152]
	v_fma_f64 v[38:39], v[2:3], v[38:39], -v[40:41]
	ds_load_b128 v[2:5], v1 offset:1504
	v_fma_f64 v[36:37], v[8:9], v[141:142], v[36:37]
	v_fma_f64 v[40:41], v[6:7], v[141:142], -v[143:144]
	ds_load_b128 v[6:9], v1 offset:1520
	s_wait_loadcnt_dscnt 0x401
	v_mul_f64_e32 v[34:35], v[2:3], v[12:13]
	v_mul_f64_e32 v[12:13], v[4:5], v[12:13]
	v_add_f64_e32 v[32:33], v[32:33], v[147:148]
	v_add_f64_e32 v[30:31], v[30:31], v[38:39]
	s_wait_loadcnt_dscnt 0x300
	v_mul_f64_e32 v[38:39], v[6:7], v[16:17]
	v_mul_f64_e32 v[16:17], v[8:9], v[16:17]
	v_fma_f64 v[34:35], v[4:5], v[10:11], v[34:35]
	v_fma_f64 v[10:11], v[2:3], v[10:11], -v[12:13]
	ds_load_b128 v[2:5], v1 offset:1536
	v_add_f64_e32 v[12:13], v[30:31], v[40:41]
	v_add_f64_e32 v[30:31], v[32:33], v[36:37]
	v_fma_f64 v[36:37], v[8:9], v[14:15], v[38:39]
	v_fma_f64 v[14:15], v[6:7], v[14:15], -v[16:17]
	ds_load_b128 v[6:9], v1 offset:1552
	s_wait_loadcnt_dscnt 0x201
	v_mul_f64_e32 v[32:33], v[2:3], v[20:21]
	v_mul_f64_e32 v[20:21], v[4:5], v[20:21]
	s_wait_loadcnt_dscnt 0x100
	v_mul_f64_e32 v[16:17], v[6:7], v[24:25]
	v_mul_f64_e32 v[24:25], v[8:9], v[24:25]
	v_add_f64_e32 v[10:11], v[12:13], v[10:11]
	v_add_f64_e32 v[12:13], v[30:31], v[34:35]
	v_fma_f64 v[4:5], v[4:5], v[18:19], v[32:33]
	v_fma_f64 v[1:2], v[2:3], v[18:19], -v[20:21]
	v_fma_f64 v[8:9], v[8:9], v[22:23], v[16:17]
	v_fma_f64 v[6:7], v[6:7], v[22:23], -v[24:25]
	v_add_f64_e32 v[10:11], v[10:11], v[14:15]
	v_add_f64_e32 v[12:13], v[12:13], v[36:37]
	s_delay_alu instid0(VALU_DEP_2) | instskip(NEXT) | instid1(VALU_DEP_2)
	v_add_f64_e32 v[1:2], v[10:11], v[1:2]
	v_add_f64_e32 v[3:4], v[12:13], v[4:5]
	s_delay_alu instid0(VALU_DEP_2) | instskip(NEXT) | instid1(VALU_DEP_2)
	v_add_f64_e32 v[1:2], v[1:2], v[6:7]
	v_add_f64_e32 v[3:4], v[3:4], v[8:9]
	s_wait_loadcnt 0x0
	s_delay_alu instid0(VALU_DEP_2) | instskip(NEXT) | instid1(VALU_DEP_2)
	v_add_f64_e64 v[1:2], v[26:27], -v[1:2]
	v_add_f64_e64 v[3:4], v[28:29], -v[3:4]
	scratch_store_b128 off, v[1:4], off offset:208
	v_cmpx_lt_u32_e32 11, v0
	s_cbranch_execz .LBB112_285
; %bb.284:
	scratch_load_b128 v[1:4], off, s51
	v_mov_b32_e32 v5, 0
	s_delay_alu instid0(VALU_DEP_1)
	v_dual_mov_b32 v6, v5 :: v_dual_mov_b32 v7, v5
	v_mov_b32_e32 v8, v5
	scratch_store_b128 off, v[5:8], off offset:192
	s_wait_loadcnt 0x0
	ds_store_b128 v140, v[1:4]
.LBB112_285:
	s_wait_alu 0xfffe
	s_or_b32 exec_lo, exec_lo, s0
	s_wait_storecnt_dscnt 0x0
	s_barrier_signal -1
	s_barrier_wait -1
	global_inv scope:SCOPE_SE
	s_clause 0x7
	scratch_load_b128 v[2:5], off, off offset:208
	scratch_load_b128 v[6:9], off, off offset:224
	;; [unrolled: 1-line block ×8, first 2 shown]
	v_mov_b32_e32 v1, 0
	s_clause 0x1
	scratch_load_b128 v[34:37], off, off offset:336
	scratch_load_b128 v[145:148], off, off offset:352
	s_mov_b32 s0, exec_lo
	ds_load_b128 v[38:41], v1 offset:976
	ds_load_b128 v[141:144], v1 offset:992
	s_wait_loadcnt_dscnt 0x901
	v_mul_f64_e32 v[149:150], v[40:41], v[4:5]
	v_mul_f64_e32 v[4:5], v[38:39], v[4:5]
	s_wait_loadcnt_dscnt 0x800
	v_mul_f64_e32 v[151:152], v[141:142], v[8:9]
	v_mul_f64_e32 v[8:9], v[143:144], v[8:9]
	s_delay_alu instid0(VALU_DEP_4) | instskip(NEXT) | instid1(VALU_DEP_4)
	v_fma_f64 v[149:150], v[38:39], v[2:3], -v[149:150]
	v_fma_f64 v[153:154], v[40:41], v[2:3], v[4:5]
	ds_load_b128 v[2:5], v1 offset:1008
	scratch_load_b128 v[38:41], off, off offset:368
	v_fma_f64 v[151:152], v[143:144], v[6:7], v[151:152]
	v_fma_f64 v[157:158], v[141:142], v[6:7], -v[8:9]
	ds_load_b128 v[6:9], v1 offset:1024
	scratch_load_b128 v[141:144], off, off offset:384
	s_wait_loadcnt_dscnt 0x901
	v_mul_f64_e32 v[155:156], v[2:3], v[12:13]
	v_mul_f64_e32 v[12:13], v[4:5], v[12:13]
	s_wait_loadcnt_dscnt 0x800
	v_mul_f64_e32 v[159:160], v[6:7], v[16:17]
	v_mul_f64_e32 v[16:17], v[8:9], v[16:17]
	v_add_f64_e32 v[149:150], 0, v[149:150]
	v_add_f64_e32 v[153:154], 0, v[153:154]
	v_fma_f64 v[155:156], v[4:5], v[10:11], v[155:156]
	v_fma_f64 v[161:162], v[2:3], v[10:11], -v[12:13]
	ds_load_b128 v[2:5], v1 offset:1040
	scratch_load_b128 v[10:13], off, off offset:400
	v_add_f64_e32 v[149:150], v[149:150], v[157:158]
	v_add_f64_e32 v[151:152], v[153:154], v[151:152]
	v_fma_f64 v[157:158], v[8:9], v[14:15], v[159:160]
	v_fma_f64 v[159:160], v[6:7], v[14:15], -v[16:17]
	ds_load_b128 v[6:9], v1 offset:1056
	scratch_load_b128 v[14:17], off, off offset:416
	s_wait_loadcnt_dscnt 0x901
	v_mul_f64_e32 v[153:154], v[2:3], v[20:21]
	v_mul_f64_e32 v[20:21], v[4:5], v[20:21]
	v_add_f64_e32 v[149:150], v[149:150], v[161:162]
	v_add_f64_e32 v[151:152], v[151:152], v[155:156]
	s_wait_loadcnt_dscnt 0x800
	v_mul_f64_e32 v[155:156], v[6:7], v[24:25]
	v_mul_f64_e32 v[24:25], v[8:9], v[24:25]
	v_fma_f64 v[153:154], v[4:5], v[18:19], v[153:154]
	v_fma_f64 v[161:162], v[2:3], v[18:19], -v[20:21]
	ds_load_b128 v[2:5], v1 offset:1072
	scratch_load_b128 v[18:21], off, off offset:432
	v_add_f64_e32 v[149:150], v[149:150], v[159:160]
	v_add_f64_e32 v[151:152], v[151:152], v[157:158]
	v_fma_f64 v[155:156], v[8:9], v[22:23], v[155:156]
	v_fma_f64 v[159:160], v[6:7], v[22:23], -v[24:25]
	ds_load_b128 v[6:9], v1 offset:1088
	s_wait_loadcnt_dscnt 0x801
	v_mul_f64_e32 v[157:158], v[2:3], v[28:29]
	v_mul_f64_e32 v[28:29], v[4:5], v[28:29]
	scratch_load_b128 v[22:25], off, off offset:448
	v_add_f64_e32 v[149:150], v[149:150], v[161:162]
	v_add_f64_e32 v[151:152], v[151:152], v[153:154]
	s_wait_loadcnt_dscnt 0x800
	v_mul_f64_e32 v[153:154], v[6:7], v[32:33]
	v_mul_f64_e32 v[32:33], v[8:9], v[32:33]
	v_fma_f64 v[157:158], v[4:5], v[26:27], v[157:158]
	v_fma_f64 v[161:162], v[2:3], v[26:27], -v[28:29]
	ds_load_b128 v[2:5], v1 offset:1104
	scratch_load_b128 v[26:29], off, off offset:464
	v_add_f64_e32 v[149:150], v[149:150], v[159:160]
	v_add_f64_e32 v[151:152], v[151:152], v[155:156]
	v_fma_f64 v[153:154], v[8:9], v[30:31], v[153:154]
	v_fma_f64 v[159:160], v[6:7], v[30:31], -v[32:33]
	ds_load_b128 v[6:9], v1 offset:1120
	s_wait_loadcnt_dscnt 0x801
	v_mul_f64_e32 v[155:156], v[2:3], v[36:37]
	v_mul_f64_e32 v[36:37], v[4:5], v[36:37]
	scratch_load_b128 v[30:33], off, off offset:480
	v_add_f64_e32 v[149:150], v[149:150], v[161:162]
	v_add_f64_e32 v[151:152], v[151:152], v[157:158]
	s_wait_loadcnt_dscnt 0x800
	v_mul_f64_e32 v[157:158], v[6:7], v[147:148]
	v_mul_f64_e32 v[147:148], v[8:9], v[147:148]
	v_fma_f64 v[155:156], v[4:5], v[34:35], v[155:156]
	v_fma_f64 v[161:162], v[2:3], v[34:35], -v[36:37]
	ds_load_b128 v[2:5], v1 offset:1136
	scratch_load_b128 v[34:37], off, off offset:496
	v_add_f64_e32 v[149:150], v[149:150], v[159:160]
	v_add_f64_e32 v[151:152], v[151:152], v[153:154]
	v_fma_f64 v[157:158], v[8:9], v[145:146], v[157:158]
	v_fma_f64 v[159:160], v[6:7], v[145:146], -v[147:148]
	ds_load_b128 v[6:9], v1 offset:1152
	scratch_load_b128 v[145:148], off, off offset:512
	s_wait_loadcnt_dscnt 0x901
	v_mul_f64_e32 v[153:154], v[2:3], v[40:41]
	v_mul_f64_e32 v[40:41], v[4:5], v[40:41]
	v_add_f64_e32 v[149:150], v[149:150], v[161:162]
	v_add_f64_e32 v[151:152], v[151:152], v[155:156]
	s_wait_loadcnt_dscnt 0x800
	v_mul_f64_e32 v[155:156], v[6:7], v[143:144]
	v_mul_f64_e32 v[143:144], v[8:9], v[143:144]
	v_fma_f64 v[153:154], v[4:5], v[38:39], v[153:154]
	v_fma_f64 v[161:162], v[2:3], v[38:39], -v[40:41]
	ds_load_b128 v[2:5], v1 offset:1168
	scratch_load_b128 v[38:41], off, off offset:528
	v_add_f64_e32 v[149:150], v[149:150], v[159:160]
	v_add_f64_e32 v[151:152], v[151:152], v[157:158]
	v_fma_f64 v[155:156], v[8:9], v[141:142], v[155:156]
	v_fma_f64 v[159:160], v[6:7], v[141:142], -v[143:144]
	ds_load_b128 v[6:9], v1 offset:1184
	s_wait_loadcnt_dscnt 0x801
	v_mul_f64_e32 v[157:158], v[2:3], v[12:13]
	v_mul_f64_e32 v[12:13], v[4:5], v[12:13]
	scratch_load_b128 v[141:144], off, off offset:544
	v_add_f64_e32 v[149:150], v[149:150], v[161:162]
	v_add_f64_e32 v[151:152], v[151:152], v[153:154]
	s_wait_loadcnt_dscnt 0x800
	v_mul_f64_e32 v[153:154], v[6:7], v[16:17]
	v_mul_f64_e32 v[16:17], v[8:9], v[16:17]
	v_fma_f64 v[157:158], v[4:5], v[10:11], v[157:158]
	v_fma_f64 v[161:162], v[2:3], v[10:11], -v[12:13]
	ds_load_b128 v[2:5], v1 offset:1200
	scratch_load_b128 v[10:13], off, off offset:560
	v_add_f64_e32 v[149:150], v[149:150], v[159:160]
	v_add_f64_e32 v[151:152], v[151:152], v[155:156]
	v_fma_f64 v[153:154], v[8:9], v[14:15], v[153:154]
	v_fma_f64 v[159:160], v[6:7], v[14:15], -v[16:17]
	ds_load_b128 v[6:9], v1 offset:1216
	s_wait_loadcnt_dscnt 0x801
	v_mul_f64_e32 v[155:156], v[2:3], v[20:21]
	v_mul_f64_e32 v[20:21], v[4:5], v[20:21]
	scratch_load_b128 v[14:17], off, off offset:576
	;; [unrolled: 18-line block ×8, first 2 shown]
	v_add_f64_e32 v[149:150], v[149:150], v[161:162]
	v_add_f64_e32 v[151:152], v[151:152], v[157:158]
	s_wait_loadcnt_dscnt 0x800
	v_mul_f64_e32 v[157:158], v[6:7], v[32:33]
	v_mul_f64_e32 v[32:33], v[8:9], v[32:33]
	v_fma_f64 v[155:156], v[4:5], v[26:27], v[155:156]
	v_fma_f64 v[161:162], v[2:3], v[26:27], -v[28:29]
	ds_load_b128 v[2:5], v1 offset:1424
	scratch_load_b128 v[26:29], off, off offset:784
	v_add_f64_e32 v[149:150], v[149:150], v[159:160]
	v_add_f64_e32 v[151:152], v[151:152], v[153:154]
	v_fma_f64 v[157:158], v[8:9], v[30:31], v[157:158]
	v_fma_f64 v[30:31], v[6:7], v[30:31], -v[32:33]
	ds_load_b128 v[6:9], v1 offset:1440
	s_wait_loadcnt_dscnt 0x801
	v_mul_f64_e32 v[153:154], v[2:3], v[36:37]
	v_mul_f64_e32 v[36:37], v[4:5], v[36:37]
	v_add_f64_e32 v[32:33], v[149:150], v[161:162]
	v_add_f64_e32 v[149:150], v[151:152], v[155:156]
	s_wait_loadcnt_dscnt 0x700
	v_mul_f64_e32 v[151:152], v[6:7], v[147:148]
	v_mul_f64_e32 v[147:148], v[8:9], v[147:148]
	v_fma_f64 v[153:154], v[4:5], v[34:35], v[153:154]
	v_fma_f64 v[34:35], v[2:3], v[34:35], -v[36:37]
	ds_load_b128 v[2:5], v1 offset:1456
	v_add_f64_e32 v[30:31], v[32:33], v[30:31]
	v_add_f64_e32 v[32:33], v[149:150], v[157:158]
	v_fma_f64 v[149:150], v[8:9], v[145:146], v[151:152]
	v_fma_f64 v[145:146], v[6:7], v[145:146], -v[147:148]
	ds_load_b128 v[6:9], v1 offset:1472
	s_wait_loadcnt_dscnt 0x500
	v_mul_f64_e32 v[151:152], v[6:7], v[143:144]
	v_mul_f64_e32 v[143:144], v[8:9], v[143:144]
	v_add_f64_e32 v[34:35], v[30:31], v[34:35]
	v_add_f64_e32 v[147:148], v[32:33], v[153:154]
	scratch_load_b128 v[30:33], off, off offset:192
	v_mul_f64_e32 v[36:37], v[2:3], v[40:41]
	v_mul_f64_e32 v[40:41], v[4:5], v[40:41]
	v_add_f64_e32 v[34:35], v[34:35], v[145:146]
	s_delay_alu instid0(VALU_DEP_3) | instskip(NEXT) | instid1(VALU_DEP_3)
	v_fma_f64 v[36:37], v[4:5], v[38:39], v[36:37]
	v_fma_f64 v[38:39], v[2:3], v[38:39], -v[40:41]
	v_add_f64_e32 v[40:41], v[147:148], v[149:150]
	ds_load_b128 v[2:5], v1 offset:1488
	v_fma_f64 v[147:148], v[8:9], v[141:142], v[151:152]
	v_fma_f64 v[141:142], v[6:7], v[141:142], -v[143:144]
	ds_load_b128 v[6:9], v1 offset:1504
	s_wait_loadcnt_dscnt 0x501
	v_mul_f64_e32 v[145:146], v[2:3], v[12:13]
	v_mul_f64_e32 v[12:13], v[4:5], v[12:13]
	v_add_f64_e32 v[34:35], v[34:35], v[38:39]
	v_add_f64_e32 v[36:37], v[40:41], v[36:37]
	s_wait_loadcnt_dscnt 0x400
	v_mul_f64_e32 v[38:39], v[6:7], v[16:17]
	v_mul_f64_e32 v[16:17], v[8:9], v[16:17]
	v_fma_f64 v[40:41], v[4:5], v[10:11], v[145:146]
	v_fma_f64 v[10:11], v[2:3], v[10:11], -v[12:13]
	ds_load_b128 v[2:5], v1 offset:1520
	v_add_f64_e32 v[12:13], v[34:35], v[141:142]
	v_add_f64_e32 v[34:35], v[36:37], v[147:148]
	v_fma_f64 v[38:39], v[8:9], v[14:15], v[38:39]
	v_fma_f64 v[14:15], v[6:7], v[14:15], -v[16:17]
	ds_load_b128 v[6:9], v1 offset:1536
	s_wait_loadcnt_dscnt 0x301
	v_mul_f64_e32 v[36:37], v[2:3], v[20:21]
	v_mul_f64_e32 v[20:21], v[4:5], v[20:21]
	s_wait_loadcnt_dscnt 0x200
	v_mul_f64_e32 v[16:17], v[6:7], v[24:25]
	v_mul_f64_e32 v[24:25], v[8:9], v[24:25]
	v_add_f64_e32 v[10:11], v[12:13], v[10:11]
	v_add_f64_e32 v[12:13], v[34:35], v[40:41]
	v_fma_f64 v[34:35], v[4:5], v[18:19], v[36:37]
	v_fma_f64 v[18:19], v[2:3], v[18:19], -v[20:21]
	ds_load_b128 v[2:5], v1 offset:1552
	v_fma_f64 v[8:9], v[8:9], v[22:23], v[16:17]
	v_fma_f64 v[6:7], v[6:7], v[22:23], -v[24:25]
	s_wait_loadcnt_dscnt 0x100
	v_mul_f64_e32 v[20:21], v[4:5], v[28:29]
	v_add_f64_e32 v[10:11], v[10:11], v[14:15]
	v_add_f64_e32 v[12:13], v[12:13], v[38:39]
	v_mul_f64_e32 v[14:15], v[2:3], v[28:29]
	s_delay_alu instid0(VALU_DEP_4) | instskip(NEXT) | instid1(VALU_DEP_4)
	v_fma_f64 v[2:3], v[2:3], v[26:27], -v[20:21]
	v_add_f64_e32 v[10:11], v[10:11], v[18:19]
	s_delay_alu instid0(VALU_DEP_4) | instskip(NEXT) | instid1(VALU_DEP_4)
	v_add_f64_e32 v[12:13], v[12:13], v[34:35]
	v_fma_f64 v[4:5], v[4:5], v[26:27], v[14:15]
	s_delay_alu instid0(VALU_DEP_3) | instskip(NEXT) | instid1(VALU_DEP_3)
	v_add_f64_e32 v[6:7], v[10:11], v[6:7]
	v_add_f64_e32 v[8:9], v[12:13], v[8:9]
	s_delay_alu instid0(VALU_DEP_2) | instskip(NEXT) | instid1(VALU_DEP_2)
	v_add_f64_e32 v[2:3], v[6:7], v[2:3]
	v_add_f64_e32 v[4:5], v[8:9], v[4:5]
	s_wait_loadcnt 0x0
	s_delay_alu instid0(VALU_DEP_2) | instskip(NEXT) | instid1(VALU_DEP_2)
	v_add_f64_e64 v[2:3], v[30:31], -v[2:3]
	v_add_f64_e64 v[4:5], v[32:33], -v[4:5]
	scratch_store_b128 off, v[2:5], off offset:192
	v_cmpx_lt_u32_e32 10, v0
	s_cbranch_execz .LBB112_287
; %bb.286:
	scratch_load_b128 v[5:8], off, s52
	v_dual_mov_b32 v2, v1 :: v_dual_mov_b32 v3, v1
	v_mov_b32_e32 v4, v1
	scratch_store_b128 off, v[1:4], off offset:176
	s_wait_loadcnt 0x0
	ds_store_b128 v140, v[5:8]
.LBB112_287:
	s_wait_alu 0xfffe
	s_or_b32 exec_lo, exec_lo, s0
	s_wait_storecnt_dscnt 0x0
	s_barrier_signal -1
	s_barrier_wait -1
	global_inv scope:SCOPE_SE
	s_clause 0x7
	scratch_load_b128 v[2:5], off, off offset:192
	scratch_load_b128 v[6:9], off, off offset:208
	;; [unrolled: 1-line block ×8, first 2 shown]
	ds_load_b128 v[38:41], v1 offset:960
	ds_load_b128 v[141:144], v1 offset:976
	s_clause 0x1
	scratch_load_b128 v[34:37], off, off offset:320
	scratch_load_b128 v[145:148], off, off offset:336
	s_mov_b32 s0, exec_lo
	s_wait_loadcnt_dscnt 0x901
	v_mul_f64_e32 v[149:150], v[40:41], v[4:5]
	v_mul_f64_e32 v[4:5], v[38:39], v[4:5]
	s_wait_loadcnt_dscnt 0x800
	v_mul_f64_e32 v[151:152], v[141:142], v[8:9]
	v_mul_f64_e32 v[8:9], v[143:144], v[8:9]
	s_delay_alu instid0(VALU_DEP_4) | instskip(NEXT) | instid1(VALU_DEP_4)
	v_fma_f64 v[149:150], v[38:39], v[2:3], -v[149:150]
	v_fma_f64 v[153:154], v[40:41], v[2:3], v[4:5]
	ds_load_b128 v[2:5], v1 offset:992
	scratch_load_b128 v[38:41], off, off offset:352
	v_fma_f64 v[151:152], v[143:144], v[6:7], v[151:152]
	v_fma_f64 v[157:158], v[141:142], v[6:7], -v[8:9]
	ds_load_b128 v[6:9], v1 offset:1008
	scratch_load_b128 v[141:144], off, off offset:368
	s_wait_loadcnt_dscnt 0x901
	v_mul_f64_e32 v[155:156], v[2:3], v[12:13]
	v_mul_f64_e32 v[12:13], v[4:5], v[12:13]
	s_wait_loadcnt_dscnt 0x800
	v_mul_f64_e32 v[159:160], v[6:7], v[16:17]
	v_mul_f64_e32 v[16:17], v[8:9], v[16:17]
	v_add_f64_e32 v[149:150], 0, v[149:150]
	v_add_f64_e32 v[153:154], 0, v[153:154]
	v_fma_f64 v[155:156], v[4:5], v[10:11], v[155:156]
	v_fma_f64 v[161:162], v[2:3], v[10:11], -v[12:13]
	ds_load_b128 v[2:5], v1 offset:1024
	scratch_load_b128 v[10:13], off, off offset:384
	v_add_f64_e32 v[149:150], v[149:150], v[157:158]
	v_add_f64_e32 v[151:152], v[153:154], v[151:152]
	v_fma_f64 v[157:158], v[8:9], v[14:15], v[159:160]
	v_fma_f64 v[159:160], v[6:7], v[14:15], -v[16:17]
	ds_load_b128 v[6:9], v1 offset:1040
	scratch_load_b128 v[14:17], off, off offset:400
	s_wait_loadcnt_dscnt 0x901
	v_mul_f64_e32 v[153:154], v[2:3], v[20:21]
	v_mul_f64_e32 v[20:21], v[4:5], v[20:21]
	v_add_f64_e32 v[149:150], v[149:150], v[161:162]
	v_add_f64_e32 v[151:152], v[151:152], v[155:156]
	s_wait_loadcnt_dscnt 0x800
	v_mul_f64_e32 v[155:156], v[6:7], v[24:25]
	v_mul_f64_e32 v[24:25], v[8:9], v[24:25]
	v_fma_f64 v[153:154], v[4:5], v[18:19], v[153:154]
	v_fma_f64 v[161:162], v[2:3], v[18:19], -v[20:21]
	ds_load_b128 v[2:5], v1 offset:1056
	scratch_load_b128 v[18:21], off, off offset:416
	v_add_f64_e32 v[149:150], v[149:150], v[159:160]
	v_add_f64_e32 v[151:152], v[151:152], v[157:158]
	v_fma_f64 v[155:156], v[8:9], v[22:23], v[155:156]
	v_fma_f64 v[159:160], v[6:7], v[22:23], -v[24:25]
	ds_load_b128 v[6:9], v1 offset:1072
	s_wait_loadcnt_dscnt 0x801
	v_mul_f64_e32 v[157:158], v[2:3], v[28:29]
	v_mul_f64_e32 v[28:29], v[4:5], v[28:29]
	scratch_load_b128 v[22:25], off, off offset:432
	v_add_f64_e32 v[149:150], v[149:150], v[161:162]
	v_add_f64_e32 v[151:152], v[151:152], v[153:154]
	s_wait_loadcnt_dscnt 0x800
	v_mul_f64_e32 v[153:154], v[6:7], v[32:33]
	v_mul_f64_e32 v[32:33], v[8:9], v[32:33]
	v_fma_f64 v[157:158], v[4:5], v[26:27], v[157:158]
	v_fma_f64 v[161:162], v[2:3], v[26:27], -v[28:29]
	ds_load_b128 v[2:5], v1 offset:1088
	scratch_load_b128 v[26:29], off, off offset:448
	v_add_f64_e32 v[149:150], v[149:150], v[159:160]
	v_add_f64_e32 v[151:152], v[151:152], v[155:156]
	v_fma_f64 v[153:154], v[8:9], v[30:31], v[153:154]
	v_fma_f64 v[159:160], v[6:7], v[30:31], -v[32:33]
	ds_load_b128 v[6:9], v1 offset:1104
	s_wait_loadcnt_dscnt 0x801
	v_mul_f64_e32 v[155:156], v[2:3], v[36:37]
	v_mul_f64_e32 v[36:37], v[4:5], v[36:37]
	scratch_load_b128 v[30:33], off, off offset:464
	v_add_f64_e32 v[149:150], v[149:150], v[161:162]
	v_add_f64_e32 v[151:152], v[151:152], v[157:158]
	s_wait_loadcnt_dscnt 0x800
	v_mul_f64_e32 v[157:158], v[6:7], v[147:148]
	v_mul_f64_e32 v[147:148], v[8:9], v[147:148]
	v_fma_f64 v[155:156], v[4:5], v[34:35], v[155:156]
	v_fma_f64 v[161:162], v[2:3], v[34:35], -v[36:37]
	ds_load_b128 v[2:5], v1 offset:1120
	scratch_load_b128 v[34:37], off, off offset:480
	v_add_f64_e32 v[149:150], v[149:150], v[159:160]
	v_add_f64_e32 v[151:152], v[151:152], v[153:154]
	v_fma_f64 v[157:158], v[8:9], v[145:146], v[157:158]
	v_fma_f64 v[159:160], v[6:7], v[145:146], -v[147:148]
	ds_load_b128 v[6:9], v1 offset:1136
	scratch_load_b128 v[145:148], off, off offset:496
	s_wait_loadcnt_dscnt 0x901
	v_mul_f64_e32 v[153:154], v[2:3], v[40:41]
	v_mul_f64_e32 v[40:41], v[4:5], v[40:41]
	v_add_f64_e32 v[149:150], v[149:150], v[161:162]
	v_add_f64_e32 v[151:152], v[151:152], v[155:156]
	s_wait_loadcnt_dscnt 0x800
	v_mul_f64_e32 v[155:156], v[6:7], v[143:144]
	v_mul_f64_e32 v[143:144], v[8:9], v[143:144]
	v_fma_f64 v[153:154], v[4:5], v[38:39], v[153:154]
	v_fma_f64 v[161:162], v[2:3], v[38:39], -v[40:41]
	ds_load_b128 v[2:5], v1 offset:1152
	scratch_load_b128 v[38:41], off, off offset:512
	v_add_f64_e32 v[149:150], v[149:150], v[159:160]
	v_add_f64_e32 v[151:152], v[151:152], v[157:158]
	v_fma_f64 v[155:156], v[8:9], v[141:142], v[155:156]
	v_fma_f64 v[159:160], v[6:7], v[141:142], -v[143:144]
	ds_load_b128 v[6:9], v1 offset:1168
	s_wait_loadcnt_dscnt 0x801
	v_mul_f64_e32 v[157:158], v[2:3], v[12:13]
	v_mul_f64_e32 v[12:13], v[4:5], v[12:13]
	scratch_load_b128 v[141:144], off, off offset:528
	v_add_f64_e32 v[149:150], v[149:150], v[161:162]
	v_add_f64_e32 v[151:152], v[151:152], v[153:154]
	s_wait_loadcnt_dscnt 0x800
	v_mul_f64_e32 v[153:154], v[6:7], v[16:17]
	v_mul_f64_e32 v[16:17], v[8:9], v[16:17]
	v_fma_f64 v[157:158], v[4:5], v[10:11], v[157:158]
	v_fma_f64 v[161:162], v[2:3], v[10:11], -v[12:13]
	ds_load_b128 v[2:5], v1 offset:1184
	scratch_load_b128 v[10:13], off, off offset:544
	v_add_f64_e32 v[149:150], v[149:150], v[159:160]
	v_add_f64_e32 v[151:152], v[151:152], v[155:156]
	v_fma_f64 v[153:154], v[8:9], v[14:15], v[153:154]
	v_fma_f64 v[159:160], v[6:7], v[14:15], -v[16:17]
	ds_load_b128 v[6:9], v1 offset:1200
	s_wait_loadcnt_dscnt 0x801
	v_mul_f64_e32 v[155:156], v[2:3], v[20:21]
	v_mul_f64_e32 v[20:21], v[4:5], v[20:21]
	scratch_load_b128 v[14:17], off, off offset:560
	;; [unrolled: 18-line block ×9, first 2 shown]
	v_add_f64_e32 v[149:150], v[149:150], v[161:162]
	v_add_f64_e32 v[151:152], v[151:152], v[155:156]
	s_wait_loadcnt_dscnt 0x800
	v_mul_f64_e32 v[155:156], v[6:7], v[147:148]
	v_mul_f64_e32 v[147:148], v[8:9], v[147:148]
	v_fma_f64 v[153:154], v[4:5], v[34:35], v[153:154]
	v_fma_f64 v[34:35], v[2:3], v[34:35], -v[36:37]
	ds_load_b128 v[2:5], v1 offset:1440
	v_add_f64_e32 v[36:37], v[149:150], v[159:160]
	v_add_f64_e32 v[149:150], v[151:152], v[157:158]
	v_fma_f64 v[155:156], v[8:9], v[145:146], v[155:156]
	v_fma_f64 v[145:146], v[6:7], v[145:146], -v[147:148]
	ds_load_b128 v[6:9], v1 offset:1456
	s_wait_loadcnt_dscnt 0x701
	v_mul_f64_e32 v[151:152], v[2:3], v[40:41]
	v_mul_f64_e32 v[40:41], v[4:5], v[40:41]
	v_add_f64_e32 v[34:35], v[36:37], v[34:35]
	v_add_f64_e32 v[36:37], v[149:150], v[153:154]
	s_delay_alu instid0(VALU_DEP_4) | instskip(NEXT) | instid1(VALU_DEP_4)
	v_fma_f64 v[149:150], v[4:5], v[38:39], v[151:152]
	v_fma_f64 v[38:39], v[2:3], v[38:39], -v[40:41]
	ds_load_b128 v[2:5], v1 offset:1472
	v_add_f64_e32 v[40:41], v[34:35], v[145:146]
	v_add_f64_e32 v[145:146], v[36:37], v[155:156]
	scratch_load_b128 v[34:37], off, off offset:176
	s_wait_loadcnt_dscnt 0x701
	v_mul_f64_e32 v[147:148], v[6:7], v[143:144]
	v_mul_f64_e32 v[143:144], v[8:9], v[143:144]
	v_add_f64_e32 v[38:39], v[40:41], v[38:39]
	v_add_f64_e32 v[40:41], v[145:146], v[149:150]
	s_delay_alu instid0(VALU_DEP_4) | instskip(NEXT) | instid1(VALU_DEP_4)
	v_fma_f64 v[147:148], v[8:9], v[141:142], v[147:148]
	v_fma_f64 v[141:142], v[6:7], v[141:142], -v[143:144]
	ds_load_b128 v[6:9], v1 offset:1488
	s_wait_loadcnt_dscnt 0x601
	v_mul_f64_e32 v[151:152], v[2:3], v[12:13]
	v_mul_f64_e32 v[12:13], v[4:5], v[12:13]
	s_wait_loadcnt_dscnt 0x500
	v_mul_f64_e32 v[143:144], v[6:7], v[16:17]
	v_mul_f64_e32 v[16:17], v[8:9], v[16:17]
	s_delay_alu instid0(VALU_DEP_4) | instskip(NEXT) | instid1(VALU_DEP_4)
	v_fma_f64 v[145:146], v[4:5], v[10:11], v[151:152]
	v_fma_f64 v[10:11], v[2:3], v[10:11], -v[12:13]
	v_add_f64_e32 v[12:13], v[38:39], v[141:142]
	v_add_f64_e32 v[38:39], v[40:41], v[147:148]
	ds_load_b128 v[2:5], v1 offset:1504
	v_fma_f64 v[141:142], v[8:9], v[14:15], v[143:144]
	v_fma_f64 v[14:15], v[6:7], v[14:15], -v[16:17]
	ds_load_b128 v[6:9], v1 offset:1520
	s_wait_loadcnt_dscnt 0x401
	v_mul_f64_e32 v[40:41], v[2:3], v[20:21]
	v_mul_f64_e32 v[20:21], v[4:5], v[20:21]
	v_add_f64_e32 v[10:11], v[12:13], v[10:11]
	v_add_f64_e32 v[12:13], v[38:39], v[145:146]
	s_wait_loadcnt_dscnt 0x300
	v_mul_f64_e32 v[16:17], v[6:7], v[24:25]
	v_mul_f64_e32 v[24:25], v[8:9], v[24:25]
	v_fma_f64 v[38:39], v[4:5], v[18:19], v[40:41]
	v_fma_f64 v[18:19], v[2:3], v[18:19], -v[20:21]
	ds_load_b128 v[2:5], v1 offset:1536
	v_add_f64_e32 v[10:11], v[10:11], v[14:15]
	v_add_f64_e32 v[12:13], v[12:13], v[141:142]
	v_fma_f64 v[16:17], v[8:9], v[22:23], v[16:17]
	v_fma_f64 v[22:23], v[6:7], v[22:23], -v[24:25]
	ds_load_b128 v[6:9], v1 offset:1552
	s_wait_loadcnt_dscnt 0x201
	v_mul_f64_e32 v[14:15], v[2:3], v[28:29]
	v_mul_f64_e32 v[20:21], v[4:5], v[28:29]
	s_wait_loadcnt_dscnt 0x100
	v_mul_f64_e32 v[24:25], v[8:9], v[32:33]
	v_add_f64_e32 v[10:11], v[10:11], v[18:19]
	v_add_f64_e32 v[12:13], v[12:13], v[38:39]
	v_mul_f64_e32 v[18:19], v[6:7], v[32:33]
	v_fma_f64 v[4:5], v[4:5], v[26:27], v[14:15]
	v_fma_f64 v[1:2], v[2:3], v[26:27], -v[20:21]
	v_fma_f64 v[6:7], v[6:7], v[30:31], -v[24:25]
	v_add_f64_e32 v[10:11], v[10:11], v[22:23]
	v_add_f64_e32 v[12:13], v[12:13], v[16:17]
	v_fma_f64 v[8:9], v[8:9], v[30:31], v[18:19]
	s_delay_alu instid0(VALU_DEP_3) | instskip(NEXT) | instid1(VALU_DEP_3)
	v_add_f64_e32 v[1:2], v[10:11], v[1:2]
	v_add_f64_e32 v[3:4], v[12:13], v[4:5]
	s_delay_alu instid0(VALU_DEP_2) | instskip(NEXT) | instid1(VALU_DEP_2)
	v_add_f64_e32 v[1:2], v[1:2], v[6:7]
	v_add_f64_e32 v[3:4], v[3:4], v[8:9]
	s_wait_loadcnt 0x0
	s_delay_alu instid0(VALU_DEP_2) | instskip(NEXT) | instid1(VALU_DEP_2)
	v_add_f64_e64 v[1:2], v[34:35], -v[1:2]
	v_add_f64_e64 v[3:4], v[36:37], -v[3:4]
	scratch_store_b128 off, v[1:4], off offset:176
	v_cmpx_lt_u32_e32 9, v0
	s_cbranch_execz .LBB112_289
; %bb.288:
	scratch_load_b128 v[1:4], off, s53
	v_mov_b32_e32 v5, 0
	s_delay_alu instid0(VALU_DEP_1)
	v_dual_mov_b32 v6, v5 :: v_dual_mov_b32 v7, v5
	v_mov_b32_e32 v8, v5
	scratch_store_b128 off, v[5:8], off offset:160
	s_wait_loadcnt 0x0
	ds_store_b128 v140, v[1:4]
.LBB112_289:
	s_wait_alu 0xfffe
	s_or_b32 exec_lo, exec_lo, s0
	s_wait_storecnt_dscnt 0x0
	s_barrier_signal -1
	s_barrier_wait -1
	global_inv scope:SCOPE_SE
	s_clause 0x7
	scratch_load_b128 v[2:5], off, off offset:176
	scratch_load_b128 v[6:9], off, off offset:192
	;; [unrolled: 1-line block ×8, first 2 shown]
	v_mov_b32_e32 v1, 0
	s_clause 0x1
	scratch_load_b128 v[34:37], off, off offset:304
	scratch_load_b128 v[145:148], off, off offset:320
	s_mov_b32 s0, exec_lo
	ds_load_b128 v[38:41], v1 offset:944
	ds_load_b128 v[141:144], v1 offset:960
	s_wait_loadcnt_dscnt 0x901
	v_mul_f64_e32 v[149:150], v[40:41], v[4:5]
	v_mul_f64_e32 v[4:5], v[38:39], v[4:5]
	s_wait_loadcnt_dscnt 0x800
	v_mul_f64_e32 v[151:152], v[141:142], v[8:9]
	v_mul_f64_e32 v[8:9], v[143:144], v[8:9]
	s_delay_alu instid0(VALU_DEP_4) | instskip(NEXT) | instid1(VALU_DEP_4)
	v_fma_f64 v[149:150], v[38:39], v[2:3], -v[149:150]
	v_fma_f64 v[153:154], v[40:41], v[2:3], v[4:5]
	ds_load_b128 v[2:5], v1 offset:976
	scratch_load_b128 v[38:41], off, off offset:336
	v_fma_f64 v[151:152], v[143:144], v[6:7], v[151:152]
	v_fma_f64 v[157:158], v[141:142], v[6:7], -v[8:9]
	ds_load_b128 v[6:9], v1 offset:992
	scratch_load_b128 v[141:144], off, off offset:352
	s_wait_loadcnt_dscnt 0x901
	v_mul_f64_e32 v[155:156], v[2:3], v[12:13]
	v_mul_f64_e32 v[12:13], v[4:5], v[12:13]
	s_wait_loadcnt_dscnt 0x800
	v_mul_f64_e32 v[159:160], v[6:7], v[16:17]
	v_mul_f64_e32 v[16:17], v[8:9], v[16:17]
	v_add_f64_e32 v[149:150], 0, v[149:150]
	v_add_f64_e32 v[153:154], 0, v[153:154]
	v_fma_f64 v[155:156], v[4:5], v[10:11], v[155:156]
	v_fma_f64 v[161:162], v[2:3], v[10:11], -v[12:13]
	ds_load_b128 v[2:5], v1 offset:1008
	scratch_load_b128 v[10:13], off, off offset:368
	v_add_f64_e32 v[149:150], v[149:150], v[157:158]
	v_add_f64_e32 v[151:152], v[153:154], v[151:152]
	v_fma_f64 v[157:158], v[8:9], v[14:15], v[159:160]
	v_fma_f64 v[159:160], v[6:7], v[14:15], -v[16:17]
	ds_load_b128 v[6:9], v1 offset:1024
	scratch_load_b128 v[14:17], off, off offset:384
	s_wait_loadcnt_dscnt 0x901
	v_mul_f64_e32 v[153:154], v[2:3], v[20:21]
	v_mul_f64_e32 v[20:21], v[4:5], v[20:21]
	v_add_f64_e32 v[149:150], v[149:150], v[161:162]
	v_add_f64_e32 v[151:152], v[151:152], v[155:156]
	s_wait_loadcnt_dscnt 0x800
	v_mul_f64_e32 v[155:156], v[6:7], v[24:25]
	v_mul_f64_e32 v[24:25], v[8:9], v[24:25]
	v_fma_f64 v[153:154], v[4:5], v[18:19], v[153:154]
	v_fma_f64 v[161:162], v[2:3], v[18:19], -v[20:21]
	ds_load_b128 v[2:5], v1 offset:1040
	scratch_load_b128 v[18:21], off, off offset:400
	v_add_f64_e32 v[149:150], v[149:150], v[159:160]
	v_add_f64_e32 v[151:152], v[151:152], v[157:158]
	v_fma_f64 v[155:156], v[8:9], v[22:23], v[155:156]
	v_fma_f64 v[159:160], v[6:7], v[22:23], -v[24:25]
	ds_load_b128 v[6:9], v1 offset:1056
	s_wait_loadcnt_dscnt 0x801
	v_mul_f64_e32 v[157:158], v[2:3], v[28:29]
	v_mul_f64_e32 v[28:29], v[4:5], v[28:29]
	scratch_load_b128 v[22:25], off, off offset:416
	v_add_f64_e32 v[149:150], v[149:150], v[161:162]
	v_add_f64_e32 v[151:152], v[151:152], v[153:154]
	s_wait_loadcnt_dscnt 0x800
	v_mul_f64_e32 v[153:154], v[6:7], v[32:33]
	v_mul_f64_e32 v[32:33], v[8:9], v[32:33]
	v_fma_f64 v[157:158], v[4:5], v[26:27], v[157:158]
	v_fma_f64 v[161:162], v[2:3], v[26:27], -v[28:29]
	ds_load_b128 v[2:5], v1 offset:1072
	scratch_load_b128 v[26:29], off, off offset:432
	v_add_f64_e32 v[149:150], v[149:150], v[159:160]
	v_add_f64_e32 v[151:152], v[151:152], v[155:156]
	v_fma_f64 v[153:154], v[8:9], v[30:31], v[153:154]
	v_fma_f64 v[159:160], v[6:7], v[30:31], -v[32:33]
	ds_load_b128 v[6:9], v1 offset:1088
	s_wait_loadcnt_dscnt 0x801
	v_mul_f64_e32 v[155:156], v[2:3], v[36:37]
	v_mul_f64_e32 v[36:37], v[4:5], v[36:37]
	scratch_load_b128 v[30:33], off, off offset:448
	v_add_f64_e32 v[149:150], v[149:150], v[161:162]
	v_add_f64_e32 v[151:152], v[151:152], v[157:158]
	s_wait_loadcnt_dscnt 0x800
	v_mul_f64_e32 v[157:158], v[6:7], v[147:148]
	v_mul_f64_e32 v[147:148], v[8:9], v[147:148]
	v_fma_f64 v[155:156], v[4:5], v[34:35], v[155:156]
	v_fma_f64 v[161:162], v[2:3], v[34:35], -v[36:37]
	ds_load_b128 v[2:5], v1 offset:1104
	scratch_load_b128 v[34:37], off, off offset:464
	v_add_f64_e32 v[149:150], v[149:150], v[159:160]
	v_add_f64_e32 v[151:152], v[151:152], v[153:154]
	v_fma_f64 v[157:158], v[8:9], v[145:146], v[157:158]
	v_fma_f64 v[159:160], v[6:7], v[145:146], -v[147:148]
	ds_load_b128 v[6:9], v1 offset:1120
	scratch_load_b128 v[145:148], off, off offset:480
	s_wait_loadcnt_dscnt 0x901
	v_mul_f64_e32 v[153:154], v[2:3], v[40:41]
	v_mul_f64_e32 v[40:41], v[4:5], v[40:41]
	v_add_f64_e32 v[149:150], v[149:150], v[161:162]
	v_add_f64_e32 v[151:152], v[151:152], v[155:156]
	s_wait_loadcnt_dscnt 0x800
	v_mul_f64_e32 v[155:156], v[6:7], v[143:144]
	v_mul_f64_e32 v[143:144], v[8:9], v[143:144]
	v_fma_f64 v[153:154], v[4:5], v[38:39], v[153:154]
	v_fma_f64 v[161:162], v[2:3], v[38:39], -v[40:41]
	ds_load_b128 v[2:5], v1 offset:1136
	scratch_load_b128 v[38:41], off, off offset:496
	v_add_f64_e32 v[149:150], v[149:150], v[159:160]
	v_add_f64_e32 v[151:152], v[151:152], v[157:158]
	v_fma_f64 v[155:156], v[8:9], v[141:142], v[155:156]
	v_fma_f64 v[159:160], v[6:7], v[141:142], -v[143:144]
	ds_load_b128 v[6:9], v1 offset:1152
	s_wait_loadcnt_dscnt 0x801
	v_mul_f64_e32 v[157:158], v[2:3], v[12:13]
	v_mul_f64_e32 v[12:13], v[4:5], v[12:13]
	scratch_load_b128 v[141:144], off, off offset:512
	v_add_f64_e32 v[149:150], v[149:150], v[161:162]
	v_add_f64_e32 v[151:152], v[151:152], v[153:154]
	s_wait_loadcnt_dscnt 0x800
	v_mul_f64_e32 v[153:154], v[6:7], v[16:17]
	v_mul_f64_e32 v[16:17], v[8:9], v[16:17]
	v_fma_f64 v[157:158], v[4:5], v[10:11], v[157:158]
	v_fma_f64 v[161:162], v[2:3], v[10:11], -v[12:13]
	ds_load_b128 v[2:5], v1 offset:1168
	scratch_load_b128 v[10:13], off, off offset:528
	v_add_f64_e32 v[149:150], v[149:150], v[159:160]
	v_add_f64_e32 v[151:152], v[151:152], v[155:156]
	v_fma_f64 v[153:154], v[8:9], v[14:15], v[153:154]
	v_fma_f64 v[159:160], v[6:7], v[14:15], -v[16:17]
	ds_load_b128 v[6:9], v1 offset:1184
	s_wait_loadcnt_dscnt 0x801
	v_mul_f64_e32 v[155:156], v[2:3], v[20:21]
	v_mul_f64_e32 v[20:21], v[4:5], v[20:21]
	scratch_load_b128 v[14:17], off, off offset:544
	;; [unrolled: 18-line block ×9, first 2 shown]
	v_add_f64_e32 v[149:150], v[149:150], v[161:162]
	v_add_f64_e32 v[151:152], v[151:152], v[155:156]
	s_wait_loadcnt_dscnt 0x800
	v_mul_f64_e32 v[155:156], v[6:7], v[147:148]
	v_mul_f64_e32 v[147:148], v[8:9], v[147:148]
	v_fma_f64 v[153:154], v[4:5], v[34:35], v[153:154]
	v_fma_f64 v[161:162], v[2:3], v[34:35], -v[36:37]
	ds_load_b128 v[2:5], v1 offset:1424
	scratch_load_b128 v[34:37], off, off offset:784
	v_add_f64_e32 v[149:150], v[149:150], v[159:160]
	v_add_f64_e32 v[151:152], v[151:152], v[157:158]
	v_fma_f64 v[155:156], v[8:9], v[145:146], v[155:156]
	v_fma_f64 v[145:146], v[6:7], v[145:146], -v[147:148]
	ds_load_b128 v[6:9], v1 offset:1440
	s_wait_loadcnt_dscnt 0x801
	v_mul_f64_e32 v[157:158], v[2:3], v[40:41]
	v_mul_f64_e32 v[40:41], v[4:5], v[40:41]
	v_add_f64_e32 v[147:148], v[149:150], v[161:162]
	v_add_f64_e32 v[149:150], v[151:152], v[153:154]
	s_wait_loadcnt_dscnt 0x700
	v_mul_f64_e32 v[151:152], v[6:7], v[143:144]
	v_mul_f64_e32 v[143:144], v[8:9], v[143:144]
	v_fma_f64 v[153:154], v[4:5], v[38:39], v[157:158]
	v_fma_f64 v[38:39], v[2:3], v[38:39], -v[40:41]
	ds_load_b128 v[2:5], v1 offset:1456
	v_add_f64_e32 v[40:41], v[147:148], v[145:146]
	v_add_f64_e32 v[145:146], v[149:150], v[155:156]
	v_fma_f64 v[149:150], v[8:9], v[141:142], v[151:152]
	v_fma_f64 v[141:142], v[6:7], v[141:142], -v[143:144]
	ds_load_b128 v[6:9], v1 offset:1472
	s_wait_loadcnt_dscnt 0x500
	v_mul_f64_e32 v[151:152], v[6:7], v[16:17]
	v_mul_f64_e32 v[16:17], v[8:9], v[16:17]
	v_add_f64_e32 v[143:144], v[40:41], v[38:39]
	v_add_f64_e32 v[145:146], v[145:146], v[153:154]
	scratch_load_b128 v[38:41], off, off offset:160
	v_mul_f64_e32 v[147:148], v[2:3], v[12:13]
	v_mul_f64_e32 v[12:13], v[4:5], v[12:13]
	s_delay_alu instid0(VALU_DEP_2) | instskip(NEXT) | instid1(VALU_DEP_2)
	v_fma_f64 v[147:148], v[4:5], v[10:11], v[147:148]
	v_fma_f64 v[10:11], v[2:3], v[10:11], -v[12:13]
	v_add_f64_e32 v[12:13], v[143:144], v[141:142]
	v_add_f64_e32 v[141:142], v[145:146], v[149:150]
	ds_load_b128 v[2:5], v1 offset:1488
	v_fma_f64 v[145:146], v[8:9], v[14:15], v[151:152]
	v_fma_f64 v[14:15], v[6:7], v[14:15], -v[16:17]
	ds_load_b128 v[6:9], v1 offset:1504
	s_wait_loadcnt_dscnt 0x501
	v_mul_f64_e32 v[143:144], v[2:3], v[20:21]
	v_mul_f64_e32 v[20:21], v[4:5], v[20:21]
	s_wait_loadcnt_dscnt 0x400
	v_mul_f64_e32 v[16:17], v[6:7], v[24:25]
	v_mul_f64_e32 v[24:25], v[8:9], v[24:25]
	v_add_f64_e32 v[10:11], v[12:13], v[10:11]
	v_add_f64_e32 v[12:13], v[141:142], v[147:148]
	v_fma_f64 v[141:142], v[4:5], v[18:19], v[143:144]
	v_fma_f64 v[18:19], v[2:3], v[18:19], -v[20:21]
	ds_load_b128 v[2:5], v1 offset:1520
	v_fma_f64 v[16:17], v[8:9], v[22:23], v[16:17]
	v_fma_f64 v[22:23], v[6:7], v[22:23], -v[24:25]
	ds_load_b128 v[6:9], v1 offset:1536
	v_add_f64_e32 v[10:11], v[10:11], v[14:15]
	v_add_f64_e32 v[12:13], v[12:13], v[145:146]
	s_wait_loadcnt_dscnt 0x301
	v_mul_f64_e32 v[14:15], v[2:3], v[28:29]
	v_mul_f64_e32 v[20:21], v[4:5], v[28:29]
	s_wait_loadcnt_dscnt 0x200
	v_mul_f64_e32 v[24:25], v[8:9], v[32:33]
	v_add_f64_e32 v[10:11], v[10:11], v[18:19]
	v_add_f64_e32 v[12:13], v[12:13], v[141:142]
	v_mul_f64_e32 v[18:19], v[6:7], v[32:33]
	v_fma_f64 v[14:15], v[4:5], v[26:27], v[14:15]
	v_fma_f64 v[20:21], v[2:3], v[26:27], -v[20:21]
	ds_load_b128 v[2:5], v1 offset:1552
	v_fma_f64 v[6:7], v[6:7], v[30:31], -v[24:25]
	v_add_f64_e32 v[10:11], v[10:11], v[22:23]
	v_add_f64_e32 v[12:13], v[12:13], v[16:17]
	s_wait_loadcnt_dscnt 0x100
	v_mul_f64_e32 v[16:17], v[2:3], v[36:37]
	v_mul_f64_e32 v[22:23], v[4:5], v[36:37]
	v_fma_f64 v[8:9], v[8:9], v[30:31], v[18:19]
	v_add_f64_e32 v[10:11], v[10:11], v[20:21]
	v_add_f64_e32 v[12:13], v[12:13], v[14:15]
	v_fma_f64 v[4:5], v[4:5], v[34:35], v[16:17]
	v_fma_f64 v[2:3], v[2:3], v[34:35], -v[22:23]
	s_delay_alu instid0(VALU_DEP_4) | instskip(NEXT) | instid1(VALU_DEP_4)
	v_add_f64_e32 v[6:7], v[10:11], v[6:7]
	v_add_f64_e32 v[8:9], v[12:13], v[8:9]
	s_delay_alu instid0(VALU_DEP_2) | instskip(NEXT) | instid1(VALU_DEP_2)
	v_add_f64_e32 v[2:3], v[6:7], v[2:3]
	v_add_f64_e32 v[4:5], v[8:9], v[4:5]
	s_wait_loadcnt 0x0
	s_delay_alu instid0(VALU_DEP_2) | instskip(NEXT) | instid1(VALU_DEP_2)
	v_add_f64_e64 v[2:3], v[38:39], -v[2:3]
	v_add_f64_e64 v[4:5], v[40:41], -v[4:5]
	scratch_store_b128 off, v[2:5], off offset:160
	v_cmpx_lt_u32_e32 8, v0
	s_cbranch_execz .LBB112_291
; %bb.290:
	scratch_load_b128 v[5:8], off, s54
	v_dual_mov_b32 v2, v1 :: v_dual_mov_b32 v3, v1
	v_mov_b32_e32 v4, v1
	scratch_store_b128 off, v[1:4], off offset:144
	s_wait_loadcnt 0x0
	ds_store_b128 v140, v[5:8]
.LBB112_291:
	s_wait_alu 0xfffe
	s_or_b32 exec_lo, exec_lo, s0
	s_wait_storecnt_dscnt 0x0
	s_barrier_signal -1
	s_barrier_wait -1
	global_inv scope:SCOPE_SE
	s_clause 0x7
	scratch_load_b128 v[2:5], off, off offset:160
	scratch_load_b128 v[6:9], off, off offset:176
	;; [unrolled: 1-line block ×8, first 2 shown]
	ds_load_b128 v[38:41], v1 offset:928
	ds_load_b128 v[141:144], v1 offset:944
	s_clause 0x1
	scratch_load_b128 v[34:37], off, off offset:288
	scratch_load_b128 v[145:148], off, off offset:304
	s_mov_b32 s0, exec_lo
	s_wait_loadcnt_dscnt 0x901
	v_mul_f64_e32 v[149:150], v[40:41], v[4:5]
	v_mul_f64_e32 v[4:5], v[38:39], v[4:5]
	s_wait_loadcnt_dscnt 0x800
	v_mul_f64_e32 v[151:152], v[141:142], v[8:9]
	v_mul_f64_e32 v[8:9], v[143:144], v[8:9]
	s_delay_alu instid0(VALU_DEP_4) | instskip(NEXT) | instid1(VALU_DEP_4)
	v_fma_f64 v[149:150], v[38:39], v[2:3], -v[149:150]
	v_fma_f64 v[153:154], v[40:41], v[2:3], v[4:5]
	ds_load_b128 v[2:5], v1 offset:960
	scratch_load_b128 v[38:41], off, off offset:320
	v_fma_f64 v[151:152], v[143:144], v[6:7], v[151:152]
	v_fma_f64 v[157:158], v[141:142], v[6:7], -v[8:9]
	ds_load_b128 v[6:9], v1 offset:976
	scratch_load_b128 v[141:144], off, off offset:336
	s_wait_loadcnt_dscnt 0x901
	v_mul_f64_e32 v[155:156], v[2:3], v[12:13]
	v_mul_f64_e32 v[12:13], v[4:5], v[12:13]
	s_wait_loadcnt_dscnt 0x800
	v_mul_f64_e32 v[159:160], v[6:7], v[16:17]
	v_mul_f64_e32 v[16:17], v[8:9], v[16:17]
	v_add_f64_e32 v[149:150], 0, v[149:150]
	v_add_f64_e32 v[153:154], 0, v[153:154]
	v_fma_f64 v[155:156], v[4:5], v[10:11], v[155:156]
	v_fma_f64 v[161:162], v[2:3], v[10:11], -v[12:13]
	ds_load_b128 v[2:5], v1 offset:992
	scratch_load_b128 v[10:13], off, off offset:352
	v_add_f64_e32 v[149:150], v[149:150], v[157:158]
	v_add_f64_e32 v[151:152], v[153:154], v[151:152]
	v_fma_f64 v[157:158], v[8:9], v[14:15], v[159:160]
	v_fma_f64 v[159:160], v[6:7], v[14:15], -v[16:17]
	ds_load_b128 v[6:9], v1 offset:1008
	scratch_load_b128 v[14:17], off, off offset:368
	s_wait_loadcnt_dscnt 0x901
	v_mul_f64_e32 v[153:154], v[2:3], v[20:21]
	v_mul_f64_e32 v[20:21], v[4:5], v[20:21]
	v_add_f64_e32 v[149:150], v[149:150], v[161:162]
	v_add_f64_e32 v[151:152], v[151:152], v[155:156]
	s_wait_loadcnt_dscnt 0x800
	v_mul_f64_e32 v[155:156], v[6:7], v[24:25]
	v_mul_f64_e32 v[24:25], v[8:9], v[24:25]
	v_fma_f64 v[153:154], v[4:5], v[18:19], v[153:154]
	v_fma_f64 v[161:162], v[2:3], v[18:19], -v[20:21]
	ds_load_b128 v[2:5], v1 offset:1024
	scratch_load_b128 v[18:21], off, off offset:384
	v_add_f64_e32 v[149:150], v[149:150], v[159:160]
	v_add_f64_e32 v[151:152], v[151:152], v[157:158]
	v_fma_f64 v[155:156], v[8:9], v[22:23], v[155:156]
	v_fma_f64 v[159:160], v[6:7], v[22:23], -v[24:25]
	ds_load_b128 v[6:9], v1 offset:1040
	s_wait_loadcnt_dscnt 0x801
	v_mul_f64_e32 v[157:158], v[2:3], v[28:29]
	v_mul_f64_e32 v[28:29], v[4:5], v[28:29]
	scratch_load_b128 v[22:25], off, off offset:400
	v_add_f64_e32 v[149:150], v[149:150], v[161:162]
	v_add_f64_e32 v[151:152], v[151:152], v[153:154]
	s_wait_loadcnt_dscnt 0x800
	v_mul_f64_e32 v[153:154], v[6:7], v[32:33]
	v_mul_f64_e32 v[32:33], v[8:9], v[32:33]
	v_fma_f64 v[157:158], v[4:5], v[26:27], v[157:158]
	v_fma_f64 v[161:162], v[2:3], v[26:27], -v[28:29]
	ds_load_b128 v[2:5], v1 offset:1056
	scratch_load_b128 v[26:29], off, off offset:416
	v_add_f64_e32 v[149:150], v[149:150], v[159:160]
	v_add_f64_e32 v[151:152], v[151:152], v[155:156]
	v_fma_f64 v[153:154], v[8:9], v[30:31], v[153:154]
	v_fma_f64 v[159:160], v[6:7], v[30:31], -v[32:33]
	ds_load_b128 v[6:9], v1 offset:1072
	s_wait_loadcnt_dscnt 0x801
	v_mul_f64_e32 v[155:156], v[2:3], v[36:37]
	v_mul_f64_e32 v[36:37], v[4:5], v[36:37]
	scratch_load_b128 v[30:33], off, off offset:432
	v_add_f64_e32 v[149:150], v[149:150], v[161:162]
	v_add_f64_e32 v[151:152], v[151:152], v[157:158]
	s_wait_loadcnt_dscnt 0x800
	v_mul_f64_e32 v[157:158], v[6:7], v[147:148]
	v_mul_f64_e32 v[147:148], v[8:9], v[147:148]
	v_fma_f64 v[155:156], v[4:5], v[34:35], v[155:156]
	v_fma_f64 v[161:162], v[2:3], v[34:35], -v[36:37]
	ds_load_b128 v[2:5], v1 offset:1088
	scratch_load_b128 v[34:37], off, off offset:448
	v_add_f64_e32 v[149:150], v[149:150], v[159:160]
	v_add_f64_e32 v[151:152], v[151:152], v[153:154]
	v_fma_f64 v[157:158], v[8:9], v[145:146], v[157:158]
	v_fma_f64 v[159:160], v[6:7], v[145:146], -v[147:148]
	ds_load_b128 v[6:9], v1 offset:1104
	scratch_load_b128 v[145:148], off, off offset:464
	s_wait_loadcnt_dscnt 0x901
	v_mul_f64_e32 v[153:154], v[2:3], v[40:41]
	v_mul_f64_e32 v[40:41], v[4:5], v[40:41]
	v_add_f64_e32 v[149:150], v[149:150], v[161:162]
	v_add_f64_e32 v[151:152], v[151:152], v[155:156]
	s_wait_loadcnt_dscnt 0x800
	v_mul_f64_e32 v[155:156], v[6:7], v[143:144]
	v_mul_f64_e32 v[143:144], v[8:9], v[143:144]
	v_fma_f64 v[153:154], v[4:5], v[38:39], v[153:154]
	v_fma_f64 v[161:162], v[2:3], v[38:39], -v[40:41]
	ds_load_b128 v[2:5], v1 offset:1120
	scratch_load_b128 v[38:41], off, off offset:480
	v_add_f64_e32 v[149:150], v[149:150], v[159:160]
	v_add_f64_e32 v[151:152], v[151:152], v[157:158]
	v_fma_f64 v[155:156], v[8:9], v[141:142], v[155:156]
	v_fma_f64 v[159:160], v[6:7], v[141:142], -v[143:144]
	ds_load_b128 v[6:9], v1 offset:1136
	s_wait_loadcnt_dscnt 0x801
	v_mul_f64_e32 v[157:158], v[2:3], v[12:13]
	v_mul_f64_e32 v[12:13], v[4:5], v[12:13]
	scratch_load_b128 v[141:144], off, off offset:496
	v_add_f64_e32 v[149:150], v[149:150], v[161:162]
	v_add_f64_e32 v[151:152], v[151:152], v[153:154]
	s_wait_loadcnt_dscnt 0x800
	v_mul_f64_e32 v[153:154], v[6:7], v[16:17]
	v_mul_f64_e32 v[16:17], v[8:9], v[16:17]
	v_fma_f64 v[157:158], v[4:5], v[10:11], v[157:158]
	v_fma_f64 v[161:162], v[2:3], v[10:11], -v[12:13]
	scratch_load_b128 v[10:13], off, off offset:512
	ds_load_b128 v[2:5], v1 offset:1152
	v_add_f64_e32 v[149:150], v[149:150], v[159:160]
	v_add_f64_e32 v[151:152], v[151:152], v[155:156]
	v_fma_f64 v[153:154], v[8:9], v[14:15], v[153:154]
	v_fma_f64 v[159:160], v[6:7], v[14:15], -v[16:17]
	ds_load_b128 v[6:9], v1 offset:1168
	s_wait_loadcnt_dscnt 0x801
	v_mul_f64_e32 v[155:156], v[2:3], v[20:21]
	v_mul_f64_e32 v[20:21], v[4:5], v[20:21]
	scratch_load_b128 v[14:17], off, off offset:528
	v_add_f64_e32 v[149:150], v[149:150], v[161:162]
	v_add_f64_e32 v[151:152], v[151:152], v[157:158]
	s_wait_loadcnt_dscnt 0x800
	v_mul_f64_e32 v[157:158], v[6:7], v[24:25]
	v_mul_f64_e32 v[24:25], v[8:9], v[24:25]
	v_fma_f64 v[155:156], v[4:5], v[18:19], v[155:156]
	v_fma_f64 v[161:162], v[2:3], v[18:19], -v[20:21]
	ds_load_b128 v[2:5], v1 offset:1184
	scratch_load_b128 v[18:21], off, off offset:544
	v_add_f64_e32 v[149:150], v[149:150], v[159:160]
	v_add_f64_e32 v[151:152], v[151:152], v[153:154]
	v_fma_f64 v[157:158], v[8:9], v[22:23], v[157:158]
	v_fma_f64 v[159:160], v[6:7], v[22:23], -v[24:25]
	ds_load_b128 v[6:9], v1 offset:1200
	s_wait_loadcnt_dscnt 0x801
	v_mul_f64_e32 v[153:154], v[2:3], v[28:29]
	v_mul_f64_e32 v[28:29], v[4:5], v[28:29]
	scratch_load_b128 v[22:25], off, off offset:560
	v_add_f64_e32 v[149:150], v[149:150], v[161:162]
	v_add_f64_e32 v[151:152], v[151:152], v[155:156]
	s_wait_loadcnt_dscnt 0x800
	v_mul_f64_e32 v[155:156], v[6:7], v[32:33]
	v_mul_f64_e32 v[32:33], v[8:9], v[32:33]
	v_fma_f64 v[153:154], v[4:5], v[26:27], v[153:154]
	v_fma_f64 v[161:162], v[2:3], v[26:27], -v[28:29]
	ds_load_b128 v[2:5], v1 offset:1216
	scratch_load_b128 v[26:29], off, off offset:576
	;; [unrolled: 18-line block ×4, first 2 shown]
	v_add_f64_e32 v[149:150], v[149:150], v[159:160]
	v_add_f64_e32 v[151:152], v[151:152], v[153:154]
	v_fma_f64 v[157:158], v[8:9], v[141:142], v[157:158]
	v_fma_f64 v[159:160], v[6:7], v[141:142], -v[143:144]
	ds_load_b128 v[6:9], v1 offset:1296
	s_wait_loadcnt_dscnt 0x801
	v_mul_f64_e32 v[153:154], v[2:3], v[12:13]
	v_mul_f64_e32 v[12:13], v[4:5], v[12:13]
	scratch_load_b128 v[141:144], off, off offset:656
	v_add_f64_e32 v[149:150], v[149:150], v[161:162]
	v_add_f64_e32 v[151:152], v[151:152], v[155:156]
	s_wait_loadcnt_dscnt 0x800
	v_mul_f64_e32 v[155:156], v[6:7], v[16:17]
	v_mul_f64_e32 v[16:17], v[8:9], v[16:17]
	v_fma_f64 v[153:154], v[4:5], v[10:11], v[153:154]
	v_fma_f64 v[161:162], v[2:3], v[10:11], -v[12:13]
	scratch_load_b128 v[10:13], off, off offset:672
	ds_load_b128 v[2:5], v1 offset:1312
	v_add_f64_e32 v[149:150], v[149:150], v[159:160]
	v_add_f64_e32 v[151:152], v[151:152], v[157:158]
	v_fma_f64 v[155:156], v[8:9], v[14:15], v[155:156]
	v_fma_f64 v[159:160], v[6:7], v[14:15], -v[16:17]
	ds_load_b128 v[6:9], v1 offset:1328
	s_wait_loadcnt_dscnt 0x801
	v_mul_f64_e32 v[157:158], v[2:3], v[20:21]
	v_mul_f64_e32 v[20:21], v[4:5], v[20:21]
	scratch_load_b128 v[14:17], off, off offset:688
	v_add_f64_e32 v[149:150], v[149:150], v[161:162]
	v_add_f64_e32 v[151:152], v[151:152], v[153:154]
	s_wait_loadcnt_dscnt 0x800
	v_mul_f64_e32 v[153:154], v[6:7], v[24:25]
	v_mul_f64_e32 v[24:25], v[8:9], v[24:25]
	v_fma_f64 v[157:158], v[4:5], v[18:19], v[157:158]
	v_fma_f64 v[161:162], v[2:3], v[18:19], -v[20:21]
	ds_load_b128 v[2:5], v1 offset:1344
	scratch_load_b128 v[18:21], off, off offset:704
	v_add_f64_e32 v[149:150], v[149:150], v[159:160]
	v_add_f64_e32 v[151:152], v[151:152], v[155:156]
	v_fma_f64 v[153:154], v[8:9], v[22:23], v[153:154]
	v_fma_f64 v[159:160], v[6:7], v[22:23], -v[24:25]
	ds_load_b128 v[6:9], v1 offset:1360
	s_wait_loadcnt_dscnt 0x801
	v_mul_f64_e32 v[155:156], v[2:3], v[28:29]
	v_mul_f64_e32 v[28:29], v[4:5], v[28:29]
	scratch_load_b128 v[22:25], off, off offset:720
	v_add_f64_e32 v[149:150], v[149:150], v[161:162]
	v_add_f64_e32 v[151:152], v[151:152], v[157:158]
	s_wait_loadcnt_dscnt 0x800
	v_mul_f64_e32 v[157:158], v[6:7], v[32:33]
	v_mul_f64_e32 v[32:33], v[8:9], v[32:33]
	v_fma_f64 v[155:156], v[4:5], v[26:27], v[155:156]
	v_fma_f64 v[161:162], v[2:3], v[26:27], -v[28:29]
	ds_load_b128 v[2:5], v1 offset:1376
	scratch_load_b128 v[26:29], off, off offset:736
	;; [unrolled: 18-line block ×3, first 2 shown]
	v_add_f64_e32 v[149:150], v[149:150], v[159:160]
	v_add_f64_e32 v[151:152], v[151:152], v[157:158]
	v_fma_f64 v[155:156], v[8:9], v[145:146], v[155:156]
	v_fma_f64 v[159:160], v[6:7], v[145:146], -v[147:148]
	ds_load_b128 v[6:9], v1 offset:1424
	s_wait_loadcnt_dscnt 0x801
	v_mul_f64_e32 v[157:158], v[2:3], v[40:41]
	v_mul_f64_e32 v[40:41], v[4:5], v[40:41]
	scratch_load_b128 v[145:148], off, off offset:784
	v_add_f64_e32 v[149:150], v[149:150], v[161:162]
	v_add_f64_e32 v[151:152], v[151:152], v[153:154]
	v_fma_f64 v[157:158], v[4:5], v[38:39], v[157:158]
	v_fma_f64 v[38:39], v[2:3], v[38:39], -v[40:41]
	ds_load_b128 v[2:5], v1 offset:1440
	v_add_f64_e32 v[40:41], v[149:150], v[159:160]
	v_add_f64_e32 v[149:150], v[151:152], v[155:156]
	s_wait_loadcnt_dscnt 0x700
	v_mul_f64_e32 v[151:152], v[2:3], v[12:13]
	v_mul_f64_e32 v[12:13], v[4:5], v[12:13]
	s_delay_alu instid0(VALU_DEP_4) | instskip(NEXT) | instid1(VALU_DEP_4)
	v_add_f64_e32 v[38:39], v[40:41], v[38:39]
	v_add_f64_e32 v[40:41], v[149:150], v[157:158]
	s_delay_alu instid0(VALU_DEP_4) | instskip(NEXT) | instid1(VALU_DEP_4)
	v_fma_f64 v[149:150], v[4:5], v[10:11], v[151:152]
	v_fma_f64 v[151:152], v[2:3], v[10:11], -v[12:13]
	scratch_load_b128 v[10:13], off, off offset:144
	v_mul_f64_e32 v[153:154], v[6:7], v[143:144]
	v_mul_f64_e32 v[143:144], v[8:9], v[143:144]
	ds_load_b128 v[2:5], v1 offset:1472
	v_fma_f64 v[153:154], v[8:9], v[141:142], v[153:154]
	v_fma_f64 v[141:142], v[6:7], v[141:142], -v[143:144]
	ds_load_b128 v[6:9], v1 offset:1456
	s_wait_loadcnt_dscnt 0x700
	v_mul_f64_e32 v[143:144], v[6:7], v[16:17]
	v_mul_f64_e32 v[16:17], v[8:9], v[16:17]
	v_add_f64_e32 v[40:41], v[40:41], v[153:154]
	v_add_f64_e32 v[38:39], v[38:39], v[141:142]
	s_wait_loadcnt 0x6
	v_mul_f64_e32 v[141:142], v[2:3], v[20:21]
	v_mul_f64_e32 v[20:21], v[4:5], v[20:21]
	v_fma_f64 v[143:144], v[8:9], v[14:15], v[143:144]
	v_fma_f64 v[14:15], v[6:7], v[14:15], -v[16:17]
	ds_load_b128 v[6:9], v1 offset:1488
	v_add_f64_e32 v[16:17], v[38:39], v[151:152]
	v_add_f64_e32 v[38:39], v[40:41], v[149:150]
	v_fma_f64 v[141:142], v[4:5], v[18:19], v[141:142]
	v_fma_f64 v[18:19], v[2:3], v[18:19], -v[20:21]
	ds_load_b128 v[2:5], v1 offset:1504
	s_wait_loadcnt_dscnt 0x501
	v_mul_f64_e32 v[40:41], v[6:7], v[24:25]
	v_mul_f64_e32 v[24:25], v[8:9], v[24:25]
	s_wait_loadcnt_dscnt 0x400
	v_mul_f64_e32 v[20:21], v[2:3], v[28:29]
	v_mul_f64_e32 v[28:29], v[4:5], v[28:29]
	v_add_f64_e32 v[14:15], v[16:17], v[14:15]
	v_add_f64_e32 v[16:17], v[38:39], v[143:144]
	v_fma_f64 v[38:39], v[8:9], v[22:23], v[40:41]
	v_fma_f64 v[22:23], v[6:7], v[22:23], -v[24:25]
	ds_load_b128 v[6:9], v1 offset:1520
	v_fma_f64 v[20:21], v[4:5], v[26:27], v[20:21]
	v_fma_f64 v[26:27], v[2:3], v[26:27], -v[28:29]
	ds_load_b128 v[2:5], v1 offset:1536
	s_wait_loadcnt_dscnt 0x301
	v_mul_f64_e32 v[24:25], v[8:9], v[32:33]
	v_add_f64_e32 v[14:15], v[14:15], v[18:19]
	v_add_f64_e32 v[16:17], v[16:17], v[141:142]
	v_mul_f64_e32 v[18:19], v[6:7], v[32:33]
	s_wait_loadcnt_dscnt 0x200
	v_mul_f64_e32 v[28:29], v[4:5], v[36:37]
	v_fma_f64 v[24:25], v[6:7], v[30:31], -v[24:25]
	v_add_f64_e32 v[14:15], v[14:15], v[22:23]
	v_add_f64_e32 v[16:17], v[16:17], v[38:39]
	v_mul_f64_e32 v[22:23], v[2:3], v[36:37]
	v_fma_f64 v[18:19], v[8:9], v[30:31], v[18:19]
	ds_load_b128 v[6:9], v1 offset:1552
	v_fma_f64 v[1:2], v[2:3], v[34:35], -v[28:29]
	v_add_f64_e32 v[14:15], v[14:15], v[26:27]
	v_add_f64_e32 v[16:17], v[16:17], v[20:21]
	s_wait_loadcnt_dscnt 0x100
	v_mul_f64_e32 v[20:21], v[6:7], v[147:148]
	v_mul_f64_e32 v[26:27], v[8:9], v[147:148]
	v_fma_f64 v[4:5], v[4:5], v[34:35], v[22:23]
	v_add_f64_e32 v[14:15], v[14:15], v[24:25]
	v_add_f64_e32 v[16:17], v[16:17], v[18:19]
	v_fma_f64 v[8:9], v[8:9], v[145:146], v[20:21]
	v_fma_f64 v[6:7], v[6:7], v[145:146], -v[26:27]
	s_delay_alu instid0(VALU_DEP_4) | instskip(NEXT) | instid1(VALU_DEP_4)
	v_add_f64_e32 v[1:2], v[14:15], v[1:2]
	v_add_f64_e32 v[3:4], v[16:17], v[4:5]
	s_delay_alu instid0(VALU_DEP_2) | instskip(NEXT) | instid1(VALU_DEP_2)
	v_add_f64_e32 v[1:2], v[1:2], v[6:7]
	v_add_f64_e32 v[3:4], v[3:4], v[8:9]
	s_wait_loadcnt 0x0
	s_delay_alu instid0(VALU_DEP_2) | instskip(NEXT) | instid1(VALU_DEP_2)
	v_add_f64_e64 v[1:2], v[10:11], -v[1:2]
	v_add_f64_e64 v[3:4], v[12:13], -v[3:4]
	scratch_store_b128 off, v[1:4], off offset:144
	v_cmpx_lt_u32_e32 7, v0
	s_cbranch_execz .LBB112_293
; %bb.292:
	scratch_load_b128 v[1:4], off, s55
	v_mov_b32_e32 v5, 0
	s_delay_alu instid0(VALU_DEP_1)
	v_dual_mov_b32 v6, v5 :: v_dual_mov_b32 v7, v5
	v_mov_b32_e32 v8, v5
	scratch_store_b128 off, v[5:8], off offset:128
	s_wait_loadcnt 0x0
	ds_store_b128 v140, v[1:4]
.LBB112_293:
	s_wait_alu 0xfffe
	s_or_b32 exec_lo, exec_lo, s0
	s_wait_storecnt_dscnt 0x0
	s_barrier_signal -1
	s_barrier_wait -1
	global_inv scope:SCOPE_SE
	s_clause 0x7
	scratch_load_b128 v[2:5], off, off offset:144
	scratch_load_b128 v[6:9], off, off offset:160
	;; [unrolled: 1-line block ×8, first 2 shown]
	v_mov_b32_e32 v1, 0
	s_clause 0x1
	scratch_load_b128 v[34:37], off, off offset:272
	scratch_load_b128 v[145:148], off, off offset:288
	s_mov_b32 s0, exec_lo
	ds_load_b128 v[38:41], v1 offset:912
	ds_load_b128 v[141:144], v1 offset:928
	s_wait_loadcnt_dscnt 0x901
	v_mul_f64_e32 v[149:150], v[40:41], v[4:5]
	v_mul_f64_e32 v[4:5], v[38:39], v[4:5]
	s_wait_loadcnt_dscnt 0x800
	v_mul_f64_e32 v[151:152], v[141:142], v[8:9]
	v_mul_f64_e32 v[8:9], v[143:144], v[8:9]
	s_delay_alu instid0(VALU_DEP_4) | instskip(NEXT) | instid1(VALU_DEP_4)
	v_fma_f64 v[149:150], v[38:39], v[2:3], -v[149:150]
	v_fma_f64 v[153:154], v[40:41], v[2:3], v[4:5]
	ds_load_b128 v[2:5], v1 offset:944
	scratch_load_b128 v[38:41], off, off offset:304
	v_fma_f64 v[151:152], v[143:144], v[6:7], v[151:152]
	v_fma_f64 v[157:158], v[141:142], v[6:7], -v[8:9]
	ds_load_b128 v[6:9], v1 offset:960
	scratch_load_b128 v[141:144], off, off offset:320
	s_wait_loadcnt_dscnt 0x901
	v_mul_f64_e32 v[155:156], v[2:3], v[12:13]
	v_mul_f64_e32 v[12:13], v[4:5], v[12:13]
	s_wait_loadcnt_dscnt 0x800
	v_mul_f64_e32 v[159:160], v[6:7], v[16:17]
	v_mul_f64_e32 v[16:17], v[8:9], v[16:17]
	v_add_f64_e32 v[149:150], 0, v[149:150]
	v_add_f64_e32 v[153:154], 0, v[153:154]
	v_fma_f64 v[155:156], v[4:5], v[10:11], v[155:156]
	v_fma_f64 v[161:162], v[2:3], v[10:11], -v[12:13]
	ds_load_b128 v[2:5], v1 offset:976
	scratch_load_b128 v[10:13], off, off offset:336
	v_add_f64_e32 v[149:150], v[149:150], v[157:158]
	v_add_f64_e32 v[151:152], v[153:154], v[151:152]
	v_fma_f64 v[157:158], v[8:9], v[14:15], v[159:160]
	v_fma_f64 v[159:160], v[6:7], v[14:15], -v[16:17]
	ds_load_b128 v[6:9], v1 offset:992
	scratch_load_b128 v[14:17], off, off offset:352
	s_wait_loadcnt_dscnt 0x901
	v_mul_f64_e32 v[153:154], v[2:3], v[20:21]
	v_mul_f64_e32 v[20:21], v[4:5], v[20:21]
	v_add_f64_e32 v[149:150], v[149:150], v[161:162]
	v_add_f64_e32 v[151:152], v[151:152], v[155:156]
	s_wait_loadcnt_dscnt 0x800
	v_mul_f64_e32 v[155:156], v[6:7], v[24:25]
	v_mul_f64_e32 v[24:25], v[8:9], v[24:25]
	v_fma_f64 v[153:154], v[4:5], v[18:19], v[153:154]
	v_fma_f64 v[161:162], v[2:3], v[18:19], -v[20:21]
	ds_load_b128 v[2:5], v1 offset:1008
	scratch_load_b128 v[18:21], off, off offset:368
	v_add_f64_e32 v[149:150], v[149:150], v[159:160]
	v_add_f64_e32 v[151:152], v[151:152], v[157:158]
	v_fma_f64 v[155:156], v[8:9], v[22:23], v[155:156]
	v_fma_f64 v[159:160], v[6:7], v[22:23], -v[24:25]
	ds_load_b128 v[6:9], v1 offset:1024
	s_wait_loadcnt_dscnt 0x801
	v_mul_f64_e32 v[157:158], v[2:3], v[28:29]
	v_mul_f64_e32 v[28:29], v[4:5], v[28:29]
	scratch_load_b128 v[22:25], off, off offset:384
	v_add_f64_e32 v[149:150], v[149:150], v[161:162]
	v_add_f64_e32 v[151:152], v[151:152], v[153:154]
	s_wait_loadcnt_dscnt 0x800
	v_mul_f64_e32 v[153:154], v[6:7], v[32:33]
	v_mul_f64_e32 v[32:33], v[8:9], v[32:33]
	v_fma_f64 v[157:158], v[4:5], v[26:27], v[157:158]
	v_fma_f64 v[161:162], v[2:3], v[26:27], -v[28:29]
	ds_load_b128 v[2:5], v1 offset:1040
	scratch_load_b128 v[26:29], off, off offset:400
	v_add_f64_e32 v[149:150], v[149:150], v[159:160]
	v_add_f64_e32 v[151:152], v[151:152], v[155:156]
	v_fma_f64 v[153:154], v[8:9], v[30:31], v[153:154]
	v_fma_f64 v[159:160], v[6:7], v[30:31], -v[32:33]
	ds_load_b128 v[6:9], v1 offset:1056
	s_wait_loadcnt_dscnt 0x801
	v_mul_f64_e32 v[155:156], v[2:3], v[36:37]
	v_mul_f64_e32 v[36:37], v[4:5], v[36:37]
	scratch_load_b128 v[30:33], off, off offset:416
	v_add_f64_e32 v[149:150], v[149:150], v[161:162]
	v_add_f64_e32 v[151:152], v[151:152], v[157:158]
	s_wait_loadcnt_dscnt 0x800
	v_mul_f64_e32 v[157:158], v[6:7], v[147:148]
	v_mul_f64_e32 v[147:148], v[8:9], v[147:148]
	v_fma_f64 v[155:156], v[4:5], v[34:35], v[155:156]
	v_fma_f64 v[161:162], v[2:3], v[34:35], -v[36:37]
	ds_load_b128 v[2:5], v1 offset:1072
	scratch_load_b128 v[34:37], off, off offset:432
	v_add_f64_e32 v[149:150], v[149:150], v[159:160]
	v_add_f64_e32 v[151:152], v[151:152], v[153:154]
	v_fma_f64 v[157:158], v[8:9], v[145:146], v[157:158]
	v_fma_f64 v[159:160], v[6:7], v[145:146], -v[147:148]
	ds_load_b128 v[6:9], v1 offset:1088
	scratch_load_b128 v[145:148], off, off offset:448
	s_wait_loadcnt_dscnt 0x901
	v_mul_f64_e32 v[153:154], v[2:3], v[40:41]
	v_mul_f64_e32 v[40:41], v[4:5], v[40:41]
	v_add_f64_e32 v[149:150], v[149:150], v[161:162]
	v_add_f64_e32 v[151:152], v[151:152], v[155:156]
	s_wait_loadcnt_dscnt 0x800
	v_mul_f64_e32 v[155:156], v[6:7], v[143:144]
	v_mul_f64_e32 v[143:144], v[8:9], v[143:144]
	v_fma_f64 v[153:154], v[4:5], v[38:39], v[153:154]
	v_fma_f64 v[161:162], v[2:3], v[38:39], -v[40:41]
	ds_load_b128 v[2:5], v1 offset:1104
	scratch_load_b128 v[38:41], off, off offset:464
	v_add_f64_e32 v[149:150], v[149:150], v[159:160]
	v_add_f64_e32 v[151:152], v[151:152], v[157:158]
	v_fma_f64 v[155:156], v[8:9], v[141:142], v[155:156]
	v_fma_f64 v[159:160], v[6:7], v[141:142], -v[143:144]
	ds_load_b128 v[6:9], v1 offset:1120
	s_wait_loadcnt_dscnt 0x801
	v_mul_f64_e32 v[157:158], v[2:3], v[12:13]
	v_mul_f64_e32 v[12:13], v[4:5], v[12:13]
	scratch_load_b128 v[141:144], off, off offset:480
	v_add_f64_e32 v[149:150], v[149:150], v[161:162]
	v_add_f64_e32 v[151:152], v[151:152], v[153:154]
	s_wait_loadcnt_dscnt 0x800
	v_mul_f64_e32 v[153:154], v[6:7], v[16:17]
	v_mul_f64_e32 v[16:17], v[8:9], v[16:17]
	v_fma_f64 v[157:158], v[4:5], v[10:11], v[157:158]
	v_fma_f64 v[161:162], v[2:3], v[10:11], -v[12:13]
	ds_load_b128 v[2:5], v1 offset:1136
	scratch_load_b128 v[10:13], off, off offset:496
	v_add_f64_e32 v[149:150], v[149:150], v[159:160]
	v_add_f64_e32 v[151:152], v[151:152], v[155:156]
	v_fma_f64 v[153:154], v[8:9], v[14:15], v[153:154]
	v_fma_f64 v[159:160], v[6:7], v[14:15], -v[16:17]
	ds_load_b128 v[6:9], v1 offset:1152
	s_wait_loadcnt_dscnt 0x801
	v_mul_f64_e32 v[155:156], v[2:3], v[20:21]
	v_mul_f64_e32 v[20:21], v[4:5], v[20:21]
	scratch_load_b128 v[14:17], off, off offset:512
	;; [unrolled: 18-line block ×10, first 2 shown]
	v_add_f64_e32 v[149:150], v[149:150], v[161:162]
	v_add_f64_e32 v[151:152], v[151:152], v[153:154]
	s_wait_loadcnt_dscnt 0x800
	v_mul_f64_e32 v[153:154], v[6:7], v[143:144]
	v_mul_f64_e32 v[143:144], v[8:9], v[143:144]
	v_fma_f64 v[157:158], v[4:5], v[38:39], v[157:158]
	v_fma_f64 v[161:162], v[2:3], v[38:39], -v[40:41]
	ds_load_b128 v[2:5], v1 offset:1424
	scratch_load_b128 v[38:41], off, off offset:784
	v_add_f64_e32 v[149:150], v[149:150], v[159:160]
	v_add_f64_e32 v[151:152], v[151:152], v[155:156]
	v_fma_f64 v[153:154], v[8:9], v[141:142], v[153:154]
	v_fma_f64 v[141:142], v[6:7], v[141:142], -v[143:144]
	ds_load_b128 v[6:9], v1 offset:1440
	s_wait_loadcnt_dscnt 0x801
	v_mul_f64_e32 v[155:156], v[2:3], v[12:13]
	v_mul_f64_e32 v[12:13], v[4:5], v[12:13]
	v_add_f64_e32 v[143:144], v[149:150], v[161:162]
	v_add_f64_e32 v[149:150], v[151:152], v[157:158]
	s_wait_loadcnt_dscnt 0x700
	v_mul_f64_e32 v[151:152], v[6:7], v[16:17]
	v_mul_f64_e32 v[16:17], v[8:9], v[16:17]
	v_fma_f64 v[155:156], v[4:5], v[10:11], v[155:156]
	v_fma_f64 v[10:11], v[2:3], v[10:11], -v[12:13]
	ds_load_b128 v[2:5], v1 offset:1456
	v_add_f64_e32 v[12:13], v[143:144], v[141:142]
	v_add_f64_e32 v[141:142], v[149:150], v[153:154]
	v_fma_f64 v[149:150], v[8:9], v[14:15], v[151:152]
	v_fma_f64 v[14:15], v[6:7], v[14:15], -v[16:17]
	ds_load_b128 v[6:9], v1 offset:1472
	s_wait_loadcnt_dscnt 0x500
	v_mul_f64_e32 v[151:152], v[6:7], v[24:25]
	v_mul_f64_e32 v[24:25], v[8:9], v[24:25]
	v_add_f64_e32 v[16:17], v[12:13], v[10:11]
	v_add_f64_e32 v[141:142], v[141:142], v[155:156]
	scratch_load_b128 v[10:13], off, off offset:128
	v_mul_f64_e32 v[143:144], v[2:3], v[20:21]
	v_mul_f64_e32 v[20:21], v[4:5], v[20:21]
	v_add_f64_e32 v[14:15], v[16:17], v[14:15]
	v_add_f64_e32 v[16:17], v[141:142], v[149:150]
	v_fma_f64 v[141:142], v[8:9], v[22:23], v[151:152]
	v_fma_f64 v[143:144], v[4:5], v[18:19], v[143:144]
	v_fma_f64 v[18:19], v[2:3], v[18:19], -v[20:21]
	ds_load_b128 v[2:5], v1 offset:1488
	v_fma_f64 v[22:23], v[6:7], v[22:23], -v[24:25]
	ds_load_b128 v[6:9], v1 offset:1504
	s_wait_loadcnt_dscnt 0x501
	v_mul_f64_e32 v[20:21], v[2:3], v[28:29]
	v_mul_f64_e32 v[28:29], v[4:5], v[28:29]
	s_wait_loadcnt_dscnt 0x400
	v_mul_f64_e32 v[24:25], v[8:9], v[32:33]
	v_add_f64_e32 v[16:17], v[16:17], v[143:144]
	v_add_f64_e32 v[14:15], v[14:15], v[18:19]
	v_mul_f64_e32 v[18:19], v[6:7], v[32:33]
	v_fma_f64 v[20:21], v[4:5], v[26:27], v[20:21]
	v_fma_f64 v[26:27], v[2:3], v[26:27], -v[28:29]
	ds_load_b128 v[2:5], v1 offset:1520
	v_fma_f64 v[24:25], v[6:7], v[30:31], -v[24:25]
	v_add_f64_e32 v[16:17], v[16:17], v[141:142]
	v_add_f64_e32 v[14:15], v[14:15], v[22:23]
	v_fma_f64 v[18:19], v[8:9], v[30:31], v[18:19]
	ds_load_b128 v[6:9], v1 offset:1536
	s_wait_loadcnt_dscnt 0x301
	v_mul_f64_e32 v[22:23], v[2:3], v[36:37]
	v_mul_f64_e32 v[28:29], v[4:5], v[36:37]
	v_add_f64_e32 v[16:17], v[16:17], v[20:21]
	v_add_f64_e32 v[14:15], v[14:15], v[26:27]
	s_wait_loadcnt_dscnt 0x200
	v_mul_f64_e32 v[20:21], v[6:7], v[147:148]
	v_mul_f64_e32 v[26:27], v[8:9], v[147:148]
	v_fma_f64 v[22:23], v[4:5], v[34:35], v[22:23]
	v_fma_f64 v[28:29], v[2:3], v[34:35], -v[28:29]
	ds_load_b128 v[2:5], v1 offset:1552
	v_add_f64_e32 v[16:17], v[16:17], v[18:19]
	v_add_f64_e32 v[14:15], v[14:15], v[24:25]
	s_wait_loadcnt_dscnt 0x100
	v_mul_f64_e32 v[18:19], v[2:3], v[40:41]
	v_mul_f64_e32 v[24:25], v[4:5], v[40:41]
	v_fma_f64 v[8:9], v[8:9], v[145:146], v[20:21]
	v_fma_f64 v[6:7], v[6:7], v[145:146], -v[26:27]
	v_add_f64_e32 v[16:17], v[16:17], v[22:23]
	v_add_f64_e32 v[14:15], v[14:15], v[28:29]
	v_fma_f64 v[4:5], v[4:5], v[38:39], v[18:19]
	v_fma_f64 v[2:3], v[2:3], v[38:39], -v[24:25]
	s_delay_alu instid0(VALU_DEP_4) | instskip(NEXT) | instid1(VALU_DEP_4)
	v_add_f64_e32 v[8:9], v[16:17], v[8:9]
	v_add_f64_e32 v[6:7], v[14:15], v[6:7]
	s_delay_alu instid0(VALU_DEP_2) | instskip(NEXT) | instid1(VALU_DEP_2)
	v_add_f64_e32 v[4:5], v[8:9], v[4:5]
	v_add_f64_e32 v[2:3], v[6:7], v[2:3]
	s_wait_loadcnt 0x0
	s_delay_alu instid0(VALU_DEP_2) | instskip(NEXT) | instid1(VALU_DEP_2)
	v_add_f64_e64 v[4:5], v[12:13], -v[4:5]
	v_add_f64_e64 v[2:3], v[10:11], -v[2:3]
	scratch_store_b128 off, v[2:5], off offset:128
	v_cmpx_lt_u32_e32 6, v0
	s_cbranch_execz .LBB112_295
; %bb.294:
	scratch_load_b128 v[5:8], off, s56
	v_dual_mov_b32 v2, v1 :: v_dual_mov_b32 v3, v1
	v_mov_b32_e32 v4, v1
	scratch_store_b128 off, v[1:4], off offset:112
	s_wait_loadcnt 0x0
	ds_store_b128 v140, v[5:8]
.LBB112_295:
	s_wait_alu 0xfffe
	s_or_b32 exec_lo, exec_lo, s0
	s_wait_storecnt_dscnt 0x0
	s_barrier_signal -1
	s_barrier_wait -1
	global_inv scope:SCOPE_SE
	s_clause 0x7
	scratch_load_b128 v[2:5], off, off offset:128
	scratch_load_b128 v[6:9], off, off offset:144
	;; [unrolled: 1-line block ×8, first 2 shown]
	ds_load_b128 v[38:41], v1 offset:896
	ds_load_b128 v[141:144], v1 offset:912
	s_clause 0x1
	scratch_load_b128 v[34:37], off, off offset:256
	scratch_load_b128 v[145:148], off, off offset:272
	s_mov_b32 s0, exec_lo
	s_wait_loadcnt_dscnt 0x901
	v_mul_f64_e32 v[149:150], v[40:41], v[4:5]
	v_mul_f64_e32 v[4:5], v[38:39], v[4:5]
	s_wait_loadcnt_dscnt 0x800
	v_mul_f64_e32 v[151:152], v[141:142], v[8:9]
	v_mul_f64_e32 v[8:9], v[143:144], v[8:9]
	s_delay_alu instid0(VALU_DEP_4) | instskip(NEXT) | instid1(VALU_DEP_4)
	v_fma_f64 v[149:150], v[38:39], v[2:3], -v[149:150]
	v_fma_f64 v[153:154], v[40:41], v[2:3], v[4:5]
	ds_load_b128 v[2:5], v1 offset:928
	scratch_load_b128 v[38:41], off, off offset:288
	v_fma_f64 v[151:152], v[143:144], v[6:7], v[151:152]
	v_fma_f64 v[157:158], v[141:142], v[6:7], -v[8:9]
	ds_load_b128 v[6:9], v1 offset:944
	scratch_load_b128 v[141:144], off, off offset:304
	s_wait_loadcnt_dscnt 0x901
	v_mul_f64_e32 v[155:156], v[2:3], v[12:13]
	v_mul_f64_e32 v[12:13], v[4:5], v[12:13]
	s_wait_loadcnt_dscnt 0x800
	v_mul_f64_e32 v[159:160], v[6:7], v[16:17]
	v_mul_f64_e32 v[16:17], v[8:9], v[16:17]
	v_add_f64_e32 v[149:150], 0, v[149:150]
	v_add_f64_e32 v[153:154], 0, v[153:154]
	v_fma_f64 v[155:156], v[4:5], v[10:11], v[155:156]
	v_fma_f64 v[161:162], v[2:3], v[10:11], -v[12:13]
	ds_load_b128 v[2:5], v1 offset:960
	scratch_load_b128 v[10:13], off, off offset:320
	v_add_f64_e32 v[149:150], v[149:150], v[157:158]
	v_add_f64_e32 v[151:152], v[153:154], v[151:152]
	v_fma_f64 v[157:158], v[8:9], v[14:15], v[159:160]
	v_fma_f64 v[159:160], v[6:7], v[14:15], -v[16:17]
	ds_load_b128 v[6:9], v1 offset:976
	scratch_load_b128 v[14:17], off, off offset:336
	s_wait_loadcnt_dscnt 0x901
	v_mul_f64_e32 v[153:154], v[2:3], v[20:21]
	v_mul_f64_e32 v[20:21], v[4:5], v[20:21]
	v_add_f64_e32 v[149:150], v[149:150], v[161:162]
	v_add_f64_e32 v[151:152], v[151:152], v[155:156]
	s_wait_loadcnt_dscnt 0x800
	v_mul_f64_e32 v[155:156], v[6:7], v[24:25]
	v_mul_f64_e32 v[24:25], v[8:9], v[24:25]
	v_fma_f64 v[153:154], v[4:5], v[18:19], v[153:154]
	v_fma_f64 v[161:162], v[2:3], v[18:19], -v[20:21]
	ds_load_b128 v[2:5], v1 offset:992
	scratch_load_b128 v[18:21], off, off offset:352
	v_add_f64_e32 v[149:150], v[149:150], v[159:160]
	v_add_f64_e32 v[151:152], v[151:152], v[157:158]
	v_fma_f64 v[155:156], v[8:9], v[22:23], v[155:156]
	v_fma_f64 v[159:160], v[6:7], v[22:23], -v[24:25]
	ds_load_b128 v[6:9], v1 offset:1008
	s_wait_loadcnt_dscnt 0x801
	v_mul_f64_e32 v[157:158], v[2:3], v[28:29]
	v_mul_f64_e32 v[28:29], v[4:5], v[28:29]
	scratch_load_b128 v[22:25], off, off offset:368
	v_add_f64_e32 v[149:150], v[149:150], v[161:162]
	v_add_f64_e32 v[151:152], v[151:152], v[153:154]
	s_wait_loadcnt_dscnt 0x800
	v_mul_f64_e32 v[153:154], v[6:7], v[32:33]
	v_mul_f64_e32 v[32:33], v[8:9], v[32:33]
	v_fma_f64 v[157:158], v[4:5], v[26:27], v[157:158]
	v_fma_f64 v[161:162], v[2:3], v[26:27], -v[28:29]
	ds_load_b128 v[2:5], v1 offset:1024
	scratch_load_b128 v[26:29], off, off offset:384
	v_add_f64_e32 v[149:150], v[149:150], v[159:160]
	v_add_f64_e32 v[151:152], v[151:152], v[155:156]
	v_fma_f64 v[153:154], v[8:9], v[30:31], v[153:154]
	v_fma_f64 v[159:160], v[6:7], v[30:31], -v[32:33]
	ds_load_b128 v[6:9], v1 offset:1040
	s_wait_loadcnt_dscnt 0x801
	v_mul_f64_e32 v[155:156], v[2:3], v[36:37]
	v_mul_f64_e32 v[36:37], v[4:5], v[36:37]
	scratch_load_b128 v[30:33], off, off offset:400
	v_add_f64_e32 v[149:150], v[149:150], v[161:162]
	v_add_f64_e32 v[151:152], v[151:152], v[157:158]
	s_wait_loadcnt_dscnt 0x800
	v_mul_f64_e32 v[157:158], v[6:7], v[147:148]
	v_mul_f64_e32 v[147:148], v[8:9], v[147:148]
	v_fma_f64 v[155:156], v[4:5], v[34:35], v[155:156]
	v_fma_f64 v[161:162], v[2:3], v[34:35], -v[36:37]
	ds_load_b128 v[2:5], v1 offset:1056
	scratch_load_b128 v[34:37], off, off offset:416
	v_add_f64_e32 v[149:150], v[149:150], v[159:160]
	v_add_f64_e32 v[151:152], v[151:152], v[153:154]
	v_fma_f64 v[157:158], v[8:9], v[145:146], v[157:158]
	v_fma_f64 v[159:160], v[6:7], v[145:146], -v[147:148]
	ds_load_b128 v[6:9], v1 offset:1072
	scratch_load_b128 v[145:148], off, off offset:432
	s_wait_loadcnt_dscnt 0x901
	v_mul_f64_e32 v[153:154], v[2:3], v[40:41]
	v_mul_f64_e32 v[40:41], v[4:5], v[40:41]
	v_add_f64_e32 v[149:150], v[149:150], v[161:162]
	v_add_f64_e32 v[151:152], v[151:152], v[155:156]
	s_wait_loadcnt_dscnt 0x800
	v_mul_f64_e32 v[155:156], v[6:7], v[143:144]
	v_mul_f64_e32 v[143:144], v[8:9], v[143:144]
	v_fma_f64 v[153:154], v[4:5], v[38:39], v[153:154]
	v_fma_f64 v[161:162], v[2:3], v[38:39], -v[40:41]
	ds_load_b128 v[2:5], v1 offset:1088
	scratch_load_b128 v[38:41], off, off offset:448
	v_add_f64_e32 v[149:150], v[149:150], v[159:160]
	v_add_f64_e32 v[151:152], v[151:152], v[157:158]
	v_fma_f64 v[155:156], v[8:9], v[141:142], v[155:156]
	v_fma_f64 v[159:160], v[6:7], v[141:142], -v[143:144]
	ds_load_b128 v[6:9], v1 offset:1104
	s_wait_loadcnt_dscnt 0x801
	v_mul_f64_e32 v[157:158], v[2:3], v[12:13]
	v_mul_f64_e32 v[12:13], v[4:5], v[12:13]
	scratch_load_b128 v[141:144], off, off offset:464
	v_add_f64_e32 v[149:150], v[149:150], v[161:162]
	v_add_f64_e32 v[151:152], v[151:152], v[153:154]
	s_wait_loadcnt_dscnt 0x800
	v_mul_f64_e32 v[153:154], v[6:7], v[16:17]
	v_mul_f64_e32 v[16:17], v[8:9], v[16:17]
	v_fma_f64 v[157:158], v[4:5], v[10:11], v[157:158]
	v_fma_f64 v[161:162], v[2:3], v[10:11], -v[12:13]
	ds_load_b128 v[2:5], v1 offset:1120
	scratch_load_b128 v[10:13], off, off offset:480
	v_add_f64_e32 v[149:150], v[149:150], v[159:160]
	v_add_f64_e32 v[151:152], v[151:152], v[155:156]
	v_fma_f64 v[153:154], v[8:9], v[14:15], v[153:154]
	v_fma_f64 v[159:160], v[6:7], v[14:15], -v[16:17]
	ds_load_b128 v[6:9], v1 offset:1136
	s_wait_loadcnt_dscnt 0x801
	v_mul_f64_e32 v[155:156], v[2:3], v[20:21]
	v_mul_f64_e32 v[20:21], v[4:5], v[20:21]
	scratch_load_b128 v[14:17], off, off offset:496
	v_add_f64_e32 v[149:150], v[149:150], v[161:162]
	v_add_f64_e32 v[151:152], v[151:152], v[157:158]
	s_wait_loadcnt_dscnt 0x800
	v_mul_f64_e32 v[157:158], v[6:7], v[24:25]
	v_mul_f64_e32 v[24:25], v[8:9], v[24:25]
	v_fma_f64 v[155:156], v[4:5], v[18:19], v[155:156]
	v_fma_f64 v[161:162], v[2:3], v[18:19], -v[20:21]
	ds_load_b128 v[2:5], v1 offset:1152
	scratch_load_b128 v[18:21], off, off offset:512
	v_add_f64_e32 v[149:150], v[149:150], v[159:160]
	v_add_f64_e32 v[151:152], v[151:152], v[153:154]
	v_fma_f64 v[157:158], v[8:9], v[22:23], v[157:158]
	v_fma_f64 v[159:160], v[6:7], v[22:23], -v[24:25]
	ds_load_b128 v[6:9], v1 offset:1168
	s_wait_loadcnt_dscnt 0x801
	v_mul_f64_e32 v[153:154], v[2:3], v[28:29]
	v_mul_f64_e32 v[28:29], v[4:5], v[28:29]
	scratch_load_b128 v[22:25], off, off offset:528
	v_add_f64_e32 v[149:150], v[149:150], v[161:162]
	v_add_f64_e32 v[151:152], v[151:152], v[155:156]
	s_wait_loadcnt_dscnt 0x800
	v_mul_f64_e32 v[155:156], v[6:7], v[32:33]
	v_mul_f64_e32 v[32:33], v[8:9], v[32:33]
	v_fma_f64 v[153:154], v[4:5], v[26:27], v[153:154]
	v_fma_f64 v[161:162], v[2:3], v[26:27], -v[28:29]
	ds_load_b128 v[2:5], v1 offset:1184
	scratch_load_b128 v[26:29], off, off offset:544
	v_add_f64_e32 v[149:150], v[149:150], v[159:160]
	v_add_f64_e32 v[151:152], v[151:152], v[157:158]
	v_fma_f64 v[155:156], v[8:9], v[30:31], v[155:156]
	v_fma_f64 v[159:160], v[6:7], v[30:31], -v[32:33]
	ds_load_b128 v[6:9], v1 offset:1200
	s_wait_loadcnt_dscnt 0x801
	v_mul_f64_e32 v[157:158], v[2:3], v[36:37]
	v_mul_f64_e32 v[36:37], v[4:5], v[36:37]
	scratch_load_b128 v[30:33], off, off offset:560
	v_add_f64_e32 v[149:150], v[149:150], v[161:162]
	v_add_f64_e32 v[151:152], v[151:152], v[153:154]
	s_wait_loadcnt_dscnt 0x800
	v_mul_f64_e32 v[153:154], v[6:7], v[147:148]
	v_mul_f64_e32 v[147:148], v[8:9], v[147:148]
	v_fma_f64 v[157:158], v[4:5], v[34:35], v[157:158]
	v_fma_f64 v[161:162], v[2:3], v[34:35], -v[36:37]
	ds_load_b128 v[2:5], v1 offset:1216
	scratch_load_b128 v[34:37], off, off offset:576
	v_add_f64_e32 v[149:150], v[149:150], v[159:160]
	v_add_f64_e32 v[151:152], v[151:152], v[155:156]
	v_fma_f64 v[153:154], v[8:9], v[145:146], v[153:154]
	v_fma_f64 v[159:160], v[6:7], v[145:146], -v[147:148]
	ds_load_b128 v[6:9], v1 offset:1232
	s_wait_loadcnt_dscnt 0x801
	v_mul_f64_e32 v[155:156], v[2:3], v[40:41]
	v_mul_f64_e32 v[40:41], v[4:5], v[40:41]
	scratch_load_b128 v[145:148], off, off offset:592
	v_add_f64_e32 v[149:150], v[149:150], v[161:162]
	v_add_f64_e32 v[151:152], v[151:152], v[157:158]
	s_wait_loadcnt_dscnt 0x800
	v_mul_f64_e32 v[157:158], v[6:7], v[143:144]
	v_mul_f64_e32 v[143:144], v[8:9], v[143:144]
	v_fma_f64 v[155:156], v[4:5], v[38:39], v[155:156]
	v_fma_f64 v[161:162], v[2:3], v[38:39], -v[40:41]
	ds_load_b128 v[2:5], v1 offset:1248
	scratch_load_b128 v[38:41], off, off offset:608
	v_add_f64_e32 v[149:150], v[149:150], v[159:160]
	v_add_f64_e32 v[151:152], v[151:152], v[153:154]
	v_fma_f64 v[157:158], v[8:9], v[141:142], v[157:158]
	v_fma_f64 v[159:160], v[6:7], v[141:142], -v[143:144]
	ds_load_b128 v[6:9], v1 offset:1264
	s_wait_loadcnt_dscnt 0x801
	v_mul_f64_e32 v[153:154], v[2:3], v[12:13]
	v_mul_f64_e32 v[12:13], v[4:5], v[12:13]
	scratch_load_b128 v[141:144], off, off offset:624
	v_add_f64_e32 v[149:150], v[149:150], v[161:162]
	v_add_f64_e32 v[151:152], v[151:152], v[155:156]
	s_wait_loadcnt_dscnt 0x800
	v_mul_f64_e32 v[155:156], v[6:7], v[16:17]
	v_mul_f64_e32 v[16:17], v[8:9], v[16:17]
	v_fma_f64 v[153:154], v[4:5], v[10:11], v[153:154]
	v_fma_f64 v[161:162], v[2:3], v[10:11], -v[12:13]
	ds_load_b128 v[2:5], v1 offset:1280
	scratch_load_b128 v[10:13], off, off offset:640
	v_add_f64_e32 v[149:150], v[149:150], v[159:160]
	v_add_f64_e32 v[151:152], v[151:152], v[157:158]
	v_fma_f64 v[155:156], v[8:9], v[14:15], v[155:156]
	v_fma_f64 v[159:160], v[6:7], v[14:15], -v[16:17]
	ds_load_b128 v[6:9], v1 offset:1296
	s_wait_loadcnt_dscnt 0x801
	v_mul_f64_e32 v[157:158], v[2:3], v[20:21]
	v_mul_f64_e32 v[20:21], v[4:5], v[20:21]
	scratch_load_b128 v[14:17], off, off offset:656
	v_add_f64_e32 v[149:150], v[149:150], v[161:162]
	v_add_f64_e32 v[151:152], v[151:152], v[153:154]
	s_wait_loadcnt_dscnt 0x800
	v_mul_f64_e32 v[153:154], v[6:7], v[24:25]
	v_mul_f64_e32 v[24:25], v[8:9], v[24:25]
	v_fma_f64 v[157:158], v[4:5], v[18:19], v[157:158]
	v_fma_f64 v[161:162], v[2:3], v[18:19], -v[20:21]
	ds_load_b128 v[2:5], v1 offset:1312
	scratch_load_b128 v[18:21], off, off offset:672
	v_add_f64_e32 v[149:150], v[149:150], v[159:160]
	v_add_f64_e32 v[151:152], v[151:152], v[155:156]
	v_fma_f64 v[153:154], v[8:9], v[22:23], v[153:154]
	v_fma_f64 v[159:160], v[6:7], v[22:23], -v[24:25]
	ds_load_b128 v[6:9], v1 offset:1328
	s_wait_loadcnt_dscnt 0x801
	v_mul_f64_e32 v[155:156], v[2:3], v[28:29]
	v_mul_f64_e32 v[28:29], v[4:5], v[28:29]
	scratch_load_b128 v[22:25], off, off offset:688
	v_add_f64_e32 v[149:150], v[149:150], v[161:162]
	v_add_f64_e32 v[151:152], v[151:152], v[157:158]
	s_wait_loadcnt_dscnt 0x800
	v_mul_f64_e32 v[157:158], v[6:7], v[32:33]
	v_mul_f64_e32 v[32:33], v[8:9], v[32:33]
	v_fma_f64 v[155:156], v[4:5], v[26:27], v[155:156]
	v_fma_f64 v[161:162], v[2:3], v[26:27], -v[28:29]
	ds_load_b128 v[2:5], v1 offset:1344
	scratch_load_b128 v[26:29], off, off offset:704
	v_add_f64_e32 v[149:150], v[149:150], v[159:160]
	v_add_f64_e32 v[151:152], v[151:152], v[153:154]
	v_fma_f64 v[157:158], v[8:9], v[30:31], v[157:158]
	v_fma_f64 v[159:160], v[6:7], v[30:31], -v[32:33]
	ds_load_b128 v[6:9], v1 offset:1360
	s_wait_loadcnt_dscnt 0x801
	v_mul_f64_e32 v[153:154], v[2:3], v[36:37]
	v_mul_f64_e32 v[36:37], v[4:5], v[36:37]
	scratch_load_b128 v[30:33], off, off offset:720
	v_add_f64_e32 v[149:150], v[149:150], v[161:162]
	v_add_f64_e32 v[151:152], v[151:152], v[155:156]
	s_wait_loadcnt_dscnt 0x800
	v_mul_f64_e32 v[155:156], v[6:7], v[147:148]
	v_mul_f64_e32 v[147:148], v[8:9], v[147:148]
	v_fma_f64 v[153:154], v[4:5], v[34:35], v[153:154]
	v_fma_f64 v[161:162], v[2:3], v[34:35], -v[36:37]
	ds_load_b128 v[2:5], v1 offset:1376
	scratch_load_b128 v[34:37], off, off offset:736
	v_add_f64_e32 v[149:150], v[149:150], v[159:160]
	v_add_f64_e32 v[151:152], v[151:152], v[157:158]
	v_fma_f64 v[155:156], v[8:9], v[145:146], v[155:156]
	v_fma_f64 v[159:160], v[6:7], v[145:146], -v[147:148]
	ds_load_b128 v[6:9], v1 offset:1392
	s_wait_loadcnt_dscnt 0x801
	v_mul_f64_e32 v[157:158], v[2:3], v[40:41]
	v_mul_f64_e32 v[40:41], v[4:5], v[40:41]
	scratch_load_b128 v[145:148], off, off offset:752
	v_add_f64_e32 v[149:150], v[149:150], v[161:162]
	v_add_f64_e32 v[151:152], v[151:152], v[153:154]
	s_wait_loadcnt_dscnt 0x800
	v_mul_f64_e32 v[153:154], v[6:7], v[143:144]
	v_mul_f64_e32 v[143:144], v[8:9], v[143:144]
	v_fma_f64 v[157:158], v[4:5], v[38:39], v[157:158]
	v_fma_f64 v[161:162], v[2:3], v[38:39], -v[40:41]
	ds_load_b128 v[2:5], v1 offset:1408
	scratch_load_b128 v[38:41], off, off offset:768
	v_add_f64_e32 v[149:150], v[149:150], v[159:160]
	v_add_f64_e32 v[151:152], v[151:152], v[155:156]
	v_fma_f64 v[153:154], v[8:9], v[141:142], v[153:154]
	v_fma_f64 v[159:160], v[6:7], v[141:142], -v[143:144]
	ds_load_b128 v[6:9], v1 offset:1424
	s_wait_loadcnt_dscnt 0x801
	v_mul_f64_e32 v[155:156], v[2:3], v[12:13]
	v_mul_f64_e32 v[12:13], v[4:5], v[12:13]
	scratch_load_b128 v[141:144], off, off offset:784
	v_add_f64_e32 v[149:150], v[149:150], v[161:162]
	v_add_f64_e32 v[151:152], v[151:152], v[157:158]
	s_wait_loadcnt_dscnt 0x800
	v_mul_f64_e32 v[157:158], v[6:7], v[16:17]
	v_mul_f64_e32 v[16:17], v[8:9], v[16:17]
	v_fma_f64 v[155:156], v[4:5], v[10:11], v[155:156]
	v_fma_f64 v[10:11], v[2:3], v[10:11], -v[12:13]
	ds_load_b128 v[2:5], v1 offset:1440
	v_add_f64_e32 v[12:13], v[149:150], v[159:160]
	v_add_f64_e32 v[149:150], v[151:152], v[153:154]
	v_fma_f64 v[153:154], v[8:9], v[14:15], v[157:158]
	v_fma_f64 v[14:15], v[6:7], v[14:15], -v[16:17]
	ds_load_b128 v[6:9], v1 offset:1456
	s_wait_loadcnt_dscnt 0x701
	v_mul_f64_e32 v[151:152], v[2:3], v[20:21]
	v_mul_f64_e32 v[20:21], v[4:5], v[20:21]
	v_add_f64_e32 v[10:11], v[12:13], v[10:11]
	v_add_f64_e32 v[12:13], v[149:150], v[155:156]
	s_delay_alu instid0(VALU_DEP_4) | instskip(NEXT) | instid1(VALU_DEP_4)
	v_fma_f64 v[149:150], v[4:5], v[18:19], v[151:152]
	v_fma_f64 v[18:19], v[2:3], v[18:19], -v[20:21]
	ds_load_b128 v[2:5], v1 offset:1472
	v_add_f64_e32 v[14:15], v[10:11], v[14:15]
	v_add_f64_e32 v[20:21], v[12:13], v[153:154]
	scratch_load_b128 v[10:13], off, off offset:112
	s_wait_loadcnt_dscnt 0x701
	v_mul_f64_e32 v[16:17], v[6:7], v[24:25]
	v_mul_f64_e32 v[24:25], v[8:9], v[24:25]
	v_add_f64_e32 v[14:15], v[14:15], v[18:19]
	v_add_f64_e32 v[18:19], v[20:21], v[149:150]
	s_delay_alu instid0(VALU_DEP_4) | instskip(NEXT) | instid1(VALU_DEP_4)
	v_fma_f64 v[16:17], v[8:9], v[22:23], v[16:17]
	v_fma_f64 v[22:23], v[6:7], v[22:23], -v[24:25]
	ds_load_b128 v[6:9], v1 offset:1488
	s_wait_loadcnt_dscnt 0x601
	v_mul_f64_e32 v[151:152], v[2:3], v[28:29]
	v_mul_f64_e32 v[28:29], v[4:5], v[28:29]
	s_wait_loadcnt_dscnt 0x500
	v_mul_f64_e32 v[20:21], v[6:7], v[32:33]
	v_mul_f64_e32 v[24:25], v[8:9], v[32:33]
	v_add_f64_e32 v[16:17], v[18:19], v[16:17]
	v_add_f64_e32 v[14:15], v[14:15], v[22:23]
	v_fma_f64 v[32:33], v[4:5], v[26:27], v[151:152]
	v_fma_f64 v[26:27], v[2:3], v[26:27], -v[28:29]
	ds_load_b128 v[2:5], v1 offset:1504
	v_fma_f64 v[20:21], v[8:9], v[30:31], v[20:21]
	v_fma_f64 v[24:25], v[6:7], v[30:31], -v[24:25]
	ds_load_b128 v[6:9], v1 offset:1520
	s_wait_loadcnt_dscnt 0x401
	v_mul_f64_e32 v[18:19], v[2:3], v[36:37]
	v_mul_f64_e32 v[22:23], v[4:5], v[36:37]
	v_add_f64_e32 v[16:17], v[16:17], v[32:33]
	v_add_f64_e32 v[14:15], v[14:15], v[26:27]
	s_wait_loadcnt_dscnt 0x300
	v_mul_f64_e32 v[26:27], v[6:7], v[147:148]
	v_mul_f64_e32 v[28:29], v[8:9], v[147:148]
	v_fma_f64 v[18:19], v[4:5], v[34:35], v[18:19]
	v_fma_f64 v[22:23], v[2:3], v[34:35], -v[22:23]
	ds_load_b128 v[2:5], v1 offset:1536
	v_add_f64_e32 v[16:17], v[16:17], v[20:21]
	v_add_f64_e32 v[14:15], v[14:15], v[24:25]
	v_fma_f64 v[26:27], v[8:9], v[145:146], v[26:27]
	v_fma_f64 v[28:29], v[6:7], v[145:146], -v[28:29]
	ds_load_b128 v[6:9], v1 offset:1552
	s_wait_loadcnt_dscnt 0x201
	v_mul_f64_e32 v[20:21], v[2:3], v[40:41]
	v_mul_f64_e32 v[24:25], v[4:5], v[40:41]
	v_add_f64_e32 v[16:17], v[16:17], v[18:19]
	v_add_f64_e32 v[14:15], v[14:15], v[22:23]
	s_wait_loadcnt_dscnt 0x100
	v_mul_f64_e32 v[18:19], v[6:7], v[143:144]
	v_mul_f64_e32 v[22:23], v[8:9], v[143:144]
	v_fma_f64 v[4:5], v[4:5], v[38:39], v[20:21]
	v_fma_f64 v[1:2], v[2:3], v[38:39], -v[24:25]
	v_add_f64_e32 v[16:17], v[16:17], v[26:27]
	v_add_f64_e32 v[14:15], v[14:15], v[28:29]
	v_fma_f64 v[8:9], v[8:9], v[141:142], v[18:19]
	v_fma_f64 v[6:7], v[6:7], v[141:142], -v[22:23]
	s_delay_alu instid0(VALU_DEP_4) | instskip(NEXT) | instid1(VALU_DEP_4)
	v_add_f64_e32 v[3:4], v[16:17], v[4:5]
	v_add_f64_e32 v[1:2], v[14:15], v[1:2]
	s_delay_alu instid0(VALU_DEP_2) | instskip(NEXT) | instid1(VALU_DEP_2)
	v_add_f64_e32 v[3:4], v[3:4], v[8:9]
	v_add_f64_e32 v[1:2], v[1:2], v[6:7]
	s_wait_loadcnt 0x0
	s_delay_alu instid0(VALU_DEP_2) | instskip(NEXT) | instid1(VALU_DEP_2)
	v_add_f64_e64 v[3:4], v[12:13], -v[3:4]
	v_add_f64_e64 v[1:2], v[10:11], -v[1:2]
	scratch_store_b128 off, v[1:4], off offset:112
	v_cmpx_lt_u32_e32 5, v0
	s_cbranch_execz .LBB112_297
; %bb.296:
	scratch_load_b128 v[1:4], off, s57
	v_mov_b32_e32 v5, 0
	s_delay_alu instid0(VALU_DEP_1)
	v_dual_mov_b32 v6, v5 :: v_dual_mov_b32 v7, v5
	v_mov_b32_e32 v8, v5
	scratch_store_b128 off, v[5:8], off offset:96
	s_wait_loadcnt 0x0
	ds_store_b128 v140, v[1:4]
.LBB112_297:
	s_wait_alu 0xfffe
	s_or_b32 exec_lo, exec_lo, s0
	s_wait_storecnt_dscnt 0x0
	s_barrier_signal -1
	s_barrier_wait -1
	global_inv scope:SCOPE_SE
	s_clause 0x7
	scratch_load_b128 v[2:5], off, off offset:112
	scratch_load_b128 v[6:9], off, off offset:128
	;; [unrolled: 1-line block ×8, first 2 shown]
	v_mov_b32_e32 v1, 0
	s_clause 0x1
	scratch_load_b128 v[34:37], off, off offset:240
	scratch_load_b128 v[145:148], off, off offset:256
	s_mov_b32 s0, exec_lo
	ds_load_b128 v[38:41], v1 offset:880
	ds_load_b128 v[141:144], v1 offset:896
	s_wait_loadcnt_dscnt 0x901
	v_mul_f64_e32 v[149:150], v[40:41], v[4:5]
	v_mul_f64_e32 v[4:5], v[38:39], v[4:5]
	s_wait_loadcnt_dscnt 0x800
	v_mul_f64_e32 v[151:152], v[141:142], v[8:9]
	v_mul_f64_e32 v[8:9], v[143:144], v[8:9]
	s_delay_alu instid0(VALU_DEP_4) | instskip(NEXT) | instid1(VALU_DEP_4)
	v_fma_f64 v[149:150], v[38:39], v[2:3], -v[149:150]
	v_fma_f64 v[153:154], v[40:41], v[2:3], v[4:5]
	ds_load_b128 v[2:5], v1 offset:912
	scratch_load_b128 v[38:41], off, off offset:272
	v_fma_f64 v[151:152], v[143:144], v[6:7], v[151:152]
	v_fma_f64 v[157:158], v[141:142], v[6:7], -v[8:9]
	ds_load_b128 v[6:9], v1 offset:928
	scratch_load_b128 v[141:144], off, off offset:288
	s_wait_loadcnt_dscnt 0x901
	v_mul_f64_e32 v[155:156], v[2:3], v[12:13]
	v_mul_f64_e32 v[12:13], v[4:5], v[12:13]
	s_wait_loadcnt_dscnt 0x800
	v_mul_f64_e32 v[159:160], v[6:7], v[16:17]
	v_mul_f64_e32 v[16:17], v[8:9], v[16:17]
	v_add_f64_e32 v[149:150], 0, v[149:150]
	v_add_f64_e32 v[153:154], 0, v[153:154]
	v_fma_f64 v[155:156], v[4:5], v[10:11], v[155:156]
	v_fma_f64 v[161:162], v[2:3], v[10:11], -v[12:13]
	ds_load_b128 v[2:5], v1 offset:944
	scratch_load_b128 v[10:13], off, off offset:304
	v_add_f64_e32 v[149:150], v[149:150], v[157:158]
	v_add_f64_e32 v[151:152], v[153:154], v[151:152]
	v_fma_f64 v[157:158], v[8:9], v[14:15], v[159:160]
	v_fma_f64 v[159:160], v[6:7], v[14:15], -v[16:17]
	ds_load_b128 v[6:9], v1 offset:960
	scratch_load_b128 v[14:17], off, off offset:320
	s_wait_loadcnt_dscnt 0x901
	v_mul_f64_e32 v[153:154], v[2:3], v[20:21]
	v_mul_f64_e32 v[20:21], v[4:5], v[20:21]
	v_add_f64_e32 v[149:150], v[149:150], v[161:162]
	v_add_f64_e32 v[151:152], v[151:152], v[155:156]
	s_wait_loadcnt_dscnt 0x800
	v_mul_f64_e32 v[155:156], v[6:7], v[24:25]
	v_mul_f64_e32 v[24:25], v[8:9], v[24:25]
	v_fma_f64 v[153:154], v[4:5], v[18:19], v[153:154]
	v_fma_f64 v[161:162], v[2:3], v[18:19], -v[20:21]
	ds_load_b128 v[2:5], v1 offset:976
	scratch_load_b128 v[18:21], off, off offset:336
	v_add_f64_e32 v[149:150], v[149:150], v[159:160]
	v_add_f64_e32 v[151:152], v[151:152], v[157:158]
	v_fma_f64 v[155:156], v[8:9], v[22:23], v[155:156]
	v_fma_f64 v[159:160], v[6:7], v[22:23], -v[24:25]
	ds_load_b128 v[6:9], v1 offset:992
	s_wait_loadcnt_dscnt 0x801
	v_mul_f64_e32 v[157:158], v[2:3], v[28:29]
	v_mul_f64_e32 v[28:29], v[4:5], v[28:29]
	scratch_load_b128 v[22:25], off, off offset:352
	v_add_f64_e32 v[149:150], v[149:150], v[161:162]
	v_add_f64_e32 v[151:152], v[151:152], v[153:154]
	s_wait_loadcnt_dscnt 0x800
	v_mul_f64_e32 v[153:154], v[6:7], v[32:33]
	v_mul_f64_e32 v[32:33], v[8:9], v[32:33]
	v_fma_f64 v[157:158], v[4:5], v[26:27], v[157:158]
	v_fma_f64 v[161:162], v[2:3], v[26:27], -v[28:29]
	ds_load_b128 v[2:5], v1 offset:1008
	scratch_load_b128 v[26:29], off, off offset:368
	v_add_f64_e32 v[149:150], v[149:150], v[159:160]
	v_add_f64_e32 v[151:152], v[151:152], v[155:156]
	v_fma_f64 v[153:154], v[8:9], v[30:31], v[153:154]
	v_fma_f64 v[159:160], v[6:7], v[30:31], -v[32:33]
	ds_load_b128 v[6:9], v1 offset:1024
	s_wait_loadcnt_dscnt 0x801
	v_mul_f64_e32 v[155:156], v[2:3], v[36:37]
	v_mul_f64_e32 v[36:37], v[4:5], v[36:37]
	scratch_load_b128 v[30:33], off, off offset:384
	v_add_f64_e32 v[149:150], v[149:150], v[161:162]
	v_add_f64_e32 v[151:152], v[151:152], v[157:158]
	s_wait_loadcnt_dscnt 0x800
	v_mul_f64_e32 v[157:158], v[6:7], v[147:148]
	v_mul_f64_e32 v[147:148], v[8:9], v[147:148]
	v_fma_f64 v[155:156], v[4:5], v[34:35], v[155:156]
	v_fma_f64 v[161:162], v[2:3], v[34:35], -v[36:37]
	ds_load_b128 v[2:5], v1 offset:1040
	scratch_load_b128 v[34:37], off, off offset:400
	v_add_f64_e32 v[149:150], v[149:150], v[159:160]
	v_add_f64_e32 v[151:152], v[151:152], v[153:154]
	v_fma_f64 v[157:158], v[8:9], v[145:146], v[157:158]
	v_fma_f64 v[159:160], v[6:7], v[145:146], -v[147:148]
	ds_load_b128 v[6:9], v1 offset:1056
	scratch_load_b128 v[145:148], off, off offset:416
	s_wait_loadcnt_dscnt 0x901
	v_mul_f64_e32 v[153:154], v[2:3], v[40:41]
	v_mul_f64_e32 v[40:41], v[4:5], v[40:41]
	v_add_f64_e32 v[149:150], v[149:150], v[161:162]
	v_add_f64_e32 v[151:152], v[151:152], v[155:156]
	s_wait_loadcnt_dscnt 0x800
	v_mul_f64_e32 v[155:156], v[6:7], v[143:144]
	v_mul_f64_e32 v[143:144], v[8:9], v[143:144]
	v_fma_f64 v[153:154], v[4:5], v[38:39], v[153:154]
	v_fma_f64 v[161:162], v[2:3], v[38:39], -v[40:41]
	ds_load_b128 v[2:5], v1 offset:1072
	scratch_load_b128 v[38:41], off, off offset:432
	v_add_f64_e32 v[149:150], v[149:150], v[159:160]
	v_add_f64_e32 v[151:152], v[151:152], v[157:158]
	v_fma_f64 v[155:156], v[8:9], v[141:142], v[155:156]
	v_fma_f64 v[159:160], v[6:7], v[141:142], -v[143:144]
	ds_load_b128 v[6:9], v1 offset:1088
	s_wait_loadcnt_dscnt 0x801
	v_mul_f64_e32 v[157:158], v[2:3], v[12:13]
	v_mul_f64_e32 v[12:13], v[4:5], v[12:13]
	scratch_load_b128 v[141:144], off, off offset:448
	v_add_f64_e32 v[149:150], v[149:150], v[161:162]
	v_add_f64_e32 v[151:152], v[151:152], v[153:154]
	s_wait_loadcnt_dscnt 0x800
	v_mul_f64_e32 v[153:154], v[6:7], v[16:17]
	v_mul_f64_e32 v[16:17], v[8:9], v[16:17]
	v_fma_f64 v[157:158], v[4:5], v[10:11], v[157:158]
	v_fma_f64 v[161:162], v[2:3], v[10:11], -v[12:13]
	ds_load_b128 v[2:5], v1 offset:1104
	scratch_load_b128 v[10:13], off, off offset:464
	v_add_f64_e32 v[149:150], v[149:150], v[159:160]
	v_add_f64_e32 v[151:152], v[151:152], v[155:156]
	v_fma_f64 v[153:154], v[8:9], v[14:15], v[153:154]
	v_fma_f64 v[159:160], v[6:7], v[14:15], -v[16:17]
	ds_load_b128 v[6:9], v1 offset:1120
	s_wait_loadcnt_dscnt 0x801
	v_mul_f64_e32 v[155:156], v[2:3], v[20:21]
	v_mul_f64_e32 v[20:21], v[4:5], v[20:21]
	scratch_load_b128 v[14:17], off, off offset:480
	;; [unrolled: 18-line block ×11, first 2 shown]
	v_add_f64_e32 v[149:150], v[149:150], v[161:162]
	v_add_f64_e32 v[151:152], v[151:152], v[157:158]
	s_wait_loadcnt_dscnt 0x800
	v_mul_f64_e32 v[157:158], v[6:7], v[16:17]
	v_mul_f64_e32 v[16:17], v[8:9], v[16:17]
	v_fma_f64 v[155:156], v[4:5], v[10:11], v[155:156]
	v_fma_f64 v[161:162], v[2:3], v[10:11], -v[12:13]
	ds_load_b128 v[2:5], v1 offset:1424
	scratch_load_b128 v[10:13], off, off offset:784
	v_add_f64_e32 v[149:150], v[149:150], v[159:160]
	v_add_f64_e32 v[151:152], v[151:152], v[153:154]
	v_fma_f64 v[157:158], v[8:9], v[14:15], v[157:158]
	v_fma_f64 v[14:15], v[6:7], v[14:15], -v[16:17]
	ds_load_b128 v[6:9], v1 offset:1440
	s_wait_loadcnt_dscnt 0x801
	v_mul_f64_e32 v[153:154], v[2:3], v[20:21]
	v_mul_f64_e32 v[20:21], v[4:5], v[20:21]
	v_add_f64_e32 v[16:17], v[149:150], v[161:162]
	v_add_f64_e32 v[149:150], v[151:152], v[155:156]
	s_wait_loadcnt_dscnt 0x700
	v_mul_f64_e32 v[151:152], v[6:7], v[24:25]
	v_mul_f64_e32 v[24:25], v[8:9], v[24:25]
	v_fma_f64 v[153:154], v[4:5], v[18:19], v[153:154]
	v_fma_f64 v[18:19], v[2:3], v[18:19], -v[20:21]
	ds_load_b128 v[2:5], v1 offset:1456
	v_add_f64_e32 v[14:15], v[16:17], v[14:15]
	v_add_f64_e32 v[16:17], v[149:150], v[157:158]
	v_fma_f64 v[149:150], v[8:9], v[22:23], v[151:152]
	v_fma_f64 v[22:23], v[6:7], v[22:23], -v[24:25]
	ds_load_b128 v[6:9], v1 offset:1472
	s_wait_loadcnt_dscnt 0x500
	v_mul_f64_e32 v[151:152], v[6:7], v[32:33]
	v_mul_f64_e32 v[32:33], v[8:9], v[32:33]
	v_add_f64_e32 v[18:19], v[14:15], v[18:19]
	v_add_f64_e32 v[24:25], v[16:17], v[153:154]
	scratch_load_b128 v[14:17], off, off offset:96
	v_mul_f64_e32 v[20:21], v[2:3], v[28:29]
	v_mul_f64_e32 v[28:29], v[4:5], v[28:29]
	v_add_f64_e32 v[18:19], v[18:19], v[22:23]
	v_add_f64_e32 v[22:23], v[24:25], v[149:150]
	s_delay_alu instid0(VALU_DEP_4) | instskip(NEXT) | instid1(VALU_DEP_4)
	v_fma_f64 v[20:21], v[4:5], v[26:27], v[20:21]
	v_fma_f64 v[26:27], v[2:3], v[26:27], -v[28:29]
	ds_load_b128 v[2:5], v1 offset:1488
	s_wait_loadcnt_dscnt 0x500
	v_mul_f64_e32 v[24:25], v[2:3], v[36:37]
	v_mul_f64_e32 v[28:29], v[4:5], v[36:37]
	v_fma_f64 v[36:37], v[8:9], v[30:31], v[151:152]
	v_fma_f64 v[30:31], v[6:7], v[30:31], -v[32:33]
	ds_load_b128 v[6:9], v1 offset:1504
	v_add_f64_e32 v[20:21], v[22:23], v[20:21]
	v_add_f64_e32 v[18:19], v[18:19], v[26:27]
	v_fma_f64 v[24:25], v[4:5], v[34:35], v[24:25]
	v_fma_f64 v[28:29], v[2:3], v[34:35], -v[28:29]
	ds_load_b128 v[2:5], v1 offset:1520
	s_wait_loadcnt_dscnt 0x401
	v_mul_f64_e32 v[22:23], v[6:7], v[147:148]
	v_mul_f64_e32 v[26:27], v[8:9], v[147:148]
	v_add_f64_e32 v[20:21], v[20:21], v[36:37]
	v_add_f64_e32 v[18:19], v[18:19], v[30:31]
	s_wait_loadcnt_dscnt 0x300
	v_mul_f64_e32 v[30:31], v[2:3], v[40:41]
	v_mul_f64_e32 v[32:33], v[4:5], v[40:41]
	v_fma_f64 v[22:23], v[8:9], v[145:146], v[22:23]
	v_fma_f64 v[26:27], v[6:7], v[145:146], -v[26:27]
	ds_load_b128 v[6:9], v1 offset:1536
	v_add_f64_e32 v[20:21], v[20:21], v[24:25]
	v_add_f64_e32 v[18:19], v[18:19], v[28:29]
	v_fma_f64 v[30:31], v[4:5], v[38:39], v[30:31]
	v_fma_f64 v[32:33], v[2:3], v[38:39], -v[32:33]
	ds_load_b128 v[2:5], v1 offset:1552
	s_wait_loadcnt_dscnt 0x201
	v_mul_f64_e32 v[24:25], v[6:7], v[143:144]
	v_mul_f64_e32 v[28:29], v[8:9], v[143:144]
	v_add_f64_e32 v[20:21], v[20:21], v[22:23]
	v_add_f64_e32 v[18:19], v[18:19], v[26:27]
	s_wait_loadcnt_dscnt 0x100
	v_mul_f64_e32 v[22:23], v[2:3], v[12:13]
	v_mul_f64_e32 v[12:13], v[4:5], v[12:13]
	v_fma_f64 v[8:9], v[8:9], v[141:142], v[24:25]
	v_fma_f64 v[6:7], v[6:7], v[141:142], -v[28:29]
	v_add_f64_e32 v[20:21], v[20:21], v[30:31]
	v_add_f64_e32 v[18:19], v[18:19], v[32:33]
	v_fma_f64 v[4:5], v[4:5], v[10:11], v[22:23]
	v_fma_f64 v[2:3], v[2:3], v[10:11], -v[12:13]
	s_delay_alu instid0(VALU_DEP_4) | instskip(NEXT) | instid1(VALU_DEP_4)
	v_add_f64_e32 v[8:9], v[20:21], v[8:9]
	v_add_f64_e32 v[6:7], v[18:19], v[6:7]
	s_delay_alu instid0(VALU_DEP_2) | instskip(NEXT) | instid1(VALU_DEP_2)
	v_add_f64_e32 v[4:5], v[8:9], v[4:5]
	v_add_f64_e32 v[2:3], v[6:7], v[2:3]
	s_wait_loadcnt 0x0
	s_delay_alu instid0(VALU_DEP_2) | instskip(NEXT) | instid1(VALU_DEP_2)
	v_add_f64_e64 v[4:5], v[16:17], -v[4:5]
	v_add_f64_e64 v[2:3], v[14:15], -v[2:3]
	scratch_store_b128 off, v[2:5], off offset:96
	v_cmpx_lt_u32_e32 4, v0
	s_cbranch_execz .LBB112_299
; %bb.298:
	scratch_load_b128 v[5:8], off, s4
	v_dual_mov_b32 v2, v1 :: v_dual_mov_b32 v3, v1
	v_mov_b32_e32 v4, v1
	scratch_store_b128 off, v[1:4], off offset:80
	s_wait_loadcnt 0x0
	ds_store_b128 v140, v[5:8]
.LBB112_299:
	s_wait_alu 0xfffe
	s_or_b32 exec_lo, exec_lo, s0
	s_wait_storecnt_dscnt 0x0
	s_barrier_signal -1
	s_barrier_wait -1
	global_inv scope:SCOPE_SE
	s_clause 0x7
	scratch_load_b128 v[2:5], off, off offset:96
	scratch_load_b128 v[6:9], off, off offset:112
	;; [unrolled: 1-line block ×8, first 2 shown]
	ds_load_b128 v[38:41], v1 offset:864
	ds_load_b128 v[141:144], v1 offset:880
	s_clause 0x1
	scratch_load_b128 v[34:37], off, off offset:224
	scratch_load_b128 v[145:148], off, off offset:240
	s_mov_b32 s0, exec_lo
	s_wait_loadcnt_dscnt 0x901
	v_mul_f64_e32 v[149:150], v[40:41], v[4:5]
	v_mul_f64_e32 v[4:5], v[38:39], v[4:5]
	s_wait_loadcnt_dscnt 0x800
	v_mul_f64_e32 v[151:152], v[141:142], v[8:9]
	v_mul_f64_e32 v[8:9], v[143:144], v[8:9]
	s_delay_alu instid0(VALU_DEP_4) | instskip(NEXT) | instid1(VALU_DEP_4)
	v_fma_f64 v[149:150], v[38:39], v[2:3], -v[149:150]
	v_fma_f64 v[153:154], v[40:41], v[2:3], v[4:5]
	ds_load_b128 v[2:5], v1 offset:896
	scratch_load_b128 v[38:41], off, off offset:256
	v_fma_f64 v[151:152], v[143:144], v[6:7], v[151:152]
	v_fma_f64 v[157:158], v[141:142], v[6:7], -v[8:9]
	ds_load_b128 v[6:9], v1 offset:912
	scratch_load_b128 v[141:144], off, off offset:272
	s_wait_loadcnt_dscnt 0x901
	v_mul_f64_e32 v[155:156], v[2:3], v[12:13]
	v_mul_f64_e32 v[12:13], v[4:5], v[12:13]
	s_wait_loadcnt_dscnt 0x800
	v_mul_f64_e32 v[159:160], v[6:7], v[16:17]
	v_mul_f64_e32 v[16:17], v[8:9], v[16:17]
	v_add_f64_e32 v[149:150], 0, v[149:150]
	v_add_f64_e32 v[153:154], 0, v[153:154]
	v_fma_f64 v[155:156], v[4:5], v[10:11], v[155:156]
	v_fma_f64 v[161:162], v[2:3], v[10:11], -v[12:13]
	ds_load_b128 v[2:5], v1 offset:928
	scratch_load_b128 v[10:13], off, off offset:288
	v_add_f64_e32 v[149:150], v[149:150], v[157:158]
	v_add_f64_e32 v[151:152], v[153:154], v[151:152]
	v_fma_f64 v[157:158], v[8:9], v[14:15], v[159:160]
	v_fma_f64 v[159:160], v[6:7], v[14:15], -v[16:17]
	ds_load_b128 v[6:9], v1 offset:944
	scratch_load_b128 v[14:17], off, off offset:304
	s_wait_loadcnt_dscnt 0x901
	v_mul_f64_e32 v[153:154], v[2:3], v[20:21]
	v_mul_f64_e32 v[20:21], v[4:5], v[20:21]
	v_add_f64_e32 v[149:150], v[149:150], v[161:162]
	v_add_f64_e32 v[151:152], v[151:152], v[155:156]
	s_wait_loadcnt_dscnt 0x800
	v_mul_f64_e32 v[155:156], v[6:7], v[24:25]
	v_mul_f64_e32 v[24:25], v[8:9], v[24:25]
	v_fma_f64 v[153:154], v[4:5], v[18:19], v[153:154]
	v_fma_f64 v[161:162], v[2:3], v[18:19], -v[20:21]
	ds_load_b128 v[2:5], v1 offset:960
	scratch_load_b128 v[18:21], off, off offset:320
	v_add_f64_e32 v[149:150], v[149:150], v[159:160]
	v_add_f64_e32 v[151:152], v[151:152], v[157:158]
	v_fma_f64 v[155:156], v[8:9], v[22:23], v[155:156]
	v_fma_f64 v[159:160], v[6:7], v[22:23], -v[24:25]
	ds_load_b128 v[6:9], v1 offset:976
	s_wait_loadcnt_dscnt 0x801
	v_mul_f64_e32 v[157:158], v[2:3], v[28:29]
	v_mul_f64_e32 v[28:29], v[4:5], v[28:29]
	scratch_load_b128 v[22:25], off, off offset:336
	v_add_f64_e32 v[149:150], v[149:150], v[161:162]
	v_add_f64_e32 v[151:152], v[151:152], v[153:154]
	s_wait_loadcnt_dscnt 0x800
	v_mul_f64_e32 v[153:154], v[6:7], v[32:33]
	v_mul_f64_e32 v[32:33], v[8:9], v[32:33]
	v_fma_f64 v[157:158], v[4:5], v[26:27], v[157:158]
	v_fma_f64 v[161:162], v[2:3], v[26:27], -v[28:29]
	ds_load_b128 v[2:5], v1 offset:992
	scratch_load_b128 v[26:29], off, off offset:352
	v_add_f64_e32 v[149:150], v[149:150], v[159:160]
	v_add_f64_e32 v[151:152], v[151:152], v[155:156]
	v_fma_f64 v[153:154], v[8:9], v[30:31], v[153:154]
	v_fma_f64 v[159:160], v[6:7], v[30:31], -v[32:33]
	ds_load_b128 v[6:9], v1 offset:1008
	s_wait_loadcnt_dscnt 0x801
	v_mul_f64_e32 v[155:156], v[2:3], v[36:37]
	v_mul_f64_e32 v[36:37], v[4:5], v[36:37]
	scratch_load_b128 v[30:33], off, off offset:368
	v_add_f64_e32 v[149:150], v[149:150], v[161:162]
	v_add_f64_e32 v[151:152], v[151:152], v[157:158]
	s_wait_loadcnt_dscnt 0x800
	v_mul_f64_e32 v[157:158], v[6:7], v[147:148]
	v_mul_f64_e32 v[147:148], v[8:9], v[147:148]
	v_fma_f64 v[155:156], v[4:5], v[34:35], v[155:156]
	v_fma_f64 v[161:162], v[2:3], v[34:35], -v[36:37]
	ds_load_b128 v[2:5], v1 offset:1024
	scratch_load_b128 v[34:37], off, off offset:384
	v_add_f64_e32 v[149:150], v[149:150], v[159:160]
	v_add_f64_e32 v[151:152], v[151:152], v[153:154]
	v_fma_f64 v[157:158], v[8:9], v[145:146], v[157:158]
	v_fma_f64 v[159:160], v[6:7], v[145:146], -v[147:148]
	ds_load_b128 v[6:9], v1 offset:1040
	scratch_load_b128 v[145:148], off, off offset:400
	s_wait_loadcnt_dscnt 0x901
	v_mul_f64_e32 v[153:154], v[2:3], v[40:41]
	v_mul_f64_e32 v[40:41], v[4:5], v[40:41]
	v_add_f64_e32 v[149:150], v[149:150], v[161:162]
	v_add_f64_e32 v[151:152], v[151:152], v[155:156]
	s_wait_loadcnt_dscnt 0x800
	v_mul_f64_e32 v[155:156], v[6:7], v[143:144]
	v_mul_f64_e32 v[143:144], v[8:9], v[143:144]
	v_fma_f64 v[153:154], v[4:5], v[38:39], v[153:154]
	v_fma_f64 v[161:162], v[2:3], v[38:39], -v[40:41]
	ds_load_b128 v[2:5], v1 offset:1056
	scratch_load_b128 v[38:41], off, off offset:416
	v_add_f64_e32 v[149:150], v[149:150], v[159:160]
	v_add_f64_e32 v[151:152], v[151:152], v[157:158]
	v_fma_f64 v[155:156], v[8:9], v[141:142], v[155:156]
	v_fma_f64 v[159:160], v[6:7], v[141:142], -v[143:144]
	ds_load_b128 v[6:9], v1 offset:1072
	s_wait_loadcnt_dscnt 0x801
	v_mul_f64_e32 v[157:158], v[2:3], v[12:13]
	v_mul_f64_e32 v[12:13], v[4:5], v[12:13]
	scratch_load_b128 v[141:144], off, off offset:432
	v_add_f64_e32 v[149:150], v[149:150], v[161:162]
	v_add_f64_e32 v[151:152], v[151:152], v[153:154]
	s_wait_loadcnt_dscnt 0x800
	v_mul_f64_e32 v[153:154], v[6:7], v[16:17]
	v_mul_f64_e32 v[16:17], v[8:9], v[16:17]
	v_fma_f64 v[157:158], v[4:5], v[10:11], v[157:158]
	v_fma_f64 v[161:162], v[2:3], v[10:11], -v[12:13]
	ds_load_b128 v[2:5], v1 offset:1088
	scratch_load_b128 v[10:13], off, off offset:448
	v_add_f64_e32 v[149:150], v[149:150], v[159:160]
	v_add_f64_e32 v[151:152], v[151:152], v[155:156]
	v_fma_f64 v[153:154], v[8:9], v[14:15], v[153:154]
	v_fma_f64 v[159:160], v[6:7], v[14:15], -v[16:17]
	ds_load_b128 v[6:9], v1 offset:1104
	s_wait_loadcnt_dscnt 0x801
	v_mul_f64_e32 v[155:156], v[2:3], v[20:21]
	v_mul_f64_e32 v[20:21], v[4:5], v[20:21]
	scratch_load_b128 v[14:17], off, off offset:464
	;; [unrolled: 18-line block ×12, first 2 shown]
	v_add_f64_e32 v[149:150], v[149:150], v[161:162]
	v_add_f64_e32 v[151:152], v[151:152], v[155:156]
	s_wait_loadcnt_dscnt 0x800
	v_mul_f64_e32 v[155:156], v[6:7], v[24:25]
	v_mul_f64_e32 v[24:25], v[8:9], v[24:25]
	v_fma_f64 v[153:154], v[4:5], v[18:19], v[153:154]
	v_fma_f64 v[18:19], v[2:3], v[18:19], -v[20:21]
	ds_load_b128 v[2:5], v1 offset:1440
	v_add_f64_e32 v[20:21], v[149:150], v[159:160]
	v_add_f64_e32 v[149:150], v[151:152], v[157:158]
	v_fma_f64 v[155:156], v[8:9], v[22:23], v[155:156]
	v_fma_f64 v[22:23], v[6:7], v[22:23], -v[24:25]
	ds_load_b128 v[6:9], v1 offset:1456
	s_wait_loadcnt_dscnt 0x701
	v_mul_f64_e32 v[151:152], v[2:3], v[28:29]
	v_mul_f64_e32 v[28:29], v[4:5], v[28:29]
	v_add_f64_e32 v[18:19], v[20:21], v[18:19]
	v_add_f64_e32 v[20:21], v[149:150], v[153:154]
	s_delay_alu instid0(VALU_DEP_4) | instskip(NEXT) | instid1(VALU_DEP_4)
	v_fma_f64 v[149:150], v[4:5], v[26:27], v[151:152]
	v_fma_f64 v[26:27], v[2:3], v[26:27], -v[28:29]
	ds_load_b128 v[2:5], v1 offset:1472
	v_add_f64_e32 v[22:23], v[18:19], v[22:23]
	v_add_f64_e32 v[28:29], v[20:21], v[155:156]
	scratch_load_b128 v[18:21], off, off offset:80
	s_wait_loadcnt_dscnt 0x701
	v_mul_f64_e32 v[24:25], v[6:7], v[32:33]
	v_mul_f64_e32 v[32:33], v[8:9], v[32:33]
	v_add_f64_e32 v[22:23], v[22:23], v[26:27]
	v_add_f64_e32 v[26:27], v[28:29], v[149:150]
	s_delay_alu instid0(VALU_DEP_4) | instskip(NEXT) | instid1(VALU_DEP_4)
	v_fma_f64 v[24:25], v[8:9], v[30:31], v[24:25]
	v_fma_f64 v[30:31], v[6:7], v[30:31], -v[32:33]
	ds_load_b128 v[6:9], v1 offset:1488
	s_wait_loadcnt_dscnt 0x601
	v_mul_f64_e32 v[151:152], v[2:3], v[36:37]
	v_mul_f64_e32 v[36:37], v[4:5], v[36:37]
	s_wait_loadcnt_dscnt 0x500
	v_mul_f64_e32 v[28:29], v[6:7], v[147:148]
	v_mul_f64_e32 v[32:33], v[8:9], v[147:148]
	v_add_f64_e32 v[24:25], v[26:27], v[24:25]
	v_add_f64_e32 v[22:23], v[22:23], v[30:31]
	v_fma_f64 v[147:148], v[4:5], v[34:35], v[151:152]
	v_fma_f64 v[34:35], v[2:3], v[34:35], -v[36:37]
	ds_load_b128 v[2:5], v1 offset:1504
	v_fma_f64 v[28:29], v[8:9], v[145:146], v[28:29]
	v_fma_f64 v[32:33], v[6:7], v[145:146], -v[32:33]
	ds_load_b128 v[6:9], v1 offset:1520
	s_wait_loadcnt_dscnt 0x401
	v_mul_f64_e32 v[26:27], v[2:3], v[40:41]
	v_mul_f64_e32 v[30:31], v[4:5], v[40:41]
	v_add_f64_e32 v[24:25], v[24:25], v[147:148]
	v_add_f64_e32 v[22:23], v[22:23], v[34:35]
	s_wait_loadcnt_dscnt 0x300
	v_mul_f64_e32 v[34:35], v[6:7], v[143:144]
	v_mul_f64_e32 v[36:37], v[8:9], v[143:144]
	v_fma_f64 v[26:27], v[4:5], v[38:39], v[26:27]
	v_fma_f64 v[30:31], v[2:3], v[38:39], -v[30:31]
	ds_load_b128 v[2:5], v1 offset:1536
	v_add_f64_e32 v[24:25], v[24:25], v[28:29]
	v_add_f64_e32 v[22:23], v[22:23], v[32:33]
	v_fma_f64 v[32:33], v[8:9], v[141:142], v[34:35]
	v_fma_f64 v[34:35], v[6:7], v[141:142], -v[36:37]
	ds_load_b128 v[6:9], v1 offset:1552
	s_wait_loadcnt_dscnt 0x201
	v_mul_f64_e32 v[28:29], v[2:3], v[12:13]
	v_mul_f64_e32 v[12:13], v[4:5], v[12:13]
	v_add_f64_e32 v[24:25], v[24:25], v[26:27]
	v_add_f64_e32 v[22:23], v[22:23], v[30:31]
	s_wait_loadcnt_dscnt 0x100
	v_mul_f64_e32 v[26:27], v[6:7], v[16:17]
	v_mul_f64_e32 v[16:17], v[8:9], v[16:17]
	v_fma_f64 v[4:5], v[4:5], v[10:11], v[28:29]
	v_fma_f64 v[1:2], v[2:3], v[10:11], -v[12:13]
	v_add_f64_e32 v[12:13], v[24:25], v[32:33]
	v_add_f64_e32 v[10:11], v[22:23], v[34:35]
	v_fma_f64 v[8:9], v[8:9], v[14:15], v[26:27]
	v_fma_f64 v[6:7], v[6:7], v[14:15], -v[16:17]
	s_delay_alu instid0(VALU_DEP_4) | instskip(NEXT) | instid1(VALU_DEP_4)
	v_add_f64_e32 v[3:4], v[12:13], v[4:5]
	v_add_f64_e32 v[1:2], v[10:11], v[1:2]
	s_delay_alu instid0(VALU_DEP_2) | instskip(NEXT) | instid1(VALU_DEP_2)
	v_add_f64_e32 v[3:4], v[3:4], v[8:9]
	v_add_f64_e32 v[1:2], v[1:2], v[6:7]
	s_wait_loadcnt 0x0
	s_delay_alu instid0(VALU_DEP_2) | instskip(NEXT) | instid1(VALU_DEP_2)
	v_add_f64_e64 v[3:4], v[20:21], -v[3:4]
	v_add_f64_e64 v[1:2], v[18:19], -v[1:2]
	scratch_store_b128 off, v[1:4], off offset:80
	v_cmpx_lt_u32_e32 3, v0
	s_cbranch_execz .LBB112_301
; %bb.300:
	scratch_load_b128 v[1:4], off, s10
	v_mov_b32_e32 v5, 0
	s_delay_alu instid0(VALU_DEP_1)
	v_dual_mov_b32 v6, v5 :: v_dual_mov_b32 v7, v5
	v_mov_b32_e32 v8, v5
	scratch_store_b128 off, v[5:8], off offset:64
	s_wait_loadcnt 0x0
	ds_store_b128 v140, v[1:4]
.LBB112_301:
	s_wait_alu 0xfffe
	s_or_b32 exec_lo, exec_lo, s0
	s_wait_storecnt_dscnt 0x0
	s_barrier_signal -1
	s_barrier_wait -1
	global_inv scope:SCOPE_SE
	s_clause 0x7
	scratch_load_b128 v[2:5], off, off offset:80
	scratch_load_b128 v[6:9], off, off offset:96
	;; [unrolled: 1-line block ×8, first 2 shown]
	v_mov_b32_e32 v1, 0
	s_clause 0x1
	scratch_load_b128 v[34:37], off, off offset:208
	scratch_load_b128 v[145:148], off, off offset:224
	s_mov_b32 s0, exec_lo
	ds_load_b128 v[38:41], v1 offset:848
	ds_load_b128 v[141:144], v1 offset:864
	s_wait_loadcnt_dscnt 0x901
	v_mul_f64_e32 v[149:150], v[40:41], v[4:5]
	v_mul_f64_e32 v[4:5], v[38:39], v[4:5]
	s_wait_loadcnt_dscnt 0x800
	v_mul_f64_e32 v[151:152], v[141:142], v[8:9]
	v_mul_f64_e32 v[8:9], v[143:144], v[8:9]
	s_delay_alu instid0(VALU_DEP_4) | instskip(NEXT) | instid1(VALU_DEP_4)
	v_fma_f64 v[149:150], v[38:39], v[2:3], -v[149:150]
	v_fma_f64 v[153:154], v[40:41], v[2:3], v[4:5]
	ds_load_b128 v[2:5], v1 offset:880
	scratch_load_b128 v[38:41], off, off offset:240
	v_fma_f64 v[151:152], v[143:144], v[6:7], v[151:152]
	v_fma_f64 v[157:158], v[141:142], v[6:7], -v[8:9]
	ds_load_b128 v[6:9], v1 offset:896
	scratch_load_b128 v[141:144], off, off offset:256
	s_wait_loadcnt_dscnt 0x901
	v_mul_f64_e32 v[155:156], v[2:3], v[12:13]
	v_mul_f64_e32 v[12:13], v[4:5], v[12:13]
	s_wait_loadcnt_dscnt 0x800
	v_mul_f64_e32 v[159:160], v[6:7], v[16:17]
	v_mul_f64_e32 v[16:17], v[8:9], v[16:17]
	v_add_f64_e32 v[149:150], 0, v[149:150]
	v_add_f64_e32 v[153:154], 0, v[153:154]
	v_fma_f64 v[155:156], v[4:5], v[10:11], v[155:156]
	v_fma_f64 v[161:162], v[2:3], v[10:11], -v[12:13]
	ds_load_b128 v[2:5], v1 offset:912
	scratch_load_b128 v[10:13], off, off offset:272
	v_add_f64_e32 v[149:150], v[149:150], v[157:158]
	v_add_f64_e32 v[151:152], v[153:154], v[151:152]
	v_fma_f64 v[157:158], v[8:9], v[14:15], v[159:160]
	v_fma_f64 v[159:160], v[6:7], v[14:15], -v[16:17]
	ds_load_b128 v[6:9], v1 offset:928
	scratch_load_b128 v[14:17], off, off offset:288
	s_wait_loadcnt_dscnt 0x901
	v_mul_f64_e32 v[153:154], v[2:3], v[20:21]
	v_mul_f64_e32 v[20:21], v[4:5], v[20:21]
	v_add_f64_e32 v[149:150], v[149:150], v[161:162]
	v_add_f64_e32 v[151:152], v[151:152], v[155:156]
	s_wait_loadcnt_dscnt 0x800
	v_mul_f64_e32 v[155:156], v[6:7], v[24:25]
	v_mul_f64_e32 v[24:25], v[8:9], v[24:25]
	v_fma_f64 v[153:154], v[4:5], v[18:19], v[153:154]
	v_fma_f64 v[161:162], v[2:3], v[18:19], -v[20:21]
	ds_load_b128 v[2:5], v1 offset:944
	scratch_load_b128 v[18:21], off, off offset:304
	v_add_f64_e32 v[149:150], v[149:150], v[159:160]
	v_add_f64_e32 v[151:152], v[151:152], v[157:158]
	v_fma_f64 v[155:156], v[8:9], v[22:23], v[155:156]
	v_fma_f64 v[159:160], v[6:7], v[22:23], -v[24:25]
	ds_load_b128 v[6:9], v1 offset:960
	s_wait_loadcnt_dscnt 0x801
	v_mul_f64_e32 v[157:158], v[2:3], v[28:29]
	v_mul_f64_e32 v[28:29], v[4:5], v[28:29]
	scratch_load_b128 v[22:25], off, off offset:320
	v_add_f64_e32 v[149:150], v[149:150], v[161:162]
	v_add_f64_e32 v[151:152], v[151:152], v[153:154]
	s_wait_loadcnt_dscnt 0x800
	v_mul_f64_e32 v[153:154], v[6:7], v[32:33]
	v_mul_f64_e32 v[32:33], v[8:9], v[32:33]
	v_fma_f64 v[157:158], v[4:5], v[26:27], v[157:158]
	v_fma_f64 v[161:162], v[2:3], v[26:27], -v[28:29]
	ds_load_b128 v[2:5], v1 offset:976
	scratch_load_b128 v[26:29], off, off offset:336
	v_add_f64_e32 v[149:150], v[149:150], v[159:160]
	v_add_f64_e32 v[151:152], v[151:152], v[155:156]
	v_fma_f64 v[153:154], v[8:9], v[30:31], v[153:154]
	v_fma_f64 v[159:160], v[6:7], v[30:31], -v[32:33]
	ds_load_b128 v[6:9], v1 offset:992
	s_wait_loadcnt_dscnt 0x801
	v_mul_f64_e32 v[155:156], v[2:3], v[36:37]
	v_mul_f64_e32 v[36:37], v[4:5], v[36:37]
	scratch_load_b128 v[30:33], off, off offset:352
	v_add_f64_e32 v[149:150], v[149:150], v[161:162]
	v_add_f64_e32 v[151:152], v[151:152], v[157:158]
	s_wait_loadcnt_dscnt 0x800
	v_mul_f64_e32 v[157:158], v[6:7], v[147:148]
	v_mul_f64_e32 v[147:148], v[8:9], v[147:148]
	v_fma_f64 v[155:156], v[4:5], v[34:35], v[155:156]
	v_fma_f64 v[161:162], v[2:3], v[34:35], -v[36:37]
	ds_load_b128 v[2:5], v1 offset:1008
	scratch_load_b128 v[34:37], off, off offset:368
	v_add_f64_e32 v[149:150], v[149:150], v[159:160]
	v_add_f64_e32 v[151:152], v[151:152], v[153:154]
	v_fma_f64 v[157:158], v[8:9], v[145:146], v[157:158]
	v_fma_f64 v[159:160], v[6:7], v[145:146], -v[147:148]
	ds_load_b128 v[6:9], v1 offset:1024
	scratch_load_b128 v[145:148], off, off offset:384
	s_wait_loadcnt_dscnt 0x901
	v_mul_f64_e32 v[153:154], v[2:3], v[40:41]
	v_mul_f64_e32 v[40:41], v[4:5], v[40:41]
	v_add_f64_e32 v[149:150], v[149:150], v[161:162]
	v_add_f64_e32 v[151:152], v[151:152], v[155:156]
	s_wait_loadcnt_dscnt 0x800
	v_mul_f64_e32 v[155:156], v[6:7], v[143:144]
	v_mul_f64_e32 v[143:144], v[8:9], v[143:144]
	v_fma_f64 v[153:154], v[4:5], v[38:39], v[153:154]
	v_fma_f64 v[161:162], v[2:3], v[38:39], -v[40:41]
	ds_load_b128 v[2:5], v1 offset:1040
	scratch_load_b128 v[38:41], off, off offset:400
	v_add_f64_e32 v[149:150], v[149:150], v[159:160]
	v_add_f64_e32 v[151:152], v[151:152], v[157:158]
	v_fma_f64 v[155:156], v[8:9], v[141:142], v[155:156]
	v_fma_f64 v[159:160], v[6:7], v[141:142], -v[143:144]
	ds_load_b128 v[6:9], v1 offset:1056
	s_wait_loadcnt_dscnt 0x801
	v_mul_f64_e32 v[157:158], v[2:3], v[12:13]
	v_mul_f64_e32 v[12:13], v[4:5], v[12:13]
	scratch_load_b128 v[141:144], off, off offset:416
	v_add_f64_e32 v[149:150], v[149:150], v[161:162]
	v_add_f64_e32 v[151:152], v[151:152], v[153:154]
	s_wait_loadcnt_dscnt 0x800
	v_mul_f64_e32 v[153:154], v[6:7], v[16:17]
	v_mul_f64_e32 v[16:17], v[8:9], v[16:17]
	v_fma_f64 v[157:158], v[4:5], v[10:11], v[157:158]
	v_fma_f64 v[161:162], v[2:3], v[10:11], -v[12:13]
	ds_load_b128 v[2:5], v1 offset:1072
	scratch_load_b128 v[10:13], off, off offset:432
	v_add_f64_e32 v[149:150], v[149:150], v[159:160]
	v_add_f64_e32 v[151:152], v[151:152], v[155:156]
	v_fma_f64 v[153:154], v[8:9], v[14:15], v[153:154]
	v_fma_f64 v[159:160], v[6:7], v[14:15], -v[16:17]
	ds_load_b128 v[6:9], v1 offset:1088
	s_wait_loadcnt_dscnt 0x801
	v_mul_f64_e32 v[155:156], v[2:3], v[20:21]
	v_mul_f64_e32 v[20:21], v[4:5], v[20:21]
	scratch_load_b128 v[14:17], off, off offset:448
	;; [unrolled: 18-line block ×12, first 2 shown]
	v_add_f64_e32 v[149:150], v[149:150], v[161:162]
	v_add_f64_e32 v[151:152], v[151:152], v[155:156]
	s_wait_loadcnt_dscnt 0x800
	v_mul_f64_e32 v[155:156], v[6:7], v[24:25]
	v_mul_f64_e32 v[24:25], v[8:9], v[24:25]
	v_fma_f64 v[153:154], v[4:5], v[18:19], v[153:154]
	v_fma_f64 v[161:162], v[2:3], v[18:19], -v[20:21]
	ds_load_b128 v[2:5], v1 offset:1424
	scratch_load_b128 v[18:21], off, off offset:784
	v_add_f64_e32 v[149:150], v[149:150], v[159:160]
	v_add_f64_e32 v[151:152], v[151:152], v[157:158]
	v_fma_f64 v[155:156], v[8:9], v[22:23], v[155:156]
	v_fma_f64 v[22:23], v[6:7], v[22:23], -v[24:25]
	ds_load_b128 v[6:9], v1 offset:1440
	s_wait_loadcnt_dscnt 0x801
	v_mul_f64_e32 v[157:158], v[2:3], v[28:29]
	v_mul_f64_e32 v[28:29], v[4:5], v[28:29]
	v_add_f64_e32 v[24:25], v[149:150], v[161:162]
	v_add_f64_e32 v[149:150], v[151:152], v[153:154]
	s_wait_loadcnt_dscnt 0x700
	v_mul_f64_e32 v[151:152], v[6:7], v[32:33]
	v_mul_f64_e32 v[32:33], v[8:9], v[32:33]
	v_fma_f64 v[153:154], v[4:5], v[26:27], v[157:158]
	v_fma_f64 v[26:27], v[2:3], v[26:27], -v[28:29]
	ds_load_b128 v[2:5], v1 offset:1456
	v_add_f64_e32 v[22:23], v[24:25], v[22:23]
	v_add_f64_e32 v[24:25], v[149:150], v[155:156]
	v_fma_f64 v[149:150], v[8:9], v[30:31], v[151:152]
	v_fma_f64 v[30:31], v[6:7], v[30:31], -v[32:33]
	ds_load_b128 v[6:9], v1 offset:1472
	s_wait_loadcnt_dscnt 0x500
	v_mul_f64_e32 v[151:152], v[6:7], v[147:148]
	v_mul_f64_e32 v[147:148], v[8:9], v[147:148]
	v_add_f64_e32 v[26:27], v[22:23], v[26:27]
	v_add_f64_e32 v[32:33], v[24:25], v[153:154]
	scratch_load_b128 v[22:25], off, off offset:64
	v_mul_f64_e32 v[28:29], v[2:3], v[36:37]
	v_mul_f64_e32 v[36:37], v[4:5], v[36:37]
	v_add_f64_e32 v[26:27], v[26:27], v[30:31]
	v_add_f64_e32 v[30:31], v[32:33], v[149:150]
	s_delay_alu instid0(VALU_DEP_4) | instskip(NEXT) | instid1(VALU_DEP_4)
	v_fma_f64 v[28:29], v[4:5], v[34:35], v[28:29]
	v_fma_f64 v[34:35], v[2:3], v[34:35], -v[36:37]
	ds_load_b128 v[2:5], v1 offset:1488
	s_wait_loadcnt_dscnt 0x500
	v_mul_f64_e32 v[32:33], v[2:3], v[40:41]
	v_mul_f64_e32 v[36:37], v[4:5], v[40:41]
	v_fma_f64 v[40:41], v[8:9], v[145:146], v[151:152]
	v_fma_f64 v[145:146], v[6:7], v[145:146], -v[147:148]
	ds_load_b128 v[6:9], v1 offset:1504
	v_add_f64_e32 v[28:29], v[30:31], v[28:29]
	v_add_f64_e32 v[26:27], v[26:27], v[34:35]
	v_fma_f64 v[32:33], v[4:5], v[38:39], v[32:33]
	v_fma_f64 v[36:37], v[2:3], v[38:39], -v[36:37]
	ds_load_b128 v[2:5], v1 offset:1520
	s_wait_loadcnt_dscnt 0x401
	v_mul_f64_e32 v[30:31], v[6:7], v[143:144]
	v_mul_f64_e32 v[34:35], v[8:9], v[143:144]
	v_add_f64_e32 v[28:29], v[28:29], v[40:41]
	v_add_f64_e32 v[26:27], v[26:27], v[145:146]
	s_wait_loadcnt_dscnt 0x300
	v_mul_f64_e32 v[38:39], v[2:3], v[12:13]
	v_mul_f64_e32 v[12:13], v[4:5], v[12:13]
	v_fma_f64 v[30:31], v[8:9], v[141:142], v[30:31]
	v_fma_f64 v[34:35], v[6:7], v[141:142], -v[34:35]
	ds_load_b128 v[6:9], v1 offset:1536
	v_add_f64_e32 v[28:29], v[28:29], v[32:33]
	v_add_f64_e32 v[26:27], v[26:27], v[36:37]
	v_fma_f64 v[36:37], v[4:5], v[10:11], v[38:39]
	v_fma_f64 v[10:11], v[2:3], v[10:11], -v[12:13]
	ds_load_b128 v[2:5], v1 offset:1552
	s_wait_loadcnt_dscnt 0x201
	v_mul_f64_e32 v[32:33], v[6:7], v[16:17]
	v_mul_f64_e32 v[16:17], v[8:9], v[16:17]
	v_add_f64_e32 v[12:13], v[26:27], v[34:35]
	v_add_f64_e32 v[26:27], v[28:29], v[30:31]
	s_wait_loadcnt_dscnt 0x100
	v_mul_f64_e32 v[28:29], v[2:3], v[20:21]
	v_mul_f64_e32 v[20:21], v[4:5], v[20:21]
	v_fma_f64 v[8:9], v[8:9], v[14:15], v[32:33]
	v_fma_f64 v[6:7], v[6:7], v[14:15], -v[16:17]
	v_add_f64_e32 v[10:11], v[12:13], v[10:11]
	v_add_f64_e32 v[12:13], v[26:27], v[36:37]
	v_fma_f64 v[4:5], v[4:5], v[18:19], v[28:29]
	v_fma_f64 v[2:3], v[2:3], v[18:19], -v[20:21]
	s_delay_alu instid0(VALU_DEP_4) | instskip(NEXT) | instid1(VALU_DEP_4)
	v_add_f64_e32 v[6:7], v[10:11], v[6:7]
	v_add_f64_e32 v[8:9], v[12:13], v[8:9]
	s_delay_alu instid0(VALU_DEP_2) | instskip(NEXT) | instid1(VALU_DEP_2)
	v_add_f64_e32 v[2:3], v[6:7], v[2:3]
	v_add_f64_e32 v[4:5], v[8:9], v[4:5]
	s_wait_loadcnt 0x0
	s_delay_alu instid0(VALU_DEP_2) | instskip(NEXT) | instid1(VALU_DEP_2)
	v_add_f64_e64 v[2:3], v[22:23], -v[2:3]
	v_add_f64_e64 v[4:5], v[24:25], -v[4:5]
	scratch_store_b128 off, v[2:5], off offset:64
	v_cmpx_lt_u32_e32 2, v0
	s_cbranch_execz .LBB112_303
; %bb.302:
	scratch_load_b128 v[5:8], off, s13
	v_dual_mov_b32 v2, v1 :: v_dual_mov_b32 v3, v1
	v_mov_b32_e32 v4, v1
	scratch_store_b128 off, v[1:4], off offset:48
	s_wait_loadcnt 0x0
	ds_store_b128 v140, v[5:8]
.LBB112_303:
	s_wait_alu 0xfffe
	s_or_b32 exec_lo, exec_lo, s0
	s_wait_storecnt_dscnt 0x0
	s_barrier_signal -1
	s_barrier_wait -1
	global_inv scope:SCOPE_SE
	s_clause 0x7
	scratch_load_b128 v[2:5], off, off offset:64
	scratch_load_b128 v[6:9], off, off offset:80
	;; [unrolled: 1-line block ×8, first 2 shown]
	ds_load_b128 v[38:41], v1 offset:832
	ds_load_b128 v[141:144], v1 offset:848
	s_clause 0x1
	scratch_load_b128 v[34:37], off, off offset:192
	scratch_load_b128 v[145:148], off, off offset:208
	s_mov_b32 s0, exec_lo
	s_wait_loadcnt_dscnt 0x901
	v_mul_f64_e32 v[149:150], v[40:41], v[4:5]
	v_mul_f64_e32 v[4:5], v[38:39], v[4:5]
	s_wait_loadcnt_dscnt 0x800
	v_mul_f64_e32 v[151:152], v[141:142], v[8:9]
	v_mul_f64_e32 v[8:9], v[143:144], v[8:9]
	s_delay_alu instid0(VALU_DEP_4) | instskip(NEXT) | instid1(VALU_DEP_4)
	v_fma_f64 v[149:150], v[38:39], v[2:3], -v[149:150]
	v_fma_f64 v[153:154], v[40:41], v[2:3], v[4:5]
	ds_load_b128 v[2:5], v1 offset:864
	scratch_load_b128 v[38:41], off, off offset:224
	v_fma_f64 v[151:152], v[143:144], v[6:7], v[151:152]
	v_fma_f64 v[157:158], v[141:142], v[6:7], -v[8:9]
	ds_load_b128 v[6:9], v1 offset:880
	scratch_load_b128 v[141:144], off, off offset:240
	s_wait_loadcnt_dscnt 0x901
	v_mul_f64_e32 v[155:156], v[2:3], v[12:13]
	v_mul_f64_e32 v[12:13], v[4:5], v[12:13]
	s_wait_loadcnt_dscnt 0x800
	v_mul_f64_e32 v[159:160], v[6:7], v[16:17]
	v_mul_f64_e32 v[16:17], v[8:9], v[16:17]
	v_add_f64_e32 v[149:150], 0, v[149:150]
	v_add_f64_e32 v[153:154], 0, v[153:154]
	v_fma_f64 v[155:156], v[4:5], v[10:11], v[155:156]
	v_fma_f64 v[161:162], v[2:3], v[10:11], -v[12:13]
	ds_load_b128 v[2:5], v1 offset:896
	scratch_load_b128 v[10:13], off, off offset:256
	v_add_f64_e32 v[149:150], v[149:150], v[157:158]
	v_add_f64_e32 v[151:152], v[153:154], v[151:152]
	v_fma_f64 v[157:158], v[8:9], v[14:15], v[159:160]
	v_fma_f64 v[159:160], v[6:7], v[14:15], -v[16:17]
	ds_load_b128 v[6:9], v1 offset:912
	scratch_load_b128 v[14:17], off, off offset:272
	s_wait_loadcnt_dscnt 0x901
	v_mul_f64_e32 v[153:154], v[2:3], v[20:21]
	v_mul_f64_e32 v[20:21], v[4:5], v[20:21]
	v_add_f64_e32 v[149:150], v[149:150], v[161:162]
	v_add_f64_e32 v[151:152], v[151:152], v[155:156]
	s_wait_loadcnt_dscnt 0x800
	v_mul_f64_e32 v[155:156], v[6:7], v[24:25]
	v_mul_f64_e32 v[24:25], v[8:9], v[24:25]
	v_fma_f64 v[153:154], v[4:5], v[18:19], v[153:154]
	v_fma_f64 v[161:162], v[2:3], v[18:19], -v[20:21]
	ds_load_b128 v[2:5], v1 offset:928
	scratch_load_b128 v[18:21], off, off offset:288
	v_add_f64_e32 v[149:150], v[149:150], v[159:160]
	v_add_f64_e32 v[151:152], v[151:152], v[157:158]
	v_fma_f64 v[155:156], v[8:9], v[22:23], v[155:156]
	v_fma_f64 v[159:160], v[6:7], v[22:23], -v[24:25]
	ds_load_b128 v[6:9], v1 offset:944
	s_wait_loadcnt_dscnt 0x801
	v_mul_f64_e32 v[157:158], v[2:3], v[28:29]
	v_mul_f64_e32 v[28:29], v[4:5], v[28:29]
	scratch_load_b128 v[22:25], off, off offset:304
	v_add_f64_e32 v[149:150], v[149:150], v[161:162]
	v_add_f64_e32 v[151:152], v[151:152], v[153:154]
	s_wait_loadcnt_dscnt 0x800
	v_mul_f64_e32 v[153:154], v[6:7], v[32:33]
	v_mul_f64_e32 v[32:33], v[8:9], v[32:33]
	v_fma_f64 v[157:158], v[4:5], v[26:27], v[157:158]
	v_fma_f64 v[161:162], v[2:3], v[26:27], -v[28:29]
	ds_load_b128 v[2:5], v1 offset:960
	scratch_load_b128 v[26:29], off, off offset:320
	v_add_f64_e32 v[149:150], v[149:150], v[159:160]
	v_add_f64_e32 v[151:152], v[151:152], v[155:156]
	v_fma_f64 v[153:154], v[8:9], v[30:31], v[153:154]
	v_fma_f64 v[159:160], v[6:7], v[30:31], -v[32:33]
	ds_load_b128 v[6:9], v1 offset:976
	s_wait_loadcnt_dscnt 0x801
	v_mul_f64_e32 v[155:156], v[2:3], v[36:37]
	v_mul_f64_e32 v[36:37], v[4:5], v[36:37]
	scratch_load_b128 v[30:33], off, off offset:336
	v_add_f64_e32 v[149:150], v[149:150], v[161:162]
	v_add_f64_e32 v[151:152], v[151:152], v[157:158]
	s_wait_loadcnt_dscnt 0x800
	v_mul_f64_e32 v[157:158], v[6:7], v[147:148]
	v_mul_f64_e32 v[147:148], v[8:9], v[147:148]
	v_fma_f64 v[155:156], v[4:5], v[34:35], v[155:156]
	v_fma_f64 v[161:162], v[2:3], v[34:35], -v[36:37]
	ds_load_b128 v[2:5], v1 offset:992
	scratch_load_b128 v[34:37], off, off offset:352
	v_add_f64_e32 v[149:150], v[149:150], v[159:160]
	v_add_f64_e32 v[151:152], v[151:152], v[153:154]
	v_fma_f64 v[157:158], v[8:9], v[145:146], v[157:158]
	v_fma_f64 v[159:160], v[6:7], v[145:146], -v[147:148]
	ds_load_b128 v[6:9], v1 offset:1008
	scratch_load_b128 v[145:148], off, off offset:368
	s_wait_loadcnt_dscnt 0x901
	v_mul_f64_e32 v[153:154], v[2:3], v[40:41]
	v_mul_f64_e32 v[40:41], v[4:5], v[40:41]
	v_add_f64_e32 v[149:150], v[149:150], v[161:162]
	v_add_f64_e32 v[151:152], v[151:152], v[155:156]
	s_wait_loadcnt_dscnt 0x800
	v_mul_f64_e32 v[155:156], v[6:7], v[143:144]
	v_mul_f64_e32 v[143:144], v[8:9], v[143:144]
	v_fma_f64 v[153:154], v[4:5], v[38:39], v[153:154]
	v_fma_f64 v[161:162], v[2:3], v[38:39], -v[40:41]
	ds_load_b128 v[2:5], v1 offset:1024
	scratch_load_b128 v[38:41], off, off offset:384
	v_add_f64_e32 v[149:150], v[149:150], v[159:160]
	v_add_f64_e32 v[151:152], v[151:152], v[157:158]
	v_fma_f64 v[155:156], v[8:9], v[141:142], v[155:156]
	v_fma_f64 v[159:160], v[6:7], v[141:142], -v[143:144]
	ds_load_b128 v[6:9], v1 offset:1040
	s_wait_loadcnt_dscnt 0x801
	v_mul_f64_e32 v[157:158], v[2:3], v[12:13]
	v_mul_f64_e32 v[12:13], v[4:5], v[12:13]
	scratch_load_b128 v[141:144], off, off offset:400
	v_add_f64_e32 v[149:150], v[149:150], v[161:162]
	v_add_f64_e32 v[151:152], v[151:152], v[153:154]
	s_wait_loadcnt_dscnt 0x800
	v_mul_f64_e32 v[153:154], v[6:7], v[16:17]
	v_mul_f64_e32 v[16:17], v[8:9], v[16:17]
	v_fma_f64 v[157:158], v[4:5], v[10:11], v[157:158]
	v_fma_f64 v[161:162], v[2:3], v[10:11], -v[12:13]
	ds_load_b128 v[2:5], v1 offset:1056
	scratch_load_b128 v[10:13], off, off offset:416
	v_add_f64_e32 v[149:150], v[149:150], v[159:160]
	v_add_f64_e32 v[151:152], v[151:152], v[155:156]
	v_fma_f64 v[153:154], v[8:9], v[14:15], v[153:154]
	v_fma_f64 v[159:160], v[6:7], v[14:15], -v[16:17]
	ds_load_b128 v[6:9], v1 offset:1072
	s_wait_loadcnt_dscnt 0x801
	v_mul_f64_e32 v[155:156], v[2:3], v[20:21]
	v_mul_f64_e32 v[20:21], v[4:5], v[20:21]
	scratch_load_b128 v[14:17], off, off offset:432
	;; [unrolled: 18-line block ×13, first 2 shown]
	v_add_f64_e32 v[149:150], v[149:150], v[161:162]
	v_add_f64_e32 v[151:152], v[151:152], v[153:154]
	s_wait_loadcnt_dscnt 0x800
	v_mul_f64_e32 v[153:154], v[6:7], v[32:33]
	v_mul_f64_e32 v[32:33], v[8:9], v[32:33]
	v_fma_f64 v[157:158], v[4:5], v[26:27], v[157:158]
	v_fma_f64 v[26:27], v[2:3], v[26:27], -v[28:29]
	ds_load_b128 v[2:5], v1 offset:1440
	v_add_f64_e32 v[28:29], v[149:150], v[159:160]
	v_add_f64_e32 v[149:150], v[151:152], v[155:156]
	v_fma_f64 v[153:154], v[8:9], v[30:31], v[153:154]
	v_fma_f64 v[30:31], v[6:7], v[30:31], -v[32:33]
	ds_load_b128 v[6:9], v1 offset:1456
	s_wait_loadcnt_dscnt 0x701
	v_mul_f64_e32 v[151:152], v[2:3], v[36:37]
	v_mul_f64_e32 v[36:37], v[4:5], v[36:37]
	v_add_f64_e32 v[26:27], v[28:29], v[26:27]
	v_add_f64_e32 v[28:29], v[149:150], v[157:158]
	s_delay_alu instid0(VALU_DEP_4) | instskip(NEXT) | instid1(VALU_DEP_4)
	v_fma_f64 v[149:150], v[4:5], v[34:35], v[151:152]
	v_fma_f64 v[34:35], v[2:3], v[34:35], -v[36:37]
	ds_load_b128 v[2:5], v1 offset:1472
	v_add_f64_e32 v[30:31], v[26:27], v[30:31]
	v_add_f64_e32 v[36:37], v[28:29], v[153:154]
	scratch_load_b128 v[26:29], off, off offset:48
	s_wait_loadcnt_dscnt 0x701
	v_mul_f64_e32 v[32:33], v[6:7], v[147:148]
	v_mul_f64_e32 v[147:148], v[8:9], v[147:148]
	v_add_f64_e32 v[30:31], v[30:31], v[34:35]
	v_add_f64_e32 v[34:35], v[36:37], v[149:150]
	s_delay_alu instid0(VALU_DEP_4) | instskip(NEXT) | instid1(VALU_DEP_4)
	v_fma_f64 v[32:33], v[8:9], v[145:146], v[32:33]
	v_fma_f64 v[145:146], v[6:7], v[145:146], -v[147:148]
	ds_load_b128 v[6:9], v1 offset:1488
	s_wait_loadcnt_dscnt 0x601
	v_mul_f64_e32 v[151:152], v[2:3], v[40:41]
	v_mul_f64_e32 v[40:41], v[4:5], v[40:41]
	s_wait_loadcnt_dscnt 0x500
	v_mul_f64_e32 v[36:37], v[6:7], v[143:144]
	v_mul_f64_e32 v[143:144], v[8:9], v[143:144]
	v_add_f64_e32 v[32:33], v[34:35], v[32:33]
	v_add_f64_e32 v[30:31], v[30:31], v[145:146]
	v_fma_f64 v[147:148], v[4:5], v[38:39], v[151:152]
	v_fma_f64 v[38:39], v[2:3], v[38:39], -v[40:41]
	ds_load_b128 v[2:5], v1 offset:1504
	v_fma_f64 v[36:37], v[8:9], v[141:142], v[36:37]
	v_fma_f64 v[40:41], v[6:7], v[141:142], -v[143:144]
	ds_load_b128 v[6:9], v1 offset:1520
	s_wait_loadcnt_dscnt 0x401
	v_mul_f64_e32 v[34:35], v[2:3], v[12:13]
	v_mul_f64_e32 v[12:13], v[4:5], v[12:13]
	v_add_f64_e32 v[32:33], v[32:33], v[147:148]
	v_add_f64_e32 v[30:31], v[30:31], v[38:39]
	s_wait_loadcnt_dscnt 0x300
	v_mul_f64_e32 v[38:39], v[6:7], v[16:17]
	v_mul_f64_e32 v[16:17], v[8:9], v[16:17]
	v_fma_f64 v[34:35], v[4:5], v[10:11], v[34:35]
	v_fma_f64 v[10:11], v[2:3], v[10:11], -v[12:13]
	ds_load_b128 v[2:5], v1 offset:1536
	v_add_f64_e32 v[12:13], v[30:31], v[40:41]
	v_add_f64_e32 v[30:31], v[32:33], v[36:37]
	v_fma_f64 v[36:37], v[8:9], v[14:15], v[38:39]
	v_fma_f64 v[14:15], v[6:7], v[14:15], -v[16:17]
	ds_load_b128 v[6:9], v1 offset:1552
	s_wait_loadcnt_dscnt 0x201
	v_mul_f64_e32 v[32:33], v[2:3], v[20:21]
	v_mul_f64_e32 v[20:21], v[4:5], v[20:21]
	s_wait_loadcnt_dscnt 0x100
	v_mul_f64_e32 v[16:17], v[6:7], v[24:25]
	v_mul_f64_e32 v[24:25], v[8:9], v[24:25]
	v_add_f64_e32 v[10:11], v[12:13], v[10:11]
	v_add_f64_e32 v[12:13], v[30:31], v[34:35]
	v_fma_f64 v[4:5], v[4:5], v[18:19], v[32:33]
	v_fma_f64 v[1:2], v[2:3], v[18:19], -v[20:21]
	v_fma_f64 v[8:9], v[8:9], v[22:23], v[16:17]
	v_fma_f64 v[6:7], v[6:7], v[22:23], -v[24:25]
	v_add_f64_e32 v[10:11], v[10:11], v[14:15]
	v_add_f64_e32 v[12:13], v[12:13], v[36:37]
	s_delay_alu instid0(VALU_DEP_2) | instskip(NEXT) | instid1(VALU_DEP_2)
	v_add_f64_e32 v[1:2], v[10:11], v[1:2]
	v_add_f64_e32 v[3:4], v[12:13], v[4:5]
	s_delay_alu instid0(VALU_DEP_2) | instskip(NEXT) | instid1(VALU_DEP_2)
	v_add_f64_e32 v[1:2], v[1:2], v[6:7]
	v_add_f64_e32 v[3:4], v[3:4], v[8:9]
	s_wait_loadcnt 0x0
	s_delay_alu instid0(VALU_DEP_2) | instskip(NEXT) | instid1(VALU_DEP_2)
	v_add_f64_e64 v[1:2], v[26:27], -v[1:2]
	v_add_f64_e64 v[3:4], v[28:29], -v[3:4]
	scratch_store_b128 off, v[1:4], off offset:48
	v_cmpx_lt_u32_e32 1, v0
	s_cbranch_execz .LBB112_305
; %bb.304:
	scratch_load_b128 v[1:4], off, s15
	v_mov_b32_e32 v5, 0
	s_delay_alu instid0(VALU_DEP_1)
	v_dual_mov_b32 v6, v5 :: v_dual_mov_b32 v7, v5
	v_mov_b32_e32 v8, v5
	scratch_store_b128 off, v[5:8], off offset:32
	s_wait_loadcnt 0x0
	ds_store_b128 v140, v[1:4]
.LBB112_305:
	s_wait_alu 0xfffe
	s_or_b32 exec_lo, exec_lo, s0
	s_wait_storecnt_dscnt 0x0
	s_barrier_signal -1
	s_barrier_wait -1
	global_inv scope:SCOPE_SE
	s_clause 0x7
	scratch_load_b128 v[2:5], off, off offset:48
	scratch_load_b128 v[6:9], off, off offset:64
	;; [unrolled: 1-line block ×8, first 2 shown]
	v_mov_b32_e32 v1, 0
	s_clause 0x1
	scratch_load_b128 v[34:37], off, off offset:176
	scratch_load_b128 v[145:148], off, off offset:192
	s_mov_b32 s0, exec_lo
	ds_load_b128 v[38:41], v1 offset:816
	ds_load_b128 v[141:144], v1 offset:832
	s_wait_loadcnt_dscnt 0x901
	v_mul_f64_e32 v[149:150], v[40:41], v[4:5]
	v_mul_f64_e32 v[4:5], v[38:39], v[4:5]
	s_wait_loadcnt_dscnt 0x800
	v_mul_f64_e32 v[151:152], v[141:142], v[8:9]
	v_mul_f64_e32 v[8:9], v[143:144], v[8:9]
	s_delay_alu instid0(VALU_DEP_4) | instskip(NEXT) | instid1(VALU_DEP_4)
	v_fma_f64 v[149:150], v[38:39], v[2:3], -v[149:150]
	v_fma_f64 v[153:154], v[40:41], v[2:3], v[4:5]
	ds_load_b128 v[2:5], v1 offset:848
	scratch_load_b128 v[38:41], off, off offset:208
	v_fma_f64 v[151:152], v[143:144], v[6:7], v[151:152]
	v_fma_f64 v[157:158], v[141:142], v[6:7], -v[8:9]
	ds_load_b128 v[6:9], v1 offset:864
	scratch_load_b128 v[141:144], off, off offset:224
	s_wait_loadcnt_dscnt 0x901
	v_mul_f64_e32 v[155:156], v[2:3], v[12:13]
	v_mul_f64_e32 v[12:13], v[4:5], v[12:13]
	s_wait_loadcnt_dscnt 0x800
	v_mul_f64_e32 v[159:160], v[6:7], v[16:17]
	v_mul_f64_e32 v[16:17], v[8:9], v[16:17]
	v_add_f64_e32 v[149:150], 0, v[149:150]
	v_add_f64_e32 v[153:154], 0, v[153:154]
	v_fma_f64 v[155:156], v[4:5], v[10:11], v[155:156]
	v_fma_f64 v[161:162], v[2:3], v[10:11], -v[12:13]
	ds_load_b128 v[2:5], v1 offset:880
	scratch_load_b128 v[10:13], off, off offset:240
	v_add_f64_e32 v[149:150], v[149:150], v[157:158]
	v_add_f64_e32 v[151:152], v[153:154], v[151:152]
	v_fma_f64 v[157:158], v[8:9], v[14:15], v[159:160]
	v_fma_f64 v[159:160], v[6:7], v[14:15], -v[16:17]
	ds_load_b128 v[6:9], v1 offset:896
	scratch_load_b128 v[14:17], off, off offset:256
	s_wait_loadcnt_dscnt 0x901
	v_mul_f64_e32 v[153:154], v[2:3], v[20:21]
	v_mul_f64_e32 v[20:21], v[4:5], v[20:21]
	v_add_f64_e32 v[149:150], v[149:150], v[161:162]
	v_add_f64_e32 v[151:152], v[151:152], v[155:156]
	s_wait_loadcnt_dscnt 0x800
	v_mul_f64_e32 v[155:156], v[6:7], v[24:25]
	v_mul_f64_e32 v[24:25], v[8:9], v[24:25]
	v_fma_f64 v[153:154], v[4:5], v[18:19], v[153:154]
	v_fma_f64 v[161:162], v[2:3], v[18:19], -v[20:21]
	ds_load_b128 v[2:5], v1 offset:912
	scratch_load_b128 v[18:21], off, off offset:272
	v_add_f64_e32 v[149:150], v[149:150], v[159:160]
	v_add_f64_e32 v[151:152], v[151:152], v[157:158]
	v_fma_f64 v[155:156], v[8:9], v[22:23], v[155:156]
	v_fma_f64 v[159:160], v[6:7], v[22:23], -v[24:25]
	ds_load_b128 v[6:9], v1 offset:928
	s_wait_loadcnt_dscnt 0x801
	v_mul_f64_e32 v[157:158], v[2:3], v[28:29]
	v_mul_f64_e32 v[28:29], v[4:5], v[28:29]
	scratch_load_b128 v[22:25], off, off offset:288
	v_add_f64_e32 v[149:150], v[149:150], v[161:162]
	v_add_f64_e32 v[151:152], v[151:152], v[153:154]
	s_wait_loadcnt_dscnt 0x800
	v_mul_f64_e32 v[153:154], v[6:7], v[32:33]
	v_mul_f64_e32 v[32:33], v[8:9], v[32:33]
	v_fma_f64 v[157:158], v[4:5], v[26:27], v[157:158]
	v_fma_f64 v[161:162], v[2:3], v[26:27], -v[28:29]
	ds_load_b128 v[2:5], v1 offset:944
	scratch_load_b128 v[26:29], off, off offset:304
	v_add_f64_e32 v[149:150], v[149:150], v[159:160]
	v_add_f64_e32 v[151:152], v[151:152], v[155:156]
	v_fma_f64 v[153:154], v[8:9], v[30:31], v[153:154]
	v_fma_f64 v[159:160], v[6:7], v[30:31], -v[32:33]
	ds_load_b128 v[6:9], v1 offset:960
	s_wait_loadcnt_dscnt 0x801
	v_mul_f64_e32 v[155:156], v[2:3], v[36:37]
	v_mul_f64_e32 v[36:37], v[4:5], v[36:37]
	scratch_load_b128 v[30:33], off, off offset:320
	v_add_f64_e32 v[149:150], v[149:150], v[161:162]
	v_add_f64_e32 v[151:152], v[151:152], v[157:158]
	s_wait_loadcnt_dscnt 0x800
	v_mul_f64_e32 v[157:158], v[6:7], v[147:148]
	v_mul_f64_e32 v[147:148], v[8:9], v[147:148]
	v_fma_f64 v[155:156], v[4:5], v[34:35], v[155:156]
	v_fma_f64 v[161:162], v[2:3], v[34:35], -v[36:37]
	ds_load_b128 v[2:5], v1 offset:976
	scratch_load_b128 v[34:37], off, off offset:336
	v_add_f64_e32 v[149:150], v[149:150], v[159:160]
	v_add_f64_e32 v[151:152], v[151:152], v[153:154]
	v_fma_f64 v[157:158], v[8:9], v[145:146], v[157:158]
	v_fma_f64 v[159:160], v[6:7], v[145:146], -v[147:148]
	ds_load_b128 v[6:9], v1 offset:992
	scratch_load_b128 v[145:148], off, off offset:352
	s_wait_loadcnt_dscnt 0x901
	v_mul_f64_e32 v[153:154], v[2:3], v[40:41]
	v_mul_f64_e32 v[40:41], v[4:5], v[40:41]
	v_add_f64_e32 v[149:150], v[149:150], v[161:162]
	v_add_f64_e32 v[151:152], v[151:152], v[155:156]
	s_wait_loadcnt_dscnt 0x800
	v_mul_f64_e32 v[155:156], v[6:7], v[143:144]
	v_mul_f64_e32 v[143:144], v[8:9], v[143:144]
	v_fma_f64 v[153:154], v[4:5], v[38:39], v[153:154]
	v_fma_f64 v[161:162], v[2:3], v[38:39], -v[40:41]
	ds_load_b128 v[2:5], v1 offset:1008
	scratch_load_b128 v[38:41], off, off offset:368
	v_add_f64_e32 v[149:150], v[149:150], v[159:160]
	v_add_f64_e32 v[151:152], v[151:152], v[157:158]
	v_fma_f64 v[155:156], v[8:9], v[141:142], v[155:156]
	v_fma_f64 v[159:160], v[6:7], v[141:142], -v[143:144]
	ds_load_b128 v[6:9], v1 offset:1024
	s_wait_loadcnt_dscnt 0x801
	v_mul_f64_e32 v[157:158], v[2:3], v[12:13]
	v_mul_f64_e32 v[12:13], v[4:5], v[12:13]
	scratch_load_b128 v[141:144], off, off offset:384
	v_add_f64_e32 v[149:150], v[149:150], v[161:162]
	v_add_f64_e32 v[151:152], v[151:152], v[153:154]
	s_wait_loadcnt_dscnt 0x800
	v_mul_f64_e32 v[153:154], v[6:7], v[16:17]
	v_mul_f64_e32 v[16:17], v[8:9], v[16:17]
	v_fma_f64 v[157:158], v[4:5], v[10:11], v[157:158]
	v_fma_f64 v[161:162], v[2:3], v[10:11], -v[12:13]
	ds_load_b128 v[2:5], v1 offset:1040
	scratch_load_b128 v[10:13], off, off offset:400
	v_add_f64_e32 v[149:150], v[149:150], v[159:160]
	v_add_f64_e32 v[151:152], v[151:152], v[155:156]
	v_fma_f64 v[153:154], v[8:9], v[14:15], v[153:154]
	v_fma_f64 v[159:160], v[6:7], v[14:15], -v[16:17]
	ds_load_b128 v[6:9], v1 offset:1056
	s_wait_loadcnt_dscnt 0x801
	v_mul_f64_e32 v[155:156], v[2:3], v[20:21]
	v_mul_f64_e32 v[20:21], v[4:5], v[20:21]
	scratch_load_b128 v[14:17], off, off offset:416
	;; [unrolled: 18-line block ×13, first 2 shown]
	v_add_f64_e32 v[149:150], v[149:150], v[161:162]
	v_add_f64_e32 v[151:152], v[151:152], v[153:154]
	s_wait_loadcnt_dscnt 0x800
	v_mul_f64_e32 v[153:154], v[6:7], v[32:33]
	v_mul_f64_e32 v[32:33], v[8:9], v[32:33]
	v_fma_f64 v[157:158], v[4:5], v[26:27], v[157:158]
	v_fma_f64 v[161:162], v[2:3], v[26:27], -v[28:29]
	ds_load_b128 v[2:5], v1 offset:1424
	scratch_load_b128 v[26:29], off, off offset:784
	v_add_f64_e32 v[149:150], v[149:150], v[159:160]
	v_add_f64_e32 v[151:152], v[151:152], v[155:156]
	v_fma_f64 v[153:154], v[8:9], v[30:31], v[153:154]
	v_fma_f64 v[30:31], v[6:7], v[30:31], -v[32:33]
	ds_load_b128 v[6:9], v1 offset:1440
	s_wait_loadcnt_dscnt 0x801
	v_mul_f64_e32 v[155:156], v[2:3], v[36:37]
	v_mul_f64_e32 v[36:37], v[4:5], v[36:37]
	v_add_f64_e32 v[32:33], v[149:150], v[161:162]
	v_add_f64_e32 v[149:150], v[151:152], v[157:158]
	s_wait_loadcnt_dscnt 0x700
	v_mul_f64_e32 v[151:152], v[6:7], v[147:148]
	v_mul_f64_e32 v[147:148], v[8:9], v[147:148]
	v_fma_f64 v[155:156], v[4:5], v[34:35], v[155:156]
	v_fma_f64 v[34:35], v[2:3], v[34:35], -v[36:37]
	ds_load_b128 v[2:5], v1 offset:1456
	v_add_f64_e32 v[30:31], v[32:33], v[30:31]
	v_add_f64_e32 v[32:33], v[149:150], v[153:154]
	v_fma_f64 v[149:150], v[8:9], v[145:146], v[151:152]
	v_fma_f64 v[145:146], v[6:7], v[145:146], -v[147:148]
	ds_load_b128 v[6:9], v1 offset:1472
	s_wait_loadcnt_dscnt 0x500
	v_mul_f64_e32 v[151:152], v[6:7], v[143:144]
	v_mul_f64_e32 v[143:144], v[8:9], v[143:144]
	v_add_f64_e32 v[34:35], v[30:31], v[34:35]
	v_add_f64_e32 v[147:148], v[32:33], v[155:156]
	scratch_load_b128 v[30:33], off, off offset:32
	v_mul_f64_e32 v[36:37], v[2:3], v[40:41]
	v_mul_f64_e32 v[40:41], v[4:5], v[40:41]
	v_add_f64_e32 v[34:35], v[34:35], v[145:146]
	s_delay_alu instid0(VALU_DEP_3) | instskip(NEXT) | instid1(VALU_DEP_3)
	v_fma_f64 v[36:37], v[4:5], v[38:39], v[36:37]
	v_fma_f64 v[38:39], v[2:3], v[38:39], -v[40:41]
	v_add_f64_e32 v[40:41], v[147:148], v[149:150]
	ds_load_b128 v[2:5], v1 offset:1488
	v_fma_f64 v[147:148], v[8:9], v[141:142], v[151:152]
	v_fma_f64 v[141:142], v[6:7], v[141:142], -v[143:144]
	ds_load_b128 v[6:9], v1 offset:1504
	s_wait_loadcnt_dscnt 0x501
	v_mul_f64_e32 v[145:146], v[2:3], v[12:13]
	v_mul_f64_e32 v[12:13], v[4:5], v[12:13]
	v_add_f64_e32 v[34:35], v[34:35], v[38:39]
	v_add_f64_e32 v[36:37], v[40:41], v[36:37]
	s_wait_loadcnt_dscnt 0x400
	v_mul_f64_e32 v[38:39], v[6:7], v[16:17]
	v_mul_f64_e32 v[16:17], v[8:9], v[16:17]
	v_fma_f64 v[40:41], v[4:5], v[10:11], v[145:146]
	v_fma_f64 v[10:11], v[2:3], v[10:11], -v[12:13]
	ds_load_b128 v[2:5], v1 offset:1520
	v_add_f64_e32 v[12:13], v[34:35], v[141:142]
	v_add_f64_e32 v[34:35], v[36:37], v[147:148]
	v_fma_f64 v[38:39], v[8:9], v[14:15], v[38:39]
	v_fma_f64 v[14:15], v[6:7], v[14:15], -v[16:17]
	ds_load_b128 v[6:9], v1 offset:1536
	s_wait_loadcnt_dscnt 0x301
	v_mul_f64_e32 v[36:37], v[2:3], v[20:21]
	v_mul_f64_e32 v[20:21], v[4:5], v[20:21]
	s_wait_loadcnt_dscnt 0x200
	v_mul_f64_e32 v[16:17], v[6:7], v[24:25]
	v_mul_f64_e32 v[24:25], v[8:9], v[24:25]
	v_add_f64_e32 v[10:11], v[12:13], v[10:11]
	v_add_f64_e32 v[12:13], v[34:35], v[40:41]
	v_fma_f64 v[34:35], v[4:5], v[18:19], v[36:37]
	v_fma_f64 v[18:19], v[2:3], v[18:19], -v[20:21]
	ds_load_b128 v[2:5], v1 offset:1552
	v_fma_f64 v[8:9], v[8:9], v[22:23], v[16:17]
	v_fma_f64 v[6:7], v[6:7], v[22:23], -v[24:25]
	s_wait_loadcnt_dscnt 0x100
	v_mul_f64_e32 v[20:21], v[4:5], v[28:29]
	v_add_f64_e32 v[10:11], v[10:11], v[14:15]
	v_add_f64_e32 v[12:13], v[12:13], v[38:39]
	v_mul_f64_e32 v[14:15], v[2:3], v[28:29]
	s_delay_alu instid0(VALU_DEP_4) | instskip(NEXT) | instid1(VALU_DEP_4)
	v_fma_f64 v[2:3], v[2:3], v[26:27], -v[20:21]
	v_add_f64_e32 v[10:11], v[10:11], v[18:19]
	s_delay_alu instid0(VALU_DEP_4) | instskip(NEXT) | instid1(VALU_DEP_4)
	v_add_f64_e32 v[12:13], v[12:13], v[34:35]
	v_fma_f64 v[4:5], v[4:5], v[26:27], v[14:15]
	s_delay_alu instid0(VALU_DEP_3) | instskip(NEXT) | instid1(VALU_DEP_3)
	v_add_f64_e32 v[6:7], v[10:11], v[6:7]
	v_add_f64_e32 v[8:9], v[12:13], v[8:9]
	s_delay_alu instid0(VALU_DEP_2) | instskip(NEXT) | instid1(VALU_DEP_2)
	v_add_f64_e32 v[2:3], v[6:7], v[2:3]
	v_add_f64_e32 v[4:5], v[8:9], v[4:5]
	s_wait_loadcnt 0x0
	s_delay_alu instid0(VALU_DEP_2) | instskip(NEXT) | instid1(VALU_DEP_2)
	v_add_f64_e64 v[2:3], v[30:31], -v[2:3]
	v_add_f64_e64 v[4:5], v[32:33], -v[4:5]
	scratch_store_b128 off, v[2:5], off offset:32
	v_cmpx_ne_u32_e32 0, v0
	s_cbranch_execz .LBB112_307
; %bb.306:
	scratch_load_b128 v[5:8], off, off offset:16
	v_dual_mov_b32 v2, v1 :: v_dual_mov_b32 v3, v1
	v_mov_b32_e32 v4, v1
	scratch_store_b128 off, v[1:4], off offset:16
	s_wait_loadcnt 0x0
	ds_store_b128 v140, v[5:8]
.LBB112_307:
	s_wait_alu 0xfffe
	s_or_b32 exec_lo, exec_lo, s0
	s_wait_storecnt_dscnt 0x0
	s_barrier_signal -1
	s_barrier_wait -1
	global_inv scope:SCOPE_SE
	s_clause 0x7
	scratch_load_b128 v[2:5], off, off offset:32
	scratch_load_b128 v[6:9], off, off offset:48
	;; [unrolled: 1-line block ×8, first 2 shown]
	ds_load_b128 v[38:41], v1 offset:800
	ds_load_b128 v[140:143], v1 offset:816
	s_clause 0x1
	scratch_load_b128 v[34:37], off, off offset:160
	scratch_load_b128 v[144:147], off, off offset:176
	s_and_b32 vcc_lo, exec_lo, s12
	s_wait_loadcnt_dscnt 0x901
	v_mul_f64_e32 v[148:149], v[40:41], v[4:5]
	v_mul_f64_e32 v[4:5], v[38:39], v[4:5]
	s_wait_loadcnt_dscnt 0x800
	v_mul_f64_e32 v[150:151], v[140:141], v[8:9]
	v_mul_f64_e32 v[8:9], v[142:143], v[8:9]
	s_delay_alu instid0(VALU_DEP_4) | instskip(NEXT) | instid1(VALU_DEP_4)
	v_fma_f64 v[148:149], v[38:39], v[2:3], -v[148:149]
	v_fma_f64 v[152:153], v[40:41], v[2:3], v[4:5]
	ds_load_b128 v[2:5], v1 offset:832
	scratch_load_b128 v[38:41], off, off offset:192
	v_fma_f64 v[150:151], v[142:143], v[6:7], v[150:151]
	v_fma_f64 v[156:157], v[140:141], v[6:7], -v[8:9]
	ds_load_b128 v[6:9], v1 offset:848
	scratch_load_b128 v[140:143], off, off offset:208
	s_wait_loadcnt_dscnt 0x901
	v_mul_f64_e32 v[154:155], v[2:3], v[12:13]
	v_mul_f64_e32 v[12:13], v[4:5], v[12:13]
	s_wait_loadcnt_dscnt 0x800
	v_mul_f64_e32 v[158:159], v[6:7], v[16:17]
	v_mul_f64_e32 v[16:17], v[8:9], v[16:17]
	v_add_f64_e32 v[148:149], 0, v[148:149]
	v_add_f64_e32 v[152:153], 0, v[152:153]
	v_fma_f64 v[154:155], v[4:5], v[10:11], v[154:155]
	v_fma_f64 v[160:161], v[2:3], v[10:11], -v[12:13]
	ds_load_b128 v[2:5], v1 offset:864
	scratch_load_b128 v[10:13], off, off offset:224
	v_add_f64_e32 v[148:149], v[148:149], v[156:157]
	v_add_f64_e32 v[150:151], v[152:153], v[150:151]
	v_fma_f64 v[156:157], v[8:9], v[14:15], v[158:159]
	v_fma_f64 v[158:159], v[6:7], v[14:15], -v[16:17]
	ds_load_b128 v[6:9], v1 offset:880
	scratch_load_b128 v[14:17], off, off offset:240
	s_wait_loadcnt_dscnt 0x901
	v_mul_f64_e32 v[152:153], v[2:3], v[20:21]
	v_mul_f64_e32 v[20:21], v[4:5], v[20:21]
	v_add_f64_e32 v[148:149], v[148:149], v[160:161]
	v_add_f64_e32 v[150:151], v[150:151], v[154:155]
	s_wait_loadcnt_dscnt 0x800
	v_mul_f64_e32 v[154:155], v[6:7], v[24:25]
	v_mul_f64_e32 v[24:25], v[8:9], v[24:25]
	v_fma_f64 v[152:153], v[4:5], v[18:19], v[152:153]
	v_fma_f64 v[160:161], v[2:3], v[18:19], -v[20:21]
	ds_load_b128 v[2:5], v1 offset:896
	scratch_load_b128 v[18:21], off, off offset:256
	v_add_f64_e32 v[148:149], v[148:149], v[158:159]
	v_add_f64_e32 v[150:151], v[150:151], v[156:157]
	v_fma_f64 v[154:155], v[8:9], v[22:23], v[154:155]
	v_fma_f64 v[158:159], v[6:7], v[22:23], -v[24:25]
	ds_load_b128 v[6:9], v1 offset:912
	s_wait_loadcnt_dscnt 0x801
	v_mul_f64_e32 v[156:157], v[2:3], v[28:29]
	v_mul_f64_e32 v[28:29], v[4:5], v[28:29]
	scratch_load_b128 v[22:25], off, off offset:272
	v_add_f64_e32 v[148:149], v[148:149], v[160:161]
	v_add_f64_e32 v[150:151], v[150:151], v[152:153]
	s_wait_loadcnt_dscnt 0x800
	v_mul_f64_e32 v[152:153], v[6:7], v[32:33]
	v_mul_f64_e32 v[32:33], v[8:9], v[32:33]
	v_fma_f64 v[156:157], v[4:5], v[26:27], v[156:157]
	v_fma_f64 v[160:161], v[2:3], v[26:27], -v[28:29]
	ds_load_b128 v[2:5], v1 offset:928
	scratch_load_b128 v[26:29], off, off offset:288
	v_add_f64_e32 v[148:149], v[148:149], v[158:159]
	v_add_f64_e32 v[150:151], v[150:151], v[154:155]
	v_fma_f64 v[152:153], v[8:9], v[30:31], v[152:153]
	v_fma_f64 v[158:159], v[6:7], v[30:31], -v[32:33]
	ds_load_b128 v[6:9], v1 offset:944
	s_wait_loadcnt_dscnt 0x801
	v_mul_f64_e32 v[154:155], v[2:3], v[36:37]
	v_mul_f64_e32 v[36:37], v[4:5], v[36:37]
	scratch_load_b128 v[30:33], off, off offset:304
	v_add_f64_e32 v[148:149], v[148:149], v[160:161]
	v_add_f64_e32 v[150:151], v[150:151], v[156:157]
	s_wait_loadcnt_dscnt 0x800
	v_mul_f64_e32 v[156:157], v[6:7], v[146:147]
	v_mul_f64_e32 v[146:147], v[8:9], v[146:147]
	v_fma_f64 v[154:155], v[4:5], v[34:35], v[154:155]
	v_fma_f64 v[160:161], v[2:3], v[34:35], -v[36:37]
	ds_load_b128 v[2:5], v1 offset:960
	scratch_load_b128 v[34:37], off, off offset:320
	v_add_f64_e32 v[148:149], v[148:149], v[158:159]
	v_add_f64_e32 v[150:151], v[150:151], v[152:153]
	v_fma_f64 v[156:157], v[8:9], v[144:145], v[156:157]
	v_fma_f64 v[158:159], v[6:7], v[144:145], -v[146:147]
	ds_load_b128 v[6:9], v1 offset:976
	scratch_load_b128 v[144:147], off, off offset:336
	s_wait_loadcnt_dscnt 0x901
	v_mul_f64_e32 v[152:153], v[2:3], v[40:41]
	v_mul_f64_e32 v[40:41], v[4:5], v[40:41]
	v_add_f64_e32 v[148:149], v[148:149], v[160:161]
	v_add_f64_e32 v[150:151], v[150:151], v[154:155]
	s_wait_loadcnt_dscnt 0x800
	v_mul_f64_e32 v[154:155], v[6:7], v[142:143]
	v_mul_f64_e32 v[142:143], v[8:9], v[142:143]
	v_fma_f64 v[152:153], v[4:5], v[38:39], v[152:153]
	v_fma_f64 v[160:161], v[2:3], v[38:39], -v[40:41]
	ds_load_b128 v[2:5], v1 offset:992
	scratch_load_b128 v[38:41], off, off offset:352
	v_add_f64_e32 v[148:149], v[148:149], v[158:159]
	v_add_f64_e32 v[150:151], v[150:151], v[156:157]
	v_fma_f64 v[154:155], v[8:9], v[140:141], v[154:155]
	v_fma_f64 v[158:159], v[6:7], v[140:141], -v[142:143]
	ds_load_b128 v[6:9], v1 offset:1008
	s_wait_loadcnt_dscnt 0x801
	v_mul_f64_e32 v[156:157], v[2:3], v[12:13]
	v_mul_f64_e32 v[12:13], v[4:5], v[12:13]
	scratch_load_b128 v[140:143], off, off offset:368
	v_add_f64_e32 v[148:149], v[148:149], v[160:161]
	v_add_f64_e32 v[150:151], v[150:151], v[152:153]
	s_wait_loadcnt_dscnt 0x800
	v_mul_f64_e32 v[152:153], v[6:7], v[16:17]
	v_mul_f64_e32 v[16:17], v[8:9], v[16:17]
	v_fma_f64 v[156:157], v[4:5], v[10:11], v[156:157]
	v_fma_f64 v[160:161], v[2:3], v[10:11], -v[12:13]
	ds_load_b128 v[2:5], v1 offset:1024
	scratch_load_b128 v[10:13], off, off offset:384
	v_add_f64_e32 v[148:149], v[148:149], v[158:159]
	v_add_f64_e32 v[150:151], v[150:151], v[154:155]
	v_fma_f64 v[152:153], v[8:9], v[14:15], v[152:153]
	v_fma_f64 v[158:159], v[6:7], v[14:15], -v[16:17]
	ds_load_b128 v[6:9], v1 offset:1040
	s_wait_loadcnt_dscnt 0x801
	v_mul_f64_e32 v[154:155], v[2:3], v[20:21]
	v_mul_f64_e32 v[20:21], v[4:5], v[20:21]
	scratch_load_b128 v[14:17], off, off offset:400
	;; [unrolled: 18-line block ×14, first 2 shown]
	v_add_f64_e32 v[148:149], v[148:149], v[160:161]
	v_add_f64_e32 v[150:151], v[150:151], v[156:157]
	s_wait_loadcnt_dscnt 0x800
	v_mul_f64_e32 v[156:157], v[6:7], v[146:147]
	v_mul_f64_e32 v[146:147], v[8:9], v[146:147]
	v_fma_f64 v[154:155], v[4:5], v[34:35], v[154:155]
	v_fma_f64 v[34:35], v[2:3], v[34:35], -v[36:37]
	ds_load_b128 v[2:5], v1 offset:1440
	v_add_f64_e32 v[36:37], v[148:149], v[158:159]
	v_add_f64_e32 v[148:149], v[150:151], v[152:153]
	v_fma_f64 v[152:153], v[8:9], v[144:145], v[156:157]
	v_fma_f64 v[144:145], v[6:7], v[144:145], -v[146:147]
	ds_load_b128 v[6:9], v1 offset:1456
	s_wait_loadcnt_dscnt 0x701
	v_mul_f64_e32 v[150:151], v[2:3], v[40:41]
	v_mul_f64_e32 v[40:41], v[4:5], v[40:41]
	v_add_f64_e32 v[34:35], v[36:37], v[34:35]
	v_add_f64_e32 v[36:37], v[148:149], v[154:155]
	s_delay_alu instid0(VALU_DEP_4) | instskip(NEXT) | instid1(VALU_DEP_4)
	v_fma_f64 v[148:149], v[4:5], v[38:39], v[150:151]
	v_fma_f64 v[38:39], v[2:3], v[38:39], -v[40:41]
	ds_load_b128 v[2:5], v1 offset:1472
	v_add_f64_e32 v[40:41], v[34:35], v[144:145]
	v_add_f64_e32 v[144:145], v[36:37], v[152:153]
	scratch_load_b128 v[34:37], off, off offset:16
	s_wait_loadcnt_dscnt 0x701
	v_mul_f64_e32 v[146:147], v[6:7], v[142:143]
	v_mul_f64_e32 v[142:143], v[8:9], v[142:143]
	v_add_f64_e32 v[38:39], v[40:41], v[38:39]
	v_add_f64_e32 v[40:41], v[144:145], v[148:149]
	s_delay_alu instid0(VALU_DEP_4) | instskip(NEXT) | instid1(VALU_DEP_4)
	v_fma_f64 v[146:147], v[8:9], v[140:141], v[146:147]
	v_fma_f64 v[140:141], v[6:7], v[140:141], -v[142:143]
	ds_load_b128 v[6:9], v1 offset:1488
	s_wait_loadcnt_dscnt 0x601
	v_mul_f64_e32 v[150:151], v[2:3], v[12:13]
	v_mul_f64_e32 v[12:13], v[4:5], v[12:13]
	s_wait_loadcnt_dscnt 0x500
	v_mul_f64_e32 v[142:143], v[6:7], v[16:17]
	v_mul_f64_e32 v[16:17], v[8:9], v[16:17]
	s_delay_alu instid0(VALU_DEP_4) | instskip(NEXT) | instid1(VALU_DEP_4)
	v_fma_f64 v[144:145], v[4:5], v[10:11], v[150:151]
	v_fma_f64 v[10:11], v[2:3], v[10:11], -v[12:13]
	v_add_f64_e32 v[12:13], v[38:39], v[140:141]
	v_add_f64_e32 v[38:39], v[40:41], v[146:147]
	ds_load_b128 v[2:5], v1 offset:1504
	v_fma_f64 v[140:141], v[8:9], v[14:15], v[142:143]
	v_fma_f64 v[14:15], v[6:7], v[14:15], -v[16:17]
	ds_load_b128 v[6:9], v1 offset:1520
	s_wait_loadcnt_dscnt 0x401
	v_mul_f64_e32 v[40:41], v[2:3], v[20:21]
	v_mul_f64_e32 v[20:21], v[4:5], v[20:21]
	v_add_f64_e32 v[10:11], v[12:13], v[10:11]
	v_add_f64_e32 v[12:13], v[38:39], v[144:145]
	s_wait_loadcnt_dscnt 0x300
	v_mul_f64_e32 v[16:17], v[6:7], v[24:25]
	v_mul_f64_e32 v[24:25], v[8:9], v[24:25]
	v_fma_f64 v[38:39], v[4:5], v[18:19], v[40:41]
	v_fma_f64 v[18:19], v[2:3], v[18:19], -v[20:21]
	ds_load_b128 v[2:5], v1 offset:1536
	v_add_f64_e32 v[10:11], v[10:11], v[14:15]
	v_add_f64_e32 v[12:13], v[12:13], v[140:141]
	v_fma_f64 v[16:17], v[8:9], v[22:23], v[16:17]
	v_fma_f64 v[22:23], v[6:7], v[22:23], -v[24:25]
	ds_load_b128 v[6:9], v1 offset:1552
	s_wait_loadcnt_dscnt 0x201
	v_mul_f64_e32 v[14:15], v[2:3], v[28:29]
	v_mul_f64_e32 v[20:21], v[4:5], v[28:29]
	s_wait_loadcnt_dscnt 0x100
	v_mul_f64_e32 v[0:1], v[6:7], v[32:33]
	v_add_f64_e32 v[10:11], v[10:11], v[18:19]
	v_add_f64_e32 v[12:13], v[12:13], v[38:39]
	v_mul_f64_e32 v[18:19], v[8:9], v[32:33]
	v_fma_f64 v[4:5], v[4:5], v[26:27], v[14:15]
	v_fma_f64 v[2:3], v[2:3], v[26:27], -v[20:21]
	v_fma_f64 v[0:1], v[8:9], v[30:31], v[0:1]
	v_add_f64_e32 v[10:11], v[10:11], v[22:23]
	v_add_f64_e32 v[12:13], v[12:13], v[16:17]
	v_fma_f64 v[6:7], v[6:7], v[30:31], -v[18:19]
	s_delay_alu instid0(VALU_DEP_3) | instskip(NEXT) | instid1(VALU_DEP_3)
	v_add_f64_e32 v[2:3], v[10:11], v[2:3]
	v_add_f64_e32 v[4:5], v[12:13], v[4:5]
	s_delay_alu instid0(VALU_DEP_2) | instskip(NEXT) | instid1(VALU_DEP_2)
	v_add_f64_e32 v[2:3], v[2:3], v[6:7]
	v_add_f64_e32 v[4:5], v[4:5], v[0:1]
	s_wait_loadcnt 0x0
	s_delay_alu instid0(VALU_DEP_2) | instskip(NEXT) | instid1(VALU_DEP_2)
	v_add_f64_e64 v[0:1], v[34:35], -v[2:3]
	v_add_f64_e64 v[2:3], v[36:37], -v[4:5]
	scratch_store_b128 off, v[0:3], off offset:16
	s_wait_alu 0xfffe
	s_cbranch_vccz .LBB112_404
; %bb.308:
	v_mov_b32_e32 v0, 0
	global_load_b32 v1, v0, s[2:3] offset:188
	s_wait_loadcnt 0x0
	v_cmp_ne_u32_e32 vcc_lo, 48, v1
	s_cbranch_vccz .LBB112_310
; %bb.309:
	v_lshlrev_b32_e32 v1, 4, v1
	s_delay_alu instid0(VALU_DEP_1)
	v_add_nc_u32_e32 v9, 16, v1
	s_clause 0x1
	scratch_load_b128 v[1:4], v9, off offset:-16
	scratch_load_b128 v[5:8], off, s11
	s_wait_loadcnt 0x1
	scratch_store_b128 off, v[1:4], s11
	s_wait_loadcnt 0x0
	scratch_store_b128 v9, v[5:8], off offset:-16
.LBB112_310:
	global_load_b32 v0, v0, s[2:3] offset:184
	s_wait_loadcnt 0x0
	v_cmp_eq_u32_e32 vcc_lo, 47, v0
	s_cbranch_vccnz .LBB112_312
; %bb.311:
	v_lshlrev_b32_e32 v0, 4, v0
	s_delay_alu instid0(VALU_DEP_1)
	v_add_nc_u32_e32 v8, 16, v0
	s_clause 0x1
	scratch_load_b128 v[0:3], v8, off offset:-16
	scratch_load_b128 v[4:7], off, s14
	s_wait_loadcnt 0x1
	scratch_store_b128 off, v[0:3], s14
	s_wait_loadcnt 0x0
	scratch_store_b128 v8, v[4:7], off offset:-16
.LBB112_312:
	v_mov_b32_e32 v0, 0
	global_load_b32 v1, v0, s[2:3] offset:180
	s_wait_loadcnt 0x0
	v_cmp_eq_u32_e32 vcc_lo, 46, v1
	s_cbranch_vccnz .LBB112_314
; %bb.313:
	v_lshlrev_b32_e32 v1, 4, v1
	s_delay_alu instid0(VALU_DEP_1)
	v_add_nc_u32_e32 v9, 16, v1
	s_clause 0x1
	scratch_load_b128 v[1:4], v9, off offset:-16
	scratch_load_b128 v[5:8], off, s16
	s_wait_loadcnt 0x1
	scratch_store_b128 off, v[1:4], s16
	s_wait_loadcnt 0x0
	scratch_store_b128 v9, v[5:8], off offset:-16
.LBB112_314:
	global_load_b32 v0, v0, s[2:3] offset:176
	s_wait_loadcnt 0x0
	v_cmp_eq_u32_e32 vcc_lo, 45, v0
	s_cbranch_vccnz .LBB112_316
; %bb.315:
	v_lshlrev_b32_e32 v0, 4, v0
	s_delay_alu instid0(VALU_DEP_1)
	v_add_nc_u32_e32 v8, 16, v0
	s_clause 0x1
	scratch_load_b128 v[0:3], v8, off offset:-16
	scratch_load_b128 v[4:7], off, s17
	s_wait_loadcnt 0x1
	scratch_store_b128 off, v[0:3], s17
	s_wait_loadcnt 0x0
	scratch_store_b128 v8, v[4:7], off offset:-16
.LBB112_316:
	v_mov_b32_e32 v0, 0
	global_load_b32 v1, v0, s[2:3] offset:172
	s_wait_loadcnt 0x0
	v_cmp_eq_u32_e32 vcc_lo, 44, v1
	s_cbranch_vccnz .LBB112_318
; %bb.317:
	v_lshlrev_b32_e32 v1, 4, v1
	s_delay_alu instid0(VALU_DEP_1)
	v_add_nc_u32_e32 v9, 16, v1
	s_clause 0x1
	scratch_load_b128 v[1:4], v9, off offset:-16
	scratch_load_b128 v[5:8], off, s18
	s_wait_loadcnt 0x1
	scratch_store_b128 off, v[1:4], s18
	s_wait_loadcnt 0x0
	scratch_store_b128 v9, v[5:8], off offset:-16
.LBB112_318:
	;; [unrolled: 33-line block ×23, first 2 shown]
	global_load_b32 v0, v0, s[2:3]
	s_wait_loadcnt 0x0
	v_cmp_eq_u32_e32 vcc_lo, 1, v0
	s_cbranch_vccnz .LBB112_404
; %bb.403:
	v_lshlrev_b32_e32 v0, 4, v0
	s_delay_alu instid0(VALU_DEP_1)
	v_add_nc_u32_e32 v8, 16, v0
	scratch_load_b128 v[0:3], v8, off offset:-16
	scratch_load_b128 v[4:7], off, off offset:16
	s_wait_loadcnt 0x1
	scratch_store_b128 off, v[0:3], off offset:16
	s_wait_loadcnt 0x0
	scratch_store_b128 v8, v[4:7], off offset:-16
.LBB112_404:
	scratch_load_b128 v[0:3], off, off offset:16
	s_wait_loadcnt 0x0
	flat_store_b128 v[42:43], v[0:3]
	scratch_load_b128 v[0:3], off, s15
	s_wait_loadcnt 0x0
	flat_store_b128 v[44:45], v[0:3]
	scratch_load_b128 v[0:3], off, s13
	;; [unrolled: 3-line block ×48, first 2 shown]
	s_wait_loadcnt 0x0
	flat_store_b128 v[138:139], v[0:3]
	s_nop 0
	s_sendmsg sendmsg(MSG_DEALLOC_VGPRS)
	s_endpgm
	.section	.rodata,"a",@progbits
	.p2align	6, 0x0
	.amdhsa_kernel _ZN9rocsolver6v33100L18getri_kernel_smallILi49E19rocblas_complex_numIdEPKPS3_EEvT1_iilPiilS8_bb
		.amdhsa_group_segment_fixed_size 1576
		.amdhsa_private_segment_fixed_size 816
		.amdhsa_kernarg_size 60
		.amdhsa_user_sgpr_count 2
		.amdhsa_user_sgpr_dispatch_ptr 0
		.amdhsa_user_sgpr_queue_ptr 0
		.amdhsa_user_sgpr_kernarg_segment_ptr 1
		.amdhsa_user_sgpr_dispatch_id 0
		.amdhsa_user_sgpr_private_segment_size 0
		.amdhsa_wavefront_size32 1
		.amdhsa_uses_dynamic_stack 0
		.amdhsa_enable_private_segment 1
		.amdhsa_system_sgpr_workgroup_id_x 1
		.amdhsa_system_sgpr_workgroup_id_y 0
		.amdhsa_system_sgpr_workgroup_id_z 0
		.amdhsa_system_sgpr_workgroup_info 0
		.amdhsa_system_vgpr_workitem_id 0
		.amdhsa_next_free_vgpr 167
		.amdhsa_next_free_sgpr 80
		.amdhsa_reserve_vcc 1
		.amdhsa_float_round_mode_32 0
		.amdhsa_float_round_mode_16_64 0
		.amdhsa_float_denorm_mode_32 3
		.amdhsa_float_denorm_mode_16_64 3
		.amdhsa_fp16_overflow 0
		.amdhsa_workgroup_processor_mode 1
		.amdhsa_memory_ordered 1
		.amdhsa_forward_progress 1
		.amdhsa_inst_pref_size 255
		.amdhsa_round_robin_scheduling 0
		.amdhsa_exception_fp_ieee_invalid_op 0
		.amdhsa_exception_fp_denorm_src 0
		.amdhsa_exception_fp_ieee_div_zero 0
		.amdhsa_exception_fp_ieee_overflow 0
		.amdhsa_exception_fp_ieee_underflow 0
		.amdhsa_exception_fp_ieee_inexact 0
		.amdhsa_exception_int_div_zero 0
	.end_amdhsa_kernel
	.section	.text._ZN9rocsolver6v33100L18getri_kernel_smallILi49E19rocblas_complex_numIdEPKPS3_EEvT1_iilPiilS8_bb,"axG",@progbits,_ZN9rocsolver6v33100L18getri_kernel_smallILi49E19rocblas_complex_numIdEPKPS3_EEvT1_iilPiilS8_bb,comdat
.Lfunc_end112:
	.size	_ZN9rocsolver6v33100L18getri_kernel_smallILi49E19rocblas_complex_numIdEPKPS3_EEvT1_iilPiilS8_bb, .Lfunc_end112-_ZN9rocsolver6v33100L18getri_kernel_smallILi49E19rocblas_complex_numIdEPKPS3_EEvT1_iilPiilS8_bb
                                        ; -- End function
	.set _ZN9rocsolver6v33100L18getri_kernel_smallILi49E19rocblas_complex_numIdEPKPS3_EEvT1_iilPiilS8_bb.num_vgpr, 167
	.set _ZN9rocsolver6v33100L18getri_kernel_smallILi49E19rocblas_complex_numIdEPKPS3_EEvT1_iilPiilS8_bb.num_agpr, 0
	.set _ZN9rocsolver6v33100L18getri_kernel_smallILi49E19rocblas_complex_numIdEPKPS3_EEvT1_iilPiilS8_bb.numbered_sgpr, 80
	.set _ZN9rocsolver6v33100L18getri_kernel_smallILi49E19rocblas_complex_numIdEPKPS3_EEvT1_iilPiilS8_bb.num_named_barrier, 0
	.set _ZN9rocsolver6v33100L18getri_kernel_smallILi49E19rocblas_complex_numIdEPKPS3_EEvT1_iilPiilS8_bb.private_seg_size, 816
	.set _ZN9rocsolver6v33100L18getri_kernel_smallILi49E19rocblas_complex_numIdEPKPS3_EEvT1_iilPiilS8_bb.uses_vcc, 1
	.set _ZN9rocsolver6v33100L18getri_kernel_smallILi49E19rocblas_complex_numIdEPKPS3_EEvT1_iilPiilS8_bb.uses_flat_scratch, 1
	.set _ZN9rocsolver6v33100L18getri_kernel_smallILi49E19rocblas_complex_numIdEPKPS3_EEvT1_iilPiilS8_bb.has_dyn_sized_stack, 0
	.set _ZN9rocsolver6v33100L18getri_kernel_smallILi49E19rocblas_complex_numIdEPKPS3_EEvT1_iilPiilS8_bb.has_recursion, 0
	.set _ZN9rocsolver6v33100L18getri_kernel_smallILi49E19rocblas_complex_numIdEPKPS3_EEvT1_iilPiilS8_bb.has_indirect_call, 0
	.section	.AMDGPU.csdata,"",@progbits
; Kernel info:
; codeLenInByte = 98988
; TotalNumSgprs: 82
; NumVgprs: 167
; ScratchSize: 816
; MemoryBound: 0
; FloatMode: 240
; IeeeMode: 1
; LDSByteSize: 1576 bytes/workgroup (compile time only)
; SGPRBlocks: 0
; VGPRBlocks: 20
; NumSGPRsForWavesPerEU: 82
; NumVGPRsForWavesPerEU: 167
; Occupancy: 9
; WaveLimiterHint : 1
; COMPUTE_PGM_RSRC2:SCRATCH_EN: 1
; COMPUTE_PGM_RSRC2:USER_SGPR: 2
; COMPUTE_PGM_RSRC2:TRAP_HANDLER: 0
; COMPUTE_PGM_RSRC2:TGID_X_EN: 1
; COMPUTE_PGM_RSRC2:TGID_Y_EN: 0
; COMPUTE_PGM_RSRC2:TGID_Z_EN: 0
; COMPUTE_PGM_RSRC2:TIDIG_COMP_CNT: 0
	.section	.text._ZN9rocsolver6v33100L18getri_kernel_smallILi50E19rocblas_complex_numIdEPKPS3_EEvT1_iilPiilS8_bb,"axG",@progbits,_ZN9rocsolver6v33100L18getri_kernel_smallILi50E19rocblas_complex_numIdEPKPS3_EEvT1_iilPiilS8_bb,comdat
	.globl	_ZN9rocsolver6v33100L18getri_kernel_smallILi50E19rocblas_complex_numIdEPKPS3_EEvT1_iilPiilS8_bb ; -- Begin function _ZN9rocsolver6v33100L18getri_kernel_smallILi50E19rocblas_complex_numIdEPKPS3_EEvT1_iilPiilS8_bb
	.p2align	8
	.type	_ZN9rocsolver6v33100L18getri_kernel_smallILi50E19rocblas_complex_numIdEPKPS3_EEvT1_iilPiilS8_bb,@function
_ZN9rocsolver6v33100L18getri_kernel_smallILi50E19rocblas_complex_numIdEPKPS3_EEvT1_iilPiilS8_bb: ; @_ZN9rocsolver6v33100L18getri_kernel_smallILi50E19rocblas_complex_numIdEPKPS3_EEvT1_iilPiilS8_bb
; %bb.0:
	s_mov_b32 s2, exec_lo
	v_cmpx_gt_u32_e32 50, v0
	s_cbranch_execz .LBB113_214
; %bb.1:
	s_clause 0x1
	s_load_b32 s13, s[0:1], 0x38
	s_load_b64 s[2:3], s[0:1], 0x0
	s_mov_b32 s8, ttmp9
	s_load_b128 s[4:7], s[0:1], 0x28
	s_wait_kmcnt 0x0
	s_bitcmp1_b32 s13, 8
	s_cselect_b32 s12, -1, 0
	s_ashr_i32 s9, ttmp9, 31
	s_delay_alu instid0(SALU_CYCLE_1) | instskip(NEXT) | instid1(SALU_CYCLE_1)
	s_lshl_b64 s[10:11], s[8:9], 3
	s_add_nc_u64 s[2:3], s[2:3], s[10:11]
	s_load_b64 s[10:11], s[2:3], 0x0
	s_bfe_u32 s2, s13, 0x10008
	s_delay_alu instid0(SALU_CYCLE_1)
	s_cmp_eq_u32 s2, 0
                                        ; implicit-def: $sgpr2_sgpr3
	s_cbranch_scc1 .LBB113_3
; %bb.2:
	s_load_b96 s[16:18], s[0:1], 0x18
	s_mul_u64 s[2:3], s[4:5], s[8:9]
	s_delay_alu instid0(SALU_CYCLE_1)
	s_lshl_b64 s[2:3], s[2:3], 2
	s_wait_kmcnt 0x0
	s_ashr_i32 s5, s18, 31
	s_mov_b32 s4, s18
	s_add_nc_u64 s[2:3], s[16:17], s[2:3]
	s_lshl_b64 s[4:5], s[4:5], 2
	s_delay_alu instid0(SALU_CYCLE_1)
	s_add_nc_u64 s[2:3], s[2:3], s[4:5]
.LBB113_3:
	s_clause 0x1
	s_load_b64 s[4:5], s[0:1], 0x8
	s_load_b32 s59, s[0:1], 0x38
	v_lshlrev_b32_e32 v13, 4, v0
	s_movk_i32 s14, 0x90
	s_movk_i32 s16, 0xa0
	;; [unrolled: 1-line block ×17, first 2 shown]
	s_wait_kmcnt 0x0
	s_ashr_i32 s1, s4, 31
	s_mov_b32 s0, s4
	v_add3_u32 v5, s5, s5, v0
	s_lshl_b64 s[0:1], s[0:1], 4
	s_movk_i32 s33, 0x1a0
	s_add_nc_u64 s[0:1], s[10:11], s[0:1]
	s_ashr_i32 s11, s5, 31
	v_add_co_u32 v42, s4, s0, v13
	s_wait_alu 0xf1ff
	v_add_co_ci_u32_e64 v43, null, s1, 0, s4
	s_mov_b32 s10, s5
	v_ashrrev_i32_e32 v6, 31, v5
	s_lshl_b64 s[10:11], s[10:11], 4
	flat_load_b128 v[1:4], v[42:43]
	v_add_co_u32 v44, vcc_lo, v42, s10
	s_delay_alu instid0(VALU_DEP_1)
	v_add_co_ci_u32_e64 v45, null, s11, v43, vcc_lo
	v_lshlrev_b64_e32 v[6:7], 4, v[5:6]
	v_add_nc_u32_e32 v5, s5, v5
	s_movk_i32 s11, 0x80
	s_movk_i32 s34, 0x1b0
	s_movk_i32 s35, 0x1c0
	s_movk_i32 s60, 0x1d0
	v_add_co_u32 v46, vcc_lo, s0, v6
	s_wait_alu 0xfffd
	v_add_co_ci_u32_e64 v47, null, s1, v7, vcc_lo
	v_ashrrev_i32_e32 v6, 31, v5
	s_movk_i32 s61, 0x1e0
	s_movk_i32 s62, 0x1f0
	s_movk_i32 s63, 0x200
	s_movk_i32 s64, 0x210
	v_lshlrev_b64_e32 v[6:7], 4, v[5:6]
	v_add_nc_u32_e32 v5, s5, v5
	s_movk_i32 s65, 0x220
	s_movk_i32 s66, 0x230
	s_movk_i32 s67, 0x240
	s_movk_i32 s68, 0x250
	v_add_co_u32 v48, vcc_lo, s0, v6
	s_wait_alu 0xfffd
	v_add_co_ci_u32_e64 v49, null, s1, v7, vcc_lo
	v_ashrrev_i32_e32 v6, 31, v5
	s_movk_i32 s69, 0x260
	s_movk_i32 s70, 0x270
	s_movk_i32 s71, 0x280
	s_movk_i32 s72, 0x290
	;; [unrolled: 14-line block ×3, first 2 shown]
	v_lshlrev_b64_e32 v[6:7], 4, v[5:6]
	v_add_nc_u32_e32 v5, s5, v5
	s_wait_alu 0xfffe
	s_add_co_i32 s55, s11, 16
	s_add_co_i32 s54, s14, 16
	s_add_co_i32 s53, s16, 16
	s_add_co_i32 s52, s17, 16
	v_add_co_u32 v52, vcc_lo, s0, v6
	s_wait_alu 0xfffd
	v_add_co_ci_u32_e64 v53, null, s1, v7, vcc_lo
	v_ashrrev_i32_e32 v6, 31, v5
	s_add_co_i32 s51, s18, 16
	s_add_co_i32 s50, s19, 16
	s_add_co_i32 s49, s20, 16
	s_add_co_i32 s48, s21, 16
	v_lshlrev_b64_e32 v[6:7], 4, v[5:6]
	v_add_nc_u32_e32 v5, s5, v5
	s_add_co_i32 s47, s22, 16
	s_add_co_i32 s46, s23, 16
	s_add_co_i32 s45, s24, 16
	s_add_co_i32 s44, s25, 16
	v_add_co_u32 v54, vcc_lo, s0, v6
	s_wait_alu 0xfffd
	v_add_co_ci_u32_e64 v55, null, s1, v7, vcc_lo
	v_ashrrev_i32_e32 v6, 31, v5
	s_add_co_i32 s43, s26, 16
	s_add_co_i32 s42, s27, 16
	s_add_co_i32 s41, s28, 16
	s_add_co_i32 s40, s29, 16
	v_lshlrev_b64_e32 v[6:7], 4, v[5:6]
	v_add_nc_u32_e32 v5, s5, v5
	;; [unrolled: 14-line block ×5, first 2 shown]
	s_add_co_i32 s11, s79, 16
	s_mov_b32 s15, 32
	s_mov_b32 s13, 48
	;; [unrolled: 1-line block ×3, first 2 shown]
	v_add_co_u32 v62, vcc_lo, s0, v6
	s_wait_alu 0xfffd
	v_add_co_ci_u32_e64 v63, null, s1, v7, vcc_lo
	v_ashrrev_i32_e32 v6, 31, v5
	s_movk_i32 s4, 0x50
	s_delay_alu instid0(VALU_DEP_1) | instskip(SKIP_1) | instid1(VALU_DEP_2)
	v_lshlrev_b64_e32 v[6:7], 4, v[5:6]
	v_add_nc_u32_e32 v5, s5, v5
	v_add_co_u32 v64, vcc_lo, s0, v6
	s_wait_alu 0xfffd
	s_delay_alu instid0(VALU_DEP_3) | instskip(NEXT) | instid1(VALU_DEP_3)
	v_add_co_ci_u32_e64 v65, null, s1, v7, vcc_lo
	v_ashrrev_i32_e32 v6, 31, v5
	s_delay_alu instid0(VALU_DEP_1) | instskip(SKIP_1) | instid1(VALU_DEP_2)
	v_lshlrev_b64_e32 v[6:7], 4, v[5:6]
	v_add_nc_u32_e32 v5, s5, v5
	v_add_co_u32 v66, vcc_lo, s0, v6
	s_wait_alu 0xfffd
	s_delay_alu instid0(VALU_DEP_3) | instskip(NEXT) | instid1(VALU_DEP_3)
	v_add_co_ci_u32_e64 v67, null, s1, v7, vcc_lo
	v_ashrrev_i32_e32 v6, 31, v5
	;; [unrolled: 8-line block ×12, first 2 shown]
	s_delay_alu instid0(VALU_DEP_1)
	v_lshlrev_b64_e32 v[6:7], 4, v[5:6]
	s_wait_loadcnt_dscnt 0x0
	scratch_store_b128 off, v[1:4], off offset:16
	flat_load_b128 v[1:4], v[44:45]
	v_add_nc_u32_e32 v5, s5, v5
	v_add_co_u32 v88, vcc_lo, s0, v6
	s_wait_alu 0xfffd
	v_add_co_ci_u32_e64 v89, null, s1, v7, vcc_lo
	s_delay_alu instid0(VALU_DEP_3) | instskip(NEXT) | instid1(VALU_DEP_1)
	v_ashrrev_i32_e32 v6, 31, v5
	v_lshlrev_b64_e32 v[6:7], 4, v[5:6]
	v_add_nc_u32_e32 v5, s5, v5
	s_delay_alu instid0(VALU_DEP_2) | instskip(SKIP_1) | instid1(VALU_DEP_3)
	v_add_co_u32 v90, vcc_lo, s0, v6
	s_wait_alu 0xfffd
	v_add_co_ci_u32_e64 v91, null, s1, v7, vcc_lo
	s_delay_alu instid0(VALU_DEP_3) | instskip(NEXT) | instid1(VALU_DEP_1)
	v_ashrrev_i32_e32 v6, 31, v5
	v_lshlrev_b64_e32 v[6:7], 4, v[5:6]
	v_add_nc_u32_e32 v5, s5, v5
	s_delay_alu instid0(VALU_DEP_2) | instskip(SKIP_1) | instid1(VALU_DEP_3)
	;; [unrolled: 8-line block ×20, first 2 shown]
	v_add_co_u32 v128, vcc_lo, s0, v6
	s_wait_alu 0xfffd
	v_add_co_ci_u32_e64 v129, null, s1, v7, vcc_lo
	s_delay_alu instid0(VALU_DEP_3) | instskip(NEXT) | instid1(VALU_DEP_1)
	v_ashrrev_i32_e32 v6, 31, v5
	v_lshlrev_b64_e32 v[6:7], 4, v[5:6]
	v_add_nc_u32_e32 v5, s5, v5
	s_delay_alu instid0(VALU_DEP_2)
	v_add_co_u32 v130, vcc_lo, s0, v6
	s_wait_loadcnt_dscnt 0x0
	scratch_store_b128 off, v[1:4], off offset:32
	flat_load_b128 v[1:4], v[46:47]
	s_wait_alu 0xfffd
	v_add_co_ci_u32_e64 v131, null, s1, v7, vcc_lo
	v_ashrrev_i32_e32 v6, 31, v5
	s_delay_alu instid0(VALU_DEP_1) | instskip(SKIP_1) | instid1(VALU_DEP_2)
	v_lshlrev_b64_e32 v[6:7], 4, v[5:6]
	v_add_nc_u32_e32 v5, s5, v5
	v_add_co_u32 v132, vcc_lo, s0, v6
	s_wait_alu 0xfffd
	s_delay_alu instid0(VALU_DEP_3) | instskip(NEXT) | instid1(VALU_DEP_3)
	v_add_co_ci_u32_e64 v133, null, s1, v7, vcc_lo
	v_ashrrev_i32_e32 v6, 31, v5
	s_delay_alu instid0(VALU_DEP_1) | instskip(SKIP_1) | instid1(VALU_DEP_2)
	v_lshlrev_b64_e32 v[6:7], 4, v[5:6]
	v_add_nc_u32_e32 v5, s5, v5
	v_add_co_u32 v134, vcc_lo, s0, v6
	s_wait_alu 0xfffd
	s_delay_alu instid0(VALU_DEP_3) | instskip(NEXT) | instid1(VALU_DEP_3)
	;; [unrolled: 8-line block ×3, first 2 shown]
	v_add_co_ci_u32_e64 v137, null, s1, v7, vcc_lo
	v_ashrrev_i32_e32 v6, 31, v5
	s_delay_alu instid0(VALU_DEP_1)
	v_lshlrev_b64_e32 v[6:7], 4, v[5:6]
	v_add_nc_u32_e32 v5, s5, v5
	s_movk_i32 s5, 0x70
	s_wait_alu 0xfffe
	s_add_co_i32 s56, s5, 16
	s_add_co_i32 s5, s80, 16
	v_add_co_u32 v138, vcc_lo, s0, v6
	s_wait_alu 0xfffd
	v_add_co_ci_u32_e64 v139, null, s1, v7, vcc_lo
	v_ashrrev_i32_e32 v6, 31, v5
	s_delay_alu instid0(VALU_DEP_1) | instskip(NEXT) | instid1(VALU_DEP_1)
	v_lshlrev_b64_e32 v[5:6], 4, v[5:6]
	v_add_co_u32 v140, vcc_lo, s0, v5
	s_wait_alu 0xfffd
	s_delay_alu instid0(VALU_DEP_2)
	v_add_co_ci_u32_e64 v141, null, s1, v6, vcc_lo
	s_movk_i32 s0, 0x50
	s_movk_i32 s1, 0x60
	s_wait_alu 0xfffe
	s_add_co_i32 s58, s0, 16
	s_add_co_i32 s57, s1, 16
	s_bitcmp0_b32 s59, 0
	s_mov_b32 s1, -1
	s_wait_loadcnt_dscnt 0x0
	scratch_store_b128 off, v[1:4], off offset:48
	flat_load_b128 v[1:4], v[48:49]
	s_wait_loadcnt_dscnt 0x0
	scratch_store_b128 off, v[1:4], off offset:64
	flat_load_b128 v[1:4], v[50:51]
	;; [unrolled: 3-line block ×47, first 2 shown]
	s_wait_loadcnt_dscnt 0x0
	scratch_store_b128 off, v[1:4], off offset:800
	s_cbranch_scc1 .LBB113_212
; %bb.4:
	v_cmp_eq_u32_e64 s0, 0, v0
	s_and_saveexec_b32 s1, s0
; %bb.5:
	v_mov_b32_e32 v1, 0
	ds_store_b32 v1, v1 offset:1600
; %bb.6:
	s_wait_alu 0xfffe
	s_or_b32 exec_lo, exec_lo, s1
	s_wait_storecnt_dscnt 0x0
	s_barrier_signal -1
	s_barrier_wait -1
	global_inv scope:SCOPE_SE
	scratch_load_b128 v[1:4], v13, off offset:16
	s_wait_loadcnt 0x0
	v_cmp_eq_f64_e32 vcc_lo, 0, v[1:2]
	v_cmp_eq_f64_e64 s1, 0, v[3:4]
	s_and_b32 s1, vcc_lo, s1
	s_wait_alu 0xfffe
	s_and_saveexec_b32 s59, s1
	s_cbranch_execz .LBB113_10
; %bb.7:
	v_mov_b32_e32 v1, 0
	s_mov_b32 s60, 0
	ds_load_b32 v2, v1 offset:1600
	s_wait_dscnt 0x0
	v_readfirstlane_b32 s1, v2
	v_add_nc_u32_e32 v2, 1, v0
	s_cmp_eq_u32 s1, 0
	s_delay_alu instid0(VALU_DEP_1) | instskip(SKIP_1) | instid1(SALU_CYCLE_1)
	v_cmp_gt_i32_e32 vcc_lo, s1, v2
	s_cselect_b32 s61, -1, 0
	s_or_b32 s61, s61, vcc_lo
	s_delay_alu instid0(SALU_CYCLE_1)
	s_and_b32 exec_lo, exec_lo, s61
	s_cbranch_execz .LBB113_10
; %bb.8:
	v_mov_b32_e32 v3, s1
.LBB113_9:                              ; =>This Inner Loop Header: Depth=1
	ds_cmpstore_rtn_b32 v3, v1, v2, v3 offset:1600
	s_wait_dscnt 0x0
	v_cmp_ne_u32_e32 vcc_lo, 0, v3
	v_cmp_le_i32_e64 s1, v3, v2
	s_and_b32 s1, vcc_lo, s1
	s_wait_alu 0xfffe
	s_and_b32 s1, exec_lo, s1
	s_wait_alu 0xfffe
	s_or_b32 s60, s1, s60
	s_delay_alu instid0(SALU_CYCLE_1)
	s_and_not1_b32 exec_lo, exec_lo, s60
	s_cbranch_execnz .LBB113_9
.LBB113_10:
	s_or_b32 exec_lo, exec_lo, s59
	v_mov_b32_e32 v1, 0
	s_barrier_signal -1
	s_barrier_wait -1
	global_inv scope:SCOPE_SE
	ds_load_b32 v2, v1 offset:1600
	s_and_saveexec_b32 s1, s0
	s_cbranch_execz .LBB113_12
; %bb.11:
	s_lshl_b64 s[60:61], s[8:9], 2
	s_delay_alu instid0(SALU_CYCLE_1)
	s_add_nc_u64 s[60:61], s[6:7], s[60:61]
	s_wait_dscnt 0x0
	global_store_b32 v1, v2, s[60:61]
.LBB113_12:
	s_wait_alu 0xfffe
	s_or_b32 exec_lo, exec_lo, s1
	s_wait_dscnt 0x0
	v_cmp_ne_u32_e32 vcc_lo, 0, v2
	s_mov_b32 s1, 0
	s_cbranch_vccnz .LBB113_212
; %bb.13:
	v_add_nc_u32_e32 v14, 16, v13
                                        ; implicit-def: $vgpr1_vgpr2
                                        ; implicit-def: $vgpr9_vgpr10
	scratch_load_b128 v[5:8], v14, off
	s_wait_loadcnt 0x0
	v_cmp_ngt_f64_e64 s1, |v[5:6]|, |v[7:8]|
	s_wait_alu 0xfffe
	s_and_saveexec_b32 s59, s1
	s_delay_alu instid0(SALU_CYCLE_1)
	s_xor_b32 s1, exec_lo, s59
	s_cbranch_execz .LBB113_15
; %bb.14:
	v_div_scale_f64 v[1:2], null, v[7:8], v[7:8], v[5:6]
	v_div_scale_f64 v[11:12], vcc_lo, v[5:6], v[7:8], v[5:6]
	s_delay_alu instid0(VALU_DEP_2) | instskip(NEXT) | instid1(TRANS32_DEP_1)
	v_rcp_f64_e32 v[3:4], v[1:2]
	v_fma_f64 v[9:10], -v[1:2], v[3:4], 1.0
	s_delay_alu instid0(VALU_DEP_1) | instskip(NEXT) | instid1(VALU_DEP_1)
	v_fma_f64 v[3:4], v[3:4], v[9:10], v[3:4]
	v_fma_f64 v[9:10], -v[1:2], v[3:4], 1.0
	s_delay_alu instid0(VALU_DEP_1) | instskip(NEXT) | instid1(VALU_DEP_1)
	v_fma_f64 v[3:4], v[3:4], v[9:10], v[3:4]
	v_mul_f64_e32 v[9:10], v[11:12], v[3:4]
	s_delay_alu instid0(VALU_DEP_1) | instskip(SKIP_1) | instid1(VALU_DEP_1)
	v_fma_f64 v[1:2], -v[1:2], v[9:10], v[11:12]
	s_wait_alu 0xfffd
	v_div_fmas_f64 v[1:2], v[1:2], v[3:4], v[9:10]
	s_delay_alu instid0(VALU_DEP_1) | instskip(NEXT) | instid1(VALU_DEP_1)
	v_div_fixup_f64 v[1:2], v[1:2], v[7:8], v[5:6]
	v_fma_f64 v[3:4], v[5:6], v[1:2], v[7:8]
	s_delay_alu instid0(VALU_DEP_1) | instskip(SKIP_1) | instid1(VALU_DEP_2)
	v_div_scale_f64 v[5:6], null, v[3:4], v[3:4], 1.0
	v_div_scale_f64 v[11:12], vcc_lo, 1.0, v[3:4], 1.0
	v_rcp_f64_e32 v[7:8], v[5:6]
	s_delay_alu instid0(TRANS32_DEP_1) | instskip(NEXT) | instid1(VALU_DEP_1)
	v_fma_f64 v[9:10], -v[5:6], v[7:8], 1.0
	v_fma_f64 v[7:8], v[7:8], v[9:10], v[7:8]
	s_delay_alu instid0(VALU_DEP_1) | instskip(NEXT) | instid1(VALU_DEP_1)
	v_fma_f64 v[9:10], -v[5:6], v[7:8], 1.0
	v_fma_f64 v[7:8], v[7:8], v[9:10], v[7:8]
	s_delay_alu instid0(VALU_DEP_1) | instskip(NEXT) | instid1(VALU_DEP_1)
	v_mul_f64_e32 v[9:10], v[11:12], v[7:8]
	v_fma_f64 v[5:6], -v[5:6], v[9:10], v[11:12]
	s_wait_alu 0xfffd
	s_delay_alu instid0(VALU_DEP_1) | instskip(NEXT) | instid1(VALU_DEP_1)
	v_div_fmas_f64 v[5:6], v[5:6], v[7:8], v[9:10]
	v_div_fixup_f64 v[3:4], v[5:6], v[3:4], 1.0
                                        ; implicit-def: $vgpr5_vgpr6
	s_delay_alu instid0(VALU_DEP_1) | instskip(SKIP_1) | instid1(VALU_DEP_2)
	v_mul_f64_e32 v[1:2], v[1:2], v[3:4]
	v_xor_b32_e32 v4, 0x80000000, v4
	v_xor_b32_e32 v10, 0x80000000, v2
	s_delay_alu instid0(VALU_DEP_3)
	v_mov_b32_e32 v9, v1
.LBB113_15:
	s_wait_alu 0xfffe
	s_and_not1_saveexec_b32 s1, s1
	s_cbranch_execz .LBB113_17
; %bb.16:
	v_div_scale_f64 v[1:2], null, v[5:6], v[5:6], v[7:8]
	v_div_scale_f64 v[11:12], vcc_lo, v[7:8], v[5:6], v[7:8]
	s_delay_alu instid0(VALU_DEP_2) | instskip(NEXT) | instid1(TRANS32_DEP_1)
	v_rcp_f64_e32 v[3:4], v[1:2]
	v_fma_f64 v[9:10], -v[1:2], v[3:4], 1.0
	s_delay_alu instid0(VALU_DEP_1) | instskip(NEXT) | instid1(VALU_DEP_1)
	v_fma_f64 v[3:4], v[3:4], v[9:10], v[3:4]
	v_fma_f64 v[9:10], -v[1:2], v[3:4], 1.0
	s_delay_alu instid0(VALU_DEP_1) | instskip(NEXT) | instid1(VALU_DEP_1)
	v_fma_f64 v[3:4], v[3:4], v[9:10], v[3:4]
	v_mul_f64_e32 v[9:10], v[11:12], v[3:4]
	s_delay_alu instid0(VALU_DEP_1) | instskip(SKIP_1) | instid1(VALU_DEP_1)
	v_fma_f64 v[1:2], -v[1:2], v[9:10], v[11:12]
	s_wait_alu 0xfffd
	v_div_fmas_f64 v[1:2], v[1:2], v[3:4], v[9:10]
	s_delay_alu instid0(VALU_DEP_1) | instskip(NEXT) | instid1(VALU_DEP_1)
	v_div_fixup_f64 v[3:4], v[1:2], v[5:6], v[7:8]
	v_fma_f64 v[1:2], v[7:8], v[3:4], v[5:6]
	s_delay_alu instid0(VALU_DEP_1) | instskip(NEXT) | instid1(VALU_DEP_1)
	v_div_scale_f64 v[5:6], null, v[1:2], v[1:2], 1.0
	v_rcp_f64_e32 v[7:8], v[5:6]
	s_delay_alu instid0(TRANS32_DEP_1) | instskip(NEXT) | instid1(VALU_DEP_1)
	v_fma_f64 v[9:10], -v[5:6], v[7:8], 1.0
	v_fma_f64 v[7:8], v[7:8], v[9:10], v[7:8]
	s_delay_alu instid0(VALU_DEP_1) | instskip(NEXT) | instid1(VALU_DEP_1)
	v_fma_f64 v[9:10], -v[5:6], v[7:8], 1.0
	v_fma_f64 v[7:8], v[7:8], v[9:10], v[7:8]
	v_div_scale_f64 v[9:10], vcc_lo, 1.0, v[1:2], 1.0
	s_delay_alu instid0(VALU_DEP_1) | instskip(NEXT) | instid1(VALU_DEP_1)
	v_mul_f64_e32 v[11:12], v[9:10], v[7:8]
	v_fma_f64 v[5:6], -v[5:6], v[11:12], v[9:10]
	s_wait_alu 0xfffd
	s_delay_alu instid0(VALU_DEP_1) | instskip(NEXT) | instid1(VALU_DEP_1)
	v_div_fmas_f64 v[5:6], v[5:6], v[7:8], v[11:12]
	v_div_fixup_f64 v[1:2], v[5:6], v[1:2], 1.0
	s_delay_alu instid0(VALU_DEP_1)
	v_mul_f64_e64 v[3:4], v[3:4], -v[1:2]
	v_xor_b32_e32 v10, 0x80000000, v2
	v_mov_b32_e32 v9, v1
.LBB113_17:
	s_wait_alu 0xfffe
	s_or_b32 exec_lo, exec_lo, s1
	scratch_store_b128 v14, v[1:4], off
	scratch_load_b128 v[15:18], off, s15
	v_xor_b32_e32 v12, 0x80000000, v4
	v_mov_b32_e32 v11, v3
	v_add_nc_u32_e32 v5, 0x320, v13
	ds_store_b128 v13, v[9:12]
	s_wait_loadcnt 0x0
	ds_store_b128 v13, v[15:18] offset:800
	s_wait_storecnt_dscnt 0x0
	s_barrier_signal -1
	s_barrier_wait -1
	global_inv scope:SCOPE_SE
	s_and_saveexec_b32 s1, s0
	s_cbranch_execz .LBB113_19
; %bb.18:
	scratch_load_b128 v[1:4], v14, off
	ds_load_b128 v[6:9], v5
	v_mov_b32_e32 v10, 0
	ds_load_b128 v[15:18], v10 offset:16
	s_wait_loadcnt_dscnt 0x1
	v_mul_f64_e32 v[10:11], v[6:7], v[3:4]
	v_mul_f64_e32 v[3:4], v[8:9], v[3:4]
	s_delay_alu instid0(VALU_DEP_2) | instskip(NEXT) | instid1(VALU_DEP_2)
	v_fma_f64 v[8:9], v[8:9], v[1:2], v[10:11]
	v_fma_f64 v[1:2], v[6:7], v[1:2], -v[3:4]
	s_delay_alu instid0(VALU_DEP_2) | instskip(NEXT) | instid1(VALU_DEP_2)
	v_add_f64_e32 v[3:4], 0, v[8:9]
	v_add_f64_e32 v[1:2], 0, v[1:2]
	s_wait_dscnt 0x0
	s_delay_alu instid0(VALU_DEP_2) | instskip(NEXT) | instid1(VALU_DEP_2)
	v_mul_f64_e32 v[6:7], v[3:4], v[17:18]
	v_mul_f64_e32 v[8:9], v[1:2], v[17:18]
	s_delay_alu instid0(VALU_DEP_2) | instskip(NEXT) | instid1(VALU_DEP_2)
	v_fma_f64 v[1:2], v[1:2], v[15:16], -v[6:7]
	v_fma_f64 v[3:4], v[3:4], v[15:16], v[8:9]
	scratch_store_b128 off, v[1:4], off offset:32
.LBB113_19:
	s_wait_alu 0xfffe
	s_or_b32 exec_lo, exec_lo, s1
	s_wait_loadcnt 0x0
	s_wait_storecnt 0x0
	s_barrier_signal -1
	s_barrier_wait -1
	global_inv scope:SCOPE_SE
	scratch_load_b128 v[1:4], off, s13
	s_mov_b32 s1, exec_lo
	s_wait_loadcnt 0x0
	ds_store_b128 v5, v[1:4]
	s_wait_dscnt 0x0
	s_barrier_signal -1
	s_barrier_wait -1
	global_inv scope:SCOPE_SE
	v_cmpx_gt_u32_e32 2, v0
	s_cbranch_execz .LBB113_23
; %bb.20:
	scratch_load_b128 v[1:4], v14, off
	ds_load_b128 v[6:9], v5
	s_wait_loadcnt_dscnt 0x0
	v_mul_f64_e32 v[10:11], v[8:9], v[3:4]
	v_mul_f64_e32 v[3:4], v[6:7], v[3:4]
	s_delay_alu instid0(VALU_DEP_2) | instskip(NEXT) | instid1(VALU_DEP_2)
	v_fma_f64 v[6:7], v[6:7], v[1:2], -v[10:11]
	v_fma_f64 v[3:4], v[8:9], v[1:2], v[3:4]
	s_delay_alu instid0(VALU_DEP_2) | instskip(NEXT) | instid1(VALU_DEP_2)
	v_add_f64_e32 v[1:2], 0, v[6:7]
	v_add_f64_e32 v[3:4], 0, v[3:4]
	s_and_saveexec_b32 s59, s0
	s_cbranch_execz .LBB113_22
; %bb.21:
	scratch_load_b128 v[6:9], off, off offset:32
	v_mov_b32_e32 v10, 0
	ds_load_b128 v[15:18], v10 offset:816
	s_wait_loadcnt_dscnt 0x0
	v_mul_f64_e32 v[10:11], v[15:16], v[8:9]
	v_mul_f64_e32 v[8:9], v[17:18], v[8:9]
	s_delay_alu instid0(VALU_DEP_2) | instskip(NEXT) | instid1(VALU_DEP_2)
	v_fma_f64 v[10:11], v[17:18], v[6:7], v[10:11]
	v_fma_f64 v[6:7], v[15:16], v[6:7], -v[8:9]
	s_delay_alu instid0(VALU_DEP_2) | instskip(NEXT) | instid1(VALU_DEP_2)
	v_add_f64_e32 v[3:4], v[3:4], v[10:11]
	v_add_f64_e32 v[1:2], v[1:2], v[6:7]
.LBB113_22:
	s_or_b32 exec_lo, exec_lo, s59
	v_mov_b32_e32 v6, 0
	ds_load_b128 v[6:9], v6 offset:32
	s_wait_dscnt 0x0
	v_mul_f64_e32 v[10:11], v[3:4], v[8:9]
	v_mul_f64_e32 v[8:9], v[1:2], v[8:9]
	s_delay_alu instid0(VALU_DEP_2) | instskip(NEXT) | instid1(VALU_DEP_2)
	v_fma_f64 v[1:2], v[1:2], v[6:7], -v[10:11]
	v_fma_f64 v[3:4], v[3:4], v[6:7], v[8:9]
	scratch_store_b128 off, v[1:4], off offset:48
.LBB113_23:
	s_wait_alu 0xfffe
	s_or_b32 exec_lo, exec_lo, s1
	s_wait_loadcnt 0x0
	s_wait_storecnt 0x0
	s_barrier_signal -1
	s_barrier_wait -1
	global_inv scope:SCOPE_SE
	scratch_load_b128 v[1:4], off, s10
	v_add_nc_u32_e32 v6, -1, v0
	s_mov_b32 s0, exec_lo
	s_wait_loadcnt 0x0
	ds_store_b128 v5, v[1:4]
	s_wait_dscnt 0x0
	s_barrier_signal -1
	s_barrier_wait -1
	global_inv scope:SCOPE_SE
	v_cmpx_gt_u32_e32 3, v0
	s_cbranch_execz .LBB113_27
; %bb.24:
	v_dual_mov_b32 v1, 0 :: v_dual_add_nc_u32 v8, 0x320, v13
	v_mov_b32_e32 v3, 0
	v_dual_mov_b32 v2, 0 :: v_dual_add_nc_u32 v7, -1, v0
	v_mov_b32_e32 v4, 0
	v_or_b32_e32 v9, 8, v14
	s_mov_b32 s1, 0
.LBB113_25:                             ; =>This Inner Loop Header: Depth=1
	scratch_load_b128 v[15:18], v9, off offset:-8
	ds_load_b128 v[19:22], v8
	v_add_nc_u32_e32 v7, 1, v7
	v_add_nc_u32_e32 v8, 16, v8
	v_add_nc_u32_e32 v9, 16, v9
	s_delay_alu instid0(VALU_DEP_3)
	v_cmp_lt_u32_e32 vcc_lo, 1, v7
	s_wait_alu 0xfffe
	s_or_b32 s1, vcc_lo, s1
	s_wait_loadcnt_dscnt 0x0
	v_mul_f64_e32 v[10:11], v[21:22], v[17:18]
	v_mul_f64_e32 v[17:18], v[19:20], v[17:18]
	s_delay_alu instid0(VALU_DEP_2) | instskip(NEXT) | instid1(VALU_DEP_2)
	v_fma_f64 v[10:11], v[19:20], v[15:16], -v[10:11]
	v_fma_f64 v[15:16], v[21:22], v[15:16], v[17:18]
	s_delay_alu instid0(VALU_DEP_2) | instskip(NEXT) | instid1(VALU_DEP_2)
	v_add_f64_e32 v[3:4], v[3:4], v[10:11]
	v_add_f64_e32 v[1:2], v[1:2], v[15:16]
	s_wait_alu 0xfffe
	s_and_not1_b32 exec_lo, exec_lo, s1
	s_cbranch_execnz .LBB113_25
; %bb.26:
	s_or_b32 exec_lo, exec_lo, s1
	v_mov_b32_e32 v7, 0
	ds_load_b128 v[7:10], v7 offset:48
	s_wait_dscnt 0x0
	v_mul_f64_e32 v[11:12], v[1:2], v[9:10]
	v_mul_f64_e32 v[15:16], v[3:4], v[9:10]
	s_delay_alu instid0(VALU_DEP_2) | instskip(NEXT) | instid1(VALU_DEP_2)
	v_fma_f64 v[9:10], v[3:4], v[7:8], -v[11:12]
	v_fma_f64 v[11:12], v[1:2], v[7:8], v[15:16]
	scratch_store_b128 off, v[9:12], off offset:64
.LBB113_27:
	s_wait_alu 0xfffe
	s_or_b32 exec_lo, exec_lo, s0
	s_wait_loadcnt 0x0
	s_wait_storecnt 0x0
	s_barrier_signal -1
	s_barrier_wait -1
	global_inv scope:SCOPE_SE
	scratch_load_b128 v[1:4], off, s4
	s_mov_b32 s0, exec_lo
	s_wait_loadcnt 0x0
	ds_store_b128 v5, v[1:4]
	s_wait_dscnt 0x0
	s_barrier_signal -1
	s_barrier_wait -1
	global_inv scope:SCOPE_SE
	v_cmpx_gt_u32_e32 4, v0
	s_cbranch_execz .LBB113_31
; %bb.28:
	v_dual_mov_b32 v1, 0 :: v_dual_add_nc_u32 v8, 0x320, v13
	v_mov_b32_e32 v3, 0
	v_dual_mov_b32 v2, 0 :: v_dual_add_nc_u32 v7, -1, v0
	v_mov_b32_e32 v4, 0
	v_or_b32_e32 v9, 8, v14
	s_mov_b32 s1, 0
.LBB113_29:                             ; =>This Inner Loop Header: Depth=1
	scratch_load_b128 v[15:18], v9, off offset:-8
	ds_load_b128 v[19:22], v8
	v_add_nc_u32_e32 v7, 1, v7
	v_add_nc_u32_e32 v8, 16, v8
	v_add_nc_u32_e32 v9, 16, v9
	s_delay_alu instid0(VALU_DEP_3)
	v_cmp_lt_u32_e32 vcc_lo, 2, v7
	s_wait_alu 0xfffe
	s_or_b32 s1, vcc_lo, s1
	s_wait_loadcnt_dscnt 0x0
	v_mul_f64_e32 v[10:11], v[21:22], v[17:18]
	v_mul_f64_e32 v[17:18], v[19:20], v[17:18]
	s_delay_alu instid0(VALU_DEP_2) | instskip(NEXT) | instid1(VALU_DEP_2)
	v_fma_f64 v[10:11], v[19:20], v[15:16], -v[10:11]
	v_fma_f64 v[15:16], v[21:22], v[15:16], v[17:18]
	s_delay_alu instid0(VALU_DEP_2) | instskip(NEXT) | instid1(VALU_DEP_2)
	v_add_f64_e32 v[3:4], v[3:4], v[10:11]
	v_add_f64_e32 v[1:2], v[1:2], v[15:16]
	s_wait_alu 0xfffe
	s_and_not1_b32 exec_lo, exec_lo, s1
	s_cbranch_execnz .LBB113_29
; %bb.30:
	s_or_b32 exec_lo, exec_lo, s1
	v_mov_b32_e32 v7, 0
	ds_load_b128 v[7:10], v7 offset:64
	s_wait_dscnt 0x0
	v_mul_f64_e32 v[11:12], v[1:2], v[9:10]
	v_mul_f64_e32 v[15:16], v[3:4], v[9:10]
	s_delay_alu instid0(VALU_DEP_2) | instskip(NEXT) | instid1(VALU_DEP_2)
	v_fma_f64 v[9:10], v[3:4], v[7:8], -v[11:12]
	v_fma_f64 v[11:12], v[1:2], v[7:8], v[15:16]
	scratch_store_b128 off, v[9:12], off offset:80
.LBB113_31:
	s_wait_alu 0xfffe
	s_or_b32 exec_lo, exec_lo, s0
	s_wait_loadcnt 0x0
	s_wait_storecnt 0x0
	s_barrier_signal -1
	s_barrier_wait -1
	global_inv scope:SCOPE_SE
	scratch_load_b128 v[1:4], off, s58
	;; [unrolled: 58-line block ×19, first 2 shown]
	s_mov_b32 s0, exec_lo
	s_wait_loadcnt 0x0
	ds_store_b128 v5, v[1:4]
	s_wait_dscnt 0x0
	s_barrier_signal -1
	s_barrier_wait -1
	global_inv scope:SCOPE_SE
	v_cmpx_gt_u32_e32 22, v0
	s_cbranch_execz .LBB113_103
; %bb.100:
	v_dual_mov_b32 v1, 0 :: v_dual_add_nc_u32 v8, 0x320, v13
	v_mov_b32_e32 v3, 0
	v_dual_mov_b32 v2, 0 :: v_dual_add_nc_u32 v7, -1, v0
	v_mov_b32_e32 v4, 0
	v_or_b32_e32 v9, 8, v14
	s_mov_b32 s1, 0
.LBB113_101:                            ; =>This Inner Loop Header: Depth=1
	scratch_load_b128 v[15:18], v9, off offset:-8
	ds_load_b128 v[19:22], v8
	v_add_nc_u32_e32 v7, 1, v7
	v_add_nc_u32_e32 v8, 16, v8
	v_add_nc_u32_e32 v9, 16, v9
	s_delay_alu instid0(VALU_DEP_3)
	v_cmp_lt_u32_e32 vcc_lo, 20, v7
	s_wait_alu 0xfffe
	s_or_b32 s1, vcc_lo, s1
	s_wait_loadcnt_dscnt 0x0
	v_mul_f64_e32 v[10:11], v[21:22], v[17:18]
	v_mul_f64_e32 v[17:18], v[19:20], v[17:18]
	s_delay_alu instid0(VALU_DEP_2) | instskip(NEXT) | instid1(VALU_DEP_2)
	v_fma_f64 v[10:11], v[19:20], v[15:16], -v[10:11]
	v_fma_f64 v[15:16], v[21:22], v[15:16], v[17:18]
	s_delay_alu instid0(VALU_DEP_2) | instskip(NEXT) | instid1(VALU_DEP_2)
	v_add_f64_e32 v[3:4], v[3:4], v[10:11]
	v_add_f64_e32 v[1:2], v[1:2], v[15:16]
	s_wait_alu 0xfffe
	s_and_not1_b32 exec_lo, exec_lo, s1
	s_cbranch_execnz .LBB113_101
; %bb.102:
	s_or_b32 exec_lo, exec_lo, s1
	v_mov_b32_e32 v7, 0
	ds_load_b128 v[7:10], v7 offset:352
	s_wait_dscnt 0x0
	v_mul_f64_e32 v[11:12], v[1:2], v[9:10]
	v_mul_f64_e32 v[15:16], v[3:4], v[9:10]
	s_delay_alu instid0(VALU_DEP_2) | instskip(NEXT) | instid1(VALU_DEP_2)
	v_fma_f64 v[9:10], v[3:4], v[7:8], -v[11:12]
	v_fma_f64 v[11:12], v[1:2], v[7:8], v[15:16]
	scratch_store_b128 off, v[9:12], off offset:368
.LBB113_103:
	s_wait_alu 0xfffe
	s_or_b32 exec_lo, exec_lo, s0
	s_wait_loadcnt 0x0
	s_wait_storecnt 0x0
	s_barrier_signal -1
	s_barrier_wait -1
	global_inv scope:SCOPE_SE
	scratch_load_b128 v[1:4], off, s40
	s_mov_b32 s0, exec_lo
	s_wait_loadcnt 0x0
	ds_store_b128 v5, v[1:4]
	s_wait_dscnt 0x0
	s_barrier_signal -1
	s_barrier_wait -1
	global_inv scope:SCOPE_SE
	v_cmpx_gt_u32_e32 23, v0
	s_cbranch_execz .LBB113_107
; %bb.104:
	v_dual_mov_b32 v1, 0 :: v_dual_add_nc_u32 v8, 0x320, v13
	v_mov_b32_e32 v3, 0
	v_dual_mov_b32 v2, 0 :: v_dual_add_nc_u32 v7, -1, v0
	v_mov_b32_e32 v4, 0
	v_or_b32_e32 v9, 8, v14
	s_mov_b32 s1, 0
.LBB113_105:                            ; =>This Inner Loop Header: Depth=1
	scratch_load_b128 v[15:18], v9, off offset:-8
	ds_load_b128 v[19:22], v8
	v_add_nc_u32_e32 v7, 1, v7
	v_add_nc_u32_e32 v8, 16, v8
	v_add_nc_u32_e32 v9, 16, v9
	s_delay_alu instid0(VALU_DEP_3)
	v_cmp_lt_u32_e32 vcc_lo, 21, v7
	s_wait_alu 0xfffe
	s_or_b32 s1, vcc_lo, s1
	s_wait_loadcnt_dscnt 0x0
	v_mul_f64_e32 v[10:11], v[21:22], v[17:18]
	v_mul_f64_e32 v[17:18], v[19:20], v[17:18]
	s_delay_alu instid0(VALU_DEP_2) | instskip(NEXT) | instid1(VALU_DEP_2)
	v_fma_f64 v[10:11], v[19:20], v[15:16], -v[10:11]
	v_fma_f64 v[15:16], v[21:22], v[15:16], v[17:18]
	s_delay_alu instid0(VALU_DEP_2) | instskip(NEXT) | instid1(VALU_DEP_2)
	v_add_f64_e32 v[3:4], v[3:4], v[10:11]
	v_add_f64_e32 v[1:2], v[1:2], v[15:16]
	s_wait_alu 0xfffe
	s_and_not1_b32 exec_lo, exec_lo, s1
	s_cbranch_execnz .LBB113_105
; %bb.106:
	s_or_b32 exec_lo, exec_lo, s1
	v_mov_b32_e32 v7, 0
	ds_load_b128 v[7:10], v7 offset:368
	s_wait_dscnt 0x0
	v_mul_f64_e32 v[11:12], v[1:2], v[9:10]
	v_mul_f64_e32 v[15:16], v[3:4], v[9:10]
	s_delay_alu instid0(VALU_DEP_2) | instskip(NEXT) | instid1(VALU_DEP_2)
	v_fma_f64 v[9:10], v[3:4], v[7:8], -v[11:12]
	v_fma_f64 v[11:12], v[1:2], v[7:8], v[15:16]
	scratch_store_b128 off, v[9:12], off offset:384
.LBB113_107:
	s_wait_alu 0xfffe
	s_or_b32 exec_lo, exec_lo, s0
	s_wait_loadcnt 0x0
	s_wait_storecnt 0x0
	s_barrier_signal -1
	s_barrier_wait -1
	global_inv scope:SCOPE_SE
	scratch_load_b128 v[1:4], off, s39
	s_mov_b32 s0, exec_lo
	s_wait_loadcnt 0x0
	ds_store_b128 v5, v[1:4]
	s_wait_dscnt 0x0
	s_barrier_signal -1
	s_barrier_wait -1
	global_inv scope:SCOPE_SE
	v_cmpx_gt_u32_e32 24, v0
	s_cbranch_execz .LBB113_111
; %bb.108:
	v_dual_mov_b32 v1, 0 :: v_dual_add_nc_u32 v8, 0x320, v13
	v_mov_b32_e32 v3, 0
	v_dual_mov_b32 v2, 0 :: v_dual_add_nc_u32 v7, -1, v0
	v_mov_b32_e32 v4, 0
	v_or_b32_e32 v9, 8, v14
	s_mov_b32 s1, 0
.LBB113_109:                            ; =>This Inner Loop Header: Depth=1
	scratch_load_b128 v[15:18], v9, off offset:-8
	ds_load_b128 v[19:22], v8
	v_add_nc_u32_e32 v7, 1, v7
	v_add_nc_u32_e32 v8, 16, v8
	v_add_nc_u32_e32 v9, 16, v9
	s_delay_alu instid0(VALU_DEP_3)
	v_cmp_lt_u32_e32 vcc_lo, 22, v7
	s_wait_alu 0xfffe
	s_or_b32 s1, vcc_lo, s1
	s_wait_loadcnt_dscnt 0x0
	v_mul_f64_e32 v[10:11], v[21:22], v[17:18]
	v_mul_f64_e32 v[17:18], v[19:20], v[17:18]
	s_delay_alu instid0(VALU_DEP_2) | instskip(NEXT) | instid1(VALU_DEP_2)
	v_fma_f64 v[10:11], v[19:20], v[15:16], -v[10:11]
	v_fma_f64 v[15:16], v[21:22], v[15:16], v[17:18]
	s_delay_alu instid0(VALU_DEP_2) | instskip(NEXT) | instid1(VALU_DEP_2)
	v_add_f64_e32 v[3:4], v[3:4], v[10:11]
	v_add_f64_e32 v[1:2], v[1:2], v[15:16]
	s_wait_alu 0xfffe
	s_and_not1_b32 exec_lo, exec_lo, s1
	s_cbranch_execnz .LBB113_109
; %bb.110:
	s_or_b32 exec_lo, exec_lo, s1
	v_mov_b32_e32 v7, 0
	ds_load_b128 v[7:10], v7 offset:384
	s_wait_dscnt 0x0
	v_mul_f64_e32 v[11:12], v[1:2], v[9:10]
	v_mul_f64_e32 v[15:16], v[3:4], v[9:10]
	s_delay_alu instid0(VALU_DEP_2) | instskip(NEXT) | instid1(VALU_DEP_2)
	v_fma_f64 v[9:10], v[3:4], v[7:8], -v[11:12]
	v_fma_f64 v[11:12], v[1:2], v[7:8], v[15:16]
	scratch_store_b128 off, v[9:12], off offset:400
.LBB113_111:
	s_wait_alu 0xfffe
	s_or_b32 exec_lo, exec_lo, s0
	s_wait_loadcnt 0x0
	s_wait_storecnt 0x0
	s_barrier_signal -1
	s_barrier_wait -1
	global_inv scope:SCOPE_SE
	scratch_load_b128 v[1:4], off, s38
	s_mov_b32 s0, exec_lo
	s_wait_loadcnt 0x0
	ds_store_b128 v5, v[1:4]
	s_wait_dscnt 0x0
	s_barrier_signal -1
	s_barrier_wait -1
	global_inv scope:SCOPE_SE
	v_cmpx_gt_u32_e32 25, v0
	s_cbranch_execz .LBB113_115
; %bb.112:
	v_dual_mov_b32 v1, 0 :: v_dual_add_nc_u32 v8, 0x320, v13
	v_mov_b32_e32 v3, 0
	v_dual_mov_b32 v2, 0 :: v_dual_add_nc_u32 v7, -1, v0
	v_mov_b32_e32 v4, 0
	v_or_b32_e32 v9, 8, v14
	s_mov_b32 s1, 0
.LBB113_113:                            ; =>This Inner Loop Header: Depth=1
	scratch_load_b128 v[15:18], v9, off offset:-8
	ds_load_b128 v[19:22], v8
	v_add_nc_u32_e32 v7, 1, v7
	v_add_nc_u32_e32 v8, 16, v8
	v_add_nc_u32_e32 v9, 16, v9
	s_delay_alu instid0(VALU_DEP_3)
	v_cmp_lt_u32_e32 vcc_lo, 23, v7
	s_wait_alu 0xfffe
	s_or_b32 s1, vcc_lo, s1
	s_wait_loadcnt_dscnt 0x0
	v_mul_f64_e32 v[10:11], v[21:22], v[17:18]
	v_mul_f64_e32 v[17:18], v[19:20], v[17:18]
	s_delay_alu instid0(VALU_DEP_2) | instskip(NEXT) | instid1(VALU_DEP_2)
	v_fma_f64 v[10:11], v[19:20], v[15:16], -v[10:11]
	v_fma_f64 v[15:16], v[21:22], v[15:16], v[17:18]
	s_delay_alu instid0(VALU_DEP_2) | instskip(NEXT) | instid1(VALU_DEP_2)
	v_add_f64_e32 v[3:4], v[3:4], v[10:11]
	v_add_f64_e32 v[1:2], v[1:2], v[15:16]
	s_wait_alu 0xfffe
	s_and_not1_b32 exec_lo, exec_lo, s1
	s_cbranch_execnz .LBB113_113
; %bb.114:
	s_or_b32 exec_lo, exec_lo, s1
	v_mov_b32_e32 v7, 0
	ds_load_b128 v[7:10], v7 offset:400
	s_wait_dscnt 0x0
	v_mul_f64_e32 v[11:12], v[1:2], v[9:10]
	v_mul_f64_e32 v[15:16], v[3:4], v[9:10]
	s_delay_alu instid0(VALU_DEP_2) | instskip(NEXT) | instid1(VALU_DEP_2)
	v_fma_f64 v[9:10], v[3:4], v[7:8], -v[11:12]
	v_fma_f64 v[11:12], v[1:2], v[7:8], v[15:16]
	scratch_store_b128 off, v[9:12], off offset:416
.LBB113_115:
	s_wait_alu 0xfffe
	s_or_b32 exec_lo, exec_lo, s0
	s_wait_loadcnt 0x0
	s_wait_storecnt 0x0
	s_barrier_signal -1
	s_barrier_wait -1
	global_inv scope:SCOPE_SE
	scratch_load_b128 v[1:4], off, s37
	s_mov_b32 s0, exec_lo
	s_wait_loadcnt 0x0
	ds_store_b128 v5, v[1:4]
	s_wait_dscnt 0x0
	s_barrier_signal -1
	s_barrier_wait -1
	global_inv scope:SCOPE_SE
	v_cmpx_gt_u32_e32 26, v0
	s_cbranch_execz .LBB113_119
; %bb.116:
	v_dual_mov_b32 v1, 0 :: v_dual_add_nc_u32 v8, 0x320, v13
	v_mov_b32_e32 v3, 0
	v_dual_mov_b32 v2, 0 :: v_dual_add_nc_u32 v7, -1, v0
	v_mov_b32_e32 v4, 0
	v_or_b32_e32 v9, 8, v14
	s_mov_b32 s1, 0
.LBB113_117:                            ; =>This Inner Loop Header: Depth=1
	scratch_load_b128 v[15:18], v9, off offset:-8
	ds_load_b128 v[19:22], v8
	v_add_nc_u32_e32 v7, 1, v7
	v_add_nc_u32_e32 v8, 16, v8
	v_add_nc_u32_e32 v9, 16, v9
	s_delay_alu instid0(VALU_DEP_3)
	v_cmp_lt_u32_e32 vcc_lo, 24, v7
	s_wait_alu 0xfffe
	s_or_b32 s1, vcc_lo, s1
	s_wait_loadcnt_dscnt 0x0
	v_mul_f64_e32 v[10:11], v[21:22], v[17:18]
	v_mul_f64_e32 v[17:18], v[19:20], v[17:18]
	s_delay_alu instid0(VALU_DEP_2) | instskip(NEXT) | instid1(VALU_DEP_2)
	v_fma_f64 v[10:11], v[19:20], v[15:16], -v[10:11]
	v_fma_f64 v[15:16], v[21:22], v[15:16], v[17:18]
	s_delay_alu instid0(VALU_DEP_2) | instskip(NEXT) | instid1(VALU_DEP_2)
	v_add_f64_e32 v[3:4], v[3:4], v[10:11]
	v_add_f64_e32 v[1:2], v[1:2], v[15:16]
	s_wait_alu 0xfffe
	s_and_not1_b32 exec_lo, exec_lo, s1
	s_cbranch_execnz .LBB113_117
; %bb.118:
	s_or_b32 exec_lo, exec_lo, s1
	v_mov_b32_e32 v7, 0
	ds_load_b128 v[7:10], v7 offset:416
	s_wait_dscnt 0x0
	v_mul_f64_e32 v[11:12], v[1:2], v[9:10]
	v_mul_f64_e32 v[15:16], v[3:4], v[9:10]
	s_delay_alu instid0(VALU_DEP_2) | instskip(NEXT) | instid1(VALU_DEP_2)
	v_fma_f64 v[9:10], v[3:4], v[7:8], -v[11:12]
	v_fma_f64 v[11:12], v[1:2], v[7:8], v[15:16]
	scratch_store_b128 off, v[9:12], off offset:432
.LBB113_119:
	s_wait_alu 0xfffe
	s_or_b32 exec_lo, exec_lo, s0
	s_wait_loadcnt 0x0
	s_wait_storecnt 0x0
	s_barrier_signal -1
	s_barrier_wait -1
	global_inv scope:SCOPE_SE
	scratch_load_b128 v[1:4], off, s36
	s_mov_b32 s0, exec_lo
	s_wait_loadcnt 0x0
	ds_store_b128 v5, v[1:4]
	s_wait_dscnt 0x0
	s_barrier_signal -1
	s_barrier_wait -1
	global_inv scope:SCOPE_SE
	v_cmpx_gt_u32_e32 27, v0
	s_cbranch_execz .LBB113_123
; %bb.120:
	v_dual_mov_b32 v1, 0 :: v_dual_add_nc_u32 v8, 0x320, v13
	v_mov_b32_e32 v3, 0
	v_dual_mov_b32 v2, 0 :: v_dual_add_nc_u32 v7, -1, v0
	v_mov_b32_e32 v4, 0
	v_or_b32_e32 v9, 8, v14
	s_mov_b32 s1, 0
.LBB113_121:                            ; =>This Inner Loop Header: Depth=1
	scratch_load_b128 v[15:18], v9, off offset:-8
	ds_load_b128 v[19:22], v8
	v_add_nc_u32_e32 v7, 1, v7
	v_add_nc_u32_e32 v8, 16, v8
	v_add_nc_u32_e32 v9, 16, v9
	s_delay_alu instid0(VALU_DEP_3)
	v_cmp_lt_u32_e32 vcc_lo, 25, v7
	s_wait_alu 0xfffe
	s_or_b32 s1, vcc_lo, s1
	s_wait_loadcnt_dscnt 0x0
	v_mul_f64_e32 v[10:11], v[21:22], v[17:18]
	v_mul_f64_e32 v[17:18], v[19:20], v[17:18]
	s_delay_alu instid0(VALU_DEP_2) | instskip(NEXT) | instid1(VALU_DEP_2)
	v_fma_f64 v[10:11], v[19:20], v[15:16], -v[10:11]
	v_fma_f64 v[15:16], v[21:22], v[15:16], v[17:18]
	s_delay_alu instid0(VALU_DEP_2) | instskip(NEXT) | instid1(VALU_DEP_2)
	v_add_f64_e32 v[3:4], v[3:4], v[10:11]
	v_add_f64_e32 v[1:2], v[1:2], v[15:16]
	s_wait_alu 0xfffe
	s_and_not1_b32 exec_lo, exec_lo, s1
	s_cbranch_execnz .LBB113_121
; %bb.122:
	s_or_b32 exec_lo, exec_lo, s1
	v_mov_b32_e32 v7, 0
	ds_load_b128 v[7:10], v7 offset:432
	s_wait_dscnt 0x0
	v_mul_f64_e32 v[11:12], v[1:2], v[9:10]
	v_mul_f64_e32 v[15:16], v[3:4], v[9:10]
	s_delay_alu instid0(VALU_DEP_2) | instskip(NEXT) | instid1(VALU_DEP_2)
	v_fma_f64 v[9:10], v[3:4], v[7:8], -v[11:12]
	v_fma_f64 v[11:12], v[1:2], v[7:8], v[15:16]
	scratch_store_b128 off, v[9:12], off offset:448
.LBB113_123:
	s_wait_alu 0xfffe
	s_or_b32 exec_lo, exec_lo, s0
	s_wait_loadcnt 0x0
	s_wait_storecnt 0x0
	s_barrier_signal -1
	s_barrier_wait -1
	global_inv scope:SCOPE_SE
	scratch_load_b128 v[1:4], off, s35
	s_mov_b32 s0, exec_lo
	s_wait_loadcnt 0x0
	ds_store_b128 v5, v[1:4]
	s_wait_dscnt 0x0
	s_barrier_signal -1
	s_barrier_wait -1
	global_inv scope:SCOPE_SE
	v_cmpx_gt_u32_e32 28, v0
	s_cbranch_execz .LBB113_127
; %bb.124:
	v_dual_mov_b32 v1, 0 :: v_dual_add_nc_u32 v8, 0x320, v13
	v_mov_b32_e32 v3, 0
	v_dual_mov_b32 v2, 0 :: v_dual_add_nc_u32 v7, -1, v0
	v_mov_b32_e32 v4, 0
	v_or_b32_e32 v9, 8, v14
	s_mov_b32 s1, 0
.LBB113_125:                            ; =>This Inner Loop Header: Depth=1
	scratch_load_b128 v[15:18], v9, off offset:-8
	ds_load_b128 v[19:22], v8
	v_add_nc_u32_e32 v7, 1, v7
	v_add_nc_u32_e32 v8, 16, v8
	v_add_nc_u32_e32 v9, 16, v9
	s_delay_alu instid0(VALU_DEP_3)
	v_cmp_lt_u32_e32 vcc_lo, 26, v7
	s_wait_alu 0xfffe
	s_or_b32 s1, vcc_lo, s1
	s_wait_loadcnt_dscnt 0x0
	v_mul_f64_e32 v[10:11], v[21:22], v[17:18]
	v_mul_f64_e32 v[17:18], v[19:20], v[17:18]
	s_delay_alu instid0(VALU_DEP_2) | instskip(NEXT) | instid1(VALU_DEP_2)
	v_fma_f64 v[10:11], v[19:20], v[15:16], -v[10:11]
	v_fma_f64 v[15:16], v[21:22], v[15:16], v[17:18]
	s_delay_alu instid0(VALU_DEP_2) | instskip(NEXT) | instid1(VALU_DEP_2)
	v_add_f64_e32 v[3:4], v[3:4], v[10:11]
	v_add_f64_e32 v[1:2], v[1:2], v[15:16]
	s_wait_alu 0xfffe
	s_and_not1_b32 exec_lo, exec_lo, s1
	s_cbranch_execnz .LBB113_125
; %bb.126:
	s_or_b32 exec_lo, exec_lo, s1
	v_mov_b32_e32 v7, 0
	ds_load_b128 v[7:10], v7 offset:448
	s_wait_dscnt 0x0
	v_mul_f64_e32 v[11:12], v[1:2], v[9:10]
	v_mul_f64_e32 v[15:16], v[3:4], v[9:10]
	s_delay_alu instid0(VALU_DEP_2) | instskip(NEXT) | instid1(VALU_DEP_2)
	v_fma_f64 v[9:10], v[3:4], v[7:8], -v[11:12]
	v_fma_f64 v[11:12], v[1:2], v[7:8], v[15:16]
	scratch_store_b128 off, v[9:12], off offset:464
.LBB113_127:
	s_wait_alu 0xfffe
	s_or_b32 exec_lo, exec_lo, s0
	s_wait_loadcnt 0x0
	s_wait_storecnt 0x0
	s_barrier_signal -1
	s_barrier_wait -1
	global_inv scope:SCOPE_SE
	scratch_load_b128 v[1:4], off, s34
	s_mov_b32 s0, exec_lo
	s_wait_loadcnt 0x0
	ds_store_b128 v5, v[1:4]
	s_wait_dscnt 0x0
	s_barrier_signal -1
	s_barrier_wait -1
	global_inv scope:SCOPE_SE
	v_cmpx_gt_u32_e32 29, v0
	s_cbranch_execz .LBB113_131
; %bb.128:
	v_dual_mov_b32 v1, 0 :: v_dual_add_nc_u32 v8, 0x320, v13
	v_mov_b32_e32 v3, 0
	v_dual_mov_b32 v2, 0 :: v_dual_add_nc_u32 v7, -1, v0
	v_mov_b32_e32 v4, 0
	v_or_b32_e32 v9, 8, v14
	s_mov_b32 s1, 0
.LBB113_129:                            ; =>This Inner Loop Header: Depth=1
	scratch_load_b128 v[15:18], v9, off offset:-8
	ds_load_b128 v[19:22], v8
	v_add_nc_u32_e32 v7, 1, v7
	v_add_nc_u32_e32 v8, 16, v8
	v_add_nc_u32_e32 v9, 16, v9
	s_delay_alu instid0(VALU_DEP_3)
	v_cmp_lt_u32_e32 vcc_lo, 27, v7
	s_wait_alu 0xfffe
	s_or_b32 s1, vcc_lo, s1
	s_wait_loadcnt_dscnt 0x0
	v_mul_f64_e32 v[10:11], v[21:22], v[17:18]
	v_mul_f64_e32 v[17:18], v[19:20], v[17:18]
	s_delay_alu instid0(VALU_DEP_2) | instskip(NEXT) | instid1(VALU_DEP_2)
	v_fma_f64 v[10:11], v[19:20], v[15:16], -v[10:11]
	v_fma_f64 v[15:16], v[21:22], v[15:16], v[17:18]
	s_delay_alu instid0(VALU_DEP_2) | instskip(NEXT) | instid1(VALU_DEP_2)
	v_add_f64_e32 v[3:4], v[3:4], v[10:11]
	v_add_f64_e32 v[1:2], v[1:2], v[15:16]
	s_wait_alu 0xfffe
	s_and_not1_b32 exec_lo, exec_lo, s1
	s_cbranch_execnz .LBB113_129
; %bb.130:
	s_or_b32 exec_lo, exec_lo, s1
	v_mov_b32_e32 v7, 0
	ds_load_b128 v[7:10], v7 offset:464
	s_wait_dscnt 0x0
	v_mul_f64_e32 v[11:12], v[1:2], v[9:10]
	v_mul_f64_e32 v[15:16], v[3:4], v[9:10]
	s_delay_alu instid0(VALU_DEP_2) | instskip(NEXT) | instid1(VALU_DEP_2)
	v_fma_f64 v[9:10], v[3:4], v[7:8], -v[11:12]
	v_fma_f64 v[11:12], v[1:2], v[7:8], v[15:16]
	scratch_store_b128 off, v[9:12], off offset:480
.LBB113_131:
	s_wait_alu 0xfffe
	s_or_b32 exec_lo, exec_lo, s0
	s_wait_loadcnt 0x0
	s_wait_storecnt 0x0
	s_barrier_signal -1
	s_barrier_wait -1
	global_inv scope:SCOPE_SE
	scratch_load_b128 v[1:4], off, s33
	s_mov_b32 s0, exec_lo
	s_wait_loadcnt 0x0
	ds_store_b128 v5, v[1:4]
	s_wait_dscnt 0x0
	s_barrier_signal -1
	s_barrier_wait -1
	global_inv scope:SCOPE_SE
	v_cmpx_gt_u32_e32 30, v0
	s_cbranch_execz .LBB113_135
; %bb.132:
	v_dual_mov_b32 v1, 0 :: v_dual_add_nc_u32 v8, 0x320, v13
	v_mov_b32_e32 v3, 0
	v_dual_mov_b32 v2, 0 :: v_dual_add_nc_u32 v7, -1, v0
	v_mov_b32_e32 v4, 0
	v_or_b32_e32 v9, 8, v14
	s_mov_b32 s1, 0
.LBB113_133:                            ; =>This Inner Loop Header: Depth=1
	scratch_load_b128 v[15:18], v9, off offset:-8
	ds_load_b128 v[19:22], v8
	v_add_nc_u32_e32 v7, 1, v7
	v_add_nc_u32_e32 v8, 16, v8
	v_add_nc_u32_e32 v9, 16, v9
	s_delay_alu instid0(VALU_DEP_3)
	v_cmp_lt_u32_e32 vcc_lo, 28, v7
	s_wait_alu 0xfffe
	s_or_b32 s1, vcc_lo, s1
	s_wait_loadcnt_dscnt 0x0
	v_mul_f64_e32 v[10:11], v[21:22], v[17:18]
	v_mul_f64_e32 v[17:18], v[19:20], v[17:18]
	s_delay_alu instid0(VALU_DEP_2) | instskip(NEXT) | instid1(VALU_DEP_2)
	v_fma_f64 v[10:11], v[19:20], v[15:16], -v[10:11]
	v_fma_f64 v[15:16], v[21:22], v[15:16], v[17:18]
	s_delay_alu instid0(VALU_DEP_2) | instskip(NEXT) | instid1(VALU_DEP_2)
	v_add_f64_e32 v[3:4], v[3:4], v[10:11]
	v_add_f64_e32 v[1:2], v[1:2], v[15:16]
	s_wait_alu 0xfffe
	s_and_not1_b32 exec_lo, exec_lo, s1
	s_cbranch_execnz .LBB113_133
; %bb.134:
	s_or_b32 exec_lo, exec_lo, s1
	v_mov_b32_e32 v7, 0
	ds_load_b128 v[7:10], v7 offset:480
	s_wait_dscnt 0x0
	v_mul_f64_e32 v[11:12], v[1:2], v[9:10]
	v_mul_f64_e32 v[15:16], v[3:4], v[9:10]
	s_delay_alu instid0(VALU_DEP_2) | instskip(NEXT) | instid1(VALU_DEP_2)
	v_fma_f64 v[9:10], v[3:4], v[7:8], -v[11:12]
	v_fma_f64 v[11:12], v[1:2], v[7:8], v[15:16]
	scratch_store_b128 off, v[9:12], off offset:496
.LBB113_135:
	s_wait_alu 0xfffe
	s_or_b32 exec_lo, exec_lo, s0
	s_wait_loadcnt 0x0
	s_wait_storecnt 0x0
	s_barrier_signal -1
	s_barrier_wait -1
	global_inv scope:SCOPE_SE
	scratch_load_b128 v[1:4], off, s31
	s_mov_b32 s0, exec_lo
	s_wait_loadcnt 0x0
	ds_store_b128 v5, v[1:4]
	s_wait_dscnt 0x0
	s_barrier_signal -1
	s_barrier_wait -1
	global_inv scope:SCOPE_SE
	v_cmpx_gt_u32_e32 31, v0
	s_cbranch_execz .LBB113_139
; %bb.136:
	v_dual_mov_b32 v1, 0 :: v_dual_add_nc_u32 v8, 0x320, v13
	v_mov_b32_e32 v3, 0
	v_dual_mov_b32 v2, 0 :: v_dual_add_nc_u32 v7, -1, v0
	v_mov_b32_e32 v4, 0
	v_or_b32_e32 v9, 8, v14
	s_mov_b32 s1, 0
.LBB113_137:                            ; =>This Inner Loop Header: Depth=1
	scratch_load_b128 v[15:18], v9, off offset:-8
	ds_load_b128 v[19:22], v8
	v_add_nc_u32_e32 v7, 1, v7
	v_add_nc_u32_e32 v8, 16, v8
	v_add_nc_u32_e32 v9, 16, v9
	s_delay_alu instid0(VALU_DEP_3)
	v_cmp_lt_u32_e32 vcc_lo, 29, v7
	s_wait_alu 0xfffe
	s_or_b32 s1, vcc_lo, s1
	s_wait_loadcnt_dscnt 0x0
	v_mul_f64_e32 v[10:11], v[21:22], v[17:18]
	v_mul_f64_e32 v[17:18], v[19:20], v[17:18]
	s_delay_alu instid0(VALU_DEP_2) | instskip(NEXT) | instid1(VALU_DEP_2)
	v_fma_f64 v[10:11], v[19:20], v[15:16], -v[10:11]
	v_fma_f64 v[15:16], v[21:22], v[15:16], v[17:18]
	s_delay_alu instid0(VALU_DEP_2) | instskip(NEXT) | instid1(VALU_DEP_2)
	v_add_f64_e32 v[3:4], v[3:4], v[10:11]
	v_add_f64_e32 v[1:2], v[1:2], v[15:16]
	s_wait_alu 0xfffe
	s_and_not1_b32 exec_lo, exec_lo, s1
	s_cbranch_execnz .LBB113_137
; %bb.138:
	s_or_b32 exec_lo, exec_lo, s1
	v_mov_b32_e32 v7, 0
	ds_load_b128 v[7:10], v7 offset:496
	s_wait_dscnt 0x0
	v_mul_f64_e32 v[11:12], v[1:2], v[9:10]
	v_mul_f64_e32 v[15:16], v[3:4], v[9:10]
	s_delay_alu instid0(VALU_DEP_2) | instskip(NEXT) | instid1(VALU_DEP_2)
	v_fma_f64 v[9:10], v[3:4], v[7:8], -v[11:12]
	v_fma_f64 v[11:12], v[1:2], v[7:8], v[15:16]
	scratch_store_b128 off, v[9:12], off offset:512
.LBB113_139:
	s_wait_alu 0xfffe
	s_or_b32 exec_lo, exec_lo, s0
	s_wait_loadcnt 0x0
	s_wait_storecnt 0x0
	s_barrier_signal -1
	s_barrier_wait -1
	global_inv scope:SCOPE_SE
	scratch_load_b128 v[1:4], off, s30
	s_mov_b32 s0, exec_lo
	s_wait_loadcnt 0x0
	ds_store_b128 v5, v[1:4]
	s_wait_dscnt 0x0
	s_barrier_signal -1
	s_barrier_wait -1
	global_inv scope:SCOPE_SE
	v_cmpx_gt_u32_e32 32, v0
	s_cbranch_execz .LBB113_143
; %bb.140:
	v_dual_mov_b32 v1, 0 :: v_dual_add_nc_u32 v8, 0x320, v13
	v_mov_b32_e32 v3, 0
	v_dual_mov_b32 v2, 0 :: v_dual_add_nc_u32 v7, -1, v0
	v_mov_b32_e32 v4, 0
	v_or_b32_e32 v9, 8, v14
	s_mov_b32 s1, 0
.LBB113_141:                            ; =>This Inner Loop Header: Depth=1
	scratch_load_b128 v[15:18], v9, off offset:-8
	ds_load_b128 v[19:22], v8
	v_add_nc_u32_e32 v7, 1, v7
	v_add_nc_u32_e32 v8, 16, v8
	v_add_nc_u32_e32 v9, 16, v9
	s_delay_alu instid0(VALU_DEP_3)
	v_cmp_lt_u32_e32 vcc_lo, 30, v7
	s_wait_alu 0xfffe
	s_or_b32 s1, vcc_lo, s1
	s_wait_loadcnt_dscnt 0x0
	v_mul_f64_e32 v[10:11], v[21:22], v[17:18]
	v_mul_f64_e32 v[17:18], v[19:20], v[17:18]
	s_delay_alu instid0(VALU_DEP_2) | instskip(NEXT) | instid1(VALU_DEP_2)
	v_fma_f64 v[10:11], v[19:20], v[15:16], -v[10:11]
	v_fma_f64 v[15:16], v[21:22], v[15:16], v[17:18]
	s_delay_alu instid0(VALU_DEP_2) | instskip(NEXT) | instid1(VALU_DEP_2)
	v_add_f64_e32 v[3:4], v[3:4], v[10:11]
	v_add_f64_e32 v[1:2], v[1:2], v[15:16]
	s_wait_alu 0xfffe
	s_and_not1_b32 exec_lo, exec_lo, s1
	s_cbranch_execnz .LBB113_141
; %bb.142:
	s_or_b32 exec_lo, exec_lo, s1
	v_mov_b32_e32 v7, 0
	ds_load_b128 v[7:10], v7 offset:512
	s_wait_dscnt 0x0
	v_mul_f64_e32 v[11:12], v[1:2], v[9:10]
	v_mul_f64_e32 v[15:16], v[3:4], v[9:10]
	s_delay_alu instid0(VALU_DEP_2) | instskip(NEXT) | instid1(VALU_DEP_2)
	v_fma_f64 v[9:10], v[3:4], v[7:8], -v[11:12]
	v_fma_f64 v[11:12], v[1:2], v[7:8], v[15:16]
	scratch_store_b128 off, v[9:12], off offset:528
.LBB113_143:
	s_wait_alu 0xfffe
	s_or_b32 exec_lo, exec_lo, s0
	s_wait_loadcnt 0x0
	s_wait_storecnt 0x0
	s_barrier_signal -1
	s_barrier_wait -1
	global_inv scope:SCOPE_SE
	scratch_load_b128 v[1:4], off, s29
	s_mov_b32 s0, exec_lo
	s_wait_loadcnt 0x0
	ds_store_b128 v5, v[1:4]
	s_wait_dscnt 0x0
	s_barrier_signal -1
	s_barrier_wait -1
	global_inv scope:SCOPE_SE
	v_cmpx_gt_u32_e32 33, v0
	s_cbranch_execz .LBB113_147
; %bb.144:
	v_dual_mov_b32 v1, 0 :: v_dual_add_nc_u32 v8, 0x320, v13
	v_mov_b32_e32 v3, 0
	v_dual_mov_b32 v2, 0 :: v_dual_add_nc_u32 v7, -1, v0
	v_mov_b32_e32 v4, 0
	v_or_b32_e32 v9, 8, v14
	s_mov_b32 s1, 0
.LBB113_145:                            ; =>This Inner Loop Header: Depth=1
	scratch_load_b128 v[15:18], v9, off offset:-8
	ds_load_b128 v[19:22], v8
	v_add_nc_u32_e32 v7, 1, v7
	v_add_nc_u32_e32 v8, 16, v8
	v_add_nc_u32_e32 v9, 16, v9
	s_delay_alu instid0(VALU_DEP_3)
	v_cmp_lt_u32_e32 vcc_lo, 31, v7
	s_wait_alu 0xfffe
	s_or_b32 s1, vcc_lo, s1
	s_wait_loadcnt_dscnt 0x0
	v_mul_f64_e32 v[10:11], v[21:22], v[17:18]
	v_mul_f64_e32 v[17:18], v[19:20], v[17:18]
	s_delay_alu instid0(VALU_DEP_2) | instskip(NEXT) | instid1(VALU_DEP_2)
	v_fma_f64 v[10:11], v[19:20], v[15:16], -v[10:11]
	v_fma_f64 v[15:16], v[21:22], v[15:16], v[17:18]
	s_delay_alu instid0(VALU_DEP_2) | instskip(NEXT) | instid1(VALU_DEP_2)
	v_add_f64_e32 v[3:4], v[3:4], v[10:11]
	v_add_f64_e32 v[1:2], v[1:2], v[15:16]
	s_wait_alu 0xfffe
	s_and_not1_b32 exec_lo, exec_lo, s1
	s_cbranch_execnz .LBB113_145
; %bb.146:
	s_or_b32 exec_lo, exec_lo, s1
	v_mov_b32_e32 v7, 0
	ds_load_b128 v[7:10], v7 offset:528
	s_wait_dscnt 0x0
	v_mul_f64_e32 v[11:12], v[1:2], v[9:10]
	v_mul_f64_e32 v[15:16], v[3:4], v[9:10]
	s_delay_alu instid0(VALU_DEP_2) | instskip(NEXT) | instid1(VALU_DEP_2)
	v_fma_f64 v[9:10], v[3:4], v[7:8], -v[11:12]
	v_fma_f64 v[11:12], v[1:2], v[7:8], v[15:16]
	scratch_store_b128 off, v[9:12], off offset:544
.LBB113_147:
	s_wait_alu 0xfffe
	s_or_b32 exec_lo, exec_lo, s0
	s_wait_loadcnt 0x0
	s_wait_storecnt 0x0
	s_barrier_signal -1
	s_barrier_wait -1
	global_inv scope:SCOPE_SE
	scratch_load_b128 v[1:4], off, s28
	s_mov_b32 s0, exec_lo
	s_wait_loadcnt 0x0
	ds_store_b128 v5, v[1:4]
	s_wait_dscnt 0x0
	s_barrier_signal -1
	s_barrier_wait -1
	global_inv scope:SCOPE_SE
	v_cmpx_gt_u32_e32 34, v0
	s_cbranch_execz .LBB113_151
; %bb.148:
	v_dual_mov_b32 v1, 0 :: v_dual_add_nc_u32 v8, 0x320, v13
	v_mov_b32_e32 v3, 0
	v_dual_mov_b32 v2, 0 :: v_dual_add_nc_u32 v7, -1, v0
	v_mov_b32_e32 v4, 0
	v_or_b32_e32 v9, 8, v14
	s_mov_b32 s1, 0
.LBB113_149:                            ; =>This Inner Loop Header: Depth=1
	scratch_load_b128 v[15:18], v9, off offset:-8
	ds_load_b128 v[19:22], v8
	v_add_nc_u32_e32 v7, 1, v7
	v_add_nc_u32_e32 v8, 16, v8
	v_add_nc_u32_e32 v9, 16, v9
	s_delay_alu instid0(VALU_DEP_3)
	v_cmp_lt_u32_e32 vcc_lo, 32, v7
	s_wait_alu 0xfffe
	s_or_b32 s1, vcc_lo, s1
	s_wait_loadcnt_dscnt 0x0
	v_mul_f64_e32 v[10:11], v[21:22], v[17:18]
	v_mul_f64_e32 v[17:18], v[19:20], v[17:18]
	s_delay_alu instid0(VALU_DEP_2) | instskip(NEXT) | instid1(VALU_DEP_2)
	v_fma_f64 v[10:11], v[19:20], v[15:16], -v[10:11]
	v_fma_f64 v[15:16], v[21:22], v[15:16], v[17:18]
	s_delay_alu instid0(VALU_DEP_2) | instskip(NEXT) | instid1(VALU_DEP_2)
	v_add_f64_e32 v[3:4], v[3:4], v[10:11]
	v_add_f64_e32 v[1:2], v[1:2], v[15:16]
	s_wait_alu 0xfffe
	s_and_not1_b32 exec_lo, exec_lo, s1
	s_cbranch_execnz .LBB113_149
; %bb.150:
	s_or_b32 exec_lo, exec_lo, s1
	v_mov_b32_e32 v7, 0
	ds_load_b128 v[7:10], v7 offset:544
	s_wait_dscnt 0x0
	v_mul_f64_e32 v[11:12], v[1:2], v[9:10]
	v_mul_f64_e32 v[15:16], v[3:4], v[9:10]
	s_delay_alu instid0(VALU_DEP_2) | instskip(NEXT) | instid1(VALU_DEP_2)
	v_fma_f64 v[9:10], v[3:4], v[7:8], -v[11:12]
	v_fma_f64 v[11:12], v[1:2], v[7:8], v[15:16]
	scratch_store_b128 off, v[9:12], off offset:560
.LBB113_151:
	s_wait_alu 0xfffe
	s_or_b32 exec_lo, exec_lo, s0
	s_wait_loadcnt 0x0
	s_wait_storecnt 0x0
	s_barrier_signal -1
	s_barrier_wait -1
	global_inv scope:SCOPE_SE
	scratch_load_b128 v[1:4], off, s27
	s_mov_b32 s0, exec_lo
	s_wait_loadcnt 0x0
	ds_store_b128 v5, v[1:4]
	s_wait_dscnt 0x0
	s_barrier_signal -1
	s_barrier_wait -1
	global_inv scope:SCOPE_SE
	v_cmpx_gt_u32_e32 35, v0
	s_cbranch_execz .LBB113_155
; %bb.152:
	v_dual_mov_b32 v1, 0 :: v_dual_add_nc_u32 v8, 0x320, v13
	v_mov_b32_e32 v3, 0
	v_dual_mov_b32 v2, 0 :: v_dual_add_nc_u32 v7, -1, v0
	v_mov_b32_e32 v4, 0
	v_or_b32_e32 v9, 8, v14
	s_mov_b32 s1, 0
.LBB113_153:                            ; =>This Inner Loop Header: Depth=1
	scratch_load_b128 v[15:18], v9, off offset:-8
	ds_load_b128 v[19:22], v8
	v_add_nc_u32_e32 v7, 1, v7
	v_add_nc_u32_e32 v8, 16, v8
	v_add_nc_u32_e32 v9, 16, v9
	s_delay_alu instid0(VALU_DEP_3)
	v_cmp_lt_u32_e32 vcc_lo, 33, v7
	s_wait_alu 0xfffe
	s_or_b32 s1, vcc_lo, s1
	s_wait_loadcnt_dscnt 0x0
	v_mul_f64_e32 v[10:11], v[21:22], v[17:18]
	v_mul_f64_e32 v[17:18], v[19:20], v[17:18]
	s_delay_alu instid0(VALU_DEP_2) | instskip(NEXT) | instid1(VALU_DEP_2)
	v_fma_f64 v[10:11], v[19:20], v[15:16], -v[10:11]
	v_fma_f64 v[15:16], v[21:22], v[15:16], v[17:18]
	s_delay_alu instid0(VALU_DEP_2) | instskip(NEXT) | instid1(VALU_DEP_2)
	v_add_f64_e32 v[3:4], v[3:4], v[10:11]
	v_add_f64_e32 v[1:2], v[1:2], v[15:16]
	s_wait_alu 0xfffe
	s_and_not1_b32 exec_lo, exec_lo, s1
	s_cbranch_execnz .LBB113_153
; %bb.154:
	s_or_b32 exec_lo, exec_lo, s1
	v_mov_b32_e32 v7, 0
	ds_load_b128 v[7:10], v7 offset:560
	s_wait_dscnt 0x0
	v_mul_f64_e32 v[11:12], v[1:2], v[9:10]
	v_mul_f64_e32 v[15:16], v[3:4], v[9:10]
	s_delay_alu instid0(VALU_DEP_2) | instskip(NEXT) | instid1(VALU_DEP_2)
	v_fma_f64 v[9:10], v[3:4], v[7:8], -v[11:12]
	v_fma_f64 v[11:12], v[1:2], v[7:8], v[15:16]
	scratch_store_b128 off, v[9:12], off offset:576
.LBB113_155:
	s_wait_alu 0xfffe
	s_or_b32 exec_lo, exec_lo, s0
	s_wait_loadcnt 0x0
	s_wait_storecnt 0x0
	s_barrier_signal -1
	s_barrier_wait -1
	global_inv scope:SCOPE_SE
	scratch_load_b128 v[1:4], off, s26
	s_mov_b32 s0, exec_lo
	s_wait_loadcnt 0x0
	ds_store_b128 v5, v[1:4]
	s_wait_dscnt 0x0
	s_barrier_signal -1
	s_barrier_wait -1
	global_inv scope:SCOPE_SE
	v_cmpx_gt_u32_e32 36, v0
	s_cbranch_execz .LBB113_159
; %bb.156:
	v_dual_mov_b32 v1, 0 :: v_dual_add_nc_u32 v8, 0x320, v13
	v_mov_b32_e32 v3, 0
	v_dual_mov_b32 v2, 0 :: v_dual_add_nc_u32 v7, -1, v0
	v_mov_b32_e32 v4, 0
	v_or_b32_e32 v9, 8, v14
	s_mov_b32 s1, 0
.LBB113_157:                            ; =>This Inner Loop Header: Depth=1
	scratch_load_b128 v[15:18], v9, off offset:-8
	ds_load_b128 v[19:22], v8
	v_add_nc_u32_e32 v7, 1, v7
	v_add_nc_u32_e32 v8, 16, v8
	v_add_nc_u32_e32 v9, 16, v9
	s_delay_alu instid0(VALU_DEP_3)
	v_cmp_lt_u32_e32 vcc_lo, 34, v7
	s_wait_alu 0xfffe
	s_or_b32 s1, vcc_lo, s1
	s_wait_loadcnt_dscnt 0x0
	v_mul_f64_e32 v[10:11], v[21:22], v[17:18]
	v_mul_f64_e32 v[17:18], v[19:20], v[17:18]
	s_delay_alu instid0(VALU_DEP_2) | instskip(NEXT) | instid1(VALU_DEP_2)
	v_fma_f64 v[10:11], v[19:20], v[15:16], -v[10:11]
	v_fma_f64 v[15:16], v[21:22], v[15:16], v[17:18]
	s_delay_alu instid0(VALU_DEP_2) | instskip(NEXT) | instid1(VALU_DEP_2)
	v_add_f64_e32 v[3:4], v[3:4], v[10:11]
	v_add_f64_e32 v[1:2], v[1:2], v[15:16]
	s_wait_alu 0xfffe
	s_and_not1_b32 exec_lo, exec_lo, s1
	s_cbranch_execnz .LBB113_157
; %bb.158:
	s_or_b32 exec_lo, exec_lo, s1
	v_mov_b32_e32 v7, 0
	ds_load_b128 v[7:10], v7 offset:576
	s_wait_dscnt 0x0
	v_mul_f64_e32 v[11:12], v[1:2], v[9:10]
	v_mul_f64_e32 v[15:16], v[3:4], v[9:10]
	s_delay_alu instid0(VALU_DEP_2) | instskip(NEXT) | instid1(VALU_DEP_2)
	v_fma_f64 v[9:10], v[3:4], v[7:8], -v[11:12]
	v_fma_f64 v[11:12], v[1:2], v[7:8], v[15:16]
	scratch_store_b128 off, v[9:12], off offset:592
.LBB113_159:
	s_wait_alu 0xfffe
	s_or_b32 exec_lo, exec_lo, s0
	s_wait_loadcnt 0x0
	s_wait_storecnt 0x0
	s_barrier_signal -1
	s_barrier_wait -1
	global_inv scope:SCOPE_SE
	scratch_load_b128 v[1:4], off, s25
	s_mov_b32 s0, exec_lo
	s_wait_loadcnt 0x0
	ds_store_b128 v5, v[1:4]
	s_wait_dscnt 0x0
	s_barrier_signal -1
	s_barrier_wait -1
	global_inv scope:SCOPE_SE
	v_cmpx_gt_u32_e32 37, v0
	s_cbranch_execz .LBB113_163
; %bb.160:
	v_dual_mov_b32 v1, 0 :: v_dual_add_nc_u32 v8, 0x320, v13
	v_mov_b32_e32 v3, 0
	v_dual_mov_b32 v2, 0 :: v_dual_add_nc_u32 v7, -1, v0
	v_mov_b32_e32 v4, 0
	v_or_b32_e32 v9, 8, v14
	s_mov_b32 s1, 0
.LBB113_161:                            ; =>This Inner Loop Header: Depth=1
	scratch_load_b128 v[15:18], v9, off offset:-8
	ds_load_b128 v[19:22], v8
	v_add_nc_u32_e32 v7, 1, v7
	v_add_nc_u32_e32 v8, 16, v8
	v_add_nc_u32_e32 v9, 16, v9
	s_delay_alu instid0(VALU_DEP_3)
	v_cmp_lt_u32_e32 vcc_lo, 35, v7
	s_wait_alu 0xfffe
	s_or_b32 s1, vcc_lo, s1
	s_wait_loadcnt_dscnt 0x0
	v_mul_f64_e32 v[10:11], v[21:22], v[17:18]
	v_mul_f64_e32 v[17:18], v[19:20], v[17:18]
	s_delay_alu instid0(VALU_DEP_2) | instskip(NEXT) | instid1(VALU_DEP_2)
	v_fma_f64 v[10:11], v[19:20], v[15:16], -v[10:11]
	v_fma_f64 v[15:16], v[21:22], v[15:16], v[17:18]
	s_delay_alu instid0(VALU_DEP_2) | instskip(NEXT) | instid1(VALU_DEP_2)
	v_add_f64_e32 v[3:4], v[3:4], v[10:11]
	v_add_f64_e32 v[1:2], v[1:2], v[15:16]
	s_wait_alu 0xfffe
	s_and_not1_b32 exec_lo, exec_lo, s1
	s_cbranch_execnz .LBB113_161
; %bb.162:
	s_or_b32 exec_lo, exec_lo, s1
	v_mov_b32_e32 v7, 0
	ds_load_b128 v[7:10], v7 offset:592
	s_wait_dscnt 0x0
	v_mul_f64_e32 v[11:12], v[1:2], v[9:10]
	v_mul_f64_e32 v[15:16], v[3:4], v[9:10]
	s_delay_alu instid0(VALU_DEP_2) | instskip(NEXT) | instid1(VALU_DEP_2)
	v_fma_f64 v[9:10], v[3:4], v[7:8], -v[11:12]
	v_fma_f64 v[11:12], v[1:2], v[7:8], v[15:16]
	scratch_store_b128 off, v[9:12], off offset:608
.LBB113_163:
	s_wait_alu 0xfffe
	s_or_b32 exec_lo, exec_lo, s0
	s_wait_loadcnt 0x0
	s_wait_storecnt 0x0
	s_barrier_signal -1
	s_barrier_wait -1
	global_inv scope:SCOPE_SE
	scratch_load_b128 v[1:4], off, s24
	s_mov_b32 s0, exec_lo
	s_wait_loadcnt 0x0
	ds_store_b128 v5, v[1:4]
	s_wait_dscnt 0x0
	s_barrier_signal -1
	s_barrier_wait -1
	global_inv scope:SCOPE_SE
	v_cmpx_gt_u32_e32 38, v0
	s_cbranch_execz .LBB113_167
; %bb.164:
	v_dual_mov_b32 v1, 0 :: v_dual_add_nc_u32 v8, 0x320, v13
	v_mov_b32_e32 v3, 0
	v_dual_mov_b32 v2, 0 :: v_dual_add_nc_u32 v7, -1, v0
	v_mov_b32_e32 v4, 0
	v_or_b32_e32 v9, 8, v14
	s_mov_b32 s1, 0
.LBB113_165:                            ; =>This Inner Loop Header: Depth=1
	scratch_load_b128 v[15:18], v9, off offset:-8
	ds_load_b128 v[19:22], v8
	v_add_nc_u32_e32 v7, 1, v7
	v_add_nc_u32_e32 v8, 16, v8
	v_add_nc_u32_e32 v9, 16, v9
	s_delay_alu instid0(VALU_DEP_3)
	v_cmp_lt_u32_e32 vcc_lo, 36, v7
	s_wait_alu 0xfffe
	s_or_b32 s1, vcc_lo, s1
	s_wait_loadcnt_dscnt 0x0
	v_mul_f64_e32 v[10:11], v[21:22], v[17:18]
	v_mul_f64_e32 v[17:18], v[19:20], v[17:18]
	s_delay_alu instid0(VALU_DEP_2) | instskip(NEXT) | instid1(VALU_DEP_2)
	v_fma_f64 v[10:11], v[19:20], v[15:16], -v[10:11]
	v_fma_f64 v[15:16], v[21:22], v[15:16], v[17:18]
	s_delay_alu instid0(VALU_DEP_2) | instskip(NEXT) | instid1(VALU_DEP_2)
	v_add_f64_e32 v[3:4], v[3:4], v[10:11]
	v_add_f64_e32 v[1:2], v[1:2], v[15:16]
	s_wait_alu 0xfffe
	s_and_not1_b32 exec_lo, exec_lo, s1
	s_cbranch_execnz .LBB113_165
; %bb.166:
	s_or_b32 exec_lo, exec_lo, s1
	v_mov_b32_e32 v7, 0
	ds_load_b128 v[7:10], v7 offset:608
	s_wait_dscnt 0x0
	v_mul_f64_e32 v[11:12], v[1:2], v[9:10]
	v_mul_f64_e32 v[15:16], v[3:4], v[9:10]
	s_delay_alu instid0(VALU_DEP_2) | instskip(NEXT) | instid1(VALU_DEP_2)
	v_fma_f64 v[9:10], v[3:4], v[7:8], -v[11:12]
	v_fma_f64 v[11:12], v[1:2], v[7:8], v[15:16]
	scratch_store_b128 off, v[9:12], off offset:624
.LBB113_167:
	s_wait_alu 0xfffe
	s_or_b32 exec_lo, exec_lo, s0
	s_wait_loadcnt 0x0
	s_wait_storecnt 0x0
	s_barrier_signal -1
	s_barrier_wait -1
	global_inv scope:SCOPE_SE
	scratch_load_b128 v[1:4], off, s23
	s_mov_b32 s0, exec_lo
	s_wait_loadcnt 0x0
	ds_store_b128 v5, v[1:4]
	s_wait_dscnt 0x0
	s_barrier_signal -1
	s_barrier_wait -1
	global_inv scope:SCOPE_SE
	v_cmpx_gt_u32_e32 39, v0
	s_cbranch_execz .LBB113_171
; %bb.168:
	v_dual_mov_b32 v1, 0 :: v_dual_add_nc_u32 v8, 0x320, v13
	v_mov_b32_e32 v3, 0
	v_dual_mov_b32 v2, 0 :: v_dual_add_nc_u32 v7, -1, v0
	v_mov_b32_e32 v4, 0
	v_or_b32_e32 v9, 8, v14
	s_mov_b32 s1, 0
.LBB113_169:                            ; =>This Inner Loop Header: Depth=1
	scratch_load_b128 v[15:18], v9, off offset:-8
	ds_load_b128 v[19:22], v8
	v_add_nc_u32_e32 v7, 1, v7
	v_add_nc_u32_e32 v8, 16, v8
	v_add_nc_u32_e32 v9, 16, v9
	s_delay_alu instid0(VALU_DEP_3)
	v_cmp_lt_u32_e32 vcc_lo, 37, v7
	s_wait_alu 0xfffe
	s_or_b32 s1, vcc_lo, s1
	s_wait_loadcnt_dscnt 0x0
	v_mul_f64_e32 v[10:11], v[21:22], v[17:18]
	v_mul_f64_e32 v[17:18], v[19:20], v[17:18]
	s_delay_alu instid0(VALU_DEP_2) | instskip(NEXT) | instid1(VALU_DEP_2)
	v_fma_f64 v[10:11], v[19:20], v[15:16], -v[10:11]
	v_fma_f64 v[15:16], v[21:22], v[15:16], v[17:18]
	s_delay_alu instid0(VALU_DEP_2) | instskip(NEXT) | instid1(VALU_DEP_2)
	v_add_f64_e32 v[3:4], v[3:4], v[10:11]
	v_add_f64_e32 v[1:2], v[1:2], v[15:16]
	s_wait_alu 0xfffe
	s_and_not1_b32 exec_lo, exec_lo, s1
	s_cbranch_execnz .LBB113_169
; %bb.170:
	s_or_b32 exec_lo, exec_lo, s1
	v_mov_b32_e32 v7, 0
	ds_load_b128 v[7:10], v7 offset:624
	s_wait_dscnt 0x0
	v_mul_f64_e32 v[11:12], v[1:2], v[9:10]
	v_mul_f64_e32 v[15:16], v[3:4], v[9:10]
	s_delay_alu instid0(VALU_DEP_2) | instskip(NEXT) | instid1(VALU_DEP_2)
	v_fma_f64 v[9:10], v[3:4], v[7:8], -v[11:12]
	v_fma_f64 v[11:12], v[1:2], v[7:8], v[15:16]
	scratch_store_b128 off, v[9:12], off offset:640
.LBB113_171:
	s_wait_alu 0xfffe
	s_or_b32 exec_lo, exec_lo, s0
	s_wait_loadcnt 0x0
	s_wait_storecnt 0x0
	s_barrier_signal -1
	s_barrier_wait -1
	global_inv scope:SCOPE_SE
	scratch_load_b128 v[1:4], off, s22
	s_mov_b32 s0, exec_lo
	s_wait_loadcnt 0x0
	ds_store_b128 v5, v[1:4]
	s_wait_dscnt 0x0
	s_barrier_signal -1
	s_barrier_wait -1
	global_inv scope:SCOPE_SE
	v_cmpx_gt_u32_e32 40, v0
	s_cbranch_execz .LBB113_175
; %bb.172:
	v_dual_mov_b32 v1, 0 :: v_dual_add_nc_u32 v8, 0x320, v13
	v_mov_b32_e32 v3, 0
	v_dual_mov_b32 v2, 0 :: v_dual_add_nc_u32 v7, -1, v0
	v_mov_b32_e32 v4, 0
	v_or_b32_e32 v9, 8, v14
	s_mov_b32 s1, 0
.LBB113_173:                            ; =>This Inner Loop Header: Depth=1
	scratch_load_b128 v[15:18], v9, off offset:-8
	ds_load_b128 v[19:22], v8
	v_add_nc_u32_e32 v7, 1, v7
	v_add_nc_u32_e32 v8, 16, v8
	v_add_nc_u32_e32 v9, 16, v9
	s_delay_alu instid0(VALU_DEP_3)
	v_cmp_lt_u32_e32 vcc_lo, 38, v7
	s_wait_alu 0xfffe
	s_or_b32 s1, vcc_lo, s1
	s_wait_loadcnt_dscnt 0x0
	v_mul_f64_e32 v[10:11], v[21:22], v[17:18]
	v_mul_f64_e32 v[17:18], v[19:20], v[17:18]
	s_delay_alu instid0(VALU_DEP_2) | instskip(NEXT) | instid1(VALU_DEP_2)
	v_fma_f64 v[10:11], v[19:20], v[15:16], -v[10:11]
	v_fma_f64 v[15:16], v[21:22], v[15:16], v[17:18]
	s_delay_alu instid0(VALU_DEP_2) | instskip(NEXT) | instid1(VALU_DEP_2)
	v_add_f64_e32 v[3:4], v[3:4], v[10:11]
	v_add_f64_e32 v[1:2], v[1:2], v[15:16]
	s_wait_alu 0xfffe
	s_and_not1_b32 exec_lo, exec_lo, s1
	s_cbranch_execnz .LBB113_173
; %bb.174:
	s_or_b32 exec_lo, exec_lo, s1
	v_mov_b32_e32 v7, 0
	ds_load_b128 v[7:10], v7 offset:640
	s_wait_dscnt 0x0
	v_mul_f64_e32 v[11:12], v[1:2], v[9:10]
	v_mul_f64_e32 v[15:16], v[3:4], v[9:10]
	s_delay_alu instid0(VALU_DEP_2) | instskip(NEXT) | instid1(VALU_DEP_2)
	v_fma_f64 v[9:10], v[3:4], v[7:8], -v[11:12]
	v_fma_f64 v[11:12], v[1:2], v[7:8], v[15:16]
	scratch_store_b128 off, v[9:12], off offset:656
.LBB113_175:
	s_wait_alu 0xfffe
	s_or_b32 exec_lo, exec_lo, s0
	s_wait_loadcnt 0x0
	s_wait_storecnt 0x0
	s_barrier_signal -1
	s_barrier_wait -1
	global_inv scope:SCOPE_SE
	scratch_load_b128 v[1:4], off, s21
	s_mov_b32 s0, exec_lo
	s_wait_loadcnt 0x0
	ds_store_b128 v5, v[1:4]
	s_wait_dscnt 0x0
	s_barrier_signal -1
	s_barrier_wait -1
	global_inv scope:SCOPE_SE
	v_cmpx_gt_u32_e32 41, v0
	s_cbranch_execz .LBB113_179
; %bb.176:
	v_dual_mov_b32 v1, 0 :: v_dual_add_nc_u32 v8, 0x320, v13
	v_mov_b32_e32 v3, 0
	v_dual_mov_b32 v2, 0 :: v_dual_add_nc_u32 v7, -1, v0
	v_mov_b32_e32 v4, 0
	v_or_b32_e32 v9, 8, v14
	s_mov_b32 s1, 0
.LBB113_177:                            ; =>This Inner Loop Header: Depth=1
	scratch_load_b128 v[15:18], v9, off offset:-8
	ds_load_b128 v[19:22], v8
	v_add_nc_u32_e32 v7, 1, v7
	v_add_nc_u32_e32 v8, 16, v8
	v_add_nc_u32_e32 v9, 16, v9
	s_delay_alu instid0(VALU_DEP_3)
	v_cmp_lt_u32_e32 vcc_lo, 39, v7
	s_wait_alu 0xfffe
	s_or_b32 s1, vcc_lo, s1
	s_wait_loadcnt_dscnt 0x0
	v_mul_f64_e32 v[10:11], v[21:22], v[17:18]
	v_mul_f64_e32 v[17:18], v[19:20], v[17:18]
	s_delay_alu instid0(VALU_DEP_2) | instskip(NEXT) | instid1(VALU_DEP_2)
	v_fma_f64 v[10:11], v[19:20], v[15:16], -v[10:11]
	v_fma_f64 v[15:16], v[21:22], v[15:16], v[17:18]
	s_delay_alu instid0(VALU_DEP_2) | instskip(NEXT) | instid1(VALU_DEP_2)
	v_add_f64_e32 v[3:4], v[3:4], v[10:11]
	v_add_f64_e32 v[1:2], v[1:2], v[15:16]
	s_wait_alu 0xfffe
	s_and_not1_b32 exec_lo, exec_lo, s1
	s_cbranch_execnz .LBB113_177
; %bb.178:
	s_or_b32 exec_lo, exec_lo, s1
	v_mov_b32_e32 v7, 0
	ds_load_b128 v[7:10], v7 offset:656
	s_wait_dscnt 0x0
	v_mul_f64_e32 v[11:12], v[1:2], v[9:10]
	v_mul_f64_e32 v[15:16], v[3:4], v[9:10]
	s_delay_alu instid0(VALU_DEP_2) | instskip(NEXT) | instid1(VALU_DEP_2)
	v_fma_f64 v[9:10], v[3:4], v[7:8], -v[11:12]
	v_fma_f64 v[11:12], v[1:2], v[7:8], v[15:16]
	scratch_store_b128 off, v[9:12], off offset:672
.LBB113_179:
	s_wait_alu 0xfffe
	s_or_b32 exec_lo, exec_lo, s0
	s_wait_loadcnt 0x0
	s_wait_storecnt 0x0
	s_barrier_signal -1
	s_barrier_wait -1
	global_inv scope:SCOPE_SE
	scratch_load_b128 v[1:4], off, s20
	s_mov_b32 s0, exec_lo
	s_wait_loadcnt 0x0
	ds_store_b128 v5, v[1:4]
	s_wait_dscnt 0x0
	s_barrier_signal -1
	s_barrier_wait -1
	global_inv scope:SCOPE_SE
	v_cmpx_gt_u32_e32 42, v0
	s_cbranch_execz .LBB113_183
; %bb.180:
	v_dual_mov_b32 v1, 0 :: v_dual_add_nc_u32 v8, 0x320, v13
	v_mov_b32_e32 v3, 0
	v_dual_mov_b32 v2, 0 :: v_dual_add_nc_u32 v7, -1, v0
	v_mov_b32_e32 v4, 0
	v_or_b32_e32 v9, 8, v14
	s_mov_b32 s1, 0
.LBB113_181:                            ; =>This Inner Loop Header: Depth=1
	scratch_load_b128 v[15:18], v9, off offset:-8
	ds_load_b128 v[19:22], v8
	v_add_nc_u32_e32 v7, 1, v7
	v_add_nc_u32_e32 v8, 16, v8
	v_add_nc_u32_e32 v9, 16, v9
	s_delay_alu instid0(VALU_DEP_3)
	v_cmp_lt_u32_e32 vcc_lo, 40, v7
	s_wait_alu 0xfffe
	s_or_b32 s1, vcc_lo, s1
	s_wait_loadcnt_dscnt 0x0
	v_mul_f64_e32 v[10:11], v[21:22], v[17:18]
	v_mul_f64_e32 v[17:18], v[19:20], v[17:18]
	s_delay_alu instid0(VALU_DEP_2) | instskip(NEXT) | instid1(VALU_DEP_2)
	v_fma_f64 v[10:11], v[19:20], v[15:16], -v[10:11]
	v_fma_f64 v[15:16], v[21:22], v[15:16], v[17:18]
	s_delay_alu instid0(VALU_DEP_2) | instskip(NEXT) | instid1(VALU_DEP_2)
	v_add_f64_e32 v[3:4], v[3:4], v[10:11]
	v_add_f64_e32 v[1:2], v[1:2], v[15:16]
	s_wait_alu 0xfffe
	s_and_not1_b32 exec_lo, exec_lo, s1
	s_cbranch_execnz .LBB113_181
; %bb.182:
	s_or_b32 exec_lo, exec_lo, s1
	v_mov_b32_e32 v7, 0
	ds_load_b128 v[7:10], v7 offset:672
	s_wait_dscnt 0x0
	v_mul_f64_e32 v[11:12], v[1:2], v[9:10]
	v_mul_f64_e32 v[15:16], v[3:4], v[9:10]
	s_delay_alu instid0(VALU_DEP_2) | instskip(NEXT) | instid1(VALU_DEP_2)
	v_fma_f64 v[9:10], v[3:4], v[7:8], -v[11:12]
	v_fma_f64 v[11:12], v[1:2], v[7:8], v[15:16]
	scratch_store_b128 off, v[9:12], off offset:688
.LBB113_183:
	s_wait_alu 0xfffe
	s_or_b32 exec_lo, exec_lo, s0
	s_wait_loadcnt 0x0
	s_wait_storecnt 0x0
	s_barrier_signal -1
	s_barrier_wait -1
	global_inv scope:SCOPE_SE
	scratch_load_b128 v[1:4], off, s19
	s_mov_b32 s0, exec_lo
	s_wait_loadcnt 0x0
	ds_store_b128 v5, v[1:4]
	s_wait_dscnt 0x0
	s_barrier_signal -1
	s_barrier_wait -1
	global_inv scope:SCOPE_SE
	v_cmpx_gt_u32_e32 43, v0
	s_cbranch_execz .LBB113_187
; %bb.184:
	v_dual_mov_b32 v1, 0 :: v_dual_add_nc_u32 v8, 0x320, v13
	v_mov_b32_e32 v3, 0
	v_dual_mov_b32 v2, 0 :: v_dual_add_nc_u32 v7, -1, v0
	v_mov_b32_e32 v4, 0
	v_or_b32_e32 v9, 8, v14
	s_mov_b32 s1, 0
.LBB113_185:                            ; =>This Inner Loop Header: Depth=1
	scratch_load_b128 v[15:18], v9, off offset:-8
	ds_load_b128 v[19:22], v8
	v_add_nc_u32_e32 v7, 1, v7
	v_add_nc_u32_e32 v8, 16, v8
	v_add_nc_u32_e32 v9, 16, v9
	s_delay_alu instid0(VALU_DEP_3)
	v_cmp_lt_u32_e32 vcc_lo, 41, v7
	s_wait_alu 0xfffe
	s_or_b32 s1, vcc_lo, s1
	s_wait_loadcnt_dscnt 0x0
	v_mul_f64_e32 v[10:11], v[21:22], v[17:18]
	v_mul_f64_e32 v[17:18], v[19:20], v[17:18]
	s_delay_alu instid0(VALU_DEP_2) | instskip(NEXT) | instid1(VALU_DEP_2)
	v_fma_f64 v[10:11], v[19:20], v[15:16], -v[10:11]
	v_fma_f64 v[15:16], v[21:22], v[15:16], v[17:18]
	s_delay_alu instid0(VALU_DEP_2) | instskip(NEXT) | instid1(VALU_DEP_2)
	v_add_f64_e32 v[3:4], v[3:4], v[10:11]
	v_add_f64_e32 v[1:2], v[1:2], v[15:16]
	s_wait_alu 0xfffe
	s_and_not1_b32 exec_lo, exec_lo, s1
	s_cbranch_execnz .LBB113_185
; %bb.186:
	s_or_b32 exec_lo, exec_lo, s1
	v_mov_b32_e32 v7, 0
	ds_load_b128 v[7:10], v7 offset:688
	s_wait_dscnt 0x0
	v_mul_f64_e32 v[11:12], v[1:2], v[9:10]
	v_mul_f64_e32 v[15:16], v[3:4], v[9:10]
	s_delay_alu instid0(VALU_DEP_2) | instskip(NEXT) | instid1(VALU_DEP_2)
	v_fma_f64 v[9:10], v[3:4], v[7:8], -v[11:12]
	v_fma_f64 v[11:12], v[1:2], v[7:8], v[15:16]
	scratch_store_b128 off, v[9:12], off offset:704
.LBB113_187:
	s_wait_alu 0xfffe
	s_or_b32 exec_lo, exec_lo, s0
	s_wait_loadcnt 0x0
	s_wait_storecnt 0x0
	s_barrier_signal -1
	s_barrier_wait -1
	global_inv scope:SCOPE_SE
	scratch_load_b128 v[1:4], off, s18
	s_mov_b32 s0, exec_lo
	s_wait_loadcnt 0x0
	ds_store_b128 v5, v[1:4]
	s_wait_dscnt 0x0
	s_barrier_signal -1
	s_barrier_wait -1
	global_inv scope:SCOPE_SE
	v_cmpx_gt_u32_e32 44, v0
	s_cbranch_execz .LBB113_191
; %bb.188:
	v_dual_mov_b32 v1, 0 :: v_dual_add_nc_u32 v8, 0x320, v13
	v_mov_b32_e32 v3, 0
	v_dual_mov_b32 v2, 0 :: v_dual_add_nc_u32 v7, -1, v0
	v_mov_b32_e32 v4, 0
	v_or_b32_e32 v9, 8, v14
	s_mov_b32 s1, 0
.LBB113_189:                            ; =>This Inner Loop Header: Depth=1
	scratch_load_b128 v[15:18], v9, off offset:-8
	ds_load_b128 v[19:22], v8
	v_add_nc_u32_e32 v7, 1, v7
	v_add_nc_u32_e32 v8, 16, v8
	v_add_nc_u32_e32 v9, 16, v9
	s_delay_alu instid0(VALU_DEP_3)
	v_cmp_lt_u32_e32 vcc_lo, 42, v7
	s_wait_alu 0xfffe
	s_or_b32 s1, vcc_lo, s1
	s_wait_loadcnt_dscnt 0x0
	v_mul_f64_e32 v[10:11], v[21:22], v[17:18]
	v_mul_f64_e32 v[17:18], v[19:20], v[17:18]
	s_delay_alu instid0(VALU_DEP_2) | instskip(NEXT) | instid1(VALU_DEP_2)
	v_fma_f64 v[10:11], v[19:20], v[15:16], -v[10:11]
	v_fma_f64 v[15:16], v[21:22], v[15:16], v[17:18]
	s_delay_alu instid0(VALU_DEP_2) | instskip(NEXT) | instid1(VALU_DEP_2)
	v_add_f64_e32 v[3:4], v[3:4], v[10:11]
	v_add_f64_e32 v[1:2], v[1:2], v[15:16]
	s_wait_alu 0xfffe
	s_and_not1_b32 exec_lo, exec_lo, s1
	s_cbranch_execnz .LBB113_189
; %bb.190:
	s_or_b32 exec_lo, exec_lo, s1
	v_mov_b32_e32 v7, 0
	ds_load_b128 v[7:10], v7 offset:704
	s_wait_dscnt 0x0
	v_mul_f64_e32 v[11:12], v[1:2], v[9:10]
	v_mul_f64_e32 v[15:16], v[3:4], v[9:10]
	s_delay_alu instid0(VALU_DEP_2) | instskip(NEXT) | instid1(VALU_DEP_2)
	v_fma_f64 v[9:10], v[3:4], v[7:8], -v[11:12]
	v_fma_f64 v[11:12], v[1:2], v[7:8], v[15:16]
	scratch_store_b128 off, v[9:12], off offset:720
.LBB113_191:
	s_wait_alu 0xfffe
	s_or_b32 exec_lo, exec_lo, s0
	s_wait_loadcnt 0x0
	s_wait_storecnt 0x0
	s_barrier_signal -1
	s_barrier_wait -1
	global_inv scope:SCOPE_SE
	scratch_load_b128 v[1:4], off, s17
	s_mov_b32 s0, exec_lo
	s_wait_loadcnt 0x0
	ds_store_b128 v5, v[1:4]
	s_wait_dscnt 0x0
	s_barrier_signal -1
	s_barrier_wait -1
	global_inv scope:SCOPE_SE
	v_cmpx_gt_u32_e32 45, v0
	s_cbranch_execz .LBB113_195
; %bb.192:
	v_dual_mov_b32 v1, 0 :: v_dual_add_nc_u32 v8, 0x320, v13
	v_mov_b32_e32 v3, 0
	v_dual_mov_b32 v2, 0 :: v_dual_add_nc_u32 v7, -1, v0
	v_mov_b32_e32 v4, 0
	v_or_b32_e32 v9, 8, v14
	s_mov_b32 s1, 0
.LBB113_193:                            ; =>This Inner Loop Header: Depth=1
	scratch_load_b128 v[15:18], v9, off offset:-8
	ds_load_b128 v[19:22], v8
	v_add_nc_u32_e32 v7, 1, v7
	v_add_nc_u32_e32 v8, 16, v8
	v_add_nc_u32_e32 v9, 16, v9
	s_delay_alu instid0(VALU_DEP_3)
	v_cmp_lt_u32_e32 vcc_lo, 43, v7
	s_wait_alu 0xfffe
	s_or_b32 s1, vcc_lo, s1
	s_wait_loadcnt_dscnt 0x0
	v_mul_f64_e32 v[10:11], v[21:22], v[17:18]
	v_mul_f64_e32 v[17:18], v[19:20], v[17:18]
	s_delay_alu instid0(VALU_DEP_2) | instskip(NEXT) | instid1(VALU_DEP_2)
	v_fma_f64 v[10:11], v[19:20], v[15:16], -v[10:11]
	v_fma_f64 v[15:16], v[21:22], v[15:16], v[17:18]
	s_delay_alu instid0(VALU_DEP_2) | instskip(NEXT) | instid1(VALU_DEP_2)
	v_add_f64_e32 v[3:4], v[3:4], v[10:11]
	v_add_f64_e32 v[1:2], v[1:2], v[15:16]
	s_wait_alu 0xfffe
	s_and_not1_b32 exec_lo, exec_lo, s1
	s_cbranch_execnz .LBB113_193
; %bb.194:
	s_or_b32 exec_lo, exec_lo, s1
	v_mov_b32_e32 v7, 0
	ds_load_b128 v[7:10], v7 offset:720
	s_wait_dscnt 0x0
	v_mul_f64_e32 v[11:12], v[1:2], v[9:10]
	v_mul_f64_e32 v[15:16], v[3:4], v[9:10]
	s_delay_alu instid0(VALU_DEP_2) | instskip(NEXT) | instid1(VALU_DEP_2)
	v_fma_f64 v[9:10], v[3:4], v[7:8], -v[11:12]
	v_fma_f64 v[11:12], v[1:2], v[7:8], v[15:16]
	scratch_store_b128 off, v[9:12], off offset:736
.LBB113_195:
	s_wait_alu 0xfffe
	s_or_b32 exec_lo, exec_lo, s0
	s_wait_loadcnt 0x0
	s_wait_storecnt 0x0
	s_barrier_signal -1
	s_barrier_wait -1
	global_inv scope:SCOPE_SE
	scratch_load_b128 v[1:4], off, s16
	s_mov_b32 s0, exec_lo
	s_wait_loadcnt 0x0
	ds_store_b128 v5, v[1:4]
	s_wait_dscnt 0x0
	s_barrier_signal -1
	s_barrier_wait -1
	global_inv scope:SCOPE_SE
	v_cmpx_gt_u32_e32 46, v0
	s_cbranch_execz .LBB113_199
; %bb.196:
	v_dual_mov_b32 v1, 0 :: v_dual_add_nc_u32 v8, 0x320, v13
	v_mov_b32_e32 v3, 0
	v_dual_mov_b32 v2, 0 :: v_dual_add_nc_u32 v7, -1, v0
	v_mov_b32_e32 v4, 0
	v_or_b32_e32 v9, 8, v14
	s_mov_b32 s1, 0
.LBB113_197:                            ; =>This Inner Loop Header: Depth=1
	scratch_load_b128 v[15:18], v9, off offset:-8
	ds_load_b128 v[19:22], v8
	v_add_nc_u32_e32 v7, 1, v7
	v_add_nc_u32_e32 v8, 16, v8
	v_add_nc_u32_e32 v9, 16, v9
	s_delay_alu instid0(VALU_DEP_3)
	v_cmp_lt_u32_e32 vcc_lo, 44, v7
	s_wait_alu 0xfffe
	s_or_b32 s1, vcc_lo, s1
	s_wait_loadcnt_dscnt 0x0
	v_mul_f64_e32 v[10:11], v[21:22], v[17:18]
	v_mul_f64_e32 v[17:18], v[19:20], v[17:18]
	s_delay_alu instid0(VALU_DEP_2) | instskip(NEXT) | instid1(VALU_DEP_2)
	v_fma_f64 v[10:11], v[19:20], v[15:16], -v[10:11]
	v_fma_f64 v[15:16], v[21:22], v[15:16], v[17:18]
	s_delay_alu instid0(VALU_DEP_2) | instskip(NEXT) | instid1(VALU_DEP_2)
	v_add_f64_e32 v[3:4], v[3:4], v[10:11]
	v_add_f64_e32 v[1:2], v[1:2], v[15:16]
	s_wait_alu 0xfffe
	s_and_not1_b32 exec_lo, exec_lo, s1
	s_cbranch_execnz .LBB113_197
; %bb.198:
	s_or_b32 exec_lo, exec_lo, s1
	v_mov_b32_e32 v7, 0
	ds_load_b128 v[7:10], v7 offset:736
	s_wait_dscnt 0x0
	v_mul_f64_e32 v[11:12], v[1:2], v[9:10]
	v_mul_f64_e32 v[15:16], v[3:4], v[9:10]
	s_delay_alu instid0(VALU_DEP_2) | instskip(NEXT) | instid1(VALU_DEP_2)
	v_fma_f64 v[9:10], v[3:4], v[7:8], -v[11:12]
	v_fma_f64 v[11:12], v[1:2], v[7:8], v[15:16]
	scratch_store_b128 off, v[9:12], off offset:752
.LBB113_199:
	s_wait_alu 0xfffe
	s_or_b32 exec_lo, exec_lo, s0
	s_wait_loadcnt 0x0
	s_wait_storecnt 0x0
	s_barrier_signal -1
	s_barrier_wait -1
	global_inv scope:SCOPE_SE
	scratch_load_b128 v[1:4], off, s14
	s_mov_b32 s0, exec_lo
	s_wait_loadcnt 0x0
	ds_store_b128 v5, v[1:4]
	s_wait_dscnt 0x0
	s_barrier_signal -1
	s_barrier_wait -1
	global_inv scope:SCOPE_SE
	v_cmpx_gt_u32_e32 47, v0
	s_cbranch_execz .LBB113_203
; %bb.200:
	v_dual_mov_b32 v1, 0 :: v_dual_add_nc_u32 v8, 0x320, v13
	v_mov_b32_e32 v3, 0
	v_dual_mov_b32 v2, 0 :: v_dual_add_nc_u32 v7, -1, v0
	v_mov_b32_e32 v4, 0
	v_or_b32_e32 v9, 8, v14
	s_mov_b32 s1, 0
.LBB113_201:                            ; =>This Inner Loop Header: Depth=1
	scratch_load_b128 v[15:18], v9, off offset:-8
	ds_load_b128 v[19:22], v8
	v_add_nc_u32_e32 v7, 1, v7
	v_add_nc_u32_e32 v8, 16, v8
	v_add_nc_u32_e32 v9, 16, v9
	s_delay_alu instid0(VALU_DEP_3)
	v_cmp_lt_u32_e32 vcc_lo, 45, v7
	s_wait_alu 0xfffe
	s_or_b32 s1, vcc_lo, s1
	s_wait_loadcnt_dscnt 0x0
	v_mul_f64_e32 v[10:11], v[21:22], v[17:18]
	v_mul_f64_e32 v[17:18], v[19:20], v[17:18]
	s_delay_alu instid0(VALU_DEP_2) | instskip(NEXT) | instid1(VALU_DEP_2)
	v_fma_f64 v[10:11], v[19:20], v[15:16], -v[10:11]
	v_fma_f64 v[15:16], v[21:22], v[15:16], v[17:18]
	s_delay_alu instid0(VALU_DEP_2) | instskip(NEXT) | instid1(VALU_DEP_2)
	v_add_f64_e32 v[3:4], v[3:4], v[10:11]
	v_add_f64_e32 v[1:2], v[1:2], v[15:16]
	s_wait_alu 0xfffe
	s_and_not1_b32 exec_lo, exec_lo, s1
	s_cbranch_execnz .LBB113_201
; %bb.202:
	s_or_b32 exec_lo, exec_lo, s1
	v_mov_b32_e32 v7, 0
	ds_load_b128 v[7:10], v7 offset:752
	s_wait_dscnt 0x0
	v_mul_f64_e32 v[11:12], v[1:2], v[9:10]
	v_mul_f64_e32 v[15:16], v[3:4], v[9:10]
	s_delay_alu instid0(VALU_DEP_2) | instskip(NEXT) | instid1(VALU_DEP_2)
	v_fma_f64 v[9:10], v[3:4], v[7:8], -v[11:12]
	v_fma_f64 v[11:12], v[1:2], v[7:8], v[15:16]
	scratch_store_b128 off, v[9:12], off offset:768
.LBB113_203:
	s_wait_alu 0xfffe
	s_or_b32 exec_lo, exec_lo, s0
	s_wait_loadcnt 0x0
	s_wait_storecnt 0x0
	s_barrier_signal -1
	s_barrier_wait -1
	global_inv scope:SCOPE_SE
	scratch_load_b128 v[1:4], off, s11
	s_mov_b32 s0, exec_lo
	s_wait_loadcnt 0x0
	ds_store_b128 v5, v[1:4]
	s_wait_dscnt 0x0
	s_barrier_signal -1
	s_barrier_wait -1
	global_inv scope:SCOPE_SE
	v_cmpx_gt_u32_e32 48, v0
	s_cbranch_execz .LBB113_207
; %bb.204:
	v_dual_mov_b32 v1, 0 :: v_dual_add_nc_u32 v8, 0x320, v13
	v_mov_b32_e32 v3, 0
	v_dual_mov_b32 v2, 0 :: v_dual_add_nc_u32 v7, -1, v0
	v_mov_b32_e32 v4, 0
	v_or_b32_e32 v9, 8, v14
	s_mov_b32 s1, 0
.LBB113_205:                            ; =>This Inner Loop Header: Depth=1
	scratch_load_b128 v[10:13], v9, off offset:-8
	ds_load_b128 v[15:18], v8
	v_add_nc_u32_e32 v7, 1, v7
	v_add_nc_u32_e32 v8, 16, v8
	v_add_nc_u32_e32 v9, 16, v9
	s_delay_alu instid0(VALU_DEP_3)
	v_cmp_lt_u32_e32 vcc_lo, 46, v7
	s_wait_alu 0xfffe
	s_or_b32 s1, vcc_lo, s1
	s_wait_loadcnt_dscnt 0x0
	v_mul_f64_e32 v[19:20], v[17:18], v[12:13]
	v_mul_f64_e32 v[12:13], v[15:16], v[12:13]
	s_delay_alu instid0(VALU_DEP_2) | instskip(NEXT) | instid1(VALU_DEP_2)
	v_fma_f64 v[15:16], v[15:16], v[10:11], -v[19:20]
	v_fma_f64 v[10:11], v[17:18], v[10:11], v[12:13]
	s_delay_alu instid0(VALU_DEP_2) | instskip(NEXT) | instid1(VALU_DEP_2)
	v_add_f64_e32 v[3:4], v[3:4], v[15:16]
	v_add_f64_e32 v[1:2], v[1:2], v[10:11]
	s_wait_alu 0xfffe
	s_and_not1_b32 exec_lo, exec_lo, s1
	s_cbranch_execnz .LBB113_205
; %bb.206:
	s_or_b32 exec_lo, exec_lo, s1
	v_mov_b32_e32 v7, 0
	ds_load_b128 v[7:10], v7 offset:768
	s_wait_dscnt 0x0
	v_mul_f64_e32 v[11:12], v[1:2], v[9:10]
	v_mul_f64_e32 v[15:16], v[3:4], v[9:10]
	s_delay_alu instid0(VALU_DEP_2) | instskip(NEXT) | instid1(VALU_DEP_2)
	v_fma_f64 v[9:10], v[3:4], v[7:8], -v[11:12]
	v_fma_f64 v[11:12], v[1:2], v[7:8], v[15:16]
	scratch_store_b128 off, v[9:12], off offset:784
.LBB113_207:
	s_wait_alu 0xfffe
	s_or_b32 exec_lo, exec_lo, s0
	s_wait_loadcnt 0x0
	s_wait_storecnt 0x0
	s_barrier_signal -1
	s_barrier_wait -1
	global_inv scope:SCOPE_SE
	scratch_load_b128 v[1:4], off, s5
	s_mov_b32 s0, exec_lo
	s_wait_loadcnt 0x0
	ds_store_b128 v5, v[1:4]
	s_wait_dscnt 0x0
	s_barrier_signal -1
	s_barrier_wait -1
	global_inv scope:SCOPE_SE
	v_cmpx_ne_u32_e32 49, v0
	s_cbranch_execz .LBB113_211
; %bb.208:
	v_mov_b32_e32 v1, 0
	v_dual_mov_b32 v2, 0 :: v_dual_mov_b32 v3, 0
	v_mov_b32_e32 v4, 0
	v_or_b32_e32 v7, 8, v14
	s_mov_b32 s1, 0
.LBB113_209:                            ; =>This Inner Loop Header: Depth=1
	scratch_load_b128 v[8:11], v7, off offset:-8
	ds_load_b128 v[12:15], v5
	v_add_nc_u32_e32 v6, 1, v6
	v_add_nc_u32_e32 v5, 16, v5
	v_add_nc_u32_e32 v7, 16, v7
	s_delay_alu instid0(VALU_DEP_3)
	v_cmp_lt_u32_e32 vcc_lo, 47, v6
	s_wait_alu 0xfffe
	s_or_b32 s1, vcc_lo, s1
	s_wait_loadcnt_dscnt 0x0
	v_mul_f64_e32 v[16:17], v[14:15], v[10:11]
	v_mul_f64_e32 v[10:11], v[12:13], v[10:11]
	s_delay_alu instid0(VALU_DEP_2) | instskip(NEXT) | instid1(VALU_DEP_2)
	v_fma_f64 v[12:13], v[12:13], v[8:9], -v[16:17]
	v_fma_f64 v[8:9], v[14:15], v[8:9], v[10:11]
	s_delay_alu instid0(VALU_DEP_2) | instskip(NEXT) | instid1(VALU_DEP_2)
	v_add_f64_e32 v[3:4], v[3:4], v[12:13]
	v_add_f64_e32 v[1:2], v[1:2], v[8:9]
	s_wait_alu 0xfffe
	s_and_not1_b32 exec_lo, exec_lo, s1
	s_cbranch_execnz .LBB113_209
; %bb.210:
	s_or_b32 exec_lo, exec_lo, s1
	v_mov_b32_e32 v5, 0
	ds_load_b128 v[5:8], v5 offset:784
	s_wait_dscnt 0x0
	v_mul_f64_e32 v[9:10], v[1:2], v[7:8]
	v_mul_f64_e32 v[7:8], v[3:4], v[7:8]
	s_delay_alu instid0(VALU_DEP_2) | instskip(NEXT) | instid1(VALU_DEP_2)
	v_fma_f64 v[3:4], v[3:4], v[5:6], -v[9:10]
	v_fma_f64 v[5:6], v[1:2], v[5:6], v[7:8]
	scratch_store_b128 off, v[3:6], off offset:800
.LBB113_211:
	s_wait_alu 0xfffe
	s_or_b32 exec_lo, exec_lo, s0
	s_mov_b32 s1, -1
	s_wait_loadcnt 0x0
	s_wait_storecnt 0x0
	s_barrier_signal -1
	s_barrier_wait -1
	global_inv scope:SCOPE_SE
.LBB113_212:
	s_wait_alu 0xfffe
	s_and_b32 vcc_lo, exec_lo, s1
	s_wait_alu 0xfffe
	s_cbranch_vccz .LBB113_214
; %bb.213:
	v_mov_b32_e32 v1, 0
	s_lshl_b64 s[0:1], s[8:9], 2
	s_wait_alu 0xfffe
	s_add_nc_u64 s[0:1], s[6:7], s[0:1]
	global_load_b32 v1, v1, s[0:1]
	s_wait_loadcnt 0x0
	v_cmp_ne_u32_e32 vcc_lo, 0, v1
	s_cbranch_vccz .LBB113_215
.LBB113_214:
	s_nop 0
	s_sendmsg sendmsg(MSG_DEALLOC_VGPRS)
	s_endpgm
.LBB113_215:
	v_lshl_add_u32 v142, v0, 4, 0x320
	s_mov_b32 s0, exec_lo
	v_cmpx_eq_u32_e32 49, v0
	s_cbranch_execz .LBB113_217
; %bb.216:
	scratch_load_b128 v[1:4], off, s11
	v_mov_b32_e32 v5, 0
	s_delay_alu instid0(VALU_DEP_1)
	v_dual_mov_b32 v6, v5 :: v_dual_mov_b32 v7, v5
	v_mov_b32_e32 v8, v5
	scratch_store_b128 off, v[5:8], off offset:784
	s_wait_loadcnt 0x0
	ds_store_b128 v142, v[1:4]
.LBB113_217:
	s_wait_alu 0xfffe
	s_or_b32 exec_lo, exec_lo, s0
	s_wait_storecnt_dscnt 0x0
	s_barrier_signal -1
	s_barrier_wait -1
	global_inv scope:SCOPE_SE
	s_clause 0x1
	scratch_load_b128 v[2:5], off, off offset:800
	scratch_load_b128 v[6:9], off, off offset:784
	v_mov_b32_e32 v1, 0
	s_mov_b32 s0, exec_lo
	ds_load_b128 v[10:13], v1 offset:1584
	s_wait_loadcnt_dscnt 0x100
	v_mul_f64_e32 v[14:15], v[12:13], v[4:5]
	v_mul_f64_e32 v[4:5], v[10:11], v[4:5]
	s_delay_alu instid0(VALU_DEP_2) | instskip(NEXT) | instid1(VALU_DEP_2)
	v_fma_f64 v[10:11], v[10:11], v[2:3], -v[14:15]
	v_fma_f64 v[2:3], v[12:13], v[2:3], v[4:5]
	s_delay_alu instid0(VALU_DEP_2) | instskip(NEXT) | instid1(VALU_DEP_2)
	v_add_f64_e32 v[4:5], 0, v[10:11]
	v_add_f64_e32 v[10:11], 0, v[2:3]
	s_wait_loadcnt 0x0
	s_delay_alu instid0(VALU_DEP_2) | instskip(NEXT) | instid1(VALU_DEP_2)
	v_add_f64_e64 v[2:3], v[6:7], -v[4:5]
	v_add_f64_e64 v[4:5], v[8:9], -v[10:11]
	scratch_store_b128 off, v[2:5], off offset:784
	v_cmpx_lt_u32_e32 47, v0
	s_cbranch_execz .LBB113_219
; %bb.218:
	scratch_load_b128 v[5:8], off, s14
	v_dual_mov_b32 v2, v1 :: v_dual_mov_b32 v3, v1
	v_mov_b32_e32 v4, v1
	scratch_store_b128 off, v[1:4], off offset:768
	s_wait_loadcnt 0x0
	ds_store_b128 v142, v[5:8]
.LBB113_219:
	s_wait_alu 0xfffe
	s_or_b32 exec_lo, exec_lo, s0
	s_wait_storecnt_dscnt 0x0
	s_barrier_signal -1
	s_barrier_wait -1
	global_inv scope:SCOPE_SE
	s_clause 0x2
	scratch_load_b128 v[2:5], off, off offset:784
	scratch_load_b128 v[6:9], off, off offset:800
	;; [unrolled: 1-line block ×3, first 2 shown]
	ds_load_b128 v[14:17], v1 offset:1568
	ds_load_b128 v[18:21], v1 offset:1584
	s_mov_b32 s0, exec_lo
	s_wait_loadcnt_dscnt 0x201
	v_mul_f64_e32 v[22:23], v[16:17], v[4:5]
	v_mul_f64_e32 v[4:5], v[14:15], v[4:5]
	s_wait_loadcnt_dscnt 0x100
	v_mul_f64_e32 v[24:25], v[18:19], v[8:9]
	v_mul_f64_e32 v[8:9], v[20:21], v[8:9]
	s_delay_alu instid0(VALU_DEP_4) | instskip(NEXT) | instid1(VALU_DEP_4)
	v_fma_f64 v[14:15], v[14:15], v[2:3], -v[22:23]
	v_fma_f64 v[1:2], v[16:17], v[2:3], v[4:5]
	s_delay_alu instid0(VALU_DEP_4) | instskip(NEXT) | instid1(VALU_DEP_4)
	v_fma_f64 v[3:4], v[20:21], v[6:7], v[24:25]
	v_fma_f64 v[5:6], v[18:19], v[6:7], -v[8:9]
	s_delay_alu instid0(VALU_DEP_4) | instskip(NEXT) | instid1(VALU_DEP_4)
	v_add_f64_e32 v[7:8], 0, v[14:15]
	v_add_f64_e32 v[1:2], 0, v[1:2]
	s_delay_alu instid0(VALU_DEP_2) | instskip(NEXT) | instid1(VALU_DEP_2)
	v_add_f64_e32 v[5:6], v[7:8], v[5:6]
	v_add_f64_e32 v[3:4], v[1:2], v[3:4]
	s_wait_loadcnt 0x0
	s_delay_alu instid0(VALU_DEP_2) | instskip(NEXT) | instid1(VALU_DEP_2)
	v_add_f64_e64 v[1:2], v[10:11], -v[5:6]
	v_add_f64_e64 v[3:4], v[12:13], -v[3:4]
	scratch_store_b128 off, v[1:4], off offset:768
	v_cmpx_lt_u32_e32 46, v0
	s_cbranch_execz .LBB113_221
; %bb.220:
	scratch_load_b128 v[1:4], off, s16
	v_mov_b32_e32 v5, 0
	s_delay_alu instid0(VALU_DEP_1)
	v_dual_mov_b32 v6, v5 :: v_dual_mov_b32 v7, v5
	v_mov_b32_e32 v8, v5
	scratch_store_b128 off, v[5:8], off offset:752
	s_wait_loadcnt 0x0
	ds_store_b128 v142, v[1:4]
.LBB113_221:
	s_wait_alu 0xfffe
	s_or_b32 exec_lo, exec_lo, s0
	s_wait_storecnt_dscnt 0x0
	s_barrier_signal -1
	s_barrier_wait -1
	global_inv scope:SCOPE_SE
	s_clause 0x3
	scratch_load_b128 v[2:5], off, off offset:768
	scratch_load_b128 v[6:9], off, off offset:784
	scratch_load_b128 v[10:13], off, off offset:800
	scratch_load_b128 v[14:17], off, off offset:752
	v_mov_b32_e32 v1, 0
	ds_load_b128 v[18:21], v1 offset:1552
	ds_load_b128 v[22:25], v1 offset:1568
	s_mov_b32 s0, exec_lo
	s_wait_loadcnt_dscnt 0x301
	v_mul_f64_e32 v[26:27], v[20:21], v[4:5]
	v_mul_f64_e32 v[4:5], v[18:19], v[4:5]
	s_wait_loadcnt_dscnt 0x200
	v_mul_f64_e32 v[28:29], v[22:23], v[8:9]
	v_mul_f64_e32 v[8:9], v[24:25], v[8:9]
	s_delay_alu instid0(VALU_DEP_4) | instskip(NEXT) | instid1(VALU_DEP_4)
	v_fma_f64 v[18:19], v[18:19], v[2:3], -v[26:27]
	v_fma_f64 v[20:21], v[20:21], v[2:3], v[4:5]
	ds_load_b128 v[2:5], v1 offset:1584
	v_fma_f64 v[24:25], v[24:25], v[6:7], v[28:29]
	v_fma_f64 v[6:7], v[22:23], v[6:7], -v[8:9]
	s_wait_loadcnt_dscnt 0x100
	v_mul_f64_e32 v[26:27], v[2:3], v[12:13]
	v_mul_f64_e32 v[12:13], v[4:5], v[12:13]
	v_add_f64_e32 v[8:9], 0, v[18:19]
	v_add_f64_e32 v[18:19], 0, v[20:21]
	s_delay_alu instid0(VALU_DEP_4) | instskip(NEXT) | instid1(VALU_DEP_4)
	v_fma_f64 v[4:5], v[4:5], v[10:11], v[26:27]
	v_fma_f64 v[2:3], v[2:3], v[10:11], -v[12:13]
	s_delay_alu instid0(VALU_DEP_4) | instskip(NEXT) | instid1(VALU_DEP_4)
	v_add_f64_e32 v[6:7], v[8:9], v[6:7]
	v_add_f64_e32 v[8:9], v[18:19], v[24:25]
	s_delay_alu instid0(VALU_DEP_2) | instskip(NEXT) | instid1(VALU_DEP_2)
	v_add_f64_e32 v[2:3], v[6:7], v[2:3]
	v_add_f64_e32 v[4:5], v[8:9], v[4:5]
	s_wait_loadcnt 0x0
	s_delay_alu instid0(VALU_DEP_2) | instskip(NEXT) | instid1(VALU_DEP_2)
	v_add_f64_e64 v[2:3], v[14:15], -v[2:3]
	v_add_f64_e64 v[4:5], v[16:17], -v[4:5]
	scratch_store_b128 off, v[2:5], off offset:752
	v_cmpx_lt_u32_e32 45, v0
	s_cbranch_execz .LBB113_223
; %bb.222:
	scratch_load_b128 v[5:8], off, s17
	v_dual_mov_b32 v2, v1 :: v_dual_mov_b32 v3, v1
	v_mov_b32_e32 v4, v1
	scratch_store_b128 off, v[1:4], off offset:736
	s_wait_loadcnt 0x0
	ds_store_b128 v142, v[5:8]
.LBB113_223:
	s_wait_alu 0xfffe
	s_or_b32 exec_lo, exec_lo, s0
	s_wait_storecnt_dscnt 0x0
	s_barrier_signal -1
	s_barrier_wait -1
	global_inv scope:SCOPE_SE
	s_clause 0x4
	scratch_load_b128 v[2:5], off, off offset:752
	scratch_load_b128 v[6:9], off, off offset:768
	;; [unrolled: 1-line block ×5, first 2 shown]
	ds_load_b128 v[22:25], v1 offset:1536
	ds_load_b128 v[26:29], v1 offset:1552
	s_mov_b32 s0, exec_lo
	s_wait_loadcnt_dscnt 0x401
	v_mul_f64_e32 v[30:31], v[24:25], v[4:5]
	v_mul_f64_e32 v[4:5], v[22:23], v[4:5]
	s_wait_loadcnt_dscnt 0x300
	v_mul_f64_e32 v[32:33], v[26:27], v[8:9]
	v_mul_f64_e32 v[8:9], v[28:29], v[8:9]
	s_delay_alu instid0(VALU_DEP_4) | instskip(NEXT) | instid1(VALU_DEP_4)
	v_fma_f64 v[30:31], v[22:23], v[2:3], -v[30:31]
	v_fma_f64 v[34:35], v[24:25], v[2:3], v[4:5]
	ds_load_b128 v[2:5], v1 offset:1568
	ds_load_b128 v[22:25], v1 offset:1584
	v_fma_f64 v[28:29], v[28:29], v[6:7], v[32:33]
	v_fma_f64 v[6:7], v[26:27], v[6:7], -v[8:9]
	s_wait_loadcnt_dscnt 0x201
	v_mul_f64_e32 v[36:37], v[2:3], v[12:13]
	v_mul_f64_e32 v[12:13], v[4:5], v[12:13]
	v_add_f64_e32 v[8:9], 0, v[30:31]
	v_add_f64_e32 v[26:27], 0, v[34:35]
	s_wait_loadcnt_dscnt 0x100
	v_mul_f64_e32 v[30:31], v[22:23], v[16:17]
	v_mul_f64_e32 v[16:17], v[24:25], v[16:17]
	v_fma_f64 v[4:5], v[4:5], v[10:11], v[36:37]
	v_fma_f64 v[1:2], v[2:3], v[10:11], -v[12:13]
	v_add_f64_e32 v[6:7], v[8:9], v[6:7]
	v_add_f64_e32 v[8:9], v[26:27], v[28:29]
	v_fma_f64 v[10:11], v[24:25], v[14:15], v[30:31]
	v_fma_f64 v[12:13], v[22:23], v[14:15], -v[16:17]
	s_delay_alu instid0(VALU_DEP_4) | instskip(NEXT) | instid1(VALU_DEP_4)
	v_add_f64_e32 v[1:2], v[6:7], v[1:2]
	v_add_f64_e32 v[3:4], v[8:9], v[4:5]
	s_delay_alu instid0(VALU_DEP_2) | instskip(NEXT) | instid1(VALU_DEP_2)
	v_add_f64_e32 v[1:2], v[1:2], v[12:13]
	v_add_f64_e32 v[3:4], v[3:4], v[10:11]
	s_wait_loadcnt 0x0
	s_delay_alu instid0(VALU_DEP_2) | instskip(NEXT) | instid1(VALU_DEP_2)
	v_add_f64_e64 v[1:2], v[18:19], -v[1:2]
	v_add_f64_e64 v[3:4], v[20:21], -v[3:4]
	scratch_store_b128 off, v[1:4], off offset:736
	v_cmpx_lt_u32_e32 44, v0
	s_cbranch_execz .LBB113_225
; %bb.224:
	scratch_load_b128 v[1:4], off, s18
	v_mov_b32_e32 v5, 0
	s_delay_alu instid0(VALU_DEP_1)
	v_dual_mov_b32 v6, v5 :: v_dual_mov_b32 v7, v5
	v_mov_b32_e32 v8, v5
	scratch_store_b128 off, v[5:8], off offset:720
	s_wait_loadcnt 0x0
	ds_store_b128 v142, v[1:4]
.LBB113_225:
	s_wait_alu 0xfffe
	s_or_b32 exec_lo, exec_lo, s0
	s_wait_storecnt_dscnt 0x0
	s_barrier_signal -1
	s_barrier_wait -1
	global_inv scope:SCOPE_SE
	s_clause 0x5
	scratch_load_b128 v[2:5], off, off offset:736
	scratch_load_b128 v[6:9], off, off offset:752
	;; [unrolled: 1-line block ×6, first 2 shown]
	v_mov_b32_e32 v1, 0
	ds_load_b128 v[26:29], v1 offset:1520
	ds_load_b128 v[30:33], v1 offset:1536
	s_mov_b32 s0, exec_lo
	s_wait_loadcnt_dscnt 0x501
	v_mul_f64_e32 v[34:35], v[28:29], v[4:5]
	v_mul_f64_e32 v[4:5], v[26:27], v[4:5]
	s_wait_loadcnt_dscnt 0x400
	v_mul_f64_e32 v[36:37], v[30:31], v[8:9]
	v_mul_f64_e32 v[8:9], v[32:33], v[8:9]
	s_delay_alu instid0(VALU_DEP_4) | instskip(NEXT) | instid1(VALU_DEP_4)
	v_fma_f64 v[34:35], v[26:27], v[2:3], -v[34:35]
	v_fma_f64 v[38:39], v[28:29], v[2:3], v[4:5]
	ds_load_b128 v[2:5], v1 offset:1552
	ds_load_b128 v[26:29], v1 offset:1568
	v_fma_f64 v[32:33], v[32:33], v[6:7], v[36:37]
	v_fma_f64 v[6:7], v[30:31], v[6:7], -v[8:9]
	s_wait_loadcnt_dscnt 0x301
	v_mul_f64_e32 v[40:41], v[2:3], v[12:13]
	v_mul_f64_e32 v[12:13], v[4:5], v[12:13]
	v_add_f64_e32 v[8:9], 0, v[34:35]
	v_add_f64_e32 v[30:31], 0, v[38:39]
	s_wait_loadcnt_dscnt 0x200
	v_mul_f64_e32 v[34:35], v[26:27], v[16:17]
	v_mul_f64_e32 v[16:17], v[28:29], v[16:17]
	v_fma_f64 v[36:37], v[4:5], v[10:11], v[40:41]
	v_fma_f64 v[10:11], v[2:3], v[10:11], -v[12:13]
	ds_load_b128 v[2:5], v1 offset:1584
	v_add_f64_e32 v[6:7], v[8:9], v[6:7]
	v_add_f64_e32 v[8:9], v[30:31], v[32:33]
	v_fma_f64 v[28:29], v[28:29], v[14:15], v[34:35]
	v_fma_f64 v[14:15], v[26:27], v[14:15], -v[16:17]
	s_wait_loadcnt_dscnt 0x100
	v_mul_f64_e32 v[12:13], v[2:3], v[20:21]
	v_mul_f64_e32 v[20:21], v[4:5], v[20:21]
	v_add_f64_e32 v[6:7], v[6:7], v[10:11]
	v_add_f64_e32 v[8:9], v[8:9], v[36:37]
	s_delay_alu instid0(VALU_DEP_4) | instskip(NEXT) | instid1(VALU_DEP_4)
	v_fma_f64 v[4:5], v[4:5], v[18:19], v[12:13]
	v_fma_f64 v[2:3], v[2:3], v[18:19], -v[20:21]
	s_delay_alu instid0(VALU_DEP_4) | instskip(NEXT) | instid1(VALU_DEP_4)
	v_add_f64_e32 v[6:7], v[6:7], v[14:15]
	v_add_f64_e32 v[8:9], v[8:9], v[28:29]
	s_delay_alu instid0(VALU_DEP_2) | instskip(NEXT) | instid1(VALU_DEP_2)
	v_add_f64_e32 v[2:3], v[6:7], v[2:3]
	v_add_f64_e32 v[4:5], v[8:9], v[4:5]
	s_wait_loadcnt 0x0
	s_delay_alu instid0(VALU_DEP_2) | instskip(NEXT) | instid1(VALU_DEP_2)
	v_add_f64_e64 v[2:3], v[22:23], -v[2:3]
	v_add_f64_e64 v[4:5], v[24:25], -v[4:5]
	scratch_store_b128 off, v[2:5], off offset:720
	v_cmpx_lt_u32_e32 43, v0
	s_cbranch_execz .LBB113_227
; %bb.226:
	scratch_load_b128 v[5:8], off, s19
	v_dual_mov_b32 v2, v1 :: v_dual_mov_b32 v3, v1
	v_mov_b32_e32 v4, v1
	scratch_store_b128 off, v[1:4], off offset:704
	s_wait_loadcnt 0x0
	ds_store_b128 v142, v[5:8]
.LBB113_227:
	s_wait_alu 0xfffe
	s_or_b32 exec_lo, exec_lo, s0
	s_wait_storecnt_dscnt 0x0
	s_barrier_signal -1
	s_barrier_wait -1
	global_inv scope:SCOPE_SE
	s_clause 0x5
	scratch_load_b128 v[2:5], off, off offset:720
	scratch_load_b128 v[6:9], off, off offset:736
	;; [unrolled: 1-line block ×6, first 2 shown]
	ds_load_b128 v[26:29], v1 offset:1504
	ds_load_b128 v[34:37], v1 offset:1520
	scratch_load_b128 v[30:33], off, off offset:704
	s_mov_b32 s0, exec_lo
	s_wait_loadcnt_dscnt 0x601
	v_mul_f64_e32 v[38:39], v[28:29], v[4:5]
	v_mul_f64_e32 v[4:5], v[26:27], v[4:5]
	s_wait_loadcnt_dscnt 0x500
	v_mul_f64_e32 v[40:41], v[34:35], v[8:9]
	v_mul_f64_e32 v[8:9], v[36:37], v[8:9]
	s_delay_alu instid0(VALU_DEP_4) | instskip(NEXT) | instid1(VALU_DEP_4)
	v_fma_f64 v[38:39], v[26:27], v[2:3], -v[38:39]
	v_fma_f64 v[143:144], v[28:29], v[2:3], v[4:5]
	ds_load_b128 v[2:5], v1 offset:1536
	ds_load_b128 v[26:29], v1 offset:1552
	v_fma_f64 v[36:37], v[36:37], v[6:7], v[40:41]
	v_fma_f64 v[6:7], v[34:35], v[6:7], -v[8:9]
	s_wait_loadcnt_dscnt 0x401
	v_mul_f64_e32 v[145:146], v[2:3], v[12:13]
	v_mul_f64_e32 v[12:13], v[4:5], v[12:13]
	v_add_f64_e32 v[8:9], 0, v[38:39]
	v_add_f64_e32 v[34:35], 0, v[143:144]
	s_wait_loadcnt_dscnt 0x300
	v_mul_f64_e32 v[38:39], v[26:27], v[16:17]
	v_mul_f64_e32 v[16:17], v[28:29], v[16:17]
	v_fma_f64 v[40:41], v[4:5], v[10:11], v[145:146]
	v_fma_f64 v[10:11], v[2:3], v[10:11], -v[12:13]
	v_add_f64_e32 v[12:13], v[8:9], v[6:7]
	v_add_f64_e32 v[34:35], v[34:35], v[36:37]
	ds_load_b128 v[2:5], v1 offset:1568
	ds_load_b128 v[6:9], v1 offset:1584
	v_fma_f64 v[28:29], v[28:29], v[14:15], v[38:39]
	v_fma_f64 v[14:15], v[26:27], v[14:15], -v[16:17]
	s_wait_loadcnt_dscnt 0x201
	v_mul_f64_e32 v[36:37], v[2:3], v[20:21]
	v_mul_f64_e32 v[20:21], v[4:5], v[20:21]
	s_wait_loadcnt_dscnt 0x100
	v_mul_f64_e32 v[16:17], v[6:7], v[24:25]
	v_mul_f64_e32 v[24:25], v[8:9], v[24:25]
	v_add_f64_e32 v[10:11], v[12:13], v[10:11]
	v_add_f64_e32 v[12:13], v[34:35], v[40:41]
	v_fma_f64 v[4:5], v[4:5], v[18:19], v[36:37]
	v_fma_f64 v[1:2], v[2:3], v[18:19], -v[20:21]
	v_fma_f64 v[8:9], v[8:9], v[22:23], v[16:17]
	v_fma_f64 v[6:7], v[6:7], v[22:23], -v[24:25]
	v_add_f64_e32 v[10:11], v[10:11], v[14:15]
	v_add_f64_e32 v[12:13], v[12:13], v[28:29]
	s_delay_alu instid0(VALU_DEP_2) | instskip(NEXT) | instid1(VALU_DEP_2)
	v_add_f64_e32 v[1:2], v[10:11], v[1:2]
	v_add_f64_e32 v[3:4], v[12:13], v[4:5]
	s_delay_alu instid0(VALU_DEP_2) | instskip(NEXT) | instid1(VALU_DEP_2)
	v_add_f64_e32 v[1:2], v[1:2], v[6:7]
	v_add_f64_e32 v[3:4], v[3:4], v[8:9]
	s_wait_loadcnt 0x0
	s_delay_alu instid0(VALU_DEP_2) | instskip(NEXT) | instid1(VALU_DEP_2)
	v_add_f64_e64 v[1:2], v[30:31], -v[1:2]
	v_add_f64_e64 v[3:4], v[32:33], -v[3:4]
	scratch_store_b128 off, v[1:4], off offset:704
	v_cmpx_lt_u32_e32 42, v0
	s_cbranch_execz .LBB113_229
; %bb.228:
	scratch_load_b128 v[1:4], off, s20
	v_mov_b32_e32 v5, 0
	s_delay_alu instid0(VALU_DEP_1)
	v_dual_mov_b32 v6, v5 :: v_dual_mov_b32 v7, v5
	v_mov_b32_e32 v8, v5
	scratch_store_b128 off, v[5:8], off offset:688
	s_wait_loadcnt 0x0
	ds_store_b128 v142, v[1:4]
.LBB113_229:
	s_wait_alu 0xfffe
	s_or_b32 exec_lo, exec_lo, s0
	s_wait_storecnt_dscnt 0x0
	s_barrier_signal -1
	s_barrier_wait -1
	global_inv scope:SCOPE_SE
	s_clause 0x6
	scratch_load_b128 v[2:5], off, off offset:704
	scratch_load_b128 v[6:9], off, off offset:720
	;; [unrolled: 1-line block ×7, first 2 shown]
	v_mov_b32_e32 v1, 0
	scratch_load_b128 v[34:37], off, off offset:688
	s_mov_b32 s0, exec_lo
	ds_load_b128 v[30:33], v1 offset:1488
	ds_load_b128 v[38:41], v1 offset:1504
	s_wait_loadcnt_dscnt 0x701
	v_mul_f64_e32 v[143:144], v[32:33], v[4:5]
	v_mul_f64_e32 v[4:5], v[30:31], v[4:5]
	s_wait_loadcnt_dscnt 0x600
	v_mul_f64_e32 v[145:146], v[38:39], v[8:9]
	v_mul_f64_e32 v[8:9], v[40:41], v[8:9]
	s_delay_alu instid0(VALU_DEP_4) | instskip(NEXT) | instid1(VALU_DEP_4)
	v_fma_f64 v[143:144], v[30:31], v[2:3], -v[143:144]
	v_fma_f64 v[147:148], v[32:33], v[2:3], v[4:5]
	ds_load_b128 v[2:5], v1 offset:1520
	ds_load_b128 v[30:33], v1 offset:1536
	v_fma_f64 v[40:41], v[40:41], v[6:7], v[145:146]
	v_fma_f64 v[6:7], v[38:39], v[6:7], -v[8:9]
	s_wait_loadcnt_dscnt 0x501
	v_mul_f64_e32 v[149:150], v[2:3], v[12:13]
	v_mul_f64_e32 v[12:13], v[4:5], v[12:13]
	v_add_f64_e32 v[8:9], 0, v[143:144]
	v_add_f64_e32 v[38:39], 0, v[147:148]
	s_wait_loadcnt_dscnt 0x400
	v_mul_f64_e32 v[143:144], v[30:31], v[16:17]
	v_mul_f64_e32 v[16:17], v[32:33], v[16:17]
	v_fma_f64 v[145:146], v[4:5], v[10:11], v[149:150]
	v_fma_f64 v[10:11], v[2:3], v[10:11], -v[12:13]
	v_add_f64_e32 v[12:13], v[8:9], v[6:7]
	v_add_f64_e32 v[38:39], v[38:39], v[40:41]
	ds_load_b128 v[2:5], v1 offset:1552
	ds_load_b128 v[6:9], v1 offset:1568
	v_fma_f64 v[32:33], v[32:33], v[14:15], v[143:144]
	v_fma_f64 v[14:15], v[30:31], v[14:15], -v[16:17]
	s_wait_loadcnt_dscnt 0x301
	v_mul_f64_e32 v[40:41], v[2:3], v[20:21]
	v_mul_f64_e32 v[20:21], v[4:5], v[20:21]
	s_wait_loadcnt_dscnt 0x200
	v_mul_f64_e32 v[16:17], v[6:7], v[24:25]
	v_mul_f64_e32 v[24:25], v[8:9], v[24:25]
	v_add_f64_e32 v[10:11], v[12:13], v[10:11]
	v_add_f64_e32 v[12:13], v[38:39], v[145:146]
	v_fma_f64 v[30:31], v[4:5], v[18:19], v[40:41]
	v_fma_f64 v[18:19], v[2:3], v[18:19], -v[20:21]
	ds_load_b128 v[2:5], v1 offset:1584
	v_fma_f64 v[8:9], v[8:9], v[22:23], v[16:17]
	v_fma_f64 v[6:7], v[6:7], v[22:23], -v[24:25]
	v_add_f64_e32 v[10:11], v[10:11], v[14:15]
	v_add_f64_e32 v[12:13], v[12:13], v[32:33]
	s_wait_loadcnt_dscnt 0x100
	v_mul_f64_e32 v[14:15], v[2:3], v[28:29]
	v_mul_f64_e32 v[20:21], v[4:5], v[28:29]
	s_delay_alu instid0(VALU_DEP_4) | instskip(NEXT) | instid1(VALU_DEP_4)
	v_add_f64_e32 v[10:11], v[10:11], v[18:19]
	v_add_f64_e32 v[12:13], v[12:13], v[30:31]
	s_delay_alu instid0(VALU_DEP_4) | instskip(NEXT) | instid1(VALU_DEP_4)
	v_fma_f64 v[4:5], v[4:5], v[26:27], v[14:15]
	v_fma_f64 v[2:3], v[2:3], v[26:27], -v[20:21]
	s_delay_alu instid0(VALU_DEP_4) | instskip(NEXT) | instid1(VALU_DEP_4)
	v_add_f64_e32 v[6:7], v[10:11], v[6:7]
	v_add_f64_e32 v[8:9], v[12:13], v[8:9]
	s_delay_alu instid0(VALU_DEP_2) | instskip(NEXT) | instid1(VALU_DEP_2)
	v_add_f64_e32 v[2:3], v[6:7], v[2:3]
	v_add_f64_e32 v[4:5], v[8:9], v[4:5]
	s_wait_loadcnt 0x0
	s_delay_alu instid0(VALU_DEP_2) | instskip(NEXT) | instid1(VALU_DEP_2)
	v_add_f64_e64 v[2:3], v[34:35], -v[2:3]
	v_add_f64_e64 v[4:5], v[36:37], -v[4:5]
	scratch_store_b128 off, v[2:5], off offset:688
	v_cmpx_lt_u32_e32 41, v0
	s_cbranch_execz .LBB113_231
; %bb.230:
	scratch_load_b128 v[5:8], off, s21
	v_dual_mov_b32 v2, v1 :: v_dual_mov_b32 v3, v1
	v_mov_b32_e32 v4, v1
	scratch_store_b128 off, v[1:4], off offset:672
	s_wait_loadcnt 0x0
	ds_store_b128 v142, v[5:8]
.LBB113_231:
	s_wait_alu 0xfffe
	s_or_b32 exec_lo, exec_lo, s0
	s_wait_storecnt_dscnt 0x0
	s_barrier_signal -1
	s_barrier_wait -1
	global_inv scope:SCOPE_SE
	s_clause 0x7
	scratch_load_b128 v[2:5], off, off offset:688
	scratch_load_b128 v[6:9], off, off offset:704
	;; [unrolled: 1-line block ×8, first 2 shown]
	ds_load_b128 v[34:37], v1 offset:1472
	ds_load_b128 v[38:41], v1 offset:1488
	scratch_load_b128 v[143:146], off, off offset:672
	s_mov_b32 s0, exec_lo
	s_wait_loadcnt_dscnt 0x801
	v_mul_f64_e32 v[147:148], v[36:37], v[4:5]
	v_mul_f64_e32 v[4:5], v[34:35], v[4:5]
	s_wait_loadcnt_dscnt 0x700
	v_mul_f64_e32 v[149:150], v[38:39], v[8:9]
	v_mul_f64_e32 v[8:9], v[40:41], v[8:9]
	s_delay_alu instid0(VALU_DEP_4) | instskip(NEXT) | instid1(VALU_DEP_4)
	v_fma_f64 v[147:148], v[34:35], v[2:3], -v[147:148]
	v_fma_f64 v[151:152], v[36:37], v[2:3], v[4:5]
	ds_load_b128 v[2:5], v1 offset:1504
	ds_load_b128 v[34:37], v1 offset:1520
	v_fma_f64 v[40:41], v[40:41], v[6:7], v[149:150]
	v_fma_f64 v[6:7], v[38:39], v[6:7], -v[8:9]
	s_wait_loadcnt_dscnt 0x601
	v_mul_f64_e32 v[153:154], v[2:3], v[12:13]
	v_mul_f64_e32 v[12:13], v[4:5], v[12:13]
	v_add_f64_e32 v[8:9], 0, v[147:148]
	v_add_f64_e32 v[38:39], 0, v[151:152]
	s_wait_loadcnt_dscnt 0x500
	v_mul_f64_e32 v[147:148], v[34:35], v[16:17]
	v_mul_f64_e32 v[16:17], v[36:37], v[16:17]
	v_fma_f64 v[149:150], v[4:5], v[10:11], v[153:154]
	v_fma_f64 v[10:11], v[2:3], v[10:11], -v[12:13]
	v_add_f64_e32 v[12:13], v[8:9], v[6:7]
	v_add_f64_e32 v[38:39], v[38:39], v[40:41]
	ds_load_b128 v[2:5], v1 offset:1536
	ds_load_b128 v[6:9], v1 offset:1552
	v_fma_f64 v[36:37], v[36:37], v[14:15], v[147:148]
	v_fma_f64 v[14:15], v[34:35], v[14:15], -v[16:17]
	s_wait_loadcnt_dscnt 0x401
	v_mul_f64_e32 v[40:41], v[2:3], v[20:21]
	v_mul_f64_e32 v[20:21], v[4:5], v[20:21]
	s_wait_loadcnt_dscnt 0x300
	v_mul_f64_e32 v[16:17], v[6:7], v[24:25]
	v_mul_f64_e32 v[24:25], v[8:9], v[24:25]
	v_add_f64_e32 v[10:11], v[12:13], v[10:11]
	v_add_f64_e32 v[12:13], v[38:39], v[149:150]
	v_fma_f64 v[34:35], v[4:5], v[18:19], v[40:41]
	v_fma_f64 v[18:19], v[2:3], v[18:19], -v[20:21]
	v_fma_f64 v[8:9], v[8:9], v[22:23], v[16:17]
	v_fma_f64 v[6:7], v[6:7], v[22:23], -v[24:25]
	v_add_f64_e32 v[14:15], v[10:11], v[14:15]
	v_add_f64_e32 v[20:21], v[12:13], v[36:37]
	ds_load_b128 v[2:5], v1 offset:1568
	ds_load_b128 v[10:13], v1 offset:1584
	s_wait_loadcnt_dscnt 0x201
	v_mul_f64_e32 v[36:37], v[2:3], v[28:29]
	v_mul_f64_e32 v[28:29], v[4:5], v[28:29]
	v_add_f64_e32 v[14:15], v[14:15], v[18:19]
	v_add_f64_e32 v[16:17], v[20:21], v[34:35]
	s_wait_loadcnt_dscnt 0x100
	v_mul_f64_e32 v[18:19], v[10:11], v[32:33]
	v_mul_f64_e32 v[20:21], v[12:13], v[32:33]
	v_fma_f64 v[4:5], v[4:5], v[26:27], v[36:37]
	v_fma_f64 v[1:2], v[2:3], v[26:27], -v[28:29]
	v_add_f64_e32 v[6:7], v[14:15], v[6:7]
	v_add_f64_e32 v[8:9], v[16:17], v[8:9]
	v_fma_f64 v[12:13], v[12:13], v[30:31], v[18:19]
	v_fma_f64 v[10:11], v[10:11], v[30:31], -v[20:21]
	s_delay_alu instid0(VALU_DEP_4) | instskip(NEXT) | instid1(VALU_DEP_4)
	v_add_f64_e32 v[1:2], v[6:7], v[1:2]
	v_add_f64_e32 v[3:4], v[8:9], v[4:5]
	s_delay_alu instid0(VALU_DEP_2) | instskip(NEXT) | instid1(VALU_DEP_2)
	v_add_f64_e32 v[1:2], v[1:2], v[10:11]
	v_add_f64_e32 v[3:4], v[3:4], v[12:13]
	s_wait_loadcnt 0x0
	s_delay_alu instid0(VALU_DEP_2) | instskip(NEXT) | instid1(VALU_DEP_2)
	v_add_f64_e64 v[1:2], v[143:144], -v[1:2]
	v_add_f64_e64 v[3:4], v[145:146], -v[3:4]
	scratch_store_b128 off, v[1:4], off offset:672
	v_cmpx_lt_u32_e32 40, v0
	s_cbranch_execz .LBB113_233
; %bb.232:
	scratch_load_b128 v[1:4], off, s22
	v_mov_b32_e32 v5, 0
	s_delay_alu instid0(VALU_DEP_1)
	v_dual_mov_b32 v6, v5 :: v_dual_mov_b32 v7, v5
	v_mov_b32_e32 v8, v5
	scratch_store_b128 off, v[5:8], off offset:656
	s_wait_loadcnt 0x0
	ds_store_b128 v142, v[1:4]
.LBB113_233:
	s_wait_alu 0xfffe
	s_or_b32 exec_lo, exec_lo, s0
	s_wait_storecnt_dscnt 0x0
	s_barrier_signal -1
	s_barrier_wait -1
	global_inv scope:SCOPE_SE
	s_clause 0x7
	scratch_load_b128 v[2:5], off, off offset:672
	scratch_load_b128 v[6:9], off, off offset:688
	;; [unrolled: 1-line block ×8, first 2 shown]
	v_mov_b32_e32 v1, 0
	s_mov_b32 s0, exec_lo
	ds_load_b128 v[34:37], v1 offset:1456
	s_clause 0x1
	scratch_load_b128 v[38:41], off, off offset:800
	scratch_load_b128 v[143:146], off, off offset:656
	ds_load_b128 v[147:150], v1 offset:1472
	s_wait_loadcnt_dscnt 0x901
	v_mul_f64_e32 v[151:152], v[36:37], v[4:5]
	v_mul_f64_e32 v[4:5], v[34:35], v[4:5]
	s_wait_loadcnt_dscnt 0x800
	v_mul_f64_e32 v[153:154], v[147:148], v[8:9]
	v_mul_f64_e32 v[8:9], v[149:150], v[8:9]
	s_delay_alu instid0(VALU_DEP_4) | instskip(NEXT) | instid1(VALU_DEP_4)
	v_fma_f64 v[151:152], v[34:35], v[2:3], -v[151:152]
	v_fma_f64 v[155:156], v[36:37], v[2:3], v[4:5]
	ds_load_b128 v[2:5], v1 offset:1488
	ds_load_b128 v[34:37], v1 offset:1504
	v_fma_f64 v[149:150], v[149:150], v[6:7], v[153:154]
	v_fma_f64 v[6:7], v[147:148], v[6:7], -v[8:9]
	s_wait_loadcnt_dscnt 0x701
	v_mul_f64_e32 v[157:158], v[2:3], v[12:13]
	v_mul_f64_e32 v[12:13], v[4:5], v[12:13]
	v_add_f64_e32 v[8:9], 0, v[151:152]
	v_add_f64_e32 v[147:148], 0, v[155:156]
	s_wait_loadcnt_dscnt 0x600
	v_mul_f64_e32 v[151:152], v[34:35], v[16:17]
	v_mul_f64_e32 v[16:17], v[36:37], v[16:17]
	v_fma_f64 v[153:154], v[4:5], v[10:11], v[157:158]
	v_fma_f64 v[10:11], v[2:3], v[10:11], -v[12:13]
	v_add_f64_e32 v[12:13], v[8:9], v[6:7]
	v_add_f64_e32 v[147:148], v[147:148], v[149:150]
	ds_load_b128 v[2:5], v1 offset:1520
	ds_load_b128 v[6:9], v1 offset:1536
	v_fma_f64 v[36:37], v[36:37], v[14:15], v[151:152]
	v_fma_f64 v[14:15], v[34:35], v[14:15], -v[16:17]
	s_wait_loadcnt_dscnt 0x501
	v_mul_f64_e32 v[149:150], v[2:3], v[20:21]
	v_mul_f64_e32 v[20:21], v[4:5], v[20:21]
	s_wait_loadcnt_dscnt 0x400
	v_mul_f64_e32 v[16:17], v[6:7], v[24:25]
	v_mul_f64_e32 v[24:25], v[8:9], v[24:25]
	v_add_f64_e32 v[10:11], v[12:13], v[10:11]
	v_add_f64_e32 v[12:13], v[147:148], v[153:154]
	v_fma_f64 v[34:35], v[4:5], v[18:19], v[149:150]
	v_fma_f64 v[18:19], v[2:3], v[18:19], -v[20:21]
	v_fma_f64 v[8:9], v[8:9], v[22:23], v[16:17]
	v_fma_f64 v[6:7], v[6:7], v[22:23], -v[24:25]
	v_add_f64_e32 v[14:15], v[10:11], v[14:15]
	v_add_f64_e32 v[20:21], v[12:13], v[36:37]
	ds_load_b128 v[2:5], v1 offset:1552
	ds_load_b128 v[10:13], v1 offset:1568
	s_wait_loadcnt_dscnt 0x301
	v_mul_f64_e32 v[36:37], v[2:3], v[28:29]
	v_mul_f64_e32 v[28:29], v[4:5], v[28:29]
	v_add_f64_e32 v[14:15], v[14:15], v[18:19]
	v_add_f64_e32 v[16:17], v[20:21], v[34:35]
	s_wait_loadcnt_dscnt 0x200
	v_mul_f64_e32 v[18:19], v[10:11], v[32:33]
	v_mul_f64_e32 v[20:21], v[12:13], v[32:33]
	v_fma_f64 v[22:23], v[4:5], v[26:27], v[36:37]
	v_fma_f64 v[24:25], v[2:3], v[26:27], -v[28:29]
	ds_load_b128 v[2:5], v1 offset:1584
	v_add_f64_e32 v[6:7], v[14:15], v[6:7]
	v_add_f64_e32 v[8:9], v[16:17], v[8:9]
	v_fma_f64 v[12:13], v[12:13], v[30:31], v[18:19]
	v_fma_f64 v[10:11], v[10:11], v[30:31], -v[20:21]
	s_wait_loadcnt_dscnt 0x100
	v_mul_f64_e32 v[14:15], v[2:3], v[40:41]
	v_mul_f64_e32 v[16:17], v[4:5], v[40:41]
	v_add_f64_e32 v[6:7], v[6:7], v[24:25]
	v_add_f64_e32 v[8:9], v[8:9], v[22:23]
	s_delay_alu instid0(VALU_DEP_4) | instskip(NEXT) | instid1(VALU_DEP_4)
	v_fma_f64 v[4:5], v[4:5], v[38:39], v[14:15]
	v_fma_f64 v[2:3], v[2:3], v[38:39], -v[16:17]
	s_delay_alu instid0(VALU_DEP_4) | instskip(NEXT) | instid1(VALU_DEP_4)
	v_add_f64_e32 v[6:7], v[6:7], v[10:11]
	v_add_f64_e32 v[8:9], v[8:9], v[12:13]
	s_delay_alu instid0(VALU_DEP_2) | instskip(NEXT) | instid1(VALU_DEP_2)
	v_add_f64_e32 v[2:3], v[6:7], v[2:3]
	v_add_f64_e32 v[4:5], v[8:9], v[4:5]
	s_wait_loadcnt 0x0
	s_delay_alu instid0(VALU_DEP_2) | instskip(NEXT) | instid1(VALU_DEP_2)
	v_add_f64_e64 v[2:3], v[143:144], -v[2:3]
	v_add_f64_e64 v[4:5], v[145:146], -v[4:5]
	scratch_store_b128 off, v[2:5], off offset:656
	v_cmpx_lt_u32_e32 39, v0
	s_cbranch_execz .LBB113_235
; %bb.234:
	scratch_load_b128 v[5:8], off, s23
	v_dual_mov_b32 v2, v1 :: v_dual_mov_b32 v3, v1
	v_mov_b32_e32 v4, v1
	scratch_store_b128 off, v[1:4], off offset:640
	s_wait_loadcnt 0x0
	ds_store_b128 v142, v[5:8]
.LBB113_235:
	s_wait_alu 0xfffe
	s_or_b32 exec_lo, exec_lo, s0
	s_wait_storecnt_dscnt 0x0
	s_barrier_signal -1
	s_barrier_wait -1
	global_inv scope:SCOPE_SE
	s_clause 0x8
	scratch_load_b128 v[2:5], off, off offset:656
	scratch_load_b128 v[6:9], off, off offset:672
	;; [unrolled: 1-line block ×9, first 2 shown]
	ds_load_b128 v[38:41], v1 offset:1440
	ds_load_b128 v[143:146], v1 offset:1456
	s_clause 0x1
	scratch_load_b128 v[147:150], off, off offset:640
	scratch_load_b128 v[151:154], off, off offset:800
	s_mov_b32 s0, exec_lo
	s_wait_loadcnt_dscnt 0xa01
	v_mul_f64_e32 v[155:156], v[40:41], v[4:5]
	v_mul_f64_e32 v[4:5], v[38:39], v[4:5]
	s_wait_loadcnt_dscnt 0x900
	v_mul_f64_e32 v[157:158], v[143:144], v[8:9]
	v_mul_f64_e32 v[8:9], v[145:146], v[8:9]
	s_delay_alu instid0(VALU_DEP_4) | instskip(NEXT) | instid1(VALU_DEP_4)
	v_fma_f64 v[155:156], v[38:39], v[2:3], -v[155:156]
	v_fma_f64 v[159:160], v[40:41], v[2:3], v[4:5]
	ds_load_b128 v[2:5], v1 offset:1472
	ds_load_b128 v[38:41], v1 offset:1488
	v_fma_f64 v[145:146], v[145:146], v[6:7], v[157:158]
	v_fma_f64 v[6:7], v[143:144], v[6:7], -v[8:9]
	s_wait_loadcnt_dscnt 0x801
	v_mul_f64_e32 v[161:162], v[2:3], v[12:13]
	v_mul_f64_e32 v[12:13], v[4:5], v[12:13]
	v_add_f64_e32 v[8:9], 0, v[155:156]
	v_add_f64_e32 v[143:144], 0, v[159:160]
	s_wait_loadcnt_dscnt 0x700
	v_mul_f64_e32 v[155:156], v[38:39], v[16:17]
	v_mul_f64_e32 v[16:17], v[40:41], v[16:17]
	v_fma_f64 v[157:158], v[4:5], v[10:11], v[161:162]
	v_fma_f64 v[10:11], v[2:3], v[10:11], -v[12:13]
	v_add_f64_e32 v[12:13], v[8:9], v[6:7]
	v_add_f64_e32 v[143:144], v[143:144], v[145:146]
	ds_load_b128 v[2:5], v1 offset:1504
	ds_load_b128 v[6:9], v1 offset:1520
	v_fma_f64 v[40:41], v[40:41], v[14:15], v[155:156]
	v_fma_f64 v[14:15], v[38:39], v[14:15], -v[16:17]
	s_wait_loadcnt_dscnt 0x601
	v_mul_f64_e32 v[145:146], v[2:3], v[20:21]
	v_mul_f64_e32 v[20:21], v[4:5], v[20:21]
	s_wait_loadcnt_dscnt 0x500
	v_mul_f64_e32 v[16:17], v[6:7], v[24:25]
	v_mul_f64_e32 v[24:25], v[8:9], v[24:25]
	v_add_f64_e32 v[10:11], v[12:13], v[10:11]
	v_add_f64_e32 v[12:13], v[143:144], v[157:158]
	v_fma_f64 v[38:39], v[4:5], v[18:19], v[145:146]
	v_fma_f64 v[18:19], v[2:3], v[18:19], -v[20:21]
	v_fma_f64 v[8:9], v[8:9], v[22:23], v[16:17]
	v_fma_f64 v[6:7], v[6:7], v[22:23], -v[24:25]
	v_add_f64_e32 v[14:15], v[10:11], v[14:15]
	v_add_f64_e32 v[20:21], v[12:13], v[40:41]
	ds_load_b128 v[2:5], v1 offset:1536
	ds_load_b128 v[10:13], v1 offset:1552
	s_wait_loadcnt_dscnt 0x401
	v_mul_f64_e32 v[40:41], v[2:3], v[28:29]
	v_mul_f64_e32 v[28:29], v[4:5], v[28:29]
	v_add_f64_e32 v[14:15], v[14:15], v[18:19]
	v_add_f64_e32 v[16:17], v[20:21], v[38:39]
	s_wait_loadcnt_dscnt 0x300
	v_mul_f64_e32 v[18:19], v[10:11], v[32:33]
	v_mul_f64_e32 v[20:21], v[12:13], v[32:33]
	v_fma_f64 v[22:23], v[4:5], v[26:27], v[40:41]
	v_fma_f64 v[24:25], v[2:3], v[26:27], -v[28:29]
	v_add_f64_e32 v[14:15], v[14:15], v[6:7]
	v_add_f64_e32 v[16:17], v[16:17], v[8:9]
	ds_load_b128 v[2:5], v1 offset:1568
	ds_load_b128 v[6:9], v1 offset:1584
	v_fma_f64 v[12:13], v[12:13], v[30:31], v[18:19]
	v_fma_f64 v[10:11], v[10:11], v[30:31], -v[20:21]
	s_wait_loadcnt_dscnt 0x201
	v_mul_f64_e32 v[26:27], v[2:3], v[36:37]
	v_mul_f64_e32 v[28:29], v[4:5], v[36:37]
	s_wait_loadcnt_dscnt 0x0
	v_mul_f64_e32 v[18:19], v[6:7], v[153:154]
	v_mul_f64_e32 v[20:21], v[8:9], v[153:154]
	v_add_f64_e32 v[14:15], v[14:15], v[24:25]
	v_add_f64_e32 v[16:17], v[16:17], v[22:23]
	v_fma_f64 v[4:5], v[4:5], v[34:35], v[26:27]
	v_fma_f64 v[1:2], v[2:3], v[34:35], -v[28:29]
	v_fma_f64 v[8:9], v[8:9], v[151:152], v[18:19]
	v_fma_f64 v[6:7], v[6:7], v[151:152], -v[20:21]
	v_add_f64_e32 v[10:11], v[14:15], v[10:11]
	v_add_f64_e32 v[12:13], v[16:17], v[12:13]
	s_delay_alu instid0(VALU_DEP_2) | instskip(NEXT) | instid1(VALU_DEP_2)
	v_add_f64_e32 v[1:2], v[10:11], v[1:2]
	v_add_f64_e32 v[3:4], v[12:13], v[4:5]
	s_delay_alu instid0(VALU_DEP_2) | instskip(NEXT) | instid1(VALU_DEP_2)
	;; [unrolled: 3-line block ×3, first 2 shown]
	v_add_f64_e64 v[1:2], v[147:148], -v[1:2]
	v_add_f64_e64 v[3:4], v[149:150], -v[3:4]
	scratch_store_b128 off, v[1:4], off offset:640
	v_cmpx_lt_u32_e32 38, v0
	s_cbranch_execz .LBB113_237
; %bb.236:
	scratch_load_b128 v[1:4], off, s24
	v_mov_b32_e32 v5, 0
	s_delay_alu instid0(VALU_DEP_1)
	v_dual_mov_b32 v6, v5 :: v_dual_mov_b32 v7, v5
	v_mov_b32_e32 v8, v5
	scratch_store_b128 off, v[5:8], off offset:624
	s_wait_loadcnt 0x0
	ds_store_b128 v142, v[1:4]
.LBB113_237:
	s_wait_alu 0xfffe
	s_or_b32 exec_lo, exec_lo, s0
	s_wait_storecnt_dscnt 0x0
	s_barrier_signal -1
	s_barrier_wait -1
	global_inv scope:SCOPE_SE
	s_clause 0x7
	scratch_load_b128 v[2:5], off, off offset:640
	scratch_load_b128 v[6:9], off, off offset:656
	;; [unrolled: 1-line block ×8, first 2 shown]
	v_mov_b32_e32 v1, 0
	s_clause 0x1
	scratch_load_b128 v[38:41], off, off offset:768
	scratch_load_b128 v[147:150], off, off offset:784
	s_mov_b32 s0, exec_lo
	ds_load_b128 v[34:37], v1 offset:1424
	ds_load_b128 v[143:146], v1 offset:1440
	s_wait_loadcnt_dscnt 0x901
	v_mul_f64_e32 v[151:152], v[36:37], v[4:5]
	v_mul_f64_e32 v[4:5], v[34:35], v[4:5]
	s_wait_loadcnt_dscnt 0x800
	v_mul_f64_e32 v[153:154], v[143:144], v[8:9]
	v_mul_f64_e32 v[8:9], v[145:146], v[8:9]
	s_delay_alu instid0(VALU_DEP_4) | instskip(NEXT) | instid1(VALU_DEP_4)
	v_fma_f64 v[151:152], v[34:35], v[2:3], -v[151:152]
	v_fma_f64 v[155:156], v[36:37], v[2:3], v[4:5]
	ds_load_b128 v[2:5], v1 offset:1456
	scratch_load_b128 v[34:37], off, off offset:800
	v_fma_f64 v[145:146], v[145:146], v[6:7], v[153:154]
	v_fma_f64 v[143:144], v[143:144], v[6:7], -v[8:9]
	ds_load_b128 v[6:9], v1 offset:1472
	s_wait_loadcnt_dscnt 0x801
	v_mul_f64_e32 v[157:158], v[2:3], v[12:13]
	v_mul_f64_e32 v[12:13], v[4:5], v[12:13]
	v_add_f64_e32 v[151:152], 0, v[151:152]
	v_add_f64_e32 v[153:154], 0, v[155:156]
	s_wait_loadcnt_dscnt 0x700
	v_mul_f64_e32 v[155:156], v[6:7], v[16:17]
	v_mul_f64_e32 v[16:17], v[8:9], v[16:17]
	v_fma_f64 v[157:158], v[4:5], v[10:11], v[157:158]
	v_fma_f64 v[10:11], v[2:3], v[10:11], -v[12:13]
	ds_load_b128 v[2:5], v1 offset:1488
	v_add_f64_e32 v[12:13], v[151:152], v[143:144]
	v_add_f64_e32 v[143:144], v[153:154], v[145:146]
	v_fma_f64 v[151:152], v[8:9], v[14:15], v[155:156]
	v_fma_f64 v[14:15], v[6:7], v[14:15], -v[16:17]
	ds_load_b128 v[6:9], v1 offset:1504
	s_wait_loadcnt_dscnt 0x601
	v_mul_f64_e32 v[145:146], v[2:3], v[20:21]
	v_mul_f64_e32 v[20:21], v[4:5], v[20:21]
	s_wait_loadcnt_dscnt 0x500
	v_mul_f64_e32 v[153:154], v[6:7], v[24:25]
	v_mul_f64_e32 v[24:25], v[8:9], v[24:25]
	v_add_f64_e32 v[16:17], v[12:13], v[10:11]
	v_add_f64_e32 v[143:144], v[143:144], v[157:158]
	scratch_load_b128 v[10:13], off, off offset:624
	v_fma_f64 v[145:146], v[4:5], v[18:19], v[145:146]
	v_fma_f64 v[18:19], v[2:3], v[18:19], -v[20:21]
	ds_load_b128 v[2:5], v1 offset:1520
	v_add_f64_e32 v[14:15], v[16:17], v[14:15]
	v_add_f64_e32 v[16:17], v[143:144], v[151:152]
	v_fma_f64 v[143:144], v[8:9], v[22:23], v[153:154]
	v_fma_f64 v[22:23], v[6:7], v[22:23], -v[24:25]
	ds_load_b128 v[6:9], v1 offset:1536
	s_wait_loadcnt_dscnt 0x501
	v_mul_f64_e32 v[20:21], v[2:3], v[28:29]
	v_mul_f64_e32 v[28:29], v[4:5], v[28:29]
	s_wait_loadcnt_dscnt 0x400
	v_mul_f64_e32 v[24:25], v[8:9], v[32:33]
	v_add_f64_e32 v[14:15], v[14:15], v[18:19]
	v_add_f64_e32 v[16:17], v[16:17], v[145:146]
	v_mul_f64_e32 v[18:19], v[6:7], v[32:33]
	v_fma_f64 v[20:21], v[4:5], v[26:27], v[20:21]
	v_fma_f64 v[26:27], v[2:3], v[26:27], -v[28:29]
	ds_load_b128 v[2:5], v1 offset:1552
	v_fma_f64 v[24:25], v[6:7], v[30:31], -v[24:25]
	v_add_f64_e32 v[14:15], v[14:15], v[22:23]
	v_add_f64_e32 v[16:17], v[16:17], v[143:144]
	v_fma_f64 v[18:19], v[8:9], v[30:31], v[18:19]
	ds_load_b128 v[6:9], v1 offset:1568
	s_wait_loadcnt_dscnt 0x301
	v_mul_f64_e32 v[22:23], v[2:3], v[40:41]
	v_mul_f64_e32 v[28:29], v[4:5], v[40:41]
	v_add_f64_e32 v[14:15], v[14:15], v[26:27]
	v_add_f64_e32 v[16:17], v[16:17], v[20:21]
	s_wait_loadcnt_dscnt 0x200
	v_mul_f64_e32 v[20:21], v[6:7], v[149:150]
	v_mul_f64_e32 v[26:27], v[8:9], v[149:150]
	v_fma_f64 v[22:23], v[4:5], v[38:39], v[22:23]
	v_fma_f64 v[28:29], v[2:3], v[38:39], -v[28:29]
	ds_load_b128 v[2:5], v1 offset:1584
	v_add_f64_e32 v[14:15], v[14:15], v[24:25]
	v_add_f64_e32 v[16:17], v[16:17], v[18:19]
	v_fma_f64 v[8:9], v[8:9], v[147:148], v[20:21]
	v_fma_f64 v[6:7], v[6:7], v[147:148], -v[26:27]
	s_wait_loadcnt_dscnt 0x100
	v_mul_f64_e32 v[18:19], v[2:3], v[36:37]
	v_mul_f64_e32 v[24:25], v[4:5], v[36:37]
	v_add_f64_e32 v[14:15], v[14:15], v[28:29]
	v_add_f64_e32 v[16:17], v[16:17], v[22:23]
	s_delay_alu instid0(VALU_DEP_4) | instskip(NEXT) | instid1(VALU_DEP_4)
	v_fma_f64 v[4:5], v[4:5], v[34:35], v[18:19]
	v_fma_f64 v[2:3], v[2:3], v[34:35], -v[24:25]
	s_delay_alu instid0(VALU_DEP_4) | instskip(NEXT) | instid1(VALU_DEP_4)
	v_add_f64_e32 v[6:7], v[14:15], v[6:7]
	v_add_f64_e32 v[8:9], v[16:17], v[8:9]
	s_delay_alu instid0(VALU_DEP_2) | instskip(NEXT) | instid1(VALU_DEP_2)
	v_add_f64_e32 v[2:3], v[6:7], v[2:3]
	v_add_f64_e32 v[4:5], v[8:9], v[4:5]
	s_wait_loadcnt 0x0
	s_delay_alu instid0(VALU_DEP_2) | instskip(NEXT) | instid1(VALU_DEP_2)
	v_add_f64_e64 v[2:3], v[10:11], -v[2:3]
	v_add_f64_e64 v[4:5], v[12:13], -v[4:5]
	scratch_store_b128 off, v[2:5], off offset:624
	v_cmpx_lt_u32_e32 37, v0
	s_cbranch_execz .LBB113_239
; %bb.238:
	scratch_load_b128 v[5:8], off, s25
	v_dual_mov_b32 v2, v1 :: v_dual_mov_b32 v3, v1
	v_mov_b32_e32 v4, v1
	scratch_store_b128 off, v[1:4], off offset:608
	s_wait_loadcnt 0x0
	ds_store_b128 v142, v[5:8]
.LBB113_239:
	s_wait_alu 0xfffe
	s_or_b32 exec_lo, exec_lo, s0
	s_wait_storecnt_dscnt 0x0
	s_barrier_signal -1
	s_barrier_wait -1
	global_inv scope:SCOPE_SE
	s_clause 0x7
	scratch_load_b128 v[2:5], off, off offset:624
	scratch_load_b128 v[6:9], off, off offset:640
	;; [unrolled: 1-line block ×8, first 2 shown]
	ds_load_b128 v[34:37], v1 offset:1408
	ds_load_b128 v[143:146], v1 offset:1424
	s_clause 0x1
	scratch_load_b128 v[38:41], off, off offset:752
	scratch_load_b128 v[147:150], off, off offset:768
	s_mov_b32 s0, exec_lo
	s_wait_loadcnt_dscnt 0x901
	v_mul_f64_e32 v[151:152], v[36:37], v[4:5]
	v_mul_f64_e32 v[4:5], v[34:35], v[4:5]
	s_wait_loadcnt_dscnt 0x800
	v_mul_f64_e32 v[153:154], v[143:144], v[8:9]
	v_mul_f64_e32 v[8:9], v[145:146], v[8:9]
	s_delay_alu instid0(VALU_DEP_4) | instskip(NEXT) | instid1(VALU_DEP_4)
	v_fma_f64 v[151:152], v[34:35], v[2:3], -v[151:152]
	v_fma_f64 v[155:156], v[36:37], v[2:3], v[4:5]
	ds_load_b128 v[2:5], v1 offset:1440
	scratch_load_b128 v[34:37], off, off offset:784
	v_fma_f64 v[153:154], v[145:146], v[6:7], v[153:154]
	v_fma_f64 v[159:160], v[143:144], v[6:7], -v[8:9]
	ds_load_b128 v[6:9], v1 offset:1456
	scratch_load_b128 v[143:146], off, off offset:800
	s_wait_loadcnt_dscnt 0x901
	v_mul_f64_e32 v[157:158], v[2:3], v[12:13]
	v_mul_f64_e32 v[12:13], v[4:5], v[12:13]
	s_wait_loadcnt_dscnt 0x800
	v_mul_f64_e32 v[161:162], v[6:7], v[16:17]
	v_mul_f64_e32 v[16:17], v[8:9], v[16:17]
	v_add_f64_e32 v[151:152], 0, v[151:152]
	v_add_f64_e32 v[155:156], 0, v[155:156]
	v_fma_f64 v[157:158], v[4:5], v[10:11], v[157:158]
	v_fma_f64 v[10:11], v[2:3], v[10:11], -v[12:13]
	ds_load_b128 v[2:5], v1 offset:1472
	v_add_f64_e32 v[12:13], v[151:152], v[159:160]
	v_add_f64_e32 v[151:152], v[155:156], v[153:154]
	v_fma_f64 v[155:156], v[8:9], v[14:15], v[161:162]
	v_fma_f64 v[14:15], v[6:7], v[14:15], -v[16:17]
	ds_load_b128 v[6:9], v1 offset:1488
	s_wait_loadcnt_dscnt 0x701
	v_mul_f64_e32 v[153:154], v[2:3], v[20:21]
	v_mul_f64_e32 v[20:21], v[4:5], v[20:21]
	s_wait_loadcnt_dscnt 0x600
	v_mul_f64_e32 v[16:17], v[6:7], v[24:25]
	v_mul_f64_e32 v[24:25], v[8:9], v[24:25]
	v_add_f64_e32 v[10:11], v[12:13], v[10:11]
	v_add_f64_e32 v[12:13], v[151:152], v[157:158]
	v_fma_f64 v[151:152], v[4:5], v[18:19], v[153:154]
	v_fma_f64 v[18:19], v[2:3], v[18:19], -v[20:21]
	ds_load_b128 v[2:5], v1 offset:1504
	v_fma_f64 v[16:17], v[8:9], v[22:23], v[16:17]
	v_fma_f64 v[22:23], v[6:7], v[22:23], -v[24:25]
	ds_load_b128 v[6:9], v1 offset:1520
	s_wait_loadcnt_dscnt 0x501
	v_mul_f64_e32 v[153:154], v[2:3], v[28:29]
	v_mul_f64_e32 v[28:29], v[4:5], v[28:29]
	v_add_f64_e32 v[14:15], v[10:11], v[14:15]
	v_add_f64_e32 v[20:21], v[12:13], v[155:156]
	scratch_load_b128 v[10:13], off, off offset:608
	s_wait_loadcnt_dscnt 0x500
	v_mul_f64_e32 v[24:25], v[8:9], v[32:33]
	v_add_f64_e32 v[14:15], v[14:15], v[18:19]
	v_add_f64_e32 v[18:19], v[20:21], v[151:152]
	v_mul_f64_e32 v[20:21], v[6:7], v[32:33]
	v_fma_f64 v[32:33], v[4:5], v[26:27], v[153:154]
	v_fma_f64 v[26:27], v[2:3], v[26:27], -v[28:29]
	ds_load_b128 v[2:5], v1 offset:1536
	v_fma_f64 v[24:25], v[6:7], v[30:31], -v[24:25]
	v_add_f64_e32 v[14:15], v[14:15], v[22:23]
	v_add_f64_e32 v[16:17], v[18:19], v[16:17]
	v_fma_f64 v[20:21], v[8:9], v[30:31], v[20:21]
	ds_load_b128 v[6:9], v1 offset:1552
	s_wait_loadcnt_dscnt 0x401
	v_mul_f64_e32 v[18:19], v[2:3], v[40:41]
	v_mul_f64_e32 v[22:23], v[4:5], v[40:41]
	s_wait_loadcnt_dscnt 0x300
	v_mul_f64_e32 v[28:29], v[8:9], v[149:150]
	v_add_f64_e32 v[14:15], v[14:15], v[26:27]
	v_add_f64_e32 v[16:17], v[16:17], v[32:33]
	v_mul_f64_e32 v[26:27], v[6:7], v[149:150]
	v_fma_f64 v[18:19], v[4:5], v[38:39], v[18:19]
	v_fma_f64 v[22:23], v[2:3], v[38:39], -v[22:23]
	ds_load_b128 v[2:5], v1 offset:1568
	v_fma_f64 v[28:29], v[6:7], v[147:148], -v[28:29]
	v_add_f64_e32 v[14:15], v[14:15], v[24:25]
	v_add_f64_e32 v[16:17], v[16:17], v[20:21]
	v_fma_f64 v[26:27], v[8:9], v[147:148], v[26:27]
	ds_load_b128 v[6:9], v1 offset:1584
	s_wait_loadcnt_dscnt 0x201
	v_mul_f64_e32 v[20:21], v[2:3], v[36:37]
	v_mul_f64_e32 v[24:25], v[4:5], v[36:37]
	v_add_f64_e32 v[14:15], v[14:15], v[22:23]
	v_add_f64_e32 v[16:17], v[16:17], v[18:19]
	s_wait_loadcnt_dscnt 0x100
	v_mul_f64_e32 v[18:19], v[6:7], v[145:146]
	v_mul_f64_e32 v[22:23], v[8:9], v[145:146]
	v_fma_f64 v[4:5], v[4:5], v[34:35], v[20:21]
	v_fma_f64 v[1:2], v[2:3], v[34:35], -v[24:25]
	v_add_f64_e32 v[14:15], v[14:15], v[28:29]
	v_add_f64_e32 v[16:17], v[16:17], v[26:27]
	v_fma_f64 v[8:9], v[8:9], v[143:144], v[18:19]
	v_fma_f64 v[6:7], v[6:7], v[143:144], -v[22:23]
	s_delay_alu instid0(VALU_DEP_4) | instskip(NEXT) | instid1(VALU_DEP_4)
	v_add_f64_e32 v[1:2], v[14:15], v[1:2]
	v_add_f64_e32 v[3:4], v[16:17], v[4:5]
	s_delay_alu instid0(VALU_DEP_2) | instskip(NEXT) | instid1(VALU_DEP_2)
	v_add_f64_e32 v[1:2], v[1:2], v[6:7]
	v_add_f64_e32 v[3:4], v[3:4], v[8:9]
	s_wait_loadcnt 0x0
	s_delay_alu instid0(VALU_DEP_2) | instskip(NEXT) | instid1(VALU_DEP_2)
	v_add_f64_e64 v[1:2], v[10:11], -v[1:2]
	v_add_f64_e64 v[3:4], v[12:13], -v[3:4]
	scratch_store_b128 off, v[1:4], off offset:608
	v_cmpx_lt_u32_e32 36, v0
	s_cbranch_execz .LBB113_241
; %bb.240:
	scratch_load_b128 v[1:4], off, s26
	v_mov_b32_e32 v5, 0
	s_delay_alu instid0(VALU_DEP_1)
	v_dual_mov_b32 v6, v5 :: v_dual_mov_b32 v7, v5
	v_mov_b32_e32 v8, v5
	scratch_store_b128 off, v[5:8], off offset:592
	s_wait_loadcnt 0x0
	ds_store_b128 v142, v[1:4]
.LBB113_241:
	s_wait_alu 0xfffe
	s_or_b32 exec_lo, exec_lo, s0
	s_wait_storecnt_dscnt 0x0
	s_barrier_signal -1
	s_barrier_wait -1
	global_inv scope:SCOPE_SE
	s_clause 0x7
	scratch_load_b128 v[2:5], off, off offset:608
	scratch_load_b128 v[6:9], off, off offset:624
	;; [unrolled: 1-line block ×8, first 2 shown]
	v_mov_b32_e32 v1, 0
	s_clause 0x1
	scratch_load_b128 v[38:41], off, off offset:736
	scratch_load_b128 v[147:150], off, off offset:752
	s_mov_b32 s0, exec_lo
	ds_load_b128 v[34:37], v1 offset:1392
	ds_load_b128 v[143:146], v1 offset:1408
	s_wait_loadcnt_dscnt 0x901
	v_mul_f64_e32 v[151:152], v[36:37], v[4:5]
	v_mul_f64_e32 v[4:5], v[34:35], v[4:5]
	s_wait_loadcnt_dscnt 0x800
	v_mul_f64_e32 v[153:154], v[143:144], v[8:9]
	v_mul_f64_e32 v[8:9], v[145:146], v[8:9]
	s_delay_alu instid0(VALU_DEP_4) | instskip(NEXT) | instid1(VALU_DEP_4)
	v_fma_f64 v[151:152], v[34:35], v[2:3], -v[151:152]
	v_fma_f64 v[155:156], v[36:37], v[2:3], v[4:5]
	ds_load_b128 v[2:5], v1 offset:1424
	scratch_load_b128 v[34:37], off, off offset:768
	v_fma_f64 v[153:154], v[145:146], v[6:7], v[153:154]
	v_fma_f64 v[159:160], v[143:144], v[6:7], -v[8:9]
	ds_load_b128 v[6:9], v1 offset:1440
	scratch_load_b128 v[143:146], off, off offset:784
	s_wait_loadcnt_dscnt 0x901
	v_mul_f64_e32 v[157:158], v[2:3], v[12:13]
	v_mul_f64_e32 v[12:13], v[4:5], v[12:13]
	s_wait_loadcnt_dscnt 0x800
	v_mul_f64_e32 v[161:162], v[6:7], v[16:17]
	v_mul_f64_e32 v[16:17], v[8:9], v[16:17]
	v_add_f64_e32 v[151:152], 0, v[151:152]
	v_add_f64_e32 v[155:156], 0, v[155:156]
	v_fma_f64 v[157:158], v[4:5], v[10:11], v[157:158]
	v_fma_f64 v[163:164], v[2:3], v[10:11], -v[12:13]
	ds_load_b128 v[2:5], v1 offset:1456
	scratch_load_b128 v[10:13], off, off offset:800
	v_add_f64_e32 v[151:152], v[151:152], v[159:160]
	v_add_f64_e32 v[153:154], v[155:156], v[153:154]
	v_fma_f64 v[159:160], v[8:9], v[14:15], v[161:162]
	v_fma_f64 v[14:15], v[6:7], v[14:15], -v[16:17]
	ds_load_b128 v[6:9], v1 offset:1472
	s_wait_loadcnt_dscnt 0x801
	v_mul_f64_e32 v[155:156], v[2:3], v[20:21]
	v_mul_f64_e32 v[20:21], v[4:5], v[20:21]
	v_add_f64_e32 v[16:17], v[151:152], v[163:164]
	v_add_f64_e32 v[151:152], v[153:154], v[157:158]
	s_wait_loadcnt_dscnt 0x700
	v_mul_f64_e32 v[153:154], v[6:7], v[24:25]
	v_mul_f64_e32 v[24:25], v[8:9], v[24:25]
	v_fma_f64 v[155:156], v[4:5], v[18:19], v[155:156]
	v_fma_f64 v[18:19], v[2:3], v[18:19], -v[20:21]
	ds_load_b128 v[2:5], v1 offset:1488
	v_add_f64_e32 v[14:15], v[16:17], v[14:15]
	v_add_f64_e32 v[16:17], v[151:152], v[159:160]
	v_fma_f64 v[151:152], v[8:9], v[22:23], v[153:154]
	v_fma_f64 v[22:23], v[6:7], v[22:23], -v[24:25]
	ds_load_b128 v[6:9], v1 offset:1504
	s_wait_loadcnt_dscnt 0x601
	v_mul_f64_e32 v[20:21], v[2:3], v[28:29]
	v_mul_f64_e32 v[28:29], v[4:5], v[28:29]
	s_wait_loadcnt_dscnt 0x500
	v_mul_f64_e32 v[153:154], v[6:7], v[32:33]
	v_mul_f64_e32 v[32:33], v[8:9], v[32:33]
	v_add_f64_e32 v[18:19], v[14:15], v[18:19]
	v_add_f64_e32 v[24:25], v[16:17], v[155:156]
	scratch_load_b128 v[14:17], off, off offset:592
	v_fma_f64 v[20:21], v[4:5], v[26:27], v[20:21]
	v_fma_f64 v[26:27], v[2:3], v[26:27], -v[28:29]
	ds_load_b128 v[2:5], v1 offset:1520
	s_wait_loadcnt_dscnt 0x500
	v_mul_f64_e32 v[28:29], v[4:5], v[40:41]
	v_add_f64_e32 v[18:19], v[18:19], v[22:23]
	v_add_f64_e32 v[22:23], v[24:25], v[151:152]
	v_mul_f64_e32 v[24:25], v[2:3], v[40:41]
	v_fma_f64 v[40:41], v[8:9], v[30:31], v[153:154]
	v_fma_f64 v[30:31], v[6:7], v[30:31], -v[32:33]
	ds_load_b128 v[6:9], v1 offset:1536
	v_fma_f64 v[28:29], v[2:3], v[38:39], -v[28:29]
	v_add_f64_e32 v[18:19], v[18:19], v[26:27]
	v_add_f64_e32 v[20:21], v[22:23], v[20:21]
	v_fma_f64 v[24:25], v[4:5], v[38:39], v[24:25]
	ds_load_b128 v[2:5], v1 offset:1552
	s_wait_loadcnt_dscnt 0x401
	v_mul_f64_e32 v[22:23], v[6:7], v[149:150]
	v_mul_f64_e32 v[26:27], v[8:9], v[149:150]
	v_add_f64_e32 v[18:19], v[18:19], v[30:31]
	v_add_f64_e32 v[20:21], v[20:21], v[40:41]
	s_delay_alu instid0(VALU_DEP_4) | instskip(NEXT) | instid1(VALU_DEP_4)
	v_fma_f64 v[22:23], v[8:9], v[147:148], v[22:23]
	v_fma_f64 v[26:27], v[6:7], v[147:148], -v[26:27]
	ds_load_b128 v[6:9], v1 offset:1568
	s_wait_loadcnt_dscnt 0x301
	v_mul_f64_e32 v[30:31], v[2:3], v[36:37]
	v_mul_f64_e32 v[32:33], v[4:5], v[36:37]
	v_add_f64_e32 v[18:19], v[18:19], v[28:29]
	v_add_f64_e32 v[20:21], v[20:21], v[24:25]
	s_delay_alu instid0(VALU_DEP_4) | instskip(NEXT) | instid1(VALU_DEP_4)
	v_fma_f64 v[30:31], v[4:5], v[34:35], v[30:31]
	v_fma_f64 v[32:33], v[2:3], v[34:35], -v[32:33]
	ds_load_b128 v[2:5], v1 offset:1584
	s_wait_loadcnt_dscnt 0x201
	v_mul_f64_e32 v[24:25], v[6:7], v[145:146]
	v_mul_f64_e32 v[28:29], v[8:9], v[145:146]
	v_add_f64_e32 v[18:19], v[18:19], v[26:27]
	v_add_f64_e32 v[20:21], v[20:21], v[22:23]
	s_wait_loadcnt_dscnt 0x100
	v_mul_f64_e32 v[22:23], v[2:3], v[12:13]
	v_mul_f64_e32 v[12:13], v[4:5], v[12:13]
	v_fma_f64 v[8:9], v[8:9], v[143:144], v[24:25]
	v_fma_f64 v[6:7], v[6:7], v[143:144], -v[28:29]
	v_add_f64_e32 v[18:19], v[18:19], v[32:33]
	v_add_f64_e32 v[20:21], v[20:21], v[30:31]
	v_fma_f64 v[4:5], v[4:5], v[10:11], v[22:23]
	v_fma_f64 v[2:3], v[2:3], v[10:11], -v[12:13]
	s_delay_alu instid0(VALU_DEP_4) | instskip(NEXT) | instid1(VALU_DEP_4)
	v_add_f64_e32 v[6:7], v[18:19], v[6:7]
	v_add_f64_e32 v[8:9], v[20:21], v[8:9]
	s_delay_alu instid0(VALU_DEP_2) | instskip(NEXT) | instid1(VALU_DEP_2)
	v_add_f64_e32 v[2:3], v[6:7], v[2:3]
	v_add_f64_e32 v[4:5], v[8:9], v[4:5]
	s_wait_loadcnt 0x0
	s_delay_alu instid0(VALU_DEP_2) | instskip(NEXT) | instid1(VALU_DEP_2)
	v_add_f64_e64 v[2:3], v[14:15], -v[2:3]
	v_add_f64_e64 v[4:5], v[16:17], -v[4:5]
	scratch_store_b128 off, v[2:5], off offset:592
	v_cmpx_lt_u32_e32 35, v0
	s_cbranch_execz .LBB113_243
; %bb.242:
	scratch_load_b128 v[5:8], off, s27
	v_dual_mov_b32 v2, v1 :: v_dual_mov_b32 v3, v1
	v_mov_b32_e32 v4, v1
	scratch_store_b128 off, v[1:4], off offset:576
	s_wait_loadcnt 0x0
	ds_store_b128 v142, v[5:8]
.LBB113_243:
	s_wait_alu 0xfffe
	s_or_b32 exec_lo, exec_lo, s0
	s_wait_storecnt_dscnt 0x0
	s_barrier_signal -1
	s_barrier_wait -1
	global_inv scope:SCOPE_SE
	s_clause 0x7
	scratch_load_b128 v[2:5], off, off offset:592
	scratch_load_b128 v[6:9], off, off offset:608
	;; [unrolled: 1-line block ×8, first 2 shown]
	ds_load_b128 v[34:37], v1 offset:1376
	ds_load_b128 v[143:146], v1 offset:1392
	s_clause 0x1
	scratch_load_b128 v[38:41], off, off offset:720
	scratch_load_b128 v[147:150], off, off offset:736
	s_mov_b32 s0, exec_lo
	s_wait_loadcnt_dscnt 0x901
	v_mul_f64_e32 v[151:152], v[36:37], v[4:5]
	v_mul_f64_e32 v[4:5], v[34:35], v[4:5]
	s_wait_loadcnt_dscnt 0x800
	v_mul_f64_e32 v[153:154], v[143:144], v[8:9]
	v_mul_f64_e32 v[8:9], v[145:146], v[8:9]
	s_delay_alu instid0(VALU_DEP_4) | instskip(NEXT) | instid1(VALU_DEP_4)
	v_fma_f64 v[151:152], v[34:35], v[2:3], -v[151:152]
	v_fma_f64 v[155:156], v[36:37], v[2:3], v[4:5]
	ds_load_b128 v[2:5], v1 offset:1408
	scratch_load_b128 v[34:37], off, off offset:752
	v_fma_f64 v[153:154], v[145:146], v[6:7], v[153:154]
	v_fma_f64 v[159:160], v[143:144], v[6:7], -v[8:9]
	ds_load_b128 v[6:9], v1 offset:1424
	scratch_load_b128 v[143:146], off, off offset:768
	s_wait_loadcnt_dscnt 0x901
	v_mul_f64_e32 v[157:158], v[2:3], v[12:13]
	v_mul_f64_e32 v[12:13], v[4:5], v[12:13]
	s_wait_loadcnt_dscnt 0x800
	v_mul_f64_e32 v[161:162], v[6:7], v[16:17]
	v_mul_f64_e32 v[16:17], v[8:9], v[16:17]
	v_add_f64_e32 v[151:152], 0, v[151:152]
	v_add_f64_e32 v[155:156], 0, v[155:156]
	v_fma_f64 v[157:158], v[4:5], v[10:11], v[157:158]
	v_fma_f64 v[163:164], v[2:3], v[10:11], -v[12:13]
	ds_load_b128 v[2:5], v1 offset:1440
	scratch_load_b128 v[10:13], off, off offset:784
	v_add_f64_e32 v[151:152], v[151:152], v[159:160]
	v_add_f64_e32 v[153:154], v[155:156], v[153:154]
	v_fma_f64 v[159:160], v[8:9], v[14:15], v[161:162]
	v_fma_f64 v[161:162], v[6:7], v[14:15], -v[16:17]
	ds_load_b128 v[6:9], v1 offset:1456
	scratch_load_b128 v[14:17], off, off offset:800
	s_wait_loadcnt_dscnt 0x901
	v_mul_f64_e32 v[155:156], v[2:3], v[20:21]
	v_mul_f64_e32 v[20:21], v[4:5], v[20:21]
	v_add_f64_e32 v[151:152], v[151:152], v[163:164]
	v_add_f64_e32 v[153:154], v[153:154], v[157:158]
	s_wait_loadcnt_dscnt 0x800
	v_mul_f64_e32 v[157:158], v[6:7], v[24:25]
	v_mul_f64_e32 v[24:25], v[8:9], v[24:25]
	v_fma_f64 v[155:156], v[4:5], v[18:19], v[155:156]
	v_fma_f64 v[18:19], v[2:3], v[18:19], -v[20:21]
	ds_load_b128 v[2:5], v1 offset:1472
	v_add_f64_e32 v[20:21], v[151:152], v[161:162]
	v_add_f64_e32 v[151:152], v[153:154], v[159:160]
	v_fma_f64 v[157:158], v[8:9], v[22:23], v[157:158]
	v_fma_f64 v[22:23], v[6:7], v[22:23], -v[24:25]
	ds_load_b128 v[6:9], v1 offset:1488
	s_wait_loadcnt_dscnt 0x701
	v_mul_f64_e32 v[153:154], v[2:3], v[28:29]
	v_mul_f64_e32 v[28:29], v[4:5], v[28:29]
	s_wait_loadcnt_dscnt 0x600
	v_mul_f64_e32 v[24:25], v[6:7], v[32:33]
	v_mul_f64_e32 v[32:33], v[8:9], v[32:33]
	v_add_f64_e32 v[18:19], v[20:21], v[18:19]
	v_add_f64_e32 v[20:21], v[151:152], v[155:156]
	v_fma_f64 v[151:152], v[4:5], v[26:27], v[153:154]
	v_fma_f64 v[26:27], v[2:3], v[26:27], -v[28:29]
	ds_load_b128 v[2:5], v1 offset:1504
	v_fma_f64 v[24:25], v[8:9], v[30:31], v[24:25]
	v_fma_f64 v[30:31], v[6:7], v[30:31], -v[32:33]
	ds_load_b128 v[6:9], v1 offset:1520
	v_add_f64_e32 v[22:23], v[18:19], v[22:23]
	v_add_f64_e32 v[28:29], v[20:21], v[157:158]
	scratch_load_b128 v[18:21], off, off offset:576
	s_wait_loadcnt_dscnt 0x601
	v_mul_f64_e32 v[153:154], v[2:3], v[40:41]
	v_mul_f64_e32 v[40:41], v[4:5], v[40:41]
	s_wait_loadcnt_dscnt 0x500
	v_mul_f64_e32 v[32:33], v[8:9], v[149:150]
	v_add_f64_e32 v[22:23], v[22:23], v[26:27]
	v_add_f64_e32 v[26:27], v[28:29], v[151:152]
	v_mul_f64_e32 v[28:29], v[6:7], v[149:150]
	v_fma_f64 v[149:150], v[4:5], v[38:39], v[153:154]
	v_fma_f64 v[38:39], v[2:3], v[38:39], -v[40:41]
	ds_load_b128 v[2:5], v1 offset:1536
	v_fma_f64 v[32:33], v[6:7], v[147:148], -v[32:33]
	v_add_f64_e32 v[22:23], v[22:23], v[30:31]
	v_add_f64_e32 v[24:25], v[26:27], v[24:25]
	v_fma_f64 v[28:29], v[8:9], v[147:148], v[28:29]
	ds_load_b128 v[6:9], v1 offset:1552
	s_wait_loadcnt_dscnt 0x401
	v_mul_f64_e32 v[26:27], v[2:3], v[36:37]
	v_mul_f64_e32 v[30:31], v[4:5], v[36:37]
	s_wait_loadcnt_dscnt 0x300
	v_mul_f64_e32 v[36:37], v[6:7], v[145:146]
	v_add_f64_e32 v[22:23], v[22:23], v[38:39]
	v_add_f64_e32 v[24:25], v[24:25], v[149:150]
	v_mul_f64_e32 v[38:39], v[8:9], v[145:146]
	v_fma_f64 v[26:27], v[4:5], v[34:35], v[26:27]
	v_fma_f64 v[30:31], v[2:3], v[34:35], -v[30:31]
	ds_load_b128 v[2:5], v1 offset:1568
	v_add_f64_e32 v[22:23], v[22:23], v[32:33]
	v_add_f64_e32 v[24:25], v[24:25], v[28:29]
	v_fma_f64 v[32:33], v[8:9], v[143:144], v[36:37]
	v_fma_f64 v[34:35], v[6:7], v[143:144], -v[38:39]
	ds_load_b128 v[6:9], v1 offset:1584
	s_wait_loadcnt_dscnt 0x201
	v_mul_f64_e32 v[28:29], v[2:3], v[12:13]
	v_mul_f64_e32 v[12:13], v[4:5], v[12:13]
	v_add_f64_e32 v[22:23], v[22:23], v[30:31]
	v_add_f64_e32 v[24:25], v[24:25], v[26:27]
	s_wait_loadcnt_dscnt 0x100
	v_mul_f64_e32 v[26:27], v[6:7], v[16:17]
	v_mul_f64_e32 v[16:17], v[8:9], v[16:17]
	v_fma_f64 v[4:5], v[4:5], v[10:11], v[28:29]
	v_fma_f64 v[1:2], v[2:3], v[10:11], -v[12:13]
	v_add_f64_e32 v[10:11], v[22:23], v[34:35]
	v_add_f64_e32 v[12:13], v[24:25], v[32:33]
	v_fma_f64 v[8:9], v[8:9], v[14:15], v[26:27]
	v_fma_f64 v[6:7], v[6:7], v[14:15], -v[16:17]
	s_delay_alu instid0(VALU_DEP_4) | instskip(NEXT) | instid1(VALU_DEP_4)
	v_add_f64_e32 v[1:2], v[10:11], v[1:2]
	v_add_f64_e32 v[3:4], v[12:13], v[4:5]
	s_delay_alu instid0(VALU_DEP_2) | instskip(NEXT) | instid1(VALU_DEP_2)
	v_add_f64_e32 v[1:2], v[1:2], v[6:7]
	v_add_f64_e32 v[3:4], v[3:4], v[8:9]
	s_wait_loadcnt 0x0
	s_delay_alu instid0(VALU_DEP_2) | instskip(NEXT) | instid1(VALU_DEP_2)
	v_add_f64_e64 v[1:2], v[18:19], -v[1:2]
	v_add_f64_e64 v[3:4], v[20:21], -v[3:4]
	scratch_store_b128 off, v[1:4], off offset:576
	v_cmpx_lt_u32_e32 34, v0
	s_cbranch_execz .LBB113_245
; %bb.244:
	scratch_load_b128 v[1:4], off, s28
	v_mov_b32_e32 v5, 0
	s_delay_alu instid0(VALU_DEP_1)
	v_dual_mov_b32 v6, v5 :: v_dual_mov_b32 v7, v5
	v_mov_b32_e32 v8, v5
	scratch_store_b128 off, v[5:8], off offset:560
	s_wait_loadcnt 0x0
	ds_store_b128 v142, v[1:4]
.LBB113_245:
	s_wait_alu 0xfffe
	s_or_b32 exec_lo, exec_lo, s0
	s_wait_storecnt_dscnt 0x0
	s_barrier_signal -1
	s_barrier_wait -1
	global_inv scope:SCOPE_SE
	s_clause 0x7
	scratch_load_b128 v[2:5], off, off offset:576
	scratch_load_b128 v[6:9], off, off offset:592
	;; [unrolled: 1-line block ×8, first 2 shown]
	v_mov_b32_e32 v1, 0
	s_clause 0x1
	scratch_load_b128 v[38:41], off, off offset:704
	scratch_load_b128 v[147:150], off, off offset:720
	s_mov_b32 s0, exec_lo
	ds_load_b128 v[34:37], v1 offset:1360
	ds_load_b128 v[143:146], v1 offset:1376
	s_wait_loadcnt_dscnt 0x901
	v_mul_f64_e32 v[151:152], v[36:37], v[4:5]
	v_mul_f64_e32 v[4:5], v[34:35], v[4:5]
	s_wait_loadcnt_dscnt 0x800
	v_mul_f64_e32 v[153:154], v[143:144], v[8:9]
	v_mul_f64_e32 v[8:9], v[145:146], v[8:9]
	s_delay_alu instid0(VALU_DEP_4) | instskip(NEXT) | instid1(VALU_DEP_4)
	v_fma_f64 v[151:152], v[34:35], v[2:3], -v[151:152]
	v_fma_f64 v[155:156], v[36:37], v[2:3], v[4:5]
	ds_load_b128 v[2:5], v1 offset:1392
	scratch_load_b128 v[34:37], off, off offset:736
	v_fma_f64 v[153:154], v[145:146], v[6:7], v[153:154]
	v_fma_f64 v[159:160], v[143:144], v[6:7], -v[8:9]
	ds_load_b128 v[6:9], v1 offset:1408
	scratch_load_b128 v[143:146], off, off offset:752
	s_wait_loadcnt_dscnt 0x901
	v_mul_f64_e32 v[157:158], v[2:3], v[12:13]
	v_mul_f64_e32 v[12:13], v[4:5], v[12:13]
	s_wait_loadcnt_dscnt 0x800
	v_mul_f64_e32 v[161:162], v[6:7], v[16:17]
	v_mul_f64_e32 v[16:17], v[8:9], v[16:17]
	v_add_f64_e32 v[151:152], 0, v[151:152]
	v_add_f64_e32 v[155:156], 0, v[155:156]
	v_fma_f64 v[157:158], v[4:5], v[10:11], v[157:158]
	v_fma_f64 v[163:164], v[2:3], v[10:11], -v[12:13]
	ds_load_b128 v[2:5], v1 offset:1424
	scratch_load_b128 v[10:13], off, off offset:768
	v_add_f64_e32 v[151:152], v[151:152], v[159:160]
	v_add_f64_e32 v[153:154], v[155:156], v[153:154]
	v_fma_f64 v[159:160], v[8:9], v[14:15], v[161:162]
	v_fma_f64 v[161:162], v[6:7], v[14:15], -v[16:17]
	ds_load_b128 v[6:9], v1 offset:1440
	scratch_load_b128 v[14:17], off, off offset:784
	s_wait_loadcnt_dscnt 0x901
	v_mul_f64_e32 v[155:156], v[2:3], v[20:21]
	v_mul_f64_e32 v[20:21], v[4:5], v[20:21]
	v_add_f64_e32 v[151:152], v[151:152], v[163:164]
	v_add_f64_e32 v[153:154], v[153:154], v[157:158]
	s_wait_loadcnt_dscnt 0x800
	v_mul_f64_e32 v[157:158], v[6:7], v[24:25]
	v_mul_f64_e32 v[24:25], v[8:9], v[24:25]
	v_fma_f64 v[155:156], v[4:5], v[18:19], v[155:156]
	v_fma_f64 v[163:164], v[2:3], v[18:19], -v[20:21]
	ds_load_b128 v[2:5], v1 offset:1456
	scratch_load_b128 v[18:21], off, off offset:800
	v_add_f64_e32 v[151:152], v[151:152], v[161:162]
	v_add_f64_e32 v[153:154], v[153:154], v[159:160]
	v_fma_f64 v[157:158], v[8:9], v[22:23], v[157:158]
	v_fma_f64 v[22:23], v[6:7], v[22:23], -v[24:25]
	ds_load_b128 v[6:9], v1 offset:1472
	s_wait_loadcnt_dscnt 0x801
	v_mul_f64_e32 v[159:160], v[2:3], v[28:29]
	v_mul_f64_e32 v[28:29], v[4:5], v[28:29]
	v_add_f64_e32 v[24:25], v[151:152], v[163:164]
	v_add_f64_e32 v[151:152], v[153:154], v[155:156]
	s_wait_loadcnt_dscnt 0x700
	v_mul_f64_e32 v[153:154], v[6:7], v[32:33]
	v_mul_f64_e32 v[32:33], v[8:9], v[32:33]
	v_fma_f64 v[155:156], v[4:5], v[26:27], v[159:160]
	v_fma_f64 v[26:27], v[2:3], v[26:27], -v[28:29]
	ds_load_b128 v[2:5], v1 offset:1488
	v_add_f64_e32 v[22:23], v[24:25], v[22:23]
	v_add_f64_e32 v[24:25], v[151:152], v[157:158]
	v_fma_f64 v[151:152], v[8:9], v[30:31], v[153:154]
	v_fma_f64 v[30:31], v[6:7], v[30:31], -v[32:33]
	ds_load_b128 v[6:9], v1 offset:1504
	s_wait_loadcnt_dscnt 0x500
	v_mul_f64_e32 v[153:154], v[6:7], v[149:150]
	v_mul_f64_e32 v[149:150], v[8:9], v[149:150]
	v_add_f64_e32 v[26:27], v[22:23], v[26:27]
	v_add_f64_e32 v[32:33], v[24:25], v[155:156]
	scratch_load_b128 v[22:25], off, off offset:560
	v_mul_f64_e32 v[28:29], v[2:3], v[40:41]
	v_mul_f64_e32 v[40:41], v[4:5], v[40:41]
	v_add_f64_e32 v[26:27], v[26:27], v[30:31]
	v_add_f64_e32 v[30:31], v[32:33], v[151:152]
	s_delay_alu instid0(VALU_DEP_4) | instskip(NEXT) | instid1(VALU_DEP_4)
	v_fma_f64 v[28:29], v[4:5], v[38:39], v[28:29]
	v_fma_f64 v[38:39], v[2:3], v[38:39], -v[40:41]
	ds_load_b128 v[2:5], v1 offset:1520
	v_fma_f64 v[40:41], v[8:9], v[147:148], v[153:154]
	v_fma_f64 v[147:148], v[6:7], v[147:148], -v[149:150]
	ds_load_b128 v[6:9], v1 offset:1536
	s_wait_loadcnt_dscnt 0x501
	v_mul_f64_e32 v[32:33], v[2:3], v[36:37]
	v_mul_f64_e32 v[36:37], v[4:5], v[36:37]
	v_add_f64_e32 v[28:29], v[30:31], v[28:29]
	v_add_f64_e32 v[26:27], v[26:27], v[38:39]
	s_wait_loadcnt_dscnt 0x400
	v_mul_f64_e32 v[30:31], v[6:7], v[145:146]
	v_mul_f64_e32 v[38:39], v[8:9], v[145:146]
	v_fma_f64 v[32:33], v[4:5], v[34:35], v[32:33]
	v_fma_f64 v[34:35], v[2:3], v[34:35], -v[36:37]
	ds_load_b128 v[2:5], v1 offset:1552
	v_add_f64_e32 v[28:29], v[28:29], v[40:41]
	v_add_f64_e32 v[26:27], v[26:27], v[147:148]
	v_fma_f64 v[30:31], v[8:9], v[143:144], v[30:31]
	v_fma_f64 v[38:39], v[6:7], v[143:144], -v[38:39]
	ds_load_b128 v[6:9], v1 offset:1568
	s_wait_loadcnt_dscnt 0x301
	v_mul_f64_e32 v[36:37], v[2:3], v[12:13]
	v_mul_f64_e32 v[12:13], v[4:5], v[12:13]
	v_add_f64_e32 v[28:29], v[28:29], v[32:33]
	v_add_f64_e32 v[26:27], v[26:27], v[34:35]
	s_wait_loadcnt_dscnt 0x200
	v_mul_f64_e32 v[32:33], v[6:7], v[16:17]
	v_mul_f64_e32 v[16:17], v[8:9], v[16:17]
	v_fma_f64 v[34:35], v[4:5], v[10:11], v[36:37]
	v_fma_f64 v[10:11], v[2:3], v[10:11], -v[12:13]
	ds_load_b128 v[2:5], v1 offset:1584
	v_add_f64_e32 v[12:13], v[26:27], v[38:39]
	v_add_f64_e32 v[26:27], v[28:29], v[30:31]
	s_wait_loadcnt_dscnt 0x100
	v_mul_f64_e32 v[28:29], v[2:3], v[20:21]
	v_mul_f64_e32 v[20:21], v[4:5], v[20:21]
	v_fma_f64 v[8:9], v[8:9], v[14:15], v[32:33]
	v_fma_f64 v[6:7], v[6:7], v[14:15], -v[16:17]
	v_add_f64_e32 v[10:11], v[12:13], v[10:11]
	v_add_f64_e32 v[12:13], v[26:27], v[34:35]
	v_fma_f64 v[4:5], v[4:5], v[18:19], v[28:29]
	v_fma_f64 v[2:3], v[2:3], v[18:19], -v[20:21]
	s_delay_alu instid0(VALU_DEP_4) | instskip(NEXT) | instid1(VALU_DEP_4)
	v_add_f64_e32 v[6:7], v[10:11], v[6:7]
	v_add_f64_e32 v[8:9], v[12:13], v[8:9]
	s_delay_alu instid0(VALU_DEP_2) | instskip(NEXT) | instid1(VALU_DEP_2)
	v_add_f64_e32 v[2:3], v[6:7], v[2:3]
	v_add_f64_e32 v[4:5], v[8:9], v[4:5]
	s_wait_loadcnt 0x0
	s_delay_alu instid0(VALU_DEP_2) | instskip(NEXT) | instid1(VALU_DEP_2)
	v_add_f64_e64 v[2:3], v[22:23], -v[2:3]
	v_add_f64_e64 v[4:5], v[24:25], -v[4:5]
	scratch_store_b128 off, v[2:5], off offset:560
	v_cmpx_lt_u32_e32 33, v0
	s_cbranch_execz .LBB113_247
; %bb.246:
	scratch_load_b128 v[5:8], off, s29
	v_dual_mov_b32 v2, v1 :: v_dual_mov_b32 v3, v1
	v_mov_b32_e32 v4, v1
	scratch_store_b128 off, v[1:4], off offset:544
	s_wait_loadcnt 0x0
	ds_store_b128 v142, v[5:8]
.LBB113_247:
	s_wait_alu 0xfffe
	s_or_b32 exec_lo, exec_lo, s0
	s_wait_storecnt_dscnt 0x0
	s_barrier_signal -1
	s_barrier_wait -1
	global_inv scope:SCOPE_SE
	s_clause 0x7
	scratch_load_b128 v[2:5], off, off offset:560
	scratch_load_b128 v[6:9], off, off offset:576
	;; [unrolled: 1-line block ×8, first 2 shown]
	ds_load_b128 v[34:37], v1 offset:1344
	ds_load_b128 v[143:146], v1 offset:1360
	s_clause 0x1
	scratch_load_b128 v[38:41], off, off offset:688
	scratch_load_b128 v[147:150], off, off offset:704
	s_mov_b32 s0, exec_lo
	s_wait_loadcnt_dscnt 0x901
	v_mul_f64_e32 v[151:152], v[36:37], v[4:5]
	v_mul_f64_e32 v[4:5], v[34:35], v[4:5]
	s_wait_loadcnt_dscnt 0x800
	v_mul_f64_e32 v[153:154], v[143:144], v[8:9]
	v_mul_f64_e32 v[8:9], v[145:146], v[8:9]
	s_delay_alu instid0(VALU_DEP_4) | instskip(NEXT) | instid1(VALU_DEP_4)
	v_fma_f64 v[151:152], v[34:35], v[2:3], -v[151:152]
	v_fma_f64 v[155:156], v[36:37], v[2:3], v[4:5]
	ds_load_b128 v[2:5], v1 offset:1376
	scratch_load_b128 v[34:37], off, off offset:720
	v_fma_f64 v[153:154], v[145:146], v[6:7], v[153:154]
	v_fma_f64 v[159:160], v[143:144], v[6:7], -v[8:9]
	ds_load_b128 v[6:9], v1 offset:1392
	scratch_load_b128 v[143:146], off, off offset:736
	s_wait_loadcnt_dscnt 0x901
	v_mul_f64_e32 v[157:158], v[2:3], v[12:13]
	v_mul_f64_e32 v[12:13], v[4:5], v[12:13]
	s_wait_loadcnt_dscnt 0x800
	v_mul_f64_e32 v[161:162], v[6:7], v[16:17]
	v_mul_f64_e32 v[16:17], v[8:9], v[16:17]
	v_add_f64_e32 v[151:152], 0, v[151:152]
	v_add_f64_e32 v[155:156], 0, v[155:156]
	v_fma_f64 v[157:158], v[4:5], v[10:11], v[157:158]
	v_fma_f64 v[163:164], v[2:3], v[10:11], -v[12:13]
	ds_load_b128 v[2:5], v1 offset:1408
	scratch_load_b128 v[10:13], off, off offset:752
	v_add_f64_e32 v[151:152], v[151:152], v[159:160]
	v_add_f64_e32 v[153:154], v[155:156], v[153:154]
	v_fma_f64 v[159:160], v[8:9], v[14:15], v[161:162]
	v_fma_f64 v[161:162], v[6:7], v[14:15], -v[16:17]
	ds_load_b128 v[6:9], v1 offset:1424
	scratch_load_b128 v[14:17], off, off offset:768
	s_wait_loadcnt_dscnt 0x901
	v_mul_f64_e32 v[155:156], v[2:3], v[20:21]
	v_mul_f64_e32 v[20:21], v[4:5], v[20:21]
	v_add_f64_e32 v[151:152], v[151:152], v[163:164]
	v_add_f64_e32 v[153:154], v[153:154], v[157:158]
	s_wait_loadcnt_dscnt 0x800
	v_mul_f64_e32 v[157:158], v[6:7], v[24:25]
	v_mul_f64_e32 v[24:25], v[8:9], v[24:25]
	v_fma_f64 v[155:156], v[4:5], v[18:19], v[155:156]
	v_fma_f64 v[163:164], v[2:3], v[18:19], -v[20:21]
	ds_load_b128 v[2:5], v1 offset:1440
	scratch_load_b128 v[18:21], off, off offset:784
	v_add_f64_e32 v[151:152], v[151:152], v[161:162]
	v_add_f64_e32 v[153:154], v[153:154], v[159:160]
	v_fma_f64 v[157:158], v[8:9], v[22:23], v[157:158]
	v_fma_f64 v[161:162], v[6:7], v[22:23], -v[24:25]
	ds_load_b128 v[6:9], v1 offset:1456
	s_wait_loadcnt_dscnt 0x801
	v_mul_f64_e32 v[159:160], v[2:3], v[28:29]
	v_mul_f64_e32 v[28:29], v[4:5], v[28:29]
	scratch_load_b128 v[22:25], off, off offset:800
	v_add_f64_e32 v[151:152], v[151:152], v[163:164]
	v_add_f64_e32 v[153:154], v[153:154], v[155:156]
	s_wait_loadcnt_dscnt 0x800
	v_mul_f64_e32 v[155:156], v[6:7], v[32:33]
	v_mul_f64_e32 v[32:33], v[8:9], v[32:33]
	v_fma_f64 v[159:160], v[4:5], v[26:27], v[159:160]
	v_fma_f64 v[26:27], v[2:3], v[26:27], -v[28:29]
	ds_load_b128 v[2:5], v1 offset:1472
	v_add_f64_e32 v[28:29], v[151:152], v[161:162]
	v_add_f64_e32 v[151:152], v[153:154], v[157:158]
	v_fma_f64 v[155:156], v[8:9], v[30:31], v[155:156]
	v_fma_f64 v[30:31], v[6:7], v[30:31], -v[32:33]
	ds_load_b128 v[6:9], v1 offset:1488
	s_wait_loadcnt_dscnt 0x701
	v_mul_f64_e32 v[153:154], v[2:3], v[40:41]
	v_mul_f64_e32 v[40:41], v[4:5], v[40:41]
	v_add_f64_e32 v[26:27], v[28:29], v[26:27]
	v_add_f64_e32 v[28:29], v[151:152], v[159:160]
	s_delay_alu instid0(VALU_DEP_4) | instskip(NEXT) | instid1(VALU_DEP_4)
	v_fma_f64 v[151:152], v[4:5], v[38:39], v[153:154]
	v_fma_f64 v[38:39], v[2:3], v[38:39], -v[40:41]
	ds_load_b128 v[2:5], v1 offset:1504
	v_add_f64_e32 v[30:31], v[26:27], v[30:31]
	v_add_f64_e32 v[40:41], v[28:29], v[155:156]
	scratch_load_b128 v[26:29], off, off offset:544
	s_wait_loadcnt_dscnt 0x701
	v_mul_f64_e32 v[32:33], v[6:7], v[149:150]
	v_mul_f64_e32 v[149:150], v[8:9], v[149:150]
	v_add_f64_e32 v[30:31], v[30:31], v[38:39]
	v_add_f64_e32 v[38:39], v[40:41], v[151:152]
	s_delay_alu instid0(VALU_DEP_4) | instskip(NEXT) | instid1(VALU_DEP_4)
	v_fma_f64 v[32:33], v[8:9], v[147:148], v[32:33]
	v_fma_f64 v[147:148], v[6:7], v[147:148], -v[149:150]
	ds_load_b128 v[6:9], v1 offset:1520
	s_wait_loadcnt_dscnt 0x601
	v_mul_f64_e32 v[153:154], v[2:3], v[36:37]
	v_mul_f64_e32 v[36:37], v[4:5], v[36:37]
	s_wait_loadcnt_dscnt 0x500
	v_mul_f64_e32 v[40:41], v[6:7], v[145:146]
	v_mul_f64_e32 v[145:146], v[8:9], v[145:146]
	v_add_f64_e32 v[32:33], v[38:39], v[32:33]
	v_add_f64_e32 v[30:31], v[30:31], v[147:148]
	v_fma_f64 v[149:150], v[4:5], v[34:35], v[153:154]
	v_fma_f64 v[34:35], v[2:3], v[34:35], -v[36:37]
	ds_load_b128 v[2:5], v1 offset:1536
	v_fma_f64 v[38:39], v[8:9], v[143:144], v[40:41]
	v_fma_f64 v[40:41], v[6:7], v[143:144], -v[145:146]
	ds_load_b128 v[6:9], v1 offset:1552
	s_wait_loadcnt_dscnt 0x401
	v_mul_f64_e32 v[36:37], v[2:3], v[12:13]
	v_mul_f64_e32 v[12:13], v[4:5], v[12:13]
	v_add_f64_e32 v[32:33], v[32:33], v[149:150]
	v_add_f64_e32 v[30:31], v[30:31], v[34:35]
	s_wait_loadcnt_dscnt 0x300
	v_mul_f64_e32 v[34:35], v[6:7], v[16:17]
	v_mul_f64_e32 v[16:17], v[8:9], v[16:17]
	v_fma_f64 v[36:37], v[4:5], v[10:11], v[36:37]
	v_fma_f64 v[10:11], v[2:3], v[10:11], -v[12:13]
	ds_load_b128 v[2:5], v1 offset:1568
	v_add_f64_e32 v[12:13], v[30:31], v[40:41]
	v_add_f64_e32 v[30:31], v[32:33], v[38:39]
	v_fma_f64 v[34:35], v[8:9], v[14:15], v[34:35]
	v_fma_f64 v[14:15], v[6:7], v[14:15], -v[16:17]
	ds_load_b128 v[6:9], v1 offset:1584
	s_wait_loadcnt_dscnt 0x201
	v_mul_f64_e32 v[32:33], v[2:3], v[20:21]
	v_mul_f64_e32 v[20:21], v[4:5], v[20:21]
	s_wait_loadcnt_dscnt 0x100
	v_mul_f64_e32 v[16:17], v[6:7], v[24:25]
	v_mul_f64_e32 v[24:25], v[8:9], v[24:25]
	v_add_f64_e32 v[10:11], v[12:13], v[10:11]
	v_add_f64_e32 v[12:13], v[30:31], v[36:37]
	v_fma_f64 v[4:5], v[4:5], v[18:19], v[32:33]
	v_fma_f64 v[1:2], v[2:3], v[18:19], -v[20:21]
	v_fma_f64 v[8:9], v[8:9], v[22:23], v[16:17]
	v_fma_f64 v[6:7], v[6:7], v[22:23], -v[24:25]
	v_add_f64_e32 v[10:11], v[10:11], v[14:15]
	v_add_f64_e32 v[12:13], v[12:13], v[34:35]
	s_delay_alu instid0(VALU_DEP_2) | instskip(NEXT) | instid1(VALU_DEP_2)
	v_add_f64_e32 v[1:2], v[10:11], v[1:2]
	v_add_f64_e32 v[3:4], v[12:13], v[4:5]
	s_delay_alu instid0(VALU_DEP_2) | instskip(NEXT) | instid1(VALU_DEP_2)
	v_add_f64_e32 v[1:2], v[1:2], v[6:7]
	v_add_f64_e32 v[3:4], v[3:4], v[8:9]
	s_wait_loadcnt 0x0
	s_delay_alu instid0(VALU_DEP_2) | instskip(NEXT) | instid1(VALU_DEP_2)
	v_add_f64_e64 v[1:2], v[26:27], -v[1:2]
	v_add_f64_e64 v[3:4], v[28:29], -v[3:4]
	scratch_store_b128 off, v[1:4], off offset:544
	v_cmpx_lt_u32_e32 32, v0
	s_cbranch_execz .LBB113_249
; %bb.248:
	scratch_load_b128 v[1:4], off, s30
	v_mov_b32_e32 v5, 0
	s_delay_alu instid0(VALU_DEP_1)
	v_dual_mov_b32 v6, v5 :: v_dual_mov_b32 v7, v5
	v_mov_b32_e32 v8, v5
	scratch_store_b128 off, v[5:8], off offset:528
	s_wait_loadcnt 0x0
	ds_store_b128 v142, v[1:4]
.LBB113_249:
	s_wait_alu 0xfffe
	s_or_b32 exec_lo, exec_lo, s0
	s_wait_storecnt_dscnt 0x0
	s_barrier_signal -1
	s_barrier_wait -1
	global_inv scope:SCOPE_SE
	s_clause 0x7
	scratch_load_b128 v[2:5], off, off offset:544
	scratch_load_b128 v[6:9], off, off offset:560
	;; [unrolled: 1-line block ×8, first 2 shown]
	v_mov_b32_e32 v1, 0
	s_clause 0x1
	scratch_load_b128 v[38:41], off, off offset:672
	scratch_load_b128 v[147:150], off, off offset:688
	s_mov_b32 s0, exec_lo
	ds_load_b128 v[34:37], v1 offset:1328
	ds_load_b128 v[143:146], v1 offset:1344
	s_wait_loadcnt_dscnt 0x901
	v_mul_f64_e32 v[151:152], v[36:37], v[4:5]
	v_mul_f64_e32 v[4:5], v[34:35], v[4:5]
	s_wait_loadcnt_dscnt 0x800
	v_mul_f64_e32 v[153:154], v[143:144], v[8:9]
	v_mul_f64_e32 v[8:9], v[145:146], v[8:9]
	s_delay_alu instid0(VALU_DEP_4) | instskip(NEXT) | instid1(VALU_DEP_4)
	v_fma_f64 v[151:152], v[34:35], v[2:3], -v[151:152]
	v_fma_f64 v[155:156], v[36:37], v[2:3], v[4:5]
	ds_load_b128 v[2:5], v1 offset:1360
	scratch_load_b128 v[34:37], off, off offset:704
	v_fma_f64 v[153:154], v[145:146], v[6:7], v[153:154]
	v_fma_f64 v[159:160], v[143:144], v[6:7], -v[8:9]
	ds_load_b128 v[6:9], v1 offset:1376
	scratch_load_b128 v[143:146], off, off offset:720
	s_wait_loadcnt_dscnt 0x901
	v_mul_f64_e32 v[157:158], v[2:3], v[12:13]
	v_mul_f64_e32 v[12:13], v[4:5], v[12:13]
	s_wait_loadcnt_dscnt 0x800
	v_mul_f64_e32 v[161:162], v[6:7], v[16:17]
	v_mul_f64_e32 v[16:17], v[8:9], v[16:17]
	v_add_f64_e32 v[151:152], 0, v[151:152]
	v_add_f64_e32 v[155:156], 0, v[155:156]
	v_fma_f64 v[157:158], v[4:5], v[10:11], v[157:158]
	v_fma_f64 v[163:164], v[2:3], v[10:11], -v[12:13]
	ds_load_b128 v[2:5], v1 offset:1392
	scratch_load_b128 v[10:13], off, off offset:736
	v_add_f64_e32 v[151:152], v[151:152], v[159:160]
	v_add_f64_e32 v[153:154], v[155:156], v[153:154]
	v_fma_f64 v[159:160], v[8:9], v[14:15], v[161:162]
	v_fma_f64 v[161:162], v[6:7], v[14:15], -v[16:17]
	ds_load_b128 v[6:9], v1 offset:1408
	scratch_load_b128 v[14:17], off, off offset:752
	s_wait_loadcnt_dscnt 0x901
	v_mul_f64_e32 v[155:156], v[2:3], v[20:21]
	v_mul_f64_e32 v[20:21], v[4:5], v[20:21]
	v_add_f64_e32 v[151:152], v[151:152], v[163:164]
	v_add_f64_e32 v[153:154], v[153:154], v[157:158]
	s_wait_loadcnt_dscnt 0x800
	v_mul_f64_e32 v[157:158], v[6:7], v[24:25]
	v_mul_f64_e32 v[24:25], v[8:9], v[24:25]
	v_fma_f64 v[155:156], v[4:5], v[18:19], v[155:156]
	v_fma_f64 v[163:164], v[2:3], v[18:19], -v[20:21]
	ds_load_b128 v[2:5], v1 offset:1424
	scratch_load_b128 v[18:21], off, off offset:768
	v_add_f64_e32 v[151:152], v[151:152], v[161:162]
	v_add_f64_e32 v[153:154], v[153:154], v[159:160]
	v_fma_f64 v[157:158], v[8:9], v[22:23], v[157:158]
	v_fma_f64 v[161:162], v[6:7], v[22:23], -v[24:25]
	ds_load_b128 v[6:9], v1 offset:1440
	s_wait_loadcnt_dscnt 0x801
	v_mul_f64_e32 v[159:160], v[2:3], v[28:29]
	v_mul_f64_e32 v[28:29], v[4:5], v[28:29]
	scratch_load_b128 v[22:25], off, off offset:784
	v_add_f64_e32 v[151:152], v[151:152], v[163:164]
	v_add_f64_e32 v[153:154], v[153:154], v[155:156]
	s_wait_loadcnt_dscnt 0x800
	v_mul_f64_e32 v[155:156], v[6:7], v[32:33]
	v_mul_f64_e32 v[32:33], v[8:9], v[32:33]
	v_fma_f64 v[159:160], v[4:5], v[26:27], v[159:160]
	v_fma_f64 v[163:164], v[2:3], v[26:27], -v[28:29]
	ds_load_b128 v[2:5], v1 offset:1456
	scratch_load_b128 v[26:29], off, off offset:800
	v_add_f64_e32 v[151:152], v[151:152], v[161:162]
	v_add_f64_e32 v[153:154], v[153:154], v[157:158]
	v_fma_f64 v[155:156], v[8:9], v[30:31], v[155:156]
	v_fma_f64 v[30:31], v[6:7], v[30:31], -v[32:33]
	ds_load_b128 v[6:9], v1 offset:1472
	s_wait_loadcnt_dscnt 0x801
	v_mul_f64_e32 v[157:158], v[2:3], v[40:41]
	v_mul_f64_e32 v[40:41], v[4:5], v[40:41]
	v_add_f64_e32 v[32:33], v[151:152], v[163:164]
	v_add_f64_e32 v[151:152], v[153:154], v[159:160]
	s_wait_loadcnt_dscnt 0x700
	v_mul_f64_e32 v[153:154], v[6:7], v[149:150]
	v_mul_f64_e32 v[149:150], v[8:9], v[149:150]
	v_fma_f64 v[157:158], v[4:5], v[38:39], v[157:158]
	v_fma_f64 v[38:39], v[2:3], v[38:39], -v[40:41]
	ds_load_b128 v[2:5], v1 offset:1488
	v_add_f64_e32 v[30:31], v[32:33], v[30:31]
	v_add_f64_e32 v[32:33], v[151:152], v[155:156]
	v_fma_f64 v[151:152], v[8:9], v[147:148], v[153:154]
	v_fma_f64 v[147:148], v[6:7], v[147:148], -v[149:150]
	ds_load_b128 v[6:9], v1 offset:1504
	s_wait_loadcnt_dscnt 0x500
	v_mul_f64_e32 v[153:154], v[6:7], v[145:146]
	v_mul_f64_e32 v[145:146], v[8:9], v[145:146]
	v_add_f64_e32 v[38:39], v[30:31], v[38:39]
	v_add_f64_e32 v[149:150], v[32:33], v[157:158]
	scratch_load_b128 v[30:33], off, off offset:528
	v_mul_f64_e32 v[40:41], v[2:3], v[36:37]
	v_mul_f64_e32 v[36:37], v[4:5], v[36:37]
	s_delay_alu instid0(VALU_DEP_2) | instskip(NEXT) | instid1(VALU_DEP_2)
	v_fma_f64 v[40:41], v[4:5], v[34:35], v[40:41]
	v_fma_f64 v[34:35], v[2:3], v[34:35], -v[36:37]
	v_add_f64_e32 v[36:37], v[38:39], v[147:148]
	v_add_f64_e32 v[38:39], v[149:150], v[151:152]
	ds_load_b128 v[2:5], v1 offset:1520
	v_fma_f64 v[149:150], v[8:9], v[143:144], v[153:154]
	v_fma_f64 v[143:144], v[6:7], v[143:144], -v[145:146]
	ds_load_b128 v[6:9], v1 offset:1536
	s_wait_loadcnt_dscnt 0x501
	v_mul_f64_e32 v[147:148], v[2:3], v[12:13]
	v_mul_f64_e32 v[12:13], v[4:5], v[12:13]
	v_add_f64_e32 v[34:35], v[36:37], v[34:35]
	v_add_f64_e32 v[36:37], v[38:39], v[40:41]
	s_wait_loadcnt_dscnt 0x400
	v_mul_f64_e32 v[38:39], v[6:7], v[16:17]
	v_mul_f64_e32 v[16:17], v[8:9], v[16:17]
	v_fma_f64 v[40:41], v[4:5], v[10:11], v[147:148]
	v_fma_f64 v[10:11], v[2:3], v[10:11], -v[12:13]
	ds_load_b128 v[2:5], v1 offset:1552
	v_add_f64_e32 v[12:13], v[34:35], v[143:144]
	v_add_f64_e32 v[34:35], v[36:37], v[149:150]
	v_fma_f64 v[38:39], v[8:9], v[14:15], v[38:39]
	v_fma_f64 v[14:15], v[6:7], v[14:15], -v[16:17]
	ds_load_b128 v[6:9], v1 offset:1568
	s_wait_loadcnt_dscnt 0x301
	v_mul_f64_e32 v[36:37], v[2:3], v[20:21]
	v_mul_f64_e32 v[20:21], v[4:5], v[20:21]
	s_wait_loadcnt_dscnt 0x200
	v_mul_f64_e32 v[16:17], v[6:7], v[24:25]
	v_mul_f64_e32 v[24:25], v[8:9], v[24:25]
	v_add_f64_e32 v[10:11], v[12:13], v[10:11]
	v_add_f64_e32 v[12:13], v[34:35], v[40:41]
	v_fma_f64 v[34:35], v[4:5], v[18:19], v[36:37]
	v_fma_f64 v[18:19], v[2:3], v[18:19], -v[20:21]
	ds_load_b128 v[2:5], v1 offset:1584
	v_fma_f64 v[8:9], v[8:9], v[22:23], v[16:17]
	v_fma_f64 v[6:7], v[6:7], v[22:23], -v[24:25]
	s_wait_loadcnt_dscnt 0x100
	v_mul_f64_e32 v[20:21], v[4:5], v[28:29]
	v_add_f64_e32 v[10:11], v[10:11], v[14:15]
	v_add_f64_e32 v[12:13], v[12:13], v[38:39]
	v_mul_f64_e32 v[14:15], v[2:3], v[28:29]
	s_delay_alu instid0(VALU_DEP_4) | instskip(NEXT) | instid1(VALU_DEP_4)
	v_fma_f64 v[2:3], v[2:3], v[26:27], -v[20:21]
	v_add_f64_e32 v[10:11], v[10:11], v[18:19]
	s_delay_alu instid0(VALU_DEP_4) | instskip(NEXT) | instid1(VALU_DEP_4)
	v_add_f64_e32 v[12:13], v[12:13], v[34:35]
	v_fma_f64 v[4:5], v[4:5], v[26:27], v[14:15]
	s_delay_alu instid0(VALU_DEP_3) | instskip(NEXT) | instid1(VALU_DEP_3)
	v_add_f64_e32 v[6:7], v[10:11], v[6:7]
	v_add_f64_e32 v[8:9], v[12:13], v[8:9]
	s_delay_alu instid0(VALU_DEP_2) | instskip(NEXT) | instid1(VALU_DEP_2)
	v_add_f64_e32 v[2:3], v[6:7], v[2:3]
	v_add_f64_e32 v[4:5], v[8:9], v[4:5]
	s_wait_loadcnt 0x0
	s_delay_alu instid0(VALU_DEP_2) | instskip(NEXT) | instid1(VALU_DEP_2)
	v_add_f64_e64 v[2:3], v[30:31], -v[2:3]
	v_add_f64_e64 v[4:5], v[32:33], -v[4:5]
	scratch_store_b128 off, v[2:5], off offset:528
	v_cmpx_lt_u32_e32 31, v0
	s_cbranch_execz .LBB113_251
; %bb.250:
	scratch_load_b128 v[5:8], off, s31
	v_dual_mov_b32 v2, v1 :: v_dual_mov_b32 v3, v1
	v_mov_b32_e32 v4, v1
	scratch_store_b128 off, v[1:4], off offset:512
	s_wait_loadcnt 0x0
	ds_store_b128 v142, v[5:8]
.LBB113_251:
	s_wait_alu 0xfffe
	s_or_b32 exec_lo, exec_lo, s0
	s_wait_storecnt_dscnt 0x0
	s_barrier_signal -1
	s_barrier_wait -1
	global_inv scope:SCOPE_SE
	s_clause 0x7
	scratch_load_b128 v[2:5], off, off offset:528
	scratch_load_b128 v[6:9], off, off offset:544
	;; [unrolled: 1-line block ×8, first 2 shown]
	ds_load_b128 v[34:37], v1 offset:1312
	ds_load_b128 v[143:146], v1 offset:1328
	s_clause 0x1
	scratch_load_b128 v[38:41], off, off offset:656
	scratch_load_b128 v[147:150], off, off offset:672
	s_mov_b32 s0, exec_lo
	s_wait_loadcnt_dscnt 0x901
	v_mul_f64_e32 v[151:152], v[36:37], v[4:5]
	v_mul_f64_e32 v[4:5], v[34:35], v[4:5]
	s_wait_loadcnt_dscnt 0x800
	v_mul_f64_e32 v[153:154], v[143:144], v[8:9]
	v_mul_f64_e32 v[8:9], v[145:146], v[8:9]
	s_delay_alu instid0(VALU_DEP_4) | instskip(NEXT) | instid1(VALU_DEP_4)
	v_fma_f64 v[151:152], v[34:35], v[2:3], -v[151:152]
	v_fma_f64 v[155:156], v[36:37], v[2:3], v[4:5]
	scratch_load_b128 v[34:37], off, off offset:688
	ds_load_b128 v[2:5], v1 offset:1344
	v_fma_f64 v[153:154], v[145:146], v[6:7], v[153:154]
	v_fma_f64 v[159:160], v[143:144], v[6:7], -v[8:9]
	ds_load_b128 v[6:9], v1 offset:1360
	scratch_load_b128 v[143:146], off, off offset:704
	s_wait_loadcnt_dscnt 0x901
	v_mul_f64_e32 v[157:158], v[2:3], v[12:13]
	v_mul_f64_e32 v[12:13], v[4:5], v[12:13]
	s_wait_loadcnt_dscnt 0x800
	v_mul_f64_e32 v[161:162], v[6:7], v[16:17]
	v_mul_f64_e32 v[16:17], v[8:9], v[16:17]
	v_add_f64_e32 v[151:152], 0, v[151:152]
	v_add_f64_e32 v[155:156], 0, v[155:156]
	v_fma_f64 v[157:158], v[4:5], v[10:11], v[157:158]
	v_fma_f64 v[163:164], v[2:3], v[10:11], -v[12:13]
	ds_load_b128 v[2:5], v1 offset:1376
	scratch_load_b128 v[10:13], off, off offset:720
	v_add_f64_e32 v[151:152], v[151:152], v[159:160]
	v_add_f64_e32 v[153:154], v[155:156], v[153:154]
	v_fma_f64 v[159:160], v[8:9], v[14:15], v[161:162]
	v_fma_f64 v[161:162], v[6:7], v[14:15], -v[16:17]
	ds_load_b128 v[6:9], v1 offset:1392
	scratch_load_b128 v[14:17], off, off offset:736
	s_wait_loadcnt_dscnt 0x901
	v_mul_f64_e32 v[155:156], v[2:3], v[20:21]
	v_mul_f64_e32 v[20:21], v[4:5], v[20:21]
	v_add_f64_e32 v[151:152], v[151:152], v[163:164]
	v_add_f64_e32 v[153:154], v[153:154], v[157:158]
	s_wait_loadcnt_dscnt 0x800
	v_mul_f64_e32 v[157:158], v[6:7], v[24:25]
	v_mul_f64_e32 v[24:25], v[8:9], v[24:25]
	v_fma_f64 v[155:156], v[4:5], v[18:19], v[155:156]
	v_fma_f64 v[163:164], v[2:3], v[18:19], -v[20:21]
	ds_load_b128 v[2:5], v1 offset:1408
	scratch_load_b128 v[18:21], off, off offset:752
	v_add_f64_e32 v[151:152], v[151:152], v[161:162]
	v_add_f64_e32 v[153:154], v[153:154], v[159:160]
	v_fma_f64 v[157:158], v[8:9], v[22:23], v[157:158]
	v_fma_f64 v[161:162], v[6:7], v[22:23], -v[24:25]
	ds_load_b128 v[6:9], v1 offset:1424
	s_wait_loadcnt_dscnt 0x801
	v_mul_f64_e32 v[159:160], v[2:3], v[28:29]
	v_mul_f64_e32 v[28:29], v[4:5], v[28:29]
	scratch_load_b128 v[22:25], off, off offset:768
	v_add_f64_e32 v[151:152], v[151:152], v[163:164]
	v_add_f64_e32 v[153:154], v[153:154], v[155:156]
	s_wait_loadcnt_dscnt 0x800
	v_mul_f64_e32 v[155:156], v[6:7], v[32:33]
	v_mul_f64_e32 v[32:33], v[8:9], v[32:33]
	v_fma_f64 v[159:160], v[4:5], v[26:27], v[159:160]
	v_fma_f64 v[163:164], v[2:3], v[26:27], -v[28:29]
	ds_load_b128 v[2:5], v1 offset:1440
	scratch_load_b128 v[26:29], off, off offset:784
	v_add_f64_e32 v[151:152], v[151:152], v[161:162]
	v_add_f64_e32 v[153:154], v[153:154], v[157:158]
	v_fma_f64 v[155:156], v[8:9], v[30:31], v[155:156]
	v_fma_f64 v[161:162], v[6:7], v[30:31], -v[32:33]
	ds_load_b128 v[6:9], v1 offset:1456
	s_wait_loadcnt_dscnt 0x801
	v_mul_f64_e32 v[157:158], v[2:3], v[40:41]
	v_mul_f64_e32 v[40:41], v[4:5], v[40:41]
	scratch_load_b128 v[30:33], off, off offset:800
	v_add_f64_e32 v[151:152], v[151:152], v[163:164]
	v_add_f64_e32 v[153:154], v[153:154], v[159:160]
	v_fma_f64 v[157:158], v[4:5], v[38:39], v[157:158]
	v_fma_f64 v[38:39], v[2:3], v[38:39], -v[40:41]
	ds_load_b128 v[2:5], v1 offset:1472
	v_add_f64_e32 v[40:41], v[151:152], v[161:162]
	v_add_f64_e32 v[151:152], v[153:154], v[155:156]
	s_wait_loadcnt_dscnt 0x700
	v_mul_f64_e32 v[153:154], v[2:3], v[36:37]
	v_mul_f64_e32 v[36:37], v[4:5], v[36:37]
	s_delay_alu instid0(VALU_DEP_4) | instskip(NEXT) | instid1(VALU_DEP_4)
	v_add_f64_e32 v[38:39], v[40:41], v[38:39]
	v_add_f64_e32 v[40:41], v[151:152], v[157:158]
	s_delay_alu instid0(VALU_DEP_4) | instskip(NEXT) | instid1(VALU_DEP_4)
	v_fma_f64 v[151:152], v[4:5], v[34:35], v[153:154]
	v_fma_f64 v[153:154], v[2:3], v[34:35], -v[36:37]
	scratch_load_b128 v[34:37], off, off offset:512
	v_mul_f64_e32 v[159:160], v[6:7], v[149:150]
	v_mul_f64_e32 v[149:150], v[8:9], v[149:150]
	ds_load_b128 v[2:5], v1 offset:1504
	v_fma_f64 v[155:156], v[8:9], v[147:148], v[159:160]
	v_fma_f64 v[147:148], v[6:7], v[147:148], -v[149:150]
	ds_load_b128 v[6:9], v1 offset:1488
	s_wait_loadcnt_dscnt 0x700
	v_mul_f64_e32 v[149:150], v[6:7], v[145:146]
	v_mul_f64_e32 v[145:146], v[8:9], v[145:146]
	v_add_f64_e32 v[40:41], v[40:41], v[155:156]
	v_add_f64_e32 v[38:39], v[38:39], v[147:148]
	s_wait_loadcnt 0x6
	v_mul_f64_e32 v[147:148], v[2:3], v[12:13]
	v_mul_f64_e32 v[12:13], v[4:5], v[12:13]
	v_fma_f64 v[149:150], v[8:9], v[143:144], v[149:150]
	v_fma_f64 v[143:144], v[6:7], v[143:144], -v[145:146]
	ds_load_b128 v[6:9], v1 offset:1520
	v_add_f64_e32 v[40:41], v[40:41], v[151:152]
	v_add_f64_e32 v[38:39], v[38:39], v[153:154]
	v_fma_f64 v[147:148], v[4:5], v[10:11], v[147:148]
	v_fma_f64 v[10:11], v[2:3], v[10:11], -v[12:13]
	ds_load_b128 v[2:5], v1 offset:1536
	s_wait_loadcnt_dscnt 0x501
	v_mul_f64_e32 v[145:146], v[6:7], v[16:17]
	v_mul_f64_e32 v[16:17], v[8:9], v[16:17]
	v_add_f64_e32 v[12:13], v[38:39], v[143:144]
	v_add_f64_e32 v[38:39], v[40:41], v[149:150]
	s_wait_loadcnt_dscnt 0x400
	v_mul_f64_e32 v[40:41], v[2:3], v[20:21]
	v_mul_f64_e32 v[20:21], v[4:5], v[20:21]
	v_fma_f64 v[143:144], v[8:9], v[14:15], v[145:146]
	v_fma_f64 v[14:15], v[6:7], v[14:15], -v[16:17]
	ds_load_b128 v[6:9], v1 offset:1552
	v_add_f64_e32 v[10:11], v[12:13], v[10:11]
	v_add_f64_e32 v[12:13], v[38:39], v[147:148]
	v_fma_f64 v[38:39], v[4:5], v[18:19], v[40:41]
	v_fma_f64 v[18:19], v[2:3], v[18:19], -v[20:21]
	ds_load_b128 v[2:5], v1 offset:1568
	s_wait_loadcnt_dscnt 0x301
	v_mul_f64_e32 v[16:17], v[6:7], v[24:25]
	v_mul_f64_e32 v[24:25], v[8:9], v[24:25]
	s_wait_loadcnt_dscnt 0x200
	v_mul_f64_e32 v[20:21], v[4:5], v[28:29]
	v_add_f64_e32 v[10:11], v[10:11], v[14:15]
	v_add_f64_e32 v[12:13], v[12:13], v[143:144]
	v_mul_f64_e32 v[14:15], v[2:3], v[28:29]
	v_fma_f64 v[16:17], v[8:9], v[22:23], v[16:17]
	v_fma_f64 v[22:23], v[6:7], v[22:23], -v[24:25]
	ds_load_b128 v[6:9], v1 offset:1584
	v_fma_f64 v[1:2], v[2:3], v[26:27], -v[20:21]
	s_wait_loadcnt_dscnt 0x100
	v_mul_f64_e32 v[24:25], v[8:9], v[32:33]
	v_add_f64_e32 v[10:11], v[10:11], v[18:19]
	v_add_f64_e32 v[12:13], v[12:13], v[38:39]
	v_mul_f64_e32 v[18:19], v[6:7], v[32:33]
	v_fma_f64 v[4:5], v[4:5], v[26:27], v[14:15]
	v_fma_f64 v[6:7], v[6:7], v[30:31], -v[24:25]
	v_add_f64_e32 v[10:11], v[10:11], v[22:23]
	v_add_f64_e32 v[12:13], v[12:13], v[16:17]
	v_fma_f64 v[8:9], v[8:9], v[30:31], v[18:19]
	s_delay_alu instid0(VALU_DEP_3) | instskip(NEXT) | instid1(VALU_DEP_3)
	v_add_f64_e32 v[1:2], v[10:11], v[1:2]
	v_add_f64_e32 v[3:4], v[12:13], v[4:5]
	s_delay_alu instid0(VALU_DEP_2) | instskip(NEXT) | instid1(VALU_DEP_2)
	v_add_f64_e32 v[1:2], v[1:2], v[6:7]
	v_add_f64_e32 v[3:4], v[3:4], v[8:9]
	s_wait_loadcnt 0x0
	s_delay_alu instid0(VALU_DEP_2) | instskip(NEXT) | instid1(VALU_DEP_2)
	v_add_f64_e64 v[1:2], v[34:35], -v[1:2]
	v_add_f64_e64 v[3:4], v[36:37], -v[3:4]
	scratch_store_b128 off, v[1:4], off offset:512
	v_cmpx_lt_u32_e32 30, v0
	s_cbranch_execz .LBB113_253
; %bb.252:
	scratch_load_b128 v[1:4], off, s33
	v_mov_b32_e32 v5, 0
	s_delay_alu instid0(VALU_DEP_1)
	v_dual_mov_b32 v6, v5 :: v_dual_mov_b32 v7, v5
	v_mov_b32_e32 v8, v5
	scratch_store_b128 off, v[5:8], off offset:496
	s_wait_loadcnt 0x0
	ds_store_b128 v142, v[1:4]
.LBB113_253:
	s_wait_alu 0xfffe
	s_or_b32 exec_lo, exec_lo, s0
	s_wait_storecnt_dscnt 0x0
	s_barrier_signal -1
	s_barrier_wait -1
	global_inv scope:SCOPE_SE
	s_clause 0x7
	scratch_load_b128 v[2:5], off, off offset:512
	scratch_load_b128 v[6:9], off, off offset:528
	;; [unrolled: 1-line block ×8, first 2 shown]
	v_mov_b32_e32 v1, 0
	s_clause 0x1
	scratch_load_b128 v[38:41], off, off offset:640
	scratch_load_b128 v[147:150], off, off offset:656
	s_mov_b32 s0, exec_lo
	ds_load_b128 v[34:37], v1 offset:1296
	ds_load_b128 v[143:146], v1 offset:1312
	s_wait_loadcnt_dscnt 0x901
	v_mul_f64_e32 v[151:152], v[36:37], v[4:5]
	v_mul_f64_e32 v[4:5], v[34:35], v[4:5]
	s_wait_loadcnt_dscnt 0x800
	v_mul_f64_e32 v[153:154], v[143:144], v[8:9]
	v_mul_f64_e32 v[8:9], v[145:146], v[8:9]
	s_delay_alu instid0(VALU_DEP_4) | instskip(NEXT) | instid1(VALU_DEP_4)
	v_fma_f64 v[151:152], v[34:35], v[2:3], -v[151:152]
	v_fma_f64 v[155:156], v[36:37], v[2:3], v[4:5]
	ds_load_b128 v[2:5], v1 offset:1328
	scratch_load_b128 v[34:37], off, off offset:672
	v_fma_f64 v[153:154], v[145:146], v[6:7], v[153:154]
	v_fma_f64 v[159:160], v[143:144], v[6:7], -v[8:9]
	ds_load_b128 v[6:9], v1 offset:1344
	scratch_load_b128 v[143:146], off, off offset:688
	s_wait_loadcnt_dscnt 0x901
	v_mul_f64_e32 v[157:158], v[2:3], v[12:13]
	v_mul_f64_e32 v[12:13], v[4:5], v[12:13]
	s_wait_loadcnt_dscnt 0x800
	v_mul_f64_e32 v[161:162], v[6:7], v[16:17]
	v_mul_f64_e32 v[16:17], v[8:9], v[16:17]
	v_add_f64_e32 v[151:152], 0, v[151:152]
	v_add_f64_e32 v[155:156], 0, v[155:156]
	v_fma_f64 v[157:158], v[4:5], v[10:11], v[157:158]
	v_fma_f64 v[163:164], v[2:3], v[10:11], -v[12:13]
	ds_load_b128 v[2:5], v1 offset:1360
	scratch_load_b128 v[10:13], off, off offset:704
	v_add_f64_e32 v[151:152], v[151:152], v[159:160]
	v_add_f64_e32 v[153:154], v[155:156], v[153:154]
	v_fma_f64 v[159:160], v[8:9], v[14:15], v[161:162]
	v_fma_f64 v[161:162], v[6:7], v[14:15], -v[16:17]
	ds_load_b128 v[6:9], v1 offset:1376
	scratch_load_b128 v[14:17], off, off offset:720
	s_wait_loadcnt_dscnt 0x901
	v_mul_f64_e32 v[155:156], v[2:3], v[20:21]
	v_mul_f64_e32 v[20:21], v[4:5], v[20:21]
	v_add_f64_e32 v[151:152], v[151:152], v[163:164]
	v_add_f64_e32 v[153:154], v[153:154], v[157:158]
	s_wait_loadcnt_dscnt 0x800
	v_mul_f64_e32 v[157:158], v[6:7], v[24:25]
	v_mul_f64_e32 v[24:25], v[8:9], v[24:25]
	v_fma_f64 v[155:156], v[4:5], v[18:19], v[155:156]
	v_fma_f64 v[163:164], v[2:3], v[18:19], -v[20:21]
	ds_load_b128 v[2:5], v1 offset:1392
	scratch_load_b128 v[18:21], off, off offset:736
	v_add_f64_e32 v[151:152], v[151:152], v[161:162]
	v_add_f64_e32 v[153:154], v[153:154], v[159:160]
	v_fma_f64 v[157:158], v[8:9], v[22:23], v[157:158]
	v_fma_f64 v[161:162], v[6:7], v[22:23], -v[24:25]
	ds_load_b128 v[6:9], v1 offset:1408
	s_wait_loadcnt_dscnt 0x801
	v_mul_f64_e32 v[159:160], v[2:3], v[28:29]
	v_mul_f64_e32 v[28:29], v[4:5], v[28:29]
	scratch_load_b128 v[22:25], off, off offset:752
	v_add_f64_e32 v[151:152], v[151:152], v[163:164]
	v_add_f64_e32 v[153:154], v[153:154], v[155:156]
	s_wait_loadcnt_dscnt 0x800
	v_mul_f64_e32 v[155:156], v[6:7], v[32:33]
	v_mul_f64_e32 v[32:33], v[8:9], v[32:33]
	v_fma_f64 v[159:160], v[4:5], v[26:27], v[159:160]
	v_fma_f64 v[163:164], v[2:3], v[26:27], -v[28:29]
	ds_load_b128 v[2:5], v1 offset:1424
	scratch_load_b128 v[26:29], off, off offset:768
	v_add_f64_e32 v[151:152], v[151:152], v[161:162]
	v_add_f64_e32 v[153:154], v[153:154], v[157:158]
	v_fma_f64 v[155:156], v[8:9], v[30:31], v[155:156]
	v_fma_f64 v[161:162], v[6:7], v[30:31], -v[32:33]
	ds_load_b128 v[6:9], v1 offset:1440
	s_wait_loadcnt_dscnt 0x801
	v_mul_f64_e32 v[157:158], v[2:3], v[40:41]
	v_mul_f64_e32 v[40:41], v[4:5], v[40:41]
	scratch_load_b128 v[30:33], off, off offset:784
	v_add_f64_e32 v[151:152], v[151:152], v[163:164]
	v_add_f64_e32 v[153:154], v[153:154], v[159:160]
	s_wait_loadcnt_dscnt 0x800
	v_mul_f64_e32 v[159:160], v[6:7], v[149:150]
	v_mul_f64_e32 v[149:150], v[8:9], v[149:150]
	v_fma_f64 v[157:158], v[4:5], v[38:39], v[157:158]
	v_fma_f64 v[163:164], v[2:3], v[38:39], -v[40:41]
	ds_load_b128 v[2:5], v1 offset:1456
	scratch_load_b128 v[38:41], off, off offset:800
	v_add_f64_e32 v[151:152], v[151:152], v[161:162]
	v_add_f64_e32 v[153:154], v[153:154], v[155:156]
	v_fma_f64 v[159:160], v[8:9], v[147:148], v[159:160]
	v_fma_f64 v[147:148], v[6:7], v[147:148], -v[149:150]
	ds_load_b128 v[6:9], v1 offset:1472
	s_wait_loadcnt_dscnt 0x801
	v_mul_f64_e32 v[155:156], v[2:3], v[36:37]
	v_mul_f64_e32 v[36:37], v[4:5], v[36:37]
	v_add_f64_e32 v[149:150], v[151:152], v[163:164]
	v_add_f64_e32 v[151:152], v[153:154], v[157:158]
	s_wait_loadcnt_dscnt 0x700
	v_mul_f64_e32 v[153:154], v[6:7], v[145:146]
	v_mul_f64_e32 v[145:146], v[8:9], v[145:146]
	v_fma_f64 v[155:156], v[4:5], v[34:35], v[155:156]
	v_fma_f64 v[34:35], v[2:3], v[34:35], -v[36:37]
	ds_load_b128 v[2:5], v1 offset:1488
	v_add_f64_e32 v[36:37], v[149:150], v[147:148]
	v_add_f64_e32 v[147:148], v[151:152], v[159:160]
	v_fma_f64 v[151:152], v[8:9], v[143:144], v[153:154]
	v_fma_f64 v[143:144], v[6:7], v[143:144], -v[145:146]
	ds_load_b128 v[6:9], v1 offset:1504
	s_wait_loadcnt_dscnt 0x500
	v_mul_f64_e32 v[153:154], v[6:7], v[16:17]
	v_mul_f64_e32 v[16:17], v[8:9], v[16:17]
	v_add_f64_e32 v[145:146], v[36:37], v[34:35]
	v_add_f64_e32 v[147:148], v[147:148], v[155:156]
	scratch_load_b128 v[34:37], off, off offset:496
	v_mul_f64_e32 v[149:150], v[2:3], v[12:13]
	v_mul_f64_e32 v[12:13], v[4:5], v[12:13]
	s_delay_alu instid0(VALU_DEP_2) | instskip(NEXT) | instid1(VALU_DEP_2)
	v_fma_f64 v[149:150], v[4:5], v[10:11], v[149:150]
	v_fma_f64 v[10:11], v[2:3], v[10:11], -v[12:13]
	v_add_f64_e32 v[12:13], v[145:146], v[143:144]
	v_add_f64_e32 v[143:144], v[147:148], v[151:152]
	ds_load_b128 v[2:5], v1 offset:1520
	v_fma_f64 v[147:148], v[8:9], v[14:15], v[153:154]
	v_fma_f64 v[14:15], v[6:7], v[14:15], -v[16:17]
	ds_load_b128 v[6:9], v1 offset:1536
	s_wait_loadcnt_dscnt 0x501
	v_mul_f64_e32 v[145:146], v[2:3], v[20:21]
	v_mul_f64_e32 v[20:21], v[4:5], v[20:21]
	s_wait_loadcnt_dscnt 0x400
	v_mul_f64_e32 v[16:17], v[6:7], v[24:25]
	v_mul_f64_e32 v[24:25], v[8:9], v[24:25]
	v_add_f64_e32 v[10:11], v[12:13], v[10:11]
	v_add_f64_e32 v[12:13], v[143:144], v[149:150]
	v_fma_f64 v[143:144], v[4:5], v[18:19], v[145:146]
	v_fma_f64 v[18:19], v[2:3], v[18:19], -v[20:21]
	ds_load_b128 v[2:5], v1 offset:1552
	v_fma_f64 v[16:17], v[8:9], v[22:23], v[16:17]
	v_fma_f64 v[22:23], v[6:7], v[22:23], -v[24:25]
	ds_load_b128 v[6:9], v1 offset:1568
	v_add_f64_e32 v[10:11], v[10:11], v[14:15]
	v_add_f64_e32 v[12:13], v[12:13], v[147:148]
	s_wait_loadcnt_dscnt 0x301
	v_mul_f64_e32 v[14:15], v[2:3], v[28:29]
	v_mul_f64_e32 v[20:21], v[4:5], v[28:29]
	s_wait_loadcnt_dscnt 0x200
	v_mul_f64_e32 v[24:25], v[8:9], v[32:33]
	v_add_f64_e32 v[10:11], v[10:11], v[18:19]
	v_add_f64_e32 v[12:13], v[12:13], v[143:144]
	v_mul_f64_e32 v[18:19], v[6:7], v[32:33]
	v_fma_f64 v[14:15], v[4:5], v[26:27], v[14:15]
	v_fma_f64 v[20:21], v[2:3], v[26:27], -v[20:21]
	ds_load_b128 v[2:5], v1 offset:1584
	v_fma_f64 v[6:7], v[6:7], v[30:31], -v[24:25]
	v_add_f64_e32 v[10:11], v[10:11], v[22:23]
	v_add_f64_e32 v[12:13], v[12:13], v[16:17]
	s_wait_loadcnt_dscnt 0x100
	v_mul_f64_e32 v[16:17], v[2:3], v[40:41]
	v_mul_f64_e32 v[22:23], v[4:5], v[40:41]
	v_fma_f64 v[8:9], v[8:9], v[30:31], v[18:19]
	v_add_f64_e32 v[10:11], v[10:11], v[20:21]
	v_add_f64_e32 v[12:13], v[12:13], v[14:15]
	v_fma_f64 v[4:5], v[4:5], v[38:39], v[16:17]
	v_fma_f64 v[2:3], v[2:3], v[38:39], -v[22:23]
	s_delay_alu instid0(VALU_DEP_4) | instskip(NEXT) | instid1(VALU_DEP_4)
	v_add_f64_e32 v[6:7], v[10:11], v[6:7]
	v_add_f64_e32 v[8:9], v[12:13], v[8:9]
	s_delay_alu instid0(VALU_DEP_2) | instskip(NEXT) | instid1(VALU_DEP_2)
	v_add_f64_e32 v[2:3], v[6:7], v[2:3]
	v_add_f64_e32 v[4:5], v[8:9], v[4:5]
	s_wait_loadcnt 0x0
	s_delay_alu instid0(VALU_DEP_2) | instskip(NEXT) | instid1(VALU_DEP_2)
	v_add_f64_e64 v[2:3], v[34:35], -v[2:3]
	v_add_f64_e64 v[4:5], v[36:37], -v[4:5]
	scratch_store_b128 off, v[2:5], off offset:496
	v_cmpx_lt_u32_e32 29, v0
	s_cbranch_execz .LBB113_255
; %bb.254:
	scratch_load_b128 v[5:8], off, s34
	v_dual_mov_b32 v2, v1 :: v_dual_mov_b32 v3, v1
	v_mov_b32_e32 v4, v1
	scratch_store_b128 off, v[1:4], off offset:480
	s_wait_loadcnt 0x0
	ds_store_b128 v142, v[5:8]
.LBB113_255:
	s_wait_alu 0xfffe
	s_or_b32 exec_lo, exec_lo, s0
	s_wait_storecnt_dscnt 0x0
	s_barrier_signal -1
	s_barrier_wait -1
	global_inv scope:SCOPE_SE
	s_clause 0x7
	scratch_load_b128 v[2:5], off, off offset:496
	scratch_load_b128 v[6:9], off, off offset:512
	;; [unrolled: 1-line block ×8, first 2 shown]
	ds_load_b128 v[34:37], v1 offset:1280
	ds_load_b128 v[143:146], v1 offset:1296
	s_clause 0x1
	scratch_load_b128 v[38:41], off, off offset:624
	scratch_load_b128 v[147:150], off, off offset:640
	s_mov_b32 s0, exec_lo
	s_wait_loadcnt_dscnt 0x901
	v_mul_f64_e32 v[151:152], v[36:37], v[4:5]
	v_mul_f64_e32 v[4:5], v[34:35], v[4:5]
	s_wait_loadcnt_dscnt 0x800
	v_mul_f64_e32 v[153:154], v[143:144], v[8:9]
	v_mul_f64_e32 v[8:9], v[145:146], v[8:9]
	s_delay_alu instid0(VALU_DEP_4) | instskip(NEXT) | instid1(VALU_DEP_4)
	v_fma_f64 v[151:152], v[34:35], v[2:3], -v[151:152]
	v_fma_f64 v[155:156], v[36:37], v[2:3], v[4:5]
	ds_load_b128 v[2:5], v1 offset:1312
	scratch_load_b128 v[34:37], off, off offset:656
	v_fma_f64 v[153:154], v[145:146], v[6:7], v[153:154]
	v_fma_f64 v[159:160], v[143:144], v[6:7], -v[8:9]
	ds_load_b128 v[6:9], v1 offset:1328
	scratch_load_b128 v[143:146], off, off offset:672
	s_wait_loadcnt_dscnt 0x901
	v_mul_f64_e32 v[157:158], v[2:3], v[12:13]
	v_mul_f64_e32 v[12:13], v[4:5], v[12:13]
	s_wait_loadcnt_dscnt 0x800
	v_mul_f64_e32 v[161:162], v[6:7], v[16:17]
	v_mul_f64_e32 v[16:17], v[8:9], v[16:17]
	v_add_f64_e32 v[151:152], 0, v[151:152]
	v_add_f64_e32 v[155:156], 0, v[155:156]
	v_fma_f64 v[157:158], v[4:5], v[10:11], v[157:158]
	v_fma_f64 v[163:164], v[2:3], v[10:11], -v[12:13]
	scratch_load_b128 v[10:13], off, off offset:688
	ds_load_b128 v[2:5], v1 offset:1344
	v_add_f64_e32 v[151:152], v[151:152], v[159:160]
	v_add_f64_e32 v[153:154], v[155:156], v[153:154]
	v_fma_f64 v[159:160], v[8:9], v[14:15], v[161:162]
	v_fma_f64 v[161:162], v[6:7], v[14:15], -v[16:17]
	ds_load_b128 v[6:9], v1 offset:1360
	scratch_load_b128 v[14:17], off, off offset:704
	s_wait_loadcnt_dscnt 0x901
	v_mul_f64_e32 v[155:156], v[2:3], v[20:21]
	v_mul_f64_e32 v[20:21], v[4:5], v[20:21]
	v_add_f64_e32 v[151:152], v[151:152], v[163:164]
	v_add_f64_e32 v[153:154], v[153:154], v[157:158]
	s_wait_loadcnt_dscnt 0x800
	v_mul_f64_e32 v[157:158], v[6:7], v[24:25]
	v_mul_f64_e32 v[24:25], v[8:9], v[24:25]
	v_fma_f64 v[155:156], v[4:5], v[18:19], v[155:156]
	v_fma_f64 v[163:164], v[2:3], v[18:19], -v[20:21]
	ds_load_b128 v[2:5], v1 offset:1376
	scratch_load_b128 v[18:21], off, off offset:720
	v_add_f64_e32 v[151:152], v[151:152], v[161:162]
	v_add_f64_e32 v[153:154], v[153:154], v[159:160]
	v_fma_f64 v[157:158], v[8:9], v[22:23], v[157:158]
	v_fma_f64 v[161:162], v[6:7], v[22:23], -v[24:25]
	ds_load_b128 v[6:9], v1 offset:1392
	s_wait_loadcnt_dscnt 0x801
	v_mul_f64_e32 v[159:160], v[2:3], v[28:29]
	v_mul_f64_e32 v[28:29], v[4:5], v[28:29]
	scratch_load_b128 v[22:25], off, off offset:736
	v_add_f64_e32 v[151:152], v[151:152], v[163:164]
	v_add_f64_e32 v[153:154], v[153:154], v[155:156]
	s_wait_loadcnt_dscnt 0x800
	v_mul_f64_e32 v[155:156], v[6:7], v[32:33]
	v_mul_f64_e32 v[32:33], v[8:9], v[32:33]
	v_fma_f64 v[159:160], v[4:5], v[26:27], v[159:160]
	v_fma_f64 v[163:164], v[2:3], v[26:27], -v[28:29]
	ds_load_b128 v[2:5], v1 offset:1408
	scratch_load_b128 v[26:29], off, off offset:752
	v_add_f64_e32 v[151:152], v[151:152], v[161:162]
	v_add_f64_e32 v[153:154], v[153:154], v[157:158]
	v_fma_f64 v[155:156], v[8:9], v[30:31], v[155:156]
	v_fma_f64 v[161:162], v[6:7], v[30:31], -v[32:33]
	ds_load_b128 v[6:9], v1 offset:1424
	s_wait_loadcnt_dscnt 0x801
	v_mul_f64_e32 v[157:158], v[2:3], v[40:41]
	v_mul_f64_e32 v[40:41], v[4:5], v[40:41]
	scratch_load_b128 v[30:33], off, off offset:768
	v_add_f64_e32 v[151:152], v[151:152], v[163:164]
	v_add_f64_e32 v[153:154], v[153:154], v[159:160]
	s_wait_loadcnt_dscnt 0x800
	v_mul_f64_e32 v[159:160], v[6:7], v[149:150]
	v_mul_f64_e32 v[149:150], v[8:9], v[149:150]
	v_fma_f64 v[157:158], v[4:5], v[38:39], v[157:158]
	v_fma_f64 v[163:164], v[2:3], v[38:39], -v[40:41]
	ds_load_b128 v[2:5], v1 offset:1440
	scratch_load_b128 v[38:41], off, off offset:784
	v_add_f64_e32 v[151:152], v[151:152], v[161:162]
	v_add_f64_e32 v[153:154], v[153:154], v[155:156]
	v_fma_f64 v[159:160], v[8:9], v[147:148], v[159:160]
	v_fma_f64 v[161:162], v[6:7], v[147:148], -v[149:150]
	ds_load_b128 v[6:9], v1 offset:1456
	scratch_load_b128 v[147:150], off, off offset:800
	s_wait_loadcnt_dscnt 0x901
	v_mul_f64_e32 v[155:156], v[2:3], v[36:37]
	v_mul_f64_e32 v[36:37], v[4:5], v[36:37]
	v_add_f64_e32 v[151:152], v[151:152], v[163:164]
	v_add_f64_e32 v[153:154], v[153:154], v[157:158]
	s_delay_alu instid0(VALU_DEP_4) | instskip(NEXT) | instid1(VALU_DEP_4)
	v_fma_f64 v[155:156], v[4:5], v[34:35], v[155:156]
	v_fma_f64 v[34:35], v[2:3], v[34:35], -v[36:37]
	ds_load_b128 v[2:5], v1 offset:1472
	v_add_f64_e32 v[36:37], v[151:152], v[161:162]
	v_add_f64_e32 v[151:152], v[153:154], v[159:160]
	s_wait_loadcnt_dscnt 0x700
	v_mul_f64_e32 v[153:154], v[2:3], v[12:13]
	v_mul_f64_e32 v[12:13], v[4:5], v[12:13]
	s_delay_alu instid0(VALU_DEP_4) | instskip(NEXT) | instid1(VALU_DEP_4)
	v_add_f64_e32 v[34:35], v[36:37], v[34:35]
	v_add_f64_e32 v[36:37], v[151:152], v[155:156]
	s_delay_alu instid0(VALU_DEP_4) | instskip(NEXT) | instid1(VALU_DEP_4)
	v_fma_f64 v[151:152], v[4:5], v[10:11], v[153:154]
	v_fma_f64 v[153:154], v[2:3], v[10:11], -v[12:13]
	scratch_load_b128 v[10:13], off, off offset:480
	v_mul_f64_e32 v[157:158], v[6:7], v[145:146]
	v_mul_f64_e32 v[145:146], v[8:9], v[145:146]
	ds_load_b128 v[2:5], v1 offset:1504
	v_fma_f64 v[157:158], v[8:9], v[143:144], v[157:158]
	v_fma_f64 v[143:144], v[6:7], v[143:144], -v[145:146]
	ds_load_b128 v[6:9], v1 offset:1488
	s_wait_loadcnt_dscnt 0x700
	v_mul_f64_e32 v[145:146], v[6:7], v[16:17]
	v_mul_f64_e32 v[16:17], v[8:9], v[16:17]
	v_add_f64_e32 v[36:37], v[36:37], v[157:158]
	v_add_f64_e32 v[34:35], v[34:35], v[143:144]
	s_wait_loadcnt 0x6
	v_mul_f64_e32 v[143:144], v[2:3], v[20:21]
	v_mul_f64_e32 v[20:21], v[4:5], v[20:21]
	v_fma_f64 v[145:146], v[8:9], v[14:15], v[145:146]
	v_fma_f64 v[14:15], v[6:7], v[14:15], -v[16:17]
	ds_load_b128 v[6:9], v1 offset:1520
	v_add_f64_e32 v[16:17], v[34:35], v[153:154]
	v_add_f64_e32 v[34:35], v[36:37], v[151:152]
	v_fma_f64 v[143:144], v[4:5], v[18:19], v[143:144]
	v_fma_f64 v[18:19], v[2:3], v[18:19], -v[20:21]
	ds_load_b128 v[2:5], v1 offset:1536
	s_wait_loadcnt_dscnt 0x501
	v_mul_f64_e32 v[36:37], v[6:7], v[24:25]
	v_mul_f64_e32 v[24:25], v[8:9], v[24:25]
	s_wait_loadcnt_dscnt 0x400
	v_mul_f64_e32 v[20:21], v[2:3], v[28:29]
	v_mul_f64_e32 v[28:29], v[4:5], v[28:29]
	v_add_f64_e32 v[14:15], v[16:17], v[14:15]
	v_add_f64_e32 v[16:17], v[34:35], v[145:146]
	v_fma_f64 v[34:35], v[8:9], v[22:23], v[36:37]
	v_fma_f64 v[22:23], v[6:7], v[22:23], -v[24:25]
	ds_load_b128 v[6:9], v1 offset:1552
	v_fma_f64 v[20:21], v[4:5], v[26:27], v[20:21]
	v_fma_f64 v[26:27], v[2:3], v[26:27], -v[28:29]
	ds_load_b128 v[2:5], v1 offset:1568
	s_wait_loadcnt_dscnt 0x301
	v_mul_f64_e32 v[24:25], v[8:9], v[32:33]
	v_add_f64_e32 v[14:15], v[14:15], v[18:19]
	v_add_f64_e32 v[16:17], v[16:17], v[143:144]
	v_mul_f64_e32 v[18:19], v[6:7], v[32:33]
	s_wait_loadcnt_dscnt 0x200
	v_mul_f64_e32 v[28:29], v[4:5], v[40:41]
	v_fma_f64 v[24:25], v[6:7], v[30:31], -v[24:25]
	v_add_f64_e32 v[14:15], v[14:15], v[22:23]
	v_add_f64_e32 v[16:17], v[16:17], v[34:35]
	v_mul_f64_e32 v[22:23], v[2:3], v[40:41]
	v_fma_f64 v[18:19], v[8:9], v[30:31], v[18:19]
	ds_load_b128 v[6:9], v1 offset:1584
	v_fma_f64 v[1:2], v[2:3], v[38:39], -v[28:29]
	v_add_f64_e32 v[14:15], v[14:15], v[26:27]
	v_add_f64_e32 v[16:17], v[16:17], v[20:21]
	s_wait_loadcnt_dscnt 0x100
	v_mul_f64_e32 v[20:21], v[6:7], v[149:150]
	v_mul_f64_e32 v[26:27], v[8:9], v[149:150]
	v_fma_f64 v[4:5], v[4:5], v[38:39], v[22:23]
	v_add_f64_e32 v[14:15], v[14:15], v[24:25]
	v_add_f64_e32 v[16:17], v[16:17], v[18:19]
	v_fma_f64 v[8:9], v[8:9], v[147:148], v[20:21]
	v_fma_f64 v[6:7], v[6:7], v[147:148], -v[26:27]
	s_delay_alu instid0(VALU_DEP_4) | instskip(NEXT) | instid1(VALU_DEP_4)
	v_add_f64_e32 v[1:2], v[14:15], v[1:2]
	v_add_f64_e32 v[3:4], v[16:17], v[4:5]
	s_delay_alu instid0(VALU_DEP_2) | instskip(NEXT) | instid1(VALU_DEP_2)
	v_add_f64_e32 v[1:2], v[1:2], v[6:7]
	v_add_f64_e32 v[3:4], v[3:4], v[8:9]
	s_wait_loadcnt 0x0
	s_delay_alu instid0(VALU_DEP_2) | instskip(NEXT) | instid1(VALU_DEP_2)
	v_add_f64_e64 v[1:2], v[10:11], -v[1:2]
	v_add_f64_e64 v[3:4], v[12:13], -v[3:4]
	scratch_store_b128 off, v[1:4], off offset:480
	v_cmpx_lt_u32_e32 28, v0
	s_cbranch_execz .LBB113_257
; %bb.256:
	scratch_load_b128 v[1:4], off, s35
	v_mov_b32_e32 v5, 0
	s_delay_alu instid0(VALU_DEP_1)
	v_dual_mov_b32 v6, v5 :: v_dual_mov_b32 v7, v5
	v_mov_b32_e32 v8, v5
	scratch_store_b128 off, v[5:8], off offset:464
	s_wait_loadcnt 0x0
	ds_store_b128 v142, v[1:4]
.LBB113_257:
	s_wait_alu 0xfffe
	s_or_b32 exec_lo, exec_lo, s0
	s_wait_storecnt_dscnt 0x0
	s_barrier_signal -1
	s_barrier_wait -1
	global_inv scope:SCOPE_SE
	s_clause 0x7
	scratch_load_b128 v[2:5], off, off offset:480
	scratch_load_b128 v[6:9], off, off offset:496
	;; [unrolled: 1-line block ×8, first 2 shown]
	v_mov_b32_e32 v1, 0
	s_clause 0x1
	scratch_load_b128 v[38:41], off, off offset:608
	scratch_load_b128 v[147:150], off, off offset:624
	s_mov_b32 s0, exec_lo
	ds_load_b128 v[34:37], v1 offset:1264
	ds_load_b128 v[143:146], v1 offset:1280
	s_wait_loadcnt_dscnt 0x901
	v_mul_f64_e32 v[151:152], v[36:37], v[4:5]
	v_mul_f64_e32 v[4:5], v[34:35], v[4:5]
	s_wait_loadcnt_dscnt 0x800
	v_mul_f64_e32 v[153:154], v[143:144], v[8:9]
	v_mul_f64_e32 v[8:9], v[145:146], v[8:9]
	s_delay_alu instid0(VALU_DEP_4) | instskip(NEXT) | instid1(VALU_DEP_4)
	v_fma_f64 v[151:152], v[34:35], v[2:3], -v[151:152]
	v_fma_f64 v[155:156], v[36:37], v[2:3], v[4:5]
	ds_load_b128 v[2:5], v1 offset:1296
	scratch_load_b128 v[34:37], off, off offset:640
	v_fma_f64 v[153:154], v[145:146], v[6:7], v[153:154]
	v_fma_f64 v[159:160], v[143:144], v[6:7], -v[8:9]
	ds_load_b128 v[6:9], v1 offset:1312
	scratch_load_b128 v[143:146], off, off offset:656
	s_wait_loadcnt_dscnt 0x901
	v_mul_f64_e32 v[157:158], v[2:3], v[12:13]
	v_mul_f64_e32 v[12:13], v[4:5], v[12:13]
	s_wait_loadcnt_dscnt 0x800
	v_mul_f64_e32 v[161:162], v[6:7], v[16:17]
	v_mul_f64_e32 v[16:17], v[8:9], v[16:17]
	v_add_f64_e32 v[151:152], 0, v[151:152]
	v_add_f64_e32 v[155:156], 0, v[155:156]
	v_fma_f64 v[157:158], v[4:5], v[10:11], v[157:158]
	v_fma_f64 v[163:164], v[2:3], v[10:11], -v[12:13]
	ds_load_b128 v[2:5], v1 offset:1328
	scratch_load_b128 v[10:13], off, off offset:672
	v_add_f64_e32 v[151:152], v[151:152], v[159:160]
	v_add_f64_e32 v[153:154], v[155:156], v[153:154]
	v_fma_f64 v[159:160], v[8:9], v[14:15], v[161:162]
	v_fma_f64 v[161:162], v[6:7], v[14:15], -v[16:17]
	ds_load_b128 v[6:9], v1 offset:1344
	scratch_load_b128 v[14:17], off, off offset:688
	s_wait_loadcnt_dscnt 0x901
	v_mul_f64_e32 v[155:156], v[2:3], v[20:21]
	v_mul_f64_e32 v[20:21], v[4:5], v[20:21]
	v_add_f64_e32 v[151:152], v[151:152], v[163:164]
	v_add_f64_e32 v[153:154], v[153:154], v[157:158]
	s_wait_loadcnt_dscnt 0x800
	v_mul_f64_e32 v[157:158], v[6:7], v[24:25]
	v_mul_f64_e32 v[24:25], v[8:9], v[24:25]
	v_fma_f64 v[155:156], v[4:5], v[18:19], v[155:156]
	v_fma_f64 v[163:164], v[2:3], v[18:19], -v[20:21]
	ds_load_b128 v[2:5], v1 offset:1360
	scratch_load_b128 v[18:21], off, off offset:704
	v_add_f64_e32 v[151:152], v[151:152], v[161:162]
	v_add_f64_e32 v[153:154], v[153:154], v[159:160]
	v_fma_f64 v[157:158], v[8:9], v[22:23], v[157:158]
	v_fma_f64 v[161:162], v[6:7], v[22:23], -v[24:25]
	ds_load_b128 v[6:9], v1 offset:1376
	s_wait_loadcnt_dscnt 0x801
	v_mul_f64_e32 v[159:160], v[2:3], v[28:29]
	v_mul_f64_e32 v[28:29], v[4:5], v[28:29]
	scratch_load_b128 v[22:25], off, off offset:720
	v_add_f64_e32 v[151:152], v[151:152], v[163:164]
	v_add_f64_e32 v[153:154], v[153:154], v[155:156]
	s_wait_loadcnt_dscnt 0x800
	v_mul_f64_e32 v[155:156], v[6:7], v[32:33]
	v_mul_f64_e32 v[32:33], v[8:9], v[32:33]
	v_fma_f64 v[159:160], v[4:5], v[26:27], v[159:160]
	v_fma_f64 v[163:164], v[2:3], v[26:27], -v[28:29]
	ds_load_b128 v[2:5], v1 offset:1392
	scratch_load_b128 v[26:29], off, off offset:736
	v_add_f64_e32 v[151:152], v[151:152], v[161:162]
	v_add_f64_e32 v[153:154], v[153:154], v[157:158]
	v_fma_f64 v[155:156], v[8:9], v[30:31], v[155:156]
	v_fma_f64 v[161:162], v[6:7], v[30:31], -v[32:33]
	ds_load_b128 v[6:9], v1 offset:1408
	s_wait_loadcnt_dscnt 0x801
	v_mul_f64_e32 v[157:158], v[2:3], v[40:41]
	v_mul_f64_e32 v[40:41], v[4:5], v[40:41]
	scratch_load_b128 v[30:33], off, off offset:752
	v_add_f64_e32 v[151:152], v[151:152], v[163:164]
	v_add_f64_e32 v[153:154], v[153:154], v[159:160]
	s_wait_loadcnt_dscnt 0x800
	v_mul_f64_e32 v[159:160], v[6:7], v[149:150]
	v_mul_f64_e32 v[149:150], v[8:9], v[149:150]
	v_fma_f64 v[157:158], v[4:5], v[38:39], v[157:158]
	v_fma_f64 v[163:164], v[2:3], v[38:39], -v[40:41]
	ds_load_b128 v[2:5], v1 offset:1424
	scratch_load_b128 v[38:41], off, off offset:768
	v_add_f64_e32 v[151:152], v[151:152], v[161:162]
	v_add_f64_e32 v[153:154], v[153:154], v[155:156]
	v_fma_f64 v[159:160], v[8:9], v[147:148], v[159:160]
	v_fma_f64 v[161:162], v[6:7], v[147:148], -v[149:150]
	ds_load_b128 v[6:9], v1 offset:1440
	scratch_load_b128 v[147:150], off, off offset:784
	s_wait_loadcnt_dscnt 0x901
	v_mul_f64_e32 v[155:156], v[2:3], v[36:37]
	v_mul_f64_e32 v[36:37], v[4:5], v[36:37]
	v_add_f64_e32 v[151:152], v[151:152], v[163:164]
	v_add_f64_e32 v[153:154], v[153:154], v[157:158]
	s_wait_loadcnt_dscnt 0x800
	v_mul_f64_e32 v[157:158], v[6:7], v[145:146]
	v_mul_f64_e32 v[145:146], v[8:9], v[145:146]
	v_fma_f64 v[155:156], v[4:5], v[34:35], v[155:156]
	v_fma_f64 v[163:164], v[2:3], v[34:35], -v[36:37]
	ds_load_b128 v[2:5], v1 offset:1456
	scratch_load_b128 v[34:37], off, off offset:800
	v_add_f64_e32 v[151:152], v[151:152], v[161:162]
	v_add_f64_e32 v[153:154], v[153:154], v[159:160]
	v_fma_f64 v[157:158], v[8:9], v[143:144], v[157:158]
	v_fma_f64 v[143:144], v[6:7], v[143:144], -v[145:146]
	ds_load_b128 v[6:9], v1 offset:1472
	s_wait_loadcnt_dscnt 0x801
	v_mul_f64_e32 v[159:160], v[2:3], v[12:13]
	v_mul_f64_e32 v[12:13], v[4:5], v[12:13]
	v_add_f64_e32 v[145:146], v[151:152], v[163:164]
	v_add_f64_e32 v[151:152], v[153:154], v[155:156]
	s_wait_loadcnt_dscnt 0x700
	v_mul_f64_e32 v[153:154], v[6:7], v[16:17]
	v_mul_f64_e32 v[16:17], v[8:9], v[16:17]
	v_fma_f64 v[155:156], v[4:5], v[10:11], v[159:160]
	v_fma_f64 v[10:11], v[2:3], v[10:11], -v[12:13]
	ds_load_b128 v[2:5], v1 offset:1488
	v_add_f64_e32 v[12:13], v[145:146], v[143:144]
	v_add_f64_e32 v[143:144], v[151:152], v[157:158]
	v_fma_f64 v[151:152], v[8:9], v[14:15], v[153:154]
	v_fma_f64 v[14:15], v[6:7], v[14:15], -v[16:17]
	ds_load_b128 v[6:9], v1 offset:1504
	s_wait_loadcnt_dscnt 0x500
	v_mul_f64_e32 v[153:154], v[6:7], v[24:25]
	v_mul_f64_e32 v[24:25], v[8:9], v[24:25]
	v_add_f64_e32 v[16:17], v[12:13], v[10:11]
	v_add_f64_e32 v[143:144], v[143:144], v[155:156]
	scratch_load_b128 v[10:13], off, off offset:464
	v_mul_f64_e32 v[145:146], v[2:3], v[20:21]
	v_mul_f64_e32 v[20:21], v[4:5], v[20:21]
	v_add_f64_e32 v[14:15], v[16:17], v[14:15]
	v_add_f64_e32 v[16:17], v[143:144], v[151:152]
	v_fma_f64 v[143:144], v[8:9], v[22:23], v[153:154]
	v_fma_f64 v[145:146], v[4:5], v[18:19], v[145:146]
	v_fma_f64 v[18:19], v[2:3], v[18:19], -v[20:21]
	ds_load_b128 v[2:5], v1 offset:1520
	v_fma_f64 v[22:23], v[6:7], v[22:23], -v[24:25]
	ds_load_b128 v[6:9], v1 offset:1536
	s_wait_loadcnt_dscnt 0x501
	v_mul_f64_e32 v[20:21], v[2:3], v[28:29]
	v_mul_f64_e32 v[28:29], v[4:5], v[28:29]
	s_wait_loadcnt_dscnt 0x400
	v_mul_f64_e32 v[24:25], v[8:9], v[32:33]
	v_add_f64_e32 v[16:17], v[16:17], v[145:146]
	v_add_f64_e32 v[14:15], v[14:15], v[18:19]
	v_mul_f64_e32 v[18:19], v[6:7], v[32:33]
	v_fma_f64 v[20:21], v[4:5], v[26:27], v[20:21]
	v_fma_f64 v[26:27], v[2:3], v[26:27], -v[28:29]
	ds_load_b128 v[2:5], v1 offset:1552
	v_fma_f64 v[24:25], v[6:7], v[30:31], -v[24:25]
	v_add_f64_e32 v[16:17], v[16:17], v[143:144]
	v_add_f64_e32 v[14:15], v[14:15], v[22:23]
	v_fma_f64 v[18:19], v[8:9], v[30:31], v[18:19]
	ds_load_b128 v[6:9], v1 offset:1568
	s_wait_loadcnt_dscnt 0x301
	v_mul_f64_e32 v[22:23], v[2:3], v[40:41]
	v_mul_f64_e32 v[28:29], v[4:5], v[40:41]
	v_add_f64_e32 v[16:17], v[16:17], v[20:21]
	v_add_f64_e32 v[14:15], v[14:15], v[26:27]
	s_wait_loadcnt_dscnt 0x200
	v_mul_f64_e32 v[20:21], v[6:7], v[149:150]
	v_mul_f64_e32 v[26:27], v[8:9], v[149:150]
	v_fma_f64 v[22:23], v[4:5], v[38:39], v[22:23]
	v_fma_f64 v[28:29], v[2:3], v[38:39], -v[28:29]
	ds_load_b128 v[2:5], v1 offset:1584
	v_add_f64_e32 v[16:17], v[16:17], v[18:19]
	v_add_f64_e32 v[14:15], v[14:15], v[24:25]
	s_wait_loadcnt_dscnt 0x100
	v_mul_f64_e32 v[18:19], v[2:3], v[36:37]
	v_mul_f64_e32 v[24:25], v[4:5], v[36:37]
	v_fma_f64 v[8:9], v[8:9], v[147:148], v[20:21]
	v_fma_f64 v[6:7], v[6:7], v[147:148], -v[26:27]
	v_add_f64_e32 v[16:17], v[16:17], v[22:23]
	v_add_f64_e32 v[14:15], v[14:15], v[28:29]
	v_fma_f64 v[4:5], v[4:5], v[34:35], v[18:19]
	v_fma_f64 v[2:3], v[2:3], v[34:35], -v[24:25]
	s_delay_alu instid0(VALU_DEP_4) | instskip(NEXT) | instid1(VALU_DEP_4)
	v_add_f64_e32 v[8:9], v[16:17], v[8:9]
	v_add_f64_e32 v[6:7], v[14:15], v[6:7]
	s_delay_alu instid0(VALU_DEP_2) | instskip(NEXT) | instid1(VALU_DEP_2)
	v_add_f64_e32 v[4:5], v[8:9], v[4:5]
	v_add_f64_e32 v[2:3], v[6:7], v[2:3]
	s_wait_loadcnt 0x0
	s_delay_alu instid0(VALU_DEP_2) | instskip(NEXT) | instid1(VALU_DEP_2)
	v_add_f64_e64 v[4:5], v[12:13], -v[4:5]
	v_add_f64_e64 v[2:3], v[10:11], -v[2:3]
	scratch_store_b128 off, v[2:5], off offset:464
	v_cmpx_lt_u32_e32 27, v0
	s_cbranch_execz .LBB113_259
; %bb.258:
	scratch_load_b128 v[5:8], off, s36
	v_dual_mov_b32 v2, v1 :: v_dual_mov_b32 v3, v1
	v_mov_b32_e32 v4, v1
	scratch_store_b128 off, v[1:4], off offset:448
	s_wait_loadcnt 0x0
	ds_store_b128 v142, v[5:8]
.LBB113_259:
	s_wait_alu 0xfffe
	s_or_b32 exec_lo, exec_lo, s0
	s_wait_storecnt_dscnt 0x0
	s_barrier_signal -1
	s_barrier_wait -1
	global_inv scope:SCOPE_SE
	s_clause 0x7
	scratch_load_b128 v[2:5], off, off offset:464
	scratch_load_b128 v[6:9], off, off offset:480
	;; [unrolled: 1-line block ×8, first 2 shown]
	ds_load_b128 v[34:37], v1 offset:1248
	ds_load_b128 v[143:146], v1 offset:1264
	s_clause 0x1
	scratch_load_b128 v[38:41], off, off offset:592
	scratch_load_b128 v[147:150], off, off offset:608
	s_mov_b32 s0, exec_lo
	s_wait_loadcnt_dscnt 0x901
	v_mul_f64_e32 v[151:152], v[36:37], v[4:5]
	v_mul_f64_e32 v[4:5], v[34:35], v[4:5]
	s_wait_loadcnt_dscnt 0x800
	v_mul_f64_e32 v[153:154], v[143:144], v[8:9]
	v_mul_f64_e32 v[8:9], v[145:146], v[8:9]
	s_delay_alu instid0(VALU_DEP_4) | instskip(NEXT) | instid1(VALU_DEP_4)
	v_fma_f64 v[151:152], v[34:35], v[2:3], -v[151:152]
	v_fma_f64 v[155:156], v[36:37], v[2:3], v[4:5]
	ds_load_b128 v[2:5], v1 offset:1280
	scratch_load_b128 v[34:37], off, off offset:624
	v_fma_f64 v[153:154], v[145:146], v[6:7], v[153:154]
	v_fma_f64 v[159:160], v[143:144], v[6:7], -v[8:9]
	ds_load_b128 v[6:9], v1 offset:1296
	scratch_load_b128 v[143:146], off, off offset:640
	s_wait_loadcnt_dscnt 0x901
	v_mul_f64_e32 v[157:158], v[2:3], v[12:13]
	v_mul_f64_e32 v[12:13], v[4:5], v[12:13]
	s_wait_loadcnt_dscnt 0x800
	v_mul_f64_e32 v[161:162], v[6:7], v[16:17]
	v_mul_f64_e32 v[16:17], v[8:9], v[16:17]
	v_add_f64_e32 v[151:152], 0, v[151:152]
	v_add_f64_e32 v[155:156], 0, v[155:156]
	v_fma_f64 v[157:158], v[4:5], v[10:11], v[157:158]
	v_fma_f64 v[163:164], v[2:3], v[10:11], -v[12:13]
	ds_load_b128 v[2:5], v1 offset:1312
	scratch_load_b128 v[10:13], off, off offset:656
	v_add_f64_e32 v[151:152], v[151:152], v[159:160]
	v_add_f64_e32 v[153:154], v[155:156], v[153:154]
	v_fma_f64 v[159:160], v[8:9], v[14:15], v[161:162]
	v_fma_f64 v[161:162], v[6:7], v[14:15], -v[16:17]
	ds_load_b128 v[6:9], v1 offset:1328
	scratch_load_b128 v[14:17], off, off offset:672
	s_wait_loadcnt_dscnt 0x901
	v_mul_f64_e32 v[155:156], v[2:3], v[20:21]
	v_mul_f64_e32 v[20:21], v[4:5], v[20:21]
	v_add_f64_e32 v[151:152], v[151:152], v[163:164]
	v_add_f64_e32 v[153:154], v[153:154], v[157:158]
	s_wait_loadcnt_dscnt 0x800
	v_mul_f64_e32 v[157:158], v[6:7], v[24:25]
	v_mul_f64_e32 v[24:25], v[8:9], v[24:25]
	v_fma_f64 v[155:156], v[4:5], v[18:19], v[155:156]
	v_fma_f64 v[163:164], v[2:3], v[18:19], -v[20:21]
	ds_load_b128 v[2:5], v1 offset:1344
	scratch_load_b128 v[18:21], off, off offset:688
	v_add_f64_e32 v[151:152], v[151:152], v[161:162]
	v_add_f64_e32 v[153:154], v[153:154], v[159:160]
	v_fma_f64 v[157:158], v[8:9], v[22:23], v[157:158]
	v_fma_f64 v[161:162], v[6:7], v[22:23], -v[24:25]
	ds_load_b128 v[6:9], v1 offset:1360
	s_wait_loadcnt_dscnt 0x801
	v_mul_f64_e32 v[159:160], v[2:3], v[28:29]
	v_mul_f64_e32 v[28:29], v[4:5], v[28:29]
	scratch_load_b128 v[22:25], off, off offset:704
	v_add_f64_e32 v[151:152], v[151:152], v[163:164]
	v_add_f64_e32 v[153:154], v[153:154], v[155:156]
	s_wait_loadcnt_dscnt 0x800
	v_mul_f64_e32 v[155:156], v[6:7], v[32:33]
	v_mul_f64_e32 v[32:33], v[8:9], v[32:33]
	v_fma_f64 v[159:160], v[4:5], v[26:27], v[159:160]
	v_fma_f64 v[163:164], v[2:3], v[26:27], -v[28:29]
	ds_load_b128 v[2:5], v1 offset:1376
	scratch_load_b128 v[26:29], off, off offset:720
	v_add_f64_e32 v[151:152], v[151:152], v[161:162]
	v_add_f64_e32 v[153:154], v[153:154], v[157:158]
	v_fma_f64 v[155:156], v[8:9], v[30:31], v[155:156]
	v_fma_f64 v[161:162], v[6:7], v[30:31], -v[32:33]
	ds_load_b128 v[6:9], v1 offset:1392
	s_wait_loadcnt_dscnt 0x801
	v_mul_f64_e32 v[157:158], v[2:3], v[40:41]
	v_mul_f64_e32 v[40:41], v[4:5], v[40:41]
	scratch_load_b128 v[30:33], off, off offset:736
	v_add_f64_e32 v[151:152], v[151:152], v[163:164]
	v_add_f64_e32 v[153:154], v[153:154], v[159:160]
	s_wait_loadcnt_dscnt 0x800
	v_mul_f64_e32 v[159:160], v[6:7], v[149:150]
	v_mul_f64_e32 v[149:150], v[8:9], v[149:150]
	v_fma_f64 v[157:158], v[4:5], v[38:39], v[157:158]
	v_fma_f64 v[163:164], v[2:3], v[38:39], -v[40:41]
	ds_load_b128 v[2:5], v1 offset:1408
	scratch_load_b128 v[38:41], off, off offset:752
	v_add_f64_e32 v[151:152], v[151:152], v[161:162]
	v_add_f64_e32 v[153:154], v[153:154], v[155:156]
	v_fma_f64 v[159:160], v[8:9], v[147:148], v[159:160]
	v_fma_f64 v[161:162], v[6:7], v[147:148], -v[149:150]
	ds_load_b128 v[6:9], v1 offset:1424
	scratch_load_b128 v[147:150], off, off offset:768
	s_wait_loadcnt_dscnt 0x901
	v_mul_f64_e32 v[155:156], v[2:3], v[36:37]
	v_mul_f64_e32 v[36:37], v[4:5], v[36:37]
	v_add_f64_e32 v[151:152], v[151:152], v[163:164]
	v_add_f64_e32 v[153:154], v[153:154], v[157:158]
	s_wait_loadcnt_dscnt 0x800
	v_mul_f64_e32 v[157:158], v[6:7], v[145:146]
	v_mul_f64_e32 v[145:146], v[8:9], v[145:146]
	v_fma_f64 v[155:156], v[4:5], v[34:35], v[155:156]
	v_fma_f64 v[163:164], v[2:3], v[34:35], -v[36:37]
	ds_load_b128 v[2:5], v1 offset:1440
	scratch_load_b128 v[34:37], off, off offset:784
	v_add_f64_e32 v[151:152], v[151:152], v[161:162]
	v_add_f64_e32 v[153:154], v[153:154], v[159:160]
	v_fma_f64 v[157:158], v[8:9], v[143:144], v[157:158]
	v_fma_f64 v[161:162], v[6:7], v[143:144], -v[145:146]
	ds_load_b128 v[6:9], v1 offset:1456
	s_wait_loadcnt_dscnt 0x801
	v_mul_f64_e32 v[159:160], v[2:3], v[12:13]
	v_mul_f64_e32 v[12:13], v[4:5], v[12:13]
	scratch_load_b128 v[143:146], off, off offset:800
	v_add_f64_e32 v[151:152], v[151:152], v[163:164]
	v_add_f64_e32 v[153:154], v[153:154], v[155:156]
	s_wait_loadcnt_dscnt 0x800
	v_mul_f64_e32 v[155:156], v[6:7], v[16:17]
	v_mul_f64_e32 v[16:17], v[8:9], v[16:17]
	v_fma_f64 v[159:160], v[4:5], v[10:11], v[159:160]
	v_fma_f64 v[10:11], v[2:3], v[10:11], -v[12:13]
	ds_load_b128 v[2:5], v1 offset:1472
	v_add_f64_e32 v[12:13], v[151:152], v[161:162]
	v_add_f64_e32 v[151:152], v[153:154], v[157:158]
	v_fma_f64 v[155:156], v[8:9], v[14:15], v[155:156]
	v_fma_f64 v[14:15], v[6:7], v[14:15], -v[16:17]
	ds_load_b128 v[6:9], v1 offset:1488
	s_wait_loadcnt_dscnt 0x701
	v_mul_f64_e32 v[153:154], v[2:3], v[20:21]
	v_mul_f64_e32 v[20:21], v[4:5], v[20:21]
	v_add_f64_e32 v[10:11], v[12:13], v[10:11]
	v_add_f64_e32 v[12:13], v[151:152], v[159:160]
	s_delay_alu instid0(VALU_DEP_4) | instskip(NEXT) | instid1(VALU_DEP_4)
	v_fma_f64 v[151:152], v[4:5], v[18:19], v[153:154]
	v_fma_f64 v[18:19], v[2:3], v[18:19], -v[20:21]
	ds_load_b128 v[2:5], v1 offset:1504
	v_add_f64_e32 v[14:15], v[10:11], v[14:15]
	v_add_f64_e32 v[20:21], v[12:13], v[155:156]
	scratch_load_b128 v[10:13], off, off offset:448
	s_wait_loadcnt_dscnt 0x701
	v_mul_f64_e32 v[16:17], v[6:7], v[24:25]
	v_mul_f64_e32 v[24:25], v[8:9], v[24:25]
	v_add_f64_e32 v[14:15], v[14:15], v[18:19]
	v_add_f64_e32 v[18:19], v[20:21], v[151:152]
	s_delay_alu instid0(VALU_DEP_4) | instskip(NEXT) | instid1(VALU_DEP_4)
	v_fma_f64 v[16:17], v[8:9], v[22:23], v[16:17]
	v_fma_f64 v[22:23], v[6:7], v[22:23], -v[24:25]
	ds_load_b128 v[6:9], v1 offset:1520
	s_wait_loadcnt_dscnt 0x601
	v_mul_f64_e32 v[153:154], v[2:3], v[28:29]
	v_mul_f64_e32 v[28:29], v[4:5], v[28:29]
	s_wait_loadcnt_dscnt 0x500
	v_mul_f64_e32 v[20:21], v[6:7], v[32:33]
	v_mul_f64_e32 v[24:25], v[8:9], v[32:33]
	v_add_f64_e32 v[16:17], v[18:19], v[16:17]
	v_add_f64_e32 v[14:15], v[14:15], v[22:23]
	v_fma_f64 v[32:33], v[4:5], v[26:27], v[153:154]
	v_fma_f64 v[26:27], v[2:3], v[26:27], -v[28:29]
	ds_load_b128 v[2:5], v1 offset:1536
	v_fma_f64 v[20:21], v[8:9], v[30:31], v[20:21]
	v_fma_f64 v[24:25], v[6:7], v[30:31], -v[24:25]
	ds_load_b128 v[6:9], v1 offset:1552
	s_wait_loadcnt_dscnt 0x401
	v_mul_f64_e32 v[18:19], v[2:3], v[40:41]
	v_mul_f64_e32 v[22:23], v[4:5], v[40:41]
	v_add_f64_e32 v[16:17], v[16:17], v[32:33]
	v_add_f64_e32 v[14:15], v[14:15], v[26:27]
	s_wait_loadcnt_dscnt 0x300
	v_mul_f64_e32 v[26:27], v[6:7], v[149:150]
	v_mul_f64_e32 v[28:29], v[8:9], v[149:150]
	v_fma_f64 v[18:19], v[4:5], v[38:39], v[18:19]
	v_fma_f64 v[22:23], v[2:3], v[38:39], -v[22:23]
	ds_load_b128 v[2:5], v1 offset:1568
	v_add_f64_e32 v[16:17], v[16:17], v[20:21]
	v_add_f64_e32 v[14:15], v[14:15], v[24:25]
	v_fma_f64 v[26:27], v[8:9], v[147:148], v[26:27]
	v_fma_f64 v[28:29], v[6:7], v[147:148], -v[28:29]
	ds_load_b128 v[6:9], v1 offset:1584
	s_wait_loadcnt_dscnt 0x201
	v_mul_f64_e32 v[20:21], v[2:3], v[36:37]
	v_mul_f64_e32 v[24:25], v[4:5], v[36:37]
	v_add_f64_e32 v[16:17], v[16:17], v[18:19]
	v_add_f64_e32 v[14:15], v[14:15], v[22:23]
	s_wait_loadcnt_dscnt 0x100
	v_mul_f64_e32 v[18:19], v[6:7], v[145:146]
	v_mul_f64_e32 v[22:23], v[8:9], v[145:146]
	v_fma_f64 v[4:5], v[4:5], v[34:35], v[20:21]
	v_fma_f64 v[1:2], v[2:3], v[34:35], -v[24:25]
	v_add_f64_e32 v[16:17], v[16:17], v[26:27]
	v_add_f64_e32 v[14:15], v[14:15], v[28:29]
	v_fma_f64 v[8:9], v[8:9], v[143:144], v[18:19]
	v_fma_f64 v[6:7], v[6:7], v[143:144], -v[22:23]
	s_delay_alu instid0(VALU_DEP_4) | instskip(NEXT) | instid1(VALU_DEP_4)
	v_add_f64_e32 v[3:4], v[16:17], v[4:5]
	v_add_f64_e32 v[1:2], v[14:15], v[1:2]
	s_delay_alu instid0(VALU_DEP_2) | instskip(NEXT) | instid1(VALU_DEP_2)
	v_add_f64_e32 v[3:4], v[3:4], v[8:9]
	v_add_f64_e32 v[1:2], v[1:2], v[6:7]
	s_wait_loadcnt 0x0
	s_delay_alu instid0(VALU_DEP_2) | instskip(NEXT) | instid1(VALU_DEP_2)
	v_add_f64_e64 v[3:4], v[12:13], -v[3:4]
	v_add_f64_e64 v[1:2], v[10:11], -v[1:2]
	scratch_store_b128 off, v[1:4], off offset:448
	v_cmpx_lt_u32_e32 26, v0
	s_cbranch_execz .LBB113_261
; %bb.260:
	scratch_load_b128 v[1:4], off, s37
	v_mov_b32_e32 v5, 0
	s_delay_alu instid0(VALU_DEP_1)
	v_dual_mov_b32 v6, v5 :: v_dual_mov_b32 v7, v5
	v_mov_b32_e32 v8, v5
	scratch_store_b128 off, v[5:8], off offset:432
	s_wait_loadcnt 0x0
	ds_store_b128 v142, v[1:4]
.LBB113_261:
	s_wait_alu 0xfffe
	s_or_b32 exec_lo, exec_lo, s0
	s_wait_storecnt_dscnt 0x0
	s_barrier_signal -1
	s_barrier_wait -1
	global_inv scope:SCOPE_SE
	s_clause 0x7
	scratch_load_b128 v[2:5], off, off offset:448
	scratch_load_b128 v[6:9], off, off offset:464
	;; [unrolled: 1-line block ×8, first 2 shown]
	v_mov_b32_e32 v1, 0
	s_clause 0x1
	scratch_load_b128 v[38:41], off, off offset:576
	scratch_load_b128 v[147:150], off, off offset:592
	s_mov_b32 s0, exec_lo
	ds_load_b128 v[34:37], v1 offset:1232
	ds_load_b128 v[143:146], v1 offset:1248
	s_wait_loadcnt_dscnt 0x901
	v_mul_f64_e32 v[151:152], v[36:37], v[4:5]
	v_mul_f64_e32 v[4:5], v[34:35], v[4:5]
	s_wait_loadcnt_dscnt 0x800
	v_mul_f64_e32 v[153:154], v[143:144], v[8:9]
	v_mul_f64_e32 v[8:9], v[145:146], v[8:9]
	s_delay_alu instid0(VALU_DEP_4) | instskip(NEXT) | instid1(VALU_DEP_4)
	v_fma_f64 v[151:152], v[34:35], v[2:3], -v[151:152]
	v_fma_f64 v[155:156], v[36:37], v[2:3], v[4:5]
	ds_load_b128 v[2:5], v1 offset:1264
	scratch_load_b128 v[34:37], off, off offset:608
	v_fma_f64 v[153:154], v[145:146], v[6:7], v[153:154]
	v_fma_f64 v[159:160], v[143:144], v[6:7], -v[8:9]
	ds_load_b128 v[6:9], v1 offset:1280
	scratch_load_b128 v[143:146], off, off offset:624
	s_wait_loadcnt_dscnt 0x901
	v_mul_f64_e32 v[157:158], v[2:3], v[12:13]
	v_mul_f64_e32 v[12:13], v[4:5], v[12:13]
	s_wait_loadcnt_dscnt 0x800
	v_mul_f64_e32 v[161:162], v[6:7], v[16:17]
	v_mul_f64_e32 v[16:17], v[8:9], v[16:17]
	v_add_f64_e32 v[151:152], 0, v[151:152]
	v_add_f64_e32 v[155:156], 0, v[155:156]
	v_fma_f64 v[157:158], v[4:5], v[10:11], v[157:158]
	v_fma_f64 v[163:164], v[2:3], v[10:11], -v[12:13]
	ds_load_b128 v[2:5], v1 offset:1296
	scratch_load_b128 v[10:13], off, off offset:640
	v_add_f64_e32 v[151:152], v[151:152], v[159:160]
	v_add_f64_e32 v[153:154], v[155:156], v[153:154]
	v_fma_f64 v[159:160], v[8:9], v[14:15], v[161:162]
	v_fma_f64 v[161:162], v[6:7], v[14:15], -v[16:17]
	ds_load_b128 v[6:9], v1 offset:1312
	scratch_load_b128 v[14:17], off, off offset:656
	s_wait_loadcnt_dscnt 0x901
	v_mul_f64_e32 v[155:156], v[2:3], v[20:21]
	v_mul_f64_e32 v[20:21], v[4:5], v[20:21]
	v_add_f64_e32 v[151:152], v[151:152], v[163:164]
	v_add_f64_e32 v[153:154], v[153:154], v[157:158]
	s_wait_loadcnt_dscnt 0x800
	v_mul_f64_e32 v[157:158], v[6:7], v[24:25]
	v_mul_f64_e32 v[24:25], v[8:9], v[24:25]
	v_fma_f64 v[155:156], v[4:5], v[18:19], v[155:156]
	v_fma_f64 v[163:164], v[2:3], v[18:19], -v[20:21]
	ds_load_b128 v[2:5], v1 offset:1328
	scratch_load_b128 v[18:21], off, off offset:672
	v_add_f64_e32 v[151:152], v[151:152], v[161:162]
	v_add_f64_e32 v[153:154], v[153:154], v[159:160]
	v_fma_f64 v[157:158], v[8:9], v[22:23], v[157:158]
	v_fma_f64 v[161:162], v[6:7], v[22:23], -v[24:25]
	ds_load_b128 v[6:9], v1 offset:1344
	s_wait_loadcnt_dscnt 0x801
	v_mul_f64_e32 v[159:160], v[2:3], v[28:29]
	v_mul_f64_e32 v[28:29], v[4:5], v[28:29]
	scratch_load_b128 v[22:25], off, off offset:688
	v_add_f64_e32 v[151:152], v[151:152], v[163:164]
	v_add_f64_e32 v[153:154], v[153:154], v[155:156]
	s_wait_loadcnt_dscnt 0x800
	v_mul_f64_e32 v[155:156], v[6:7], v[32:33]
	v_mul_f64_e32 v[32:33], v[8:9], v[32:33]
	v_fma_f64 v[159:160], v[4:5], v[26:27], v[159:160]
	v_fma_f64 v[163:164], v[2:3], v[26:27], -v[28:29]
	ds_load_b128 v[2:5], v1 offset:1360
	scratch_load_b128 v[26:29], off, off offset:704
	v_add_f64_e32 v[151:152], v[151:152], v[161:162]
	v_add_f64_e32 v[153:154], v[153:154], v[157:158]
	v_fma_f64 v[155:156], v[8:9], v[30:31], v[155:156]
	v_fma_f64 v[161:162], v[6:7], v[30:31], -v[32:33]
	ds_load_b128 v[6:9], v1 offset:1376
	s_wait_loadcnt_dscnt 0x801
	v_mul_f64_e32 v[157:158], v[2:3], v[40:41]
	v_mul_f64_e32 v[40:41], v[4:5], v[40:41]
	scratch_load_b128 v[30:33], off, off offset:720
	v_add_f64_e32 v[151:152], v[151:152], v[163:164]
	v_add_f64_e32 v[153:154], v[153:154], v[159:160]
	s_wait_loadcnt_dscnt 0x800
	v_mul_f64_e32 v[159:160], v[6:7], v[149:150]
	v_mul_f64_e32 v[149:150], v[8:9], v[149:150]
	v_fma_f64 v[157:158], v[4:5], v[38:39], v[157:158]
	v_fma_f64 v[163:164], v[2:3], v[38:39], -v[40:41]
	ds_load_b128 v[2:5], v1 offset:1392
	scratch_load_b128 v[38:41], off, off offset:736
	v_add_f64_e32 v[151:152], v[151:152], v[161:162]
	v_add_f64_e32 v[153:154], v[153:154], v[155:156]
	v_fma_f64 v[159:160], v[8:9], v[147:148], v[159:160]
	v_fma_f64 v[161:162], v[6:7], v[147:148], -v[149:150]
	ds_load_b128 v[6:9], v1 offset:1408
	scratch_load_b128 v[147:150], off, off offset:752
	s_wait_loadcnt_dscnt 0x901
	v_mul_f64_e32 v[155:156], v[2:3], v[36:37]
	v_mul_f64_e32 v[36:37], v[4:5], v[36:37]
	v_add_f64_e32 v[151:152], v[151:152], v[163:164]
	v_add_f64_e32 v[153:154], v[153:154], v[157:158]
	s_wait_loadcnt_dscnt 0x800
	v_mul_f64_e32 v[157:158], v[6:7], v[145:146]
	v_mul_f64_e32 v[145:146], v[8:9], v[145:146]
	v_fma_f64 v[155:156], v[4:5], v[34:35], v[155:156]
	v_fma_f64 v[163:164], v[2:3], v[34:35], -v[36:37]
	ds_load_b128 v[2:5], v1 offset:1424
	scratch_load_b128 v[34:37], off, off offset:768
	v_add_f64_e32 v[151:152], v[151:152], v[161:162]
	v_add_f64_e32 v[153:154], v[153:154], v[159:160]
	v_fma_f64 v[157:158], v[8:9], v[143:144], v[157:158]
	v_fma_f64 v[161:162], v[6:7], v[143:144], -v[145:146]
	ds_load_b128 v[6:9], v1 offset:1440
	s_wait_loadcnt_dscnt 0x801
	v_mul_f64_e32 v[159:160], v[2:3], v[12:13]
	v_mul_f64_e32 v[12:13], v[4:5], v[12:13]
	scratch_load_b128 v[143:146], off, off offset:784
	v_add_f64_e32 v[151:152], v[151:152], v[163:164]
	v_add_f64_e32 v[153:154], v[153:154], v[155:156]
	s_wait_loadcnt_dscnt 0x800
	v_mul_f64_e32 v[155:156], v[6:7], v[16:17]
	v_mul_f64_e32 v[16:17], v[8:9], v[16:17]
	v_fma_f64 v[159:160], v[4:5], v[10:11], v[159:160]
	v_fma_f64 v[163:164], v[2:3], v[10:11], -v[12:13]
	ds_load_b128 v[2:5], v1 offset:1456
	scratch_load_b128 v[10:13], off, off offset:800
	v_add_f64_e32 v[151:152], v[151:152], v[161:162]
	v_add_f64_e32 v[153:154], v[153:154], v[157:158]
	v_fma_f64 v[155:156], v[8:9], v[14:15], v[155:156]
	v_fma_f64 v[14:15], v[6:7], v[14:15], -v[16:17]
	ds_load_b128 v[6:9], v1 offset:1472
	s_wait_loadcnt_dscnt 0x801
	v_mul_f64_e32 v[157:158], v[2:3], v[20:21]
	v_mul_f64_e32 v[20:21], v[4:5], v[20:21]
	v_add_f64_e32 v[16:17], v[151:152], v[163:164]
	v_add_f64_e32 v[151:152], v[153:154], v[159:160]
	s_wait_loadcnt_dscnt 0x700
	v_mul_f64_e32 v[153:154], v[6:7], v[24:25]
	v_mul_f64_e32 v[24:25], v[8:9], v[24:25]
	v_fma_f64 v[157:158], v[4:5], v[18:19], v[157:158]
	v_fma_f64 v[18:19], v[2:3], v[18:19], -v[20:21]
	ds_load_b128 v[2:5], v1 offset:1488
	v_add_f64_e32 v[14:15], v[16:17], v[14:15]
	v_add_f64_e32 v[16:17], v[151:152], v[155:156]
	v_fma_f64 v[151:152], v[8:9], v[22:23], v[153:154]
	v_fma_f64 v[22:23], v[6:7], v[22:23], -v[24:25]
	ds_load_b128 v[6:9], v1 offset:1504
	s_wait_loadcnt_dscnt 0x500
	v_mul_f64_e32 v[153:154], v[6:7], v[32:33]
	v_mul_f64_e32 v[32:33], v[8:9], v[32:33]
	v_add_f64_e32 v[18:19], v[14:15], v[18:19]
	v_add_f64_e32 v[24:25], v[16:17], v[157:158]
	scratch_load_b128 v[14:17], off, off offset:432
	v_mul_f64_e32 v[20:21], v[2:3], v[28:29]
	v_mul_f64_e32 v[28:29], v[4:5], v[28:29]
	v_add_f64_e32 v[18:19], v[18:19], v[22:23]
	v_add_f64_e32 v[22:23], v[24:25], v[151:152]
	s_delay_alu instid0(VALU_DEP_4) | instskip(NEXT) | instid1(VALU_DEP_4)
	v_fma_f64 v[20:21], v[4:5], v[26:27], v[20:21]
	v_fma_f64 v[26:27], v[2:3], v[26:27], -v[28:29]
	ds_load_b128 v[2:5], v1 offset:1520
	s_wait_loadcnt_dscnt 0x500
	v_mul_f64_e32 v[24:25], v[2:3], v[40:41]
	v_mul_f64_e32 v[28:29], v[4:5], v[40:41]
	v_fma_f64 v[40:41], v[8:9], v[30:31], v[153:154]
	v_fma_f64 v[30:31], v[6:7], v[30:31], -v[32:33]
	ds_load_b128 v[6:9], v1 offset:1536
	v_add_f64_e32 v[20:21], v[22:23], v[20:21]
	v_add_f64_e32 v[18:19], v[18:19], v[26:27]
	v_fma_f64 v[24:25], v[4:5], v[38:39], v[24:25]
	v_fma_f64 v[28:29], v[2:3], v[38:39], -v[28:29]
	ds_load_b128 v[2:5], v1 offset:1552
	s_wait_loadcnt_dscnt 0x401
	v_mul_f64_e32 v[22:23], v[6:7], v[149:150]
	v_mul_f64_e32 v[26:27], v[8:9], v[149:150]
	v_add_f64_e32 v[20:21], v[20:21], v[40:41]
	v_add_f64_e32 v[18:19], v[18:19], v[30:31]
	s_wait_loadcnt_dscnt 0x300
	v_mul_f64_e32 v[30:31], v[2:3], v[36:37]
	v_mul_f64_e32 v[32:33], v[4:5], v[36:37]
	v_fma_f64 v[22:23], v[8:9], v[147:148], v[22:23]
	v_fma_f64 v[26:27], v[6:7], v[147:148], -v[26:27]
	ds_load_b128 v[6:9], v1 offset:1568
	v_add_f64_e32 v[20:21], v[20:21], v[24:25]
	v_add_f64_e32 v[18:19], v[18:19], v[28:29]
	v_fma_f64 v[30:31], v[4:5], v[34:35], v[30:31]
	v_fma_f64 v[32:33], v[2:3], v[34:35], -v[32:33]
	ds_load_b128 v[2:5], v1 offset:1584
	s_wait_loadcnt_dscnt 0x201
	v_mul_f64_e32 v[24:25], v[6:7], v[145:146]
	v_mul_f64_e32 v[28:29], v[8:9], v[145:146]
	v_add_f64_e32 v[20:21], v[20:21], v[22:23]
	v_add_f64_e32 v[18:19], v[18:19], v[26:27]
	s_wait_loadcnt_dscnt 0x100
	v_mul_f64_e32 v[22:23], v[2:3], v[12:13]
	v_mul_f64_e32 v[12:13], v[4:5], v[12:13]
	v_fma_f64 v[8:9], v[8:9], v[143:144], v[24:25]
	v_fma_f64 v[6:7], v[6:7], v[143:144], -v[28:29]
	v_add_f64_e32 v[20:21], v[20:21], v[30:31]
	v_add_f64_e32 v[18:19], v[18:19], v[32:33]
	v_fma_f64 v[4:5], v[4:5], v[10:11], v[22:23]
	v_fma_f64 v[2:3], v[2:3], v[10:11], -v[12:13]
	s_delay_alu instid0(VALU_DEP_4) | instskip(NEXT) | instid1(VALU_DEP_4)
	v_add_f64_e32 v[8:9], v[20:21], v[8:9]
	v_add_f64_e32 v[6:7], v[18:19], v[6:7]
	s_delay_alu instid0(VALU_DEP_2) | instskip(NEXT) | instid1(VALU_DEP_2)
	v_add_f64_e32 v[4:5], v[8:9], v[4:5]
	v_add_f64_e32 v[2:3], v[6:7], v[2:3]
	s_wait_loadcnt 0x0
	s_delay_alu instid0(VALU_DEP_2) | instskip(NEXT) | instid1(VALU_DEP_2)
	v_add_f64_e64 v[4:5], v[16:17], -v[4:5]
	v_add_f64_e64 v[2:3], v[14:15], -v[2:3]
	scratch_store_b128 off, v[2:5], off offset:432
	v_cmpx_lt_u32_e32 25, v0
	s_cbranch_execz .LBB113_263
; %bb.262:
	scratch_load_b128 v[5:8], off, s38
	v_dual_mov_b32 v2, v1 :: v_dual_mov_b32 v3, v1
	v_mov_b32_e32 v4, v1
	scratch_store_b128 off, v[1:4], off offset:416
	s_wait_loadcnt 0x0
	ds_store_b128 v142, v[5:8]
.LBB113_263:
	s_wait_alu 0xfffe
	s_or_b32 exec_lo, exec_lo, s0
	s_wait_storecnt_dscnt 0x0
	s_barrier_signal -1
	s_barrier_wait -1
	global_inv scope:SCOPE_SE
	s_clause 0x7
	scratch_load_b128 v[2:5], off, off offset:432
	scratch_load_b128 v[6:9], off, off offset:448
	scratch_load_b128 v[10:13], off, off offset:464
	scratch_load_b128 v[14:17], off, off offset:480
	scratch_load_b128 v[18:21], off, off offset:496
	scratch_load_b128 v[22:25], off, off offset:512
	scratch_load_b128 v[26:29], off, off offset:528
	scratch_load_b128 v[30:33], off, off offset:544
	ds_load_b128 v[34:37], v1 offset:1216
	ds_load_b128 v[143:146], v1 offset:1232
	s_clause 0x1
	scratch_load_b128 v[38:41], off, off offset:560
	scratch_load_b128 v[147:150], off, off offset:576
	s_mov_b32 s0, exec_lo
	s_wait_loadcnt_dscnt 0x901
	v_mul_f64_e32 v[151:152], v[36:37], v[4:5]
	v_mul_f64_e32 v[4:5], v[34:35], v[4:5]
	s_wait_loadcnt_dscnt 0x800
	v_mul_f64_e32 v[153:154], v[143:144], v[8:9]
	v_mul_f64_e32 v[8:9], v[145:146], v[8:9]
	s_delay_alu instid0(VALU_DEP_4) | instskip(NEXT) | instid1(VALU_DEP_4)
	v_fma_f64 v[151:152], v[34:35], v[2:3], -v[151:152]
	v_fma_f64 v[155:156], v[36:37], v[2:3], v[4:5]
	ds_load_b128 v[2:5], v1 offset:1248
	scratch_load_b128 v[34:37], off, off offset:592
	v_fma_f64 v[153:154], v[145:146], v[6:7], v[153:154]
	v_fma_f64 v[159:160], v[143:144], v[6:7], -v[8:9]
	ds_load_b128 v[6:9], v1 offset:1264
	scratch_load_b128 v[143:146], off, off offset:608
	s_wait_loadcnt_dscnt 0x901
	v_mul_f64_e32 v[157:158], v[2:3], v[12:13]
	v_mul_f64_e32 v[12:13], v[4:5], v[12:13]
	s_wait_loadcnt_dscnt 0x800
	v_mul_f64_e32 v[161:162], v[6:7], v[16:17]
	v_mul_f64_e32 v[16:17], v[8:9], v[16:17]
	v_add_f64_e32 v[151:152], 0, v[151:152]
	v_add_f64_e32 v[155:156], 0, v[155:156]
	v_fma_f64 v[157:158], v[4:5], v[10:11], v[157:158]
	v_fma_f64 v[163:164], v[2:3], v[10:11], -v[12:13]
	ds_load_b128 v[2:5], v1 offset:1280
	scratch_load_b128 v[10:13], off, off offset:624
	v_add_f64_e32 v[151:152], v[151:152], v[159:160]
	v_add_f64_e32 v[153:154], v[155:156], v[153:154]
	v_fma_f64 v[159:160], v[8:9], v[14:15], v[161:162]
	v_fma_f64 v[161:162], v[6:7], v[14:15], -v[16:17]
	ds_load_b128 v[6:9], v1 offset:1296
	scratch_load_b128 v[14:17], off, off offset:640
	s_wait_loadcnt_dscnt 0x901
	v_mul_f64_e32 v[155:156], v[2:3], v[20:21]
	v_mul_f64_e32 v[20:21], v[4:5], v[20:21]
	v_add_f64_e32 v[151:152], v[151:152], v[163:164]
	v_add_f64_e32 v[153:154], v[153:154], v[157:158]
	s_wait_loadcnt_dscnt 0x800
	v_mul_f64_e32 v[157:158], v[6:7], v[24:25]
	v_mul_f64_e32 v[24:25], v[8:9], v[24:25]
	v_fma_f64 v[155:156], v[4:5], v[18:19], v[155:156]
	v_fma_f64 v[163:164], v[2:3], v[18:19], -v[20:21]
	ds_load_b128 v[2:5], v1 offset:1312
	scratch_load_b128 v[18:21], off, off offset:656
	v_add_f64_e32 v[151:152], v[151:152], v[161:162]
	v_add_f64_e32 v[153:154], v[153:154], v[159:160]
	v_fma_f64 v[157:158], v[8:9], v[22:23], v[157:158]
	v_fma_f64 v[161:162], v[6:7], v[22:23], -v[24:25]
	ds_load_b128 v[6:9], v1 offset:1328
	s_wait_loadcnt_dscnt 0x801
	v_mul_f64_e32 v[159:160], v[2:3], v[28:29]
	v_mul_f64_e32 v[28:29], v[4:5], v[28:29]
	scratch_load_b128 v[22:25], off, off offset:672
	v_add_f64_e32 v[151:152], v[151:152], v[163:164]
	v_add_f64_e32 v[153:154], v[153:154], v[155:156]
	s_wait_loadcnt_dscnt 0x800
	v_mul_f64_e32 v[155:156], v[6:7], v[32:33]
	v_mul_f64_e32 v[32:33], v[8:9], v[32:33]
	v_fma_f64 v[159:160], v[4:5], v[26:27], v[159:160]
	v_fma_f64 v[163:164], v[2:3], v[26:27], -v[28:29]
	ds_load_b128 v[2:5], v1 offset:1344
	scratch_load_b128 v[26:29], off, off offset:688
	v_add_f64_e32 v[151:152], v[151:152], v[161:162]
	v_add_f64_e32 v[153:154], v[153:154], v[157:158]
	v_fma_f64 v[155:156], v[8:9], v[30:31], v[155:156]
	v_fma_f64 v[161:162], v[6:7], v[30:31], -v[32:33]
	ds_load_b128 v[6:9], v1 offset:1360
	s_wait_loadcnt_dscnt 0x801
	v_mul_f64_e32 v[157:158], v[2:3], v[40:41]
	v_mul_f64_e32 v[40:41], v[4:5], v[40:41]
	scratch_load_b128 v[30:33], off, off offset:704
	v_add_f64_e32 v[151:152], v[151:152], v[163:164]
	v_add_f64_e32 v[153:154], v[153:154], v[159:160]
	s_wait_loadcnt_dscnt 0x800
	v_mul_f64_e32 v[159:160], v[6:7], v[149:150]
	v_mul_f64_e32 v[149:150], v[8:9], v[149:150]
	v_fma_f64 v[157:158], v[4:5], v[38:39], v[157:158]
	v_fma_f64 v[163:164], v[2:3], v[38:39], -v[40:41]
	ds_load_b128 v[2:5], v1 offset:1376
	scratch_load_b128 v[38:41], off, off offset:720
	v_add_f64_e32 v[151:152], v[151:152], v[161:162]
	v_add_f64_e32 v[153:154], v[153:154], v[155:156]
	v_fma_f64 v[159:160], v[8:9], v[147:148], v[159:160]
	v_fma_f64 v[161:162], v[6:7], v[147:148], -v[149:150]
	ds_load_b128 v[6:9], v1 offset:1392
	scratch_load_b128 v[147:150], off, off offset:736
	s_wait_loadcnt_dscnt 0x901
	v_mul_f64_e32 v[155:156], v[2:3], v[36:37]
	v_mul_f64_e32 v[36:37], v[4:5], v[36:37]
	v_add_f64_e32 v[151:152], v[151:152], v[163:164]
	v_add_f64_e32 v[153:154], v[153:154], v[157:158]
	s_wait_loadcnt_dscnt 0x800
	v_mul_f64_e32 v[157:158], v[6:7], v[145:146]
	v_mul_f64_e32 v[145:146], v[8:9], v[145:146]
	v_fma_f64 v[155:156], v[4:5], v[34:35], v[155:156]
	v_fma_f64 v[163:164], v[2:3], v[34:35], -v[36:37]
	ds_load_b128 v[2:5], v1 offset:1408
	scratch_load_b128 v[34:37], off, off offset:752
	v_add_f64_e32 v[151:152], v[151:152], v[161:162]
	v_add_f64_e32 v[153:154], v[153:154], v[159:160]
	v_fma_f64 v[157:158], v[8:9], v[143:144], v[157:158]
	v_fma_f64 v[161:162], v[6:7], v[143:144], -v[145:146]
	ds_load_b128 v[6:9], v1 offset:1424
	s_wait_loadcnt_dscnt 0x801
	v_mul_f64_e32 v[159:160], v[2:3], v[12:13]
	v_mul_f64_e32 v[12:13], v[4:5], v[12:13]
	scratch_load_b128 v[143:146], off, off offset:768
	v_add_f64_e32 v[151:152], v[151:152], v[163:164]
	v_add_f64_e32 v[153:154], v[153:154], v[155:156]
	s_wait_loadcnt_dscnt 0x800
	v_mul_f64_e32 v[155:156], v[6:7], v[16:17]
	v_mul_f64_e32 v[16:17], v[8:9], v[16:17]
	v_fma_f64 v[159:160], v[4:5], v[10:11], v[159:160]
	v_fma_f64 v[163:164], v[2:3], v[10:11], -v[12:13]
	ds_load_b128 v[2:5], v1 offset:1440
	scratch_load_b128 v[10:13], off, off offset:784
	v_add_f64_e32 v[151:152], v[151:152], v[161:162]
	v_add_f64_e32 v[153:154], v[153:154], v[157:158]
	v_fma_f64 v[155:156], v[8:9], v[14:15], v[155:156]
	v_fma_f64 v[161:162], v[6:7], v[14:15], -v[16:17]
	ds_load_b128 v[6:9], v1 offset:1456
	s_wait_loadcnt_dscnt 0x801
	v_mul_f64_e32 v[157:158], v[2:3], v[20:21]
	v_mul_f64_e32 v[20:21], v[4:5], v[20:21]
	scratch_load_b128 v[14:17], off, off offset:800
	v_add_f64_e32 v[151:152], v[151:152], v[163:164]
	v_add_f64_e32 v[153:154], v[153:154], v[159:160]
	s_wait_loadcnt_dscnt 0x800
	v_mul_f64_e32 v[159:160], v[6:7], v[24:25]
	v_mul_f64_e32 v[24:25], v[8:9], v[24:25]
	v_fma_f64 v[157:158], v[4:5], v[18:19], v[157:158]
	v_fma_f64 v[18:19], v[2:3], v[18:19], -v[20:21]
	ds_load_b128 v[2:5], v1 offset:1472
	v_add_f64_e32 v[20:21], v[151:152], v[161:162]
	v_add_f64_e32 v[151:152], v[153:154], v[155:156]
	v_fma_f64 v[155:156], v[8:9], v[22:23], v[159:160]
	v_fma_f64 v[22:23], v[6:7], v[22:23], -v[24:25]
	ds_load_b128 v[6:9], v1 offset:1488
	s_wait_loadcnt_dscnt 0x701
	v_mul_f64_e32 v[153:154], v[2:3], v[28:29]
	v_mul_f64_e32 v[28:29], v[4:5], v[28:29]
	v_add_f64_e32 v[18:19], v[20:21], v[18:19]
	v_add_f64_e32 v[20:21], v[151:152], v[157:158]
	s_delay_alu instid0(VALU_DEP_4) | instskip(NEXT) | instid1(VALU_DEP_4)
	v_fma_f64 v[151:152], v[4:5], v[26:27], v[153:154]
	v_fma_f64 v[26:27], v[2:3], v[26:27], -v[28:29]
	ds_load_b128 v[2:5], v1 offset:1504
	v_add_f64_e32 v[22:23], v[18:19], v[22:23]
	v_add_f64_e32 v[28:29], v[20:21], v[155:156]
	scratch_load_b128 v[18:21], off, off offset:416
	s_wait_loadcnt_dscnt 0x701
	v_mul_f64_e32 v[24:25], v[6:7], v[32:33]
	v_mul_f64_e32 v[32:33], v[8:9], v[32:33]
	v_add_f64_e32 v[22:23], v[22:23], v[26:27]
	v_add_f64_e32 v[26:27], v[28:29], v[151:152]
	s_delay_alu instid0(VALU_DEP_4) | instskip(NEXT) | instid1(VALU_DEP_4)
	v_fma_f64 v[24:25], v[8:9], v[30:31], v[24:25]
	v_fma_f64 v[30:31], v[6:7], v[30:31], -v[32:33]
	ds_load_b128 v[6:9], v1 offset:1520
	s_wait_loadcnt_dscnt 0x601
	v_mul_f64_e32 v[153:154], v[2:3], v[40:41]
	v_mul_f64_e32 v[40:41], v[4:5], v[40:41]
	s_wait_loadcnt_dscnt 0x500
	v_mul_f64_e32 v[28:29], v[6:7], v[149:150]
	v_mul_f64_e32 v[32:33], v[8:9], v[149:150]
	v_add_f64_e32 v[24:25], v[26:27], v[24:25]
	v_add_f64_e32 v[22:23], v[22:23], v[30:31]
	v_fma_f64 v[149:150], v[4:5], v[38:39], v[153:154]
	v_fma_f64 v[38:39], v[2:3], v[38:39], -v[40:41]
	ds_load_b128 v[2:5], v1 offset:1536
	v_fma_f64 v[28:29], v[8:9], v[147:148], v[28:29]
	v_fma_f64 v[32:33], v[6:7], v[147:148], -v[32:33]
	ds_load_b128 v[6:9], v1 offset:1552
	s_wait_loadcnt_dscnt 0x401
	v_mul_f64_e32 v[26:27], v[2:3], v[36:37]
	v_mul_f64_e32 v[30:31], v[4:5], v[36:37]
	v_add_f64_e32 v[24:25], v[24:25], v[149:150]
	v_add_f64_e32 v[22:23], v[22:23], v[38:39]
	s_wait_loadcnt_dscnt 0x300
	v_mul_f64_e32 v[36:37], v[6:7], v[145:146]
	v_mul_f64_e32 v[38:39], v[8:9], v[145:146]
	v_fma_f64 v[26:27], v[4:5], v[34:35], v[26:27]
	v_fma_f64 v[30:31], v[2:3], v[34:35], -v[30:31]
	ds_load_b128 v[2:5], v1 offset:1568
	v_add_f64_e32 v[24:25], v[24:25], v[28:29]
	v_add_f64_e32 v[22:23], v[22:23], v[32:33]
	v_fma_f64 v[32:33], v[8:9], v[143:144], v[36:37]
	v_fma_f64 v[34:35], v[6:7], v[143:144], -v[38:39]
	ds_load_b128 v[6:9], v1 offset:1584
	s_wait_loadcnt_dscnt 0x201
	v_mul_f64_e32 v[28:29], v[2:3], v[12:13]
	v_mul_f64_e32 v[12:13], v[4:5], v[12:13]
	v_add_f64_e32 v[24:25], v[24:25], v[26:27]
	v_add_f64_e32 v[22:23], v[22:23], v[30:31]
	s_wait_loadcnt_dscnt 0x100
	v_mul_f64_e32 v[26:27], v[6:7], v[16:17]
	v_mul_f64_e32 v[16:17], v[8:9], v[16:17]
	v_fma_f64 v[4:5], v[4:5], v[10:11], v[28:29]
	v_fma_f64 v[1:2], v[2:3], v[10:11], -v[12:13]
	v_add_f64_e32 v[12:13], v[24:25], v[32:33]
	v_add_f64_e32 v[10:11], v[22:23], v[34:35]
	v_fma_f64 v[8:9], v[8:9], v[14:15], v[26:27]
	v_fma_f64 v[6:7], v[6:7], v[14:15], -v[16:17]
	s_delay_alu instid0(VALU_DEP_4) | instskip(NEXT) | instid1(VALU_DEP_4)
	v_add_f64_e32 v[3:4], v[12:13], v[4:5]
	v_add_f64_e32 v[1:2], v[10:11], v[1:2]
	s_delay_alu instid0(VALU_DEP_2) | instskip(NEXT) | instid1(VALU_DEP_2)
	v_add_f64_e32 v[3:4], v[3:4], v[8:9]
	v_add_f64_e32 v[1:2], v[1:2], v[6:7]
	s_wait_loadcnt 0x0
	s_delay_alu instid0(VALU_DEP_2) | instskip(NEXT) | instid1(VALU_DEP_2)
	v_add_f64_e64 v[3:4], v[20:21], -v[3:4]
	v_add_f64_e64 v[1:2], v[18:19], -v[1:2]
	scratch_store_b128 off, v[1:4], off offset:416
	v_cmpx_lt_u32_e32 24, v0
	s_cbranch_execz .LBB113_265
; %bb.264:
	scratch_load_b128 v[1:4], off, s39
	v_mov_b32_e32 v5, 0
	s_delay_alu instid0(VALU_DEP_1)
	v_dual_mov_b32 v6, v5 :: v_dual_mov_b32 v7, v5
	v_mov_b32_e32 v8, v5
	scratch_store_b128 off, v[5:8], off offset:400
	s_wait_loadcnt 0x0
	ds_store_b128 v142, v[1:4]
.LBB113_265:
	s_wait_alu 0xfffe
	s_or_b32 exec_lo, exec_lo, s0
	s_wait_storecnt_dscnt 0x0
	s_barrier_signal -1
	s_barrier_wait -1
	global_inv scope:SCOPE_SE
	s_clause 0x7
	scratch_load_b128 v[2:5], off, off offset:416
	scratch_load_b128 v[6:9], off, off offset:432
	;; [unrolled: 1-line block ×8, first 2 shown]
	v_mov_b32_e32 v1, 0
	s_clause 0x1
	scratch_load_b128 v[38:41], off, off offset:544
	scratch_load_b128 v[147:150], off, off offset:560
	s_mov_b32 s0, exec_lo
	ds_load_b128 v[34:37], v1 offset:1200
	ds_load_b128 v[143:146], v1 offset:1216
	s_wait_loadcnt_dscnt 0x901
	v_mul_f64_e32 v[151:152], v[36:37], v[4:5]
	v_mul_f64_e32 v[4:5], v[34:35], v[4:5]
	s_wait_loadcnt_dscnt 0x800
	v_mul_f64_e32 v[153:154], v[143:144], v[8:9]
	v_mul_f64_e32 v[8:9], v[145:146], v[8:9]
	s_delay_alu instid0(VALU_DEP_4) | instskip(NEXT) | instid1(VALU_DEP_4)
	v_fma_f64 v[151:152], v[34:35], v[2:3], -v[151:152]
	v_fma_f64 v[155:156], v[36:37], v[2:3], v[4:5]
	ds_load_b128 v[2:5], v1 offset:1232
	scratch_load_b128 v[34:37], off, off offset:576
	v_fma_f64 v[153:154], v[145:146], v[6:7], v[153:154]
	v_fma_f64 v[159:160], v[143:144], v[6:7], -v[8:9]
	ds_load_b128 v[6:9], v1 offset:1248
	scratch_load_b128 v[143:146], off, off offset:592
	s_wait_loadcnt_dscnt 0x901
	v_mul_f64_e32 v[157:158], v[2:3], v[12:13]
	v_mul_f64_e32 v[12:13], v[4:5], v[12:13]
	s_wait_loadcnt_dscnt 0x800
	v_mul_f64_e32 v[161:162], v[6:7], v[16:17]
	v_mul_f64_e32 v[16:17], v[8:9], v[16:17]
	v_add_f64_e32 v[151:152], 0, v[151:152]
	v_add_f64_e32 v[155:156], 0, v[155:156]
	v_fma_f64 v[157:158], v[4:5], v[10:11], v[157:158]
	v_fma_f64 v[163:164], v[2:3], v[10:11], -v[12:13]
	ds_load_b128 v[2:5], v1 offset:1264
	scratch_load_b128 v[10:13], off, off offset:608
	v_add_f64_e32 v[151:152], v[151:152], v[159:160]
	v_add_f64_e32 v[153:154], v[155:156], v[153:154]
	v_fma_f64 v[159:160], v[8:9], v[14:15], v[161:162]
	v_fma_f64 v[161:162], v[6:7], v[14:15], -v[16:17]
	ds_load_b128 v[6:9], v1 offset:1280
	scratch_load_b128 v[14:17], off, off offset:624
	s_wait_loadcnt_dscnt 0x901
	v_mul_f64_e32 v[155:156], v[2:3], v[20:21]
	v_mul_f64_e32 v[20:21], v[4:5], v[20:21]
	v_add_f64_e32 v[151:152], v[151:152], v[163:164]
	v_add_f64_e32 v[153:154], v[153:154], v[157:158]
	s_wait_loadcnt_dscnt 0x800
	v_mul_f64_e32 v[157:158], v[6:7], v[24:25]
	v_mul_f64_e32 v[24:25], v[8:9], v[24:25]
	v_fma_f64 v[155:156], v[4:5], v[18:19], v[155:156]
	v_fma_f64 v[163:164], v[2:3], v[18:19], -v[20:21]
	ds_load_b128 v[2:5], v1 offset:1296
	scratch_load_b128 v[18:21], off, off offset:640
	v_add_f64_e32 v[151:152], v[151:152], v[161:162]
	v_add_f64_e32 v[153:154], v[153:154], v[159:160]
	v_fma_f64 v[157:158], v[8:9], v[22:23], v[157:158]
	v_fma_f64 v[161:162], v[6:7], v[22:23], -v[24:25]
	ds_load_b128 v[6:9], v1 offset:1312
	s_wait_loadcnt_dscnt 0x801
	v_mul_f64_e32 v[159:160], v[2:3], v[28:29]
	v_mul_f64_e32 v[28:29], v[4:5], v[28:29]
	scratch_load_b128 v[22:25], off, off offset:656
	v_add_f64_e32 v[151:152], v[151:152], v[163:164]
	v_add_f64_e32 v[153:154], v[153:154], v[155:156]
	s_wait_loadcnt_dscnt 0x800
	v_mul_f64_e32 v[155:156], v[6:7], v[32:33]
	v_mul_f64_e32 v[32:33], v[8:9], v[32:33]
	v_fma_f64 v[159:160], v[4:5], v[26:27], v[159:160]
	v_fma_f64 v[163:164], v[2:3], v[26:27], -v[28:29]
	ds_load_b128 v[2:5], v1 offset:1328
	scratch_load_b128 v[26:29], off, off offset:672
	v_add_f64_e32 v[151:152], v[151:152], v[161:162]
	v_add_f64_e32 v[153:154], v[153:154], v[157:158]
	v_fma_f64 v[155:156], v[8:9], v[30:31], v[155:156]
	v_fma_f64 v[161:162], v[6:7], v[30:31], -v[32:33]
	ds_load_b128 v[6:9], v1 offset:1344
	s_wait_loadcnt_dscnt 0x801
	v_mul_f64_e32 v[157:158], v[2:3], v[40:41]
	v_mul_f64_e32 v[40:41], v[4:5], v[40:41]
	scratch_load_b128 v[30:33], off, off offset:688
	v_add_f64_e32 v[151:152], v[151:152], v[163:164]
	v_add_f64_e32 v[153:154], v[153:154], v[159:160]
	s_wait_loadcnt_dscnt 0x800
	v_mul_f64_e32 v[159:160], v[6:7], v[149:150]
	v_mul_f64_e32 v[149:150], v[8:9], v[149:150]
	v_fma_f64 v[157:158], v[4:5], v[38:39], v[157:158]
	v_fma_f64 v[163:164], v[2:3], v[38:39], -v[40:41]
	ds_load_b128 v[2:5], v1 offset:1360
	scratch_load_b128 v[38:41], off, off offset:704
	v_add_f64_e32 v[151:152], v[151:152], v[161:162]
	v_add_f64_e32 v[153:154], v[153:154], v[155:156]
	v_fma_f64 v[159:160], v[8:9], v[147:148], v[159:160]
	v_fma_f64 v[161:162], v[6:7], v[147:148], -v[149:150]
	ds_load_b128 v[6:9], v1 offset:1376
	scratch_load_b128 v[147:150], off, off offset:720
	s_wait_loadcnt_dscnt 0x901
	v_mul_f64_e32 v[155:156], v[2:3], v[36:37]
	v_mul_f64_e32 v[36:37], v[4:5], v[36:37]
	v_add_f64_e32 v[151:152], v[151:152], v[163:164]
	v_add_f64_e32 v[153:154], v[153:154], v[157:158]
	s_wait_loadcnt_dscnt 0x800
	v_mul_f64_e32 v[157:158], v[6:7], v[145:146]
	v_mul_f64_e32 v[145:146], v[8:9], v[145:146]
	v_fma_f64 v[155:156], v[4:5], v[34:35], v[155:156]
	v_fma_f64 v[163:164], v[2:3], v[34:35], -v[36:37]
	ds_load_b128 v[2:5], v1 offset:1392
	scratch_load_b128 v[34:37], off, off offset:736
	v_add_f64_e32 v[151:152], v[151:152], v[161:162]
	v_add_f64_e32 v[153:154], v[153:154], v[159:160]
	v_fma_f64 v[157:158], v[8:9], v[143:144], v[157:158]
	v_fma_f64 v[161:162], v[6:7], v[143:144], -v[145:146]
	ds_load_b128 v[6:9], v1 offset:1408
	s_wait_loadcnt_dscnt 0x801
	v_mul_f64_e32 v[159:160], v[2:3], v[12:13]
	v_mul_f64_e32 v[12:13], v[4:5], v[12:13]
	scratch_load_b128 v[143:146], off, off offset:752
	v_add_f64_e32 v[151:152], v[151:152], v[163:164]
	v_add_f64_e32 v[153:154], v[153:154], v[155:156]
	s_wait_loadcnt_dscnt 0x800
	v_mul_f64_e32 v[155:156], v[6:7], v[16:17]
	v_mul_f64_e32 v[16:17], v[8:9], v[16:17]
	v_fma_f64 v[159:160], v[4:5], v[10:11], v[159:160]
	v_fma_f64 v[163:164], v[2:3], v[10:11], -v[12:13]
	ds_load_b128 v[2:5], v1 offset:1424
	scratch_load_b128 v[10:13], off, off offset:768
	v_add_f64_e32 v[151:152], v[151:152], v[161:162]
	v_add_f64_e32 v[153:154], v[153:154], v[157:158]
	v_fma_f64 v[155:156], v[8:9], v[14:15], v[155:156]
	v_fma_f64 v[161:162], v[6:7], v[14:15], -v[16:17]
	ds_load_b128 v[6:9], v1 offset:1440
	s_wait_loadcnt_dscnt 0x801
	v_mul_f64_e32 v[157:158], v[2:3], v[20:21]
	v_mul_f64_e32 v[20:21], v[4:5], v[20:21]
	scratch_load_b128 v[14:17], off, off offset:784
	v_add_f64_e32 v[151:152], v[151:152], v[163:164]
	v_add_f64_e32 v[153:154], v[153:154], v[159:160]
	s_wait_loadcnt_dscnt 0x800
	v_mul_f64_e32 v[159:160], v[6:7], v[24:25]
	v_mul_f64_e32 v[24:25], v[8:9], v[24:25]
	v_fma_f64 v[157:158], v[4:5], v[18:19], v[157:158]
	v_fma_f64 v[163:164], v[2:3], v[18:19], -v[20:21]
	ds_load_b128 v[2:5], v1 offset:1456
	scratch_load_b128 v[18:21], off, off offset:800
	v_add_f64_e32 v[151:152], v[151:152], v[161:162]
	v_add_f64_e32 v[153:154], v[153:154], v[155:156]
	v_fma_f64 v[159:160], v[8:9], v[22:23], v[159:160]
	v_fma_f64 v[22:23], v[6:7], v[22:23], -v[24:25]
	ds_load_b128 v[6:9], v1 offset:1472
	s_wait_loadcnt_dscnt 0x801
	v_mul_f64_e32 v[155:156], v[2:3], v[28:29]
	v_mul_f64_e32 v[28:29], v[4:5], v[28:29]
	v_add_f64_e32 v[24:25], v[151:152], v[163:164]
	v_add_f64_e32 v[151:152], v[153:154], v[157:158]
	s_wait_loadcnt_dscnt 0x700
	v_mul_f64_e32 v[153:154], v[6:7], v[32:33]
	v_mul_f64_e32 v[32:33], v[8:9], v[32:33]
	v_fma_f64 v[155:156], v[4:5], v[26:27], v[155:156]
	v_fma_f64 v[26:27], v[2:3], v[26:27], -v[28:29]
	ds_load_b128 v[2:5], v1 offset:1488
	v_add_f64_e32 v[22:23], v[24:25], v[22:23]
	v_add_f64_e32 v[24:25], v[151:152], v[159:160]
	v_fma_f64 v[151:152], v[8:9], v[30:31], v[153:154]
	v_fma_f64 v[30:31], v[6:7], v[30:31], -v[32:33]
	ds_load_b128 v[6:9], v1 offset:1504
	s_wait_loadcnt_dscnt 0x500
	v_mul_f64_e32 v[153:154], v[6:7], v[149:150]
	v_mul_f64_e32 v[149:150], v[8:9], v[149:150]
	v_add_f64_e32 v[26:27], v[22:23], v[26:27]
	v_add_f64_e32 v[32:33], v[24:25], v[155:156]
	scratch_load_b128 v[22:25], off, off offset:400
	v_mul_f64_e32 v[28:29], v[2:3], v[40:41]
	v_mul_f64_e32 v[40:41], v[4:5], v[40:41]
	v_add_f64_e32 v[26:27], v[26:27], v[30:31]
	v_add_f64_e32 v[30:31], v[32:33], v[151:152]
	s_delay_alu instid0(VALU_DEP_4) | instskip(NEXT) | instid1(VALU_DEP_4)
	v_fma_f64 v[28:29], v[4:5], v[38:39], v[28:29]
	v_fma_f64 v[38:39], v[2:3], v[38:39], -v[40:41]
	ds_load_b128 v[2:5], v1 offset:1520
	v_fma_f64 v[40:41], v[8:9], v[147:148], v[153:154]
	v_fma_f64 v[147:148], v[6:7], v[147:148], -v[149:150]
	ds_load_b128 v[6:9], v1 offset:1536
	s_wait_loadcnt_dscnt 0x501
	v_mul_f64_e32 v[32:33], v[2:3], v[36:37]
	v_mul_f64_e32 v[36:37], v[4:5], v[36:37]
	v_add_f64_e32 v[28:29], v[30:31], v[28:29]
	v_add_f64_e32 v[26:27], v[26:27], v[38:39]
	s_wait_loadcnt_dscnt 0x400
	v_mul_f64_e32 v[30:31], v[6:7], v[145:146]
	v_mul_f64_e32 v[38:39], v[8:9], v[145:146]
	v_fma_f64 v[32:33], v[4:5], v[34:35], v[32:33]
	v_fma_f64 v[34:35], v[2:3], v[34:35], -v[36:37]
	ds_load_b128 v[2:5], v1 offset:1552
	v_add_f64_e32 v[28:29], v[28:29], v[40:41]
	v_add_f64_e32 v[26:27], v[26:27], v[147:148]
	v_fma_f64 v[30:31], v[8:9], v[143:144], v[30:31]
	v_fma_f64 v[38:39], v[6:7], v[143:144], -v[38:39]
	ds_load_b128 v[6:9], v1 offset:1568
	s_wait_loadcnt_dscnt 0x301
	v_mul_f64_e32 v[36:37], v[2:3], v[12:13]
	v_mul_f64_e32 v[12:13], v[4:5], v[12:13]
	v_add_f64_e32 v[28:29], v[28:29], v[32:33]
	v_add_f64_e32 v[26:27], v[26:27], v[34:35]
	s_wait_loadcnt_dscnt 0x200
	v_mul_f64_e32 v[32:33], v[6:7], v[16:17]
	v_mul_f64_e32 v[16:17], v[8:9], v[16:17]
	v_fma_f64 v[34:35], v[4:5], v[10:11], v[36:37]
	v_fma_f64 v[10:11], v[2:3], v[10:11], -v[12:13]
	ds_load_b128 v[2:5], v1 offset:1584
	v_add_f64_e32 v[12:13], v[26:27], v[38:39]
	v_add_f64_e32 v[26:27], v[28:29], v[30:31]
	s_wait_loadcnt_dscnt 0x100
	v_mul_f64_e32 v[28:29], v[2:3], v[20:21]
	v_mul_f64_e32 v[20:21], v[4:5], v[20:21]
	v_fma_f64 v[8:9], v[8:9], v[14:15], v[32:33]
	v_fma_f64 v[6:7], v[6:7], v[14:15], -v[16:17]
	v_add_f64_e32 v[10:11], v[12:13], v[10:11]
	v_add_f64_e32 v[12:13], v[26:27], v[34:35]
	v_fma_f64 v[4:5], v[4:5], v[18:19], v[28:29]
	v_fma_f64 v[2:3], v[2:3], v[18:19], -v[20:21]
	s_delay_alu instid0(VALU_DEP_4) | instskip(NEXT) | instid1(VALU_DEP_4)
	v_add_f64_e32 v[6:7], v[10:11], v[6:7]
	v_add_f64_e32 v[8:9], v[12:13], v[8:9]
	s_delay_alu instid0(VALU_DEP_2) | instskip(NEXT) | instid1(VALU_DEP_2)
	v_add_f64_e32 v[2:3], v[6:7], v[2:3]
	v_add_f64_e32 v[4:5], v[8:9], v[4:5]
	s_wait_loadcnt 0x0
	s_delay_alu instid0(VALU_DEP_2) | instskip(NEXT) | instid1(VALU_DEP_2)
	v_add_f64_e64 v[2:3], v[22:23], -v[2:3]
	v_add_f64_e64 v[4:5], v[24:25], -v[4:5]
	scratch_store_b128 off, v[2:5], off offset:400
	v_cmpx_lt_u32_e32 23, v0
	s_cbranch_execz .LBB113_267
; %bb.266:
	scratch_load_b128 v[5:8], off, s40
	v_dual_mov_b32 v2, v1 :: v_dual_mov_b32 v3, v1
	v_mov_b32_e32 v4, v1
	scratch_store_b128 off, v[1:4], off offset:384
	s_wait_loadcnt 0x0
	ds_store_b128 v142, v[5:8]
.LBB113_267:
	s_wait_alu 0xfffe
	s_or_b32 exec_lo, exec_lo, s0
	s_wait_storecnt_dscnt 0x0
	s_barrier_signal -1
	s_barrier_wait -1
	global_inv scope:SCOPE_SE
	s_clause 0x7
	scratch_load_b128 v[2:5], off, off offset:400
	scratch_load_b128 v[6:9], off, off offset:416
	scratch_load_b128 v[10:13], off, off offset:432
	scratch_load_b128 v[14:17], off, off offset:448
	scratch_load_b128 v[18:21], off, off offset:464
	scratch_load_b128 v[22:25], off, off offset:480
	scratch_load_b128 v[26:29], off, off offset:496
	scratch_load_b128 v[30:33], off, off offset:512
	ds_load_b128 v[34:37], v1 offset:1184
	ds_load_b128 v[143:146], v1 offset:1200
	s_clause 0x1
	scratch_load_b128 v[38:41], off, off offset:528
	scratch_load_b128 v[147:150], off, off offset:544
	s_mov_b32 s0, exec_lo
	s_wait_loadcnt_dscnt 0x901
	v_mul_f64_e32 v[151:152], v[36:37], v[4:5]
	v_mul_f64_e32 v[4:5], v[34:35], v[4:5]
	s_wait_loadcnt_dscnt 0x800
	v_mul_f64_e32 v[153:154], v[143:144], v[8:9]
	v_mul_f64_e32 v[8:9], v[145:146], v[8:9]
	s_delay_alu instid0(VALU_DEP_4) | instskip(NEXT) | instid1(VALU_DEP_4)
	v_fma_f64 v[151:152], v[34:35], v[2:3], -v[151:152]
	v_fma_f64 v[155:156], v[36:37], v[2:3], v[4:5]
	ds_load_b128 v[2:5], v1 offset:1216
	scratch_load_b128 v[34:37], off, off offset:560
	v_fma_f64 v[153:154], v[145:146], v[6:7], v[153:154]
	v_fma_f64 v[159:160], v[143:144], v[6:7], -v[8:9]
	ds_load_b128 v[6:9], v1 offset:1232
	scratch_load_b128 v[143:146], off, off offset:576
	s_wait_loadcnt_dscnt 0x901
	v_mul_f64_e32 v[157:158], v[2:3], v[12:13]
	v_mul_f64_e32 v[12:13], v[4:5], v[12:13]
	s_wait_loadcnt_dscnt 0x800
	v_mul_f64_e32 v[161:162], v[6:7], v[16:17]
	v_mul_f64_e32 v[16:17], v[8:9], v[16:17]
	v_add_f64_e32 v[151:152], 0, v[151:152]
	v_add_f64_e32 v[155:156], 0, v[155:156]
	v_fma_f64 v[157:158], v[4:5], v[10:11], v[157:158]
	v_fma_f64 v[163:164], v[2:3], v[10:11], -v[12:13]
	ds_load_b128 v[2:5], v1 offset:1248
	scratch_load_b128 v[10:13], off, off offset:592
	v_add_f64_e32 v[151:152], v[151:152], v[159:160]
	v_add_f64_e32 v[153:154], v[155:156], v[153:154]
	v_fma_f64 v[159:160], v[8:9], v[14:15], v[161:162]
	v_fma_f64 v[161:162], v[6:7], v[14:15], -v[16:17]
	ds_load_b128 v[6:9], v1 offset:1264
	scratch_load_b128 v[14:17], off, off offset:608
	s_wait_loadcnt_dscnt 0x901
	v_mul_f64_e32 v[155:156], v[2:3], v[20:21]
	v_mul_f64_e32 v[20:21], v[4:5], v[20:21]
	v_add_f64_e32 v[151:152], v[151:152], v[163:164]
	v_add_f64_e32 v[153:154], v[153:154], v[157:158]
	s_wait_loadcnt_dscnt 0x800
	v_mul_f64_e32 v[157:158], v[6:7], v[24:25]
	v_mul_f64_e32 v[24:25], v[8:9], v[24:25]
	v_fma_f64 v[155:156], v[4:5], v[18:19], v[155:156]
	v_fma_f64 v[163:164], v[2:3], v[18:19], -v[20:21]
	ds_load_b128 v[2:5], v1 offset:1280
	scratch_load_b128 v[18:21], off, off offset:624
	v_add_f64_e32 v[151:152], v[151:152], v[161:162]
	v_add_f64_e32 v[153:154], v[153:154], v[159:160]
	v_fma_f64 v[157:158], v[8:9], v[22:23], v[157:158]
	v_fma_f64 v[161:162], v[6:7], v[22:23], -v[24:25]
	ds_load_b128 v[6:9], v1 offset:1296
	s_wait_loadcnt_dscnt 0x801
	v_mul_f64_e32 v[159:160], v[2:3], v[28:29]
	v_mul_f64_e32 v[28:29], v[4:5], v[28:29]
	scratch_load_b128 v[22:25], off, off offset:640
	v_add_f64_e32 v[151:152], v[151:152], v[163:164]
	v_add_f64_e32 v[153:154], v[153:154], v[155:156]
	s_wait_loadcnt_dscnt 0x800
	v_mul_f64_e32 v[155:156], v[6:7], v[32:33]
	v_mul_f64_e32 v[32:33], v[8:9], v[32:33]
	v_fma_f64 v[159:160], v[4:5], v[26:27], v[159:160]
	v_fma_f64 v[163:164], v[2:3], v[26:27], -v[28:29]
	ds_load_b128 v[2:5], v1 offset:1312
	scratch_load_b128 v[26:29], off, off offset:656
	v_add_f64_e32 v[151:152], v[151:152], v[161:162]
	v_add_f64_e32 v[153:154], v[153:154], v[157:158]
	v_fma_f64 v[155:156], v[8:9], v[30:31], v[155:156]
	v_fma_f64 v[161:162], v[6:7], v[30:31], -v[32:33]
	ds_load_b128 v[6:9], v1 offset:1328
	s_wait_loadcnt_dscnt 0x801
	v_mul_f64_e32 v[157:158], v[2:3], v[40:41]
	v_mul_f64_e32 v[40:41], v[4:5], v[40:41]
	scratch_load_b128 v[30:33], off, off offset:672
	v_add_f64_e32 v[151:152], v[151:152], v[163:164]
	v_add_f64_e32 v[153:154], v[153:154], v[159:160]
	s_wait_loadcnt_dscnt 0x800
	v_mul_f64_e32 v[159:160], v[6:7], v[149:150]
	v_mul_f64_e32 v[149:150], v[8:9], v[149:150]
	v_fma_f64 v[157:158], v[4:5], v[38:39], v[157:158]
	v_fma_f64 v[163:164], v[2:3], v[38:39], -v[40:41]
	ds_load_b128 v[2:5], v1 offset:1344
	scratch_load_b128 v[38:41], off, off offset:688
	v_add_f64_e32 v[151:152], v[151:152], v[161:162]
	v_add_f64_e32 v[153:154], v[153:154], v[155:156]
	v_fma_f64 v[159:160], v[8:9], v[147:148], v[159:160]
	v_fma_f64 v[161:162], v[6:7], v[147:148], -v[149:150]
	ds_load_b128 v[6:9], v1 offset:1360
	scratch_load_b128 v[147:150], off, off offset:704
	s_wait_loadcnt_dscnt 0x901
	v_mul_f64_e32 v[155:156], v[2:3], v[36:37]
	v_mul_f64_e32 v[36:37], v[4:5], v[36:37]
	v_add_f64_e32 v[151:152], v[151:152], v[163:164]
	v_add_f64_e32 v[153:154], v[153:154], v[157:158]
	s_wait_loadcnt_dscnt 0x800
	v_mul_f64_e32 v[157:158], v[6:7], v[145:146]
	v_mul_f64_e32 v[145:146], v[8:9], v[145:146]
	v_fma_f64 v[155:156], v[4:5], v[34:35], v[155:156]
	v_fma_f64 v[163:164], v[2:3], v[34:35], -v[36:37]
	ds_load_b128 v[2:5], v1 offset:1376
	scratch_load_b128 v[34:37], off, off offset:720
	v_add_f64_e32 v[151:152], v[151:152], v[161:162]
	v_add_f64_e32 v[153:154], v[153:154], v[159:160]
	v_fma_f64 v[157:158], v[8:9], v[143:144], v[157:158]
	v_fma_f64 v[161:162], v[6:7], v[143:144], -v[145:146]
	ds_load_b128 v[6:9], v1 offset:1392
	s_wait_loadcnt_dscnt 0x801
	v_mul_f64_e32 v[159:160], v[2:3], v[12:13]
	v_mul_f64_e32 v[12:13], v[4:5], v[12:13]
	scratch_load_b128 v[143:146], off, off offset:736
	v_add_f64_e32 v[151:152], v[151:152], v[163:164]
	v_add_f64_e32 v[153:154], v[153:154], v[155:156]
	s_wait_loadcnt_dscnt 0x800
	v_mul_f64_e32 v[155:156], v[6:7], v[16:17]
	v_mul_f64_e32 v[16:17], v[8:9], v[16:17]
	v_fma_f64 v[159:160], v[4:5], v[10:11], v[159:160]
	v_fma_f64 v[163:164], v[2:3], v[10:11], -v[12:13]
	ds_load_b128 v[2:5], v1 offset:1408
	scratch_load_b128 v[10:13], off, off offset:752
	v_add_f64_e32 v[151:152], v[151:152], v[161:162]
	v_add_f64_e32 v[153:154], v[153:154], v[157:158]
	v_fma_f64 v[155:156], v[8:9], v[14:15], v[155:156]
	v_fma_f64 v[161:162], v[6:7], v[14:15], -v[16:17]
	ds_load_b128 v[6:9], v1 offset:1424
	s_wait_loadcnt_dscnt 0x801
	v_mul_f64_e32 v[157:158], v[2:3], v[20:21]
	v_mul_f64_e32 v[20:21], v[4:5], v[20:21]
	scratch_load_b128 v[14:17], off, off offset:768
	;; [unrolled: 18-line block ×3, first 2 shown]
	v_add_f64_e32 v[151:152], v[151:152], v[163:164]
	v_add_f64_e32 v[153:154], v[153:154], v[157:158]
	s_wait_loadcnt_dscnt 0x800
	v_mul_f64_e32 v[157:158], v[6:7], v[32:33]
	v_mul_f64_e32 v[32:33], v[8:9], v[32:33]
	v_fma_f64 v[155:156], v[4:5], v[26:27], v[155:156]
	v_fma_f64 v[26:27], v[2:3], v[26:27], -v[28:29]
	ds_load_b128 v[2:5], v1 offset:1472
	v_add_f64_e32 v[28:29], v[151:152], v[161:162]
	v_add_f64_e32 v[151:152], v[153:154], v[159:160]
	v_fma_f64 v[157:158], v[8:9], v[30:31], v[157:158]
	v_fma_f64 v[30:31], v[6:7], v[30:31], -v[32:33]
	ds_load_b128 v[6:9], v1 offset:1488
	s_wait_loadcnt_dscnt 0x701
	v_mul_f64_e32 v[153:154], v[2:3], v[40:41]
	v_mul_f64_e32 v[40:41], v[4:5], v[40:41]
	v_add_f64_e32 v[26:27], v[28:29], v[26:27]
	v_add_f64_e32 v[28:29], v[151:152], v[155:156]
	s_delay_alu instid0(VALU_DEP_4) | instskip(NEXT) | instid1(VALU_DEP_4)
	v_fma_f64 v[151:152], v[4:5], v[38:39], v[153:154]
	v_fma_f64 v[38:39], v[2:3], v[38:39], -v[40:41]
	ds_load_b128 v[2:5], v1 offset:1504
	v_add_f64_e32 v[30:31], v[26:27], v[30:31]
	v_add_f64_e32 v[40:41], v[28:29], v[157:158]
	scratch_load_b128 v[26:29], off, off offset:384
	s_wait_loadcnt_dscnt 0x701
	v_mul_f64_e32 v[32:33], v[6:7], v[149:150]
	v_mul_f64_e32 v[149:150], v[8:9], v[149:150]
	v_add_f64_e32 v[30:31], v[30:31], v[38:39]
	v_add_f64_e32 v[38:39], v[40:41], v[151:152]
	s_delay_alu instid0(VALU_DEP_4) | instskip(NEXT) | instid1(VALU_DEP_4)
	v_fma_f64 v[32:33], v[8:9], v[147:148], v[32:33]
	v_fma_f64 v[147:148], v[6:7], v[147:148], -v[149:150]
	ds_load_b128 v[6:9], v1 offset:1520
	s_wait_loadcnt_dscnt 0x601
	v_mul_f64_e32 v[153:154], v[2:3], v[36:37]
	v_mul_f64_e32 v[36:37], v[4:5], v[36:37]
	s_wait_loadcnt_dscnt 0x500
	v_mul_f64_e32 v[40:41], v[6:7], v[145:146]
	v_mul_f64_e32 v[145:146], v[8:9], v[145:146]
	v_add_f64_e32 v[32:33], v[38:39], v[32:33]
	v_add_f64_e32 v[30:31], v[30:31], v[147:148]
	v_fma_f64 v[149:150], v[4:5], v[34:35], v[153:154]
	v_fma_f64 v[34:35], v[2:3], v[34:35], -v[36:37]
	ds_load_b128 v[2:5], v1 offset:1536
	v_fma_f64 v[38:39], v[8:9], v[143:144], v[40:41]
	v_fma_f64 v[40:41], v[6:7], v[143:144], -v[145:146]
	ds_load_b128 v[6:9], v1 offset:1552
	s_wait_loadcnt_dscnt 0x401
	v_mul_f64_e32 v[36:37], v[2:3], v[12:13]
	v_mul_f64_e32 v[12:13], v[4:5], v[12:13]
	v_add_f64_e32 v[32:33], v[32:33], v[149:150]
	v_add_f64_e32 v[30:31], v[30:31], v[34:35]
	s_wait_loadcnt_dscnt 0x300
	v_mul_f64_e32 v[34:35], v[6:7], v[16:17]
	v_mul_f64_e32 v[16:17], v[8:9], v[16:17]
	v_fma_f64 v[36:37], v[4:5], v[10:11], v[36:37]
	v_fma_f64 v[10:11], v[2:3], v[10:11], -v[12:13]
	ds_load_b128 v[2:5], v1 offset:1568
	v_add_f64_e32 v[12:13], v[30:31], v[40:41]
	v_add_f64_e32 v[30:31], v[32:33], v[38:39]
	v_fma_f64 v[34:35], v[8:9], v[14:15], v[34:35]
	v_fma_f64 v[14:15], v[6:7], v[14:15], -v[16:17]
	ds_load_b128 v[6:9], v1 offset:1584
	s_wait_loadcnt_dscnt 0x201
	v_mul_f64_e32 v[32:33], v[2:3], v[20:21]
	v_mul_f64_e32 v[20:21], v[4:5], v[20:21]
	s_wait_loadcnt_dscnt 0x100
	v_mul_f64_e32 v[16:17], v[6:7], v[24:25]
	v_mul_f64_e32 v[24:25], v[8:9], v[24:25]
	v_add_f64_e32 v[10:11], v[12:13], v[10:11]
	v_add_f64_e32 v[12:13], v[30:31], v[36:37]
	v_fma_f64 v[4:5], v[4:5], v[18:19], v[32:33]
	v_fma_f64 v[1:2], v[2:3], v[18:19], -v[20:21]
	v_fma_f64 v[8:9], v[8:9], v[22:23], v[16:17]
	v_fma_f64 v[6:7], v[6:7], v[22:23], -v[24:25]
	v_add_f64_e32 v[10:11], v[10:11], v[14:15]
	v_add_f64_e32 v[12:13], v[12:13], v[34:35]
	s_delay_alu instid0(VALU_DEP_2) | instskip(NEXT) | instid1(VALU_DEP_2)
	v_add_f64_e32 v[1:2], v[10:11], v[1:2]
	v_add_f64_e32 v[3:4], v[12:13], v[4:5]
	s_delay_alu instid0(VALU_DEP_2) | instskip(NEXT) | instid1(VALU_DEP_2)
	v_add_f64_e32 v[1:2], v[1:2], v[6:7]
	v_add_f64_e32 v[3:4], v[3:4], v[8:9]
	s_wait_loadcnt 0x0
	s_delay_alu instid0(VALU_DEP_2) | instskip(NEXT) | instid1(VALU_DEP_2)
	v_add_f64_e64 v[1:2], v[26:27], -v[1:2]
	v_add_f64_e64 v[3:4], v[28:29], -v[3:4]
	scratch_store_b128 off, v[1:4], off offset:384
	v_cmpx_lt_u32_e32 22, v0
	s_cbranch_execz .LBB113_269
; %bb.268:
	scratch_load_b128 v[1:4], off, s41
	v_mov_b32_e32 v5, 0
	s_delay_alu instid0(VALU_DEP_1)
	v_dual_mov_b32 v6, v5 :: v_dual_mov_b32 v7, v5
	v_mov_b32_e32 v8, v5
	scratch_store_b128 off, v[5:8], off offset:368
	s_wait_loadcnt 0x0
	ds_store_b128 v142, v[1:4]
.LBB113_269:
	s_wait_alu 0xfffe
	s_or_b32 exec_lo, exec_lo, s0
	s_wait_storecnt_dscnt 0x0
	s_barrier_signal -1
	s_barrier_wait -1
	global_inv scope:SCOPE_SE
	s_clause 0x7
	scratch_load_b128 v[2:5], off, off offset:384
	scratch_load_b128 v[6:9], off, off offset:400
	;; [unrolled: 1-line block ×8, first 2 shown]
	v_mov_b32_e32 v1, 0
	s_clause 0x1
	scratch_load_b128 v[38:41], off, off offset:512
	scratch_load_b128 v[147:150], off, off offset:528
	s_mov_b32 s0, exec_lo
	ds_load_b128 v[34:37], v1 offset:1168
	ds_load_b128 v[143:146], v1 offset:1184
	s_wait_loadcnt_dscnt 0x901
	v_mul_f64_e32 v[151:152], v[36:37], v[4:5]
	v_mul_f64_e32 v[4:5], v[34:35], v[4:5]
	s_wait_loadcnt_dscnt 0x800
	v_mul_f64_e32 v[153:154], v[143:144], v[8:9]
	v_mul_f64_e32 v[8:9], v[145:146], v[8:9]
	s_delay_alu instid0(VALU_DEP_4) | instskip(NEXT) | instid1(VALU_DEP_4)
	v_fma_f64 v[151:152], v[34:35], v[2:3], -v[151:152]
	v_fma_f64 v[155:156], v[36:37], v[2:3], v[4:5]
	ds_load_b128 v[2:5], v1 offset:1200
	scratch_load_b128 v[34:37], off, off offset:544
	v_fma_f64 v[153:154], v[145:146], v[6:7], v[153:154]
	v_fma_f64 v[159:160], v[143:144], v[6:7], -v[8:9]
	ds_load_b128 v[6:9], v1 offset:1216
	scratch_load_b128 v[143:146], off, off offset:560
	s_wait_loadcnt_dscnt 0x901
	v_mul_f64_e32 v[157:158], v[2:3], v[12:13]
	v_mul_f64_e32 v[12:13], v[4:5], v[12:13]
	s_wait_loadcnt_dscnt 0x800
	v_mul_f64_e32 v[161:162], v[6:7], v[16:17]
	v_mul_f64_e32 v[16:17], v[8:9], v[16:17]
	v_add_f64_e32 v[151:152], 0, v[151:152]
	v_add_f64_e32 v[155:156], 0, v[155:156]
	v_fma_f64 v[157:158], v[4:5], v[10:11], v[157:158]
	v_fma_f64 v[163:164], v[2:3], v[10:11], -v[12:13]
	ds_load_b128 v[2:5], v1 offset:1232
	scratch_load_b128 v[10:13], off, off offset:576
	v_add_f64_e32 v[151:152], v[151:152], v[159:160]
	v_add_f64_e32 v[153:154], v[155:156], v[153:154]
	v_fma_f64 v[159:160], v[8:9], v[14:15], v[161:162]
	v_fma_f64 v[161:162], v[6:7], v[14:15], -v[16:17]
	ds_load_b128 v[6:9], v1 offset:1248
	scratch_load_b128 v[14:17], off, off offset:592
	s_wait_loadcnt_dscnt 0x901
	v_mul_f64_e32 v[155:156], v[2:3], v[20:21]
	v_mul_f64_e32 v[20:21], v[4:5], v[20:21]
	v_add_f64_e32 v[151:152], v[151:152], v[163:164]
	v_add_f64_e32 v[153:154], v[153:154], v[157:158]
	s_wait_loadcnt_dscnt 0x800
	v_mul_f64_e32 v[157:158], v[6:7], v[24:25]
	v_mul_f64_e32 v[24:25], v[8:9], v[24:25]
	v_fma_f64 v[155:156], v[4:5], v[18:19], v[155:156]
	v_fma_f64 v[163:164], v[2:3], v[18:19], -v[20:21]
	ds_load_b128 v[2:5], v1 offset:1264
	scratch_load_b128 v[18:21], off, off offset:608
	v_add_f64_e32 v[151:152], v[151:152], v[161:162]
	v_add_f64_e32 v[153:154], v[153:154], v[159:160]
	v_fma_f64 v[157:158], v[8:9], v[22:23], v[157:158]
	v_fma_f64 v[161:162], v[6:7], v[22:23], -v[24:25]
	ds_load_b128 v[6:9], v1 offset:1280
	s_wait_loadcnt_dscnt 0x801
	v_mul_f64_e32 v[159:160], v[2:3], v[28:29]
	v_mul_f64_e32 v[28:29], v[4:5], v[28:29]
	scratch_load_b128 v[22:25], off, off offset:624
	v_add_f64_e32 v[151:152], v[151:152], v[163:164]
	v_add_f64_e32 v[153:154], v[153:154], v[155:156]
	s_wait_loadcnt_dscnt 0x800
	v_mul_f64_e32 v[155:156], v[6:7], v[32:33]
	v_mul_f64_e32 v[32:33], v[8:9], v[32:33]
	v_fma_f64 v[159:160], v[4:5], v[26:27], v[159:160]
	v_fma_f64 v[163:164], v[2:3], v[26:27], -v[28:29]
	ds_load_b128 v[2:5], v1 offset:1296
	scratch_load_b128 v[26:29], off, off offset:640
	v_add_f64_e32 v[151:152], v[151:152], v[161:162]
	v_add_f64_e32 v[153:154], v[153:154], v[157:158]
	v_fma_f64 v[155:156], v[8:9], v[30:31], v[155:156]
	v_fma_f64 v[161:162], v[6:7], v[30:31], -v[32:33]
	ds_load_b128 v[6:9], v1 offset:1312
	s_wait_loadcnt_dscnt 0x801
	v_mul_f64_e32 v[157:158], v[2:3], v[40:41]
	v_mul_f64_e32 v[40:41], v[4:5], v[40:41]
	scratch_load_b128 v[30:33], off, off offset:656
	v_add_f64_e32 v[151:152], v[151:152], v[163:164]
	v_add_f64_e32 v[153:154], v[153:154], v[159:160]
	s_wait_loadcnt_dscnt 0x800
	v_mul_f64_e32 v[159:160], v[6:7], v[149:150]
	v_mul_f64_e32 v[149:150], v[8:9], v[149:150]
	v_fma_f64 v[157:158], v[4:5], v[38:39], v[157:158]
	v_fma_f64 v[163:164], v[2:3], v[38:39], -v[40:41]
	ds_load_b128 v[2:5], v1 offset:1328
	scratch_load_b128 v[38:41], off, off offset:672
	v_add_f64_e32 v[151:152], v[151:152], v[161:162]
	v_add_f64_e32 v[153:154], v[153:154], v[155:156]
	v_fma_f64 v[159:160], v[8:9], v[147:148], v[159:160]
	v_fma_f64 v[161:162], v[6:7], v[147:148], -v[149:150]
	ds_load_b128 v[6:9], v1 offset:1344
	scratch_load_b128 v[147:150], off, off offset:688
	s_wait_loadcnt_dscnt 0x901
	v_mul_f64_e32 v[155:156], v[2:3], v[36:37]
	v_mul_f64_e32 v[36:37], v[4:5], v[36:37]
	v_add_f64_e32 v[151:152], v[151:152], v[163:164]
	v_add_f64_e32 v[153:154], v[153:154], v[157:158]
	s_wait_loadcnt_dscnt 0x800
	v_mul_f64_e32 v[157:158], v[6:7], v[145:146]
	v_mul_f64_e32 v[145:146], v[8:9], v[145:146]
	v_fma_f64 v[155:156], v[4:5], v[34:35], v[155:156]
	v_fma_f64 v[163:164], v[2:3], v[34:35], -v[36:37]
	ds_load_b128 v[2:5], v1 offset:1360
	scratch_load_b128 v[34:37], off, off offset:704
	v_add_f64_e32 v[151:152], v[151:152], v[161:162]
	v_add_f64_e32 v[153:154], v[153:154], v[159:160]
	v_fma_f64 v[157:158], v[8:9], v[143:144], v[157:158]
	v_fma_f64 v[161:162], v[6:7], v[143:144], -v[145:146]
	ds_load_b128 v[6:9], v1 offset:1376
	s_wait_loadcnt_dscnt 0x801
	v_mul_f64_e32 v[159:160], v[2:3], v[12:13]
	v_mul_f64_e32 v[12:13], v[4:5], v[12:13]
	scratch_load_b128 v[143:146], off, off offset:720
	v_add_f64_e32 v[151:152], v[151:152], v[163:164]
	v_add_f64_e32 v[153:154], v[153:154], v[155:156]
	s_wait_loadcnt_dscnt 0x800
	v_mul_f64_e32 v[155:156], v[6:7], v[16:17]
	v_mul_f64_e32 v[16:17], v[8:9], v[16:17]
	v_fma_f64 v[159:160], v[4:5], v[10:11], v[159:160]
	v_fma_f64 v[163:164], v[2:3], v[10:11], -v[12:13]
	ds_load_b128 v[2:5], v1 offset:1392
	scratch_load_b128 v[10:13], off, off offset:736
	v_add_f64_e32 v[151:152], v[151:152], v[161:162]
	v_add_f64_e32 v[153:154], v[153:154], v[157:158]
	v_fma_f64 v[155:156], v[8:9], v[14:15], v[155:156]
	v_fma_f64 v[161:162], v[6:7], v[14:15], -v[16:17]
	ds_load_b128 v[6:9], v1 offset:1408
	s_wait_loadcnt_dscnt 0x801
	v_mul_f64_e32 v[157:158], v[2:3], v[20:21]
	v_mul_f64_e32 v[20:21], v[4:5], v[20:21]
	scratch_load_b128 v[14:17], off, off offset:752
	;; [unrolled: 18-line block ×3, first 2 shown]
	v_add_f64_e32 v[151:152], v[151:152], v[163:164]
	v_add_f64_e32 v[153:154], v[153:154], v[157:158]
	s_wait_loadcnt_dscnt 0x800
	v_mul_f64_e32 v[157:158], v[6:7], v[32:33]
	v_mul_f64_e32 v[32:33], v[8:9], v[32:33]
	v_fma_f64 v[155:156], v[4:5], v[26:27], v[155:156]
	v_fma_f64 v[163:164], v[2:3], v[26:27], -v[28:29]
	ds_load_b128 v[2:5], v1 offset:1456
	scratch_load_b128 v[26:29], off, off offset:800
	v_add_f64_e32 v[151:152], v[151:152], v[161:162]
	v_add_f64_e32 v[153:154], v[153:154], v[159:160]
	v_fma_f64 v[157:158], v[8:9], v[30:31], v[157:158]
	v_fma_f64 v[30:31], v[6:7], v[30:31], -v[32:33]
	ds_load_b128 v[6:9], v1 offset:1472
	s_wait_loadcnt_dscnt 0x801
	v_mul_f64_e32 v[159:160], v[2:3], v[40:41]
	v_mul_f64_e32 v[40:41], v[4:5], v[40:41]
	v_add_f64_e32 v[32:33], v[151:152], v[163:164]
	v_add_f64_e32 v[151:152], v[153:154], v[155:156]
	s_wait_loadcnt_dscnt 0x700
	v_mul_f64_e32 v[153:154], v[6:7], v[149:150]
	v_mul_f64_e32 v[149:150], v[8:9], v[149:150]
	v_fma_f64 v[155:156], v[4:5], v[38:39], v[159:160]
	v_fma_f64 v[38:39], v[2:3], v[38:39], -v[40:41]
	ds_load_b128 v[2:5], v1 offset:1488
	v_add_f64_e32 v[30:31], v[32:33], v[30:31]
	v_add_f64_e32 v[32:33], v[151:152], v[157:158]
	v_fma_f64 v[151:152], v[8:9], v[147:148], v[153:154]
	v_fma_f64 v[147:148], v[6:7], v[147:148], -v[149:150]
	ds_load_b128 v[6:9], v1 offset:1504
	s_wait_loadcnt_dscnt 0x500
	v_mul_f64_e32 v[153:154], v[6:7], v[145:146]
	v_mul_f64_e32 v[145:146], v[8:9], v[145:146]
	v_add_f64_e32 v[38:39], v[30:31], v[38:39]
	v_add_f64_e32 v[149:150], v[32:33], v[155:156]
	scratch_load_b128 v[30:33], off, off offset:368
	v_mul_f64_e32 v[40:41], v[2:3], v[36:37]
	v_mul_f64_e32 v[36:37], v[4:5], v[36:37]
	s_delay_alu instid0(VALU_DEP_2) | instskip(NEXT) | instid1(VALU_DEP_2)
	v_fma_f64 v[40:41], v[4:5], v[34:35], v[40:41]
	v_fma_f64 v[34:35], v[2:3], v[34:35], -v[36:37]
	v_add_f64_e32 v[36:37], v[38:39], v[147:148]
	v_add_f64_e32 v[38:39], v[149:150], v[151:152]
	ds_load_b128 v[2:5], v1 offset:1520
	v_fma_f64 v[149:150], v[8:9], v[143:144], v[153:154]
	v_fma_f64 v[143:144], v[6:7], v[143:144], -v[145:146]
	ds_load_b128 v[6:9], v1 offset:1536
	s_wait_loadcnt_dscnt 0x501
	v_mul_f64_e32 v[147:148], v[2:3], v[12:13]
	v_mul_f64_e32 v[12:13], v[4:5], v[12:13]
	v_add_f64_e32 v[34:35], v[36:37], v[34:35]
	v_add_f64_e32 v[36:37], v[38:39], v[40:41]
	s_wait_loadcnt_dscnt 0x400
	v_mul_f64_e32 v[38:39], v[6:7], v[16:17]
	v_mul_f64_e32 v[16:17], v[8:9], v[16:17]
	v_fma_f64 v[40:41], v[4:5], v[10:11], v[147:148]
	v_fma_f64 v[10:11], v[2:3], v[10:11], -v[12:13]
	ds_load_b128 v[2:5], v1 offset:1552
	v_add_f64_e32 v[12:13], v[34:35], v[143:144]
	v_add_f64_e32 v[34:35], v[36:37], v[149:150]
	v_fma_f64 v[38:39], v[8:9], v[14:15], v[38:39]
	v_fma_f64 v[14:15], v[6:7], v[14:15], -v[16:17]
	ds_load_b128 v[6:9], v1 offset:1568
	s_wait_loadcnt_dscnt 0x301
	v_mul_f64_e32 v[36:37], v[2:3], v[20:21]
	v_mul_f64_e32 v[20:21], v[4:5], v[20:21]
	s_wait_loadcnt_dscnt 0x200
	v_mul_f64_e32 v[16:17], v[6:7], v[24:25]
	v_mul_f64_e32 v[24:25], v[8:9], v[24:25]
	v_add_f64_e32 v[10:11], v[12:13], v[10:11]
	v_add_f64_e32 v[12:13], v[34:35], v[40:41]
	v_fma_f64 v[34:35], v[4:5], v[18:19], v[36:37]
	v_fma_f64 v[18:19], v[2:3], v[18:19], -v[20:21]
	ds_load_b128 v[2:5], v1 offset:1584
	v_fma_f64 v[8:9], v[8:9], v[22:23], v[16:17]
	v_fma_f64 v[6:7], v[6:7], v[22:23], -v[24:25]
	s_wait_loadcnt_dscnt 0x100
	v_mul_f64_e32 v[20:21], v[4:5], v[28:29]
	v_add_f64_e32 v[10:11], v[10:11], v[14:15]
	v_add_f64_e32 v[12:13], v[12:13], v[38:39]
	v_mul_f64_e32 v[14:15], v[2:3], v[28:29]
	s_delay_alu instid0(VALU_DEP_4) | instskip(NEXT) | instid1(VALU_DEP_4)
	v_fma_f64 v[2:3], v[2:3], v[26:27], -v[20:21]
	v_add_f64_e32 v[10:11], v[10:11], v[18:19]
	s_delay_alu instid0(VALU_DEP_4) | instskip(NEXT) | instid1(VALU_DEP_4)
	v_add_f64_e32 v[12:13], v[12:13], v[34:35]
	v_fma_f64 v[4:5], v[4:5], v[26:27], v[14:15]
	s_delay_alu instid0(VALU_DEP_3) | instskip(NEXT) | instid1(VALU_DEP_3)
	v_add_f64_e32 v[6:7], v[10:11], v[6:7]
	v_add_f64_e32 v[8:9], v[12:13], v[8:9]
	s_delay_alu instid0(VALU_DEP_2) | instskip(NEXT) | instid1(VALU_DEP_2)
	v_add_f64_e32 v[2:3], v[6:7], v[2:3]
	v_add_f64_e32 v[4:5], v[8:9], v[4:5]
	s_wait_loadcnt 0x0
	s_delay_alu instid0(VALU_DEP_2) | instskip(NEXT) | instid1(VALU_DEP_2)
	v_add_f64_e64 v[2:3], v[30:31], -v[2:3]
	v_add_f64_e64 v[4:5], v[32:33], -v[4:5]
	scratch_store_b128 off, v[2:5], off offset:368
	v_cmpx_lt_u32_e32 21, v0
	s_cbranch_execz .LBB113_271
; %bb.270:
	scratch_load_b128 v[5:8], off, s42
	v_dual_mov_b32 v2, v1 :: v_dual_mov_b32 v3, v1
	v_mov_b32_e32 v4, v1
	scratch_store_b128 off, v[1:4], off offset:352
	s_wait_loadcnt 0x0
	ds_store_b128 v142, v[5:8]
.LBB113_271:
	s_wait_alu 0xfffe
	s_or_b32 exec_lo, exec_lo, s0
	s_wait_storecnt_dscnt 0x0
	s_barrier_signal -1
	s_barrier_wait -1
	global_inv scope:SCOPE_SE
	s_clause 0x7
	scratch_load_b128 v[2:5], off, off offset:368
	scratch_load_b128 v[6:9], off, off offset:384
	;; [unrolled: 1-line block ×8, first 2 shown]
	ds_load_b128 v[34:37], v1 offset:1152
	ds_load_b128 v[143:146], v1 offset:1168
	s_clause 0x1
	scratch_load_b128 v[38:41], off, off offset:496
	scratch_load_b128 v[147:150], off, off offset:512
	s_mov_b32 s0, exec_lo
	s_wait_loadcnt_dscnt 0x901
	v_mul_f64_e32 v[151:152], v[36:37], v[4:5]
	v_mul_f64_e32 v[4:5], v[34:35], v[4:5]
	s_wait_loadcnt_dscnt 0x800
	v_mul_f64_e32 v[153:154], v[143:144], v[8:9]
	v_mul_f64_e32 v[8:9], v[145:146], v[8:9]
	s_delay_alu instid0(VALU_DEP_4) | instskip(NEXT) | instid1(VALU_DEP_4)
	v_fma_f64 v[151:152], v[34:35], v[2:3], -v[151:152]
	v_fma_f64 v[155:156], v[36:37], v[2:3], v[4:5]
	scratch_load_b128 v[34:37], off, off offset:528
	ds_load_b128 v[2:5], v1 offset:1184
	v_fma_f64 v[153:154], v[145:146], v[6:7], v[153:154]
	v_fma_f64 v[159:160], v[143:144], v[6:7], -v[8:9]
	ds_load_b128 v[6:9], v1 offset:1200
	scratch_load_b128 v[143:146], off, off offset:544
	s_wait_loadcnt_dscnt 0x901
	v_mul_f64_e32 v[157:158], v[2:3], v[12:13]
	v_mul_f64_e32 v[12:13], v[4:5], v[12:13]
	s_wait_loadcnt_dscnt 0x800
	v_mul_f64_e32 v[161:162], v[6:7], v[16:17]
	v_mul_f64_e32 v[16:17], v[8:9], v[16:17]
	v_add_f64_e32 v[151:152], 0, v[151:152]
	v_add_f64_e32 v[155:156], 0, v[155:156]
	v_fma_f64 v[157:158], v[4:5], v[10:11], v[157:158]
	v_fma_f64 v[163:164], v[2:3], v[10:11], -v[12:13]
	ds_load_b128 v[2:5], v1 offset:1216
	scratch_load_b128 v[10:13], off, off offset:560
	v_add_f64_e32 v[151:152], v[151:152], v[159:160]
	v_add_f64_e32 v[153:154], v[155:156], v[153:154]
	v_fma_f64 v[159:160], v[8:9], v[14:15], v[161:162]
	v_fma_f64 v[161:162], v[6:7], v[14:15], -v[16:17]
	ds_load_b128 v[6:9], v1 offset:1232
	scratch_load_b128 v[14:17], off, off offset:576
	s_wait_loadcnt_dscnt 0x901
	v_mul_f64_e32 v[155:156], v[2:3], v[20:21]
	v_mul_f64_e32 v[20:21], v[4:5], v[20:21]
	v_add_f64_e32 v[151:152], v[151:152], v[163:164]
	v_add_f64_e32 v[153:154], v[153:154], v[157:158]
	s_wait_loadcnt_dscnt 0x800
	v_mul_f64_e32 v[157:158], v[6:7], v[24:25]
	v_mul_f64_e32 v[24:25], v[8:9], v[24:25]
	v_fma_f64 v[155:156], v[4:5], v[18:19], v[155:156]
	v_fma_f64 v[163:164], v[2:3], v[18:19], -v[20:21]
	ds_load_b128 v[2:5], v1 offset:1248
	scratch_load_b128 v[18:21], off, off offset:592
	v_add_f64_e32 v[151:152], v[151:152], v[161:162]
	v_add_f64_e32 v[153:154], v[153:154], v[159:160]
	v_fma_f64 v[157:158], v[8:9], v[22:23], v[157:158]
	v_fma_f64 v[161:162], v[6:7], v[22:23], -v[24:25]
	ds_load_b128 v[6:9], v1 offset:1264
	s_wait_loadcnt_dscnt 0x801
	v_mul_f64_e32 v[159:160], v[2:3], v[28:29]
	v_mul_f64_e32 v[28:29], v[4:5], v[28:29]
	scratch_load_b128 v[22:25], off, off offset:608
	v_add_f64_e32 v[151:152], v[151:152], v[163:164]
	v_add_f64_e32 v[153:154], v[153:154], v[155:156]
	s_wait_loadcnt_dscnt 0x800
	v_mul_f64_e32 v[155:156], v[6:7], v[32:33]
	v_mul_f64_e32 v[32:33], v[8:9], v[32:33]
	v_fma_f64 v[159:160], v[4:5], v[26:27], v[159:160]
	v_fma_f64 v[163:164], v[2:3], v[26:27], -v[28:29]
	ds_load_b128 v[2:5], v1 offset:1280
	scratch_load_b128 v[26:29], off, off offset:624
	v_add_f64_e32 v[151:152], v[151:152], v[161:162]
	v_add_f64_e32 v[153:154], v[153:154], v[157:158]
	v_fma_f64 v[155:156], v[8:9], v[30:31], v[155:156]
	v_fma_f64 v[161:162], v[6:7], v[30:31], -v[32:33]
	ds_load_b128 v[6:9], v1 offset:1296
	s_wait_loadcnt_dscnt 0x801
	v_mul_f64_e32 v[157:158], v[2:3], v[40:41]
	v_mul_f64_e32 v[40:41], v[4:5], v[40:41]
	scratch_load_b128 v[30:33], off, off offset:640
	v_add_f64_e32 v[151:152], v[151:152], v[163:164]
	v_add_f64_e32 v[153:154], v[153:154], v[159:160]
	s_wait_loadcnt_dscnt 0x800
	v_mul_f64_e32 v[159:160], v[6:7], v[149:150]
	v_mul_f64_e32 v[149:150], v[8:9], v[149:150]
	v_fma_f64 v[157:158], v[4:5], v[38:39], v[157:158]
	v_fma_f64 v[163:164], v[2:3], v[38:39], -v[40:41]
	ds_load_b128 v[2:5], v1 offset:1312
	scratch_load_b128 v[38:41], off, off offset:656
	v_add_f64_e32 v[151:152], v[151:152], v[161:162]
	v_add_f64_e32 v[153:154], v[153:154], v[155:156]
	v_fma_f64 v[159:160], v[8:9], v[147:148], v[159:160]
	v_fma_f64 v[161:162], v[6:7], v[147:148], -v[149:150]
	ds_load_b128 v[6:9], v1 offset:1328
	scratch_load_b128 v[147:150], off, off offset:672
	s_wait_loadcnt_dscnt 0x901
	v_mul_f64_e32 v[155:156], v[2:3], v[36:37]
	v_mul_f64_e32 v[36:37], v[4:5], v[36:37]
	v_add_f64_e32 v[151:152], v[151:152], v[163:164]
	v_add_f64_e32 v[153:154], v[153:154], v[157:158]
	s_wait_loadcnt_dscnt 0x800
	v_mul_f64_e32 v[157:158], v[6:7], v[145:146]
	v_mul_f64_e32 v[145:146], v[8:9], v[145:146]
	v_fma_f64 v[155:156], v[4:5], v[34:35], v[155:156]
	v_fma_f64 v[163:164], v[2:3], v[34:35], -v[36:37]
	scratch_load_b128 v[34:37], off, off offset:688
	ds_load_b128 v[2:5], v1 offset:1344
	v_add_f64_e32 v[151:152], v[151:152], v[161:162]
	v_add_f64_e32 v[153:154], v[153:154], v[159:160]
	v_fma_f64 v[157:158], v[8:9], v[143:144], v[157:158]
	v_fma_f64 v[161:162], v[6:7], v[143:144], -v[145:146]
	ds_load_b128 v[6:9], v1 offset:1360
	s_wait_loadcnt_dscnt 0x801
	v_mul_f64_e32 v[159:160], v[2:3], v[12:13]
	v_mul_f64_e32 v[12:13], v[4:5], v[12:13]
	scratch_load_b128 v[143:146], off, off offset:704
	v_add_f64_e32 v[151:152], v[151:152], v[163:164]
	v_add_f64_e32 v[153:154], v[153:154], v[155:156]
	s_wait_loadcnt_dscnt 0x800
	v_mul_f64_e32 v[155:156], v[6:7], v[16:17]
	v_mul_f64_e32 v[16:17], v[8:9], v[16:17]
	v_fma_f64 v[159:160], v[4:5], v[10:11], v[159:160]
	v_fma_f64 v[163:164], v[2:3], v[10:11], -v[12:13]
	ds_load_b128 v[2:5], v1 offset:1376
	scratch_load_b128 v[10:13], off, off offset:720
	v_add_f64_e32 v[151:152], v[151:152], v[161:162]
	v_add_f64_e32 v[153:154], v[153:154], v[157:158]
	v_fma_f64 v[155:156], v[8:9], v[14:15], v[155:156]
	v_fma_f64 v[161:162], v[6:7], v[14:15], -v[16:17]
	ds_load_b128 v[6:9], v1 offset:1392
	s_wait_loadcnt_dscnt 0x801
	v_mul_f64_e32 v[157:158], v[2:3], v[20:21]
	v_mul_f64_e32 v[20:21], v[4:5], v[20:21]
	scratch_load_b128 v[14:17], off, off offset:736
	v_add_f64_e32 v[151:152], v[151:152], v[163:164]
	v_add_f64_e32 v[153:154], v[153:154], v[159:160]
	s_wait_loadcnt_dscnt 0x800
	v_mul_f64_e32 v[159:160], v[6:7], v[24:25]
	v_mul_f64_e32 v[24:25], v[8:9], v[24:25]
	v_fma_f64 v[157:158], v[4:5], v[18:19], v[157:158]
	v_fma_f64 v[163:164], v[2:3], v[18:19], -v[20:21]
	ds_load_b128 v[2:5], v1 offset:1408
	scratch_load_b128 v[18:21], off, off offset:752
	;; [unrolled: 18-line block ×3, first 2 shown]
	v_add_f64_e32 v[151:152], v[151:152], v[161:162]
	v_add_f64_e32 v[153:154], v[153:154], v[159:160]
	v_fma_f64 v[157:158], v[8:9], v[30:31], v[157:158]
	v_fma_f64 v[161:162], v[6:7], v[30:31], -v[32:33]
	ds_load_b128 v[6:9], v1 offset:1456
	s_wait_loadcnt_dscnt 0x801
	v_mul_f64_e32 v[159:160], v[2:3], v[40:41]
	v_mul_f64_e32 v[40:41], v[4:5], v[40:41]
	scratch_load_b128 v[30:33], off, off offset:800
	v_add_f64_e32 v[151:152], v[151:152], v[163:164]
	v_add_f64_e32 v[153:154], v[153:154], v[155:156]
	v_fma_f64 v[159:160], v[4:5], v[38:39], v[159:160]
	v_fma_f64 v[38:39], v[2:3], v[38:39], -v[40:41]
	ds_load_b128 v[2:5], v1 offset:1472
	v_add_f64_e32 v[40:41], v[151:152], v[161:162]
	v_add_f64_e32 v[151:152], v[153:154], v[157:158]
	s_wait_loadcnt_dscnt 0x700
	v_mul_f64_e32 v[153:154], v[2:3], v[36:37]
	v_mul_f64_e32 v[36:37], v[4:5], v[36:37]
	s_delay_alu instid0(VALU_DEP_4) | instskip(NEXT) | instid1(VALU_DEP_4)
	v_add_f64_e32 v[38:39], v[40:41], v[38:39]
	v_add_f64_e32 v[40:41], v[151:152], v[159:160]
	s_delay_alu instid0(VALU_DEP_4) | instskip(NEXT) | instid1(VALU_DEP_4)
	v_fma_f64 v[151:152], v[4:5], v[34:35], v[153:154]
	v_fma_f64 v[153:154], v[2:3], v[34:35], -v[36:37]
	scratch_load_b128 v[34:37], off, off offset:352
	v_mul_f64_e32 v[155:156], v[6:7], v[149:150]
	v_mul_f64_e32 v[149:150], v[8:9], v[149:150]
	ds_load_b128 v[2:5], v1 offset:1504
	v_fma_f64 v[155:156], v[8:9], v[147:148], v[155:156]
	v_fma_f64 v[147:148], v[6:7], v[147:148], -v[149:150]
	ds_load_b128 v[6:9], v1 offset:1488
	s_wait_loadcnt_dscnt 0x700
	v_mul_f64_e32 v[149:150], v[6:7], v[145:146]
	v_mul_f64_e32 v[145:146], v[8:9], v[145:146]
	v_add_f64_e32 v[40:41], v[40:41], v[155:156]
	v_add_f64_e32 v[38:39], v[38:39], v[147:148]
	s_wait_loadcnt 0x6
	v_mul_f64_e32 v[147:148], v[2:3], v[12:13]
	v_mul_f64_e32 v[12:13], v[4:5], v[12:13]
	v_fma_f64 v[149:150], v[8:9], v[143:144], v[149:150]
	v_fma_f64 v[143:144], v[6:7], v[143:144], -v[145:146]
	ds_load_b128 v[6:9], v1 offset:1520
	v_add_f64_e32 v[40:41], v[40:41], v[151:152]
	v_add_f64_e32 v[38:39], v[38:39], v[153:154]
	v_fma_f64 v[147:148], v[4:5], v[10:11], v[147:148]
	v_fma_f64 v[10:11], v[2:3], v[10:11], -v[12:13]
	ds_load_b128 v[2:5], v1 offset:1536
	s_wait_loadcnt_dscnt 0x501
	v_mul_f64_e32 v[145:146], v[6:7], v[16:17]
	v_mul_f64_e32 v[16:17], v[8:9], v[16:17]
	v_add_f64_e32 v[12:13], v[38:39], v[143:144]
	v_add_f64_e32 v[38:39], v[40:41], v[149:150]
	s_wait_loadcnt_dscnt 0x400
	v_mul_f64_e32 v[40:41], v[2:3], v[20:21]
	v_mul_f64_e32 v[20:21], v[4:5], v[20:21]
	v_fma_f64 v[143:144], v[8:9], v[14:15], v[145:146]
	v_fma_f64 v[14:15], v[6:7], v[14:15], -v[16:17]
	ds_load_b128 v[6:9], v1 offset:1552
	v_add_f64_e32 v[10:11], v[12:13], v[10:11]
	v_add_f64_e32 v[12:13], v[38:39], v[147:148]
	v_fma_f64 v[38:39], v[4:5], v[18:19], v[40:41]
	v_fma_f64 v[18:19], v[2:3], v[18:19], -v[20:21]
	ds_load_b128 v[2:5], v1 offset:1568
	s_wait_loadcnt_dscnt 0x301
	v_mul_f64_e32 v[16:17], v[6:7], v[24:25]
	v_mul_f64_e32 v[24:25], v[8:9], v[24:25]
	s_wait_loadcnt_dscnt 0x200
	v_mul_f64_e32 v[20:21], v[4:5], v[28:29]
	v_add_f64_e32 v[10:11], v[10:11], v[14:15]
	v_add_f64_e32 v[12:13], v[12:13], v[143:144]
	v_mul_f64_e32 v[14:15], v[2:3], v[28:29]
	v_fma_f64 v[16:17], v[8:9], v[22:23], v[16:17]
	v_fma_f64 v[22:23], v[6:7], v[22:23], -v[24:25]
	ds_load_b128 v[6:9], v1 offset:1584
	v_fma_f64 v[1:2], v[2:3], v[26:27], -v[20:21]
	s_wait_loadcnt_dscnt 0x100
	v_mul_f64_e32 v[24:25], v[8:9], v[32:33]
	v_add_f64_e32 v[10:11], v[10:11], v[18:19]
	v_add_f64_e32 v[12:13], v[12:13], v[38:39]
	v_mul_f64_e32 v[18:19], v[6:7], v[32:33]
	v_fma_f64 v[4:5], v[4:5], v[26:27], v[14:15]
	v_fma_f64 v[6:7], v[6:7], v[30:31], -v[24:25]
	v_add_f64_e32 v[10:11], v[10:11], v[22:23]
	v_add_f64_e32 v[12:13], v[12:13], v[16:17]
	v_fma_f64 v[8:9], v[8:9], v[30:31], v[18:19]
	s_delay_alu instid0(VALU_DEP_3) | instskip(NEXT) | instid1(VALU_DEP_3)
	v_add_f64_e32 v[1:2], v[10:11], v[1:2]
	v_add_f64_e32 v[3:4], v[12:13], v[4:5]
	s_delay_alu instid0(VALU_DEP_2) | instskip(NEXT) | instid1(VALU_DEP_2)
	v_add_f64_e32 v[1:2], v[1:2], v[6:7]
	v_add_f64_e32 v[3:4], v[3:4], v[8:9]
	s_wait_loadcnt 0x0
	s_delay_alu instid0(VALU_DEP_2) | instskip(NEXT) | instid1(VALU_DEP_2)
	v_add_f64_e64 v[1:2], v[34:35], -v[1:2]
	v_add_f64_e64 v[3:4], v[36:37], -v[3:4]
	scratch_store_b128 off, v[1:4], off offset:352
	v_cmpx_lt_u32_e32 20, v0
	s_cbranch_execz .LBB113_273
; %bb.272:
	scratch_load_b128 v[1:4], off, s43
	v_mov_b32_e32 v5, 0
	s_delay_alu instid0(VALU_DEP_1)
	v_dual_mov_b32 v6, v5 :: v_dual_mov_b32 v7, v5
	v_mov_b32_e32 v8, v5
	scratch_store_b128 off, v[5:8], off offset:336
	s_wait_loadcnt 0x0
	ds_store_b128 v142, v[1:4]
.LBB113_273:
	s_wait_alu 0xfffe
	s_or_b32 exec_lo, exec_lo, s0
	s_wait_storecnt_dscnt 0x0
	s_barrier_signal -1
	s_barrier_wait -1
	global_inv scope:SCOPE_SE
	s_clause 0x7
	scratch_load_b128 v[2:5], off, off offset:352
	scratch_load_b128 v[6:9], off, off offset:368
	;; [unrolled: 1-line block ×8, first 2 shown]
	v_mov_b32_e32 v1, 0
	s_clause 0x1
	scratch_load_b128 v[38:41], off, off offset:480
	scratch_load_b128 v[147:150], off, off offset:496
	s_mov_b32 s0, exec_lo
	ds_load_b128 v[34:37], v1 offset:1136
	ds_load_b128 v[143:146], v1 offset:1152
	s_wait_loadcnt_dscnt 0x901
	v_mul_f64_e32 v[151:152], v[36:37], v[4:5]
	v_mul_f64_e32 v[4:5], v[34:35], v[4:5]
	s_wait_loadcnt_dscnt 0x800
	v_mul_f64_e32 v[153:154], v[143:144], v[8:9]
	v_mul_f64_e32 v[8:9], v[145:146], v[8:9]
	s_delay_alu instid0(VALU_DEP_4) | instskip(NEXT) | instid1(VALU_DEP_4)
	v_fma_f64 v[151:152], v[34:35], v[2:3], -v[151:152]
	v_fma_f64 v[155:156], v[36:37], v[2:3], v[4:5]
	ds_load_b128 v[2:5], v1 offset:1168
	scratch_load_b128 v[34:37], off, off offset:512
	v_fma_f64 v[153:154], v[145:146], v[6:7], v[153:154]
	v_fma_f64 v[159:160], v[143:144], v[6:7], -v[8:9]
	ds_load_b128 v[6:9], v1 offset:1184
	scratch_load_b128 v[143:146], off, off offset:528
	s_wait_loadcnt_dscnt 0x901
	v_mul_f64_e32 v[157:158], v[2:3], v[12:13]
	v_mul_f64_e32 v[12:13], v[4:5], v[12:13]
	s_wait_loadcnt_dscnt 0x800
	v_mul_f64_e32 v[161:162], v[6:7], v[16:17]
	v_mul_f64_e32 v[16:17], v[8:9], v[16:17]
	v_add_f64_e32 v[151:152], 0, v[151:152]
	v_add_f64_e32 v[155:156], 0, v[155:156]
	v_fma_f64 v[157:158], v[4:5], v[10:11], v[157:158]
	v_fma_f64 v[163:164], v[2:3], v[10:11], -v[12:13]
	ds_load_b128 v[2:5], v1 offset:1200
	scratch_load_b128 v[10:13], off, off offset:544
	v_add_f64_e32 v[151:152], v[151:152], v[159:160]
	v_add_f64_e32 v[153:154], v[155:156], v[153:154]
	v_fma_f64 v[159:160], v[8:9], v[14:15], v[161:162]
	v_fma_f64 v[161:162], v[6:7], v[14:15], -v[16:17]
	ds_load_b128 v[6:9], v1 offset:1216
	scratch_load_b128 v[14:17], off, off offset:560
	s_wait_loadcnt_dscnt 0x901
	v_mul_f64_e32 v[155:156], v[2:3], v[20:21]
	v_mul_f64_e32 v[20:21], v[4:5], v[20:21]
	v_add_f64_e32 v[151:152], v[151:152], v[163:164]
	v_add_f64_e32 v[153:154], v[153:154], v[157:158]
	s_wait_loadcnt_dscnt 0x800
	v_mul_f64_e32 v[157:158], v[6:7], v[24:25]
	v_mul_f64_e32 v[24:25], v[8:9], v[24:25]
	v_fma_f64 v[155:156], v[4:5], v[18:19], v[155:156]
	v_fma_f64 v[163:164], v[2:3], v[18:19], -v[20:21]
	ds_load_b128 v[2:5], v1 offset:1232
	scratch_load_b128 v[18:21], off, off offset:576
	v_add_f64_e32 v[151:152], v[151:152], v[161:162]
	v_add_f64_e32 v[153:154], v[153:154], v[159:160]
	v_fma_f64 v[157:158], v[8:9], v[22:23], v[157:158]
	v_fma_f64 v[161:162], v[6:7], v[22:23], -v[24:25]
	ds_load_b128 v[6:9], v1 offset:1248
	s_wait_loadcnt_dscnt 0x801
	v_mul_f64_e32 v[159:160], v[2:3], v[28:29]
	v_mul_f64_e32 v[28:29], v[4:5], v[28:29]
	scratch_load_b128 v[22:25], off, off offset:592
	v_add_f64_e32 v[151:152], v[151:152], v[163:164]
	v_add_f64_e32 v[153:154], v[153:154], v[155:156]
	s_wait_loadcnt_dscnt 0x800
	v_mul_f64_e32 v[155:156], v[6:7], v[32:33]
	v_mul_f64_e32 v[32:33], v[8:9], v[32:33]
	v_fma_f64 v[159:160], v[4:5], v[26:27], v[159:160]
	v_fma_f64 v[163:164], v[2:3], v[26:27], -v[28:29]
	ds_load_b128 v[2:5], v1 offset:1264
	scratch_load_b128 v[26:29], off, off offset:608
	v_add_f64_e32 v[151:152], v[151:152], v[161:162]
	v_add_f64_e32 v[153:154], v[153:154], v[157:158]
	v_fma_f64 v[155:156], v[8:9], v[30:31], v[155:156]
	v_fma_f64 v[161:162], v[6:7], v[30:31], -v[32:33]
	ds_load_b128 v[6:9], v1 offset:1280
	s_wait_loadcnt_dscnt 0x801
	v_mul_f64_e32 v[157:158], v[2:3], v[40:41]
	v_mul_f64_e32 v[40:41], v[4:5], v[40:41]
	scratch_load_b128 v[30:33], off, off offset:624
	v_add_f64_e32 v[151:152], v[151:152], v[163:164]
	v_add_f64_e32 v[153:154], v[153:154], v[159:160]
	s_wait_loadcnt_dscnt 0x800
	v_mul_f64_e32 v[159:160], v[6:7], v[149:150]
	v_mul_f64_e32 v[149:150], v[8:9], v[149:150]
	v_fma_f64 v[157:158], v[4:5], v[38:39], v[157:158]
	v_fma_f64 v[163:164], v[2:3], v[38:39], -v[40:41]
	ds_load_b128 v[2:5], v1 offset:1296
	scratch_load_b128 v[38:41], off, off offset:640
	v_add_f64_e32 v[151:152], v[151:152], v[161:162]
	v_add_f64_e32 v[153:154], v[153:154], v[155:156]
	v_fma_f64 v[159:160], v[8:9], v[147:148], v[159:160]
	v_fma_f64 v[161:162], v[6:7], v[147:148], -v[149:150]
	ds_load_b128 v[6:9], v1 offset:1312
	scratch_load_b128 v[147:150], off, off offset:656
	s_wait_loadcnt_dscnt 0x901
	v_mul_f64_e32 v[155:156], v[2:3], v[36:37]
	v_mul_f64_e32 v[36:37], v[4:5], v[36:37]
	v_add_f64_e32 v[151:152], v[151:152], v[163:164]
	v_add_f64_e32 v[153:154], v[153:154], v[157:158]
	s_wait_loadcnt_dscnt 0x800
	v_mul_f64_e32 v[157:158], v[6:7], v[145:146]
	v_mul_f64_e32 v[145:146], v[8:9], v[145:146]
	v_fma_f64 v[155:156], v[4:5], v[34:35], v[155:156]
	v_fma_f64 v[163:164], v[2:3], v[34:35], -v[36:37]
	ds_load_b128 v[2:5], v1 offset:1328
	scratch_load_b128 v[34:37], off, off offset:672
	v_add_f64_e32 v[151:152], v[151:152], v[161:162]
	v_add_f64_e32 v[153:154], v[153:154], v[159:160]
	v_fma_f64 v[157:158], v[8:9], v[143:144], v[157:158]
	v_fma_f64 v[161:162], v[6:7], v[143:144], -v[145:146]
	ds_load_b128 v[6:9], v1 offset:1344
	s_wait_loadcnt_dscnt 0x801
	v_mul_f64_e32 v[159:160], v[2:3], v[12:13]
	v_mul_f64_e32 v[12:13], v[4:5], v[12:13]
	scratch_load_b128 v[143:146], off, off offset:688
	v_add_f64_e32 v[151:152], v[151:152], v[163:164]
	v_add_f64_e32 v[153:154], v[153:154], v[155:156]
	s_wait_loadcnt_dscnt 0x800
	v_mul_f64_e32 v[155:156], v[6:7], v[16:17]
	v_mul_f64_e32 v[16:17], v[8:9], v[16:17]
	v_fma_f64 v[159:160], v[4:5], v[10:11], v[159:160]
	v_fma_f64 v[163:164], v[2:3], v[10:11], -v[12:13]
	ds_load_b128 v[2:5], v1 offset:1360
	scratch_load_b128 v[10:13], off, off offset:704
	v_add_f64_e32 v[151:152], v[151:152], v[161:162]
	v_add_f64_e32 v[153:154], v[153:154], v[157:158]
	v_fma_f64 v[155:156], v[8:9], v[14:15], v[155:156]
	v_fma_f64 v[161:162], v[6:7], v[14:15], -v[16:17]
	ds_load_b128 v[6:9], v1 offset:1376
	s_wait_loadcnt_dscnt 0x801
	v_mul_f64_e32 v[157:158], v[2:3], v[20:21]
	v_mul_f64_e32 v[20:21], v[4:5], v[20:21]
	scratch_load_b128 v[14:17], off, off offset:720
	;; [unrolled: 18-line block ×4, first 2 shown]
	v_add_f64_e32 v[151:152], v[151:152], v[163:164]
	v_add_f64_e32 v[153:154], v[153:154], v[155:156]
	s_wait_loadcnt_dscnt 0x800
	v_mul_f64_e32 v[155:156], v[6:7], v[149:150]
	v_mul_f64_e32 v[149:150], v[8:9], v[149:150]
	v_fma_f64 v[159:160], v[4:5], v[38:39], v[159:160]
	v_fma_f64 v[163:164], v[2:3], v[38:39], -v[40:41]
	ds_load_b128 v[2:5], v1 offset:1456
	scratch_load_b128 v[38:41], off, off offset:800
	v_add_f64_e32 v[151:152], v[151:152], v[161:162]
	v_add_f64_e32 v[153:154], v[153:154], v[157:158]
	v_fma_f64 v[155:156], v[8:9], v[147:148], v[155:156]
	v_fma_f64 v[147:148], v[6:7], v[147:148], -v[149:150]
	ds_load_b128 v[6:9], v1 offset:1472
	s_wait_loadcnt_dscnt 0x801
	v_mul_f64_e32 v[157:158], v[2:3], v[36:37]
	v_mul_f64_e32 v[36:37], v[4:5], v[36:37]
	v_add_f64_e32 v[149:150], v[151:152], v[163:164]
	v_add_f64_e32 v[151:152], v[153:154], v[159:160]
	s_wait_loadcnt_dscnt 0x700
	v_mul_f64_e32 v[153:154], v[6:7], v[145:146]
	v_mul_f64_e32 v[145:146], v[8:9], v[145:146]
	v_fma_f64 v[157:158], v[4:5], v[34:35], v[157:158]
	v_fma_f64 v[34:35], v[2:3], v[34:35], -v[36:37]
	ds_load_b128 v[2:5], v1 offset:1488
	v_add_f64_e32 v[36:37], v[149:150], v[147:148]
	v_add_f64_e32 v[147:148], v[151:152], v[155:156]
	v_fma_f64 v[151:152], v[8:9], v[143:144], v[153:154]
	v_fma_f64 v[143:144], v[6:7], v[143:144], -v[145:146]
	ds_load_b128 v[6:9], v1 offset:1504
	s_wait_loadcnt_dscnt 0x500
	v_mul_f64_e32 v[153:154], v[6:7], v[16:17]
	v_mul_f64_e32 v[16:17], v[8:9], v[16:17]
	v_add_f64_e32 v[145:146], v[36:37], v[34:35]
	v_add_f64_e32 v[147:148], v[147:148], v[157:158]
	scratch_load_b128 v[34:37], off, off offset:336
	v_mul_f64_e32 v[149:150], v[2:3], v[12:13]
	v_mul_f64_e32 v[12:13], v[4:5], v[12:13]
	s_delay_alu instid0(VALU_DEP_2) | instskip(NEXT) | instid1(VALU_DEP_2)
	v_fma_f64 v[149:150], v[4:5], v[10:11], v[149:150]
	v_fma_f64 v[10:11], v[2:3], v[10:11], -v[12:13]
	v_add_f64_e32 v[12:13], v[145:146], v[143:144]
	v_add_f64_e32 v[143:144], v[147:148], v[151:152]
	ds_load_b128 v[2:5], v1 offset:1520
	v_fma_f64 v[147:148], v[8:9], v[14:15], v[153:154]
	v_fma_f64 v[14:15], v[6:7], v[14:15], -v[16:17]
	ds_load_b128 v[6:9], v1 offset:1536
	s_wait_loadcnt_dscnt 0x501
	v_mul_f64_e32 v[145:146], v[2:3], v[20:21]
	v_mul_f64_e32 v[20:21], v[4:5], v[20:21]
	s_wait_loadcnt_dscnt 0x400
	v_mul_f64_e32 v[16:17], v[6:7], v[24:25]
	v_mul_f64_e32 v[24:25], v[8:9], v[24:25]
	v_add_f64_e32 v[10:11], v[12:13], v[10:11]
	v_add_f64_e32 v[12:13], v[143:144], v[149:150]
	v_fma_f64 v[143:144], v[4:5], v[18:19], v[145:146]
	v_fma_f64 v[18:19], v[2:3], v[18:19], -v[20:21]
	ds_load_b128 v[2:5], v1 offset:1552
	v_fma_f64 v[16:17], v[8:9], v[22:23], v[16:17]
	v_fma_f64 v[22:23], v[6:7], v[22:23], -v[24:25]
	ds_load_b128 v[6:9], v1 offset:1568
	v_add_f64_e32 v[10:11], v[10:11], v[14:15]
	v_add_f64_e32 v[12:13], v[12:13], v[147:148]
	s_wait_loadcnt_dscnt 0x301
	v_mul_f64_e32 v[14:15], v[2:3], v[28:29]
	v_mul_f64_e32 v[20:21], v[4:5], v[28:29]
	s_wait_loadcnt_dscnt 0x200
	v_mul_f64_e32 v[24:25], v[8:9], v[32:33]
	v_add_f64_e32 v[10:11], v[10:11], v[18:19]
	v_add_f64_e32 v[12:13], v[12:13], v[143:144]
	v_mul_f64_e32 v[18:19], v[6:7], v[32:33]
	v_fma_f64 v[14:15], v[4:5], v[26:27], v[14:15]
	v_fma_f64 v[20:21], v[2:3], v[26:27], -v[20:21]
	ds_load_b128 v[2:5], v1 offset:1584
	v_fma_f64 v[6:7], v[6:7], v[30:31], -v[24:25]
	v_add_f64_e32 v[10:11], v[10:11], v[22:23]
	v_add_f64_e32 v[12:13], v[12:13], v[16:17]
	s_wait_loadcnt_dscnt 0x100
	v_mul_f64_e32 v[16:17], v[2:3], v[40:41]
	v_mul_f64_e32 v[22:23], v[4:5], v[40:41]
	v_fma_f64 v[8:9], v[8:9], v[30:31], v[18:19]
	v_add_f64_e32 v[10:11], v[10:11], v[20:21]
	v_add_f64_e32 v[12:13], v[12:13], v[14:15]
	v_fma_f64 v[4:5], v[4:5], v[38:39], v[16:17]
	v_fma_f64 v[2:3], v[2:3], v[38:39], -v[22:23]
	s_delay_alu instid0(VALU_DEP_4) | instskip(NEXT) | instid1(VALU_DEP_4)
	v_add_f64_e32 v[6:7], v[10:11], v[6:7]
	v_add_f64_e32 v[8:9], v[12:13], v[8:9]
	s_delay_alu instid0(VALU_DEP_2) | instskip(NEXT) | instid1(VALU_DEP_2)
	v_add_f64_e32 v[2:3], v[6:7], v[2:3]
	v_add_f64_e32 v[4:5], v[8:9], v[4:5]
	s_wait_loadcnt 0x0
	s_delay_alu instid0(VALU_DEP_2) | instskip(NEXT) | instid1(VALU_DEP_2)
	v_add_f64_e64 v[2:3], v[34:35], -v[2:3]
	v_add_f64_e64 v[4:5], v[36:37], -v[4:5]
	scratch_store_b128 off, v[2:5], off offset:336
	v_cmpx_lt_u32_e32 19, v0
	s_cbranch_execz .LBB113_275
; %bb.274:
	scratch_load_b128 v[5:8], off, s44
	v_dual_mov_b32 v2, v1 :: v_dual_mov_b32 v3, v1
	v_mov_b32_e32 v4, v1
	scratch_store_b128 off, v[1:4], off offset:320
	s_wait_loadcnt 0x0
	ds_store_b128 v142, v[5:8]
.LBB113_275:
	s_wait_alu 0xfffe
	s_or_b32 exec_lo, exec_lo, s0
	s_wait_storecnt_dscnt 0x0
	s_barrier_signal -1
	s_barrier_wait -1
	global_inv scope:SCOPE_SE
	s_clause 0x7
	scratch_load_b128 v[2:5], off, off offset:336
	scratch_load_b128 v[6:9], off, off offset:352
	;; [unrolled: 1-line block ×8, first 2 shown]
	ds_load_b128 v[34:37], v1 offset:1120
	ds_load_b128 v[143:146], v1 offset:1136
	s_clause 0x1
	scratch_load_b128 v[38:41], off, off offset:464
	scratch_load_b128 v[147:150], off, off offset:480
	s_mov_b32 s0, exec_lo
	s_wait_loadcnt_dscnt 0x901
	v_mul_f64_e32 v[151:152], v[36:37], v[4:5]
	v_mul_f64_e32 v[4:5], v[34:35], v[4:5]
	s_wait_loadcnt_dscnt 0x800
	v_mul_f64_e32 v[153:154], v[143:144], v[8:9]
	v_mul_f64_e32 v[8:9], v[145:146], v[8:9]
	s_delay_alu instid0(VALU_DEP_4) | instskip(NEXT) | instid1(VALU_DEP_4)
	v_fma_f64 v[151:152], v[34:35], v[2:3], -v[151:152]
	v_fma_f64 v[155:156], v[36:37], v[2:3], v[4:5]
	ds_load_b128 v[2:5], v1 offset:1152
	scratch_load_b128 v[34:37], off, off offset:496
	v_fma_f64 v[153:154], v[145:146], v[6:7], v[153:154]
	v_fma_f64 v[159:160], v[143:144], v[6:7], -v[8:9]
	ds_load_b128 v[6:9], v1 offset:1168
	scratch_load_b128 v[143:146], off, off offset:512
	s_wait_loadcnt_dscnt 0x901
	v_mul_f64_e32 v[157:158], v[2:3], v[12:13]
	v_mul_f64_e32 v[12:13], v[4:5], v[12:13]
	s_wait_loadcnt_dscnt 0x800
	v_mul_f64_e32 v[161:162], v[6:7], v[16:17]
	v_mul_f64_e32 v[16:17], v[8:9], v[16:17]
	v_add_f64_e32 v[151:152], 0, v[151:152]
	v_add_f64_e32 v[155:156], 0, v[155:156]
	v_fma_f64 v[157:158], v[4:5], v[10:11], v[157:158]
	v_fma_f64 v[163:164], v[2:3], v[10:11], -v[12:13]
	scratch_load_b128 v[10:13], off, off offset:528
	ds_load_b128 v[2:5], v1 offset:1184
	v_add_f64_e32 v[151:152], v[151:152], v[159:160]
	v_add_f64_e32 v[153:154], v[155:156], v[153:154]
	v_fma_f64 v[159:160], v[8:9], v[14:15], v[161:162]
	v_fma_f64 v[161:162], v[6:7], v[14:15], -v[16:17]
	ds_load_b128 v[6:9], v1 offset:1200
	scratch_load_b128 v[14:17], off, off offset:544
	s_wait_loadcnt_dscnt 0x901
	v_mul_f64_e32 v[155:156], v[2:3], v[20:21]
	v_mul_f64_e32 v[20:21], v[4:5], v[20:21]
	v_add_f64_e32 v[151:152], v[151:152], v[163:164]
	v_add_f64_e32 v[153:154], v[153:154], v[157:158]
	s_wait_loadcnt_dscnt 0x800
	v_mul_f64_e32 v[157:158], v[6:7], v[24:25]
	v_mul_f64_e32 v[24:25], v[8:9], v[24:25]
	v_fma_f64 v[155:156], v[4:5], v[18:19], v[155:156]
	v_fma_f64 v[163:164], v[2:3], v[18:19], -v[20:21]
	ds_load_b128 v[2:5], v1 offset:1216
	scratch_load_b128 v[18:21], off, off offset:560
	v_add_f64_e32 v[151:152], v[151:152], v[161:162]
	v_add_f64_e32 v[153:154], v[153:154], v[159:160]
	v_fma_f64 v[157:158], v[8:9], v[22:23], v[157:158]
	v_fma_f64 v[161:162], v[6:7], v[22:23], -v[24:25]
	ds_load_b128 v[6:9], v1 offset:1232
	s_wait_loadcnt_dscnt 0x801
	v_mul_f64_e32 v[159:160], v[2:3], v[28:29]
	v_mul_f64_e32 v[28:29], v[4:5], v[28:29]
	scratch_load_b128 v[22:25], off, off offset:576
	v_add_f64_e32 v[151:152], v[151:152], v[163:164]
	v_add_f64_e32 v[153:154], v[153:154], v[155:156]
	s_wait_loadcnt_dscnt 0x800
	v_mul_f64_e32 v[155:156], v[6:7], v[32:33]
	v_mul_f64_e32 v[32:33], v[8:9], v[32:33]
	v_fma_f64 v[159:160], v[4:5], v[26:27], v[159:160]
	v_fma_f64 v[163:164], v[2:3], v[26:27], -v[28:29]
	ds_load_b128 v[2:5], v1 offset:1248
	scratch_load_b128 v[26:29], off, off offset:592
	v_add_f64_e32 v[151:152], v[151:152], v[161:162]
	v_add_f64_e32 v[153:154], v[153:154], v[157:158]
	v_fma_f64 v[155:156], v[8:9], v[30:31], v[155:156]
	v_fma_f64 v[161:162], v[6:7], v[30:31], -v[32:33]
	ds_load_b128 v[6:9], v1 offset:1264
	s_wait_loadcnt_dscnt 0x801
	v_mul_f64_e32 v[157:158], v[2:3], v[40:41]
	v_mul_f64_e32 v[40:41], v[4:5], v[40:41]
	scratch_load_b128 v[30:33], off, off offset:608
	v_add_f64_e32 v[151:152], v[151:152], v[163:164]
	v_add_f64_e32 v[153:154], v[153:154], v[159:160]
	s_wait_loadcnt_dscnt 0x800
	v_mul_f64_e32 v[159:160], v[6:7], v[149:150]
	v_mul_f64_e32 v[149:150], v[8:9], v[149:150]
	v_fma_f64 v[157:158], v[4:5], v[38:39], v[157:158]
	v_fma_f64 v[163:164], v[2:3], v[38:39], -v[40:41]
	ds_load_b128 v[2:5], v1 offset:1280
	scratch_load_b128 v[38:41], off, off offset:624
	v_add_f64_e32 v[151:152], v[151:152], v[161:162]
	v_add_f64_e32 v[153:154], v[153:154], v[155:156]
	v_fma_f64 v[159:160], v[8:9], v[147:148], v[159:160]
	v_fma_f64 v[161:162], v[6:7], v[147:148], -v[149:150]
	ds_load_b128 v[6:9], v1 offset:1296
	scratch_load_b128 v[147:150], off, off offset:640
	s_wait_loadcnt_dscnt 0x901
	v_mul_f64_e32 v[155:156], v[2:3], v[36:37]
	v_mul_f64_e32 v[36:37], v[4:5], v[36:37]
	v_add_f64_e32 v[151:152], v[151:152], v[163:164]
	v_add_f64_e32 v[153:154], v[153:154], v[157:158]
	s_wait_loadcnt_dscnt 0x800
	v_mul_f64_e32 v[157:158], v[6:7], v[145:146]
	v_mul_f64_e32 v[145:146], v[8:9], v[145:146]
	v_fma_f64 v[155:156], v[4:5], v[34:35], v[155:156]
	v_fma_f64 v[163:164], v[2:3], v[34:35], -v[36:37]
	ds_load_b128 v[2:5], v1 offset:1312
	scratch_load_b128 v[34:37], off, off offset:656
	v_add_f64_e32 v[151:152], v[151:152], v[161:162]
	v_add_f64_e32 v[153:154], v[153:154], v[159:160]
	v_fma_f64 v[157:158], v[8:9], v[143:144], v[157:158]
	v_fma_f64 v[161:162], v[6:7], v[143:144], -v[145:146]
	ds_load_b128 v[6:9], v1 offset:1328
	s_wait_loadcnt_dscnt 0x801
	v_mul_f64_e32 v[159:160], v[2:3], v[12:13]
	v_mul_f64_e32 v[12:13], v[4:5], v[12:13]
	scratch_load_b128 v[143:146], off, off offset:672
	v_add_f64_e32 v[151:152], v[151:152], v[163:164]
	v_add_f64_e32 v[153:154], v[153:154], v[155:156]
	s_wait_loadcnt_dscnt 0x800
	v_mul_f64_e32 v[155:156], v[6:7], v[16:17]
	v_mul_f64_e32 v[16:17], v[8:9], v[16:17]
	v_fma_f64 v[159:160], v[4:5], v[10:11], v[159:160]
	v_fma_f64 v[163:164], v[2:3], v[10:11], -v[12:13]
	scratch_load_b128 v[10:13], off, off offset:688
	ds_load_b128 v[2:5], v1 offset:1344
	v_add_f64_e32 v[151:152], v[151:152], v[161:162]
	v_add_f64_e32 v[153:154], v[153:154], v[157:158]
	v_fma_f64 v[155:156], v[8:9], v[14:15], v[155:156]
	v_fma_f64 v[161:162], v[6:7], v[14:15], -v[16:17]
	ds_load_b128 v[6:9], v1 offset:1360
	s_wait_loadcnt_dscnt 0x801
	v_mul_f64_e32 v[157:158], v[2:3], v[20:21]
	v_mul_f64_e32 v[20:21], v[4:5], v[20:21]
	scratch_load_b128 v[14:17], off, off offset:704
	v_add_f64_e32 v[151:152], v[151:152], v[163:164]
	v_add_f64_e32 v[153:154], v[153:154], v[159:160]
	s_wait_loadcnt_dscnt 0x800
	v_mul_f64_e32 v[159:160], v[6:7], v[24:25]
	v_mul_f64_e32 v[24:25], v[8:9], v[24:25]
	v_fma_f64 v[157:158], v[4:5], v[18:19], v[157:158]
	v_fma_f64 v[163:164], v[2:3], v[18:19], -v[20:21]
	ds_load_b128 v[2:5], v1 offset:1376
	scratch_load_b128 v[18:21], off, off offset:720
	v_add_f64_e32 v[151:152], v[151:152], v[161:162]
	v_add_f64_e32 v[153:154], v[153:154], v[155:156]
	v_fma_f64 v[159:160], v[8:9], v[22:23], v[159:160]
	v_fma_f64 v[161:162], v[6:7], v[22:23], -v[24:25]
	ds_load_b128 v[6:9], v1 offset:1392
	s_wait_loadcnt_dscnt 0x801
	v_mul_f64_e32 v[155:156], v[2:3], v[28:29]
	v_mul_f64_e32 v[28:29], v[4:5], v[28:29]
	scratch_load_b128 v[22:25], off, off offset:736
	v_add_f64_e32 v[151:152], v[151:152], v[163:164]
	v_add_f64_e32 v[153:154], v[153:154], v[157:158]
	s_wait_loadcnt_dscnt 0x800
	v_mul_f64_e32 v[157:158], v[6:7], v[32:33]
	v_mul_f64_e32 v[32:33], v[8:9], v[32:33]
	v_fma_f64 v[155:156], v[4:5], v[26:27], v[155:156]
	v_fma_f64 v[163:164], v[2:3], v[26:27], -v[28:29]
	ds_load_b128 v[2:5], v1 offset:1408
	scratch_load_b128 v[26:29], off, off offset:752
	;; [unrolled: 18-line block ×3, first 2 shown]
	v_add_f64_e32 v[151:152], v[151:152], v[161:162]
	v_add_f64_e32 v[153:154], v[153:154], v[157:158]
	v_fma_f64 v[155:156], v[8:9], v[147:148], v[155:156]
	v_fma_f64 v[161:162], v[6:7], v[147:148], -v[149:150]
	ds_load_b128 v[6:9], v1 offset:1456
	s_wait_loadcnt_dscnt 0x801
	v_mul_f64_e32 v[157:158], v[2:3], v[36:37]
	v_mul_f64_e32 v[36:37], v[4:5], v[36:37]
	scratch_load_b128 v[147:150], off, off offset:800
	v_add_f64_e32 v[151:152], v[151:152], v[163:164]
	v_add_f64_e32 v[153:154], v[153:154], v[159:160]
	v_fma_f64 v[157:158], v[4:5], v[34:35], v[157:158]
	v_fma_f64 v[34:35], v[2:3], v[34:35], -v[36:37]
	ds_load_b128 v[2:5], v1 offset:1472
	v_add_f64_e32 v[36:37], v[151:152], v[161:162]
	v_add_f64_e32 v[151:152], v[153:154], v[155:156]
	s_wait_loadcnt_dscnt 0x700
	v_mul_f64_e32 v[153:154], v[2:3], v[12:13]
	v_mul_f64_e32 v[12:13], v[4:5], v[12:13]
	s_delay_alu instid0(VALU_DEP_4) | instskip(NEXT) | instid1(VALU_DEP_4)
	v_add_f64_e32 v[34:35], v[36:37], v[34:35]
	v_add_f64_e32 v[36:37], v[151:152], v[157:158]
	s_delay_alu instid0(VALU_DEP_4) | instskip(NEXT) | instid1(VALU_DEP_4)
	v_fma_f64 v[151:152], v[4:5], v[10:11], v[153:154]
	v_fma_f64 v[153:154], v[2:3], v[10:11], -v[12:13]
	scratch_load_b128 v[10:13], off, off offset:320
	v_mul_f64_e32 v[159:160], v[6:7], v[145:146]
	v_mul_f64_e32 v[145:146], v[8:9], v[145:146]
	ds_load_b128 v[2:5], v1 offset:1504
	v_fma_f64 v[155:156], v[8:9], v[143:144], v[159:160]
	v_fma_f64 v[143:144], v[6:7], v[143:144], -v[145:146]
	ds_load_b128 v[6:9], v1 offset:1488
	s_wait_loadcnt_dscnt 0x700
	v_mul_f64_e32 v[145:146], v[6:7], v[16:17]
	v_mul_f64_e32 v[16:17], v[8:9], v[16:17]
	v_add_f64_e32 v[36:37], v[36:37], v[155:156]
	v_add_f64_e32 v[34:35], v[34:35], v[143:144]
	s_wait_loadcnt 0x6
	v_mul_f64_e32 v[143:144], v[2:3], v[20:21]
	v_mul_f64_e32 v[20:21], v[4:5], v[20:21]
	v_fma_f64 v[145:146], v[8:9], v[14:15], v[145:146]
	v_fma_f64 v[14:15], v[6:7], v[14:15], -v[16:17]
	ds_load_b128 v[6:9], v1 offset:1520
	v_add_f64_e32 v[16:17], v[34:35], v[153:154]
	v_add_f64_e32 v[34:35], v[36:37], v[151:152]
	v_fma_f64 v[143:144], v[4:5], v[18:19], v[143:144]
	v_fma_f64 v[18:19], v[2:3], v[18:19], -v[20:21]
	ds_load_b128 v[2:5], v1 offset:1536
	s_wait_loadcnt_dscnt 0x501
	v_mul_f64_e32 v[36:37], v[6:7], v[24:25]
	v_mul_f64_e32 v[24:25], v[8:9], v[24:25]
	s_wait_loadcnt_dscnt 0x400
	v_mul_f64_e32 v[20:21], v[2:3], v[28:29]
	v_mul_f64_e32 v[28:29], v[4:5], v[28:29]
	v_add_f64_e32 v[14:15], v[16:17], v[14:15]
	v_add_f64_e32 v[16:17], v[34:35], v[145:146]
	v_fma_f64 v[34:35], v[8:9], v[22:23], v[36:37]
	v_fma_f64 v[22:23], v[6:7], v[22:23], -v[24:25]
	ds_load_b128 v[6:9], v1 offset:1552
	v_fma_f64 v[20:21], v[4:5], v[26:27], v[20:21]
	v_fma_f64 v[26:27], v[2:3], v[26:27], -v[28:29]
	ds_load_b128 v[2:5], v1 offset:1568
	s_wait_loadcnt_dscnt 0x301
	v_mul_f64_e32 v[24:25], v[8:9], v[32:33]
	v_add_f64_e32 v[14:15], v[14:15], v[18:19]
	v_add_f64_e32 v[16:17], v[16:17], v[143:144]
	v_mul_f64_e32 v[18:19], v[6:7], v[32:33]
	s_wait_loadcnt_dscnt 0x200
	v_mul_f64_e32 v[28:29], v[4:5], v[40:41]
	v_fma_f64 v[24:25], v[6:7], v[30:31], -v[24:25]
	v_add_f64_e32 v[14:15], v[14:15], v[22:23]
	v_add_f64_e32 v[16:17], v[16:17], v[34:35]
	v_mul_f64_e32 v[22:23], v[2:3], v[40:41]
	v_fma_f64 v[18:19], v[8:9], v[30:31], v[18:19]
	ds_load_b128 v[6:9], v1 offset:1584
	v_fma_f64 v[1:2], v[2:3], v[38:39], -v[28:29]
	v_add_f64_e32 v[14:15], v[14:15], v[26:27]
	v_add_f64_e32 v[16:17], v[16:17], v[20:21]
	s_wait_loadcnt_dscnt 0x100
	v_mul_f64_e32 v[20:21], v[6:7], v[149:150]
	v_mul_f64_e32 v[26:27], v[8:9], v[149:150]
	v_fma_f64 v[4:5], v[4:5], v[38:39], v[22:23]
	v_add_f64_e32 v[14:15], v[14:15], v[24:25]
	v_add_f64_e32 v[16:17], v[16:17], v[18:19]
	v_fma_f64 v[8:9], v[8:9], v[147:148], v[20:21]
	v_fma_f64 v[6:7], v[6:7], v[147:148], -v[26:27]
	s_delay_alu instid0(VALU_DEP_4) | instskip(NEXT) | instid1(VALU_DEP_4)
	v_add_f64_e32 v[1:2], v[14:15], v[1:2]
	v_add_f64_e32 v[3:4], v[16:17], v[4:5]
	s_delay_alu instid0(VALU_DEP_2) | instskip(NEXT) | instid1(VALU_DEP_2)
	v_add_f64_e32 v[1:2], v[1:2], v[6:7]
	v_add_f64_e32 v[3:4], v[3:4], v[8:9]
	s_wait_loadcnt 0x0
	s_delay_alu instid0(VALU_DEP_2) | instskip(NEXT) | instid1(VALU_DEP_2)
	v_add_f64_e64 v[1:2], v[10:11], -v[1:2]
	v_add_f64_e64 v[3:4], v[12:13], -v[3:4]
	scratch_store_b128 off, v[1:4], off offset:320
	v_cmpx_lt_u32_e32 18, v0
	s_cbranch_execz .LBB113_277
; %bb.276:
	scratch_load_b128 v[1:4], off, s45
	v_mov_b32_e32 v5, 0
	s_delay_alu instid0(VALU_DEP_1)
	v_dual_mov_b32 v6, v5 :: v_dual_mov_b32 v7, v5
	v_mov_b32_e32 v8, v5
	scratch_store_b128 off, v[5:8], off offset:304
	s_wait_loadcnt 0x0
	ds_store_b128 v142, v[1:4]
.LBB113_277:
	s_wait_alu 0xfffe
	s_or_b32 exec_lo, exec_lo, s0
	s_wait_storecnt_dscnt 0x0
	s_barrier_signal -1
	s_barrier_wait -1
	global_inv scope:SCOPE_SE
	s_clause 0x7
	scratch_load_b128 v[2:5], off, off offset:320
	scratch_load_b128 v[6:9], off, off offset:336
	;; [unrolled: 1-line block ×8, first 2 shown]
	v_mov_b32_e32 v1, 0
	s_clause 0x1
	scratch_load_b128 v[38:41], off, off offset:448
	scratch_load_b128 v[147:150], off, off offset:464
	s_mov_b32 s0, exec_lo
	ds_load_b128 v[34:37], v1 offset:1104
	ds_load_b128 v[143:146], v1 offset:1120
	s_wait_loadcnt_dscnt 0x901
	v_mul_f64_e32 v[151:152], v[36:37], v[4:5]
	v_mul_f64_e32 v[4:5], v[34:35], v[4:5]
	s_wait_loadcnt_dscnt 0x800
	v_mul_f64_e32 v[153:154], v[143:144], v[8:9]
	v_mul_f64_e32 v[8:9], v[145:146], v[8:9]
	s_delay_alu instid0(VALU_DEP_4) | instskip(NEXT) | instid1(VALU_DEP_4)
	v_fma_f64 v[151:152], v[34:35], v[2:3], -v[151:152]
	v_fma_f64 v[155:156], v[36:37], v[2:3], v[4:5]
	ds_load_b128 v[2:5], v1 offset:1136
	scratch_load_b128 v[34:37], off, off offset:480
	v_fma_f64 v[153:154], v[145:146], v[6:7], v[153:154]
	v_fma_f64 v[159:160], v[143:144], v[6:7], -v[8:9]
	ds_load_b128 v[6:9], v1 offset:1152
	scratch_load_b128 v[143:146], off, off offset:496
	s_wait_loadcnt_dscnt 0x901
	v_mul_f64_e32 v[157:158], v[2:3], v[12:13]
	v_mul_f64_e32 v[12:13], v[4:5], v[12:13]
	s_wait_loadcnt_dscnt 0x800
	v_mul_f64_e32 v[161:162], v[6:7], v[16:17]
	v_mul_f64_e32 v[16:17], v[8:9], v[16:17]
	v_add_f64_e32 v[151:152], 0, v[151:152]
	v_add_f64_e32 v[155:156], 0, v[155:156]
	v_fma_f64 v[157:158], v[4:5], v[10:11], v[157:158]
	v_fma_f64 v[163:164], v[2:3], v[10:11], -v[12:13]
	ds_load_b128 v[2:5], v1 offset:1168
	scratch_load_b128 v[10:13], off, off offset:512
	v_add_f64_e32 v[151:152], v[151:152], v[159:160]
	v_add_f64_e32 v[153:154], v[155:156], v[153:154]
	v_fma_f64 v[159:160], v[8:9], v[14:15], v[161:162]
	v_fma_f64 v[161:162], v[6:7], v[14:15], -v[16:17]
	ds_load_b128 v[6:9], v1 offset:1184
	scratch_load_b128 v[14:17], off, off offset:528
	s_wait_loadcnt_dscnt 0x901
	v_mul_f64_e32 v[155:156], v[2:3], v[20:21]
	v_mul_f64_e32 v[20:21], v[4:5], v[20:21]
	v_add_f64_e32 v[151:152], v[151:152], v[163:164]
	v_add_f64_e32 v[153:154], v[153:154], v[157:158]
	s_wait_loadcnt_dscnt 0x800
	v_mul_f64_e32 v[157:158], v[6:7], v[24:25]
	v_mul_f64_e32 v[24:25], v[8:9], v[24:25]
	v_fma_f64 v[155:156], v[4:5], v[18:19], v[155:156]
	v_fma_f64 v[163:164], v[2:3], v[18:19], -v[20:21]
	ds_load_b128 v[2:5], v1 offset:1200
	scratch_load_b128 v[18:21], off, off offset:544
	v_add_f64_e32 v[151:152], v[151:152], v[161:162]
	v_add_f64_e32 v[153:154], v[153:154], v[159:160]
	v_fma_f64 v[157:158], v[8:9], v[22:23], v[157:158]
	v_fma_f64 v[161:162], v[6:7], v[22:23], -v[24:25]
	ds_load_b128 v[6:9], v1 offset:1216
	s_wait_loadcnt_dscnt 0x801
	v_mul_f64_e32 v[159:160], v[2:3], v[28:29]
	v_mul_f64_e32 v[28:29], v[4:5], v[28:29]
	scratch_load_b128 v[22:25], off, off offset:560
	v_add_f64_e32 v[151:152], v[151:152], v[163:164]
	v_add_f64_e32 v[153:154], v[153:154], v[155:156]
	s_wait_loadcnt_dscnt 0x800
	v_mul_f64_e32 v[155:156], v[6:7], v[32:33]
	v_mul_f64_e32 v[32:33], v[8:9], v[32:33]
	v_fma_f64 v[159:160], v[4:5], v[26:27], v[159:160]
	v_fma_f64 v[163:164], v[2:3], v[26:27], -v[28:29]
	ds_load_b128 v[2:5], v1 offset:1232
	scratch_load_b128 v[26:29], off, off offset:576
	v_add_f64_e32 v[151:152], v[151:152], v[161:162]
	v_add_f64_e32 v[153:154], v[153:154], v[157:158]
	v_fma_f64 v[155:156], v[8:9], v[30:31], v[155:156]
	v_fma_f64 v[161:162], v[6:7], v[30:31], -v[32:33]
	ds_load_b128 v[6:9], v1 offset:1248
	s_wait_loadcnt_dscnt 0x801
	v_mul_f64_e32 v[157:158], v[2:3], v[40:41]
	v_mul_f64_e32 v[40:41], v[4:5], v[40:41]
	scratch_load_b128 v[30:33], off, off offset:592
	v_add_f64_e32 v[151:152], v[151:152], v[163:164]
	v_add_f64_e32 v[153:154], v[153:154], v[159:160]
	s_wait_loadcnt_dscnt 0x800
	v_mul_f64_e32 v[159:160], v[6:7], v[149:150]
	v_mul_f64_e32 v[149:150], v[8:9], v[149:150]
	v_fma_f64 v[157:158], v[4:5], v[38:39], v[157:158]
	v_fma_f64 v[163:164], v[2:3], v[38:39], -v[40:41]
	ds_load_b128 v[2:5], v1 offset:1264
	scratch_load_b128 v[38:41], off, off offset:608
	v_add_f64_e32 v[151:152], v[151:152], v[161:162]
	v_add_f64_e32 v[153:154], v[153:154], v[155:156]
	v_fma_f64 v[159:160], v[8:9], v[147:148], v[159:160]
	v_fma_f64 v[161:162], v[6:7], v[147:148], -v[149:150]
	ds_load_b128 v[6:9], v1 offset:1280
	scratch_load_b128 v[147:150], off, off offset:624
	s_wait_loadcnt_dscnt 0x901
	v_mul_f64_e32 v[155:156], v[2:3], v[36:37]
	v_mul_f64_e32 v[36:37], v[4:5], v[36:37]
	v_add_f64_e32 v[151:152], v[151:152], v[163:164]
	v_add_f64_e32 v[153:154], v[153:154], v[157:158]
	s_wait_loadcnt_dscnt 0x800
	v_mul_f64_e32 v[157:158], v[6:7], v[145:146]
	v_mul_f64_e32 v[145:146], v[8:9], v[145:146]
	v_fma_f64 v[155:156], v[4:5], v[34:35], v[155:156]
	v_fma_f64 v[163:164], v[2:3], v[34:35], -v[36:37]
	ds_load_b128 v[2:5], v1 offset:1296
	scratch_load_b128 v[34:37], off, off offset:640
	v_add_f64_e32 v[151:152], v[151:152], v[161:162]
	v_add_f64_e32 v[153:154], v[153:154], v[159:160]
	v_fma_f64 v[157:158], v[8:9], v[143:144], v[157:158]
	v_fma_f64 v[161:162], v[6:7], v[143:144], -v[145:146]
	ds_load_b128 v[6:9], v1 offset:1312
	s_wait_loadcnt_dscnt 0x801
	v_mul_f64_e32 v[159:160], v[2:3], v[12:13]
	v_mul_f64_e32 v[12:13], v[4:5], v[12:13]
	scratch_load_b128 v[143:146], off, off offset:656
	v_add_f64_e32 v[151:152], v[151:152], v[163:164]
	v_add_f64_e32 v[153:154], v[153:154], v[155:156]
	s_wait_loadcnt_dscnt 0x800
	v_mul_f64_e32 v[155:156], v[6:7], v[16:17]
	v_mul_f64_e32 v[16:17], v[8:9], v[16:17]
	v_fma_f64 v[159:160], v[4:5], v[10:11], v[159:160]
	v_fma_f64 v[163:164], v[2:3], v[10:11], -v[12:13]
	ds_load_b128 v[2:5], v1 offset:1328
	scratch_load_b128 v[10:13], off, off offset:672
	v_add_f64_e32 v[151:152], v[151:152], v[161:162]
	v_add_f64_e32 v[153:154], v[153:154], v[157:158]
	v_fma_f64 v[155:156], v[8:9], v[14:15], v[155:156]
	v_fma_f64 v[161:162], v[6:7], v[14:15], -v[16:17]
	ds_load_b128 v[6:9], v1 offset:1344
	s_wait_loadcnt_dscnt 0x801
	v_mul_f64_e32 v[157:158], v[2:3], v[20:21]
	v_mul_f64_e32 v[20:21], v[4:5], v[20:21]
	scratch_load_b128 v[14:17], off, off offset:688
	;; [unrolled: 18-line block ×5, first 2 shown]
	v_add_f64_e32 v[151:152], v[151:152], v[163:164]
	v_add_f64_e32 v[153:154], v[153:154], v[159:160]
	s_wait_loadcnt_dscnt 0x800
	v_mul_f64_e32 v[159:160], v[6:7], v[145:146]
	v_mul_f64_e32 v[145:146], v[8:9], v[145:146]
	v_fma_f64 v[157:158], v[4:5], v[34:35], v[157:158]
	v_fma_f64 v[163:164], v[2:3], v[34:35], -v[36:37]
	ds_load_b128 v[2:5], v1 offset:1456
	scratch_load_b128 v[34:37], off, off offset:800
	v_add_f64_e32 v[151:152], v[151:152], v[161:162]
	v_add_f64_e32 v[153:154], v[153:154], v[155:156]
	v_fma_f64 v[159:160], v[8:9], v[143:144], v[159:160]
	v_fma_f64 v[143:144], v[6:7], v[143:144], -v[145:146]
	ds_load_b128 v[6:9], v1 offset:1472
	s_wait_loadcnt_dscnt 0x801
	v_mul_f64_e32 v[155:156], v[2:3], v[12:13]
	v_mul_f64_e32 v[12:13], v[4:5], v[12:13]
	v_add_f64_e32 v[145:146], v[151:152], v[163:164]
	v_add_f64_e32 v[151:152], v[153:154], v[157:158]
	s_wait_loadcnt_dscnt 0x700
	v_mul_f64_e32 v[153:154], v[6:7], v[16:17]
	v_mul_f64_e32 v[16:17], v[8:9], v[16:17]
	v_fma_f64 v[155:156], v[4:5], v[10:11], v[155:156]
	v_fma_f64 v[10:11], v[2:3], v[10:11], -v[12:13]
	ds_load_b128 v[2:5], v1 offset:1488
	v_add_f64_e32 v[12:13], v[145:146], v[143:144]
	v_add_f64_e32 v[143:144], v[151:152], v[159:160]
	v_fma_f64 v[151:152], v[8:9], v[14:15], v[153:154]
	v_fma_f64 v[14:15], v[6:7], v[14:15], -v[16:17]
	ds_load_b128 v[6:9], v1 offset:1504
	s_wait_loadcnt_dscnt 0x500
	v_mul_f64_e32 v[153:154], v[6:7], v[24:25]
	v_mul_f64_e32 v[24:25], v[8:9], v[24:25]
	v_add_f64_e32 v[16:17], v[12:13], v[10:11]
	v_add_f64_e32 v[143:144], v[143:144], v[155:156]
	scratch_load_b128 v[10:13], off, off offset:304
	v_mul_f64_e32 v[145:146], v[2:3], v[20:21]
	v_mul_f64_e32 v[20:21], v[4:5], v[20:21]
	v_add_f64_e32 v[14:15], v[16:17], v[14:15]
	v_add_f64_e32 v[16:17], v[143:144], v[151:152]
	v_fma_f64 v[143:144], v[8:9], v[22:23], v[153:154]
	v_fma_f64 v[145:146], v[4:5], v[18:19], v[145:146]
	v_fma_f64 v[18:19], v[2:3], v[18:19], -v[20:21]
	ds_load_b128 v[2:5], v1 offset:1520
	v_fma_f64 v[22:23], v[6:7], v[22:23], -v[24:25]
	ds_load_b128 v[6:9], v1 offset:1536
	s_wait_loadcnt_dscnt 0x501
	v_mul_f64_e32 v[20:21], v[2:3], v[28:29]
	v_mul_f64_e32 v[28:29], v[4:5], v[28:29]
	s_wait_loadcnt_dscnt 0x400
	v_mul_f64_e32 v[24:25], v[8:9], v[32:33]
	v_add_f64_e32 v[16:17], v[16:17], v[145:146]
	v_add_f64_e32 v[14:15], v[14:15], v[18:19]
	v_mul_f64_e32 v[18:19], v[6:7], v[32:33]
	v_fma_f64 v[20:21], v[4:5], v[26:27], v[20:21]
	v_fma_f64 v[26:27], v[2:3], v[26:27], -v[28:29]
	ds_load_b128 v[2:5], v1 offset:1552
	v_fma_f64 v[24:25], v[6:7], v[30:31], -v[24:25]
	v_add_f64_e32 v[16:17], v[16:17], v[143:144]
	v_add_f64_e32 v[14:15], v[14:15], v[22:23]
	v_fma_f64 v[18:19], v[8:9], v[30:31], v[18:19]
	ds_load_b128 v[6:9], v1 offset:1568
	s_wait_loadcnt_dscnt 0x301
	v_mul_f64_e32 v[22:23], v[2:3], v[40:41]
	v_mul_f64_e32 v[28:29], v[4:5], v[40:41]
	v_add_f64_e32 v[16:17], v[16:17], v[20:21]
	v_add_f64_e32 v[14:15], v[14:15], v[26:27]
	s_wait_loadcnt_dscnt 0x200
	v_mul_f64_e32 v[20:21], v[6:7], v[149:150]
	v_mul_f64_e32 v[26:27], v[8:9], v[149:150]
	v_fma_f64 v[22:23], v[4:5], v[38:39], v[22:23]
	v_fma_f64 v[28:29], v[2:3], v[38:39], -v[28:29]
	ds_load_b128 v[2:5], v1 offset:1584
	v_add_f64_e32 v[16:17], v[16:17], v[18:19]
	v_add_f64_e32 v[14:15], v[14:15], v[24:25]
	s_wait_loadcnt_dscnt 0x100
	v_mul_f64_e32 v[18:19], v[2:3], v[36:37]
	v_mul_f64_e32 v[24:25], v[4:5], v[36:37]
	v_fma_f64 v[8:9], v[8:9], v[147:148], v[20:21]
	v_fma_f64 v[6:7], v[6:7], v[147:148], -v[26:27]
	v_add_f64_e32 v[16:17], v[16:17], v[22:23]
	v_add_f64_e32 v[14:15], v[14:15], v[28:29]
	v_fma_f64 v[4:5], v[4:5], v[34:35], v[18:19]
	v_fma_f64 v[2:3], v[2:3], v[34:35], -v[24:25]
	s_delay_alu instid0(VALU_DEP_4) | instskip(NEXT) | instid1(VALU_DEP_4)
	v_add_f64_e32 v[8:9], v[16:17], v[8:9]
	v_add_f64_e32 v[6:7], v[14:15], v[6:7]
	s_delay_alu instid0(VALU_DEP_2) | instskip(NEXT) | instid1(VALU_DEP_2)
	v_add_f64_e32 v[4:5], v[8:9], v[4:5]
	v_add_f64_e32 v[2:3], v[6:7], v[2:3]
	s_wait_loadcnt 0x0
	s_delay_alu instid0(VALU_DEP_2) | instskip(NEXT) | instid1(VALU_DEP_2)
	v_add_f64_e64 v[4:5], v[12:13], -v[4:5]
	v_add_f64_e64 v[2:3], v[10:11], -v[2:3]
	scratch_store_b128 off, v[2:5], off offset:304
	v_cmpx_lt_u32_e32 17, v0
	s_cbranch_execz .LBB113_279
; %bb.278:
	scratch_load_b128 v[5:8], off, s46
	v_dual_mov_b32 v2, v1 :: v_dual_mov_b32 v3, v1
	v_mov_b32_e32 v4, v1
	scratch_store_b128 off, v[1:4], off offset:288
	s_wait_loadcnt 0x0
	ds_store_b128 v142, v[5:8]
.LBB113_279:
	s_wait_alu 0xfffe
	s_or_b32 exec_lo, exec_lo, s0
	s_wait_storecnt_dscnt 0x0
	s_barrier_signal -1
	s_barrier_wait -1
	global_inv scope:SCOPE_SE
	s_clause 0x7
	scratch_load_b128 v[2:5], off, off offset:304
	scratch_load_b128 v[6:9], off, off offset:320
	;; [unrolled: 1-line block ×8, first 2 shown]
	ds_load_b128 v[34:37], v1 offset:1088
	ds_load_b128 v[143:146], v1 offset:1104
	s_clause 0x1
	scratch_load_b128 v[38:41], off, off offset:432
	scratch_load_b128 v[147:150], off, off offset:448
	s_mov_b32 s0, exec_lo
	s_wait_loadcnt_dscnt 0x901
	v_mul_f64_e32 v[151:152], v[36:37], v[4:5]
	v_mul_f64_e32 v[4:5], v[34:35], v[4:5]
	s_wait_loadcnt_dscnt 0x800
	v_mul_f64_e32 v[153:154], v[143:144], v[8:9]
	v_mul_f64_e32 v[8:9], v[145:146], v[8:9]
	s_delay_alu instid0(VALU_DEP_4) | instskip(NEXT) | instid1(VALU_DEP_4)
	v_fma_f64 v[151:152], v[34:35], v[2:3], -v[151:152]
	v_fma_f64 v[155:156], v[36:37], v[2:3], v[4:5]
	ds_load_b128 v[2:5], v1 offset:1120
	scratch_load_b128 v[34:37], off, off offset:464
	v_fma_f64 v[153:154], v[145:146], v[6:7], v[153:154]
	v_fma_f64 v[159:160], v[143:144], v[6:7], -v[8:9]
	ds_load_b128 v[6:9], v1 offset:1136
	scratch_load_b128 v[143:146], off, off offset:480
	s_wait_loadcnt_dscnt 0x901
	v_mul_f64_e32 v[157:158], v[2:3], v[12:13]
	v_mul_f64_e32 v[12:13], v[4:5], v[12:13]
	s_wait_loadcnt_dscnt 0x800
	v_mul_f64_e32 v[161:162], v[6:7], v[16:17]
	v_mul_f64_e32 v[16:17], v[8:9], v[16:17]
	v_add_f64_e32 v[151:152], 0, v[151:152]
	v_add_f64_e32 v[155:156], 0, v[155:156]
	v_fma_f64 v[157:158], v[4:5], v[10:11], v[157:158]
	v_fma_f64 v[163:164], v[2:3], v[10:11], -v[12:13]
	ds_load_b128 v[2:5], v1 offset:1152
	scratch_load_b128 v[10:13], off, off offset:496
	v_add_f64_e32 v[151:152], v[151:152], v[159:160]
	v_add_f64_e32 v[153:154], v[155:156], v[153:154]
	v_fma_f64 v[159:160], v[8:9], v[14:15], v[161:162]
	v_fma_f64 v[161:162], v[6:7], v[14:15], -v[16:17]
	ds_load_b128 v[6:9], v1 offset:1168
	scratch_load_b128 v[14:17], off, off offset:512
	s_wait_loadcnt_dscnt 0x901
	v_mul_f64_e32 v[155:156], v[2:3], v[20:21]
	v_mul_f64_e32 v[20:21], v[4:5], v[20:21]
	v_add_f64_e32 v[151:152], v[151:152], v[163:164]
	v_add_f64_e32 v[153:154], v[153:154], v[157:158]
	s_wait_loadcnt_dscnt 0x800
	v_mul_f64_e32 v[157:158], v[6:7], v[24:25]
	v_mul_f64_e32 v[24:25], v[8:9], v[24:25]
	v_fma_f64 v[155:156], v[4:5], v[18:19], v[155:156]
	v_fma_f64 v[163:164], v[2:3], v[18:19], -v[20:21]
	ds_load_b128 v[2:5], v1 offset:1184
	scratch_load_b128 v[18:21], off, off offset:528
	v_add_f64_e32 v[151:152], v[151:152], v[161:162]
	v_add_f64_e32 v[153:154], v[153:154], v[159:160]
	v_fma_f64 v[157:158], v[8:9], v[22:23], v[157:158]
	v_fma_f64 v[161:162], v[6:7], v[22:23], -v[24:25]
	ds_load_b128 v[6:9], v1 offset:1200
	s_wait_loadcnt_dscnt 0x801
	v_mul_f64_e32 v[159:160], v[2:3], v[28:29]
	v_mul_f64_e32 v[28:29], v[4:5], v[28:29]
	scratch_load_b128 v[22:25], off, off offset:544
	v_add_f64_e32 v[151:152], v[151:152], v[163:164]
	v_add_f64_e32 v[153:154], v[153:154], v[155:156]
	s_wait_loadcnt_dscnt 0x800
	v_mul_f64_e32 v[155:156], v[6:7], v[32:33]
	v_mul_f64_e32 v[32:33], v[8:9], v[32:33]
	v_fma_f64 v[159:160], v[4:5], v[26:27], v[159:160]
	v_fma_f64 v[163:164], v[2:3], v[26:27], -v[28:29]
	ds_load_b128 v[2:5], v1 offset:1216
	scratch_load_b128 v[26:29], off, off offset:560
	v_add_f64_e32 v[151:152], v[151:152], v[161:162]
	v_add_f64_e32 v[153:154], v[153:154], v[157:158]
	v_fma_f64 v[155:156], v[8:9], v[30:31], v[155:156]
	v_fma_f64 v[161:162], v[6:7], v[30:31], -v[32:33]
	ds_load_b128 v[6:9], v1 offset:1232
	s_wait_loadcnt_dscnt 0x801
	v_mul_f64_e32 v[157:158], v[2:3], v[40:41]
	v_mul_f64_e32 v[40:41], v[4:5], v[40:41]
	scratch_load_b128 v[30:33], off, off offset:576
	v_add_f64_e32 v[151:152], v[151:152], v[163:164]
	v_add_f64_e32 v[153:154], v[153:154], v[159:160]
	s_wait_loadcnt_dscnt 0x800
	v_mul_f64_e32 v[159:160], v[6:7], v[149:150]
	v_mul_f64_e32 v[149:150], v[8:9], v[149:150]
	v_fma_f64 v[157:158], v[4:5], v[38:39], v[157:158]
	v_fma_f64 v[163:164], v[2:3], v[38:39], -v[40:41]
	ds_load_b128 v[2:5], v1 offset:1248
	scratch_load_b128 v[38:41], off, off offset:592
	v_add_f64_e32 v[151:152], v[151:152], v[161:162]
	v_add_f64_e32 v[153:154], v[153:154], v[155:156]
	v_fma_f64 v[159:160], v[8:9], v[147:148], v[159:160]
	v_fma_f64 v[161:162], v[6:7], v[147:148], -v[149:150]
	ds_load_b128 v[6:9], v1 offset:1264
	scratch_load_b128 v[147:150], off, off offset:608
	s_wait_loadcnt_dscnt 0x901
	v_mul_f64_e32 v[155:156], v[2:3], v[36:37]
	v_mul_f64_e32 v[36:37], v[4:5], v[36:37]
	v_add_f64_e32 v[151:152], v[151:152], v[163:164]
	v_add_f64_e32 v[153:154], v[153:154], v[157:158]
	s_wait_loadcnt_dscnt 0x800
	v_mul_f64_e32 v[157:158], v[6:7], v[145:146]
	v_mul_f64_e32 v[145:146], v[8:9], v[145:146]
	v_fma_f64 v[155:156], v[4:5], v[34:35], v[155:156]
	v_fma_f64 v[163:164], v[2:3], v[34:35], -v[36:37]
	ds_load_b128 v[2:5], v1 offset:1280
	scratch_load_b128 v[34:37], off, off offset:624
	v_add_f64_e32 v[151:152], v[151:152], v[161:162]
	v_add_f64_e32 v[153:154], v[153:154], v[159:160]
	v_fma_f64 v[157:158], v[8:9], v[143:144], v[157:158]
	v_fma_f64 v[161:162], v[6:7], v[143:144], -v[145:146]
	ds_load_b128 v[6:9], v1 offset:1296
	s_wait_loadcnt_dscnt 0x801
	v_mul_f64_e32 v[159:160], v[2:3], v[12:13]
	v_mul_f64_e32 v[12:13], v[4:5], v[12:13]
	scratch_load_b128 v[143:146], off, off offset:640
	v_add_f64_e32 v[151:152], v[151:152], v[163:164]
	v_add_f64_e32 v[153:154], v[153:154], v[155:156]
	s_wait_loadcnt_dscnt 0x800
	v_mul_f64_e32 v[155:156], v[6:7], v[16:17]
	v_mul_f64_e32 v[16:17], v[8:9], v[16:17]
	v_fma_f64 v[159:160], v[4:5], v[10:11], v[159:160]
	v_fma_f64 v[163:164], v[2:3], v[10:11], -v[12:13]
	ds_load_b128 v[2:5], v1 offset:1312
	scratch_load_b128 v[10:13], off, off offset:656
	v_add_f64_e32 v[151:152], v[151:152], v[161:162]
	v_add_f64_e32 v[153:154], v[153:154], v[157:158]
	v_fma_f64 v[155:156], v[8:9], v[14:15], v[155:156]
	v_fma_f64 v[161:162], v[6:7], v[14:15], -v[16:17]
	ds_load_b128 v[6:9], v1 offset:1328
	s_wait_loadcnt_dscnt 0x801
	v_mul_f64_e32 v[157:158], v[2:3], v[20:21]
	v_mul_f64_e32 v[20:21], v[4:5], v[20:21]
	scratch_load_b128 v[14:17], off, off offset:672
	;; [unrolled: 18-line block ×6, first 2 shown]
	v_add_f64_e32 v[151:152], v[151:152], v[163:164]
	v_add_f64_e32 v[153:154], v[153:154], v[157:158]
	s_wait_loadcnt_dscnt 0x800
	v_mul_f64_e32 v[157:158], v[6:7], v[16:17]
	v_mul_f64_e32 v[16:17], v[8:9], v[16:17]
	v_fma_f64 v[155:156], v[4:5], v[10:11], v[155:156]
	v_fma_f64 v[10:11], v[2:3], v[10:11], -v[12:13]
	ds_load_b128 v[2:5], v1 offset:1472
	v_add_f64_e32 v[12:13], v[151:152], v[161:162]
	v_add_f64_e32 v[151:152], v[153:154], v[159:160]
	v_fma_f64 v[157:158], v[8:9], v[14:15], v[157:158]
	v_fma_f64 v[14:15], v[6:7], v[14:15], -v[16:17]
	ds_load_b128 v[6:9], v1 offset:1488
	s_wait_loadcnt_dscnt 0x701
	v_mul_f64_e32 v[153:154], v[2:3], v[20:21]
	v_mul_f64_e32 v[20:21], v[4:5], v[20:21]
	v_add_f64_e32 v[10:11], v[12:13], v[10:11]
	v_add_f64_e32 v[12:13], v[151:152], v[155:156]
	s_delay_alu instid0(VALU_DEP_4) | instskip(NEXT) | instid1(VALU_DEP_4)
	v_fma_f64 v[151:152], v[4:5], v[18:19], v[153:154]
	v_fma_f64 v[18:19], v[2:3], v[18:19], -v[20:21]
	ds_load_b128 v[2:5], v1 offset:1504
	v_add_f64_e32 v[14:15], v[10:11], v[14:15]
	v_add_f64_e32 v[20:21], v[12:13], v[157:158]
	scratch_load_b128 v[10:13], off, off offset:288
	s_wait_loadcnt_dscnt 0x701
	v_mul_f64_e32 v[16:17], v[6:7], v[24:25]
	v_mul_f64_e32 v[24:25], v[8:9], v[24:25]
	v_add_f64_e32 v[14:15], v[14:15], v[18:19]
	v_add_f64_e32 v[18:19], v[20:21], v[151:152]
	s_delay_alu instid0(VALU_DEP_4) | instskip(NEXT) | instid1(VALU_DEP_4)
	v_fma_f64 v[16:17], v[8:9], v[22:23], v[16:17]
	v_fma_f64 v[22:23], v[6:7], v[22:23], -v[24:25]
	ds_load_b128 v[6:9], v1 offset:1520
	s_wait_loadcnt_dscnt 0x601
	v_mul_f64_e32 v[153:154], v[2:3], v[28:29]
	v_mul_f64_e32 v[28:29], v[4:5], v[28:29]
	s_wait_loadcnt_dscnt 0x500
	v_mul_f64_e32 v[20:21], v[6:7], v[32:33]
	v_mul_f64_e32 v[24:25], v[8:9], v[32:33]
	v_add_f64_e32 v[16:17], v[18:19], v[16:17]
	v_add_f64_e32 v[14:15], v[14:15], v[22:23]
	v_fma_f64 v[32:33], v[4:5], v[26:27], v[153:154]
	v_fma_f64 v[26:27], v[2:3], v[26:27], -v[28:29]
	ds_load_b128 v[2:5], v1 offset:1536
	v_fma_f64 v[20:21], v[8:9], v[30:31], v[20:21]
	v_fma_f64 v[24:25], v[6:7], v[30:31], -v[24:25]
	ds_load_b128 v[6:9], v1 offset:1552
	s_wait_loadcnt_dscnt 0x401
	v_mul_f64_e32 v[18:19], v[2:3], v[40:41]
	v_mul_f64_e32 v[22:23], v[4:5], v[40:41]
	v_add_f64_e32 v[16:17], v[16:17], v[32:33]
	v_add_f64_e32 v[14:15], v[14:15], v[26:27]
	s_wait_loadcnt_dscnt 0x300
	v_mul_f64_e32 v[26:27], v[6:7], v[149:150]
	v_mul_f64_e32 v[28:29], v[8:9], v[149:150]
	v_fma_f64 v[18:19], v[4:5], v[38:39], v[18:19]
	v_fma_f64 v[22:23], v[2:3], v[38:39], -v[22:23]
	ds_load_b128 v[2:5], v1 offset:1568
	v_add_f64_e32 v[16:17], v[16:17], v[20:21]
	v_add_f64_e32 v[14:15], v[14:15], v[24:25]
	v_fma_f64 v[26:27], v[8:9], v[147:148], v[26:27]
	v_fma_f64 v[28:29], v[6:7], v[147:148], -v[28:29]
	ds_load_b128 v[6:9], v1 offset:1584
	s_wait_loadcnt_dscnt 0x201
	v_mul_f64_e32 v[20:21], v[2:3], v[36:37]
	v_mul_f64_e32 v[24:25], v[4:5], v[36:37]
	v_add_f64_e32 v[16:17], v[16:17], v[18:19]
	v_add_f64_e32 v[14:15], v[14:15], v[22:23]
	s_wait_loadcnt_dscnt 0x100
	v_mul_f64_e32 v[18:19], v[6:7], v[145:146]
	v_mul_f64_e32 v[22:23], v[8:9], v[145:146]
	v_fma_f64 v[4:5], v[4:5], v[34:35], v[20:21]
	v_fma_f64 v[1:2], v[2:3], v[34:35], -v[24:25]
	v_add_f64_e32 v[16:17], v[16:17], v[26:27]
	v_add_f64_e32 v[14:15], v[14:15], v[28:29]
	v_fma_f64 v[8:9], v[8:9], v[143:144], v[18:19]
	v_fma_f64 v[6:7], v[6:7], v[143:144], -v[22:23]
	s_delay_alu instid0(VALU_DEP_4) | instskip(NEXT) | instid1(VALU_DEP_4)
	v_add_f64_e32 v[3:4], v[16:17], v[4:5]
	v_add_f64_e32 v[1:2], v[14:15], v[1:2]
	s_delay_alu instid0(VALU_DEP_2) | instskip(NEXT) | instid1(VALU_DEP_2)
	v_add_f64_e32 v[3:4], v[3:4], v[8:9]
	v_add_f64_e32 v[1:2], v[1:2], v[6:7]
	s_wait_loadcnt 0x0
	s_delay_alu instid0(VALU_DEP_2) | instskip(NEXT) | instid1(VALU_DEP_2)
	v_add_f64_e64 v[3:4], v[12:13], -v[3:4]
	v_add_f64_e64 v[1:2], v[10:11], -v[1:2]
	scratch_store_b128 off, v[1:4], off offset:288
	v_cmpx_lt_u32_e32 16, v0
	s_cbranch_execz .LBB113_281
; %bb.280:
	scratch_load_b128 v[1:4], off, s47
	v_mov_b32_e32 v5, 0
	s_delay_alu instid0(VALU_DEP_1)
	v_dual_mov_b32 v6, v5 :: v_dual_mov_b32 v7, v5
	v_mov_b32_e32 v8, v5
	scratch_store_b128 off, v[5:8], off offset:272
	s_wait_loadcnt 0x0
	ds_store_b128 v142, v[1:4]
.LBB113_281:
	s_wait_alu 0xfffe
	s_or_b32 exec_lo, exec_lo, s0
	s_wait_storecnt_dscnt 0x0
	s_barrier_signal -1
	s_barrier_wait -1
	global_inv scope:SCOPE_SE
	s_clause 0x7
	scratch_load_b128 v[2:5], off, off offset:288
	scratch_load_b128 v[6:9], off, off offset:304
	;; [unrolled: 1-line block ×8, first 2 shown]
	v_mov_b32_e32 v1, 0
	s_clause 0x1
	scratch_load_b128 v[38:41], off, off offset:416
	scratch_load_b128 v[147:150], off, off offset:432
	s_mov_b32 s0, exec_lo
	ds_load_b128 v[34:37], v1 offset:1072
	ds_load_b128 v[143:146], v1 offset:1088
	s_wait_loadcnt_dscnt 0x901
	v_mul_f64_e32 v[151:152], v[36:37], v[4:5]
	v_mul_f64_e32 v[4:5], v[34:35], v[4:5]
	s_wait_loadcnt_dscnt 0x800
	v_mul_f64_e32 v[153:154], v[143:144], v[8:9]
	v_mul_f64_e32 v[8:9], v[145:146], v[8:9]
	s_delay_alu instid0(VALU_DEP_4) | instskip(NEXT) | instid1(VALU_DEP_4)
	v_fma_f64 v[151:152], v[34:35], v[2:3], -v[151:152]
	v_fma_f64 v[155:156], v[36:37], v[2:3], v[4:5]
	ds_load_b128 v[2:5], v1 offset:1104
	scratch_load_b128 v[34:37], off, off offset:448
	v_fma_f64 v[153:154], v[145:146], v[6:7], v[153:154]
	v_fma_f64 v[159:160], v[143:144], v[6:7], -v[8:9]
	ds_load_b128 v[6:9], v1 offset:1120
	scratch_load_b128 v[143:146], off, off offset:464
	s_wait_loadcnt_dscnt 0x901
	v_mul_f64_e32 v[157:158], v[2:3], v[12:13]
	v_mul_f64_e32 v[12:13], v[4:5], v[12:13]
	s_wait_loadcnt_dscnt 0x800
	v_mul_f64_e32 v[161:162], v[6:7], v[16:17]
	v_mul_f64_e32 v[16:17], v[8:9], v[16:17]
	v_add_f64_e32 v[151:152], 0, v[151:152]
	v_add_f64_e32 v[155:156], 0, v[155:156]
	v_fma_f64 v[157:158], v[4:5], v[10:11], v[157:158]
	v_fma_f64 v[163:164], v[2:3], v[10:11], -v[12:13]
	ds_load_b128 v[2:5], v1 offset:1136
	scratch_load_b128 v[10:13], off, off offset:480
	v_add_f64_e32 v[151:152], v[151:152], v[159:160]
	v_add_f64_e32 v[153:154], v[155:156], v[153:154]
	v_fma_f64 v[159:160], v[8:9], v[14:15], v[161:162]
	v_fma_f64 v[161:162], v[6:7], v[14:15], -v[16:17]
	ds_load_b128 v[6:9], v1 offset:1152
	scratch_load_b128 v[14:17], off, off offset:496
	s_wait_loadcnt_dscnt 0x901
	v_mul_f64_e32 v[155:156], v[2:3], v[20:21]
	v_mul_f64_e32 v[20:21], v[4:5], v[20:21]
	v_add_f64_e32 v[151:152], v[151:152], v[163:164]
	v_add_f64_e32 v[153:154], v[153:154], v[157:158]
	s_wait_loadcnt_dscnt 0x800
	v_mul_f64_e32 v[157:158], v[6:7], v[24:25]
	v_mul_f64_e32 v[24:25], v[8:9], v[24:25]
	v_fma_f64 v[155:156], v[4:5], v[18:19], v[155:156]
	v_fma_f64 v[163:164], v[2:3], v[18:19], -v[20:21]
	ds_load_b128 v[2:5], v1 offset:1168
	scratch_load_b128 v[18:21], off, off offset:512
	v_add_f64_e32 v[151:152], v[151:152], v[161:162]
	v_add_f64_e32 v[153:154], v[153:154], v[159:160]
	v_fma_f64 v[157:158], v[8:9], v[22:23], v[157:158]
	v_fma_f64 v[161:162], v[6:7], v[22:23], -v[24:25]
	ds_load_b128 v[6:9], v1 offset:1184
	s_wait_loadcnt_dscnt 0x801
	v_mul_f64_e32 v[159:160], v[2:3], v[28:29]
	v_mul_f64_e32 v[28:29], v[4:5], v[28:29]
	scratch_load_b128 v[22:25], off, off offset:528
	v_add_f64_e32 v[151:152], v[151:152], v[163:164]
	v_add_f64_e32 v[153:154], v[153:154], v[155:156]
	s_wait_loadcnt_dscnt 0x800
	v_mul_f64_e32 v[155:156], v[6:7], v[32:33]
	v_mul_f64_e32 v[32:33], v[8:9], v[32:33]
	v_fma_f64 v[159:160], v[4:5], v[26:27], v[159:160]
	v_fma_f64 v[163:164], v[2:3], v[26:27], -v[28:29]
	ds_load_b128 v[2:5], v1 offset:1200
	scratch_load_b128 v[26:29], off, off offset:544
	v_add_f64_e32 v[151:152], v[151:152], v[161:162]
	v_add_f64_e32 v[153:154], v[153:154], v[157:158]
	v_fma_f64 v[155:156], v[8:9], v[30:31], v[155:156]
	v_fma_f64 v[161:162], v[6:7], v[30:31], -v[32:33]
	ds_load_b128 v[6:9], v1 offset:1216
	s_wait_loadcnt_dscnt 0x801
	v_mul_f64_e32 v[157:158], v[2:3], v[40:41]
	v_mul_f64_e32 v[40:41], v[4:5], v[40:41]
	scratch_load_b128 v[30:33], off, off offset:560
	v_add_f64_e32 v[151:152], v[151:152], v[163:164]
	v_add_f64_e32 v[153:154], v[153:154], v[159:160]
	s_wait_loadcnt_dscnt 0x800
	v_mul_f64_e32 v[159:160], v[6:7], v[149:150]
	v_mul_f64_e32 v[149:150], v[8:9], v[149:150]
	v_fma_f64 v[157:158], v[4:5], v[38:39], v[157:158]
	v_fma_f64 v[163:164], v[2:3], v[38:39], -v[40:41]
	ds_load_b128 v[2:5], v1 offset:1232
	scratch_load_b128 v[38:41], off, off offset:576
	v_add_f64_e32 v[151:152], v[151:152], v[161:162]
	v_add_f64_e32 v[153:154], v[153:154], v[155:156]
	v_fma_f64 v[159:160], v[8:9], v[147:148], v[159:160]
	v_fma_f64 v[161:162], v[6:7], v[147:148], -v[149:150]
	ds_load_b128 v[6:9], v1 offset:1248
	scratch_load_b128 v[147:150], off, off offset:592
	s_wait_loadcnt_dscnt 0x901
	v_mul_f64_e32 v[155:156], v[2:3], v[36:37]
	v_mul_f64_e32 v[36:37], v[4:5], v[36:37]
	v_add_f64_e32 v[151:152], v[151:152], v[163:164]
	v_add_f64_e32 v[153:154], v[153:154], v[157:158]
	s_wait_loadcnt_dscnt 0x800
	v_mul_f64_e32 v[157:158], v[6:7], v[145:146]
	v_mul_f64_e32 v[145:146], v[8:9], v[145:146]
	v_fma_f64 v[155:156], v[4:5], v[34:35], v[155:156]
	v_fma_f64 v[163:164], v[2:3], v[34:35], -v[36:37]
	ds_load_b128 v[2:5], v1 offset:1264
	scratch_load_b128 v[34:37], off, off offset:608
	v_add_f64_e32 v[151:152], v[151:152], v[161:162]
	v_add_f64_e32 v[153:154], v[153:154], v[159:160]
	v_fma_f64 v[157:158], v[8:9], v[143:144], v[157:158]
	v_fma_f64 v[161:162], v[6:7], v[143:144], -v[145:146]
	ds_load_b128 v[6:9], v1 offset:1280
	s_wait_loadcnt_dscnt 0x801
	v_mul_f64_e32 v[159:160], v[2:3], v[12:13]
	v_mul_f64_e32 v[12:13], v[4:5], v[12:13]
	scratch_load_b128 v[143:146], off, off offset:624
	v_add_f64_e32 v[151:152], v[151:152], v[163:164]
	v_add_f64_e32 v[153:154], v[153:154], v[155:156]
	s_wait_loadcnt_dscnt 0x800
	v_mul_f64_e32 v[155:156], v[6:7], v[16:17]
	v_mul_f64_e32 v[16:17], v[8:9], v[16:17]
	v_fma_f64 v[159:160], v[4:5], v[10:11], v[159:160]
	v_fma_f64 v[163:164], v[2:3], v[10:11], -v[12:13]
	ds_load_b128 v[2:5], v1 offset:1296
	scratch_load_b128 v[10:13], off, off offset:640
	v_add_f64_e32 v[151:152], v[151:152], v[161:162]
	v_add_f64_e32 v[153:154], v[153:154], v[157:158]
	v_fma_f64 v[155:156], v[8:9], v[14:15], v[155:156]
	v_fma_f64 v[161:162], v[6:7], v[14:15], -v[16:17]
	ds_load_b128 v[6:9], v1 offset:1312
	s_wait_loadcnt_dscnt 0x801
	v_mul_f64_e32 v[157:158], v[2:3], v[20:21]
	v_mul_f64_e32 v[20:21], v[4:5], v[20:21]
	scratch_load_b128 v[14:17], off, off offset:656
	;; [unrolled: 18-line block ×6, first 2 shown]
	v_add_f64_e32 v[151:152], v[151:152], v[163:164]
	v_add_f64_e32 v[153:154], v[153:154], v[157:158]
	s_wait_loadcnt_dscnt 0x800
	v_mul_f64_e32 v[157:158], v[6:7], v[16:17]
	v_mul_f64_e32 v[16:17], v[8:9], v[16:17]
	v_fma_f64 v[155:156], v[4:5], v[10:11], v[155:156]
	v_fma_f64 v[163:164], v[2:3], v[10:11], -v[12:13]
	ds_load_b128 v[2:5], v1 offset:1456
	scratch_load_b128 v[10:13], off, off offset:800
	v_add_f64_e32 v[151:152], v[151:152], v[161:162]
	v_add_f64_e32 v[153:154], v[153:154], v[159:160]
	v_fma_f64 v[157:158], v[8:9], v[14:15], v[157:158]
	v_fma_f64 v[14:15], v[6:7], v[14:15], -v[16:17]
	ds_load_b128 v[6:9], v1 offset:1472
	s_wait_loadcnt_dscnt 0x801
	v_mul_f64_e32 v[159:160], v[2:3], v[20:21]
	v_mul_f64_e32 v[20:21], v[4:5], v[20:21]
	v_add_f64_e32 v[16:17], v[151:152], v[163:164]
	v_add_f64_e32 v[151:152], v[153:154], v[155:156]
	s_wait_loadcnt_dscnt 0x700
	v_mul_f64_e32 v[153:154], v[6:7], v[24:25]
	v_mul_f64_e32 v[24:25], v[8:9], v[24:25]
	v_fma_f64 v[155:156], v[4:5], v[18:19], v[159:160]
	v_fma_f64 v[18:19], v[2:3], v[18:19], -v[20:21]
	ds_load_b128 v[2:5], v1 offset:1488
	v_add_f64_e32 v[14:15], v[16:17], v[14:15]
	v_add_f64_e32 v[16:17], v[151:152], v[157:158]
	v_fma_f64 v[151:152], v[8:9], v[22:23], v[153:154]
	v_fma_f64 v[22:23], v[6:7], v[22:23], -v[24:25]
	ds_load_b128 v[6:9], v1 offset:1504
	s_wait_loadcnt_dscnt 0x500
	v_mul_f64_e32 v[153:154], v[6:7], v[32:33]
	v_mul_f64_e32 v[32:33], v[8:9], v[32:33]
	v_add_f64_e32 v[18:19], v[14:15], v[18:19]
	v_add_f64_e32 v[24:25], v[16:17], v[155:156]
	scratch_load_b128 v[14:17], off, off offset:272
	v_mul_f64_e32 v[20:21], v[2:3], v[28:29]
	v_mul_f64_e32 v[28:29], v[4:5], v[28:29]
	v_add_f64_e32 v[18:19], v[18:19], v[22:23]
	v_add_f64_e32 v[22:23], v[24:25], v[151:152]
	s_delay_alu instid0(VALU_DEP_4) | instskip(NEXT) | instid1(VALU_DEP_4)
	v_fma_f64 v[20:21], v[4:5], v[26:27], v[20:21]
	v_fma_f64 v[26:27], v[2:3], v[26:27], -v[28:29]
	ds_load_b128 v[2:5], v1 offset:1520
	s_wait_loadcnt_dscnt 0x500
	v_mul_f64_e32 v[24:25], v[2:3], v[40:41]
	v_mul_f64_e32 v[28:29], v[4:5], v[40:41]
	v_fma_f64 v[40:41], v[8:9], v[30:31], v[153:154]
	v_fma_f64 v[30:31], v[6:7], v[30:31], -v[32:33]
	ds_load_b128 v[6:9], v1 offset:1536
	v_add_f64_e32 v[20:21], v[22:23], v[20:21]
	v_add_f64_e32 v[18:19], v[18:19], v[26:27]
	v_fma_f64 v[24:25], v[4:5], v[38:39], v[24:25]
	v_fma_f64 v[28:29], v[2:3], v[38:39], -v[28:29]
	ds_load_b128 v[2:5], v1 offset:1552
	s_wait_loadcnt_dscnt 0x401
	v_mul_f64_e32 v[22:23], v[6:7], v[149:150]
	v_mul_f64_e32 v[26:27], v[8:9], v[149:150]
	v_add_f64_e32 v[20:21], v[20:21], v[40:41]
	v_add_f64_e32 v[18:19], v[18:19], v[30:31]
	s_wait_loadcnt_dscnt 0x300
	v_mul_f64_e32 v[30:31], v[2:3], v[36:37]
	v_mul_f64_e32 v[32:33], v[4:5], v[36:37]
	v_fma_f64 v[22:23], v[8:9], v[147:148], v[22:23]
	v_fma_f64 v[26:27], v[6:7], v[147:148], -v[26:27]
	ds_load_b128 v[6:9], v1 offset:1568
	v_add_f64_e32 v[20:21], v[20:21], v[24:25]
	v_add_f64_e32 v[18:19], v[18:19], v[28:29]
	v_fma_f64 v[30:31], v[4:5], v[34:35], v[30:31]
	v_fma_f64 v[32:33], v[2:3], v[34:35], -v[32:33]
	ds_load_b128 v[2:5], v1 offset:1584
	s_wait_loadcnt_dscnt 0x201
	v_mul_f64_e32 v[24:25], v[6:7], v[145:146]
	v_mul_f64_e32 v[28:29], v[8:9], v[145:146]
	v_add_f64_e32 v[20:21], v[20:21], v[22:23]
	v_add_f64_e32 v[18:19], v[18:19], v[26:27]
	s_wait_loadcnt_dscnt 0x100
	v_mul_f64_e32 v[22:23], v[2:3], v[12:13]
	v_mul_f64_e32 v[12:13], v[4:5], v[12:13]
	v_fma_f64 v[8:9], v[8:9], v[143:144], v[24:25]
	v_fma_f64 v[6:7], v[6:7], v[143:144], -v[28:29]
	v_add_f64_e32 v[20:21], v[20:21], v[30:31]
	v_add_f64_e32 v[18:19], v[18:19], v[32:33]
	v_fma_f64 v[4:5], v[4:5], v[10:11], v[22:23]
	v_fma_f64 v[2:3], v[2:3], v[10:11], -v[12:13]
	s_delay_alu instid0(VALU_DEP_4) | instskip(NEXT) | instid1(VALU_DEP_4)
	v_add_f64_e32 v[8:9], v[20:21], v[8:9]
	v_add_f64_e32 v[6:7], v[18:19], v[6:7]
	s_delay_alu instid0(VALU_DEP_2) | instskip(NEXT) | instid1(VALU_DEP_2)
	v_add_f64_e32 v[4:5], v[8:9], v[4:5]
	v_add_f64_e32 v[2:3], v[6:7], v[2:3]
	s_wait_loadcnt 0x0
	s_delay_alu instid0(VALU_DEP_2) | instskip(NEXT) | instid1(VALU_DEP_2)
	v_add_f64_e64 v[4:5], v[16:17], -v[4:5]
	v_add_f64_e64 v[2:3], v[14:15], -v[2:3]
	scratch_store_b128 off, v[2:5], off offset:272
	v_cmpx_lt_u32_e32 15, v0
	s_cbranch_execz .LBB113_283
; %bb.282:
	scratch_load_b128 v[5:8], off, s48
	v_dual_mov_b32 v2, v1 :: v_dual_mov_b32 v3, v1
	v_mov_b32_e32 v4, v1
	scratch_store_b128 off, v[1:4], off offset:256
	s_wait_loadcnt 0x0
	ds_store_b128 v142, v[5:8]
.LBB113_283:
	s_wait_alu 0xfffe
	s_or_b32 exec_lo, exec_lo, s0
	s_wait_storecnt_dscnt 0x0
	s_barrier_signal -1
	s_barrier_wait -1
	global_inv scope:SCOPE_SE
	s_clause 0x7
	scratch_load_b128 v[2:5], off, off offset:272
	scratch_load_b128 v[6:9], off, off offset:288
	;; [unrolled: 1-line block ×8, first 2 shown]
	ds_load_b128 v[38:41], v1 offset:1056
	ds_load_b128 v[143:146], v1 offset:1072
	s_clause 0x1
	scratch_load_b128 v[34:37], off, off offset:400
	scratch_load_b128 v[147:150], off, off offset:416
	s_mov_b32 s0, exec_lo
	s_wait_loadcnt_dscnt 0x901
	v_mul_f64_e32 v[151:152], v[40:41], v[4:5]
	v_mul_f64_e32 v[4:5], v[38:39], v[4:5]
	s_wait_loadcnt_dscnt 0x800
	v_mul_f64_e32 v[153:154], v[143:144], v[8:9]
	v_mul_f64_e32 v[8:9], v[145:146], v[8:9]
	s_delay_alu instid0(VALU_DEP_4) | instskip(NEXT) | instid1(VALU_DEP_4)
	v_fma_f64 v[151:152], v[38:39], v[2:3], -v[151:152]
	v_fma_f64 v[155:156], v[40:41], v[2:3], v[4:5]
	ds_load_b128 v[2:5], v1 offset:1088
	scratch_load_b128 v[38:41], off, off offset:432
	v_fma_f64 v[153:154], v[145:146], v[6:7], v[153:154]
	v_fma_f64 v[159:160], v[143:144], v[6:7], -v[8:9]
	ds_load_b128 v[6:9], v1 offset:1104
	scratch_load_b128 v[143:146], off, off offset:448
	s_wait_loadcnt_dscnt 0x901
	v_mul_f64_e32 v[157:158], v[2:3], v[12:13]
	v_mul_f64_e32 v[12:13], v[4:5], v[12:13]
	s_wait_loadcnt_dscnt 0x800
	v_mul_f64_e32 v[161:162], v[6:7], v[16:17]
	v_mul_f64_e32 v[16:17], v[8:9], v[16:17]
	v_add_f64_e32 v[151:152], 0, v[151:152]
	v_add_f64_e32 v[155:156], 0, v[155:156]
	v_fma_f64 v[157:158], v[4:5], v[10:11], v[157:158]
	v_fma_f64 v[163:164], v[2:3], v[10:11], -v[12:13]
	ds_load_b128 v[2:5], v1 offset:1120
	scratch_load_b128 v[10:13], off, off offset:464
	v_add_f64_e32 v[151:152], v[151:152], v[159:160]
	v_add_f64_e32 v[153:154], v[155:156], v[153:154]
	v_fma_f64 v[159:160], v[8:9], v[14:15], v[161:162]
	v_fma_f64 v[161:162], v[6:7], v[14:15], -v[16:17]
	ds_load_b128 v[6:9], v1 offset:1136
	scratch_load_b128 v[14:17], off, off offset:480
	s_wait_loadcnt_dscnt 0x901
	v_mul_f64_e32 v[155:156], v[2:3], v[20:21]
	v_mul_f64_e32 v[20:21], v[4:5], v[20:21]
	v_add_f64_e32 v[151:152], v[151:152], v[163:164]
	v_add_f64_e32 v[153:154], v[153:154], v[157:158]
	s_wait_loadcnt_dscnt 0x800
	v_mul_f64_e32 v[157:158], v[6:7], v[24:25]
	v_mul_f64_e32 v[24:25], v[8:9], v[24:25]
	v_fma_f64 v[155:156], v[4:5], v[18:19], v[155:156]
	v_fma_f64 v[163:164], v[2:3], v[18:19], -v[20:21]
	ds_load_b128 v[2:5], v1 offset:1152
	scratch_load_b128 v[18:21], off, off offset:496
	v_add_f64_e32 v[151:152], v[151:152], v[161:162]
	v_add_f64_e32 v[153:154], v[153:154], v[159:160]
	v_fma_f64 v[157:158], v[8:9], v[22:23], v[157:158]
	v_fma_f64 v[161:162], v[6:7], v[22:23], -v[24:25]
	ds_load_b128 v[6:9], v1 offset:1168
	s_wait_loadcnt_dscnt 0x801
	v_mul_f64_e32 v[159:160], v[2:3], v[28:29]
	v_mul_f64_e32 v[28:29], v[4:5], v[28:29]
	scratch_load_b128 v[22:25], off, off offset:512
	v_add_f64_e32 v[151:152], v[151:152], v[163:164]
	v_add_f64_e32 v[153:154], v[153:154], v[155:156]
	s_wait_loadcnt_dscnt 0x800
	v_mul_f64_e32 v[155:156], v[6:7], v[32:33]
	v_mul_f64_e32 v[32:33], v[8:9], v[32:33]
	v_fma_f64 v[159:160], v[4:5], v[26:27], v[159:160]
	v_fma_f64 v[163:164], v[2:3], v[26:27], -v[28:29]
	ds_load_b128 v[2:5], v1 offset:1184
	scratch_load_b128 v[26:29], off, off offset:528
	v_add_f64_e32 v[151:152], v[151:152], v[161:162]
	v_add_f64_e32 v[153:154], v[153:154], v[157:158]
	v_fma_f64 v[155:156], v[8:9], v[30:31], v[155:156]
	v_fma_f64 v[161:162], v[6:7], v[30:31], -v[32:33]
	ds_load_b128 v[6:9], v1 offset:1200
	s_wait_loadcnt_dscnt 0x801
	v_mul_f64_e32 v[157:158], v[2:3], v[36:37]
	v_mul_f64_e32 v[36:37], v[4:5], v[36:37]
	scratch_load_b128 v[30:33], off, off offset:544
	v_add_f64_e32 v[151:152], v[151:152], v[163:164]
	v_add_f64_e32 v[153:154], v[153:154], v[159:160]
	s_wait_loadcnt_dscnt 0x800
	v_mul_f64_e32 v[159:160], v[6:7], v[149:150]
	v_mul_f64_e32 v[149:150], v[8:9], v[149:150]
	v_fma_f64 v[157:158], v[4:5], v[34:35], v[157:158]
	v_fma_f64 v[163:164], v[2:3], v[34:35], -v[36:37]
	ds_load_b128 v[2:5], v1 offset:1216
	scratch_load_b128 v[34:37], off, off offset:560
	v_add_f64_e32 v[151:152], v[151:152], v[161:162]
	v_add_f64_e32 v[153:154], v[153:154], v[155:156]
	v_fma_f64 v[159:160], v[8:9], v[147:148], v[159:160]
	v_fma_f64 v[161:162], v[6:7], v[147:148], -v[149:150]
	ds_load_b128 v[6:9], v1 offset:1232
	scratch_load_b128 v[147:150], off, off offset:576
	s_wait_loadcnt_dscnt 0x901
	v_mul_f64_e32 v[155:156], v[2:3], v[40:41]
	v_mul_f64_e32 v[40:41], v[4:5], v[40:41]
	v_add_f64_e32 v[151:152], v[151:152], v[163:164]
	v_add_f64_e32 v[153:154], v[153:154], v[157:158]
	s_wait_loadcnt_dscnt 0x800
	v_mul_f64_e32 v[157:158], v[6:7], v[145:146]
	v_mul_f64_e32 v[145:146], v[8:9], v[145:146]
	v_fma_f64 v[155:156], v[4:5], v[38:39], v[155:156]
	v_fma_f64 v[163:164], v[2:3], v[38:39], -v[40:41]
	ds_load_b128 v[2:5], v1 offset:1248
	scratch_load_b128 v[38:41], off, off offset:592
	v_add_f64_e32 v[151:152], v[151:152], v[161:162]
	v_add_f64_e32 v[153:154], v[153:154], v[159:160]
	v_fma_f64 v[157:158], v[8:9], v[143:144], v[157:158]
	v_fma_f64 v[161:162], v[6:7], v[143:144], -v[145:146]
	ds_load_b128 v[6:9], v1 offset:1264
	s_wait_loadcnt_dscnt 0x801
	v_mul_f64_e32 v[159:160], v[2:3], v[12:13]
	v_mul_f64_e32 v[12:13], v[4:5], v[12:13]
	scratch_load_b128 v[143:146], off, off offset:608
	v_add_f64_e32 v[151:152], v[151:152], v[163:164]
	v_add_f64_e32 v[153:154], v[153:154], v[155:156]
	s_wait_loadcnt_dscnt 0x800
	v_mul_f64_e32 v[155:156], v[6:7], v[16:17]
	v_mul_f64_e32 v[16:17], v[8:9], v[16:17]
	v_fma_f64 v[159:160], v[4:5], v[10:11], v[159:160]
	v_fma_f64 v[163:164], v[2:3], v[10:11], -v[12:13]
	ds_load_b128 v[2:5], v1 offset:1280
	scratch_load_b128 v[10:13], off, off offset:624
	v_add_f64_e32 v[151:152], v[151:152], v[161:162]
	v_add_f64_e32 v[153:154], v[153:154], v[157:158]
	v_fma_f64 v[155:156], v[8:9], v[14:15], v[155:156]
	v_fma_f64 v[161:162], v[6:7], v[14:15], -v[16:17]
	ds_load_b128 v[6:9], v1 offset:1296
	s_wait_loadcnt_dscnt 0x801
	v_mul_f64_e32 v[157:158], v[2:3], v[20:21]
	v_mul_f64_e32 v[20:21], v[4:5], v[20:21]
	scratch_load_b128 v[14:17], off, off offset:640
	;; [unrolled: 18-line block ×7, first 2 shown]
	v_add_f64_e32 v[151:152], v[151:152], v[163:164]
	v_add_f64_e32 v[153:154], v[153:154], v[155:156]
	s_wait_loadcnt_dscnt 0x800
	v_mul_f64_e32 v[155:156], v[6:7], v[24:25]
	v_mul_f64_e32 v[24:25], v[8:9], v[24:25]
	v_fma_f64 v[159:160], v[4:5], v[18:19], v[159:160]
	v_fma_f64 v[18:19], v[2:3], v[18:19], -v[20:21]
	ds_load_b128 v[2:5], v1 offset:1472
	v_add_f64_e32 v[20:21], v[151:152], v[161:162]
	v_add_f64_e32 v[151:152], v[153:154], v[157:158]
	v_fma_f64 v[155:156], v[8:9], v[22:23], v[155:156]
	v_fma_f64 v[22:23], v[6:7], v[22:23], -v[24:25]
	ds_load_b128 v[6:9], v1 offset:1488
	s_wait_loadcnt_dscnt 0x701
	v_mul_f64_e32 v[153:154], v[2:3], v[28:29]
	v_mul_f64_e32 v[28:29], v[4:5], v[28:29]
	v_add_f64_e32 v[18:19], v[20:21], v[18:19]
	v_add_f64_e32 v[20:21], v[151:152], v[159:160]
	s_delay_alu instid0(VALU_DEP_4) | instskip(NEXT) | instid1(VALU_DEP_4)
	v_fma_f64 v[151:152], v[4:5], v[26:27], v[153:154]
	v_fma_f64 v[26:27], v[2:3], v[26:27], -v[28:29]
	ds_load_b128 v[2:5], v1 offset:1504
	v_add_f64_e32 v[22:23], v[18:19], v[22:23]
	v_add_f64_e32 v[28:29], v[20:21], v[155:156]
	scratch_load_b128 v[18:21], off, off offset:256
	s_wait_loadcnt_dscnt 0x701
	v_mul_f64_e32 v[24:25], v[6:7], v[32:33]
	v_mul_f64_e32 v[32:33], v[8:9], v[32:33]
	v_add_f64_e32 v[22:23], v[22:23], v[26:27]
	v_add_f64_e32 v[26:27], v[28:29], v[151:152]
	s_delay_alu instid0(VALU_DEP_4) | instskip(NEXT) | instid1(VALU_DEP_4)
	v_fma_f64 v[24:25], v[8:9], v[30:31], v[24:25]
	v_fma_f64 v[30:31], v[6:7], v[30:31], -v[32:33]
	ds_load_b128 v[6:9], v1 offset:1520
	s_wait_loadcnt_dscnt 0x601
	v_mul_f64_e32 v[153:154], v[2:3], v[36:37]
	v_mul_f64_e32 v[36:37], v[4:5], v[36:37]
	s_wait_loadcnt_dscnt 0x500
	v_mul_f64_e32 v[28:29], v[6:7], v[149:150]
	v_mul_f64_e32 v[32:33], v[8:9], v[149:150]
	v_add_f64_e32 v[24:25], v[26:27], v[24:25]
	v_add_f64_e32 v[22:23], v[22:23], v[30:31]
	v_fma_f64 v[149:150], v[4:5], v[34:35], v[153:154]
	v_fma_f64 v[34:35], v[2:3], v[34:35], -v[36:37]
	ds_load_b128 v[2:5], v1 offset:1536
	v_fma_f64 v[28:29], v[8:9], v[147:148], v[28:29]
	v_fma_f64 v[32:33], v[6:7], v[147:148], -v[32:33]
	ds_load_b128 v[6:9], v1 offset:1552
	s_wait_loadcnt_dscnt 0x401
	v_mul_f64_e32 v[26:27], v[2:3], v[40:41]
	v_mul_f64_e32 v[30:31], v[4:5], v[40:41]
	v_add_f64_e32 v[24:25], v[24:25], v[149:150]
	v_add_f64_e32 v[22:23], v[22:23], v[34:35]
	s_wait_loadcnt_dscnt 0x300
	v_mul_f64_e32 v[34:35], v[6:7], v[145:146]
	v_mul_f64_e32 v[36:37], v[8:9], v[145:146]
	v_fma_f64 v[26:27], v[4:5], v[38:39], v[26:27]
	v_fma_f64 v[30:31], v[2:3], v[38:39], -v[30:31]
	ds_load_b128 v[2:5], v1 offset:1568
	v_add_f64_e32 v[24:25], v[24:25], v[28:29]
	v_add_f64_e32 v[22:23], v[22:23], v[32:33]
	v_fma_f64 v[32:33], v[8:9], v[143:144], v[34:35]
	v_fma_f64 v[34:35], v[6:7], v[143:144], -v[36:37]
	ds_load_b128 v[6:9], v1 offset:1584
	s_wait_loadcnt_dscnt 0x201
	v_mul_f64_e32 v[28:29], v[2:3], v[12:13]
	v_mul_f64_e32 v[12:13], v[4:5], v[12:13]
	v_add_f64_e32 v[24:25], v[24:25], v[26:27]
	v_add_f64_e32 v[22:23], v[22:23], v[30:31]
	s_wait_loadcnt_dscnt 0x100
	v_mul_f64_e32 v[26:27], v[6:7], v[16:17]
	v_mul_f64_e32 v[16:17], v[8:9], v[16:17]
	v_fma_f64 v[4:5], v[4:5], v[10:11], v[28:29]
	v_fma_f64 v[1:2], v[2:3], v[10:11], -v[12:13]
	v_add_f64_e32 v[12:13], v[24:25], v[32:33]
	v_add_f64_e32 v[10:11], v[22:23], v[34:35]
	v_fma_f64 v[8:9], v[8:9], v[14:15], v[26:27]
	v_fma_f64 v[6:7], v[6:7], v[14:15], -v[16:17]
	s_delay_alu instid0(VALU_DEP_4) | instskip(NEXT) | instid1(VALU_DEP_4)
	v_add_f64_e32 v[3:4], v[12:13], v[4:5]
	v_add_f64_e32 v[1:2], v[10:11], v[1:2]
	s_delay_alu instid0(VALU_DEP_2) | instskip(NEXT) | instid1(VALU_DEP_2)
	v_add_f64_e32 v[3:4], v[3:4], v[8:9]
	v_add_f64_e32 v[1:2], v[1:2], v[6:7]
	s_wait_loadcnt 0x0
	s_delay_alu instid0(VALU_DEP_2) | instskip(NEXT) | instid1(VALU_DEP_2)
	v_add_f64_e64 v[3:4], v[20:21], -v[3:4]
	v_add_f64_e64 v[1:2], v[18:19], -v[1:2]
	scratch_store_b128 off, v[1:4], off offset:256
	v_cmpx_lt_u32_e32 14, v0
	s_cbranch_execz .LBB113_285
; %bb.284:
	scratch_load_b128 v[1:4], off, s49
	v_mov_b32_e32 v5, 0
	s_delay_alu instid0(VALU_DEP_1)
	v_dual_mov_b32 v6, v5 :: v_dual_mov_b32 v7, v5
	v_mov_b32_e32 v8, v5
	scratch_store_b128 off, v[5:8], off offset:240
	s_wait_loadcnt 0x0
	ds_store_b128 v142, v[1:4]
.LBB113_285:
	s_wait_alu 0xfffe
	s_or_b32 exec_lo, exec_lo, s0
	s_wait_storecnt_dscnt 0x0
	s_barrier_signal -1
	s_barrier_wait -1
	global_inv scope:SCOPE_SE
	s_clause 0x7
	scratch_load_b128 v[2:5], off, off offset:256
	scratch_load_b128 v[6:9], off, off offset:272
	;; [unrolled: 1-line block ×8, first 2 shown]
	v_mov_b32_e32 v1, 0
	s_clause 0x1
	scratch_load_b128 v[34:37], off, off offset:384
	scratch_load_b128 v[147:150], off, off offset:400
	s_mov_b32 s0, exec_lo
	ds_load_b128 v[38:41], v1 offset:1040
	ds_load_b128 v[143:146], v1 offset:1056
	s_wait_loadcnt_dscnt 0x901
	v_mul_f64_e32 v[151:152], v[40:41], v[4:5]
	v_mul_f64_e32 v[4:5], v[38:39], v[4:5]
	s_wait_loadcnt_dscnt 0x800
	v_mul_f64_e32 v[153:154], v[143:144], v[8:9]
	v_mul_f64_e32 v[8:9], v[145:146], v[8:9]
	s_delay_alu instid0(VALU_DEP_4) | instskip(NEXT) | instid1(VALU_DEP_4)
	v_fma_f64 v[151:152], v[38:39], v[2:3], -v[151:152]
	v_fma_f64 v[155:156], v[40:41], v[2:3], v[4:5]
	ds_load_b128 v[2:5], v1 offset:1072
	scratch_load_b128 v[38:41], off, off offset:416
	v_fma_f64 v[153:154], v[145:146], v[6:7], v[153:154]
	v_fma_f64 v[159:160], v[143:144], v[6:7], -v[8:9]
	ds_load_b128 v[6:9], v1 offset:1088
	scratch_load_b128 v[143:146], off, off offset:432
	s_wait_loadcnt_dscnt 0x901
	v_mul_f64_e32 v[157:158], v[2:3], v[12:13]
	v_mul_f64_e32 v[12:13], v[4:5], v[12:13]
	s_wait_loadcnt_dscnt 0x800
	v_mul_f64_e32 v[161:162], v[6:7], v[16:17]
	v_mul_f64_e32 v[16:17], v[8:9], v[16:17]
	v_add_f64_e32 v[151:152], 0, v[151:152]
	v_add_f64_e32 v[155:156], 0, v[155:156]
	v_fma_f64 v[157:158], v[4:5], v[10:11], v[157:158]
	v_fma_f64 v[163:164], v[2:3], v[10:11], -v[12:13]
	ds_load_b128 v[2:5], v1 offset:1104
	scratch_load_b128 v[10:13], off, off offset:448
	v_add_f64_e32 v[151:152], v[151:152], v[159:160]
	v_add_f64_e32 v[153:154], v[155:156], v[153:154]
	v_fma_f64 v[159:160], v[8:9], v[14:15], v[161:162]
	v_fma_f64 v[161:162], v[6:7], v[14:15], -v[16:17]
	ds_load_b128 v[6:9], v1 offset:1120
	scratch_load_b128 v[14:17], off, off offset:464
	s_wait_loadcnt_dscnt 0x901
	v_mul_f64_e32 v[155:156], v[2:3], v[20:21]
	v_mul_f64_e32 v[20:21], v[4:5], v[20:21]
	v_add_f64_e32 v[151:152], v[151:152], v[163:164]
	v_add_f64_e32 v[153:154], v[153:154], v[157:158]
	s_wait_loadcnt_dscnt 0x800
	v_mul_f64_e32 v[157:158], v[6:7], v[24:25]
	v_mul_f64_e32 v[24:25], v[8:9], v[24:25]
	v_fma_f64 v[155:156], v[4:5], v[18:19], v[155:156]
	v_fma_f64 v[163:164], v[2:3], v[18:19], -v[20:21]
	ds_load_b128 v[2:5], v1 offset:1136
	scratch_load_b128 v[18:21], off, off offset:480
	v_add_f64_e32 v[151:152], v[151:152], v[161:162]
	v_add_f64_e32 v[153:154], v[153:154], v[159:160]
	v_fma_f64 v[157:158], v[8:9], v[22:23], v[157:158]
	v_fma_f64 v[161:162], v[6:7], v[22:23], -v[24:25]
	ds_load_b128 v[6:9], v1 offset:1152
	s_wait_loadcnt_dscnt 0x801
	v_mul_f64_e32 v[159:160], v[2:3], v[28:29]
	v_mul_f64_e32 v[28:29], v[4:5], v[28:29]
	scratch_load_b128 v[22:25], off, off offset:496
	v_add_f64_e32 v[151:152], v[151:152], v[163:164]
	v_add_f64_e32 v[153:154], v[153:154], v[155:156]
	s_wait_loadcnt_dscnt 0x800
	v_mul_f64_e32 v[155:156], v[6:7], v[32:33]
	v_mul_f64_e32 v[32:33], v[8:9], v[32:33]
	v_fma_f64 v[159:160], v[4:5], v[26:27], v[159:160]
	v_fma_f64 v[163:164], v[2:3], v[26:27], -v[28:29]
	ds_load_b128 v[2:5], v1 offset:1168
	scratch_load_b128 v[26:29], off, off offset:512
	v_add_f64_e32 v[151:152], v[151:152], v[161:162]
	v_add_f64_e32 v[153:154], v[153:154], v[157:158]
	v_fma_f64 v[155:156], v[8:9], v[30:31], v[155:156]
	v_fma_f64 v[161:162], v[6:7], v[30:31], -v[32:33]
	ds_load_b128 v[6:9], v1 offset:1184
	s_wait_loadcnt_dscnt 0x801
	v_mul_f64_e32 v[157:158], v[2:3], v[36:37]
	v_mul_f64_e32 v[36:37], v[4:5], v[36:37]
	scratch_load_b128 v[30:33], off, off offset:528
	v_add_f64_e32 v[151:152], v[151:152], v[163:164]
	v_add_f64_e32 v[153:154], v[153:154], v[159:160]
	s_wait_loadcnt_dscnt 0x800
	v_mul_f64_e32 v[159:160], v[6:7], v[149:150]
	v_mul_f64_e32 v[149:150], v[8:9], v[149:150]
	v_fma_f64 v[157:158], v[4:5], v[34:35], v[157:158]
	v_fma_f64 v[163:164], v[2:3], v[34:35], -v[36:37]
	ds_load_b128 v[2:5], v1 offset:1200
	scratch_load_b128 v[34:37], off, off offset:544
	v_add_f64_e32 v[151:152], v[151:152], v[161:162]
	v_add_f64_e32 v[153:154], v[153:154], v[155:156]
	v_fma_f64 v[159:160], v[8:9], v[147:148], v[159:160]
	v_fma_f64 v[161:162], v[6:7], v[147:148], -v[149:150]
	ds_load_b128 v[6:9], v1 offset:1216
	scratch_load_b128 v[147:150], off, off offset:560
	s_wait_loadcnt_dscnt 0x901
	v_mul_f64_e32 v[155:156], v[2:3], v[40:41]
	v_mul_f64_e32 v[40:41], v[4:5], v[40:41]
	v_add_f64_e32 v[151:152], v[151:152], v[163:164]
	v_add_f64_e32 v[153:154], v[153:154], v[157:158]
	s_wait_loadcnt_dscnt 0x800
	v_mul_f64_e32 v[157:158], v[6:7], v[145:146]
	v_mul_f64_e32 v[145:146], v[8:9], v[145:146]
	v_fma_f64 v[155:156], v[4:5], v[38:39], v[155:156]
	v_fma_f64 v[163:164], v[2:3], v[38:39], -v[40:41]
	ds_load_b128 v[2:5], v1 offset:1232
	scratch_load_b128 v[38:41], off, off offset:576
	v_add_f64_e32 v[151:152], v[151:152], v[161:162]
	v_add_f64_e32 v[153:154], v[153:154], v[159:160]
	v_fma_f64 v[157:158], v[8:9], v[143:144], v[157:158]
	v_fma_f64 v[161:162], v[6:7], v[143:144], -v[145:146]
	ds_load_b128 v[6:9], v1 offset:1248
	s_wait_loadcnt_dscnt 0x801
	v_mul_f64_e32 v[159:160], v[2:3], v[12:13]
	v_mul_f64_e32 v[12:13], v[4:5], v[12:13]
	scratch_load_b128 v[143:146], off, off offset:592
	v_add_f64_e32 v[151:152], v[151:152], v[163:164]
	v_add_f64_e32 v[153:154], v[153:154], v[155:156]
	s_wait_loadcnt_dscnt 0x800
	v_mul_f64_e32 v[155:156], v[6:7], v[16:17]
	v_mul_f64_e32 v[16:17], v[8:9], v[16:17]
	v_fma_f64 v[159:160], v[4:5], v[10:11], v[159:160]
	v_fma_f64 v[163:164], v[2:3], v[10:11], -v[12:13]
	ds_load_b128 v[2:5], v1 offset:1264
	scratch_load_b128 v[10:13], off, off offset:608
	v_add_f64_e32 v[151:152], v[151:152], v[161:162]
	v_add_f64_e32 v[153:154], v[153:154], v[157:158]
	v_fma_f64 v[155:156], v[8:9], v[14:15], v[155:156]
	v_fma_f64 v[161:162], v[6:7], v[14:15], -v[16:17]
	ds_load_b128 v[6:9], v1 offset:1280
	s_wait_loadcnt_dscnt 0x801
	v_mul_f64_e32 v[157:158], v[2:3], v[20:21]
	v_mul_f64_e32 v[20:21], v[4:5], v[20:21]
	scratch_load_b128 v[14:17], off, off offset:624
	;; [unrolled: 18-line block ×7, first 2 shown]
	v_add_f64_e32 v[151:152], v[151:152], v[163:164]
	v_add_f64_e32 v[153:154], v[153:154], v[155:156]
	s_wait_loadcnt_dscnt 0x800
	v_mul_f64_e32 v[155:156], v[6:7], v[24:25]
	v_mul_f64_e32 v[24:25], v[8:9], v[24:25]
	v_fma_f64 v[159:160], v[4:5], v[18:19], v[159:160]
	v_fma_f64 v[163:164], v[2:3], v[18:19], -v[20:21]
	ds_load_b128 v[2:5], v1 offset:1456
	scratch_load_b128 v[18:21], off, off offset:800
	v_add_f64_e32 v[151:152], v[151:152], v[161:162]
	v_add_f64_e32 v[153:154], v[153:154], v[157:158]
	v_fma_f64 v[155:156], v[8:9], v[22:23], v[155:156]
	v_fma_f64 v[22:23], v[6:7], v[22:23], -v[24:25]
	ds_load_b128 v[6:9], v1 offset:1472
	s_wait_loadcnt_dscnt 0x801
	v_mul_f64_e32 v[157:158], v[2:3], v[28:29]
	v_mul_f64_e32 v[28:29], v[4:5], v[28:29]
	v_add_f64_e32 v[24:25], v[151:152], v[163:164]
	v_add_f64_e32 v[151:152], v[153:154], v[159:160]
	s_wait_loadcnt_dscnt 0x700
	v_mul_f64_e32 v[153:154], v[6:7], v[32:33]
	v_mul_f64_e32 v[32:33], v[8:9], v[32:33]
	v_fma_f64 v[157:158], v[4:5], v[26:27], v[157:158]
	v_fma_f64 v[26:27], v[2:3], v[26:27], -v[28:29]
	ds_load_b128 v[2:5], v1 offset:1488
	v_add_f64_e32 v[22:23], v[24:25], v[22:23]
	v_add_f64_e32 v[24:25], v[151:152], v[155:156]
	v_fma_f64 v[151:152], v[8:9], v[30:31], v[153:154]
	v_fma_f64 v[30:31], v[6:7], v[30:31], -v[32:33]
	ds_load_b128 v[6:9], v1 offset:1504
	s_wait_loadcnt_dscnt 0x500
	v_mul_f64_e32 v[153:154], v[6:7], v[149:150]
	v_mul_f64_e32 v[149:150], v[8:9], v[149:150]
	v_add_f64_e32 v[26:27], v[22:23], v[26:27]
	v_add_f64_e32 v[32:33], v[24:25], v[157:158]
	scratch_load_b128 v[22:25], off, off offset:240
	v_mul_f64_e32 v[28:29], v[2:3], v[36:37]
	v_mul_f64_e32 v[36:37], v[4:5], v[36:37]
	v_add_f64_e32 v[26:27], v[26:27], v[30:31]
	v_add_f64_e32 v[30:31], v[32:33], v[151:152]
	s_delay_alu instid0(VALU_DEP_4) | instskip(NEXT) | instid1(VALU_DEP_4)
	v_fma_f64 v[28:29], v[4:5], v[34:35], v[28:29]
	v_fma_f64 v[34:35], v[2:3], v[34:35], -v[36:37]
	ds_load_b128 v[2:5], v1 offset:1520
	s_wait_loadcnt_dscnt 0x500
	v_mul_f64_e32 v[32:33], v[2:3], v[40:41]
	v_mul_f64_e32 v[36:37], v[4:5], v[40:41]
	v_fma_f64 v[40:41], v[8:9], v[147:148], v[153:154]
	v_fma_f64 v[147:148], v[6:7], v[147:148], -v[149:150]
	ds_load_b128 v[6:9], v1 offset:1536
	v_add_f64_e32 v[28:29], v[30:31], v[28:29]
	v_add_f64_e32 v[26:27], v[26:27], v[34:35]
	v_fma_f64 v[32:33], v[4:5], v[38:39], v[32:33]
	v_fma_f64 v[36:37], v[2:3], v[38:39], -v[36:37]
	ds_load_b128 v[2:5], v1 offset:1552
	s_wait_loadcnt_dscnt 0x401
	v_mul_f64_e32 v[30:31], v[6:7], v[145:146]
	v_mul_f64_e32 v[34:35], v[8:9], v[145:146]
	v_add_f64_e32 v[28:29], v[28:29], v[40:41]
	v_add_f64_e32 v[26:27], v[26:27], v[147:148]
	s_wait_loadcnt_dscnt 0x300
	v_mul_f64_e32 v[38:39], v[2:3], v[12:13]
	v_mul_f64_e32 v[12:13], v[4:5], v[12:13]
	v_fma_f64 v[30:31], v[8:9], v[143:144], v[30:31]
	v_fma_f64 v[34:35], v[6:7], v[143:144], -v[34:35]
	ds_load_b128 v[6:9], v1 offset:1568
	v_add_f64_e32 v[28:29], v[28:29], v[32:33]
	v_add_f64_e32 v[26:27], v[26:27], v[36:37]
	v_fma_f64 v[36:37], v[4:5], v[10:11], v[38:39]
	v_fma_f64 v[10:11], v[2:3], v[10:11], -v[12:13]
	ds_load_b128 v[2:5], v1 offset:1584
	s_wait_loadcnt_dscnt 0x201
	v_mul_f64_e32 v[32:33], v[6:7], v[16:17]
	v_mul_f64_e32 v[16:17], v[8:9], v[16:17]
	v_add_f64_e32 v[12:13], v[26:27], v[34:35]
	v_add_f64_e32 v[26:27], v[28:29], v[30:31]
	s_wait_loadcnt_dscnt 0x100
	v_mul_f64_e32 v[28:29], v[2:3], v[20:21]
	v_mul_f64_e32 v[20:21], v[4:5], v[20:21]
	v_fma_f64 v[8:9], v[8:9], v[14:15], v[32:33]
	v_fma_f64 v[6:7], v[6:7], v[14:15], -v[16:17]
	v_add_f64_e32 v[10:11], v[12:13], v[10:11]
	v_add_f64_e32 v[12:13], v[26:27], v[36:37]
	v_fma_f64 v[4:5], v[4:5], v[18:19], v[28:29]
	v_fma_f64 v[2:3], v[2:3], v[18:19], -v[20:21]
	s_delay_alu instid0(VALU_DEP_4) | instskip(NEXT) | instid1(VALU_DEP_4)
	v_add_f64_e32 v[6:7], v[10:11], v[6:7]
	v_add_f64_e32 v[8:9], v[12:13], v[8:9]
	s_delay_alu instid0(VALU_DEP_2) | instskip(NEXT) | instid1(VALU_DEP_2)
	v_add_f64_e32 v[2:3], v[6:7], v[2:3]
	v_add_f64_e32 v[4:5], v[8:9], v[4:5]
	s_wait_loadcnt 0x0
	s_delay_alu instid0(VALU_DEP_2) | instskip(NEXT) | instid1(VALU_DEP_2)
	v_add_f64_e64 v[2:3], v[22:23], -v[2:3]
	v_add_f64_e64 v[4:5], v[24:25], -v[4:5]
	scratch_store_b128 off, v[2:5], off offset:240
	v_cmpx_lt_u32_e32 13, v0
	s_cbranch_execz .LBB113_287
; %bb.286:
	scratch_load_b128 v[5:8], off, s50
	v_dual_mov_b32 v2, v1 :: v_dual_mov_b32 v3, v1
	v_mov_b32_e32 v4, v1
	scratch_store_b128 off, v[1:4], off offset:224
	s_wait_loadcnt 0x0
	ds_store_b128 v142, v[5:8]
.LBB113_287:
	s_wait_alu 0xfffe
	s_or_b32 exec_lo, exec_lo, s0
	s_wait_storecnt_dscnt 0x0
	s_barrier_signal -1
	s_barrier_wait -1
	global_inv scope:SCOPE_SE
	s_clause 0x7
	scratch_load_b128 v[2:5], off, off offset:240
	scratch_load_b128 v[6:9], off, off offset:256
	;; [unrolled: 1-line block ×8, first 2 shown]
	ds_load_b128 v[38:41], v1 offset:1024
	ds_load_b128 v[143:146], v1 offset:1040
	s_clause 0x1
	scratch_load_b128 v[34:37], off, off offset:368
	scratch_load_b128 v[147:150], off, off offset:384
	s_mov_b32 s0, exec_lo
	s_wait_loadcnt_dscnt 0x901
	v_mul_f64_e32 v[151:152], v[40:41], v[4:5]
	v_mul_f64_e32 v[4:5], v[38:39], v[4:5]
	s_wait_loadcnt_dscnt 0x800
	v_mul_f64_e32 v[153:154], v[143:144], v[8:9]
	v_mul_f64_e32 v[8:9], v[145:146], v[8:9]
	s_delay_alu instid0(VALU_DEP_4) | instskip(NEXT) | instid1(VALU_DEP_4)
	v_fma_f64 v[151:152], v[38:39], v[2:3], -v[151:152]
	v_fma_f64 v[155:156], v[40:41], v[2:3], v[4:5]
	ds_load_b128 v[2:5], v1 offset:1056
	scratch_load_b128 v[38:41], off, off offset:400
	v_fma_f64 v[153:154], v[145:146], v[6:7], v[153:154]
	v_fma_f64 v[159:160], v[143:144], v[6:7], -v[8:9]
	ds_load_b128 v[6:9], v1 offset:1072
	scratch_load_b128 v[143:146], off, off offset:416
	s_wait_loadcnt_dscnt 0x901
	v_mul_f64_e32 v[157:158], v[2:3], v[12:13]
	v_mul_f64_e32 v[12:13], v[4:5], v[12:13]
	s_wait_loadcnt_dscnt 0x800
	v_mul_f64_e32 v[161:162], v[6:7], v[16:17]
	v_mul_f64_e32 v[16:17], v[8:9], v[16:17]
	v_add_f64_e32 v[151:152], 0, v[151:152]
	v_add_f64_e32 v[155:156], 0, v[155:156]
	v_fma_f64 v[157:158], v[4:5], v[10:11], v[157:158]
	v_fma_f64 v[163:164], v[2:3], v[10:11], -v[12:13]
	ds_load_b128 v[2:5], v1 offset:1088
	scratch_load_b128 v[10:13], off, off offset:432
	v_add_f64_e32 v[151:152], v[151:152], v[159:160]
	v_add_f64_e32 v[153:154], v[155:156], v[153:154]
	v_fma_f64 v[159:160], v[8:9], v[14:15], v[161:162]
	v_fma_f64 v[161:162], v[6:7], v[14:15], -v[16:17]
	ds_load_b128 v[6:9], v1 offset:1104
	scratch_load_b128 v[14:17], off, off offset:448
	s_wait_loadcnt_dscnt 0x901
	v_mul_f64_e32 v[155:156], v[2:3], v[20:21]
	v_mul_f64_e32 v[20:21], v[4:5], v[20:21]
	v_add_f64_e32 v[151:152], v[151:152], v[163:164]
	v_add_f64_e32 v[153:154], v[153:154], v[157:158]
	s_wait_loadcnt_dscnt 0x800
	v_mul_f64_e32 v[157:158], v[6:7], v[24:25]
	v_mul_f64_e32 v[24:25], v[8:9], v[24:25]
	v_fma_f64 v[155:156], v[4:5], v[18:19], v[155:156]
	v_fma_f64 v[163:164], v[2:3], v[18:19], -v[20:21]
	ds_load_b128 v[2:5], v1 offset:1120
	scratch_load_b128 v[18:21], off, off offset:464
	v_add_f64_e32 v[151:152], v[151:152], v[161:162]
	v_add_f64_e32 v[153:154], v[153:154], v[159:160]
	v_fma_f64 v[157:158], v[8:9], v[22:23], v[157:158]
	v_fma_f64 v[161:162], v[6:7], v[22:23], -v[24:25]
	ds_load_b128 v[6:9], v1 offset:1136
	s_wait_loadcnt_dscnt 0x801
	v_mul_f64_e32 v[159:160], v[2:3], v[28:29]
	v_mul_f64_e32 v[28:29], v[4:5], v[28:29]
	scratch_load_b128 v[22:25], off, off offset:480
	v_add_f64_e32 v[151:152], v[151:152], v[163:164]
	v_add_f64_e32 v[153:154], v[153:154], v[155:156]
	s_wait_loadcnt_dscnt 0x800
	v_mul_f64_e32 v[155:156], v[6:7], v[32:33]
	v_mul_f64_e32 v[32:33], v[8:9], v[32:33]
	v_fma_f64 v[159:160], v[4:5], v[26:27], v[159:160]
	v_fma_f64 v[163:164], v[2:3], v[26:27], -v[28:29]
	ds_load_b128 v[2:5], v1 offset:1152
	scratch_load_b128 v[26:29], off, off offset:496
	v_add_f64_e32 v[151:152], v[151:152], v[161:162]
	v_add_f64_e32 v[153:154], v[153:154], v[157:158]
	v_fma_f64 v[155:156], v[8:9], v[30:31], v[155:156]
	v_fma_f64 v[161:162], v[6:7], v[30:31], -v[32:33]
	ds_load_b128 v[6:9], v1 offset:1168
	s_wait_loadcnt_dscnt 0x801
	v_mul_f64_e32 v[157:158], v[2:3], v[36:37]
	v_mul_f64_e32 v[36:37], v[4:5], v[36:37]
	scratch_load_b128 v[30:33], off, off offset:512
	v_add_f64_e32 v[151:152], v[151:152], v[163:164]
	v_add_f64_e32 v[153:154], v[153:154], v[159:160]
	s_wait_loadcnt_dscnt 0x800
	v_mul_f64_e32 v[159:160], v[6:7], v[149:150]
	v_mul_f64_e32 v[149:150], v[8:9], v[149:150]
	v_fma_f64 v[157:158], v[4:5], v[34:35], v[157:158]
	v_fma_f64 v[163:164], v[2:3], v[34:35], -v[36:37]
	ds_load_b128 v[2:5], v1 offset:1184
	scratch_load_b128 v[34:37], off, off offset:528
	v_add_f64_e32 v[151:152], v[151:152], v[161:162]
	v_add_f64_e32 v[153:154], v[153:154], v[155:156]
	v_fma_f64 v[159:160], v[8:9], v[147:148], v[159:160]
	v_fma_f64 v[161:162], v[6:7], v[147:148], -v[149:150]
	ds_load_b128 v[6:9], v1 offset:1200
	scratch_load_b128 v[147:150], off, off offset:544
	s_wait_loadcnt_dscnt 0x901
	v_mul_f64_e32 v[155:156], v[2:3], v[40:41]
	v_mul_f64_e32 v[40:41], v[4:5], v[40:41]
	v_add_f64_e32 v[151:152], v[151:152], v[163:164]
	v_add_f64_e32 v[153:154], v[153:154], v[157:158]
	s_wait_loadcnt_dscnt 0x800
	v_mul_f64_e32 v[157:158], v[6:7], v[145:146]
	v_mul_f64_e32 v[145:146], v[8:9], v[145:146]
	v_fma_f64 v[155:156], v[4:5], v[38:39], v[155:156]
	v_fma_f64 v[163:164], v[2:3], v[38:39], -v[40:41]
	ds_load_b128 v[2:5], v1 offset:1216
	scratch_load_b128 v[38:41], off, off offset:560
	v_add_f64_e32 v[151:152], v[151:152], v[161:162]
	v_add_f64_e32 v[153:154], v[153:154], v[159:160]
	v_fma_f64 v[157:158], v[8:9], v[143:144], v[157:158]
	v_fma_f64 v[161:162], v[6:7], v[143:144], -v[145:146]
	ds_load_b128 v[6:9], v1 offset:1232
	s_wait_loadcnt_dscnt 0x801
	v_mul_f64_e32 v[159:160], v[2:3], v[12:13]
	v_mul_f64_e32 v[12:13], v[4:5], v[12:13]
	scratch_load_b128 v[143:146], off, off offset:576
	v_add_f64_e32 v[151:152], v[151:152], v[163:164]
	v_add_f64_e32 v[153:154], v[153:154], v[155:156]
	s_wait_loadcnt_dscnt 0x800
	v_mul_f64_e32 v[155:156], v[6:7], v[16:17]
	v_mul_f64_e32 v[16:17], v[8:9], v[16:17]
	v_fma_f64 v[159:160], v[4:5], v[10:11], v[159:160]
	v_fma_f64 v[163:164], v[2:3], v[10:11], -v[12:13]
	ds_load_b128 v[2:5], v1 offset:1248
	scratch_load_b128 v[10:13], off, off offset:592
	v_add_f64_e32 v[151:152], v[151:152], v[161:162]
	v_add_f64_e32 v[153:154], v[153:154], v[157:158]
	v_fma_f64 v[155:156], v[8:9], v[14:15], v[155:156]
	v_fma_f64 v[161:162], v[6:7], v[14:15], -v[16:17]
	ds_load_b128 v[6:9], v1 offset:1264
	s_wait_loadcnt_dscnt 0x801
	v_mul_f64_e32 v[157:158], v[2:3], v[20:21]
	v_mul_f64_e32 v[20:21], v[4:5], v[20:21]
	scratch_load_b128 v[14:17], off, off offset:608
	;; [unrolled: 18-line block ×8, first 2 shown]
	v_add_f64_e32 v[151:152], v[151:152], v[163:164]
	v_add_f64_e32 v[153:154], v[153:154], v[159:160]
	s_wait_loadcnt_dscnt 0x800
	v_mul_f64_e32 v[159:160], v[6:7], v[32:33]
	v_mul_f64_e32 v[32:33], v[8:9], v[32:33]
	v_fma_f64 v[157:158], v[4:5], v[26:27], v[157:158]
	v_fma_f64 v[26:27], v[2:3], v[26:27], -v[28:29]
	ds_load_b128 v[2:5], v1 offset:1472
	v_add_f64_e32 v[28:29], v[151:152], v[161:162]
	v_add_f64_e32 v[151:152], v[153:154], v[155:156]
	v_fma_f64 v[155:156], v[8:9], v[30:31], v[159:160]
	v_fma_f64 v[30:31], v[6:7], v[30:31], -v[32:33]
	ds_load_b128 v[6:9], v1 offset:1488
	s_wait_loadcnt_dscnt 0x701
	v_mul_f64_e32 v[153:154], v[2:3], v[36:37]
	v_mul_f64_e32 v[36:37], v[4:5], v[36:37]
	v_add_f64_e32 v[26:27], v[28:29], v[26:27]
	v_add_f64_e32 v[28:29], v[151:152], v[157:158]
	s_delay_alu instid0(VALU_DEP_4) | instskip(NEXT) | instid1(VALU_DEP_4)
	v_fma_f64 v[151:152], v[4:5], v[34:35], v[153:154]
	v_fma_f64 v[34:35], v[2:3], v[34:35], -v[36:37]
	ds_load_b128 v[2:5], v1 offset:1504
	v_add_f64_e32 v[30:31], v[26:27], v[30:31]
	v_add_f64_e32 v[36:37], v[28:29], v[155:156]
	scratch_load_b128 v[26:29], off, off offset:224
	s_wait_loadcnt_dscnt 0x701
	v_mul_f64_e32 v[32:33], v[6:7], v[149:150]
	v_mul_f64_e32 v[149:150], v[8:9], v[149:150]
	v_add_f64_e32 v[30:31], v[30:31], v[34:35]
	v_add_f64_e32 v[34:35], v[36:37], v[151:152]
	s_delay_alu instid0(VALU_DEP_4) | instskip(NEXT) | instid1(VALU_DEP_4)
	v_fma_f64 v[32:33], v[8:9], v[147:148], v[32:33]
	v_fma_f64 v[147:148], v[6:7], v[147:148], -v[149:150]
	ds_load_b128 v[6:9], v1 offset:1520
	s_wait_loadcnt_dscnt 0x601
	v_mul_f64_e32 v[153:154], v[2:3], v[40:41]
	v_mul_f64_e32 v[40:41], v[4:5], v[40:41]
	s_wait_loadcnt_dscnt 0x500
	v_mul_f64_e32 v[36:37], v[6:7], v[145:146]
	v_mul_f64_e32 v[145:146], v[8:9], v[145:146]
	v_add_f64_e32 v[32:33], v[34:35], v[32:33]
	v_add_f64_e32 v[30:31], v[30:31], v[147:148]
	v_fma_f64 v[149:150], v[4:5], v[38:39], v[153:154]
	v_fma_f64 v[38:39], v[2:3], v[38:39], -v[40:41]
	ds_load_b128 v[2:5], v1 offset:1536
	v_fma_f64 v[36:37], v[8:9], v[143:144], v[36:37]
	v_fma_f64 v[40:41], v[6:7], v[143:144], -v[145:146]
	ds_load_b128 v[6:9], v1 offset:1552
	s_wait_loadcnt_dscnt 0x401
	v_mul_f64_e32 v[34:35], v[2:3], v[12:13]
	v_mul_f64_e32 v[12:13], v[4:5], v[12:13]
	v_add_f64_e32 v[32:33], v[32:33], v[149:150]
	v_add_f64_e32 v[30:31], v[30:31], v[38:39]
	s_wait_loadcnt_dscnt 0x300
	v_mul_f64_e32 v[38:39], v[6:7], v[16:17]
	v_mul_f64_e32 v[16:17], v[8:9], v[16:17]
	v_fma_f64 v[34:35], v[4:5], v[10:11], v[34:35]
	v_fma_f64 v[10:11], v[2:3], v[10:11], -v[12:13]
	ds_load_b128 v[2:5], v1 offset:1568
	v_add_f64_e32 v[12:13], v[30:31], v[40:41]
	v_add_f64_e32 v[30:31], v[32:33], v[36:37]
	v_fma_f64 v[36:37], v[8:9], v[14:15], v[38:39]
	v_fma_f64 v[14:15], v[6:7], v[14:15], -v[16:17]
	ds_load_b128 v[6:9], v1 offset:1584
	s_wait_loadcnt_dscnt 0x201
	v_mul_f64_e32 v[32:33], v[2:3], v[20:21]
	v_mul_f64_e32 v[20:21], v[4:5], v[20:21]
	s_wait_loadcnt_dscnt 0x100
	v_mul_f64_e32 v[16:17], v[6:7], v[24:25]
	v_mul_f64_e32 v[24:25], v[8:9], v[24:25]
	v_add_f64_e32 v[10:11], v[12:13], v[10:11]
	v_add_f64_e32 v[12:13], v[30:31], v[34:35]
	v_fma_f64 v[4:5], v[4:5], v[18:19], v[32:33]
	v_fma_f64 v[1:2], v[2:3], v[18:19], -v[20:21]
	v_fma_f64 v[8:9], v[8:9], v[22:23], v[16:17]
	v_fma_f64 v[6:7], v[6:7], v[22:23], -v[24:25]
	v_add_f64_e32 v[10:11], v[10:11], v[14:15]
	v_add_f64_e32 v[12:13], v[12:13], v[36:37]
	s_delay_alu instid0(VALU_DEP_2) | instskip(NEXT) | instid1(VALU_DEP_2)
	v_add_f64_e32 v[1:2], v[10:11], v[1:2]
	v_add_f64_e32 v[3:4], v[12:13], v[4:5]
	s_delay_alu instid0(VALU_DEP_2) | instskip(NEXT) | instid1(VALU_DEP_2)
	v_add_f64_e32 v[1:2], v[1:2], v[6:7]
	v_add_f64_e32 v[3:4], v[3:4], v[8:9]
	s_wait_loadcnt 0x0
	s_delay_alu instid0(VALU_DEP_2) | instskip(NEXT) | instid1(VALU_DEP_2)
	v_add_f64_e64 v[1:2], v[26:27], -v[1:2]
	v_add_f64_e64 v[3:4], v[28:29], -v[3:4]
	scratch_store_b128 off, v[1:4], off offset:224
	v_cmpx_lt_u32_e32 12, v0
	s_cbranch_execz .LBB113_289
; %bb.288:
	scratch_load_b128 v[1:4], off, s51
	v_mov_b32_e32 v5, 0
	s_delay_alu instid0(VALU_DEP_1)
	v_dual_mov_b32 v6, v5 :: v_dual_mov_b32 v7, v5
	v_mov_b32_e32 v8, v5
	scratch_store_b128 off, v[5:8], off offset:208
	s_wait_loadcnt 0x0
	ds_store_b128 v142, v[1:4]
.LBB113_289:
	s_wait_alu 0xfffe
	s_or_b32 exec_lo, exec_lo, s0
	s_wait_storecnt_dscnt 0x0
	s_barrier_signal -1
	s_barrier_wait -1
	global_inv scope:SCOPE_SE
	s_clause 0x7
	scratch_load_b128 v[2:5], off, off offset:224
	scratch_load_b128 v[6:9], off, off offset:240
	;; [unrolled: 1-line block ×8, first 2 shown]
	v_mov_b32_e32 v1, 0
	s_clause 0x1
	scratch_load_b128 v[34:37], off, off offset:352
	scratch_load_b128 v[147:150], off, off offset:368
	s_mov_b32 s0, exec_lo
	ds_load_b128 v[38:41], v1 offset:1008
	ds_load_b128 v[143:146], v1 offset:1024
	s_wait_loadcnt_dscnt 0x901
	v_mul_f64_e32 v[151:152], v[40:41], v[4:5]
	v_mul_f64_e32 v[4:5], v[38:39], v[4:5]
	s_wait_loadcnt_dscnt 0x800
	v_mul_f64_e32 v[153:154], v[143:144], v[8:9]
	v_mul_f64_e32 v[8:9], v[145:146], v[8:9]
	s_delay_alu instid0(VALU_DEP_4) | instskip(NEXT) | instid1(VALU_DEP_4)
	v_fma_f64 v[151:152], v[38:39], v[2:3], -v[151:152]
	v_fma_f64 v[155:156], v[40:41], v[2:3], v[4:5]
	ds_load_b128 v[2:5], v1 offset:1040
	scratch_load_b128 v[38:41], off, off offset:384
	v_fma_f64 v[153:154], v[145:146], v[6:7], v[153:154]
	v_fma_f64 v[159:160], v[143:144], v[6:7], -v[8:9]
	ds_load_b128 v[6:9], v1 offset:1056
	scratch_load_b128 v[143:146], off, off offset:400
	s_wait_loadcnt_dscnt 0x901
	v_mul_f64_e32 v[157:158], v[2:3], v[12:13]
	v_mul_f64_e32 v[12:13], v[4:5], v[12:13]
	s_wait_loadcnt_dscnt 0x800
	v_mul_f64_e32 v[161:162], v[6:7], v[16:17]
	v_mul_f64_e32 v[16:17], v[8:9], v[16:17]
	v_add_f64_e32 v[151:152], 0, v[151:152]
	v_add_f64_e32 v[155:156], 0, v[155:156]
	v_fma_f64 v[157:158], v[4:5], v[10:11], v[157:158]
	v_fma_f64 v[163:164], v[2:3], v[10:11], -v[12:13]
	ds_load_b128 v[2:5], v1 offset:1072
	scratch_load_b128 v[10:13], off, off offset:416
	v_add_f64_e32 v[151:152], v[151:152], v[159:160]
	v_add_f64_e32 v[153:154], v[155:156], v[153:154]
	v_fma_f64 v[159:160], v[8:9], v[14:15], v[161:162]
	v_fma_f64 v[161:162], v[6:7], v[14:15], -v[16:17]
	ds_load_b128 v[6:9], v1 offset:1088
	scratch_load_b128 v[14:17], off, off offset:432
	s_wait_loadcnt_dscnt 0x901
	v_mul_f64_e32 v[155:156], v[2:3], v[20:21]
	v_mul_f64_e32 v[20:21], v[4:5], v[20:21]
	v_add_f64_e32 v[151:152], v[151:152], v[163:164]
	v_add_f64_e32 v[153:154], v[153:154], v[157:158]
	s_wait_loadcnt_dscnt 0x800
	v_mul_f64_e32 v[157:158], v[6:7], v[24:25]
	v_mul_f64_e32 v[24:25], v[8:9], v[24:25]
	v_fma_f64 v[155:156], v[4:5], v[18:19], v[155:156]
	v_fma_f64 v[163:164], v[2:3], v[18:19], -v[20:21]
	ds_load_b128 v[2:5], v1 offset:1104
	scratch_load_b128 v[18:21], off, off offset:448
	v_add_f64_e32 v[151:152], v[151:152], v[161:162]
	v_add_f64_e32 v[153:154], v[153:154], v[159:160]
	v_fma_f64 v[157:158], v[8:9], v[22:23], v[157:158]
	v_fma_f64 v[161:162], v[6:7], v[22:23], -v[24:25]
	ds_load_b128 v[6:9], v1 offset:1120
	s_wait_loadcnt_dscnt 0x801
	v_mul_f64_e32 v[159:160], v[2:3], v[28:29]
	v_mul_f64_e32 v[28:29], v[4:5], v[28:29]
	scratch_load_b128 v[22:25], off, off offset:464
	v_add_f64_e32 v[151:152], v[151:152], v[163:164]
	v_add_f64_e32 v[153:154], v[153:154], v[155:156]
	s_wait_loadcnt_dscnt 0x800
	v_mul_f64_e32 v[155:156], v[6:7], v[32:33]
	v_mul_f64_e32 v[32:33], v[8:9], v[32:33]
	v_fma_f64 v[159:160], v[4:5], v[26:27], v[159:160]
	v_fma_f64 v[163:164], v[2:3], v[26:27], -v[28:29]
	ds_load_b128 v[2:5], v1 offset:1136
	scratch_load_b128 v[26:29], off, off offset:480
	v_add_f64_e32 v[151:152], v[151:152], v[161:162]
	v_add_f64_e32 v[153:154], v[153:154], v[157:158]
	v_fma_f64 v[155:156], v[8:9], v[30:31], v[155:156]
	v_fma_f64 v[161:162], v[6:7], v[30:31], -v[32:33]
	ds_load_b128 v[6:9], v1 offset:1152
	s_wait_loadcnt_dscnt 0x801
	v_mul_f64_e32 v[157:158], v[2:3], v[36:37]
	v_mul_f64_e32 v[36:37], v[4:5], v[36:37]
	scratch_load_b128 v[30:33], off, off offset:496
	v_add_f64_e32 v[151:152], v[151:152], v[163:164]
	v_add_f64_e32 v[153:154], v[153:154], v[159:160]
	s_wait_loadcnt_dscnt 0x800
	v_mul_f64_e32 v[159:160], v[6:7], v[149:150]
	v_mul_f64_e32 v[149:150], v[8:9], v[149:150]
	v_fma_f64 v[157:158], v[4:5], v[34:35], v[157:158]
	v_fma_f64 v[163:164], v[2:3], v[34:35], -v[36:37]
	ds_load_b128 v[2:5], v1 offset:1168
	scratch_load_b128 v[34:37], off, off offset:512
	v_add_f64_e32 v[151:152], v[151:152], v[161:162]
	v_add_f64_e32 v[153:154], v[153:154], v[155:156]
	v_fma_f64 v[159:160], v[8:9], v[147:148], v[159:160]
	v_fma_f64 v[161:162], v[6:7], v[147:148], -v[149:150]
	ds_load_b128 v[6:9], v1 offset:1184
	scratch_load_b128 v[147:150], off, off offset:528
	s_wait_loadcnt_dscnt 0x901
	v_mul_f64_e32 v[155:156], v[2:3], v[40:41]
	v_mul_f64_e32 v[40:41], v[4:5], v[40:41]
	v_add_f64_e32 v[151:152], v[151:152], v[163:164]
	v_add_f64_e32 v[153:154], v[153:154], v[157:158]
	s_wait_loadcnt_dscnt 0x800
	v_mul_f64_e32 v[157:158], v[6:7], v[145:146]
	v_mul_f64_e32 v[145:146], v[8:9], v[145:146]
	v_fma_f64 v[155:156], v[4:5], v[38:39], v[155:156]
	v_fma_f64 v[163:164], v[2:3], v[38:39], -v[40:41]
	ds_load_b128 v[2:5], v1 offset:1200
	scratch_load_b128 v[38:41], off, off offset:544
	v_add_f64_e32 v[151:152], v[151:152], v[161:162]
	v_add_f64_e32 v[153:154], v[153:154], v[159:160]
	v_fma_f64 v[157:158], v[8:9], v[143:144], v[157:158]
	v_fma_f64 v[161:162], v[6:7], v[143:144], -v[145:146]
	ds_load_b128 v[6:9], v1 offset:1216
	s_wait_loadcnt_dscnt 0x801
	v_mul_f64_e32 v[159:160], v[2:3], v[12:13]
	v_mul_f64_e32 v[12:13], v[4:5], v[12:13]
	scratch_load_b128 v[143:146], off, off offset:560
	v_add_f64_e32 v[151:152], v[151:152], v[163:164]
	v_add_f64_e32 v[153:154], v[153:154], v[155:156]
	s_wait_loadcnt_dscnt 0x800
	v_mul_f64_e32 v[155:156], v[6:7], v[16:17]
	v_mul_f64_e32 v[16:17], v[8:9], v[16:17]
	v_fma_f64 v[159:160], v[4:5], v[10:11], v[159:160]
	v_fma_f64 v[163:164], v[2:3], v[10:11], -v[12:13]
	ds_load_b128 v[2:5], v1 offset:1232
	scratch_load_b128 v[10:13], off, off offset:576
	v_add_f64_e32 v[151:152], v[151:152], v[161:162]
	v_add_f64_e32 v[153:154], v[153:154], v[157:158]
	v_fma_f64 v[155:156], v[8:9], v[14:15], v[155:156]
	v_fma_f64 v[161:162], v[6:7], v[14:15], -v[16:17]
	ds_load_b128 v[6:9], v1 offset:1248
	s_wait_loadcnt_dscnt 0x801
	v_mul_f64_e32 v[157:158], v[2:3], v[20:21]
	v_mul_f64_e32 v[20:21], v[4:5], v[20:21]
	scratch_load_b128 v[14:17], off, off offset:592
	;; [unrolled: 18-line block ×8, first 2 shown]
	v_add_f64_e32 v[151:152], v[151:152], v[163:164]
	v_add_f64_e32 v[153:154], v[153:154], v[159:160]
	s_wait_loadcnt_dscnt 0x800
	v_mul_f64_e32 v[159:160], v[6:7], v[32:33]
	v_mul_f64_e32 v[32:33], v[8:9], v[32:33]
	v_fma_f64 v[157:158], v[4:5], v[26:27], v[157:158]
	v_fma_f64 v[163:164], v[2:3], v[26:27], -v[28:29]
	ds_load_b128 v[2:5], v1 offset:1456
	scratch_load_b128 v[26:29], off, off offset:800
	v_add_f64_e32 v[151:152], v[151:152], v[161:162]
	v_add_f64_e32 v[153:154], v[153:154], v[155:156]
	v_fma_f64 v[159:160], v[8:9], v[30:31], v[159:160]
	v_fma_f64 v[30:31], v[6:7], v[30:31], -v[32:33]
	ds_load_b128 v[6:9], v1 offset:1472
	s_wait_loadcnt_dscnt 0x801
	v_mul_f64_e32 v[155:156], v[2:3], v[36:37]
	v_mul_f64_e32 v[36:37], v[4:5], v[36:37]
	v_add_f64_e32 v[32:33], v[151:152], v[163:164]
	v_add_f64_e32 v[151:152], v[153:154], v[157:158]
	s_wait_loadcnt_dscnt 0x700
	v_mul_f64_e32 v[153:154], v[6:7], v[149:150]
	v_mul_f64_e32 v[149:150], v[8:9], v[149:150]
	v_fma_f64 v[155:156], v[4:5], v[34:35], v[155:156]
	v_fma_f64 v[34:35], v[2:3], v[34:35], -v[36:37]
	ds_load_b128 v[2:5], v1 offset:1488
	v_add_f64_e32 v[30:31], v[32:33], v[30:31]
	v_add_f64_e32 v[32:33], v[151:152], v[159:160]
	v_fma_f64 v[151:152], v[8:9], v[147:148], v[153:154]
	v_fma_f64 v[147:148], v[6:7], v[147:148], -v[149:150]
	ds_load_b128 v[6:9], v1 offset:1504
	s_wait_loadcnt_dscnt 0x500
	v_mul_f64_e32 v[153:154], v[6:7], v[145:146]
	v_mul_f64_e32 v[145:146], v[8:9], v[145:146]
	v_add_f64_e32 v[34:35], v[30:31], v[34:35]
	v_add_f64_e32 v[149:150], v[32:33], v[155:156]
	scratch_load_b128 v[30:33], off, off offset:208
	v_mul_f64_e32 v[36:37], v[2:3], v[40:41]
	v_mul_f64_e32 v[40:41], v[4:5], v[40:41]
	v_add_f64_e32 v[34:35], v[34:35], v[147:148]
	s_delay_alu instid0(VALU_DEP_3) | instskip(NEXT) | instid1(VALU_DEP_3)
	v_fma_f64 v[36:37], v[4:5], v[38:39], v[36:37]
	v_fma_f64 v[38:39], v[2:3], v[38:39], -v[40:41]
	v_add_f64_e32 v[40:41], v[149:150], v[151:152]
	ds_load_b128 v[2:5], v1 offset:1520
	v_fma_f64 v[149:150], v[8:9], v[143:144], v[153:154]
	v_fma_f64 v[143:144], v[6:7], v[143:144], -v[145:146]
	ds_load_b128 v[6:9], v1 offset:1536
	s_wait_loadcnt_dscnt 0x501
	v_mul_f64_e32 v[147:148], v[2:3], v[12:13]
	v_mul_f64_e32 v[12:13], v[4:5], v[12:13]
	v_add_f64_e32 v[34:35], v[34:35], v[38:39]
	v_add_f64_e32 v[36:37], v[40:41], v[36:37]
	s_wait_loadcnt_dscnt 0x400
	v_mul_f64_e32 v[38:39], v[6:7], v[16:17]
	v_mul_f64_e32 v[16:17], v[8:9], v[16:17]
	v_fma_f64 v[40:41], v[4:5], v[10:11], v[147:148]
	v_fma_f64 v[10:11], v[2:3], v[10:11], -v[12:13]
	ds_load_b128 v[2:5], v1 offset:1552
	v_add_f64_e32 v[12:13], v[34:35], v[143:144]
	v_add_f64_e32 v[34:35], v[36:37], v[149:150]
	v_fma_f64 v[38:39], v[8:9], v[14:15], v[38:39]
	v_fma_f64 v[14:15], v[6:7], v[14:15], -v[16:17]
	ds_load_b128 v[6:9], v1 offset:1568
	s_wait_loadcnt_dscnt 0x301
	v_mul_f64_e32 v[36:37], v[2:3], v[20:21]
	v_mul_f64_e32 v[20:21], v[4:5], v[20:21]
	s_wait_loadcnt_dscnt 0x200
	v_mul_f64_e32 v[16:17], v[6:7], v[24:25]
	v_mul_f64_e32 v[24:25], v[8:9], v[24:25]
	v_add_f64_e32 v[10:11], v[12:13], v[10:11]
	v_add_f64_e32 v[12:13], v[34:35], v[40:41]
	v_fma_f64 v[34:35], v[4:5], v[18:19], v[36:37]
	v_fma_f64 v[18:19], v[2:3], v[18:19], -v[20:21]
	ds_load_b128 v[2:5], v1 offset:1584
	v_fma_f64 v[8:9], v[8:9], v[22:23], v[16:17]
	v_fma_f64 v[6:7], v[6:7], v[22:23], -v[24:25]
	s_wait_loadcnt_dscnt 0x100
	v_mul_f64_e32 v[20:21], v[4:5], v[28:29]
	v_add_f64_e32 v[10:11], v[10:11], v[14:15]
	v_add_f64_e32 v[12:13], v[12:13], v[38:39]
	v_mul_f64_e32 v[14:15], v[2:3], v[28:29]
	s_delay_alu instid0(VALU_DEP_4) | instskip(NEXT) | instid1(VALU_DEP_4)
	v_fma_f64 v[2:3], v[2:3], v[26:27], -v[20:21]
	v_add_f64_e32 v[10:11], v[10:11], v[18:19]
	s_delay_alu instid0(VALU_DEP_4) | instskip(NEXT) | instid1(VALU_DEP_4)
	v_add_f64_e32 v[12:13], v[12:13], v[34:35]
	v_fma_f64 v[4:5], v[4:5], v[26:27], v[14:15]
	s_delay_alu instid0(VALU_DEP_3) | instskip(NEXT) | instid1(VALU_DEP_3)
	v_add_f64_e32 v[6:7], v[10:11], v[6:7]
	v_add_f64_e32 v[8:9], v[12:13], v[8:9]
	s_delay_alu instid0(VALU_DEP_2) | instskip(NEXT) | instid1(VALU_DEP_2)
	v_add_f64_e32 v[2:3], v[6:7], v[2:3]
	v_add_f64_e32 v[4:5], v[8:9], v[4:5]
	s_wait_loadcnt 0x0
	s_delay_alu instid0(VALU_DEP_2) | instskip(NEXT) | instid1(VALU_DEP_2)
	v_add_f64_e64 v[2:3], v[30:31], -v[2:3]
	v_add_f64_e64 v[4:5], v[32:33], -v[4:5]
	scratch_store_b128 off, v[2:5], off offset:208
	v_cmpx_lt_u32_e32 11, v0
	s_cbranch_execz .LBB113_291
; %bb.290:
	scratch_load_b128 v[5:8], off, s52
	v_dual_mov_b32 v2, v1 :: v_dual_mov_b32 v3, v1
	v_mov_b32_e32 v4, v1
	scratch_store_b128 off, v[1:4], off offset:192
	s_wait_loadcnt 0x0
	ds_store_b128 v142, v[5:8]
.LBB113_291:
	s_wait_alu 0xfffe
	s_or_b32 exec_lo, exec_lo, s0
	s_wait_storecnt_dscnt 0x0
	s_barrier_signal -1
	s_barrier_wait -1
	global_inv scope:SCOPE_SE
	s_clause 0x7
	scratch_load_b128 v[2:5], off, off offset:208
	scratch_load_b128 v[6:9], off, off offset:224
	;; [unrolled: 1-line block ×8, first 2 shown]
	ds_load_b128 v[38:41], v1 offset:992
	ds_load_b128 v[143:146], v1 offset:1008
	s_clause 0x1
	scratch_load_b128 v[34:37], off, off offset:336
	scratch_load_b128 v[147:150], off, off offset:352
	s_mov_b32 s0, exec_lo
	s_wait_loadcnt_dscnt 0x901
	v_mul_f64_e32 v[151:152], v[40:41], v[4:5]
	v_mul_f64_e32 v[4:5], v[38:39], v[4:5]
	s_wait_loadcnt_dscnt 0x800
	v_mul_f64_e32 v[153:154], v[143:144], v[8:9]
	v_mul_f64_e32 v[8:9], v[145:146], v[8:9]
	s_delay_alu instid0(VALU_DEP_4) | instskip(NEXT) | instid1(VALU_DEP_4)
	v_fma_f64 v[151:152], v[38:39], v[2:3], -v[151:152]
	v_fma_f64 v[155:156], v[40:41], v[2:3], v[4:5]
	ds_load_b128 v[2:5], v1 offset:1024
	scratch_load_b128 v[38:41], off, off offset:368
	v_fma_f64 v[153:154], v[145:146], v[6:7], v[153:154]
	v_fma_f64 v[159:160], v[143:144], v[6:7], -v[8:9]
	ds_load_b128 v[6:9], v1 offset:1040
	scratch_load_b128 v[143:146], off, off offset:384
	s_wait_loadcnt_dscnt 0x901
	v_mul_f64_e32 v[157:158], v[2:3], v[12:13]
	v_mul_f64_e32 v[12:13], v[4:5], v[12:13]
	s_wait_loadcnt_dscnt 0x800
	v_mul_f64_e32 v[161:162], v[6:7], v[16:17]
	v_mul_f64_e32 v[16:17], v[8:9], v[16:17]
	v_add_f64_e32 v[151:152], 0, v[151:152]
	v_add_f64_e32 v[155:156], 0, v[155:156]
	v_fma_f64 v[157:158], v[4:5], v[10:11], v[157:158]
	v_fma_f64 v[163:164], v[2:3], v[10:11], -v[12:13]
	ds_load_b128 v[2:5], v1 offset:1056
	scratch_load_b128 v[10:13], off, off offset:400
	v_add_f64_e32 v[151:152], v[151:152], v[159:160]
	v_add_f64_e32 v[153:154], v[155:156], v[153:154]
	v_fma_f64 v[159:160], v[8:9], v[14:15], v[161:162]
	v_fma_f64 v[161:162], v[6:7], v[14:15], -v[16:17]
	ds_load_b128 v[6:9], v1 offset:1072
	scratch_load_b128 v[14:17], off, off offset:416
	s_wait_loadcnt_dscnt 0x901
	v_mul_f64_e32 v[155:156], v[2:3], v[20:21]
	v_mul_f64_e32 v[20:21], v[4:5], v[20:21]
	v_add_f64_e32 v[151:152], v[151:152], v[163:164]
	v_add_f64_e32 v[153:154], v[153:154], v[157:158]
	s_wait_loadcnt_dscnt 0x800
	v_mul_f64_e32 v[157:158], v[6:7], v[24:25]
	v_mul_f64_e32 v[24:25], v[8:9], v[24:25]
	v_fma_f64 v[155:156], v[4:5], v[18:19], v[155:156]
	v_fma_f64 v[163:164], v[2:3], v[18:19], -v[20:21]
	ds_load_b128 v[2:5], v1 offset:1088
	scratch_load_b128 v[18:21], off, off offset:432
	v_add_f64_e32 v[151:152], v[151:152], v[161:162]
	v_add_f64_e32 v[153:154], v[153:154], v[159:160]
	v_fma_f64 v[157:158], v[8:9], v[22:23], v[157:158]
	v_fma_f64 v[161:162], v[6:7], v[22:23], -v[24:25]
	ds_load_b128 v[6:9], v1 offset:1104
	s_wait_loadcnt_dscnt 0x801
	v_mul_f64_e32 v[159:160], v[2:3], v[28:29]
	v_mul_f64_e32 v[28:29], v[4:5], v[28:29]
	scratch_load_b128 v[22:25], off, off offset:448
	v_add_f64_e32 v[151:152], v[151:152], v[163:164]
	v_add_f64_e32 v[153:154], v[153:154], v[155:156]
	s_wait_loadcnt_dscnt 0x800
	v_mul_f64_e32 v[155:156], v[6:7], v[32:33]
	v_mul_f64_e32 v[32:33], v[8:9], v[32:33]
	v_fma_f64 v[159:160], v[4:5], v[26:27], v[159:160]
	v_fma_f64 v[163:164], v[2:3], v[26:27], -v[28:29]
	ds_load_b128 v[2:5], v1 offset:1120
	scratch_load_b128 v[26:29], off, off offset:464
	v_add_f64_e32 v[151:152], v[151:152], v[161:162]
	v_add_f64_e32 v[153:154], v[153:154], v[157:158]
	v_fma_f64 v[155:156], v[8:9], v[30:31], v[155:156]
	v_fma_f64 v[161:162], v[6:7], v[30:31], -v[32:33]
	ds_load_b128 v[6:9], v1 offset:1136
	s_wait_loadcnt_dscnt 0x801
	v_mul_f64_e32 v[157:158], v[2:3], v[36:37]
	v_mul_f64_e32 v[36:37], v[4:5], v[36:37]
	scratch_load_b128 v[30:33], off, off offset:480
	v_add_f64_e32 v[151:152], v[151:152], v[163:164]
	v_add_f64_e32 v[153:154], v[153:154], v[159:160]
	s_wait_loadcnt_dscnt 0x800
	v_mul_f64_e32 v[159:160], v[6:7], v[149:150]
	v_mul_f64_e32 v[149:150], v[8:9], v[149:150]
	v_fma_f64 v[157:158], v[4:5], v[34:35], v[157:158]
	v_fma_f64 v[163:164], v[2:3], v[34:35], -v[36:37]
	ds_load_b128 v[2:5], v1 offset:1152
	scratch_load_b128 v[34:37], off, off offset:496
	v_add_f64_e32 v[151:152], v[151:152], v[161:162]
	v_add_f64_e32 v[153:154], v[153:154], v[155:156]
	v_fma_f64 v[159:160], v[8:9], v[147:148], v[159:160]
	v_fma_f64 v[161:162], v[6:7], v[147:148], -v[149:150]
	ds_load_b128 v[6:9], v1 offset:1168
	scratch_load_b128 v[147:150], off, off offset:512
	s_wait_loadcnt_dscnt 0x901
	v_mul_f64_e32 v[155:156], v[2:3], v[40:41]
	v_mul_f64_e32 v[40:41], v[4:5], v[40:41]
	v_add_f64_e32 v[151:152], v[151:152], v[163:164]
	v_add_f64_e32 v[153:154], v[153:154], v[157:158]
	s_wait_loadcnt_dscnt 0x800
	v_mul_f64_e32 v[157:158], v[6:7], v[145:146]
	v_mul_f64_e32 v[145:146], v[8:9], v[145:146]
	v_fma_f64 v[155:156], v[4:5], v[38:39], v[155:156]
	v_fma_f64 v[163:164], v[2:3], v[38:39], -v[40:41]
	ds_load_b128 v[2:5], v1 offset:1184
	scratch_load_b128 v[38:41], off, off offset:528
	v_add_f64_e32 v[151:152], v[151:152], v[161:162]
	v_add_f64_e32 v[153:154], v[153:154], v[159:160]
	v_fma_f64 v[157:158], v[8:9], v[143:144], v[157:158]
	v_fma_f64 v[161:162], v[6:7], v[143:144], -v[145:146]
	ds_load_b128 v[6:9], v1 offset:1200
	s_wait_loadcnt_dscnt 0x801
	v_mul_f64_e32 v[159:160], v[2:3], v[12:13]
	v_mul_f64_e32 v[12:13], v[4:5], v[12:13]
	scratch_load_b128 v[143:146], off, off offset:544
	v_add_f64_e32 v[151:152], v[151:152], v[163:164]
	v_add_f64_e32 v[153:154], v[153:154], v[155:156]
	s_wait_loadcnt_dscnt 0x800
	v_mul_f64_e32 v[155:156], v[6:7], v[16:17]
	v_mul_f64_e32 v[16:17], v[8:9], v[16:17]
	v_fma_f64 v[159:160], v[4:5], v[10:11], v[159:160]
	v_fma_f64 v[163:164], v[2:3], v[10:11], -v[12:13]
	ds_load_b128 v[2:5], v1 offset:1216
	scratch_load_b128 v[10:13], off, off offset:560
	v_add_f64_e32 v[151:152], v[151:152], v[161:162]
	v_add_f64_e32 v[153:154], v[153:154], v[157:158]
	v_fma_f64 v[155:156], v[8:9], v[14:15], v[155:156]
	v_fma_f64 v[161:162], v[6:7], v[14:15], -v[16:17]
	ds_load_b128 v[6:9], v1 offset:1232
	s_wait_loadcnt_dscnt 0x801
	v_mul_f64_e32 v[157:158], v[2:3], v[20:21]
	v_mul_f64_e32 v[20:21], v[4:5], v[20:21]
	scratch_load_b128 v[14:17], off, off offset:576
	;; [unrolled: 18-line block ×9, first 2 shown]
	v_add_f64_e32 v[151:152], v[151:152], v[163:164]
	v_add_f64_e32 v[153:154], v[153:154], v[157:158]
	s_wait_loadcnt_dscnt 0x800
	v_mul_f64_e32 v[157:158], v[6:7], v[149:150]
	v_mul_f64_e32 v[149:150], v[8:9], v[149:150]
	v_fma_f64 v[155:156], v[4:5], v[34:35], v[155:156]
	v_fma_f64 v[34:35], v[2:3], v[34:35], -v[36:37]
	ds_load_b128 v[2:5], v1 offset:1472
	v_add_f64_e32 v[36:37], v[151:152], v[161:162]
	v_add_f64_e32 v[151:152], v[153:154], v[159:160]
	v_fma_f64 v[157:158], v[8:9], v[147:148], v[157:158]
	v_fma_f64 v[147:148], v[6:7], v[147:148], -v[149:150]
	ds_load_b128 v[6:9], v1 offset:1488
	s_wait_loadcnt_dscnt 0x701
	v_mul_f64_e32 v[153:154], v[2:3], v[40:41]
	v_mul_f64_e32 v[40:41], v[4:5], v[40:41]
	v_add_f64_e32 v[34:35], v[36:37], v[34:35]
	v_add_f64_e32 v[36:37], v[151:152], v[155:156]
	s_delay_alu instid0(VALU_DEP_4) | instskip(NEXT) | instid1(VALU_DEP_4)
	v_fma_f64 v[151:152], v[4:5], v[38:39], v[153:154]
	v_fma_f64 v[38:39], v[2:3], v[38:39], -v[40:41]
	ds_load_b128 v[2:5], v1 offset:1504
	v_add_f64_e32 v[40:41], v[34:35], v[147:148]
	v_add_f64_e32 v[147:148], v[36:37], v[157:158]
	scratch_load_b128 v[34:37], off, off offset:192
	s_wait_loadcnt_dscnt 0x701
	v_mul_f64_e32 v[149:150], v[6:7], v[145:146]
	v_mul_f64_e32 v[145:146], v[8:9], v[145:146]
	v_add_f64_e32 v[38:39], v[40:41], v[38:39]
	v_add_f64_e32 v[40:41], v[147:148], v[151:152]
	s_delay_alu instid0(VALU_DEP_4) | instskip(NEXT) | instid1(VALU_DEP_4)
	v_fma_f64 v[149:150], v[8:9], v[143:144], v[149:150]
	v_fma_f64 v[143:144], v[6:7], v[143:144], -v[145:146]
	ds_load_b128 v[6:9], v1 offset:1520
	s_wait_loadcnt_dscnt 0x601
	v_mul_f64_e32 v[153:154], v[2:3], v[12:13]
	v_mul_f64_e32 v[12:13], v[4:5], v[12:13]
	s_wait_loadcnt_dscnt 0x500
	v_mul_f64_e32 v[145:146], v[6:7], v[16:17]
	v_mul_f64_e32 v[16:17], v[8:9], v[16:17]
	s_delay_alu instid0(VALU_DEP_4) | instskip(NEXT) | instid1(VALU_DEP_4)
	v_fma_f64 v[147:148], v[4:5], v[10:11], v[153:154]
	v_fma_f64 v[10:11], v[2:3], v[10:11], -v[12:13]
	v_add_f64_e32 v[12:13], v[38:39], v[143:144]
	v_add_f64_e32 v[38:39], v[40:41], v[149:150]
	ds_load_b128 v[2:5], v1 offset:1536
	v_fma_f64 v[143:144], v[8:9], v[14:15], v[145:146]
	v_fma_f64 v[14:15], v[6:7], v[14:15], -v[16:17]
	ds_load_b128 v[6:9], v1 offset:1552
	s_wait_loadcnt_dscnt 0x401
	v_mul_f64_e32 v[40:41], v[2:3], v[20:21]
	v_mul_f64_e32 v[20:21], v[4:5], v[20:21]
	v_add_f64_e32 v[10:11], v[12:13], v[10:11]
	v_add_f64_e32 v[12:13], v[38:39], v[147:148]
	s_wait_loadcnt_dscnt 0x300
	v_mul_f64_e32 v[16:17], v[6:7], v[24:25]
	v_mul_f64_e32 v[24:25], v[8:9], v[24:25]
	v_fma_f64 v[38:39], v[4:5], v[18:19], v[40:41]
	v_fma_f64 v[18:19], v[2:3], v[18:19], -v[20:21]
	ds_load_b128 v[2:5], v1 offset:1568
	v_add_f64_e32 v[10:11], v[10:11], v[14:15]
	v_add_f64_e32 v[12:13], v[12:13], v[143:144]
	v_fma_f64 v[16:17], v[8:9], v[22:23], v[16:17]
	v_fma_f64 v[22:23], v[6:7], v[22:23], -v[24:25]
	ds_load_b128 v[6:9], v1 offset:1584
	s_wait_loadcnt_dscnt 0x201
	v_mul_f64_e32 v[14:15], v[2:3], v[28:29]
	v_mul_f64_e32 v[20:21], v[4:5], v[28:29]
	s_wait_loadcnt_dscnt 0x100
	v_mul_f64_e32 v[24:25], v[8:9], v[32:33]
	v_add_f64_e32 v[10:11], v[10:11], v[18:19]
	v_add_f64_e32 v[12:13], v[12:13], v[38:39]
	v_mul_f64_e32 v[18:19], v[6:7], v[32:33]
	v_fma_f64 v[4:5], v[4:5], v[26:27], v[14:15]
	v_fma_f64 v[1:2], v[2:3], v[26:27], -v[20:21]
	v_fma_f64 v[6:7], v[6:7], v[30:31], -v[24:25]
	v_add_f64_e32 v[10:11], v[10:11], v[22:23]
	v_add_f64_e32 v[12:13], v[12:13], v[16:17]
	v_fma_f64 v[8:9], v[8:9], v[30:31], v[18:19]
	s_delay_alu instid0(VALU_DEP_3) | instskip(NEXT) | instid1(VALU_DEP_3)
	v_add_f64_e32 v[1:2], v[10:11], v[1:2]
	v_add_f64_e32 v[3:4], v[12:13], v[4:5]
	s_delay_alu instid0(VALU_DEP_2) | instskip(NEXT) | instid1(VALU_DEP_2)
	v_add_f64_e32 v[1:2], v[1:2], v[6:7]
	v_add_f64_e32 v[3:4], v[3:4], v[8:9]
	s_wait_loadcnt 0x0
	s_delay_alu instid0(VALU_DEP_2) | instskip(NEXT) | instid1(VALU_DEP_2)
	v_add_f64_e64 v[1:2], v[34:35], -v[1:2]
	v_add_f64_e64 v[3:4], v[36:37], -v[3:4]
	scratch_store_b128 off, v[1:4], off offset:192
	v_cmpx_lt_u32_e32 10, v0
	s_cbranch_execz .LBB113_293
; %bb.292:
	scratch_load_b128 v[1:4], off, s53
	v_mov_b32_e32 v5, 0
	s_delay_alu instid0(VALU_DEP_1)
	v_dual_mov_b32 v6, v5 :: v_dual_mov_b32 v7, v5
	v_mov_b32_e32 v8, v5
	scratch_store_b128 off, v[5:8], off offset:176
	s_wait_loadcnt 0x0
	ds_store_b128 v142, v[1:4]
.LBB113_293:
	s_wait_alu 0xfffe
	s_or_b32 exec_lo, exec_lo, s0
	s_wait_storecnt_dscnt 0x0
	s_barrier_signal -1
	s_barrier_wait -1
	global_inv scope:SCOPE_SE
	s_clause 0x7
	scratch_load_b128 v[2:5], off, off offset:192
	scratch_load_b128 v[6:9], off, off offset:208
	;; [unrolled: 1-line block ×8, first 2 shown]
	v_mov_b32_e32 v1, 0
	s_clause 0x1
	scratch_load_b128 v[34:37], off, off offset:320
	scratch_load_b128 v[147:150], off, off offset:336
	s_mov_b32 s0, exec_lo
	ds_load_b128 v[38:41], v1 offset:976
	ds_load_b128 v[143:146], v1 offset:992
	s_wait_loadcnt_dscnt 0x901
	v_mul_f64_e32 v[151:152], v[40:41], v[4:5]
	v_mul_f64_e32 v[4:5], v[38:39], v[4:5]
	s_wait_loadcnt_dscnt 0x800
	v_mul_f64_e32 v[153:154], v[143:144], v[8:9]
	v_mul_f64_e32 v[8:9], v[145:146], v[8:9]
	s_delay_alu instid0(VALU_DEP_4) | instskip(NEXT) | instid1(VALU_DEP_4)
	v_fma_f64 v[151:152], v[38:39], v[2:3], -v[151:152]
	v_fma_f64 v[155:156], v[40:41], v[2:3], v[4:5]
	ds_load_b128 v[2:5], v1 offset:1008
	scratch_load_b128 v[38:41], off, off offset:352
	v_fma_f64 v[153:154], v[145:146], v[6:7], v[153:154]
	v_fma_f64 v[159:160], v[143:144], v[6:7], -v[8:9]
	ds_load_b128 v[6:9], v1 offset:1024
	scratch_load_b128 v[143:146], off, off offset:368
	s_wait_loadcnt_dscnt 0x901
	v_mul_f64_e32 v[157:158], v[2:3], v[12:13]
	v_mul_f64_e32 v[12:13], v[4:5], v[12:13]
	s_wait_loadcnt_dscnt 0x800
	v_mul_f64_e32 v[161:162], v[6:7], v[16:17]
	v_mul_f64_e32 v[16:17], v[8:9], v[16:17]
	v_add_f64_e32 v[151:152], 0, v[151:152]
	v_add_f64_e32 v[155:156], 0, v[155:156]
	v_fma_f64 v[157:158], v[4:5], v[10:11], v[157:158]
	v_fma_f64 v[163:164], v[2:3], v[10:11], -v[12:13]
	ds_load_b128 v[2:5], v1 offset:1040
	scratch_load_b128 v[10:13], off, off offset:384
	v_add_f64_e32 v[151:152], v[151:152], v[159:160]
	v_add_f64_e32 v[153:154], v[155:156], v[153:154]
	v_fma_f64 v[159:160], v[8:9], v[14:15], v[161:162]
	v_fma_f64 v[161:162], v[6:7], v[14:15], -v[16:17]
	ds_load_b128 v[6:9], v1 offset:1056
	scratch_load_b128 v[14:17], off, off offset:400
	s_wait_loadcnt_dscnt 0x901
	v_mul_f64_e32 v[155:156], v[2:3], v[20:21]
	v_mul_f64_e32 v[20:21], v[4:5], v[20:21]
	v_add_f64_e32 v[151:152], v[151:152], v[163:164]
	v_add_f64_e32 v[153:154], v[153:154], v[157:158]
	s_wait_loadcnt_dscnt 0x800
	v_mul_f64_e32 v[157:158], v[6:7], v[24:25]
	v_mul_f64_e32 v[24:25], v[8:9], v[24:25]
	v_fma_f64 v[155:156], v[4:5], v[18:19], v[155:156]
	v_fma_f64 v[163:164], v[2:3], v[18:19], -v[20:21]
	ds_load_b128 v[2:5], v1 offset:1072
	scratch_load_b128 v[18:21], off, off offset:416
	v_add_f64_e32 v[151:152], v[151:152], v[161:162]
	v_add_f64_e32 v[153:154], v[153:154], v[159:160]
	v_fma_f64 v[157:158], v[8:9], v[22:23], v[157:158]
	v_fma_f64 v[161:162], v[6:7], v[22:23], -v[24:25]
	ds_load_b128 v[6:9], v1 offset:1088
	s_wait_loadcnt_dscnt 0x801
	v_mul_f64_e32 v[159:160], v[2:3], v[28:29]
	v_mul_f64_e32 v[28:29], v[4:5], v[28:29]
	scratch_load_b128 v[22:25], off, off offset:432
	v_add_f64_e32 v[151:152], v[151:152], v[163:164]
	v_add_f64_e32 v[153:154], v[153:154], v[155:156]
	s_wait_loadcnt_dscnt 0x800
	v_mul_f64_e32 v[155:156], v[6:7], v[32:33]
	v_mul_f64_e32 v[32:33], v[8:9], v[32:33]
	v_fma_f64 v[159:160], v[4:5], v[26:27], v[159:160]
	v_fma_f64 v[163:164], v[2:3], v[26:27], -v[28:29]
	ds_load_b128 v[2:5], v1 offset:1104
	scratch_load_b128 v[26:29], off, off offset:448
	v_add_f64_e32 v[151:152], v[151:152], v[161:162]
	v_add_f64_e32 v[153:154], v[153:154], v[157:158]
	v_fma_f64 v[155:156], v[8:9], v[30:31], v[155:156]
	v_fma_f64 v[161:162], v[6:7], v[30:31], -v[32:33]
	ds_load_b128 v[6:9], v1 offset:1120
	s_wait_loadcnt_dscnt 0x801
	v_mul_f64_e32 v[157:158], v[2:3], v[36:37]
	v_mul_f64_e32 v[36:37], v[4:5], v[36:37]
	scratch_load_b128 v[30:33], off, off offset:464
	v_add_f64_e32 v[151:152], v[151:152], v[163:164]
	v_add_f64_e32 v[153:154], v[153:154], v[159:160]
	s_wait_loadcnt_dscnt 0x800
	v_mul_f64_e32 v[159:160], v[6:7], v[149:150]
	v_mul_f64_e32 v[149:150], v[8:9], v[149:150]
	v_fma_f64 v[157:158], v[4:5], v[34:35], v[157:158]
	v_fma_f64 v[163:164], v[2:3], v[34:35], -v[36:37]
	ds_load_b128 v[2:5], v1 offset:1136
	scratch_load_b128 v[34:37], off, off offset:480
	v_add_f64_e32 v[151:152], v[151:152], v[161:162]
	v_add_f64_e32 v[153:154], v[153:154], v[155:156]
	v_fma_f64 v[159:160], v[8:9], v[147:148], v[159:160]
	v_fma_f64 v[161:162], v[6:7], v[147:148], -v[149:150]
	ds_load_b128 v[6:9], v1 offset:1152
	scratch_load_b128 v[147:150], off, off offset:496
	s_wait_loadcnt_dscnt 0x901
	v_mul_f64_e32 v[155:156], v[2:3], v[40:41]
	v_mul_f64_e32 v[40:41], v[4:5], v[40:41]
	v_add_f64_e32 v[151:152], v[151:152], v[163:164]
	v_add_f64_e32 v[153:154], v[153:154], v[157:158]
	s_wait_loadcnt_dscnt 0x800
	v_mul_f64_e32 v[157:158], v[6:7], v[145:146]
	v_mul_f64_e32 v[145:146], v[8:9], v[145:146]
	v_fma_f64 v[155:156], v[4:5], v[38:39], v[155:156]
	v_fma_f64 v[163:164], v[2:3], v[38:39], -v[40:41]
	ds_load_b128 v[2:5], v1 offset:1168
	scratch_load_b128 v[38:41], off, off offset:512
	v_add_f64_e32 v[151:152], v[151:152], v[161:162]
	v_add_f64_e32 v[153:154], v[153:154], v[159:160]
	v_fma_f64 v[157:158], v[8:9], v[143:144], v[157:158]
	v_fma_f64 v[161:162], v[6:7], v[143:144], -v[145:146]
	ds_load_b128 v[6:9], v1 offset:1184
	s_wait_loadcnt_dscnt 0x801
	v_mul_f64_e32 v[159:160], v[2:3], v[12:13]
	v_mul_f64_e32 v[12:13], v[4:5], v[12:13]
	scratch_load_b128 v[143:146], off, off offset:528
	v_add_f64_e32 v[151:152], v[151:152], v[163:164]
	v_add_f64_e32 v[153:154], v[153:154], v[155:156]
	s_wait_loadcnt_dscnt 0x800
	v_mul_f64_e32 v[155:156], v[6:7], v[16:17]
	v_mul_f64_e32 v[16:17], v[8:9], v[16:17]
	v_fma_f64 v[159:160], v[4:5], v[10:11], v[159:160]
	v_fma_f64 v[163:164], v[2:3], v[10:11], -v[12:13]
	ds_load_b128 v[2:5], v1 offset:1200
	scratch_load_b128 v[10:13], off, off offset:544
	v_add_f64_e32 v[151:152], v[151:152], v[161:162]
	v_add_f64_e32 v[153:154], v[153:154], v[157:158]
	v_fma_f64 v[155:156], v[8:9], v[14:15], v[155:156]
	v_fma_f64 v[161:162], v[6:7], v[14:15], -v[16:17]
	ds_load_b128 v[6:9], v1 offset:1216
	s_wait_loadcnt_dscnt 0x801
	v_mul_f64_e32 v[157:158], v[2:3], v[20:21]
	v_mul_f64_e32 v[20:21], v[4:5], v[20:21]
	scratch_load_b128 v[14:17], off, off offset:560
	;; [unrolled: 18-line block ×9, first 2 shown]
	v_add_f64_e32 v[151:152], v[151:152], v[163:164]
	v_add_f64_e32 v[153:154], v[153:154], v[157:158]
	s_wait_loadcnt_dscnt 0x800
	v_mul_f64_e32 v[157:158], v[6:7], v[149:150]
	v_mul_f64_e32 v[149:150], v[8:9], v[149:150]
	v_fma_f64 v[155:156], v[4:5], v[34:35], v[155:156]
	v_fma_f64 v[163:164], v[2:3], v[34:35], -v[36:37]
	ds_load_b128 v[2:5], v1 offset:1456
	scratch_load_b128 v[34:37], off, off offset:800
	v_add_f64_e32 v[151:152], v[151:152], v[161:162]
	v_add_f64_e32 v[153:154], v[153:154], v[159:160]
	v_fma_f64 v[157:158], v[8:9], v[147:148], v[157:158]
	v_fma_f64 v[147:148], v[6:7], v[147:148], -v[149:150]
	ds_load_b128 v[6:9], v1 offset:1472
	s_wait_loadcnt_dscnt 0x801
	v_mul_f64_e32 v[159:160], v[2:3], v[40:41]
	v_mul_f64_e32 v[40:41], v[4:5], v[40:41]
	v_add_f64_e32 v[149:150], v[151:152], v[163:164]
	v_add_f64_e32 v[151:152], v[153:154], v[155:156]
	s_wait_loadcnt_dscnt 0x700
	v_mul_f64_e32 v[153:154], v[6:7], v[145:146]
	v_mul_f64_e32 v[145:146], v[8:9], v[145:146]
	v_fma_f64 v[155:156], v[4:5], v[38:39], v[159:160]
	v_fma_f64 v[38:39], v[2:3], v[38:39], -v[40:41]
	ds_load_b128 v[2:5], v1 offset:1488
	v_add_f64_e32 v[40:41], v[149:150], v[147:148]
	v_add_f64_e32 v[147:148], v[151:152], v[157:158]
	v_fma_f64 v[151:152], v[8:9], v[143:144], v[153:154]
	v_fma_f64 v[143:144], v[6:7], v[143:144], -v[145:146]
	ds_load_b128 v[6:9], v1 offset:1504
	s_wait_loadcnt_dscnt 0x500
	v_mul_f64_e32 v[153:154], v[6:7], v[16:17]
	v_mul_f64_e32 v[16:17], v[8:9], v[16:17]
	v_add_f64_e32 v[145:146], v[40:41], v[38:39]
	v_add_f64_e32 v[147:148], v[147:148], v[155:156]
	scratch_load_b128 v[38:41], off, off offset:176
	v_mul_f64_e32 v[149:150], v[2:3], v[12:13]
	v_mul_f64_e32 v[12:13], v[4:5], v[12:13]
	s_delay_alu instid0(VALU_DEP_2) | instskip(NEXT) | instid1(VALU_DEP_2)
	v_fma_f64 v[149:150], v[4:5], v[10:11], v[149:150]
	v_fma_f64 v[10:11], v[2:3], v[10:11], -v[12:13]
	v_add_f64_e32 v[12:13], v[145:146], v[143:144]
	v_add_f64_e32 v[143:144], v[147:148], v[151:152]
	ds_load_b128 v[2:5], v1 offset:1520
	v_fma_f64 v[147:148], v[8:9], v[14:15], v[153:154]
	v_fma_f64 v[14:15], v[6:7], v[14:15], -v[16:17]
	ds_load_b128 v[6:9], v1 offset:1536
	s_wait_loadcnt_dscnt 0x501
	v_mul_f64_e32 v[145:146], v[2:3], v[20:21]
	v_mul_f64_e32 v[20:21], v[4:5], v[20:21]
	s_wait_loadcnt_dscnt 0x400
	v_mul_f64_e32 v[16:17], v[6:7], v[24:25]
	v_mul_f64_e32 v[24:25], v[8:9], v[24:25]
	v_add_f64_e32 v[10:11], v[12:13], v[10:11]
	v_add_f64_e32 v[12:13], v[143:144], v[149:150]
	v_fma_f64 v[143:144], v[4:5], v[18:19], v[145:146]
	v_fma_f64 v[18:19], v[2:3], v[18:19], -v[20:21]
	ds_load_b128 v[2:5], v1 offset:1552
	v_fma_f64 v[16:17], v[8:9], v[22:23], v[16:17]
	v_fma_f64 v[22:23], v[6:7], v[22:23], -v[24:25]
	ds_load_b128 v[6:9], v1 offset:1568
	v_add_f64_e32 v[10:11], v[10:11], v[14:15]
	v_add_f64_e32 v[12:13], v[12:13], v[147:148]
	s_wait_loadcnt_dscnt 0x301
	v_mul_f64_e32 v[14:15], v[2:3], v[28:29]
	v_mul_f64_e32 v[20:21], v[4:5], v[28:29]
	s_wait_loadcnt_dscnt 0x200
	v_mul_f64_e32 v[24:25], v[8:9], v[32:33]
	v_add_f64_e32 v[10:11], v[10:11], v[18:19]
	v_add_f64_e32 v[12:13], v[12:13], v[143:144]
	v_mul_f64_e32 v[18:19], v[6:7], v[32:33]
	v_fma_f64 v[14:15], v[4:5], v[26:27], v[14:15]
	v_fma_f64 v[20:21], v[2:3], v[26:27], -v[20:21]
	ds_load_b128 v[2:5], v1 offset:1584
	v_fma_f64 v[6:7], v[6:7], v[30:31], -v[24:25]
	v_add_f64_e32 v[10:11], v[10:11], v[22:23]
	v_add_f64_e32 v[12:13], v[12:13], v[16:17]
	s_wait_loadcnt_dscnt 0x100
	v_mul_f64_e32 v[16:17], v[2:3], v[36:37]
	v_mul_f64_e32 v[22:23], v[4:5], v[36:37]
	v_fma_f64 v[8:9], v[8:9], v[30:31], v[18:19]
	v_add_f64_e32 v[10:11], v[10:11], v[20:21]
	v_add_f64_e32 v[12:13], v[12:13], v[14:15]
	v_fma_f64 v[4:5], v[4:5], v[34:35], v[16:17]
	v_fma_f64 v[2:3], v[2:3], v[34:35], -v[22:23]
	s_delay_alu instid0(VALU_DEP_4) | instskip(NEXT) | instid1(VALU_DEP_4)
	v_add_f64_e32 v[6:7], v[10:11], v[6:7]
	v_add_f64_e32 v[8:9], v[12:13], v[8:9]
	s_delay_alu instid0(VALU_DEP_2) | instskip(NEXT) | instid1(VALU_DEP_2)
	v_add_f64_e32 v[2:3], v[6:7], v[2:3]
	v_add_f64_e32 v[4:5], v[8:9], v[4:5]
	s_wait_loadcnt 0x0
	s_delay_alu instid0(VALU_DEP_2) | instskip(NEXT) | instid1(VALU_DEP_2)
	v_add_f64_e64 v[2:3], v[38:39], -v[2:3]
	v_add_f64_e64 v[4:5], v[40:41], -v[4:5]
	scratch_store_b128 off, v[2:5], off offset:176
	v_cmpx_lt_u32_e32 9, v0
	s_cbranch_execz .LBB113_295
; %bb.294:
	scratch_load_b128 v[5:8], off, s54
	v_dual_mov_b32 v2, v1 :: v_dual_mov_b32 v3, v1
	v_mov_b32_e32 v4, v1
	scratch_store_b128 off, v[1:4], off offset:160
	s_wait_loadcnt 0x0
	ds_store_b128 v142, v[5:8]
.LBB113_295:
	s_wait_alu 0xfffe
	s_or_b32 exec_lo, exec_lo, s0
	s_wait_storecnt_dscnt 0x0
	s_barrier_signal -1
	s_barrier_wait -1
	global_inv scope:SCOPE_SE
	s_clause 0x7
	scratch_load_b128 v[2:5], off, off offset:176
	scratch_load_b128 v[6:9], off, off offset:192
	;; [unrolled: 1-line block ×8, first 2 shown]
	ds_load_b128 v[38:41], v1 offset:960
	ds_load_b128 v[143:146], v1 offset:976
	s_clause 0x1
	scratch_load_b128 v[34:37], off, off offset:304
	scratch_load_b128 v[147:150], off, off offset:320
	s_mov_b32 s0, exec_lo
	s_wait_loadcnt_dscnt 0x901
	v_mul_f64_e32 v[151:152], v[40:41], v[4:5]
	v_mul_f64_e32 v[4:5], v[38:39], v[4:5]
	s_wait_loadcnt_dscnt 0x800
	v_mul_f64_e32 v[153:154], v[143:144], v[8:9]
	v_mul_f64_e32 v[8:9], v[145:146], v[8:9]
	s_delay_alu instid0(VALU_DEP_4) | instskip(NEXT) | instid1(VALU_DEP_4)
	v_fma_f64 v[151:152], v[38:39], v[2:3], -v[151:152]
	v_fma_f64 v[155:156], v[40:41], v[2:3], v[4:5]
	ds_load_b128 v[2:5], v1 offset:992
	scratch_load_b128 v[38:41], off, off offset:336
	v_fma_f64 v[153:154], v[145:146], v[6:7], v[153:154]
	v_fma_f64 v[159:160], v[143:144], v[6:7], -v[8:9]
	ds_load_b128 v[6:9], v1 offset:1008
	scratch_load_b128 v[143:146], off, off offset:352
	s_wait_loadcnt_dscnt 0x901
	v_mul_f64_e32 v[157:158], v[2:3], v[12:13]
	v_mul_f64_e32 v[12:13], v[4:5], v[12:13]
	s_wait_loadcnt_dscnt 0x800
	v_mul_f64_e32 v[161:162], v[6:7], v[16:17]
	v_mul_f64_e32 v[16:17], v[8:9], v[16:17]
	v_add_f64_e32 v[151:152], 0, v[151:152]
	v_add_f64_e32 v[155:156], 0, v[155:156]
	v_fma_f64 v[157:158], v[4:5], v[10:11], v[157:158]
	v_fma_f64 v[163:164], v[2:3], v[10:11], -v[12:13]
	ds_load_b128 v[2:5], v1 offset:1024
	scratch_load_b128 v[10:13], off, off offset:368
	v_add_f64_e32 v[151:152], v[151:152], v[159:160]
	v_add_f64_e32 v[153:154], v[155:156], v[153:154]
	v_fma_f64 v[159:160], v[8:9], v[14:15], v[161:162]
	v_fma_f64 v[161:162], v[6:7], v[14:15], -v[16:17]
	ds_load_b128 v[6:9], v1 offset:1040
	scratch_load_b128 v[14:17], off, off offset:384
	s_wait_loadcnt_dscnt 0x901
	v_mul_f64_e32 v[155:156], v[2:3], v[20:21]
	v_mul_f64_e32 v[20:21], v[4:5], v[20:21]
	v_add_f64_e32 v[151:152], v[151:152], v[163:164]
	v_add_f64_e32 v[153:154], v[153:154], v[157:158]
	s_wait_loadcnt_dscnt 0x800
	v_mul_f64_e32 v[157:158], v[6:7], v[24:25]
	v_mul_f64_e32 v[24:25], v[8:9], v[24:25]
	v_fma_f64 v[155:156], v[4:5], v[18:19], v[155:156]
	v_fma_f64 v[163:164], v[2:3], v[18:19], -v[20:21]
	ds_load_b128 v[2:5], v1 offset:1056
	scratch_load_b128 v[18:21], off, off offset:400
	v_add_f64_e32 v[151:152], v[151:152], v[161:162]
	v_add_f64_e32 v[153:154], v[153:154], v[159:160]
	v_fma_f64 v[157:158], v[8:9], v[22:23], v[157:158]
	v_fma_f64 v[161:162], v[6:7], v[22:23], -v[24:25]
	ds_load_b128 v[6:9], v1 offset:1072
	s_wait_loadcnt_dscnt 0x801
	v_mul_f64_e32 v[159:160], v[2:3], v[28:29]
	v_mul_f64_e32 v[28:29], v[4:5], v[28:29]
	scratch_load_b128 v[22:25], off, off offset:416
	v_add_f64_e32 v[151:152], v[151:152], v[163:164]
	v_add_f64_e32 v[153:154], v[153:154], v[155:156]
	s_wait_loadcnt_dscnt 0x800
	v_mul_f64_e32 v[155:156], v[6:7], v[32:33]
	v_mul_f64_e32 v[32:33], v[8:9], v[32:33]
	v_fma_f64 v[159:160], v[4:5], v[26:27], v[159:160]
	v_fma_f64 v[163:164], v[2:3], v[26:27], -v[28:29]
	ds_load_b128 v[2:5], v1 offset:1088
	scratch_load_b128 v[26:29], off, off offset:432
	v_add_f64_e32 v[151:152], v[151:152], v[161:162]
	v_add_f64_e32 v[153:154], v[153:154], v[157:158]
	v_fma_f64 v[155:156], v[8:9], v[30:31], v[155:156]
	v_fma_f64 v[161:162], v[6:7], v[30:31], -v[32:33]
	ds_load_b128 v[6:9], v1 offset:1104
	s_wait_loadcnt_dscnt 0x801
	v_mul_f64_e32 v[157:158], v[2:3], v[36:37]
	v_mul_f64_e32 v[36:37], v[4:5], v[36:37]
	scratch_load_b128 v[30:33], off, off offset:448
	v_add_f64_e32 v[151:152], v[151:152], v[163:164]
	v_add_f64_e32 v[153:154], v[153:154], v[159:160]
	s_wait_loadcnt_dscnt 0x800
	v_mul_f64_e32 v[159:160], v[6:7], v[149:150]
	v_mul_f64_e32 v[149:150], v[8:9], v[149:150]
	v_fma_f64 v[157:158], v[4:5], v[34:35], v[157:158]
	v_fma_f64 v[163:164], v[2:3], v[34:35], -v[36:37]
	ds_load_b128 v[2:5], v1 offset:1120
	scratch_load_b128 v[34:37], off, off offset:464
	v_add_f64_e32 v[151:152], v[151:152], v[161:162]
	v_add_f64_e32 v[153:154], v[153:154], v[155:156]
	v_fma_f64 v[159:160], v[8:9], v[147:148], v[159:160]
	v_fma_f64 v[161:162], v[6:7], v[147:148], -v[149:150]
	ds_load_b128 v[6:9], v1 offset:1136
	scratch_load_b128 v[147:150], off, off offset:480
	s_wait_loadcnt_dscnt 0x901
	v_mul_f64_e32 v[155:156], v[2:3], v[40:41]
	v_mul_f64_e32 v[40:41], v[4:5], v[40:41]
	v_add_f64_e32 v[151:152], v[151:152], v[163:164]
	v_add_f64_e32 v[153:154], v[153:154], v[157:158]
	s_wait_loadcnt_dscnt 0x800
	v_mul_f64_e32 v[157:158], v[6:7], v[145:146]
	v_mul_f64_e32 v[145:146], v[8:9], v[145:146]
	v_fma_f64 v[155:156], v[4:5], v[38:39], v[155:156]
	v_fma_f64 v[163:164], v[2:3], v[38:39], -v[40:41]
	ds_load_b128 v[2:5], v1 offset:1152
	scratch_load_b128 v[38:41], off, off offset:496
	v_add_f64_e32 v[151:152], v[151:152], v[161:162]
	v_add_f64_e32 v[153:154], v[153:154], v[159:160]
	v_fma_f64 v[157:158], v[8:9], v[143:144], v[157:158]
	v_fma_f64 v[161:162], v[6:7], v[143:144], -v[145:146]
	ds_load_b128 v[6:9], v1 offset:1168
	s_wait_loadcnt_dscnt 0x801
	v_mul_f64_e32 v[159:160], v[2:3], v[12:13]
	v_mul_f64_e32 v[12:13], v[4:5], v[12:13]
	scratch_load_b128 v[143:146], off, off offset:512
	v_add_f64_e32 v[151:152], v[151:152], v[163:164]
	v_add_f64_e32 v[153:154], v[153:154], v[155:156]
	s_wait_loadcnt_dscnt 0x800
	v_mul_f64_e32 v[155:156], v[6:7], v[16:17]
	v_mul_f64_e32 v[16:17], v[8:9], v[16:17]
	v_fma_f64 v[159:160], v[4:5], v[10:11], v[159:160]
	v_fma_f64 v[163:164], v[2:3], v[10:11], -v[12:13]
	scratch_load_b128 v[10:13], off, off offset:528
	ds_load_b128 v[2:5], v1 offset:1184
	v_add_f64_e32 v[151:152], v[151:152], v[161:162]
	v_add_f64_e32 v[153:154], v[153:154], v[157:158]
	v_fma_f64 v[155:156], v[8:9], v[14:15], v[155:156]
	v_fma_f64 v[161:162], v[6:7], v[14:15], -v[16:17]
	ds_load_b128 v[6:9], v1 offset:1200
	s_wait_loadcnt_dscnt 0x801
	v_mul_f64_e32 v[157:158], v[2:3], v[20:21]
	v_mul_f64_e32 v[20:21], v[4:5], v[20:21]
	scratch_load_b128 v[14:17], off, off offset:544
	v_add_f64_e32 v[151:152], v[151:152], v[163:164]
	v_add_f64_e32 v[153:154], v[153:154], v[159:160]
	s_wait_loadcnt_dscnt 0x800
	v_mul_f64_e32 v[159:160], v[6:7], v[24:25]
	v_mul_f64_e32 v[24:25], v[8:9], v[24:25]
	v_fma_f64 v[157:158], v[4:5], v[18:19], v[157:158]
	v_fma_f64 v[163:164], v[2:3], v[18:19], -v[20:21]
	ds_load_b128 v[2:5], v1 offset:1216
	scratch_load_b128 v[18:21], off, off offset:560
	v_add_f64_e32 v[151:152], v[151:152], v[161:162]
	v_add_f64_e32 v[153:154], v[153:154], v[155:156]
	v_fma_f64 v[159:160], v[8:9], v[22:23], v[159:160]
	v_fma_f64 v[161:162], v[6:7], v[22:23], -v[24:25]
	ds_load_b128 v[6:9], v1 offset:1232
	s_wait_loadcnt_dscnt 0x801
	v_mul_f64_e32 v[155:156], v[2:3], v[28:29]
	v_mul_f64_e32 v[28:29], v[4:5], v[28:29]
	scratch_load_b128 v[22:25], off, off offset:576
	v_add_f64_e32 v[151:152], v[151:152], v[163:164]
	v_add_f64_e32 v[153:154], v[153:154], v[157:158]
	s_wait_loadcnt_dscnt 0x800
	v_mul_f64_e32 v[157:158], v[6:7], v[32:33]
	v_mul_f64_e32 v[32:33], v[8:9], v[32:33]
	v_fma_f64 v[155:156], v[4:5], v[26:27], v[155:156]
	v_fma_f64 v[163:164], v[2:3], v[26:27], -v[28:29]
	ds_load_b128 v[2:5], v1 offset:1248
	scratch_load_b128 v[26:29], off, off offset:592
	;; [unrolled: 18-line block ×4, first 2 shown]
	v_add_f64_e32 v[151:152], v[151:152], v[161:162]
	v_add_f64_e32 v[153:154], v[153:154], v[155:156]
	v_fma_f64 v[159:160], v[8:9], v[143:144], v[159:160]
	v_fma_f64 v[161:162], v[6:7], v[143:144], -v[145:146]
	ds_load_b128 v[6:9], v1 offset:1328
	s_wait_loadcnt_dscnt 0x801
	v_mul_f64_e32 v[155:156], v[2:3], v[12:13]
	v_mul_f64_e32 v[12:13], v[4:5], v[12:13]
	scratch_load_b128 v[143:146], off, off offset:672
	v_add_f64_e32 v[151:152], v[151:152], v[163:164]
	v_add_f64_e32 v[153:154], v[153:154], v[157:158]
	s_wait_loadcnt_dscnt 0x800
	v_mul_f64_e32 v[157:158], v[6:7], v[16:17]
	v_mul_f64_e32 v[16:17], v[8:9], v[16:17]
	v_fma_f64 v[155:156], v[4:5], v[10:11], v[155:156]
	v_fma_f64 v[163:164], v[2:3], v[10:11], -v[12:13]
	scratch_load_b128 v[10:13], off, off offset:688
	ds_load_b128 v[2:5], v1 offset:1344
	v_add_f64_e32 v[151:152], v[151:152], v[161:162]
	v_add_f64_e32 v[153:154], v[153:154], v[159:160]
	v_fma_f64 v[157:158], v[8:9], v[14:15], v[157:158]
	v_fma_f64 v[161:162], v[6:7], v[14:15], -v[16:17]
	ds_load_b128 v[6:9], v1 offset:1360
	s_wait_loadcnt_dscnt 0x801
	v_mul_f64_e32 v[159:160], v[2:3], v[20:21]
	v_mul_f64_e32 v[20:21], v[4:5], v[20:21]
	scratch_load_b128 v[14:17], off, off offset:704
	v_add_f64_e32 v[151:152], v[151:152], v[163:164]
	v_add_f64_e32 v[153:154], v[153:154], v[155:156]
	s_wait_loadcnt_dscnt 0x800
	v_mul_f64_e32 v[155:156], v[6:7], v[24:25]
	v_mul_f64_e32 v[24:25], v[8:9], v[24:25]
	v_fma_f64 v[159:160], v[4:5], v[18:19], v[159:160]
	v_fma_f64 v[163:164], v[2:3], v[18:19], -v[20:21]
	ds_load_b128 v[2:5], v1 offset:1376
	scratch_load_b128 v[18:21], off, off offset:720
	v_add_f64_e32 v[151:152], v[151:152], v[161:162]
	v_add_f64_e32 v[153:154], v[153:154], v[157:158]
	v_fma_f64 v[155:156], v[8:9], v[22:23], v[155:156]
	v_fma_f64 v[161:162], v[6:7], v[22:23], -v[24:25]
	ds_load_b128 v[6:9], v1 offset:1392
	s_wait_loadcnt_dscnt 0x801
	v_mul_f64_e32 v[157:158], v[2:3], v[28:29]
	v_mul_f64_e32 v[28:29], v[4:5], v[28:29]
	scratch_load_b128 v[22:25], off, off offset:736
	v_add_f64_e32 v[151:152], v[151:152], v[163:164]
	v_add_f64_e32 v[153:154], v[153:154], v[159:160]
	s_wait_loadcnt_dscnt 0x800
	v_mul_f64_e32 v[159:160], v[6:7], v[32:33]
	v_mul_f64_e32 v[32:33], v[8:9], v[32:33]
	v_fma_f64 v[157:158], v[4:5], v[26:27], v[157:158]
	v_fma_f64 v[163:164], v[2:3], v[26:27], -v[28:29]
	ds_load_b128 v[2:5], v1 offset:1408
	scratch_load_b128 v[26:29], off, off offset:752
	;; [unrolled: 18-line block ×3, first 2 shown]
	v_add_f64_e32 v[151:152], v[151:152], v[161:162]
	v_add_f64_e32 v[153:154], v[153:154], v[159:160]
	v_fma_f64 v[157:158], v[8:9], v[147:148], v[157:158]
	v_fma_f64 v[161:162], v[6:7], v[147:148], -v[149:150]
	ds_load_b128 v[6:9], v1 offset:1456
	s_wait_loadcnt_dscnt 0x801
	v_mul_f64_e32 v[159:160], v[2:3], v[40:41]
	v_mul_f64_e32 v[40:41], v[4:5], v[40:41]
	scratch_load_b128 v[147:150], off, off offset:800
	v_add_f64_e32 v[151:152], v[151:152], v[163:164]
	v_add_f64_e32 v[153:154], v[153:154], v[155:156]
	v_fma_f64 v[159:160], v[4:5], v[38:39], v[159:160]
	v_fma_f64 v[38:39], v[2:3], v[38:39], -v[40:41]
	ds_load_b128 v[2:5], v1 offset:1472
	v_add_f64_e32 v[40:41], v[151:152], v[161:162]
	v_add_f64_e32 v[151:152], v[153:154], v[157:158]
	s_wait_loadcnt_dscnt 0x700
	v_mul_f64_e32 v[153:154], v[2:3], v[12:13]
	v_mul_f64_e32 v[12:13], v[4:5], v[12:13]
	s_delay_alu instid0(VALU_DEP_4) | instskip(NEXT) | instid1(VALU_DEP_4)
	v_add_f64_e32 v[38:39], v[40:41], v[38:39]
	v_add_f64_e32 v[40:41], v[151:152], v[159:160]
	s_delay_alu instid0(VALU_DEP_4) | instskip(NEXT) | instid1(VALU_DEP_4)
	v_fma_f64 v[151:152], v[4:5], v[10:11], v[153:154]
	v_fma_f64 v[153:154], v[2:3], v[10:11], -v[12:13]
	scratch_load_b128 v[10:13], off, off offset:160
	v_mul_f64_e32 v[155:156], v[6:7], v[145:146]
	v_mul_f64_e32 v[145:146], v[8:9], v[145:146]
	ds_load_b128 v[2:5], v1 offset:1504
	v_fma_f64 v[155:156], v[8:9], v[143:144], v[155:156]
	v_fma_f64 v[143:144], v[6:7], v[143:144], -v[145:146]
	ds_load_b128 v[6:9], v1 offset:1488
	s_wait_loadcnt_dscnt 0x700
	v_mul_f64_e32 v[145:146], v[6:7], v[16:17]
	v_mul_f64_e32 v[16:17], v[8:9], v[16:17]
	v_add_f64_e32 v[40:41], v[40:41], v[155:156]
	v_add_f64_e32 v[38:39], v[38:39], v[143:144]
	s_wait_loadcnt 0x6
	v_mul_f64_e32 v[143:144], v[2:3], v[20:21]
	v_mul_f64_e32 v[20:21], v[4:5], v[20:21]
	v_fma_f64 v[145:146], v[8:9], v[14:15], v[145:146]
	v_fma_f64 v[14:15], v[6:7], v[14:15], -v[16:17]
	ds_load_b128 v[6:9], v1 offset:1520
	v_add_f64_e32 v[16:17], v[38:39], v[153:154]
	v_add_f64_e32 v[38:39], v[40:41], v[151:152]
	v_fma_f64 v[143:144], v[4:5], v[18:19], v[143:144]
	v_fma_f64 v[18:19], v[2:3], v[18:19], -v[20:21]
	ds_load_b128 v[2:5], v1 offset:1536
	s_wait_loadcnt_dscnt 0x501
	v_mul_f64_e32 v[40:41], v[6:7], v[24:25]
	v_mul_f64_e32 v[24:25], v[8:9], v[24:25]
	s_wait_loadcnt_dscnt 0x400
	v_mul_f64_e32 v[20:21], v[2:3], v[28:29]
	v_mul_f64_e32 v[28:29], v[4:5], v[28:29]
	v_add_f64_e32 v[14:15], v[16:17], v[14:15]
	v_add_f64_e32 v[16:17], v[38:39], v[145:146]
	v_fma_f64 v[38:39], v[8:9], v[22:23], v[40:41]
	v_fma_f64 v[22:23], v[6:7], v[22:23], -v[24:25]
	ds_load_b128 v[6:9], v1 offset:1552
	v_fma_f64 v[20:21], v[4:5], v[26:27], v[20:21]
	v_fma_f64 v[26:27], v[2:3], v[26:27], -v[28:29]
	ds_load_b128 v[2:5], v1 offset:1568
	s_wait_loadcnt_dscnt 0x301
	v_mul_f64_e32 v[24:25], v[8:9], v[32:33]
	v_add_f64_e32 v[14:15], v[14:15], v[18:19]
	v_add_f64_e32 v[16:17], v[16:17], v[143:144]
	v_mul_f64_e32 v[18:19], v[6:7], v[32:33]
	s_wait_loadcnt_dscnt 0x200
	v_mul_f64_e32 v[28:29], v[4:5], v[36:37]
	v_fma_f64 v[24:25], v[6:7], v[30:31], -v[24:25]
	v_add_f64_e32 v[14:15], v[14:15], v[22:23]
	v_add_f64_e32 v[16:17], v[16:17], v[38:39]
	v_mul_f64_e32 v[22:23], v[2:3], v[36:37]
	v_fma_f64 v[18:19], v[8:9], v[30:31], v[18:19]
	ds_load_b128 v[6:9], v1 offset:1584
	v_fma_f64 v[1:2], v[2:3], v[34:35], -v[28:29]
	v_add_f64_e32 v[14:15], v[14:15], v[26:27]
	v_add_f64_e32 v[16:17], v[16:17], v[20:21]
	s_wait_loadcnt_dscnt 0x100
	v_mul_f64_e32 v[20:21], v[6:7], v[149:150]
	v_mul_f64_e32 v[26:27], v[8:9], v[149:150]
	v_fma_f64 v[4:5], v[4:5], v[34:35], v[22:23]
	v_add_f64_e32 v[14:15], v[14:15], v[24:25]
	v_add_f64_e32 v[16:17], v[16:17], v[18:19]
	v_fma_f64 v[8:9], v[8:9], v[147:148], v[20:21]
	v_fma_f64 v[6:7], v[6:7], v[147:148], -v[26:27]
	s_delay_alu instid0(VALU_DEP_4) | instskip(NEXT) | instid1(VALU_DEP_4)
	v_add_f64_e32 v[1:2], v[14:15], v[1:2]
	v_add_f64_e32 v[3:4], v[16:17], v[4:5]
	s_delay_alu instid0(VALU_DEP_2) | instskip(NEXT) | instid1(VALU_DEP_2)
	v_add_f64_e32 v[1:2], v[1:2], v[6:7]
	v_add_f64_e32 v[3:4], v[3:4], v[8:9]
	s_wait_loadcnt 0x0
	s_delay_alu instid0(VALU_DEP_2) | instskip(NEXT) | instid1(VALU_DEP_2)
	v_add_f64_e64 v[1:2], v[10:11], -v[1:2]
	v_add_f64_e64 v[3:4], v[12:13], -v[3:4]
	scratch_store_b128 off, v[1:4], off offset:160
	v_cmpx_lt_u32_e32 8, v0
	s_cbranch_execz .LBB113_297
; %bb.296:
	scratch_load_b128 v[1:4], off, s55
	v_mov_b32_e32 v5, 0
	s_delay_alu instid0(VALU_DEP_1)
	v_dual_mov_b32 v6, v5 :: v_dual_mov_b32 v7, v5
	v_mov_b32_e32 v8, v5
	scratch_store_b128 off, v[5:8], off offset:144
	s_wait_loadcnt 0x0
	ds_store_b128 v142, v[1:4]
.LBB113_297:
	s_wait_alu 0xfffe
	s_or_b32 exec_lo, exec_lo, s0
	s_wait_storecnt_dscnt 0x0
	s_barrier_signal -1
	s_barrier_wait -1
	global_inv scope:SCOPE_SE
	s_clause 0x7
	scratch_load_b128 v[2:5], off, off offset:160
	scratch_load_b128 v[6:9], off, off offset:176
	;; [unrolled: 1-line block ×8, first 2 shown]
	v_mov_b32_e32 v1, 0
	s_clause 0x1
	scratch_load_b128 v[34:37], off, off offset:288
	scratch_load_b128 v[147:150], off, off offset:304
	s_mov_b32 s0, exec_lo
	ds_load_b128 v[38:41], v1 offset:944
	ds_load_b128 v[143:146], v1 offset:960
	s_wait_loadcnt_dscnt 0x901
	v_mul_f64_e32 v[151:152], v[40:41], v[4:5]
	v_mul_f64_e32 v[4:5], v[38:39], v[4:5]
	s_wait_loadcnt_dscnt 0x800
	v_mul_f64_e32 v[153:154], v[143:144], v[8:9]
	v_mul_f64_e32 v[8:9], v[145:146], v[8:9]
	s_delay_alu instid0(VALU_DEP_4) | instskip(NEXT) | instid1(VALU_DEP_4)
	v_fma_f64 v[151:152], v[38:39], v[2:3], -v[151:152]
	v_fma_f64 v[155:156], v[40:41], v[2:3], v[4:5]
	ds_load_b128 v[2:5], v1 offset:976
	scratch_load_b128 v[38:41], off, off offset:320
	v_fma_f64 v[153:154], v[145:146], v[6:7], v[153:154]
	v_fma_f64 v[159:160], v[143:144], v[6:7], -v[8:9]
	ds_load_b128 v[6:9], v1 offset:992
	scratch_load_b128 v[143:146], off, off offset:336
	s_wait_loadcnt_dscnt 0x901
	v_mul_f64_e32 v[157:158], v[2:3], v[12:13]
	v_mul_f64_e32 v[12:13], v[4:5], v[12:13]
	s_wait_loadcnt_dscnt 0x800
	v_mul_f64_e32 v[161:162], v[6:7], v[16:17]
	v_mul_f64_e32 v[16:17], v[8:9], v[16:17]
	v_add_f64_e32 v[151:152], 0, v[151:152]
	v_add_f64_e32 v[155:156], 0, v[155:156]
	v_fma_f64 v[157:158], v[4:5], v[10:11], v[157:158]
	v_fma_f64 v[163:164], v[2:3], v[10:11], -v[12:13]
	ds_load_b128 v[2:5], v1 offset:1008
	scratch_load_b128 v[10:13], off, off offset:352
	v_add_f64_e32 v[151:152], v[151:152], v[159:160]
	v_add_f64_e32 v[153:154], v[155:156], v[153:154]
	v_fma_f64 v[159:160], v[8:9], v[14:15], v[161:162]
	v_fma_f64 v[161:162], v[6:7], v[14:15], -v[16:17]
	ds_load_b128 v[6:9], v1 offset:1024
	scratch_load_b128 v[14:17], off, off offset:368
	s_wait_loadcnt_dscnt 0x901
	v_mul_f64_e32 v[155:156], v[2:3], v[20:21]
	v_mul_f64_e32 v[20:21], v[4:5], v[20:21]
	v_add_f64_e32 v[151:152], v[151:152], v[163:164]
	v_add_f64_e32 v[153:154], v[153:154], v[157:158]
	s_wait_loadcnt_dscnt 0x800
	v_mul_f64_e32 v[157:158], v[6:7], v[24:25]
	v_mul_f64_e32 v[24:25], v[8:9], v[24:25]
	v_fma_f64 v[155:156], v[4:5], v[18:19], v[155:156]
	v_fma_f64 v[163:164], v[2:3], v[18:19], -v[20:21]
	ds_load_b128 v[2:5], v1 offset:1040
	scratch_load_b128 v[18:21], off, off offset:384
	v_add_f64_e32 v[151:152], v[151:152], v[161:162]
	v_add_f64_e32 v[153:154], v[153:154], v[159:160]
	v_fma_f64 v[157:158], v[8:9], v[22:23], v[157:158]
	v_fma_f64 v[161:162], v[6:7], v[22:23], -v[24:25]
	ds_load_b128 v[6:9], v1 offset:1056
	s_wait_loadcnt_dscnt 0x801
	v_mul_f64_e32 v[159:160], v[2:3], v[28:29]
	v_mul_f64_e32 v[28:29], v[4:5], v[28:29]
	scratch_load_b128 v[22:25], off, off offset:400
	v_add_f64_e32 v[151:152], v[151:152], v[163:164]
	v_add_f64_e32 v[153:154], v[153:154], v[155:156]
	s_wait_loadcnt_dscnt 0x800
	v_mul_f64_e32 v[155:156], v[6:7], v[32:33]
	v_mul_f64_e32 v[32:33], v[8:9], v[32:33]
	v_fma_f64 v[159:160], v[4:5], v[26:27], v[159:160]
	v_fma_f64 v[163:164], v[2:3], v[26:27], -v[28:29]
	ds_load_b128 v[2:5], v1 offset:1072
	scratch_load_b128 v[26:29], off, off offset:416
	v_add_f64_e32 v[151:152], v[151:152], v[161:162]
	v_add_f64_e32 v[153:154], v[153:154], v[157:158]
	v_fma_f64 v[155:156], v[8:9], v[30:31], v[155:156]
	v_fma_f64 v[161:162], v[6:7], v[30:31], -v[32:33]
	ds_load_b128 v[6:9], v1 offset:1088
	s_wait_loadcnt_dscnt 0x801
	v_mul_f64_e32 v[157:158], v[2:3], v[36:37]
	v_mul_f64_e32 v[36:37], v[4:5], v[36:37]
	scratch_load_b128 v[30:33], off, off offset:432
	v_add_f64_e32 v[151:152], v[151:152], v[163:164]
	v_add_f64_e32 v[153:154], v[153:154], v[159:160]
	s_wait_loadcnt_dscnt 0x800
	v_mul_f64_e32 v[159:160], v[6:7], v[149:150]
	v_mul_f64_e32 v[149:150], v[8:9], v[149:150]
	v_fma_f64 v[157:158], v[4:5], v[34:35], v[157:158]
	v_fma_f64 v[163:164], v[2:3], v[34:35], -v[36:37]
	ds_load_b128 v[2:5], v1 offset:1104
	scratch_load_b128 v[34:37], off, off offset:448
	v_add_f64_e32 v[151:152], v[151:152], v[161:162]
	v_add_f64_e32 v[153:154], v[153:154], v[155:156]
	v_fma_f64 v[159:160], v[8:9], v[147:148], v[159:160]
	v_fma_f64 v[161:162], v[6:7], v[147:148], -v[149:150]
	ds_load_b128 v[6:9], v1 offset:1120
	scratch_load_b128 v[147:150], off, off offset:464
	s_wait_loadcnt_dscnt 0x901
	v_mul_f64_e32 v[155:156], v[2:3], v[40:41]
	v_mul_f64_e32 v[40:41], v[4:5], v[40:41]
	v_add_f64_e32 v[151:152], v[151:152], v[163:164]
	v_add_f64_e32 v[153:154], v[153:154], v[157:158]
	s_wait_loadcnt_dscnt 0x800
	v_mul_f64_e32 v[157:158], v[6:7], v[145:146]
	v_mul_f64_e32 v[145:146], v[8:9], v[145:146]
	v_fma_f64 v[155:156], v[4:5], v[38:39], v[155:156]
	v_fma_f64 v[163:164], v[2:3], v[38:39], -v[40:41]
	ds_load_b128 v[2:5], v1 offset:1136
	scratch_load_b128 v[38:41], off, off offset:480
	v_add_f64_e32 v[151:152], v[151:152], v[161:162]
	v_add_f64_e32 v[153:154], v[153:154], v[159:160]
	v_fma_f64 v[157:158], v[8:9], v[143:144], v[157:158]
	v_fma_f64 v[161:162], v[6:7], v[143:144], -v[145:146]
	ds_load_b128 v[6:9], v1 offset:1152
	s_wait_loadcnt_dscnt 0x801
	v_mul_f64_e32 v[159:160], v[2:3], v[12:13]
	v_mul_f64_e32 v[12:13], v[4:5], v[12:13]
	scratch_load_b128 v[143:146], off, off offset:496
	v_add_f64_e32 v[151:152], v[151:152], v[163:164]
	v_add_f64_e32 v[153:154], v[153:154], v[155:156]
	s_wait_loadcnt_dscnt 0x800
	v_mul_f64_e32 v[155:156], v[6:7], v[16:17]
	v_mul_f64_e32 v[16:17], v[8:9], v[16:17]
	v_fma_f64 v[159:160], v[4:5], v[10:11], v[159:160]
	v_fma_f64 v[163:164], v[2:3], v[10:11], -v[12:13]
	ds_load_b128 v[2:5], v1 offset:1168
	scratch_load_b128 v[10:13], off, off offset:512
	v_add_f64_e32 v[151:152], v[151:152], v[161:162]
	v_add_f64_e32 v[153:154], v[153:154], v[157:158]
	v_fma_f64 v[155:156], v[8:9], v[14:15], v[155:156]
	v_fma_f64 v[161:162], v[6:7], v[14:15], -v[16:17]
	ds_load_b128 v[6:9], v1 offset:1184
	s_wait_loadcnt_dscnt 0x801
	v_mul_f64_e32 v[157:158], v[2:3], v[20:21]
	v_mul_f64_e32 v[20:21], v[4:5], v[20:21]
	scratch_load_b128 v[14:17], off, off offset:528
	;; [unrolled: 18-line block ×10, first 2 shown]
	v_add_f64_e32 v[151:152], v[151:152], v[163:164]
	v_add_f64_e32 v[153:154], v[153:154], v[155:156]
	s_wait_loadcnt_dscnt 0x800
	v_mul_f64_e32 v[155:156], v[6:7], v[145:146]
	v_mul_f64_e32 v[145:146], v[8:9], v[145:146]
	v_fma_f64 v[159:160], v[4:5], v[38:39], v[159:160]
	v_fma_f64 v[163:164], v[2:3], v[38:39], -v[40:41]
	ds_load_b128 v[2:5], v1 offset:1456
	scratch_load_b128 v[38:41], off, off offset:800
	v_add_f64_e32 v[151:152], v[151:152], v[161:162]
	v_add_f64_e32 v[153:154], v[153:154], v[157:158]
	v_fma_f64 v[155:156], v[8:9], v[143:144], v[155:156]
	v_fma_f64 v[143:144], v[6:7], v[143:144], -v[145:146]
	ds_load_b128 v[6:9], v1 offset:1472
	s_wait_loadcnt_dscnt 0x801
	v_mul_f64_e32 v[157:158], v[2:3], v[12:13]
	v_mul_f64_e32 v[12:13], v[4:5], v[12:13]
	v_add_f64_e32 v[145:146], v[151:152], v[163:164]
	v_add_f64_e32 v[151:152], v[153:154], v[159:160]
	s_wait_loadcnt_dscnt 0x700
	v_mul_f64_e32 v[153:154], v[6:7], v[16:17]
	v_mul_f64_e32 v[16:17], v[8:9], v[16:17]
	v_fma_f64 v[157:158], v[4:5], v[10:11], v[157:158]
	v_fma_f64 v[10:11], v[2:3], v[10:11], -v[12:13]
	ds_load_b128 v[2:5], v1 offset:1488
	v_add_f64_e32 v[12:13], v[145:146], v[143:144]
	v_add_f64_e32 v[143:144], v[151:152], v[155:156]
	v_fma_f64 v[151:152], v[8:9], v[14:15], v[153:154]
	v_fma_f64 v[14:15], v[6:7], v[14:15], -v[16:17]
	ds_load_b128 v[6:9], v1 offset:1504
	s_wait_loadcnt_dscnt 0x500
	v_mul_f64_e32 v[153:154], v[6:7], v[24:25]
	v_mul_f64_e32 v[24:25], v[8:9], v[24:25]
	v_add_f64_e32 v[16:17], v[12:13], v[10:11]
	v_add_f64_e32 v[143:144], v[143:144], v[157:158]
	scratch_load_b128 v[10:13], off, off offset:144
	v_mul_f64_e32 v[145:146], v[2:3], v[20:21]
	v_mul_f64_e32 v[20:21], v[4:5], v[20:21]
	v_add_f64_e32 v[14:15], v[16:17], v[14:15]
	v_add_f64_e32 v[16:17], v[143:144], v[151:152]
	v_fma_f64 v[143:144], v[8:9], v[22:23], v[153:154]
	v_fma_f64 v[145:146], v[4:5], v[18:19], v[145:146]
	v_fma_f64 v[18:19], v[2:3], v[18:19], -v[20:21]
	ds_load_b128 v[2:5], v1 offset:1520
	v_fma_f64 v[22:23], v[6:7], v[22:23], -v[24:25]
	ds_load_b128 v[6:9], v1 offset:1536
	s_wait_loadcnt_dscnt 0x501
	v_mul_f64_e32 v[20:21], v[2:3], v[28:29]
	v_mul_f64_e32 v[28:29], v[4:5], v[28:29]
	s_wait_loadcnt_dscnt 0x400
	v_mul_f64_e32 v[24:25], v[8:9], v[32:33]
	v_add_f64_e32 v[16:17], v[16:17], v[145:146]
	v_add_f64_e32 v[14:15], v[14:15], v[18:19]
	v_mul_f64_e32 v[18:19], v[6:7], v[32:33]
	v_fma_f64 v[20:21], v[4:5], v[26:27], v[20:21]
	v_fma_f64 v[26:27], v[2:3], v[26:27], -v[28:29]
	ds_load_b128 v[2:5], v1 offset:1552
	v_fma_f64 v[24:25], v[6:7], v[30:31], -v[24:25]
	v_add_f64_e32 v[16:17], v[16:17], v[143:144]
	v_add_f64_e32 v[14:15], v[14:15], v[22:23]
	v_fma_f64 v[18:19], v[8:9], v[30:31], v[18:19]
	ds_load_b128 v[6:9], v1 offset:1568
	s_wait_loadcnt_dscnt 0x301
	v_mul_f64_e32 v[22:23], v[2:3], v[36:37]
	v_mul_f64_e32 v[28:29], v[4:5], v[36:37]
	v_add_f64_e32 v[16:17], v[16:17], v[20:21]
	v_add_f64_e32 v[14:15], v[14:15], v[26:27]
	s_wait_loadcnt_dscnt 0x200
	v_mul_f64_e32 v[20:21], v[6:7], v[149:150]
	v_mul_f64_e32 v[26:27], v[8:9], v[149:150]
	v_fma_f64 v[22:23], v[4:5], v[34:35], v[22:23]
	v_fma_f64 v[28:29], v[2:3], v[34:35], -v[28:29]
	ds_load_b128 v[2:5], v1 offset:1584
	v_add_f64_e32 v[16:17], v[16:17], v[18:19]
	v_add_f64_e32 v[14:15], v[14:15], v[24:25]
	s_wait_loadcnt_dscnt 0x100
	v_mul_f64_e32 v[18:19], v[2:3], v[40:41]
	v_mul_f64_e32 v[24:25], v[4:5], v[40:41]
	v_fma_f64 v[8:9], v[8:9], v[147:148], v[20:21]
	v_fma_f64 v[6:7], v[6:7], v[147:148], -v[26:27]
	v_add_f64_e32 v[16:17], v[16:17], v[22:23]
	v_add_f64_e32 v[14:15], v[14:15], v[28:29]
	v_fma_f64 v[4:5], v[4:5], v[38:39], v[18:19]
	v_fma_f64 v[2:3], v[2:3], v[38:39], -v[24:25]
	s_delay_alu instid0(VALU_DEP_4) | instskip(NEXT) | instid1(VALU_DEP_4)
	v_add_f64_e32 v[8:9], v[16:17], v[8:9]
	v_add_f64_e32 v[6:7], v[14:15], v[6:7]
	s_delay_alu instid0(VALU_DEP_2) | instskip(NEXT) | instid1(VALU_DEP_2)
	v_add_f64_e32 v[4:5], v[8:9], v[4:5]
	v_add_f64_e32 v[2:3], v[6:7], v[2:3]
	s_wait_loadcnt 0x0
	s_delay_alu instid0(VALU_DEP_2) | instskip(NEXT) | instid1(VALU_DEP_2)
	v_add_f64_e64 v[4:5], v[12:13], -v[4:5]
	v_add_f64_e64 v[2:3], v[10:11], -v[2:3]
	scratch_store_b128 off, v[2:5], off offset:144
	v_cmpx_lt_u32_e32 7, v0
	s_cbranch_execz .LBB113_299
; %bb.298:
	scratch_load_b128 v[5:8], off, s56
	v_dual_mov_b32 v2, v1 :: v_dual_mov_b32 v3, v1
	v_mov_b32_e32 v4, v1
	scratch_store_b128 off, v[1:4], off offset:128
	s_wait_loadcnt 0x0
	ds_store_b128 v142, v[5:8]
.LBB113_299:
	s_wait_alu 0xfffe
	s_or_b32 exec_lo, exec_lo, s0
	s_wait_storecnt_dscnt 0x0
	s_barrier_signal -1
	s_barrier_wait -1
	global_inv scope:SCOPE_SE
	s_clause 0x7
	scratch_load_b128 v[2:5], off, off offset:144
	scratch_load_b128 v[6:9], off, off offset:160
	scratch_load_b128 v[10:13], off, off offset:176
	scratch_load_b128 v[14:17], off, off offset:192
	scratch_load_b128 v[18:21], off, off offset:208
	scratch_load_b128 v[22:25], off, off offset:224
	scratch_load_b128 v[26:29], off, off offset:240
	scratch_load_b128 v[30:33], off, off offset:256
	ds_load_b128 v[38:41], v1 offset:928
	ds_load_b128 v[143:146], v1 offset:944
	s_clause 0x1
	scratch_load_b128 v[34:37], off, off offset:272
	scratch_load_b128 v[147:150], off, off offset:288
	s_mov_b32 s0, exec_lo
	s_wait_loadcnt_dscnt 0x901
	v_mul_f64_e32 v[151:152], v[40:41], v[4:5]
	v_mul_f64_e32 v[4:5], v[38:39], v[4:5]
	s_wait_loadcnt_dscnt 0x800
	v_mul_f64_e32 v[153:154], v[143:144], v[8:9]
	v_mul_f64_e32 v[8:9], v[145:146], v[8:9]
	s_delay_alu instid0(VALU_DEP_4) | instskip(NEXT) | instid1(VALU_DEP_4)
	v_fma_f64 v[151:152], v[38:39], v[2:3], -v[151:152]
	v_fma_f64 v[155:156], v[40:41], v[2:3], v[4:5]
	ds_load_b128 v[2:5], v1 offset:960
	scratch_load_b128 v[38:41], off, off offset:304
	v_fma_f64 v[153:154], v[145:146], v[6:7], v[153:154]
	v_fma_f64 v[159:160], v[143:144], v[6:7], -v[8:9]
	ds_load_b128 v[6:9], v1 offset:976
	scratch_load_b128 v[143:146], off, off offset:320
	s_wait_loadcnt_dscnt 0x901
	v_mul_f64_e32 v[157:158], v[2:3], v[12:13]
	v_mul_f64_e32 v[12:13], v[4:5], v[12:13]
	s_wait_loadcnt_dscnt 0x800
	v_mul_f64_e32 v[161:162], v[6:7], v[16:17]
	v_mul_f64_e32 v[16:17], v[8:9], v[16:17]
	v_add_f64_e32 v[151:152], 0, v[151:152]
	v_add_f64_e32 v[155:156], 0, v[155:156]
	v_fma_f64 v[157:158], v[4:5], v[10:11], v[157:158]
	v_fma_f64 v[163:164], v[2:3], v[10:11], -v[12:13]
	ds_load_b128 v[2:5], v1 offset:992
	scratch_load_b128 v[10:13], off, off offset:336
	v_add_f64_e32 v[151:152], v[151:152], v[159:160]
	v_add_f64_e32 v[153:154], v[155:156], v[153:154]
	v_fma_f64 v[159:160], v[8:9], v[14:15], v[161:162]
	v_fma_f64 v[161:162], v[6:7], v[14:15], -v[16:17]
	ds_load_b128 v[6:9], v1 offset:1008
	scratch_load_b128 v[14:17], off, off offset:352
	s_wait_loadcnt_dscnt 0x901
	v_mul_f64_e32 v[155:156], v[2:3], v[20:21]
	v_mul_f64_e32 v[20:21], v[4:5], v[20:21]
	v_add_f64_e32 v[151:152], v[151:152], v[163:164]
	v_add_f64_e32 v[153:154], v[153:154], v[157:158]
	s_wait_loadcnt_dscnt 0x800
	v_mul_f64_e32 v[157:158], v[6:7], v[24:25]
	v_mul_f64_e32 v[24:25], v[8:9], v[24:25]
	v_fma_f64 v[155:156], v[4:5], v[18:19], v[155:156]
	v_fma_f64 v[163:164], v[2:3], v[18:19], -v[20:21]
	ds_load_b128 v[2:5], v1 offset:1024
	scratch_load_b128 v[18:21], off, off offset:368
	v_add_f64_e32 v[151:152], v[151:152], v[161:162]
	v_add_f64_e32 v[153:154], v[153:154], v[159:160]
	v_fma_f64 v[157:158], v[8:9], v[22:23], v[157:158]
	v_fma_f64 v[161:162], v[6:7], v[22:23], -v[24:25]
	ds_load_b128 v[6:9], v1 offset:1040
	s_wait_loadcnt_dscnt 0x801
	v_mul_f64_e32 v[159:160], v[2:3], v[28:29]
	v_mul_f64_e32 v[28:29], v[4:5], v[28:29]
	scratch_load_b128 v[22:25], off, off offset:384
	v_add_f64_e32 v[151:152], v[151:152], v[163:164]
	v_add_f64_e32 v[153:154], v[153:154], v[155:156]
	s_wait_loadcnt_dscnt 0x800
	v_mul_f64_e32 v[155:156], v[6:7], v[32:33]
	v_mul_f64_e32 v[32:33], v[8:9], v[32:33]
	v_fma_f64 v[159:160], v[4:5], v[26:27], v[159:160]
	v_fma_f64 v[163:164], v[2:3], v[26:27], -v[28:29]
	ds_load_b128 v[2:5], v1 offset:1056
	scratch_load_b128 v[26:29], off, off offset:400
	v_add_f64_e32 v[151:152], v[151:152], v[161:162]
	v_add_f64_e32 v[153:154], v[153:154], v[157:158]
	v_fma_f64 v[155:156], v[8:9], v[30:31], v[155:156]
	v_fma_f64 v[161:162], v[6:7], v[30:31], -v[32:33]
	ds_load_b128 v[6:9], v1 offset:1072
	s_wait_loadcnt_dscnt 0x801
	v_mul_f64_e32 v[157:158], v[2:3], v[36:37]
	v_mul_f64_e32 v[36:37], v[4:5], v[36:37]
	scratch_load_b128 v[30:33], off, off offset:416
	v_add_f64_e32 v[151:152], v[151:152], v[163:164]
	v_add_f64_e32 v[153:154], v[153:154], v[159:160]
	s_wait_loadcnt_dscnt 0x800
	v_mul_f64_e32 v[159:160], v[6:7], v[149:150]
	v_mul_f64_e32 v[149:150], v[8:9], v[149:150]
	v_fma_f64 v[157:158], v[4:5], v[34:35], v[157:158]
	v_fma_f64 v[163:164], v[2:3], v[34:35], -v[36:37]
	ds_load_b128 v[2:5], v1 offset:1088
	scratch_load_b128 v[34:37], off, off offset:432
	v_add_f64_e32 v[151:152], v[151:152], v[161:162]
	v_add_f64_e32 v[153:154], v[153:154], v[155:156]
	v_fma_f64 v[159:160], v[8:9], v[147:148], v[159:160]
	v_fma_f64 v[161:162], v[6:7], v[147:148], -v[149:150]
	ds_load_b128 v[6:9], v1 offset:1104
	scratch_load_b128 v[147:150], off, off offset:448
	s_wait_loadcnt_dscnt 0x901
	v_mul_f64_e32 v[155:156], v[2:3], v[40:41]
	v_mul_f64_e32 v[40:41], v[4:5], v[40:41]
	v_add_f64_e32 v[151:152], v[151:152], v[163:164]
	v_add_f64_e32 v[153:154], v[153:154], v[157:158]
	s_wait_loadcnt_dscnt 0x800
	v_mul_f64_e32 v[157:158], v[6:7], v[145:146]
	v_mul_f64_e32 v[145:146], v[8:9], v[145:146]
	v_fma_f64 v[155:156], v[4:5], v[38:39], v[155:156]
	v_fma_f64 v[163:164], v[2:3], v[38:39], -v[40:41]
	ds_load_b128 v[2:5], v1 offset:1120
	scratch_load_b128 v[38:41], off, off offset:464
	v_add_f64_e32 v[151:152], v[151:152], v[161:162]
	v_add_f64_e32 v[153:154], v[153:154], v[159:160]
	v_fma_f64 v[157:158], v[8:9], v[143:144], v[157:158]
	v_fma_f64 v[161:162], v[6:7], v[143:144], -v[145:146]
	ds_load_b128 v[6:9], v1 offset:1136
	s_wait_loadcnt_dscnt 0x801
	v_mul_f64_e32 v[159:160], v[2:3], v[12:13]
	v_mul_f64_e32 v[12:13], v[4:5], v[12:13]
	scratch_load_b128 v[143:146], off, off offset:480
	v_add_f64_e32 v[151:152], v[151:152], v[163:164]
	v_add_f64_e32 v[153:154], v[153:154], v[155:156]
	s_wait_loadcnt_dscnt 0x800
	v_mul_f64_e32 v[155:156], v[6:7], v[16:17]
	v_mul_f64_e32 v[16:17], v[8:9], v[16:17]
	v_fma_f64 v[159:160], v[4:5], v[10:11], v[159:160]
	v_fma_f64 v[163:164], v[2:3], v[10:11], -v[12:13]
	ds_load_b128 v[2:5], v1 offset:1152
	scratch_load_b128 v[10:13], off, off offset:496
	v_add_f64_e32 v[151:152], v[151:152], v[161:162]
	v_add_f64_e32 v[153:154], v[153:154], v[157:158]
	v_fma_f64 v[155:156], v[8:9], v[14:15], v[155:156]
	v_fma_f64 v[161:162], v[6:7], v[14:15], -v[16:17]
	ds_load_b128 v[6:9], v1 offset:1168
	s_wait_loadcnt_dscnt 0x801
	v_mul_f64_e32 v[157:158], v[2:3], v[20:21]
	v_mul_f64_e32 v[20:21], v[4:5], v[20:21]
	scratch_load_b128 v[14:17], off, off offset:512
	;; [unrolled: 18-line block ×11, first 2 shown]
	v_add_f64_e32 v[151:152], v[151:152], v[163:164]
	v_add_f64_e32 v[153:154], v[153:154], v[159:160]
	s_wait_loadcnt_dscnt 0x800
	v_mul_f64_e32 v[159:160], v[6:7], v[16:17]
	v_mul_f64_e32 v[16:17], v[8:9], v[16:17]
	v_fma_f64 v[157:158], v[4:5], v[10:11], v[157:158]
	v_fma_f64 v[10:11], v[2:3], v[10:11], -v[12:13]
	ds_load_b128 v[2:5], v1 offset:1472
	v_add_f64_e32 v[12:13], v[151:152], v[161:162]
	v_add_f64_e32 v[151:152], v[153:154], v[155:156]
	v_fma_f64 v[155:156], v[8:9], v[14:15], v[159:160]
	v_fma_f64 v[14:15], v[6:7], v[14:15], -v[16:17]
	ds_load_b128 v[6:9], v1 offset:1488
	s_wait_loadcnt_dscnt 0x701
	v_mul_f64_e32 v[153:154], v[2:3], v[20:21]
	v_mul_f64_e32 v[20:21], v[4:5], v[20:21]
	v_add_f64_e32 v[10:11], v[12:13], v[10:11]
	v_add_f64_e32 v[12:13], v[151:152], v[157:158]
	s_delay_alu instid0(VALU_DEP_4) | instskip(NEXT) | instid1(VALU_DEP_4)
	v_fma_f64 v[151:152], v[4:5], v[18:19], v[153:154]
	v_fma_f64 v[18:19], v[2:3], v[18:19], -v[20:21]
	ds_load_b128 v[2:5], v1 offset:1504
	v_add_f64_e32 v[14:15], v[10:11], v[14:15]
	v_add_f64_e32 v[20:21], v[12:13], v[155:156]
	scratch_load_b128 v[10:13], off, off offset:128
	s_wait_loadcnt_dscnt 0x701
	v_mul_f64_e32 v[16:17], v[6:7], v[24:25]
	v_mul_f64_e32 v[24:25], v[8:9], v[24:25]
	v_add_f64_e32 v[14:15], v[14:15], v[18:19]
	v_add_f64_e32 v[18:19], v[20:21], v[151:152]
	s_delay_alu instid0(VALU_DEP_4) | instskip(NEXT) | instid1(VALU_DEP_4)
	v_fma_f64 v[16:17], v[8:9], v[22:23], v[16:17]
	v_fma_f64 v[22:23], v[6:7], v[22:23], -v[24:25]
	ds_load_b128 v[6:9], v1 offset:1520
	s_wait_loadcnt_dscnt 0x601
	v_mul_f64_e32 v[153:154], v[2:3], v[28:29]
	v_mul_f64_e32 v[28:29], v[4:5], v[28:29]
	s_wait_loadcnt_dscnt 0x500
	v_mul_f64_e32 v[20:21], v[6:7], v[32:33]
	v_mul_f64_e32 v[24:25], v[8:9], v[32:33]
	v_add_f64_e32 v[16:17], v[18:19], v[16:17]
	v_add_f64_e32 v[14:15], v[14:15], v[22:23]
	v_fma_f64 v[32:33], v[4:5], v[26:27], v[153:154]
	v_fma_f64 v[26:27], v[2:3], v[26:27], -v[28:29]
	ds_load_b128 v[2:5], v1 offset:1536
	v_fma_f64 v[20:21], v[8:9], v[30:31], v[20:21]
	v_fma_f64 v[24:25], v[6:7], v[30:31], -v[24:25]
	ds_load_b128 v[6:9], v1 offset:1552
	s_wait_loadcnt_dscnt 0x401
	v_mul_f64_e32 v[18:19], v[2:3], v[36:37]
	v_mul_f64_e32 v[22:23], v[4:5], v[36:37]
	v_add_f64_e32 v[16:17], v[16:17], v[32:33]
	v_add_f64_e32 v[14:15], v[14:15], v[26:27]
	s_wait_loadcnt_dscnt 0x300
	v_mul_f64_e32 v[26:27], v[6:7], v[149:150]
	v_mul_f64_e32 v[28:29], v[8:9], v[149:150]
	v_fma_f64 v[18:19], v[4:5], v[34:35], v[18:19]
	v_fma_f64 v[22:23], v[2:3], v[34:35], -v[22:23]
	ds_load_b128 v[2:5], v1 offset:1568
	v_add_f64_e32 v[16:17], v[16:17], v[20:21]
	v_add_f64_e32 v[14:15], v[14:15], v[24:25]
	v_fma_f64 v[26:27], v[8:9], v[147:148], v[26:27]
	v_fma_f64 v[28:29], v[6:7], v[147:148], -v[28:29]
	ds_load_b128 v[6:9], v1 offset:1584
	s_wait_loadcnt_dscnt 0x201
	v_mul_f64_e32 v[20:21], v[2:3], v[40:41]
	v_mul_f64_e32 v[24:25], v[4:5], v[40:41]
	v_add_f64_e32 v[16:17], v[16:17], v[18:19]
	v_add_f64_e32 v[14:15], v[14:15], v[22:23]
	s_wait_loadcnt_dscnt 0x100
	v_mul_f64_e32 v[18:19], v[6:7], v[145:146]
	v_mul_f64_e32 v[22:23], v[8:9], v[145:146]
	v_fma_f64 v[4:5], v[4:5], v[38:39], v[20:21]
	v_fma_f64 v[1:2], v[2:3], v[38:39], -v[24:25]
	v_add_f64_e32 v[16:17], v[16:17], v[26:27]
	v_add_f64_e32 v[14:15], v[14:15], v[28:29]
	v_fma_f64 v[8:9], v[8:9], v[143:144], v[18:19]
	v_fma_f64 v[6:7], v[6:7], v[143:144], -v[22:23]
	s_delay_alu instid0(VALU_DEP_4) | instskip(NEXT) | instid1(VALU_DEP_4)
	v_add_f64_e32 v[3:4], v[16:17], v[4:5]
	v_add_f64_e32 v[1:2], v[14:15], v[1:2]
	s_delay_alu instid0(VALU_DEP_2) | instskip(NEXT) | instid1(VALU_DEP_2)
	v_add_f64_e32 v[3:4], v[3:4], v[8:9]
	v_add_f64_e32 v[1:2], v[1:2], v[6:7]
	s_wait_loadcnt 0x0
	s_delay_alu instid0(VALU_DEP_2) | instskip(NEXT) | instid1(VALU_DEP_2)
	v_add_f64_e64 v[3:4], v[12:13], -v[3:4]
	v_add_f64_e64 v[1:2], v[10:11], -v[1:2]
	scratch_store_b128 off, v[1:4], off offset:128
	v_cmpx_lt_u32_e32 6, v0
	s_cbranch_execz .LBB113_301
; %bb.300:
	scratch_load_b128 v[1:4], off, s57
	v_mov_b32_e32 v5, 0
	s_delay_alu instid0(VALU_DEP_1)
	v_dual_mov_b32 v6, v5 :: v_dual_mov_b32 v7, v5
	v_mov_b32_e32 v8, v5
	scratch_store_b128 off, v[5:8], off offset:112
	s_wait_loadcnt 0x0
	ds_store_b128 v142, v[1:4]
.LBB113_301:
	s_wait_alu 0xfffe
	s_or_b32 exec_lo, exec_lo, s0
	s_wait_storecnt_dscnt 0x0
	s_barrier_signal -1
	s_barrier_wait -1
	global_inv scope:SCOPE_SE
	s_clause 0x7
	scratch_load_b128 v[2:5], off, off offset:128
	scratch_load_b128 v[6:9], off, off offset:144
	;; [unrolled: 1-line block ×8, first 2 shown]
	v_mov_b32_e32 v1, 0
	s_clause 0x1
	scratch_load_b128 v[34:37], off, off offset:256
	scratch_load_b128 v[147:150], off, off offset:272
	s_mov_b32 s0, exec_lo
	ds_load_b128 v[38:41], v1 offset:912
	ds_load_b128 v[143:146], v1 offset:928
	s_wait_loadcnt_dscnt 0x901
	v_mul_f64_e32 v[151:152], v[40:41], v[4:5]
	v_mul_f64_e32 v[4:5], v[38:39], v[4:5]
	s_wait_loadcnt_dscnt 0x800
	v_mul_f64_e32 v[153:154], v[143:144], v[8:9]
	v_mul_f64_e32 v[8:9], v[145:146], v[8:9]
	s_delay_alu instid0(VALU_DEP_4) | instskip(NEXT) | instid1(VALU_DEP_4)
	v_fma_f64 v[151:152], v[38:39], v[2:3], -v[151:152]
	v_fma_f64 v[155:156], v[40:41], v[2:3], v[4:5]
	ds_load_b128 v[2:5], v1 offset:944
	scratch_load_b128 v[38:41], off, off offset:288
	v_fma_f64 v[153:154], v[145:146], v[6:7], v[153:154]
	v_fma_f64 v[159:160], v[143:144], v[6:7], -v[8:9]
	ds_load_b128 v[6:9], v1 offset:960
	scratch_load_b128 v[143:146], off, off offset:304
	s_wait_loadcnt_dscnt 0x901
	v_mul_f64_e32 v[157:158], v[2:3], v[12:13]
	v_mul_f64_e32 v[12:13], v[4:5], v[12:13]
	s_wait_loadcnt_dscnt 0x800
	v_mul_f64_e32 v[161:162], v[6:7], v[16:17]
	v_mul_f64_e32 v[16:17], v[8:9], v[16:17]
	v_add_f64_e32 v[151:152], 0, v[151:152]
	v_add_f64_e32 v[155:156], 0, v[155:156]
	v_fma_f64 v[157:158], v[4:5], v[10:11], v[157:158]
	v_fma_f64 v[163:164], v[2:3], v[10:11], -v[12:13]
	ds_load_b128 v[2:5], v1 offset:976
	scratch_load_b128 v[10:13], off, off offset:320
	v_add_f64_e32 v[151:152], v[151:152], v[159:160]
	v_add_f64_e32 v[153:154], v[155:156], v[153:154]
	v_fma_f64 v[159:160], v[8:9], v[14:15], v[161:162]
	v_fma_f64 v[161:162], v[6:7], v[14:15], -v[16:17]
	ds_load_b128 v[6:9], v1 offset:992
	scratch_load_b128 v[14:17], off, off offset:336
	s_wait_loadcnt_dscnt 0x901
	v_mul_f64_e32 v[155:156], v[2:3], v[20:21]
	v_mul_f64_e32 v[20:21], v[4:5], v[20:21]
	v_add_f64_e32 v[151:152], v[151:152], v[163:164]
	v_add_f64_e32 v[153:154], v[153:154], v[157:158]
	s_wait_loadcnt_dscnt 0x800
	v_mul_f64_e32 v[157:158], v[6:7], v[24:25]
	v_mul_f64_e32 v[24:25], v[8:9], v[24:25]
	v_fma_f64 v[155:156], v[4:5], v[18:19], v[155:156]
	v_fma_f64 v[163:164], v[2:3], v[18:19], -v[20:21]
	ds_load_b128 v[2:5], v1 offset:1008
	scratch_load_b128 v[18:21], off, off offset:352
	v_add_f64_e32 v[151:152], v[151:152], v[161:162]
	v_add_f64_e32 v[153:154], v[153:154], v[159:160]
	v_fma_f64 v[157:158], v[8:9], v[22:23], v[157:158]
	v_fma_f64 v[161:162], v[6:7], v[22:23], -v[24:25]
	ds_load_b128 v[6:9], v1 offset:1024
	s_wait_loadcnt_dscnt 0x801
	v_mul_f64_e32 v[159:160], v[2:3], v[28:29]
	v_mul_f64_e32 v[28:29], v[4:5], v[28:29]
	scratch_load_b128 v[22:25], off, off offset:368
	v_add_f64_e32 v[151:152], v[151:152], v[163:164]
	v_add_f64_e32 v[153:154], v[153:154], v[155:156]
	s_wait_loadcnt_dscnt 0x800
	v_mul_f64_e32 v[155:156], v[6:7], v[32:33]
	v_mul_f64_e32 v[32:33], v[8:9], v[32:33]
	v_fma_f64 v[159:160], v[4:5], v[26:27], v[159:160]
	v_fma_f64 v[163:164], v[2:3], v[26:27], -v[28:29]
	ds_load_b128 v[2:5], v1 offset:1040
	scratch_load_b128 v[26:29], off, off offset:384
	v_add_f64_e32 v[151:152], v[151:152], v[161:162]
	v_add_f64_e32 v[153:154], v[153:154], v[157:158]
	v_fma_f64 v[155:156], v[8:9], v[30:31], v[155:156]
	v_fma_f64 v[161:162], v[6:7], v[30:31], -v[32:33]
	ds_load_b128 v[6:9], v1 offset:1056
	s_wait_loadcnt_dscnt 0x801
	v_mul_f64_e32 v[157:158], v[2:3], v[36:37]
	v_mul_f64_e32 v[36:37], v[4:5], v[36:37]
	scratch_load_b128 v[30:33], off, off offset:400
	v_add_f64_e32 v[151:152], v[151:152], v[163:164]
	v_add_f64_e32 v[153:154], v[153:154], v[159:160]
	s_wait_loadcnt_dscnt 0x800
	v_mul_f64_e32 v[159:160], v[6:7], v[149:150]
	v_mul_f64_e32 v[149:150], v[8:9], v[149:150]
	v_fma_f64 v[157:158], v[4:5], v[34:35], v[157:158]
	v_fma_f64 v[163:164], v[2:3], v[34:35], -v[36:37]
	ds_load_b128 v[2:5], v1 offset:1072
	scratch_load_b128 v[34:37], off, off offset:416
	v_add_f64_e32 v[151:152], v[151:152], v[161:162]
	v_add_f64_e32 v[153:154], v[153:154], v[155:156]
	v_fma_f64 v[159:160], v[8:9], v[147:148], v[159:160]
	v_fma_f64 v[161:162], v[6:7], v[147:148], -v[149:150]
	ds_load_b128 v[6:9], v1 offset:1088
	scratch_load_b128 v[147:150], off, off offset:432
	s_wait_loadcnt_dscnt 0x901
	v_mul_f64_e32 v[155:156], v[2:3], v[40:41]
	v_mul_f64_e32 v[40:41], v[4:5], v[40:41]
	v_add_f64_e32 v[151:152], v[151:152], v[163:164]
	v_add_f64_e32 v[153:154], v[153:154], v[157:158]
	s_wait_loadcnt_dscnt 0x800
	v_mul_f64_e32 v[157:158], v[6:7], v[145:146]
	v_mul_f64_e32 v[145:146], v[8:9], v[145:146]
	v_fma_f64 v[155:156], v[4:5], v[38:39], v[155:156]
	v_fma_f64 v[163:164], v[2:3], v[38:39], -v[40:41]
	ds_load_b128 v[2:5], v1 offset:1104
	scratch_load_b128 v[38:41], off, off offset:448
	v_add_f64_e32 v[151:152], v[151:152], v[161:162]
	v_add_f64_e32 v[153:154], v[153:154], v[159:160]
	v_fma_f64 v[157:158], v[8:9], v[143:144], v[157:158]
	v_fma_f64 v[161:162], v[6:7], v[143:144], -v[145:146]
	ds_load_b128 v[6:9], v1 offset:1120
	s_wait_loadcnt_dscnt 0x801
	v_mul_f64_e32 v[159:160], v[2:3], v[12:13]
	v_mul_f64_e32 v[12:13], v[4:5], v[12:13]
	scratch_load_b128 v[143:146], off, off offset:464
	v_add_f64_e32 v[151:152], v[151:152], v[163:164]
	v_add_f64_e32 v[153:154], v[153:154], v[155:156]
	s_wait_loadcnt_dscnt 0x800
	v_mul_f64_e32 v[155:156], v[6:7], v[16:17]
	v_mul_f64_e32 v[16:17], v[8:9], v[16:17]
	v_fma_f64 v[159:160], v[4:5], v[10:11], v[159:160]
	v_fma_f64 v[163:164], v[2:3], v[10:11], -v[12:13]
	ds_load_b128 v[2:5], v1 offset:1136
	scratch_load_b128 v[10:13], off, off offset:480
	v_add_f64_e32 v[151:152], v[151:152], v[161:162]
	v_add_f64_e32 v[153:154], v[153:154], v[157:158]
	v_fma_f64 v[155:156], v[8:9], v[14:15], v[155:156]
	v_fma_f64 v[161:162], v[6:7], v[14:15], -v[16:17]
	ds_load_b128 v[6:9], v1 offset:1152
	s_wait_loadcnt_dscnt 0x801
	v_mul_f64_e32 v[157:158], v[2:3], v[20:21]
	v_mul_f64_e32 v[20:21], v[4:5], v[20:21]
	scratch_load_b128 v[14:17], off, off offset:496
	;; [unrolled: 18-line block ×11, first 2 shown]
	v_add_f64_e32 v[151:152], v[151:152], v[163:164]
	v_add_f64_e32 v[153:154], v[153:154], v[159:160]
	s_wait_loadcnt_dscnt 0x800
	v_mul_f64_e32 v[159:160], v[6:7], v[16:17]
	v_mul_f64_e32 v[16:17], v[8:9], v[16:17]
	v_fma_f64 v[157:158], v[4:5], v[10:11], v[157:158]
	v_fma_f64 v[163:164], v[2:3], v[10:11], -v[12:13]
	ds_load_b128 v[2:5], v1 offset:1456
	scratch_load_b128 v[10:13], off, off offset:800
	v_add_f64_e32 v[151:152], v[151:152], v[161:162]
	v_add_f64_e32 v[153:154], v[153:154], v[155:156]
	v_fma_f64 v[159:160], v[8:9], v[14:15], v[159:160]
	v_fma_f64 v[14:15], v[6:7], v[14:15], -v[16:17]
	ds_load_b128 v[6:9], v1 offset:1472
	s_wait_loadcnt_dscnt 0x801
	v_mul_f64_e32 v[155:156], v[2:3], v[20:21]
	v_mul_f64_e32 v[20:21], v[4:5], v[20:21]
	v_add_f64_e32 v[16:17], v[151:152], v[163:164]
	v_add_f64_e32 v[151:152], v[153:154], v[157:158]
	s_wait_loadcnt_dscnt 0x700
	v_mul_f64_e32 v[153:154], v[6:7], v[24:25]
	v_mul_f64_e32 v[24:25], v[8:9], v[24:25]
	v_fma_f64 v[155:156], v[4:5], v[18:19], v[155:156]
	v_fma_f64 v[18:19], v[2:3], v[18:19], -v[20:21]
	ds_load_b128 v[2:5], v1 offset:1488
	v_add_f64_e32 v[14:15], v[16:17], v[14:15]
	v_add_f64_e32 v[16:17], v[151:152], v[159:160]
	v_fma_f64 v[151:152], v[8:9], v[22:23], v[153:154]
	v_fma_f64 v[22:23], v[6:7], v[22:23], -v[24:25]
	ds_load_b128 v[6:9], v1 offset:1504
	s_wait_loadcnt_dscnt 0x500
	v_mul_f64_e32 v[153:154], v[6:7], v[32:33]
	v_mul_f64_e32 v[32:33], v[8:9], v[32:33]
	v_add_f64_e32 v[18:19], v[14:15], v[18:19]
	v_add_f64_e32 v[24:25], v[16:17], v[155:156]
	scratch_load_b128 v[14:17], off, off offset:112
	v_mul_f64_e32 v[20:21], v[2:3], v[28:29]
	v_mul_f64_e32 v[28:29], v[4:5], v[28:29]
	v_add_f64_e32 v[18:19], v[18:19], v[22:23]
	v_add_f64_e32 v[22:23], v[24:25], v[151:152]
	s_delay_alu instid0(VALU_DEP_4) | instskip(NEXT) | instid1(VALU_DEP_4)
	v_fma_f64 v[20:21], v[4:5], v[26:27], v[20:21]
	v_fma_f64 v[26:27], v[2:3], v[26:27], -v[28:29]
	ds_load_b128 v[2:5], v1 offset:1520
	s_wait_loadcnt_dscnt 0x500
	v_mul_f64_e32 v[24:25], v[2:3], v[36:37]
	v_mul_f64_e32 v[28:29], v[4:5], v[36:37]
	v_fma_f64 v[36:37], v[8:9], v[30:31], v[153:154]
	v_fma_f64 v[30:31], v[6:7], v[30:31], -v[32:33]
	ds_load_b128 v[6:9], v1 offset:1536
	v_add_f64_e32 v[20:21], v[22:23], v[20:21]
	v_add_f64_e32 v[18:19], v[18:19], v[26:27]
	v_fma_f64 v[24:25], v[4:5], v[34:35], v[24:25]
	v_fma_f64 v[28:29], v[2:3], v[34:35], -v[28:29]
	ds_load_b128 v[2:5], v1 offset:1552
	s_wait_loadcnt_dscnt 0x401
	v_mul_f64_e32 v[22:23], v[6:7], v[149:150]
	v_mul_f64_e32 v[26:27], v[8:9], v[149:150]
	v_add_f64_e32 v[20:21], v[20:21], v[36:37]
	v_add_f64_e32 v[18:19], v[18:19], v[30:31]
	s_wait_loadcnt_dscnt 0x300
	v_mul_f64_e32 v[30:31], v[2:3], v[40:41]
	v_mul_f64_e32 v[32:33], v[4:5], v[40:41]
	v_fma_f64 v[22:23], v[8:9], v[147:148], v[22:23]
	v_fma_f64 v[26:27], v[6:7], v[147:148], -v[26:27]
	ds_load_b128 v[6:9], v1 offset:1568
	v_add_f64_e32 v[20:21], v[20:21], v[24:25]
	v_add_f64_e32 v[18:19], v[18:19], v[28:29]
	v_fma_f64 v[30:31], v[4:5], v[38:39], v[30:31]
	v_fma_f64 v[32:33], v[2:3], v[38:39], -v[32:33]
	ds_load_b128 v[2:5], v1 offset:1584
	s_wait_loadcnt_dscnt 0x201
	v_mul_f64_e32 v[24:25], v[6:7], v[145:146]
	v_mul_f64_e32 v[28:29], v[8:9], v[145:146]
	v_add_f64_e32 v[20:21], v[20:21], v[22:23]
	v_add_f64_e32 v[18:19], v[18:19], v[26:27]
	s_wait_loadcnt_dscnt 0x100
	v_mul_f64_e32 v[22:23], v[2:3], v[12:13]
	v_mul_f64_e32 v[12:13], v[4:5], v[12:13]
	v_fma_f64 v[8:9], v[8:9], v[143:144], v[24:25]
	v_fma_f64 v[6:7], v[6:7], v[143:144], -v[28:29]
	v_add_f64_e32 v[20:21], v[20:21], v[30:31]
	v_add_f64_e32 v[18:19], v[18:19], v[32:33]
	v_fma_f64 v[4:5], v[4:5], v[10:11], v[22:23]
	v_fma_f64 v[2:3], v[2:3], v[10:11], -v[12:13]
	s_delay_alu instid0(VALU_DEP_4) | instskip(NEXT) | instid1(VALU_DEP_4)
	v_add_f64_e32 v[8:9], v[20:21], v[8:9]
	v_add_f64_e32 v[6:7], v[18:19], v[6:7]
	s_delay_alu instid0(VALU_DEP_2) | instskip(NEXT) | instid1(VALU_DEP_2)
	v_add_f64_e32 v[4:5], v[8:9], v[4:5]
	v_add_f64_e32 v[2:3], v[6:7], v[2:3]
	s_wait_loadcnt 0x0
	s_delay_alu instid0(VALU_DEP_2) | instskip(NEXT) | instid1(VALU_DEP_2)
	v_add_f64_e64 v[4:5], v[16:17], -v[4:5]
	v_add_f64_e64 v[2:3], v[14:15], -v[2:3]
	scratch_store_b128 off, v[2:5], off offset:112
	v_cmpx_lt_u32_e32 5, v0
	s_cbranch_execz .LBB113_303
; %bb.302:
	scratch_load_b128 v[5:8], off, s58
	v_dual_mov_b32 v2, v1 :: v_dual_mov_b32 v3, v1
	v_mov_b32_e32 v4, v1
	scratch_store_b128 off, v[1:4], off offset:96
	s_wait_loadcnt 0x0
	ds_store_b128 v142, v[5:8]
.LBB113_303:
	s_wait_alu 0xfffe
	s_or_b32 exec_lo, exec_lo, s0
	s_wait_storecnt_dscnt 0x0
	s_barrier_signal -1
	s_barrier_wait -1
	global_inv scope:SCOPE_SE
	s_clause 0x7
	scratch_load_b128 v[2:5], off, off offset:112
	scratch_load_b128 v[6:9], off, off offset:128
	scratch_load_b128 v[10:13], off, off offset:144
	scratch_load_b128 v[14:17], off, off offset:160
	scratch_load_b128 v[18:21], off, off offset:176
	scratch_load_b128 v[22:25], off, off offset:192
	scratch_load_b128 v[26:29], off, off offset:208
	scratch_load_b128 v[30:33], off, off offset:224
	ds_load_b128 v[38:41], v1 offset:896
	ds_load_b128 v[143:146], v1 offset:912
	s_clause 0x1
	scratch_load_b128 v[34:37], off, off offset:240
	scratch_load_b128 v[147:150], off, off offset:256
	s_mov_b32 s0, exec_lo
	s_wait_loadcnt_dscnt 0x901
	v_mul_f64_e32 v[151:152], v[40:41], v[4:5]
	v_mul_f64_e32 v[4:5], v[38:39], v[4:5]
	s_wait_loadcnt_dscnt 0x800
	v_mul_f64_e32 v[153:154], v[143:144], v[8:9]
	v_mul_f64_e32 v[8:9], v[145:146], v[8:9]
	s_delay_alu instid0(VALU_DEP_4) | instskip(NEXT) | instid1(VALU_DEP_4)
	v_fma_f64 v[151:152], v[38:39], v[2:3], -v[151:152]
	v_fma_f64 v[155:156], v[40:41], v[2:3], v[4:5]
	ds_load_b128 v[2:5], v1 offset:928
	scratch_load_b128 v[38:41], off, off offset:272
	v_fma_f64 v[153:154], v[145:146], v[6:7], v[153:154]
	v_fma_f64 v[159:160], v[143:144], v[6:7], -v[8:9]
	ds_load_b128 v[6:9], v1 offset:944
	scratch_load_b128 v[143:146], off, off offset:288
	s_wait_loadcnt_dscnt 0x901
	v_mul_f64_e32 v[157:158], v[2:3], v[12:13]
	v_mul_f64_e32 v[12:13], v[4:5], v[12:13]
	s_wait_loadcnt_dscnt 0x800
	v_mul_f64_e32 v[161:162], v[6:7], v[16:17]
	v_mul_f64_e32 v[16:17], v[8:9], v[16:17]
	v_add_f64_e32 v[151:152], 0, v[151:152]
	v_add_f64_e32 v[155:156], 0, v[155:156]
	v_fma_f64 v[157:158], v[4:5], v[10:11], v[157:158]
	v_fma_f64 v[163:164], v[2:3], v[10:11], -v[12:13]
	ds_load_b128 v[2:5], v1 offset:960
	scratch_load_b128 v[10:13], off, off offset:304
	v_add_f64_e32 v[151:152], v[151:152], v[159:160]
	v_add_f64_e32 v[153:154], v[155:156], v[153:154]
	v_fma_f64 v[159:160], v[8:9], v[14:15], v[161:162]
	v_fma_f64 v[161:162], v[6:7], v[14:15], -v[16:17]
	ds_load_b128 v[6:9], v1 offset:976
	scratch_load_b128 v[14:17], off, off offset:320
	s_wait_loadcnt_dscnt 0x901
	v_mul_f64_e32 v[155:156], v[2:3], v[20:21]
	v_mul_f64_e32 v[20:21], v[4:5], v[20:21]
	v_add_f64_e32 v[151:152], v[151:152], v[163:164]
	v_add_f64_e32 v[153:154], v[153:154], v[157:158]
	s_wait_loadcnt_dscnt 0x800
	v_mul_f64_e32 v[157:158], v[6:7], v[24:25]
	v_mul_f64_e32 v[24:25], v[8:9], v[24:25]
	v_fma_f64 v[155:156], v[4:5], v[18:19], v[155:156]
	v_fma_f64 v[163:164], v[2:3], v[18:19], -v[20:21]
	ds_load_b128 v[2:5], v1 offset:992
	scratch_load_b128 v[18:21], off, off offset:336
	v_add_f64_e32 v[151:152], v[151:152], v[161:162]
	v_add_f64_e32 v[153:154], v[153:154], v[159:160]
	v_fma_f64 v[157:158], v[8:9], v[22:23], v[157:158]
	v_fma_f64 v[161:162], v[6:7], v[22:23], -v[24:25]
	ds_load_b128 v[6:9], v1 offset:1008
	s_wait_loadcnt_dscnt 0x801
	v_mul_f64_e32 v[159:160], v[2:3], v[28:29]
	v_mul_f64_e32 v[28:29], v[4:5], v[28:29]
	scratch_load_b128 v[22:25], off, off offset:352
	v_add_f64_e32 v[151:152], v[151:152], v[163:164]
	v_add_f64_e32 v[153:154], v[153:154], v[155:156]
	s_wait_loadcnt_dscnt 0x800
	v_mul_f64_e32 v[155:156], v[6:7], v[32:33]
	v_mul_f64_e32 v[32:33], v[8:9], v[32:33]
	v_fma_f64 v[159:160], v[4:5], v[26:27], v[159:160]
	v_fma_f64 v[163:164], v[2:3], v[26:27], -v[28:29]
	ds_load_b128 v[2:5], v1 offset:1024
	scratch_load_b128 v[26:29], off, off offset:368
	v_add_f64_e32 v[151:152], v[151:152], v[161:162]
	v_add_f64_e32 v[153:154], v[153:154], v[157:158]
	v_fma_f64 v[155:156], v[8:9], v[30:31], v[155:156]
	v_fma_f64 v[161:162], v[6:7], v[30:31], -v[32:33]
	ds_load_b128 v[6:9], v1 offset:1040
	s_wait_loadcnt_dscnt 0x801
	v_mul_f64_e32 v[157:158], v[2:3], v[36:37]
	v_mul_f64_e32 v[36:37], v[4:5], v[36:37]
	scratch_load_b128 v[30:33], off, off offset:384
	v_add_f64_e32 v[151:152], v[151:152], v[163:164]
	v_add_f64_e32 v[153:154], v[153:154], v[159:160]
	s_wait_loadcnt_dscnt 0x800
	v_mul_f64_e32 v[159:160], v[6:7], v[149:150]
	v_mul_f64_e32 v[149:150], v[8:9], v[149:150]
	v_fma_f64 v[157:158], v[4:5], v[34:35], v[157:158]
	v_fma_f64 v[163:164], v[2:3], v[34:35], -v[36:37]
	ds_load_b128 v[2:5], v1 offset:1056
	scratch_load_b128 v[34:37], off, off offset:400
	v_add_f64_e32 v[151:152], v[151:152], v[161:162]
	v_add_f64_e32 v[153:154], v[153:154], v[155:156]
	v_fma_f64 v[159:160], v[8:9], v[147:148], v[159:160]
	v_fma_f64 v[161:162], v[6:7], v[147:148], -v[149:150]
	ds_load_b128 v[6:9], v1 offset:1072
	scratch_load_b128 v[147:150], off, off offset:416
	s_wait_loadcnt_dscnt 0x901
	v_mul_f64_e32 v[155:156], v[2:3], v[40:41]
	v_mul_f64_e32 v[40:41], v[4:5], v[40:41]
	v_add_f64_e32 v[151:152], v[151:152], v[163:164]
	v_add_f64_e32 v[153:154], v[153:154], v[157:158]
	s_wait_loadcnt_dscnt 0x800
	v_mul_f64_e32 v[157:158], v[6:7], v[145:146]
	v_mul_f64_e32 v[145:146], v[8:9], v[145:146]
	v_fma_f64 v[155:156], v[4:5], v[38:39], v[155:156]
	v_fma_f64 v[163:164], v[2:3], v[38:39], -v[40:41]
	ds_load_b128 v[2:5], v1 offset:1088
	scratch_load_b128 v[38:41], off, off offset:432
	v_add_f64_e32 v[151:152], v[151:152], v[161:162]
	v_add_f64_e32 v[153:154], v[153:154], v[159:160]
	v_fma_f64 v[157:158], v[8:9], v[143:144], v[157:158]
	v_fma_f64 v[161:162], v[6:7], v[143:144], -v[145:146]
	ds_load_b128 v[6:9], v1 offset:1104
	s_wait_loadcnt_dscnt 0x801
	v_mul_f64_e32 v[159:160], v[2:3], v[12:13]
	v_mul_f64_e32 v[12:13], v[4:5], v[12:13]
	scratch_load_b128 v[143:146], off, off offset:448
	v_add_f64_e32 v[151:152], v[151:152], v[163:164]
	v_add_f64_e32 v[153:154], v[153:154], v[155:156]
	s_wait_loadcnt_dscnt 0x800
	v_mul_f64_e32 v[155:156], v[6:7], v[16:17]
	v_mul_f64_e32 v[16:17], v[8:9], v[16:17]
	v_fma_f64 v[159:160], v[4:5], v[10:11], v[159:160]
	v_fma_f64 v[163:164], v[2:3], v[10:11], -v[12:13]
	ds_load_b128 v[2:5], v1 offset:1120
	scratch_load_b128 v[10:13], off, off offset:464
	v_add_f64_e32 v[151:152], v[151:152], v[161:162]
	v_add_f64_e32 v[153:154], v[153:154], v[157:158]
	v_fma_f64 v[155:156], v[8:9], v[14:15], v[155:156]
	v_fma_f64 v[161:162], v[6:7], v[14:15], -v[16:17]
	ds_load_b128 v[6:9], v1 offset:1136
	s_wait_loadcnt_dscnt 0x801
	v_mul_f64_e32 v[157:158], v[2:3], v[20:21]
	v_mul_f64_e32 v[20:21], v[4:5], v[20:21]
	scratch_load_b128 v[14:17], off, off offset:480
	v_add_f64_e32 v[151:152], v[151:152], v[163:164]
	v_add_f64_e32 v[153:154], v[153:154], v[159:160]
	s_wait_loadcnt_dscnt 0x800
	v_mul_f64_e32 v[159:160], v[6:7], v[24:25]
	v_mul_f64_e32 v[24:25], v[8:9], v[24:25]
	v_fma_f64 v[157:158], v[4:5], v[18:19], v[157:158]
	v_fma_f64 v[163:164], v[2:3], v[18:19], -v[20:21]
	ds_load_b128 v[2:5], v1 offset:1152
	scratch_load_b128 v[18:21], off, off offset:496
	v_add_f64_e32 v[151:152], v[151:152], v[161:162]
	v_add_f64_e32 v[153:154], v[153:154], v[155:156]
	v_fma_f64 v[159:160], v[8:9], v[22:23], v[159:160]
	v_fma_f64 v[161:162], v[6:7], v[22:23], -v[24:25]
	ds_load_b128 v[6:9], v1 offset:1168
	s_wait_loadcnt_dscnt 0x801
	v_mul_f64_e32 v[155:156], v[2:3], v[28:29]
	v_mul_f64_e32 v[28:29], v[4:5], v[28:29]
	scratch_load_b128 v[22:25], off, off offset:512
	v_add_f64_e32 v[151:152], v[151:152], v[163:164]
	v_add_f64_e32 v[153:154], v[153:154], v[157:158]
	s_wait_loadcnt_dscnt 0x800
	v_mul_f64_e32 v[157:158], v[6:7], v[32:33]
	v_mul_f64_e32 v[32:33], v[8:9], v[32:33]
	v_fma_f64 v[155:156], v[4:5], v[26:27], v[155:156]
	v_fma_f64 v[163:164], v[2:3], v[26:27], -v[28:29]
	ds_load_b128 v[2:5], v1 offset:1184
	scratch_load_b128 v[26:29], off, off offset:528
	v_add_f64_e32 v[151:152], v[151:152], v[161:162]
	v_add_f64_e32 v[153:154], v[153:154], v[159:160]
	v_fma_f64 v[157:158], v[8:9], v[30:31], v[157:158]
	v_fma_f64 v[161:162], v[6:7], v[30:31], -v[32:33]
	ds_load_b128 v[6:9], v1 offset:1200
	s_wait_loadcnt_dscnt 0x801
	v_mul_f64_e32 v[159:160], v[2:3], v[36:37]
	v_mul_f64_e32 v[36:37], v[4:5], v[36:37]
	scratch_load_b128 v[30:33], off, off offset:544
	v_add_f64_e32 v[151:152], v[151:152], v[163:164]
	v_add_f64_e32 v[153:154], v[153:154], v[155:156]
	s_wait_loadcnt_dscnt 0x800
	v_mul_f64_e32 v[155:156], v[6:7], v[149:150]
	v_mul_f64_e32 v[149:150], v[8:9], v[149:150]
	v_fma_f64 v[159:160], v[4:5], v[34:35], v[159:160]
	v_fma_f64 v[163:164], v[2:3], v[34:35], -v[36:37]
	ds_load_b128 v[2:5], v1 offset:1216
	scratch_load_b128 v[34:37], off, off offset:560
	v_add_f64_e32 v[151:152], v[151:152], v[161:162]
	v_add_f64_e32 v[153:154], v[153:154], v[157:158]
	v_fma_f64 v[155:156], v[8:9], v[147:148], v[155:156]
	v_fma_f64 v[161:162], v[6:7], v[147:148], -v[149:150]
	ds_load_b128 v[6:9], v1 offset:1232
	s_wait_loadcnt_dscnt 0x801
	v_mul_f64_e32 v[157:158], v[2:3], v[40:41]
	v_mul_f64_e32 v[40:41], v[4:5], v[40:41]
	scratch_load_b128 v[147:150], off, off offset:576
	v_add_f64_e32 v[151:152], v[151:152], v[163:164]
	v_add_f64_e32 v[153:154], v[153:154], v[159:160]
	s_wait_loadcnt_dscnt 0x800
	v_mul_f64_e32 v[159:160], v[6:7], v[145:146]
	v_mul_f64_e32 v[145:146], v[8:9], v[145:146]
	v_fma_f64 v[157:158], v[4:5], v[38:39], v[157:158]
	v_fma_f64 v[163:164], v[2:3], v[38:39], -v[40:41]
	ds_load_b128 v[2:5], v1 offset:1248
	scratch_load_b128 v[38:41], off, off offset:592
	v_add_f64_e32 v[151:152], v[151:152], v[161:162]
	v_add_f64_e32 v[153:154], v[153:154], v[155:156]
	v_fma_f64 v[159:160], v[8:9], v[143:144], v[159:160]
	v_fma_f64 v[161:162], v[6:7], v[143:144], -v[145:146]
	ds_load_b128 v[6:9], v1 offset:1264
	s_wait_loadcnt_dscnt 0x801
	v_mul_f64_e32 v[155:156], v[2:3], v[12:13]
	v_mul_f64_e32 v[12:13], v[4:5], v[12:13]
	scratch_load_b128 v[143:146], off, off offset:608
	v_add_f64_e32 v[151:152], v[151:152], v[163:164]
	v_add_f64_e32 v[153:154], v[153:154], v[157:158]
	s_wait_loadcnt_dscnt 0x800
	v_mul_f64_e32 v[157:158], v[6:7], v[16:17]
	v_mul_f64_e32 v[16:17], v[8:9], v[16:17]
	v_fma_f64 v[155:156], v[4:5], v[10:11], v[155:156]
	v_fma_f64 v[163:164], v[2:3], v[10:11], -v[12:13]
	ds_load_b128 v[2:5], v1 offset:1280
	scratch_load_b128 v[10:13], off, off offset:624
	v_add_f64_e32 v[151:152], v[151:152], v[161:162]
	v_add_f64_e32 v[153:154], v[153:154], v[159:160]
	v_fma_f64 v[157:158], v[8:9], v[14:15], v[157:158]
	v_fma_f64 v[161:162], v[6:7], v[14:15], -v[16:17]
	ds_load_b128 v[6:9], v1 offset:1296
	s_wait_loadcnt_dscnt 0x801
	v_mul_f64_e32 v[159:160], v[2:3], v[20:21]
	v_mul_f64_e32 v[20:21], v[4:5], v[20:21]
	scratch_load_b128 v[14:17], off, off offset:640
	v_add_f64_e32 v[151:152], v[151:152], v[163:164]
	v_add_f64_e32 v[153:154], v[153:154], v[155:156]
	s_wait_loadcnt_dscnt 0x800
	v_mul_f64_e32 v[155:156], v[6:7], v[24:25]
	v_mul_f64_e32 v[24:25], v[8:9], v[24:25]
	v_fma_f64 v[159:160], v[4:5], v[18:19], v[159:160]
	v_fma_f64 v[163:164], v[2:3], v[18:19], -v[20:21]
	ds_load_b128 v[2:5], v1 offset:1312
	scratch_load_b128 v[18:21], off, off offset:656
	v_add_f64_e32 v[151:152], v[151:152], v[161:162]
	v_add_f64_e32 v[153:154], v[153:154], v[157:158]
	v_fma_f64 v[155:156], v[8:9], v[22:23], v[155:156]
	v_fma_f64 v[161:162], v[6:7], v[22:23], -v[24:25]
	ds_load_b128 v[6:9], v1 offset:1328
	s_wait_loadcnt_dscnt 0x801
	v_mul_f64_e32 v[157:158], v[2:3], v[28:29]
	v_mul_f64_e32 v[28:29], v[4:5], v[28:29]
	scratch_load_b128 v[22:25], off, off offset:672
	v_add_f64_e32 v[151:152], v[151:152], v[163:164]
	v_add_f64_e32 v[153:154], v[153:154], v[159:160]
	s_wait_loadcnt_dscnt 0x800
	v_mul_f64_e32 v[159:160], v[6:7], v[32:33]
	v_mul_f64_e32 v[32:33], v[8:9], v[32:33]
	v_fma_f64 v[157:158], v[4:5], v[26:27], v[157:158]
	v_fma_f64 v[163:164], v[2:3], v[26:27], -v[28:29]
	ds_load_b128 v[2:5], v1 offset:1344
	scratch_load_b128 v[26:29], off, off offset:688
	v_add_f64_e32 v[151:152], v[151:152], v[161:162]
	v_add_f64_e32 v[153:154], v[153:154], v[155:156]
	v_fma_f64 v[159:160], v[8:9], v[30:31], v[159:160]
	v_fma_f64 v[161:162], v[6:7], v[30:31], -v[32:33]
	ds_load_b128 v[6:9], v1 offset:1360
	s_wait_loadcnt_dscnt 0x801
	v_mul_f64_e32 v[155:156], v[2:3], v[36:37]
	v_mul_f64_e32 v[36:37], v[4:5], v[36:37]
	scratch_load_b128 v[30:33], off, off offset:704
	v_add_f64_e32 v[151:152], v[151:152], v[163:164]
	v_add_f64_e32 v[153:154], v[153:154], v[157:158]
	s_wait_loadcnt_dscnt 0x800
	v_mul_f64_e32 v[157:158], v[6:7], v[149:150]
	v_mul_f64_e32 v[149:150], v[8:9], v[149:150]
	v_fma_f64 v[155:156], v[4:5], v[34:35], v[155:156]
	v_fma_f64 v[163:164], v[2:3], v[34:35], -v[36:37]
	ds_load_b128 v[2:5], v1 offset:1376
	scratch_load_b128 v[34:37], off, off offset:720
	v_add_f64_e32 v[151:152], v[151:152], v[161:162]
	v_add_f64_e32 v[153:154], v[153:154], v[159:160]
	v_fma_f64 v[157:158], v[8:9], v[147:148], v[157:158]
	v_fma_f64 v[161:162], v[6:7], v[147:148], -v[149:150]
	ds_load_b128 v[6:9], v1 offset:1392
	s_wait_loadcnt_dscnt 0x801
	v_mul_f64_e32 v[159:160], v[2:3], v[40:41]
	v_mul_f64_e32 v[40:41], v[4:5], v[40:41]
	scratch_load_b128 v[147:150], off, off offset:736
	v_add_f64_e32 v[151:152], v[151:152], v[163:164]
	v_add_f64_e32 v[153:154], v[153:154], v[155:156]
	s_wait_loadcnt_dscnt 0x800
	v_mul_f64_e32 v[155:156], v[6:7], v[145:146]
	v_mul_f64_e32 v[145:146], v[8:9], v[145:146]
	v_fma_f64 v[159:160], v[4:5], v[38:39], v[159:160]
	v_fma_f64 v[163:164], v[2:3], v[38:39], -v[40:41]
	ds_load_b128 v[2:5], v1 offset:1408
	scratch_load_b128 v[38:41], off, off offset:752
	v_add_f64_e32 v[151:152], v[151:152], v[161:162]
	v_add_f64_e32 v[153:154], v[153:154], v[157:158]
	v_fma_f64 v[155:156], v[8:9], v[143:144], v[155:156]
	v_fma_f64 v[161:162], v[6:7], v[143:144], -v[145:146]
	ds_load_b128 v[6:9], v1 offset:1424
	s_wait_loadcnt_dscnt 0x801
	v_mul_f64_e32 v[157:158], v[2:3], v[12:13]
	v_mul_f64_e32 v[12:13], v[4:5], v[12:13]
	scratch_load_b128 v[143:146], off, off offset:768
	v_add_f64_e32 v[151:152], v[151:152], v[163:164]
	v_add_f64_e32 v[153:154], v[153:154], v[159:160]
	s_wait_loadcnt_dscnt 0x800
	v_mul_f64_e32 v[159:160], v[6:7], v[16:17]
	v_mul_f64_e32 v[16:17], v[8:9], v[16:17]
	v_fma_f64 v[157:158], v[4:5], v[10:11], v[157:158]
	v_fma_f64 v[163:164], v[2:3], v[10:11], -v[12:13]
	ds_load_b128 v[2:5], v1 offset:1440
	scratch_load_b128 v[10:13], off, off offset:784
	v_add_f64_e32 v[151:152], v[151:152], v[161:162]
	v_add_f64_e32 v[153:154], v[153:154], v[155:156]
	v_fma_f64 v[159:160], v[8:9], v[14:15], v[159:160]
	v_fma_f64 v[161:162], v[6:7], v[14:15], -v[16:17]
	ds_load_b128 v[6:9], v1 offset:1456
	s_wait_loadcnt_dscnt 0x801
	v_mul_f64_e32 v[155:156], v[2:3], v[20:21]
	v_mul_f64_e32 v[20:21], v[4:5], v[20:21]
	scratch_load_b128 v[14:17], off, off offset:800
	v_add_f64_e32 v[151:152], v[151:152], v[163:164]
	v_add_f64_e32 v[153:154], v[153:154], v[157:158]
	s_wait_loadcnt_dscnt 0x800
	v_mul_f64_e32 v[157:158], v[6:7], v[24:25]
	v_mul_f64_e32 v[24:25], v[8:9], v[24:25]
	v_fma_f64 v[155:156], v[4:5], v[18:19], v[155:156]
	v_fma_f64 v[18:19], v[2:3], v[18:19], -v[20:21]
	ds_load_b128 v[2:5], v1 offset:1472
	v_add_f64_e32 v[20:21], v[151:152], v[161:162]
	v_add_f64_e32 v[151:152], v[153:154], v[159:160]
	v_fma_f64 v[157:158], v[8:9], v[22:23], v[157:158]
	v_fma_f64 v[22:23], v[6:7], v[22:23], -v[24:25]
	ds_load_b128 v[6:9], v1 offset:1488
	s_wait_loadcnt_dscnt 0x701
	v_mul_f64_e32 v[153:154], v[2:3], v[28:29]
	v_mul_f64_e32 v[28:29], v[4:5], v[28:29]
	v_add_f64_e32 v[18:19], v[20:21], v[18:19]
	v_add_f64_e32 v[20:21], v[151:152], v[155:156]
	s_delay_alu instid0(VALU_DEP_4) | instskip(NEXT) | instid1(VALU_DEP_4)
	v_fma_f64 v[151:152], v[4:5], v[26:27], v[153:154]
	v_fma_f64 v[26:27], v[2:3], v[26:27], -v[28:29]
	ds_load_b128 v[2:5], v1 offset:1504
	v_add_f64_e32 v[22:23], v[18:19], v[22:23]
	v_add_f64_e32 v[28:29], v[20:21], v[157:158]
	scratch_load_b128 v[18:21], off, off offset:96
	s_wait_loadcnt_dscnt 0x701
	v_mul_f64_e32 v[24:25], v[6:7], v[32:33]
	v_mul_f64_e32 v[32:33], v[8:9], v[32:33]
	v_add_f64_e32 v[22:23], v[22:23], v[26:27]
	v_add_f64_e32 v[26:27], v[28:29], v[151:152]
	s_delay_alu instid0(VALU_DEP_4) | instskip(NEXT) | instid1(VALU_DEP_4)
	v_fma_f64 v[24:25], v[8:9], v[30:31], v[24:25]
	v_fma_f64 v[30:31], v[6:7], v[30:31], -v[32:33]
	ds_load_b128 v[6:9], v1 offset:1520
	s_wait_loadcnt_dscnt 0x601
	v_mul_f64_e32 v[153:154], v[2:3], v[36:37]
	v_mul_f64_e32 v[36:37], v[4:5], v[36:37]
	s_wait_loadcnt_dscnt 0x500
	v_mul_f64_e32 v[28:29], v[6:7], v[149:150]
	v_mul_f64_e32 v[32:33], v[8:9], v[149:150]
	v_add_f64_e32 v[24:25], v[26:27], v[24:25]
	v_add_f64_e32 v[22:23], v[22:23], v[30:31]
	v_fma_f64 v[149:150], v[4:5], v[34:35], v[153:154]
	v_fma_f64 v[34:35], v[2:3], v[34:35], -v[36:37]
	ds_load_b128 v[2:5], v1 offset:1536
	v_fma_f64 v[28:29], v[8:9], v[147:148], v[28:29]
	v_fma_f64 v[32:33], v[6:7], v[147:148], -v[32:33]
	ds_load_b128 v[6:9], v1 offset:1552
	s_wait_loadcnt_dscnt 0x401
	v_mul_f64_e32 v[26:27], v[2:3], v[40:41]
	v_mul_f64_e32 v[30:31], v[4:5], v[40:41]
	v_add_f64_e32 v[24:25], v[24:25], v[149:150]
	v_add_f64_e32 v[22:23], v[22:23], v[34:35]
	s_wait_loadcnt_dscnt 0x300
	v_mul_f64_e32 v[34:35], v[6:7], v[145:146]
	v_mul_f64_e32 v[36:37], v[8:9], v[145:146]
	v_fma_f64 v[26:27], v[4:5], v[38:39], v[26:27]
	v_fma_f64 v[30:31], v[2:3], v[38:39], -v[30:31]
	ds_load_b128 v[2:5], v1 offset:1568
	v_add_f64_e32 v[24:25], v[24:25], v[28:29]
	v_add_f64_e32 v[22:23], v[22:23], v[32:33]
	v_fma_f64 v[32:33], v[8:9], v[143:144], v[34:35]
	v_fma_f64 v[34:35], v[6:7], v[143:144], -v[36:37]
	ds_load_b128 v[6:9], v1 offset:1584
	s_wait_loadcnt_dscnt 0x201
	v_mul_f64_e32 v[28:29], v[2:3], v[12:13]
	v_mul_f64_e32 v[12:13], v[4:5], v[12:13]
	v_add_f64_e32 v[24:25], v[24:25], v[26:27]
	v_add_f64_e32 v[22:23], v[22:23], v[30:31]
	s_wait_loadcnt_dscnt 0x100
	v_mul_f64_e32 v[26:27], v[6:7], v[16:17]
	v_mul_f64_e32 v[16:17], v[8:9], v[16:17]
	v_fma_f64 v[4:5], v[4:5], v[10:11], v[28:29]
	v_fma_f64 v[1:2], v[2:3], v[10:11], -v[12:13]
	v_add_f64_e32 v[12:13], v[24:25], v[32:33]
	v_add_f64_e32 v[10:11], v[22:23], v[34:35]
	v_fma_f64 v[8:9], v[8:9], v[14:15], v[26:27]
	v_fma_f64 v[6:7], v[6:7], v[14:15], -v[16:17]
	s_delay_alu instid0(VALU_DEP_4) | instskip(NEXT) | instid1(VALU_DEP_4)
	v_add_f64_e32 v[3:4], v[12:13], v[4:5]
	v_add_f64_e32 v[1:2], v[10:11], v[1:2]
	s_delay_alu instid0(VALU_DEP_2) | instskip(NEXT) | instid1(VALU_DEP_2)
	v_add_f64_e32 v[3:4], v[3:4], v[8:9]
	v_add_f64_e32 v[1:2], v[1:2], v[6:7]
	s_wait_loadcnt 0x0
	s_delay_alu instid0(VALU_DEP_2) | instskip(NEXT) | instid1(VALU_DEP_2)
	v_add_f64_e64 v[3:4], v[20:21], -v[3:4]
	v_add_f64_e64 v[1:2], v[18:19], -v[1:2]
	scratch_store_b128 off, v[1:4], off offset:96
	v_cmpx_lt_u32_e32 4, v0
	s_cbranch_execz .LBB113_305
; %bb.304:
	scratch_load_b128 v[1:4], off, s4
	v_mov_b32_e32 v5, 0
	s_delay_alu instid0(VALU_DEP_1)
	v_dual_mov_b32 v6, v5 :: v_dual_mov_b32 v7, v5
	v_mov_b32_e32 v8, v5
	scratch_store_b128 off, v[5:8], off offset:80
	s_wait_loadcnt 0x0
	ds_store_b128 v142, v[1:4]
.LBB113_305:
	s_wait_alu 0xfffe
	s_or_b32 exec_lo, exec_lo, s0
	s_wait_storecnt_dscnt 0x0
	s_barrier_signal -1
	s_barrier_wait -1
	global_inv scope:SCOPE_SE
	s_clause 0x7
	scratch_load_b128 v[2:5], off, off offset:96
	scratch_load_b128 v[6:9], off, off offset:112
	;; [unrolled: 1-line block ×8, first 2 shown]
	v_mov_b32_e32 v1, 0
	s_clause 0x1
	scratch_load_b128 v[34:37], off, off offset:224
	scratch_load_b128 v[147:150], off, off offset:240
	s_mov_b32 s0, exec_lo
	ds_load_b128 v[38:41], v1 offset:880
	ds_load_b128 v[143:146], v1 offset:896
	s_wait_loadcnt_dscnt 0x901
	v_mul_f64_e32 v[151:152], v[40:41], v[4:5]
	v_mul_f64_e32 v[4:5], v[38:39], v[4:5]
	s_wait_loadcnt_dscnt 0x800
	v_mul_f64_e32 v[153:154], v[143:144], v[8:9]
	v_mul_f64_e32 v[8:9], v[145:146], v[8:9]
	s_delay_alu instid0(VALU_DEP_4) | instskip(NEXT) | instid1(VALU_DEP_4)
	v_fma_f64 v[151:152], v[38:39], v[2:3], -v[151:152]
	v_fma_f64 v[155:156], v[40:41], v[2:3], v[4:5]
	ds_load_b128 v[2:5], v1 offset:912
	scratch_load_b128 v[38:41], off, off offset:256
	v_fma_f64 v[153:154], v[145:146], v[6:7], v[153:154]
	v_fma_f64 v[159:160], v[143:144], v[6:7], -v[8:9]
	ds_load_b128 v[6:9], v1 offset:928
	scratch_load_b128 v[143:146], off, off offset:272
	s_wait_loadcnt_dscnt 0x901
	v_mul_f64_e32 v[157:158], v[2:3], v[12:13]
	v_mul_f64_e32 v[12:13], v[4:5], v[12:13]
	s_wait_loadcnt_dscnt 0x800
	v_mul_f64_e32 v[161:162], v[6:7], v[16:17]
	v_mul_f64_e32 v[16:17], v[8:9], v[16:17]
	v_add_f64_e32 v[151:152], 0, v[151:152]
	v_add_f64_e32 v[155:156], 0, v[155:156]
	v_fma_f64 v[157:158], v[4:5], v[10:11], v[157:158]
	v_fma_f64 v[163:164], v[2:3], v[10:11], -v[12:13]
	ds_load_b128 v[2:5], v1 offset:944
	scratch_load_b128 v[10:13], off, off offset:288
	v_add_f64_e32 v[151:152], v[151:152], v[159:160]
	v_add_f64_e32 v[153:154], v[155:156], v[153:154]
	v_fma_f64 v[159:160], v[8:9], v[14:15], v[161:162]
	v_fma_f64 v[161:162], v[6:7], v[14:15], -v[16:17]
	ds_load_b128 v[6:9], v1 offset:960
	scratch_load_b128 v[14:17], off, off offset:304
	s_wait_loadcnt_dscnt 0x901
	v_mul_f64_e32 v[155:156], v[2:3], v[20:21]
	v_mul_f64_e32 v[20:21], v[4:5], v[20:21]
	v_add_f64_e32 v[151:152], v[151:152], v[163:164]
	v_add_f64_e32 v[153:154], v[153:154], v[157:158]
	s_wait_loadcnt_dscnt 0x800
	v_mul_f64_e32 v[157:158], v[6:7], v[24:25]
	v_mul_f64_e32 v[24:25], v[8:9], v[24:25]
	v_fma_f64 v[155:156], v[4:5], v[18:19], v[155:156]
	v_fma_f64 v[163:164], v[2:3], v[18:19], -v[20:21]
	ds_load_b128 v[2:5], v1 offset:976
	scratch_load_b128 v[18:21], off, off offset:320
	v_add_f64_e32 v[151:152], v[151:152], v[161:162]
	v_add_f64_e32 v[153:154], v[153:154], v[159:160]
	v_fma_f64 v[157:158], v[8:9], v[22:23], v[157:158]
	v_fma_f64 v[161:162], v[6:7], v[22:23], -v[24:25]
	ds_load_b128 v[6:9], v1 offset:992
	s_wait_loadcnt_dscnt 0x801
	v_mul_f64_e32 v[159:160], v[2:3], v[28:29]
	v_mul_f64_e32 v[28:29], v[4:5], v[28:29]
	scratch_load_b128 v[22:25], off, off offset:336
	v_add_f64_e32 v[151:152], v[151:152], v[163:164]
	v_add_f64_e32 v[153:154], v[153:154], v[155:156]
	s_wait_loadcnt_dscnt 0x800
	v_mul_f64_e32 v[155:156], v[6:7], v[32:33]
	v_mul_f64_e32 v[32:33], v[8:9], v[32:33]
	v_fma_f64 v[159:160], v[4:5], v[26:27], v[159:160]
	v_fma_f64 v[163:164], v[2:3], v[26:27], -v[28:29]
	ds_load_b128 v[2:5], v1 offset:1008
	scratch_load_b128 v[26:29], off, off offset:352
	v_add_f64_e32 v[151:152], v[151:152], v[161:162]
	v_add_f64_e32 v[153:154], v[153:154], v[157:158]
	v_fma_f64 v[155:156], v[8:9], v[30:31], v[155:156]
	v_fma_f64 v[161:162], v[6:7], v[30:31], -v[32:33]
	ds_load_b128 v[6:9], v1 offset:1024
	s_wait_loadcnt_dscnt 0x801
	v_mul_f64_e32 v[157:158], v[2:3], v[36:37]
	v_mul_f64_e32 v[36:37], v[4:5], v[36:37]
	scratch_load_b128 v[30:33], off, off offset:368
	v_add_f64_e32 v[151:152], v[151:152], v[163:164]
	v_add_f64_e32 v[153:154], v[153:154], v[159:160]
	s_wait_loadcnt_dscnt 0x800
	v_mul_f64_e32 v[159:160], v[6:7], v[149:150]
	v_mul_f64_e32 v[149:150], v[8:9], v[149:150]
	v_fma_f64 v[157:158], v[4:5], v[34:35], v[157:158]
	v_fma_f64 v[163:164], v[2:3], v[34:35], -v[36:37]
	ds_load_b128 v[2:5], v1 offset:1040
	scratch_load_b128 v[34:37], off, off offset:384
	v_add_f64_e32 v[151:152], v[151:152], v[161:162]
	v_add_f64_e32 v[153:154], v[153:154], v[155:156]
	v_fma_f64 v[159:160], v[8:9], v[147:148], v[159:160]
	v_fma_f64 v[161:162], v[6:7], v[147:148], -v[149:150]
	ds_load_b128 v[6:9], v1 offset:1056
	scratch_load_b128 v[147:150], off, off offset:400
	s_wait_loadcnt_dscnt 0x901
	v_mul_f64_e32 v[155:156], v[2:3], v[40:41]
	v_mul_f64_e32 v[40:41], v[4:5], v[40:41]
	v_add_f64_e32 v[151:152], v[151:152], v[163:164]
	v_add_f64_e32 v[153:154], v[153:154], v[157:158]
	s_wait_loadcnt_dscnt 0x800
	v_mul_f64_e32 v[157:158], v[6:7], v[145:146]
	v_mul_f64_e32 v[145:146], v[8:9], v[145:146]
	v_fma_f64 v[155:156], v[4:5], v[38:39], v[155:156]
	v_fma_f64 v[163:164], v[2:3], v[38:39], -v[40:41]
	ds_load_b128 v[2:5], v1 offset:1072
	scratch_load_b128 v[38:41], off, off offset:416
	v_add_f64_e32 v[151:152], v[151:152], v[161:162]
	v_add_f64_e32 v[153:154], v[153:154], v[159:160]
	v_fma_f64 v[157:158], v[8:9], v[143:144], v[157:158]
	v_fma_f64 v[161:162], v[6:7], v[143:144], -v[145:146]
	ds_load_b128 v[6:9], v1 offset:1088
	s_wait_loadcnt_dscnt 0x801
	v_mul_f64_e32 v[159:160], v[2:3], v[12:13]
	v_mul_f64_e32 v[12:13], v[4:5], v[12:13]
	scratch_load_b128 v[143:146], off, off offset:432
	v_add_f64_e32 v[151:152], v[151:152], v[163:164]
	v_add_f64_e32 v[153:154], v[153:154], v[155:156]
	s_wait_loadcnt_dscnt 0x800
	v_mul_f64_e32 v[155:156], v[6:7], v[16:17]
	v_mul_f64_e32 v[16:17], v[8:9], v[16:17]
	v_fma_f64 v[159:160], v[4:5], v[10:11], v[159:160]
	v_fma_f64 v[163:164], v[2:3], v[10:11], -v[12:13]
	ds_load_b128 v[2:5], v1 offset:1104
	scratch_load_b128 v[10:13], off, off offset:448
	v_add_f64_e32 v[151:152], v[151:152], v[161:162]
	v_add_f64_e32 v[153:154], v[153:154], v[157:158]
	v_fma_f64 v[155:156], v[8:9], v[14:15], v[155:156]
	v_fma_f64 v[161:162], v[6:7], v[14:15], -v[16:17]
	ds_load_b128 v[6:9], v1 offset:1120
	s_wait_loadcnt_dscnt 0x801
	v_mul_f64_e32 v[157:158], v[2:3], v[20:21]
	v_mul_f64_e32 v[20:21], v[4:5], v[20:21]
	scratch_load_b128 v[14:17], off, off offset:464
	;; [unrolled: 18-line block ×12, first 2 shown]
	v_add_f64_e32 v[151:152], v[151:152], v[163:164]
	v_add_f64_e32 v[153:154], v[153:154], v[157:158]
	s_wait_loadcnt_dscnt 0x800
	v_mul_f64_e32 v[157:158], v[6:7], v[24:25]
	v_mul_f64_e32 v[24:25], v[8:9], v[24:25]
	v_fma_f64 v[155:156], v[4:5], v[18:19], v[155:156]
	v_fma_f64 v[163:164], v[2:3], v[18:19], -v[20:21]
	ds_load_b128 v[2:5], v1 offset:1456
	scratch_load_b128 v[18:21], off, off offset:800
	v_add_f64_e32 v[151:152], v[151:152], v[161:162]
	v_add_f64_e32 v[153:154], v[153:154], v[159:160]
	v_fma_f64 v[157:158], v[8:9], v[22:23], v[157:158]
	v_fma_f64 v[22:23], v[6:7], v[22:23], -v[24:25]
	ds_load_b128 v[6:9], v1 offset:1472
	s_wait_loadcnt_dscnt 0x801
	v_mul_f64_e32 v[159:160], v[2:3], v[28:29]
	v_mul_f64_e32 v[28:29], v[4:5], v[28:29]
	v_add_f64_e32 v[24:25], v[151:152], v[163:164]
	v_add_f64_e32 v[151:152], v[153:154], v[155:156]
	s_wait_loadcnt_dscnt 0x700
	v_mul_f64_e32 v[153:154], v[6:7], v[32:33]
	v_mul_f64_e32 v[32:33], v[8:9], v[32:33]
	v_fma_f64 v[155:156], v[4:5], v[26:27], v[159:160]
	v_fma_f64 v[26:27], v[2:3], v[26:27], -v[28:29]
	ds_load_b128 v[2:5], v1 offset:1488
	v_add_f64_e32 v[22:23], v[24:25], v[22:23]
	v_add_f64_e32 v[24:25], v[151:152], v[157:158]
	v_fma_f64 v[151:152], v[8:9], v[30:31], v[153:154]
	v_fma_f64 v[30:31], v[6:7], v[30:31], -v[32:33]
	ds_load_b128 v[6:9], v1 offset:1504
	s_wait_loadcnt_dscnt 0x500
	v_mul_f64_e32 v[153:154], v[6:7], v[149:150]
	v_mul_f64_e32 v[149:150], v[8:9], v[149:150]
	v_add_f64_e32 v[26:27], v[22:23], v[26:27]
	v_add_f64_e32 v[32:33], v[24:25], v[155:156]
	scratch_load_b128 v[22:25], off, off offset:80
	v_mul_f64_e32 v[28:29], v[2:3], v[36:37]
	v_mul_f64_e32 v[36:37], v[4:5], v[36:37]
	v_add_f64_e32 v[26:27], v[26:27], v[30:31]
	v_add_f64_e32 v[30:31], v[32:33], v[151:152]
	s_delay_alu instid0(VALU_DEP_4) | instskip(NEXT) | instid1(VALU_DEP_4)
	v_fma_f64 v[28:29], v[4:5], v[34:35], v[28:29]
	v_fma_f64 v[34:35], v[2:3], v[34:35], -v[36:37]
	ds_load_b128 v[2:5], v1 offset:1520
	s_wait_loadcnt_dscnt 0x500
	v_mul_f64_e32 v[32:33], v[2:3], v[40:41]
	v_mul_f64_e32 v[36:37], v[4:5], v[40:41]
	v_fma_f64 v[40:41], v[8:9], v[147:148], v[153:154]
	v_fma_f64 v[147:148], v[6:7], v[147:148], -v[149:150]
	ds_load_b128 v[6:9], v1 offset:1536
	v_add_f64_e32 v[28:29], v[30:31], v[28:29]
	v_add_f64_e32 v[26:27], v[26:27], v[34:35]
	v_fma_f64 v[32:33], v[4:5], v[38:39], v[32:33]
	v_fma_f64 v[36:37], v[2:3], v[38:39], -v[36:37]
	ds_load_b128 v[2:5], v1 offset:1552
	s_wait_loadcnt_dscnt 0x401
	v_mul_f64_e32 v[30:31], v[6:7], v[145:146]
	v_mul_f64_e32 v[34:35], v[8:9], v[145:146]
	v_add_f64_e32 v[28:29], v[28:29], v[40:41]
	v_add_f64_e32 v[26:27], v[26:27], v[147:148]
	s_wait_loadcnt_dscnt 0x300
	v_mul_f64_e32 v[38:39], v[2:3], v[12:13]
	v_mul_f64_e32 v[12:13], v[4:5], v[12:13]
	v_fma_f64 v[30:31], v[8:9], v[143:144], v[30:31]
	v_fma_f64 v[34:35], v[6:7], v[143:144], -v[34:35]
	ds_load_b128 v[6:9], v1 offset:1568
	v_add_f64_e32 v[28:29], v[28:29], v[32:33]
	v_add_f64_e32 v[26:27], v[26:27], v[36:37]
	v_fma_f64 v[36:37], v[4:5], v[10:11], v[38:39]
	v_fma_f64 v[10:11], v[2:3], v[10:11], -v[12:13]
	ds_load_b128 v[2:5], v1 offset:1584
	s_wait_loadcnt_dscnt 0x201
	v_mul_f64_e32 v[32:33], v[6:7], v[16:17]
	v_mul_f64_e32 v[16:17], v[8:9], v[16:17]
	v_add_f64_e32 v[12:13], v[26:27], v[34:35]
	v_add_f64_e32 v[26:27], v[28:29], v[30:31]
	s_wait_loadcnt_dscnt 0x100
	v_mul_f64_e32 v[28:29], v[2:3], v[20:21]
	v_mul_f64_e32 v[20:21], v[4:5], v[20:21]
	v_fma_f64 v[8:9], v[8:9], v[14:15], v[32:33]
	v_fma_f64 v[6:7], v[6:7], v[14:15], -v[16:17]
	v_add_f64_e32 v[10:11], v[12:13], v[10:11]
	v_add_f64_e32 v[12:13], v[26:27], v[36:37]
	v_fma_f64 v[4:5], v[4:5], v[18:19], v[28:29]
	v_fma_f64 v[2:3], v[2:3], v[18:19], -v[20:21]
	s_delay_alu instid0(VALU_DEP_4) | instskip(NEXT) | instid1(VALU_DEP_4)
	v_add_f64_e32 v[6:7], v[10:11], v[6:7]
	v_add_f64_e32 v[8:9], v[12:13], v[8:9]
	s_delay_alu instid0(VALU_DEP_2) | instskip(NEXT) | instid1(VALU_DEP_2)
	v_add_f64_e32 v[2:3], v[6:7], v[2:3]
	v_add_f64_e32 v[4:5], v[8:9], v[4:5]
	s_wait_loadcnt 0x0
	s_delay_alu instid0(VALU_DEP_2) | instskip(NEXT) | instid1(VALU_DEP_2)
	v_add_f64_e64 v[2:3], v[22:23], -v[2:3]
	v_add_f64_e64 v[4:5], v[24:25], -v[4:5]
	scratch_store_b128 off, v[2:5], off offset:80
	v_cmpx_lt_u32_e32 3, v0
	s_cbranch_execz .LBB113_307
; %bb.306:
	scratch_load_b128 v[5:8], off, s10
	v_dual_mov_b32 v2, v1 :: v_dual_mov_b32 v3, v1
	v_mov_b32_e32 v4, v1
	scratch_store_b128 off, v[1:4], off offset:64
	s_wait_loadcnt 0x0
	ds_store_b128 v142, v[5:8]
.LBB113_307:
	s_wait_alu 0xfffe
	s_or_b32 exec_lo, exec_lo, s0
	s_wait_storecnt_dscnt 0x0
	s_barrier_signal -1
	s_barrier_wait -1
	global_inv scope:SCOPE_SE
	s_clause 0x7
	scratch_load_b128 v[2:5], off, off offset:80
	scratch_load_b128 v[6:9], off, off offset:96
	;; [unrolled: 1-line block ×8, first 2 shown]
	ds_load_b128 v[38:41], v1 offset:864
	ds_load_b128 v[143:146], v1 offset:880
	s_clause 0x1
	scratch_load_b128 v[34:37], off, off offset:208
	scratch_load_b128 v[147:150], off, off offset:224
	s_mov_b32 s0, exec_lo
	s_wait_loadcnt_dscnt 0x901
	v_mul_f64_e32 v[151:152], v[40:41], v[4:5]
	v_mul_f64_e32 v[4:5], v[38:39], v[4:5]
	s_wait_loadcnt_dscnt 0x800
	v_mul_f64_e32 v[153:154], v[143:144], v[8:9]
	v_mul_f64_e32 v[8:9], v[145:146], v[8:9]
	s_delay_alu instid0(VALU_DEP_4) | instskip(NEXT) | instid1(VALU_DEP_4)
	v_fma_f64 v[151:152], v[38:39], v[2:3], -v[151:152]
	v_fma_f64 v[155:156], v[40:41], v[2:3], v[4:5]
	ds_load_b128 v[2:5], v1 offset:896
	scratch_load_b128 v[38:41], off, off offset:240
	v_fma_f64 v[153:154], v[145:146], v[6:7], v[153:154]
	v_fma_f64 v[159:160], v[143:144], v[6:7], -v[8:9]
	ds_load_b128 v[6:9], v1 offset:912
	scratch_load_b128 v[143:146], off, off offset:256
	s_wait_loadcnt_dscnt 0x901
	v_mul_f64_e32 v[157:158], v[2:3], v[12:13]
	v_mul_f64_e32 v[12:13], v[4:5], v[12:13]
	s_wait_loadcnt_dscnt 0x800
	v_mul_f64_e32 v[161:162], v[6:7], v[16:17]
	v_mul_f64_e32 v[16:17], v[8:9], v[16:17]
	v_add_f64_e32 v[151:152], 0, v[151:152]
	v_add_f64_e32 v[155:156], 0, v[155:156]
	v_fma_f64 v[157:158], v[4:5], v[10:11], v[157:158]
	v_fma_f64 v[163:164], v[2:3], v[10:11], -v[12:13]
	ds_load_b128 v[2:5], v1 offset:928
	scratch_load_b128 v[10:13], off, off offset:272
	v_add_f64_e32 v[151:152], v[151:152], v[159:160]
	v_add_f64_e32 v[153:154], v[155:156], v[153:154]
	v_fma_f64 v[159:160], v[8:9], v[14:15], v[161:162]
	v_fma_f64 v[161:162], v[6:7], v[14:15], -v[16:17]
	ds_load_b128 v[6:9], v1 offset:944
	scratch_load_b128 v[14:17], off, off offset:288
	s_wait_loadcnt_dscnt 0x901
	v_mul_f64_e32 v[155:156], v[2:3], v[20:21]
	v_mul_f64_e32 v[20:21], v[4:5], v[20:21]
	v_add_f64_e32 v[151:152], v[151:152], v[163:164]
	v_add_f64_e32 v[153:154], v[153:154], v[157:158]
	s_wait_loadcnt_dscnt 0x800
	v_mul_f64_e32 v[157:158], v[6:7], v[24:25]
	v_mul_f64_e32 v[24:25], v[8:9], v[24:25]
	v_fma_f64 v[155:156], v[4:5], v[18:19], v[155:156]
	v_fma_f64 v[163:164], v[2:3], v[18:19], -v[20:21]
	ds_load_b128 v[2:5], v1 offset:960
	scratch_load_b128 v[18:21], off, off offset:304
	v_add_f64_e32 v[151:152], v[151:152], v[161:162]
	v_add_f64_e32 v[153:154], v[153:154], v[159:160]
	v_fma_f64 v[157:158], v[8:9], v[22:23], v[157:158]
	v_fma_f64 v[161:162], v[6:7], v[22:23], -v[24:25]
	ds_load_b128 v[6:9], v1 offset:976
	s_wait_loadcnt_dscnt 0x801
	v_mul_f64_e32 v[159:160], v[2:3], v[28:29]
	v_mul_f64_e32 v[28:29], v[4:5], v[28:29]
	scratch_load_b128 v[22:25], off, off offset:320
	v_add_f64_e32 v[151:152], v[151:152], v[163:164]
	v_add_f64_e32 v[153:154], v[153:154], v[155:156]
	s_wait_loadcnt_dscnt 0x800
	v_mul_f64_e32 v[155:156], v[6:7], v[32:33]
	v_mul_f64_e32 v[32:33], v[8:9], v[32:33]
	v_fma_f64 v[159:160], v[4:5], v[26:27], v[159:160]
	v_fma_f64 v[163:164], v[2:3], v[26:27], -v[28:29]
	ds_load_b128 v[2:5], v1 offset:992
	scratch_load_b128 v[26:29], off, off offset:336
	v_add_f64_e32 v[151:152], v[151:152], v[161:162]
	v_add_f64_e32 v[153:154], v[153:154], v[157:158]
	v_fma_f64 v[155:156], v[8:9], v[30:31], v[155:156]
	v_fma_f64 v[161:162], v[6:7], v[30:31], -v[32:33]
	ds_load_b128 v[6:9], v1 offset:1008
	s_wait_loadcnt_dscnt 0x801
	v_mul_f64_e32 v[157:158], v[2:3], v[36:37]
	v_mul_f64_e32 v[36:37], v[4:5], v[36:37]
	scratch_load_b128 v[30:33], off, off offset:352
	v_add_f64_e32 v[151:152], v[151:152], v[163:164]
	v_add_f64_e32 v[153:154], v[153:154], v[159:160]
	s_wait_loadcnt_dscnt 0x800
	v_mul_f64_e32 v[159:160], v[6:7], v[149:150]
	v_mul_f64_e32 v[149:150], v[8:9], v[149:150]
	v_fma_f64 v[157:158], v[4:5], v[34:35], v[157:158]
	v_fma_f64 v[163:164], v[2:3], v[34:35], -v[36:37]
	ds_load_b128 v[2:5], v1 offset:1024
	scratch_load_b128 v[34:37], off, off offset:368
	v_add_f64_e32 v[151:152], v[151:152], v[161:162]
	v_add_f64_e32 v[153:154], v[153:154], v[155:156]
	v_fma_f64 v[159:160], v[8:9], v[147:148], v[159:160]
	v_fma_f64 v[161:162], v[6:7], v[147:148], -v[149:150]
	ds_load_b128 v[6:9], v1 offset:1040
	scratch_load_b128 v[147:150], off, off offset:384
	s_wait_loadcnt_dscnt 0x901
	v_mul_f64_e32 v[155:156], v[2:3], v[40:41]
	v_mul_f64_e32 v[40:41], v[4:5], v[40:41]
	v_add_f64_e32 v[151:152], v[151:152], v[163:164]
	v_add_f64_e32 v[153:154], v[153:154], v[157:158]
	s_wait_loadcnt_dscnt 0x800
	v_mul_f64_e32 v[157:158], v[6:7], v[145:146]
	v_mul_f64_e32 v[145:146], v[8:9], v[145:146]
	v_fma_f64 v[155:156], v[4:5], v[38:39], v[155:156]
	v_fma_f64 v[163:164], v[2:3], v[38:39], -v[40:41]
	ds_load_b128 v[2:5], v1 offset:1056
	scratch_load_b128 v[38:41], off, off offset:400
	v_add_f64_e32 v[151:152], v[151:152], v[161:162]
	v_add_f64_e32 v[153:154], v[153:154], v[159:160]
	v_fma_f64 v[157:158], v[8:9], v[143:144], v[157:158]
	v_fma_f64 v[161:162], v[6:7], v[143:144], -v[145:146]
	ds_load_b128 v[6:9], v1 offset:1072
	s_wait_loadcnt_dscnt 0x801
	v_mul_f64_e32 v[159:160], v[2:3], v[12:13]
	v_mul_f64_e32 v[12:13], v[4:5], v[12:13]
	scratch_load_b128 v[143:146], off, off offset:416
	v_add_f64_e32 v[151:152], v[151:152], v[163:164]
	v_add_f64_e32 v[153:154], v[153:154], v[155:156]
	s_wait_loadcnt_dscnt 0x800
	v_mul_f64_e32 v[155:156], v[6:7], v[16:17]
	v_mul_f64_e32 v[16:17], v[8:9], v[16:17]
	v_fma_f64 v[159:160], v[4:5], v[10:11], v[159:160]
	v_fma_f64 v[163:164], v[2:3], v[10:11], -v[12:13]
	ds_load_b128 v[2:5], v1 offset:1088
	scratch_load_b128 v[10:13], off, off offset:432
	v_add_f64_e32 v[151:152], v[151:152], v[161:162]
	v_add_f64_e32 v[153:154], v[153:154], v[157:158]
	v_fma_f64 v[155:156], v[8:9], v[14:15], v[155:156]
	v_fma_f64 v[161:162], v[6:7], v[14:15], -v[16:17]
	ds_load_b128 v[6:9], v1 offset:1104
	s_wait_loadcnt_dscnt 0x801
	v_mul_f64_e32 v[157:158], v[2:3], v[20:21]
	v_mul_f64_e32 v[20:21], v[4:5], v[20:21]
	scratch_load_b128 v[14:17], off, off offset:448
	;; [unrolled: 18-line block ×13, first 2 shown]
	v_add_f64_e32 v[151:152], v[151:152], v[163:164]
	v_add_f64_e32 v[153:154], v[153:154], v[155:156]
	s_wait_loadcnt_dscnt 0x800
	v_mul_f64_e32 v[155:156], v[6:7], v[32:33]
	v_mul_f64_e32 v[32:33], v[8:9], v[32:33]
	v_fma_f64 v[159:160], v[4:5], v[26:27], v[159:160]
	v_fma_f64 v[26:27], v[2:3], v[26:27], -v[28:29]
	ds_load_b128 v[2:5], v1 offset:1472
	v_add_f64_e32 v[28:29], v[151:152], v[161:162]
	v_add_f64_e32 v[151:152], v[153:154], v[157:158]
	v_fma_f64 v[155:156], v[8:9], v[30:31], v[155:156]
	v_fma_f64 v[30:31], v[6:7], v[30:31], -v[32:33]
	ds_load_b128 v[6:9], v1 offset:1488
	s_wait_loadcnt_dscnt 0x701
	v_mul_f64_e32 v[153:154], v[2:3], v[36:37]
	v_mul_f64_e32 v[36:37], v[4:5], v[36:37]
	v_add_f64_e32 v[26:27], v[28:29], v[26:27]
	v_add_f64_e32 v[28:29], v[151:152], v[159:160]
	s_delay_alu instid0(VALU_DEP_4) | instskip(NEXT) | instid1(VALU_DEP_4)
	v_fma_f64 v[151:152], v[4:5], v[34:35], v[153:154]
	v_fma_f64 v[34:35], v[2:3], v[34:35], -v[36:37]
	ds_load_b128 v[2:5], v1 offset:1504
	v_add_f64_e32 v[30:31], v[26:27], v[30:31]
	v_add_f64_e32 v[36:37], v[28:29], v[155:156]
	scratch_load_b128 v[26:29], off, off offset:64
	s_wait_loadcnt_dscnt 0x701
	v_mul_f64_e32 v[32:33], v[6:7], v[149:150]
	v_mul_f64_e32 v[149:150], v[8:9], v[149:150]
	v_add_f64_e32 v[30:31], v[30:31], v[34:35]
	v_add_f64_e32 v[34:35], v[36:37], v[151:152]
	s_delay_alu instid0(VALU_DEP_4) | instskip(NEXT) | instid1(VALU_DEP_4)
	v_fma_f64 v[32:33], v[8:9], v[147:148], v[32:33]
	v_fma_f64 v[147:148], v[6:7], v[147:148], -v[149:150]
	ds_load_b128 v[6:9], v1 offset:1520
	s_wait_loadcnt_dscnt 0x601
	v_mul_f64_e32 v[153:154], v[2:3], v[40:41]
	v_mul_f64_e32 v[40:41], v[4:5], v[40:41]
	s_wait_loadcnt_dscnt 0x500
	v_mul_f64_e32 v[36:37], v[6:7], v[145:146]
	v_mul_f64_e32 v[145:146], v[8:9], v[145:146]
	v_add_f64_e32 v[32:33], v[34:35], v[32:33]
	v_add_f64_e32 v[30:31], v[30:31], v[147:148]
	v_fma_f64 v[149:150], v[4:5], v[38:39], v[153:154]
	v_fma_f64 v[38:39], v[2:3], v[38:39], -v[40:41]
	ds_load_b128 v[2:5], v1 offset:1536
	v_fma_f64 v[36:37], v[8:9], v[143:144], v[36:37]
	v_fma_f64 v[40:41], v[6:7], v[143:144], -v[145:146]
	ds_load_b128 v[6:9], v1 offset:1552
	s_wait_loadcnt_dscnt 0x401
	v_mul_f64_e32 v[34:35], v[2:3], v[12:13]
	v_mul_f64_e32 v[12:13], v[4:5], v[12:13]
	v_add_f64_e32 v[32:33], v[32:33], v[149:150]
	v_add_f64_e32 v[30:31], v[30:31], v[38:39]
	s_wait_loadcnt_dscnt 0x300
	v_mul_f64_e32 v[38:39], v[6:7], v[16:17]
	v_mul_f64_e32 v[16:17], v[8:9], v[16:17]
	v_fma_f64 v[34:35], v[4:5], v[10:11], v[34:35]
	v_fma_f64 v[10:11], v[2:3], v[10:11], -v[12:13]
	ds_load_b128 v[2:5], v1 offset:1568
	v_add_f64_e32 v[12:13], v[30:31], v[40:41]
	v_add_f64_e32 v[30:31], v[32:33], v[36:37]
	v_fma_f64 v[36:37], v[8:9], v[14:15], v[38:39]
	v_fma_f64 v[14:15], v[6:7], v[14:15], -v[16:17]
	ds_load_b128 v[6:9], v1 offset:1584
	s_wait_loadcnt_dscnt 0x201
	v_mul_f64_e32 v[32:33], v[2:3], v[20:21]
	v_mul_f64_e32 v[20:21], v[4:5], v[20:21]
	s_wait_loadcnt_dscnt 0x100
	v_mul_f64_e32 v[16:17], v[6:7], v[24:25]
	v_mul_f64_e32 v[24:25], v[8:9], v[24:25]
	v_add_f64_e32 v[10:11], v[12:13], v[10:11]
	v_add_f64_e32 v[12:13], v[30:31], v[34:35]
	v_fma_f64 v[4:5], v[4:5], v[18:19], v[32:33]
	v_fma_f64 v[1:2], v[2:3], v[18:19], -v[20:21]
	v_fma_f64 v[8:9], v[8:9], v[22:23], v[16:17]
	v_fma_f64 v[6:7], v[6:7], v[22:23], -v[24:25]
	v_add_f64_e32 v[10:11], v[10:11], v[14:15]
	v_add_f64_e32 v[12:13], v[12:13], v[36:37]
	s_delay_alu instid0(VALU_DEP_2) | instskip(NEXT) | instid1(VALU_DEP_2)
	v_add_f64_e32 v[1:2], v[10:11], v[1:2]
	v_add_f64_e32 v[3:4], v[12:13], v[4:5]
	s_delay_alu instid0(VALU_DEP_2) | instskip(NEXT) | instid1(VALU_DEP_2)
	v_add_f64_e32 v[1:2], v[1:2], v[6:7]
	v_add_f64_e32 v[3:4], v[3:4], v[8:9]
	s_wait_loadcnt 0x0
	s_delay_alu instid0(VALU_DEP_2) | instskip(NEXT) | instid1(VALU_DEP_2)
	v_add_f64_e64 v[1:2], v[26:27], -v[1:2]
	v_add_f64_e64 v[3:4], v[28:29], -v[3:4]
	scratch_store_b128 off, v[1:4], off offset:64
	v_cmpx_lt_u32_e32 2, v0
	s_cbranch_execz .LBB113_309
; %bb.308:
	scratch_load_b128 v[1:4], off, s13
	v_mov_b32_e32 v5, 0
	s_delay_alu instid0(VALU_DEP_1)
	v_dual_mov_b32 v6, v5 :: v_dual_mov_b32 v7, v5
	v_mov_b32_e32 v8, v5
	scratch_store_b128 off, v[5:8], off offset:48
	s_wait_loadcnt 0x0
	ds_store_b128 v142, v[1:4]
.LBB113_309:
	s_wait_alu 0xfffe
	s_or_b32 exec_lo, exec_lo, s0
	s_wait_storecnt_dscnt 0x0
	s_barrier_signal -1
	s_barrier_wait -1
	global_inv scope:SCOPE_SE
	s_clause 0x7
	scratch_load_b128 v[2:5], off, off offset:64
	scratch_load_b128 v[6:9], off, off offset:80
	;; [unrolled: 1-line block ×8, first 2 shown]
	v_mov_b32_e32 v1, 0
	s_clause 0x1
	scratch_load_b128 v[34:37], off, off offset:192
	scratch_load_b128 v[147:150], off, off offset:208
	s_mov_b32 s0, exec_lo
	ds_load_b128 v[38:41], v1 offset:848
	ds_load_b128 v[143:146], v1 offset:864
	s_wait_loadcnt_dscnt 0x901
	v_mul_f64_e32 v[151:152], v[40:41], v[4:5]
	v_mul_f64_e32 v[4:5], v[38:39], v[4:5]
	s_wait_loadcnt_dscnt 0x800
	v_mul_f64_e32 v[153:154], v[143:144], v[8:9]
	v_mul_f64_e32 v[8:9], v[145:146], v[8:9]
	s_delay_alu instid0(VALU_DEP_4) | instskip(NEXT) | instid1(VALU_DEP_4)
	v_fma_f64 v[151:152], v[38:39], v[2:3], -v[151:152]
	v_fma_f64 v[155:156], v[40:41], v[2:3], v[4:5]
	ds_load_b128 v[2:5], v1 offset:880
	scratch_load_b128 v[38:41], off, off offset:224
	v_fma_f64 v[153:154], v[145:146], v[6:7], v[153:154]
	v_fma_f64 v[159:160], v[143:144], v[6:7], -v[8:9]
	ds_load_b128 v[6:9], v1 offset:896
	scratch_load_b128 v[143:146], off, off offset:240
	s_wait_loadcnt_dscnt 0x901
	v_mul_f64_e32 v[157:158], v[2:3], v[12:13]
	v_mul_f64_e32 v[12:13], v[4:5], v[12:13]
	s_wait_loadcnt_dscnt 0x800
	v_mul_f64_e32 v[161:162], v[6:7], v[16:17]
	v_mul_f64_e32 v[16:17], v[8:9], v[16:17]
	v_add_f64_e32 v[151:152], 0, v[151:152]
	v_add_f64_e32 v[155:156], 0, v[155:156]
	v_fma_f64 v[157:158], v[4:5], v[10:11], v[157:158]
	v_fma_f64 v[163:164], v[2:3], v[10:11], -v[12:13]
	ds_load_b128 v[2:5], v1 offset:912
	scratch_load_b128 v[10:13], off, off offset:256
	v_add_f64_e32 v[151:152], v[151:152], v[159:160]
	v_add_f64_e32 v[153:154], v[155:156], v[153:154]
	v_fma_f64 v[159:160], v[8:9], v[14:15], v[161:162]
	v_fma_f64 v[161:162], v[6:7], v[14:15], -v[16:17]
	ds_load_b128 v[6:9], v1 offset:928
	scratch_load_b128 v[14:17], off, off offset:272
	s_wait_loadcnt_dscnt 0x901
	v_mul_f64_e32 v[155:156], v[2:3], v[20:21]
	v_mul_f64_e32 v[20:21], v[4:5], v[20:21]
	v_add_f64_e32 v[151:152], v[151:152], v[163:164]
	v_add_f64_e32 v[153:154], v[153:154], v[157:158]
	s_wait_loadcnt_dscnt 0x800
	v_mul_f64_e32 v[157:158], v[6:7], v[24:25]
	v_mul_f64_e32 v[24:25], v[8:9], v[24:25]
	v_fma_f64 v[155:156], v[4:5], v[18:19], v[155:156]
	v_fma_f64 v[163:164], v[2:3], v[18:19], -v[20:21]
	ds_load_b128 v[2:5], v1 offset:944
	scratch_load_b128 v[18:21], off, off offset:288
	v_add_f64_e32 v[151:152], v[151:152], v[161:162]
	v_add_f64_e32 v[153:154], v[153:154], v[159:160]
	v_fma_f64 v[157:158], v[8:9], v[22:23], v[157:158]
	v_fma_f64 v[161:162], v[6:7], v[22:23], -v[24:25]
	ds_load_b128 v[6:9], v1 offset:960
	s_wait_loadcnt_dscnt 0x801
	v_mul_f64_e32 v[159:160], v[2:3], v[28:29]
	v_mul_f64_e32 v[28:29], v[4:5], v[28:29]
	scratch_load_b128 v[22:25], off, off offset:304
	v_add_f64_e32 v[151:152], v[151:152], v[163:164]
	v_add_f64_e32 v[153:154], v[153:154], v[155:156]
	s_wait_loadcnt_dscnt 0x800
	v_mul_f64_e32 v[155:156], v[6:7], v[32:33]
	v_mul_f64_e32 v[32:33], v[8:9], v[32:33]
	v_fma_f64 v[159:160], v[4:5], v[26:27], v[159:160]
	v_fma_f64 v[163:164], v[2:3], v[26:27], -v[28:29]
	ds_load_b128 v[2:5], v1 offset:976
	scratch_load_b128 v[26:29], off, off offset:320
	v_add_f64_e32 v[151:152], v[151:152], v[161:162]
	v_add_f64_e32 v[153:154], v[153:154], v[157:158]
	v_fma_f64 v[155:156], v[8:9], v[30:31], v[155:156]
	v_fma_f64 v[161:162], v[6:7], v[30:31], -v[32:33]
	ds_load_b128 v[6:9], v1 offset:992
	s_wait_loadcnt_dscnt 0x801
	v_mul_f64_e32 v[157:158], v[2:3], v[36:37]
	v_mul_f64_e32 v[36:37], v[4:5], v[36:37]
	scratch_load_b128 v[30:33], off, off offset:336
	v_add_f64_e32 v[151:152], v[151:152], v[163:164]
	v_add_f64_e32 v[153:154], v[153:154], v[159:160]
	s_wait_loadcnt_dscnt 0x800
	v_mul_f64_e32 v[159:160], v[6:7], v[149:150]
	v_mul_f64_e32 v[149:150], v[8:9], v[149:150]
	v_fma_f64 v[157:158], v[4:5], v[34:35], v[157:158]
	v_fma_f64 v[163:164], v[2:3], v[34:35], -v[36:37]
	ds_load_b128 v[2:5], v1 offset:1008
	scratch_load_b128 v[34:37], off, off offset:352
	v_add_f64_e32 v[151:152], v[151:152], v[161:162]
	v_add_f64_e32 v[153:154], v[153:154], v[155:156]
	v_fma_f64 v[159:160], v[8:9], v[147:148], v[159:160]
	v_fma_f64 v[161:162], v[6:7], v[147:148], -v[149:150]
	ds_load_b128 v[6:9], v1 offset:1024
	scratch_load_b128 v[147:150], off, off offset:368
	s_wait_loadcnt_dscnt 0x901
	v_mul_f64_e32 v[155:156], v[2:3], v[40:41]
	v_mul_f64_e32 v[40:41], v[4:5], v[40:41]
	v_add_f64_e32 v[151:152], v[151:152], v[163:164]
	v_add_f64_e32 v[153:154], v[153:154], v[157:158]
	s_wait_loadcnt_dscnt 0x800
	v_mul_f64_e32 v[157:158], v[6:7], v[145:146]
	v_mul_f64_e32 v[145:146], v[8:9], v[145:146]
	v_fma_f64 v[155:156], v[4:5], v[38:39], v[155:156]
	v_fma_f64 v[163:164], v[2:3], v[38:39], -v[40:41]
	ds_load_b128 v[2:5], v1 offset:1040
	scratch_load_b128 v[38:41], off, off offset:384
	v_add_f64_e32 v[151:152], v[151:152], v[161:162]
	v_add_f64_e32 v[153:154], v[153:154], v[159:160]
	v_fma_f64 v[157:158], v[8:9], v[143:144], v[157:158]
	v_fma_f64 v[161:162], v[6:7], v[143:144], -v[145:146]
	ds_load_b128 v[6:9], v1 offset:1056
	s_wait_loadcnt_dscnt 0x801
	v_mul_f64_e32 v[159:160], v[2:3], v[12:13]
	v_mul_f64_e32 v[12:13], v[4:5], v[12:13]
	scratch_load_b128 v[143:146], off, off offset:400
	v_add_f64_e32 v[151:152], v[151:152], v[163:164]
	v_add_f64_e32 v[153:154], v[153:154], v[155:156]
	s_wait_loadcnt_dscnt 0x800
	v_mul_f64_e32 v[155:156], v[6:7], v[16:17]
	v_mul_f64_e32 v[16:17], v[8:9], v[16:17]
	v_fma_f64 v[159:160], v[4:5], v[10:11], v[159:160]
	v_fma_f64 v[163:164], v[2:3], v[10:11], -v[12:13]
	ds_load_b128 v[2:5], v1 offset:1072
	scratch_load_b128 v[10:13], off, off offset:416
	v_add_f64_e32 v[151:152], v[151:152], v[161:162]
	v_add_f64_e32 v[153:154], v[153:154], v[157:158]
	v_fma_f64 v[155:156], v[8:9], v[14:15], v[155:156]
	v_fma_f64 v[161:162], v[6:7], v[14:15], -v[16:17]
	ds_load_b128 v[6:9], v1 offset:1088
	s_wait_loadcnt_dscnt 0x801
	v_mul_f64_e32 v[157:158], v[2:3], v[20:21]
	v_mul_f64_e32 v[20:21], v[4:5], v[20:21]
	scratch_load_b128 v[14:17], off, off offset:432
	;; [unrolled: 18-line block ×13, first 2 shown]
	v_add_f64_e32 v[151:152], v[151:152], v[163:164]
	v_add_f64_e32 v[153:154], v[153:154], v[155:156]
	s_wait_loadcnt_dscnt 0x800
	v_mul_f64_e32 v[155:156], v[6:7], v[32:33]
	v_mul_f64_e32 v[32:33], v[8:9], v[32:33]
	v_fma_f64 v[159:160], v[4:5], v[26:27], v[159:160]
	v_fma_f64 v[163:164], v[2:3], v[26:27], -v[28:29]
	ds_load_b128 v[2:5], v1 offset:1456
	scratch_load_b128 v[26:29], off, off offset:800
	v_add_f64_e32 v[151:152], v[151:152], v[161:162]
	v_add_f64_e32 v[153:154], v[153:154], v[157:158]
	v_fma_f64 v[155:156], v[8:9], v[30:31], v[155:156]
	v_fma_f64 v[30:31], v[6:7], v[30:31], -v[32:33]
	ds_load_b128 v[6:9], v1 offset:1472
	s_wait_loadcnt_dscnt 0x801
	v_mul_f64_e32 v[157:158], v[2:3], v[36:37]
	v_mul_f64_e32 v[36:37], v[4:5], v[36:37]
	v_add_f64_e32 v[32:33], v[151:152], v[163:164]
	v_add_f64_e32 v[151:152], v[153:154], v[159:160]
	s_wait_loadcnt_dscnt 0x700
	v_mul_f64_e32 v[153:154], v[6:7], v[149:150]
	v_mul_f64_e32 v[149:150], v[8:9], v[149:150]
	v_fma_f64 v[157:158], v[4:5], v[34:35], v[157:158]
	v_fma_f64 v[34:35], v[2:3], v[34:35], -v[36:37]
	ds_load_b128 v[2:5], v1 offset:1488
	v_add_f64_e32 v[30:31], v[32:33], v[30:31]
	v_add_f64_e32 v[32:33], v[151:152], v[155:156]
	v_fma_f64 v[151:152], v[8:9], v[147:148], v[153:154]
	v_fma_f64 v[147:148], v[6:7], v[147:148], -v[149:150]
	ds_load_b128 v[6:9], v1 offset:1504
	s_wait_loadcnt_dscnt 0x500
	v_mul_f64_e32 v[153:154], v[6:7], v[145:146]
	v_mul_f64_e32 v[145:146], v[8:9], v[145:146]
	v_add_f64_e32 v[34:35], v[30:31], v[34:35]
	v_add_f64_e32 v[149:150], v[32:33], v[157:158]
	scratch_load_b128 v[30:33], off, off offset:48
	v_mul_f64_e32 v[36:37], v[2:3], v[40:41]
	v_mul_f64_e32 v[40:41], v[4:5], v[40:41]
	v_add_f64_e32 v[34:35], v[34:35], v[147:148]
	s_delay_alu instid0(VALU_DEP_3) | instskip(NEXT) | instid1(VALU_DEP_3)
	v_fma_f64 v[36:37], v[4:5], v[38:39], v[36:37]
	v_fma_f64 v[38:39], v[2:3], v[38:39], -v[40:41]
	v_add_f64_e32 v[40:41], v[149:150], v[151:152]
	ds_load_b128 v[2:5], v1 offset:1520
	v_fma_f64 v[149:150], v[8:9], v[143:144], v[153:154]
	v_fma_f64 v[143:144], v[6:7], v[143:144], -v[145:146]
	ds_load_b128 v[6:9], v1 offset:1536
	s_wait_loadcnt_dscnt 0x501
	v_mul_f64_e32 v[147:148], v[2:3], v[12:13]
	v_mul_f64_e32 v[12:13], v[4:5], v[12:13]
	v_add_f64_e32 v[34:35], v[34:35], v[38:39]
	v_add_f64_e32 v[36:37], v[40:41], v[36:37]
	s_wait_loadcnt_dscnt 0x400
	v_mul_f64_e32 v[38:39], v[6:7], v[16:17]
	v_mul_f64_e32 v[16:17], v[8:9], v[16:17]
	v_fma_f64 v[40:41], v[4:5], v[10:11], v[147:148]
	v_fma_f64 v[10:11], v[2:3], v[10:11], -v[12:13]
	ds_load_b128 v[2:5], v1 offset:1552
	v_add_f64_e32 v[12:13], v[34:35], v[143:144]
	v_add_f64_e32 v[34:35], v[36:37], v[149:150]
	v_fma_f64 v[38:39], v[8:9], v[14:15], v[38:39]
	v_fma_f64 v[14:15], v[6:7], v[14:15], -v[16:17]
	ds_load_b128 v[6:9], v1 offset:1568
	s_wait_loadcnt_dscnt 0x301
	v_mul_f64_e32 v[36:37], v[2:3], v[20:21]
	v_mul_f64_e32 v[20:21], v[4:5], v[20:21]
	s_wait_loadcnt_dscnt 0x200
	v_mul_f64_e32 v[16:17], v[6:7], v[24:25]
	v_mul_f64_e32 v[24:25], v[8:9], v[24:25]
	v_add_f64_e32 v[10:11], v[12:13], v[10:11]
	v_add_f64_e32 v[12:13], v[34:35], v[40:41]
	v_fma_f64 v[34:35], v[4:5], v[18:19], v[36:37]
	v_fma_f64 v[18:19], v[2:3], v[18:19], -v[20:21]
	ds_load_b128 v[2:5], v1 offset:1584
	v_fma_f64 v[8:9], v[8:9], v[22:23], v[16:17]
	v_fma_f64 v[6:7], v[6:7], v[22:23], -v[24:25]
	s_wait_loadcnt_dscnt 0x100
	v_mul_f64_e32 v[20:21], v[4:5], v[28:29]
	v_add_f64_e32 v[10:11], v[10:11], v[14:15]
	v_add_f64_e32 v[12:13], v[12:13], v[38:39]
	v_mul_f64_e32 v[14:15], v[2:3], v[28:29]
	s_delay_alu instid0(VALU_DEP_4) | instskip(NEXT) | instid1(VALU_DEP_4)
	v_fma_f64 v[2:3], v[2:3], v[26:27], -v[20:21]
	v_add_f64_e32 v[10:11], v[10:11], v[18:19]
	s_delay_alu instid0(VALU_DEP_4) | instskip(NEXT) | instid1(VALU_DEP_4)
	v_add_f64_e32 v[12:13], v[12:13], v[34:35]
	v_fma_f64 v[4:5], v[4:5], v[26:27], v[14:15]
	s_delay_alu instid0(VALU_DEP_3) | instskip(NEXT) | instid1(VALU_DEP_3)
	v_add_f64_e32 v[6:7], v[10:11], v[6:7]
	v_add_f64_e32 v[8:9], v[12:13], v[8:9]
	s_delay_alu instid0(VALU_DEP_2) | instskip(NEXT) | instid1(VALU_DEP_2)
	v_add_f64_e32 v[2:3], v[6:7], v[2:3]
	v_add_f64_e32 v[4:5], v[8:9], v[4:5]
	s_wait_loadcnt 0x0
	s_delay_alu instid0(VALU_DEP_2) | instskip(NEXT) | instid1(VALU_DEP_2)
	v_add_f64_e64 v[2:3], v[30:31], -v[2:3]
	v_add_f64_e64 v[4:5], v[32:33], -v[4:5]
	scratch_store_b128 off, v[2:5], off offset:48
	v_cmpx_lt_u32_e32 1, v0
	s_cbranch_execz .LBB113_311
; %bb.310:
	scratch_load_b128 v[5:8], off, s15
	v_dual_mov_b32 v2, v1 :: v_dual_mov_b32 v3, v1
	v_mov_b32_e32 v4, v1
	scratch_store_b128 off, v[1:4], off offset:32
	s_wait_loadcnt 0x0
	ds_store_b128 v142, v[5:8]
.LBB113_311:
	s_wait_alu 0xfffe
	s_or_b32 exec_lo, exec_lo, s0
	s_wait_storecnt_dscnt 0x0
	s_barrier_signal -1
	s_barrier_wait -1
	global_inv scope:SCOPE_SE
	s_clause 0x7
	scratch_load_b128 v[2:5], off, off offset:48
	scratch_load_b128 v[6:9], off, off offset:64
	;; [unrolled: 1-line block ×8, first 2 shown]
	ds_load_b128 v[38:41], v1 offset:832
	ds_load_b128 v[143:146], v1 offset:848
	s_clause 0x1
	scratch_load_b128 v[34:37], off, off offset:176
	scratch_load_b128 v[147:150], off, off offset:192
	s_mov_b32 s0, exec_lo
	s_wait_loadcnt_dscnt 0x901
	v_mul_f64_e32 v[151:152], v[40:41], v[4:5]
	v_mul_f64_e32 v[4:5], v[38:39], v[4:5]
	s_wait_loadcnt_dscnt 0x800
	v_mul_f64_e32 v[153:154], v[143:144], v[8:9]
	v_mul_f64_e32 v[8:9], v[145:146], v[8:9]
	s_delay_alu instid0(VALU_DEP_4) | instskip(NEXT) | instid1(VALU_DEP_4)
	v_fma_f64 v[151:152], v[38:39], v[2:3], -v[151:152]
	v_fma_f64 v[155:156], v[40:41], v[2:3], v[4:5]
	ds_load_b128 v[2:5], v1 offset:864
	scratch_load_b128 v[38:41], off, off offset:208
	v_fma_f64 v[153:154], v[145:146], v[6:7], v[153:154]
	v_fma_f64 v[159:160], v[143:144], v[6:7], -v[8:9]
	ds_load_b128 v[6:9], v1 offset:880
	scratch_load_b128 v[143:146], off, off offset:224
	s_wait_loadcnt_dscnt 0x901
	v_mul_f64_e32 v[157:158], v[2:3], v[12:13]
	v_mul_f64_e32 v[12:13], v[4:5], v[12:13]
	s_wait_loadcnt_dscnt 0x800
	v_mul_f64_e32 v[161:162], v[6:7], v[16:17]
	v_mul_f64_e32 v[16:17], v[8:9], v[16:17]
	v_add_f64_e32 v[151:152], 0, v[151:152]
	v_add_f64_e32 v[155:156], 0, v[155:156]
	v_fma_f64 v[157:158], v[4:5], v[10:11], v[157:158]
	v_fma_f64 v[163:164], v[2:3], v[10:11], -v[12:13]
	ds_load_b128 v[2:5], v1 offset:896
	scratch_load_b128 v[10:13], off, off offset:240
	v_add_f64_e32 v[151:152], v[151:152], v[159:160]
	v_add_f64_e32 v[153:154], v[155:156], v[153:154]
	v_fma_f64 v[159:160], v[8:9], v[14:15], v[161:162]
	v_fma_f64 v[161:162], v[6:7], v[14:15], -v[16:17]
	ds_load_b128 v[6:9], v1 offset:912
	scratch_load_b128 v[14:17], off, off offset:256
	s_wait_loadcnt_dscnt 0x901
	v_mul_f64_e32 v[155:156], v[2:3], v[20:21]
	v_mul_f64_e32 v[20:21], v[4:5], v[20:21]
	v_add_f64_e32 v[151:152], v[151:152], v[163:164]
	v_add_f64_e32 v[153:154], v[153:154], v[157:158]
	s_wait_loadcnt_dscnt 0x800
	v_mul_f64_e32 v[157:158], v[6:7], v[24:25]
	v_mul_f64_e32 v[24:25], v[8:9], v[24:25]
	v_fma_f64 v[155:156], v[4:5], v[18:19], v[155:156]
	v_fma_f64 v[163:164], v[2:3], v[18:19], -v[20:21]
	ds_load_b128 v[2:5], v1 offset:928
	scratch_load_b128 v[18:21], off, off offset:272
	v_add_f64_e32 v[151:152], v[151:152], v[161:162]
	v_add_f64_e32 v[153:154], v[153:154], v[159:160]
	v_fma_f64 v[157:158], v[8:9], v[22:23], v[157:158]
	v_fma_f64 v[161:162], v[6:7], v[22:23], -v[24:25]
	ds_load_b128 v[6:9], v1 offset:944
	s_wait_loadcnt_dscnt 0x801
	v_mul_f64_e32 v[159:160], v[2:3], v[28:29]
	v_mul_f64_e32 v[28:29], v[4:5], v[28:29]
	scratch_load_b128 v[22:25], off, off offset:288
	v_add_f64_e32 v[151:152], v[151:152], v[163:164]
	v_add_f64_e32 v[153:154], v[153:154], v[155:156]
	s_wait_loadcnt_dscnt 0x800
	v_mul_f64_e32 v[155:156], v[6:7], v[32:33]
	v_mul_f64_e32 v[32:33], v[8:9], v[32:33]
	v_fma_f64 v[159:160], v[4:5], v[26:27], v[159:160]
	v_fma_f64 v[163:164], v[2:3], v[26:27], -v[28:29]
	ds_load_b128 v[2:5], v1 offset:960
	scratch_load_b128 v[26:29], off, off offset:304
	v_add_f64_e32 v[151:152], v[151:152], v[161:162]
	v_add_f64_e32 v[153:154], v[153:154], v[157:158]
	v_fma_f64 v[155:156], v[8:9], v[30:31], v[155:156]
	v_fma_f64 v[161:162], v[6:7], v[30:31], -v[32:33]
	ds_load_b128 v[6:9], v1 offset:976
	s_wait_loadcnt_dscnt 0x801
	v_mul_f64_e32 v[157:158], v[2:3], v[36:37]
	v_mul_f64_e32 v[36:37], v[4:5], v[36:37]
	scratch_load_b128 v[30:33], off, off offset:320
	v_add_f64_e32 v[151:152], v[151:152], v[163:164]
	v_add_f64_e32 v[153:154], v[153:154], v[159:160]
	s_wait_loadcnt_dscnt 0x800
	v_mul_f64_e32 v[159:160], v[6:7], v[149:150]
	v_mul_f64_e32 v[149:150], v[8:9], v[149:150]
	v_fma_f64 v[157:158], v[4:5], v[34:35], v[157:158]
	v_fma_f64 v[163:164], v[2:3], v[34:35], -v[36:37]
	ds_load_b128 v[2:5], v1 offset:992
	scratch_load_b128 v[34:37], off, off offset:336
	v_add_f64_e32 v[151:152], v[151:152], v[161:162]
	v_add_f64_e32 v[153:154], v[153:154], v[155:156]
	v_fma_f64 v[159:160], v[8:9], v[147:148], v[159:160]
	v_fma_f64 v[161:162], v[6:7], v[147:148], -v[149:150]
	ds_load_b128 v[6:9], v1 offset:1008
	scratch_load_b128 v[147:150], off, off offset:352
	s_wait_loadcnt_dscnt 0x901
	v_mul_f64_e32 v[155:156], v[2:3], v[40:41]
	v_mul_f64_e32 v[40:41], v[4:5], v[40:41]
	v_add_f64_e32 v[151:152], v[151:152], v[163:164]
	v_add_f64_e32 v[153:154], v[153:154], v[157:158]
	s_wait_loadcnt_dscnt 0x800
	v_mul_f64_e32 v[157:158], v[6:7], v[145:146]
	v_mul_f64_e32 v[145:146], v[8:9], v[145:146]
	v_fma_f64 v[155:156], v[4:5], v[38:39], v[155:156]
	v_fma_f64 v[163:164], v[2:3], v[38:39], -v[40:41]
	ds_load_b128 v[2:5], v1 offset:1024
	scratch_load_b128 v[38:41], off, off offset:368
	v_add_f64_e32 v[151:152], v[151:152], v[161:162]
	v_add_f64_e32 v[153:154], v[153:154], v[159:160]
	v_fma_f64 v[157:158], v[8:9], v[143:144], v[157:158]
	v_fma_f64 v[161:162], v[6:7], v[143:144], -v[145:146]
	ds_load_b128 v[6:9], v1 offset:1040
	s_wait_loadcnt_dscnt 0x801
	v_mul_f64_e32 v[159:160], v[2:3], v[12:13]
	v_mul_f64_e32 v[12:13], v[4:5], v[12:13]
	scratch_load_b128 v[143:146], off, off offset:384
	v_add_f64_e32 v[151:152], v[151:152], v[163:164]
	v_add_f64_e32 v[153:154], v[153:154], v[155:156]
	s_wait_loadcnt_dscnt 0x800
	v_mul_f64_e32 v[155:156], v[6:7], v[16:17]
	v_mul_f64_e32 v[16:17], v[8:9], v[16:17]
	v_fma_f64 v[159:160], v[4:5], v[10:11], v[159:160]
	v_fma_f64 v[163:164], v[2:3], v[10:11], -v[12:13]
	ds_load_b128 v[2:5], v1 offset:1056
	scratch_load_b128 v[10:13], off, off offset:400
	v_add_f64_e32 v[151:152], v[151:152], v[161:162]
	v_add_f64_e32 v[153:154], v[153:154], v[157:158]
	v_fma_f64 v[155:156], v[8:9], v[14:15], v[155:156]
	v_fma_f64 v[161:162], v[6:7], v[14:15], -v[16:17]
	ds_load_b128 v[6:9], v1 offset:1072
	s_wait_loadcnt_dscnt 0x801
	v_mul_f64_e32 v[157:158], v[2:3], v[20:21]
	v_mul_f64_e32 v[20:21], v[4:5], v[20:21]
	scratch_load_b128 v[14:17], off, off offset:416
	;; [unrolled: 18-line block ×14, first 2 shown]
	v_add_f64_e32 v[151:152], v[151:152], v[163:164]
	v_add_f64_e32 v[153:154], v[153:154], v[159:160]
	s_wait_loadcnt_dscnt 0x800
	v_mul_f64_e32 v[159:160], v[6:7], v[149:150]
	v_mul_f64_e32 v[149:150], v[8:9], v[149:150]
	v_fma_f64 v[157:158], v[4:5], v[34:35], v[157:158]
	v_fma_f64 v[34:35], v[2:3], v[34:35], -v[36:37]
	ds_load_b128 v[2:5], v1 offset:1472
	v_add_f64_e32 v[36:37], v[151:152], v[161:162]
	v_add_f64_e32 v[151:152], v[153:154], v[155:156]
	v_fma_f64 v[155:156], v[8:9], v[147:148], v[159:160]
	v_fma_f64 v[147:148], v[6:7], v[147:148], -v[149:150]
	ds_load_b128 v[6:9], v1 offset:1488
	s_wait_loadcnt_dscnt 0x701
	v_mul_f64_e32 v[153:154], v[2:3], v[40:41]
	v_mul_f64_e32 v[40:41], v[4:5], v[40:41]
	v_add_f64_e32 v[34:35], v[36:37], v[34:35]
	v_add_f64_e32 v[36:37], v[151:152], v[157:158]
	s_delay_alu instid0(VALU_DEP_4) | instskip(NEXT) | instid1(VALU_DEP_4)
	v_fma_f64 v[151:152], v[4:5], v[38:39], v[153:154]
	v_fma_f64 v[38:39], v[2:3], v[38:39], -v[40:41]
	ds_load_b128 v[2:5], v1 offset:1504
	v_add_f64_e32 v[40:41], v[34:35], v[147:148]
	v_add_f64_e32 v[147:148], v[36:37], v[155:156]
	scratch_load_b128 v[34:37], off, off offset:32
	s_wait_loadcnt_dscnt 0x701
	v_mul_f64_e32 v[149:150], v[6:7], v[145:146]
	v_mul_f64_e32 v[145:146], v[8:9], v[145:146]
	v_add_f64_e32 v[38:39], v[40:41], v[38:39]
	v_add_f64_e32 v[40:41], v[147:148], v[151:152]
	s_delay_alu instid0(VALU_DEP_4) | instskip(NEXT) | instid1(VALU_DEP_4)
	v_fma_f64 v[149:150], v[8:9], v[143:144], v[149:150]
	v_fma_f64 v[143:144], v[6:7], v[143:144], -v[145:146]
	ds_load_b128 v[6:9], v1 offset:1520
	s_wait_loadcnt_dscnt 0x601
	v_mul_f64_e32 v[153:154], v[2:3], v[12:13]
	v_mul_f64_e32 v[12:13], v[4:5], v[12:13]
	s_wait_loadcnt_dscnt 0x500
	v_mul_f64_e32 v[145:146], v[6:7], v[16:17]
	v_mul_f64_e32 v[16:17], v[8:9], v[16:17]
	s_delay_alu instid0(VALU_DEP_4) | instskip(NEXT) | instid1(VALU_DEP_4)
	v_fma_f64 v[147:148], v[4:5], v[10:11], v[153:154]
	v_fma_f64 v[10:11], v[2:3], v[10:11], -v[12:13]
	v_add_f64_e32 v[12:13], v[38:39], v[143:144]
	v_add_f64_e32 v[38:39], v[40:41], v[149:150]
	ds_load_b128 v[2:5], v1 offset:1536
	v_fma_f64 v[143:144], v[8:9], v[14:15], v[145:146]
	v_fma_f64 v[14:15], v[6:7], v[14:15], -v[16:17]
	ds_load_b128 v[6:9], v1 offset:1552
	s_wait_loadcnt_dscnt 0x401
	v_mul_f64_e32 v[40:41], v[2:3], v[20:21]
	v_mul_f64_e32 v[20:21], v[4:5], v[20:21]
	v_add_f64_e32 v[10:11], v[12:13], v[10:11]
	v_add_f64_e32 v[12:13], v[38:39], v[147:148]
	s_wait_loadcnt_dscnt 0x300
	v_mul_f64_e32 v[16:17], v[6:7], v[24:25]
	v_mul_f64_e32 v[24:25], v[8:9], v[24:25]
	v_fma_f64 v[38:39], v[4:5], v[18:19], v[40:41]
	v_fma_f64 v[18:19], v[2:3], v[18:19], -v[20:21]
	ds_load_b128 v[2:5], v1 offset:1568
	v_add_f64_e32 v[10:11], v[10:11], v[14:15]
	v_add_f64_e32 v[12:13], v[12:13], v[143:144]
	v_fma_f64 v[16:17], v[8:9], v[22:23], v[16:17]
	v_fma_f64 v[22:23], v[6:7], v[22:23], -v[24:25]
	ds_load_b128 v[6:9], v1 offset:1584
	s_wait_loadcnt_dscnt 0x201
	v_mul_f64_e32 v[14:15], v[2:3], v[28:29]
	v_mul_f64_e32 v[20:21], v[4:5], v[28:29]
	s_wait_loadcnt_dscnt 0x100
	v_mul_f64_e32 v[24:25], v[8:9], v[32:33]
	v_add_f64_e32 v[10:11], v[10:11], v[18:19]
	v_add_f64_e32 v[12:13], v[12:13], v[38:39]
	v_mul_f64_e32 v[18:19], v[6:7], v[32:33]
	v_fma_f64 v[4:5], v[4:5], v[26:27], v[14:15]
	v_fma_f64 v[1:2], v[2:3], v[26:27], -v[20:21]
	v_fma_f64 v[6:7], v[6:7], v[30:31], -v[24:25]
	v_add_f64_e32 v[10:11], v[10:11], v[22:23]
	v_add_f64_e32 v[12:13], v[12:13], v[16:17]
	v_fma_f64 v[8:9], v[8:9], v[30:31], v[18:19]
	s_delay_alu instid0(VALU_DEP_3) | instskip(NEXT) | instid1(VALU_DEP_3)
	v_add_f64_e32 v[1:2], v[10:11], v[1:2]
	v_add_f64_e32 v[3:4], v[12:13], v[4:5]
	s_delay_alu instid0(VALU_DEP_2) | instskip(NEXT) | instid1(VALU_DEP_2)
	v_add_f64_e32 v[1:2], v[1:2], v[6:7]
	v_add_f64_e32 v[3:4], v[3:4], v[8:9]
	s_wait_loadcnt 0x0
	s_delay_alu instid0(VALU_DEP_2) | instskip(NEXT) | instid1(VALU_DEP_2)
	v_add_f64_e64 v[1:2], v[34:35], -v[1:2]
	v_add_f64_e64 v[3:4], v[36:37], -v[3:4]
	scratch_store_b128 off, v[1:4], off offset:32
	v_cmpx_ne_u32_e32 0, v0
	s_cbranch_execz .LBB113_313
; %bb.312:
	scratch_load_b128 v[0:3], off, off offset:16
	v_mov_b32_e32 v4, 0
	s_delay_alu instid0(VALU_DEP_1)
	v_dual_mov_b32 v5, v4 :: v_dual_mov_b32 v6, v4
	v_mov_b32_e32 v7, v4
	scratch_store_b128 off, v[4:7], off offset:16
	s_wait_loadcnt 0x0
	ds_store_b128 v142, v[0:3]
.LBB113_313:
	s_wait_alu 0xfffe
	s_or_b32 exec_lo, exec_lo, s0
	s_wait_storecnt_dscnt 0x0
	s_barrier_signal -1
	s_barrier_wait -1
	global_inv scope:SCOPE_SE
	s_clause 0x7
	scratch_load_b128 v[0:3], off, off offset:32
	scratch_load_b128 v[4:7], off, off offset:48
	scratch_load_b128 v[8:11], off, off offset:64
	scratch_load_b128 v[12:15], off, off offset:80
	scratch_load_b128 v[16:19], off, off offset:96
	scratch_load_b128 v[20:23], off, off offset:112
	scratch_load_b128 v[24:27], off, off offset:128
	scratch_load_b128 v[28:31], off, off offset:144
	v_mov_b32_e32 v40, 0
	s_clause 0x1
	scratch_load_b128 v[32:35], off, off offset:160
	scratch_load_b128 v[146:149], off, off offset:176
	s_and_b32 vcc_lo, exec_lo, s12
	ds_load_b128 v[36:39], v40 offset:816
	ds_load_b128 v[142:145], v40 offset:832
	s_wait_loadcnt_dscnt 0x901
	v_mul_f64_e32 v[150:151], v[38:39], v[2:3]
	v_mul_f64_e32 v[2:3], v[36:37], v[2:3]
	s_wait_loadcnt_dscnt 0x800
	v_mul_f64_e32 v[152:153], v[142:143], v[6:7]
	v_mul_f64_e32 v[6:7], v[144:145], v[6:7]
	s_delay_alu instid0(VALU_DEP_4) | instskip(NEXT) | instid1(VALU_DEP_4)
	v_fma_f64 v[150:151], v[36:37], v[0:1], -v[150:151]
	v_fma_f64 v[154:155], v[38:39], v[0:1], v[2:3]
	ds_load_b128 v[0:3], v40 offset:848
	scratch_load_b128 v[36:39], off, off offset:192
	v_fma_f64 v[152:153], v[144:145], v[4:5], v[152:153]
	v_fma_f64 v[158:159], v[142:143], v[4:5], -v[6:7]
	ds_load_b128 v[4:7], v40 offset:864
	scratch_load_b128 v[142:145], off, off offset:208
	s_wait_loadcnt_dscnt 0x901
	v_mul_f64_e32 v[156:157], v[0:1], v[10:11]
	v_mul_f64_e32 v[10:11], v[2:3], v[10:11]
	s_wait_loadcnt_dscnt 0x800
	v_mul_f64_e32 v[160:161], v[4:5], v[14:15]
	v_mul_f64_e32 v[14:15], v[6:7], v[14:15]
	v_add_f64_e32 v[150:151], 0, v[150:151]
	v_add_f64_e32 v[154:155], 0, v[154:155]
	v_fma_f64 v[156:157], v[2:3], v[8:9], v[156:157]
	v_fma_f64 v[162:163], v[0:1], v[8:9], -v[10:11]
	ds_load_b128 v[0:3], v40 offset:880
	scratch_load_b128 v[8:11], off, off offset:224
	v_add_f64_e32 v[150:151], v[150:151], v[158:159]
	v_add_f64_e32 v[152:153], v[154:155], v[152:153]
	v_fma_f64 v[158:159], v[6:7], v[12:13], v[160:161]
	v_fma_f64 v[160:161], v[4:5], v[12:13], -v[14:15]
	ds_load_b128 v[4:7], v40 offset:896
	scratch_load_b128 v[12:15], off, off offset:240
	s_wait_loadcnt_dscnt 0x901
	v_mul_f64_e32 v[154:155], v[0:1], v[18:19]
	v_mul_f64_e32 v[18:19], v[2:3], v[18:19]
	v_add_f64_e32 v[150:151], v[150:151], v[162:163]
	v_add_f64_e32 v[152:153], v[152:153], v[156:157]
	s_wait_loadcnt_dscnt 0x800
	v_mul_f64_e32 v[156:157], v[4:5], v[22:23]
	v_mul_f64_e32 v[22:23], v[6:7], v[22:23]
	v_fma_f64 v[154:155], v[2:3], v[16:17], v[154:155]
	v_fma_f64 v[162:163], v[0:1], v[16:17], -v[18:19]
	ds_load_b128 v[0:3], v40 offset:912
	scratch_load_b128 v[16:19], off, off offset:256
	v_add_f64_e32 v[150:151], v[150:151], v[160:161]
	v_add_f64_e32 v[152:153], v[152:153], v[158:159]
	v_fma_f64 v[156:157], v[6:7], v[20:21], v[156:157]
	v_fma_f64 v[160:161], v[4:5], v[20:21], -v[22:23]
	ds_load_b128 v[4:7], v40 offset:928
	s_wait_loadcnt_dscnt 0x801
	v_mul_f64_e32 v[158:159], v[0:1], v[26:27]
	v_mul_f64_e32 v[26:27], v[2:3], v[26:27]
	scratch_load_b128 v[20:23], off, off offset:272
	v_add_f64_e32 v[150:151], v[150:151], v[162:163]
	v_add_f64_e32 v[152:153], v[152:153], v[154:155]
	s_wait_loadcnt_dscnt 0x800
	v_mul_f64_e32 v[154:155], v[4:5], v[30:31]
	v_mul_f64_e32 v[30:31], v[6:7], v[30:31]
	v_fma_f64 v[158:159], v[2:3], v[24:25], v[158:159]
	v_fma_f64 v[162:163], v[0:1], v[24:25], -v[26:27]
	ds_load_b128 v[0:3], v40 offset:944
	scratch_load_b128 v[24:27], off, off offset:288
	v_add_f64_e32 v[150:151], v[150:151], v[160:161]
	v_add_f64_e32 v[152:153], v[152:153], v[156:157]
	v_fma_f64 v[154:155], v[6:7], v[28:29], v[154:155]
	v_fma_f64 v[160:161], v[4:5], v[28:29], -v[30:31]
	ds_load_b128 v[4:7], v40 offset:960
	s_wait_loadcnt_dscnt 0x801
	v_mul_f64_e32 v[156:157], v[0:1], v[34:35]
	v_mul_f64_e32 v[34:35], v[2:3], v[34:35]
	scratch_load_b128 v[28:31], off, off offset:304
	v_add_f64_e32 v[150:151], v[150:151], v[162:163]
	v_add_f64_e32 v[152:153], v[152:153], v[158:159]
	s_wait_loadcnt_dscnt 0x800
	v_mul_f64_e32 v[158:159], v[4:5], v[148:149]
	v_mul_f64_e32 v[148:149], v[6:7], v[148:149]
	v_fma_f64 v[156:157], v[2:3], v[32:33], v[156:157]
	v_fma_f64 v[162:163], v[0:1], v[32:33], -v[34:35]
	ds_load_b128 v[0:3], v40 offset:976
	scratch_load_b128 v[32:35], off, off offset:320
	v_add_f64_e32 v[150:151], v[150:151], v[160:161]
	v_add_f64_e32 v[152:153], v[152:153], v[154:155]
	v_fma_f64 v[158:159], v[6:7], v[146:147], v[158:159]
	v_fma_f64 v[160:161], v[4:5], v[146:147], -v[148:149]
	ds_load_b128 v[4:7], v40 offset:992
	scratch_load_b128 v[146:149], off, off offset:336
	s_wait_loadcnt_dscnt 0x901
	v_mul_f64_e32 v[154:155], v[0:1], v[38:39]
	v_mul_f64_e32 v[38:39], v[2:3], v[38:39]
	v_add_f64_e32 v[150:151], v[150:151], v[162:163]
	v_add_f64_e32 v[152:153], v[152:153], v[156:157]
	s_wait_loadcnt_dscnt 0x800
	v_mul_f64_e32 v[156:157], v[4:5], v[144:145]
	v_mul_f64_e32 v[144:145], v[6:7], v[144:145]
	v_fma_f64 v[154:155], v[2:3], v[36:37], v[154:155]
	v_fma_f64 v[162:163], v[0:1], v[36:37], -v[38:39]
	ds_load_b128 v[0:3], v40 offset:1008
	scratch_load_b128 v[36:39], off, off offset:352
	v_add_f64_e32 v[150:151], v[150:151], v[160:161]
	v_add_f64_e32 v[152:153], v[152:153], v[158:159]
	v_fma_f64 v[156:157], v[6:7], v[142:143], v[156:157]
	v_fma_f64 v[160:161], v[4:5], v[142:143], -v[144:145]
	ds_load_b128 v[4:7], v40 offset:1024
	s_wait_loadcnt_dscnt 0x801
	v_mul_f64_e32 v[158:159], v[0:1], v[10:11]
	v_mul_f64_e32 v[10:11], v[2:3], v[10:11]
	scratch_load_b128 v[142:145], off, off offset:368
	v_add_f64_e32 v[150:151], v[150:151], v[162:163]
	v_add_f64_e32 v[152:153], v[152:153], v[154:155]
	s_wait_loadcnt_dscnt 0x800
	v_mul_f64_e32 v[154:155], v[4:5], v[14:15]
	v_mul_f64_e32 v[14:15], v[6:7], v[14:15]
	v_fma_f64 v[158:159], v[2:3], v[8:9], v[158:159]
	v_fma_f64 v[162:163], v[0:1], v[8:9], -v[10:11]
	ds_load_b128 v[0:3], v40 offset:1040
	scratch_load_b128 v[8:11], off, off offset:384
	v_add_f64_e32 v[150:151], v[150:151], v[160:161]
	v_add_f64_e32 v[152:153], v[152:153], v[156:157]
	v_fma_f64 v[154:155], v[6:7], v[12:13], v[154:155]
	v_fma_f64 v[160:161], v[4:5], v[12:13], -v[14:15]
	ds_load_b128 v[4:7], v40 offset:1056
	s_wait_loadcnt_dscnt 0x801
	v_mul_f64_e32 v[156:157], v[0:1], v[18:19]
	v_mul_f64_e32 v[18:19], v[2:3], v[18:19]
	scratch_load_b128 v[12:15], off, off offset:400
	;; [unrolled: 18-line block ×14, first 2 shown]
	v_add_f64_e32 v[150:151], v[150:151], v[162:163]
	v_add_f64_e32 v[152:153], v[152:153], v[158:159]
	s_wait_loadcnt_dscnt 0x800
	v_mul_f64_e32 v[158:159], v[4:5], v[148:149]
	v_mul_f64_e32 v[148:149], v[6:7], v[148:149]
	v_fma_f64 v[156:157], v[2:3], v[32:33], v[156:157]
	v_fma_f64 v[162:163], v[0:1], v[32:33], -v[34:35]
	ds_load_b128 v[0:3], v40 offset:1456
	scratch_load_b128 v[32:35], off, off offset:800
	v_add_f64_e32 v[150:151], v[150:151], v[160:161]
	v_add_f64_e32 v[152:153], v[152:153], v[154:155]
	v_fma_f64 v[158:159], v[6:7], v[146:147], v[158:159]
	v_fma_f64 v[146:147], v[4:5], v[146:147], -v[148:149]
	ds_load_b128 v[4:7], v40 offset:1472
	s_wait_loadcnt_dscnt 0x801
	v_mul_f64_e32 v[154:155], v[0:1], v[38:39]
	v_mul_f64_e32 v[38:39], v[2:3], v[38:39]
	v_add_f64_e32 v[148:149], v[150:151], v[162:163]
	v_add_f64_e32 v[150:151], v[152:153], v[156:157]
	s_wait_loadcnt_dscnt 0x700
	v_mul_f64_e32 v[152:153], v[4:5], v[144:145]
	v_mul_f64_e32 v[144:145], v[6:7], v[144:145]
	v_fma_f64 v[154:155], v[2:3], v[36:37], v[154:155]
	v_fma_f64 v[36:37], v[0:1], v[36:37], -v[38:39]
	ds_load_b128 v[0:3], v40 offset:1488
	v_add_f64_e32 v[38:39], v[148:149], v[146:147]
	v_add_f64_e32 v[146:147], v[150:151], v[158:159]
	v_fma_f64 v[150:151], v[6:7], v[142:143], v[152:153]
	v_fma_f64 v[142:143], v[4:5], v[142:143], -v[144:145]
	ds_load_b128 v[4:7], v40 offset:1504
	s_wait_loadcnt_dscnt 0x500
	v_mul_f64_e32 v[152:153], v[4:5], v[14:15]
	v_mul_f64_e32 v[14:15], v[6:7], v[14:15]
	v_add_f64_e32 v[144:145], v[38:39], v[36:37]
	v_add_f64_e32 v[146:147], v[146:147], v[154:155]
	scratch_load_b128 v[36:39], off, off offset:16
	v_mul_f64_e32 v[148:149], v[0:1], v[10:11]
	v_mul_f64_e32 v[10:11], v[2:3], v[10:11]
	s_delay_alu instid0(VALU_DEP_2) | instskip(NEXT) | instid1(VALU_DEP_2)
	v_fma_f64 v[148:149], v[2:3], v[8:9], v[148:149]
	v_fma_f64 v[8:9], v[0:1], v[8:9], -v[10:11]
	v_add_f64_e32 v[10:11], v[144:145], v[142:143]
	v_add_f64_e32 v[142:143], v[146:147], v[150:151]
	ds_load_b128 v[0:3], v40 offset:1520
	v_fma_f64 v[146:147], v[6:7], v[12:13], v[152:153]
	v_fma_f64 v[12:13], v[4:5], v[12:13], -v[14:15]
	ds_load_b128 v[4:7], v40 offset:1536
	s_wait_loadcnt_dscnt 0x501
	v_mul_f64_e32 v[144:145], v[0:1], v[18:19]
	v_mul_f64_e32 v[18:19], v[2:3], v[18:19]
	s_wait_loadcnt_dscnt 0x400
	v_mul_f64_e32 v[14:15], v[4:5], v[22:23]
	v_mul_f64_e32 v[22:23], v[6:7], v[22:23]
	v_add_f64_e32 v[8:9], v[10:11], v[8:9]
	v_add_f64_e32 v[10:11], v[142:143], v[148:149]
	v_fma_f64 v[142:143], v[2:3], v[16:17], v[144:145]
	v_fma_f64 v[16:17], v[0:1], v[16:17], -v[18:19]
	ds_load_b128 v[0:3], v40 offset:1552
	v_fma_f64 v[14:15], v[6:7], v[20:21], v[14:15]
	v_fma_f64 v[20:21], v[4:5], v[20:21], -v[22:23]
	ds_load_b128 v[4:7], v40 offset:1568
	v_add_f64_e32 v[8:9], v[8:9], v[12:13]
	v_add_f64_e32 v[10:11], v[10:11], v[146:147]
	s_wait_loadcnt_dscnt 0x301
	v_mul_f64_e32 v[12:13], v[0:1], v[26:27]
	v_mul_f64_e32 v[18:19], v[2:3], v[26:27]
	s_wait_loadcnt_dscnt 0x200
	v_mul_f64_e32 v[22:23], v[6:7], v[30:31]
	v_add_f64_e32 v[8:9], v[8:9], v[16:17]
	v_add_f64_e32 v[10:11], v[10:11], v[142:143]
	v_mul_f64_e32 v[16:17], v[4:5], v[30:31]
	v_fma_f64 v[12:13], v[2:3], v[24:25], v[12:13]
	v_fma_f64 v[18:19], v[0:1], v[24:25], -v[18:19]
	ds_load_b128 v[0:3], v40 offset:1584
	v_fma_f64 v[4:5], v[4:5], v[28:29], -v[22:23]
	v_add_f64_e32 v[8:9], v[8:9], v[20:21]
	v_add_f64_e32 v[10:11], v[10:11], v[14:15]
	s_wait_loadcnt_dscnt 0x100
	v_mul_f64_e32 v[14:15], v[0:1], v[34:35]
	v_mul_f64_e32 v[20:21], v[2:3], v[34:35]
	v_fma_f64 v[6:7], v[6:7], v[28:29], v[16:17]
	v_add_f64_e32 v[8:9], v[8:9], v[18:19]
	v_add_f64_e32 v[10:11], v[10:11], v[12:13]
	v_fma_f64 v[2:3], v[2:3], v[32:33], v[14:15]
	v_fma_f64 v[0:1], v[0:1], v[32:33], -v[20:21]
	s_delay_alu instid0(VALU_DEP_4) | instskip(NEXT) | instid1(VALU_DEP_4)
	v_add_f64_e32 v[4:5], v[8:9], v[4:5]
	v_add_f64_e32 v[6:7], v[10:11], v[6:7]
	s_delay_alu instid0(VALU_DEP_2) | instskip(NEXT) | instid1(VALU_DEP_2)
	v_add_f64_e32 v[0:1], v[4:5], v[0:1]
	v_add_f64_e32 v[2:3], v[6:7], v[2:3]
	s_wait_loadcnt 0x0
	s_delay_alu instid0(VALU_DEP_2) | instskip(NEXT) | instid1(VALU_DEP_2)
	v_add_f64_e64 v[0:1], v[36:37], -v[0:1]
	v_add_f64_e64 v[2:3], v[38:39], -v[2:3]
	scratch_store_b128 off, v[0:3], off offset:16
	s_wait_alu 0xfffe
	s_cbranch_vccz .LBB113_412
; %bb.314:
	global_load_b32 v0, v40, s[2:3] offset:192
	s_wait_loadcnt 0x0
	v_cmp_ne_u32_e32 vcc_lo, 49, v0
	s_cbranch_vccz .LBB113_316
; %bb.315:
	v_lshlrev_b32_e32 v0, 4, v0
	s_delay_alu instid0(VALU_DEP_1)
	v_add_nc_u32_e32 v8, 16, v0
	s_clause 0x1
	scratch_load_b128 v[0:3], v8, off offset:-16
	scratch_load_b128 v[4:7], off, s11
	s_wait_loadcnt 0x1
	scratch_store_b128 off, v[0:3], s11
	s_wait_loadcnt 0x0
	scratch_store_b128 v8, v[4:7], off offset:-16
.LBB113_316:
	v_mov_b32_e32 v0, 0
	global_load_b32 v1, v0, s[2:3] offset:188
	s_wait_loadcnt 0x0
	v_cmp_eq_u32_e32 vcc_lo, 48, v1
	s_cbranch_vccnz .LBB113_318
; %bb.317:
	v_lshlrev_b32_e32 v1, 4, v1
	s_delay_alu instid0(VALU_DEP_1)
	v_add_nc_u32_e32 v9, 16, v1
	s_clause 0x1
	scratch_load_b128 v[1:4], v9, off offset:-16
	scratch_load_b128 v[5:8], off, s14
	s_wait_loadcnt 0x1
	scratch_store_b128 off, v[1:4], s14
	s_wait_loadcnt 0x0
	scratch_store_b128 v9, v[5:8], off offset:-16
.LBB113_318:
	global_load_b32 v0, v0, s[2:3] offset:184
	s_wait_loadcnt 0x0
	v_cmp_eq_u32_e32 vcc_lo, 47, v0
	s_cbranch_vccnz .LBB113_320
; %bb.319:
	v_lshlrev_b32_e32 v0, 4, v0
	s_delay_alu instid0(VALU_DEP_1)
	v_add_nc_u32_e32 v8, 16, v0
	s_clause 0x1
	scratch_load_b128 v[0:3], v8, off offset:-16
	scratch_load_b128 v[4:7], off, s16
	s_wait_loadcnt 0x1
	scratch_store_b128 off, v[0:3], s16
	s_wait_loadcnt 0x0
	scratch_store_b128 v8, v[4:7], off offset:-16
.LBB113_320:
	v_mov_b32_e32 v0, 0
	global_load_b32 v1, v0, s[2:3] offset:180
	s_wait_loadcnt 0x0
	v_cmp_eq_u32_e32 vcc_lo, 46, v1
	s_cbranch_vccnz .LBB113_322
; %bb.321:
	v_lshlrev_b32_e32 v1, 4, v1
	s_delay_alu instid0(VALU_DEP_1)
	v_add_nc_u32_e32 v9, 16, v1
	s_clause 0x1
	scratch_load_b128 v[1:4], v9, off offset:-16
	scratch_load_b128 v[5:8], off, s17
	s_wait_loadcnt 0x1
	scratch_store_b128 off, v[1:4], s17
	s_wait_loadcnt 0x0
	scratch_store_b128 v9, v[5:8], off offset:-16
.LBB113_322:
	global_load_b32 v0, v0, s[2:3] offset:176
	s_wait_loadcnt 0x0
	v_cmp_eq_u32_e32 vcc_lo, 45, v0
	s_cbranch_vccnz .LBB113_324
; %bb.323:
	v_lshlrev_b32_e32 v0, 4, v0
	s_delay_alu instid0(VALU_DEP_1)
	v_add_nc_u32_e32 v8, 16, v0
	s_clause 0x1
	scratch_load_b128 v[0:3], v8, off offset:-16
	scratch_load_b128 v[4:7], off, s18
	s_wait_loadcnt 0x1
	scratch_store_b128 off, v[0:3], s18
	s_wait_loadcnt 0x0
	scratch_store_b128 v8, v[4:7], off offset:-16
.LBB113_324:
	;; [unrolled: 33-line block ×23, first 2 shown]
	v_mov_b32_e32 v0, 0
	global_load_b32 v1, v0, s[2:3] offset:4
	s_wait_loadcnt 0x0
	v_cmp_eq_u32_e32 vcc_lo, 2, v1
	s_cbranch_vccnz .LBB113_410
; %bb.409:
	v_lshlrev_b32_e32 v1, 4, v1
	s_delay_alu instid0(VALU_DEP_1)
	v_add_nc_u32_e32 v9, 16, v1
	s_clause 0x1
	scratch_load_b128 v[1:4], v9, off offset:-16
	scratch_load_b128 v[5:8], off, s15
	s_wait_loadcnt 0x1
	scratch_store_b128 off, v[1:4], s15
	s_wait_loadcnt 0x0
	scratch_store_b128 v9, v[5:8], off offset:-16
.LBB113_410:
	global_load_b32 v0, v0, s[2:3]
	s_wait_loadcnt 0x0
	v_cmp_eq_u32_e32 vcc_lo, 1, v0
	s_cbranch_vccnz .LBB113_412
; %bb.411:
	v_lshlrev_b32_e32 v0, 4, v0
	s_delay_alu instid0(VALU_DEP_1)
	v_add_nc_u32_e32 v8, 16, v0
	scratch_load_b128 v[0:3], v8, off offset:-16
	scratch_load_b128 v[4:7], off, off offset:16
	s_wait_loadcnt 0x1
	scratch_store_b128 off, v[0:3], off offset:16
	s_wait_loadcnt 0x0
	scratch_store_b128 v8, v[4:7], off offset:-16
.LBB113_412:
	scratch_load_b128 v[0:3], off, off offset:16
	s_wait_loadcnt 0x0
	flat_store_b128 v[42:43], v[0:3]
	scratch_load_b128 v[0:3], off, s15
	s_wait_loadcnt 0x0
	flat_store_b128 v[44:45], v[0:3]
	scratch_load_b128 v[0:3], off, s13
	;; [unrolled: 3-line block ×49, first 2 shown]
	s_wait_loadcnt 0x0
	flat_store_b128 v[140:141], v[0:3]
	s_nop 0
	s_sendmsg sendmsg(MSG_DEALLOC_VGPRS)
	s_endpgm
	.section	.rodata,"a",@progbits
	.p2align	6, 0x0
	.amdhsa_kernel _ZN9rocsolver6v33100L18getri_kernel_smallILi50E19rocblas_complex_numIdEPKPS3_EEvT1_iilPiilS8_bb
		.amdhsa_group_segment_fixed_size 1608
		.amdhsa_private_segment_fixed_size 832
		.amdhsa_kernarg_size 60
		.amdhsa_user_sgpr_count 2
		.amdhsa_user_sgpr_dispatch_ptr 0
		.amdhsa_user_sgpr_queue_ptr 0
		.amdhsa_user_sgpr_kernarg_segment_ptr 1
		.amdhsa_user_sgpr_dispatch_id 0
		.amdhsa_user_sgpr_private_segment_size 0
		.amdhsa_wavefront_size32 1
		.amdhsa_uses_dynamic_stack 0
		.amdhsa_enable_private_segment 1
		.amdhsa_system_sgpr_workgroup_id_x 1
		.amdhsa_system_sgpr_workgroup_id_y 0
		.amdhsa_system_sgpr_workgroup_id_z 0
		.amdhsa_system_sgpr_workgroup_info 0
		.amdhsa_system_vgpr_workitem_id 0
		.amdhsa_next_free_vgpr 165
		.amdhsa_next_free_sgpr 81
		.amdhsa_reserve_vcc 1
		.amdhsa_float_round_mode_32 0
		.amdhsa_float_round_mode_16_64 0
		.amdhsa_float_denorm_mode_32 3
		.amdhsa_float_denorm_mode_16_64 3
		.amdhsa_fp16_overflow 0
		.amdhsa_workgroup_processor_mode 1
		.amdhsa_memory_ordered 1
		.amdhsa_forward_progress 1
		.amdhsa_inst_pref_size 255
		.amdhsa_round_robin_scheduling 0
		.amdhsa_exception_fp_ieee_invalid_op 0
		.amdhsa_exception_fp_denorm_src 0
		.amdhsa_exception_fp_ieee_div_zero 0
		.amdhsa_exception_fp_ieee_overflow 0
		.amdhsa_exception_fp_ieee_underflow 0
		.amdhsa_exception_fp_ieee_inexact 0
		.amdhsa_exception_int_div_zero 0
	.end_amdhsa_kernel
	.section	.text._ZN9rocsolver6v33100L18getri_kernel_smallILi50E19rocblas_complex_numIdEPKPS3_EEvT1_iilPiilS8_bb,"axG",@progbits,_ZN9rocsolver6v33100L18getri_kernel_smallILi50E19rocblas_complex_numIdEPKPS3_EEvT1_iilPiilS8_bb,comdat
.Lfunc_end113:
	.size	_ZN9rocsolver6v33100L18getri_kernel_smallILi50E19rocblas_complex_numIdEPKPS3_EEvT1_iilPiilS8_bb, .Lfunc_end113-_ZN9rocsolver6v33100L18getri_kernel_smallILi50E19rocblas_complex_numIdEPKPS3_EEvT1_iilPiilS8_bb
                                        ; -- End function
	.set _ZN9rocsolver6v33100L18getri_kernel_smallILi50E19rocblas_complex_numIdEPKPS3_EEvT1_iilPiilS8_bb.num_vgpr, 165
	.set _ZN9rocsolver6v33100L18getri_kernel_smallILi50E19rocblas_complex_numIdEPKPS3_EEvT1_iilPiilS8_bb.num_agpr, 0
	.set _ZN9rocsolver6v33100L18getri_kernel_smallILi50E19rocblas_complex_numIdEPKPS3_EEvT1_iilPiilS8_bb.numbered_sgpr, 81
	.set _ZN9rocsolver6v33100L18getri_kernel_smallILi50E19rocblas_complex_numIdEPKPS3_EEvT1_iilPiilS8_bb.num_named_barrier, 0
	.set _ZN9rocsolver6v33100L18getri_kernel_smallILi50E19rocblas_complex_numIdEPKPS3_EEvT1_iilPiilS8_bb.private_seg_size, 832
	.set _ZN9rocsolver6v33100L18getri_kernel_smallILi50E19rocblas_complex_numIdEPKPS3_EEvT1_iilPiilS8_bb.uses_vcc, 1
	.set _ZN9rocsolver6v33100L18getri_kernel_smallILi50E19rocblas_complex_numIdEPKPS3_EEvT1_iilPiilS8_bb.uses_flat_scratch, 1
	.set _ZN9rocsolver6v33100L18getri_kernel_smallILi50E19rocblas_complex_numIdEPKPS3_EEvT1_iilPiilS8_bb.has_dyn_sized_stack, 0
	.set _ZN9rocsolver6v33100L18getri_kernel_smallILi50E19rocblas_complex_numIdEPKPS3_EEvT1_iilPiilS8_bb.has_recursion, 0
	.set _ZN9rocsolver6v33100L18getri_kernel_smallILi50E19rocblas_complex_numIdEPKPS3_EEvT1_iilPiilS8_bb.has_indirect_call, 0
	.section	.AMDGPU.csdata,"",@progbits
; Kernel info:
; codeLenInByte = 102404
; TotalNumSgprs: 83
; NumVgprs: 165
; ScratchSize: 832
; MemoryBound: 0
; FloatMode: 240
; IeeeMode: 1
; LDSByteSize: 1608 bytes/workgroup (compile time only)
; SGPRBlocks: 0
; VGPRBlocks: 20
; NumSGPRsForWavesPerEU: 83
; NumVGPRsForWavesPerEU: 165
; Occupancy: 9
; WaveLimiterHint : 1
; COMPUTE_PGM_RSRC2:SCRATCH_EN: 1
; COMPUTE_PGM_RSRC2:USER_SGPR: 2
; COMPUTE_PGM_RSRC2:TRAP_HANDLER: 0
; COMPUTE_PGM_RSRC2:TGID_X_EN: 1
; COMPUTE_PGM_RSRC2:TGID_Y_EN: 0
; COMPUTE_PGM_RSRC2:TGID_Z_EN: 0
; COMPUTE_PGM_RSRC2:TIDIG_COMP_CNT: 0
	.section	.text._ZN9rocsolver6v33100L18getri_kernel_smallILi51E19rocblas_complex_numIdEPKPS3_EEvT1_iilPiilS8_bb,"axG",@progbits,_ZN9rocsolver6v33100L18getri_kernel_smallILi51E19rocblas_complex_numIdEPKPS3_EEvT1_iilPiilS8_bb,comdat
	.globl	_ZN9rocsolver6v33100L18getri_kernel_smallILi51E19rocblas_complex_numIdEPKPS3_EEvT1_iilPiilS8_bb ; -- Begin function _ZN9rocsolver6v33100L18getri_kernel_smallILi51E19rocblas_complex_numIdEPKPS3_EEvT1_iilPiilS8_bb
	.p2align	8
	.type	_ZN9rocsolver6v33100L18getri_kernel_smallILi51E19rocblas_complex_numIdEPKPS3_EEvT1_iilPiilS8_bb,@function
_ZN9rocsolver6v33100L18getri_kernel_smallILi51E19rocblas_complex_numIdEPKPS3_EEvT1_iilPiilS8_bb: ; @_ZN9rocsolver6v33100L18getri_kernel_smallILi51E19rocblas_complex_numIdEPKPS3_EEvT1_iilPiilS8_bb
; %bb.0:
	s_mov_b32 s2, exec_lo
	v_cmpx_gt_u32_e32 51, v0
	s_cbranch_execz .LBB114_218
; %bb.1:
	s_clause 0x1
	s_load_b32 s13, s[0:1], 0x38
	s_load_b64 s[2:3], s[0:1], 0x0
	s_mov_b32 s8, ttmp9
	s_load_b128 s[4:7], s[0:1], 0x28
	s_wait_kmcnt 0x0
	s_bitcmp1_b32 s13, 8
	s_cselect_b32 s12, -1, 0
	s_ashr_i32 s9, ttmp9, 31
	s_delay_alu instid0(SALU_CYCLE_1) | instskip(NEXT) | instid1(SALU_CYCLE_1)
	s_lshl_b64 s[10:11], s[8:9], 3
	s_add_nc_u64 s[2:3], s[2:3], s[10:11]
	s_load_b64 s[10:11], s[2:3], 0x0
	s_bfe_u32 s2, s13, 0x10008
	s_delay_alu instid0(SALU_CYCLE_1)
	s_cmp_eq_u32 s2, 0
                                        ; implicit-def: $sgpr2_sgpr3
	s_cbranch_scc1 .LBB114_3
; %bb.2:
	s_load_b96 s[16:18], s[0:1], 0x18
	s_mul_u64 s[2:3], s[4:5], s[8:9]
	s_delay_alu instid0(SALU_CYCLE_1)
	s_lshl_b64 s[2:3], s[2:3], 2
	s_wait_kmcnt 0x0
	s_ashr_i32 s5, s18, 31
	s_mov_b32 s4, s18
	s_add_nc_u64 s[2:3], s[16:17], s[2:3]
	s_lshl_b64 s[4:5], s[4:5], 2
	s_delay_alu instid0(SALU_CYCLE_1)
	s_add_nc_u64 s[2:3], s[2:3], s[4:5]
.LBB114_3:
	s_clause 0x1
	s_load_b64 s[4:5], s[0:1], 0x8
	s_load_b32 s60, s[0:1], 0x38
	v_lshlrev_b32_e32 v13, 4, v0
	s_movk_i32 s14, 0x90
	s_movk_i32 s16, 0xa0
	;; [unrolled: 1-line block ×17, first 2 shown]
	s_wait_kmcnt 0x0
	s_ashr_i32 s1, s4, 31
	s_mov_b32 s0, s4
	v_add3_u32 v5, s5, s5, v0
	s_lshl_b64 s[0:1], s[0:1], 4
	s_movk_i32 s33, 0x1a0
	s_add_nc_u64 s[0:1], s[10:11], s[0:1]
	s_ashr_i32 s11, s5, 31
	v_add_co_u32 v42, s4, s0, v13
	s_wait_alu 0xf1ff
	v_add_co_ci_u32_e64 v43, null, s1, 0, s4
	s_mov_b32 s10, s5
	v_ashrrev_i32_e32 v6, 31, v5
	s_lshl_b64 s[10:11], s[10:11], 4
	flat_load_b128 v[1:4], v[42:43]
	v_add_co_u32 v44, vcc_lo, v42, s10
	s_delay_alu instid0(VALU_DEP_1)
	v_add_co_ci_u32_e64 v45, null, s11, v43, vcc_lo
	v_lshlrev_b64_e32 v[6:7], 4, v[5:6]
	v_add_nc_u32_e32 v5, s5, v5
	s_movk_i32 s11, 0x80
	s_movk_i32 s34, 0x1b0
	s_movk_i32 s35, 0x1c0
	s_movk_i32 s61, 0x1d0
	v_add_co_u32 v46, vcc_lo, s0, v6
	s_wait_alu 0xfffd
	v_add_co_ci_u32_e64 v47, null, s1, v7, vcc_lo
	v_ashrrev_i32_e32 v6, 31, v5
	s_movk_i32 s62, 0x1e0
	s_movk_i32 s63, 0x1f0
	s_movk_i32 s64, 0x200
	s_movk_i32 s65, 0x210
	v_lshlrev_b64_e32 v[6:7], 4, v[5:6]
	v_add_nc_u32_e32 v5, s5, v5
	s_movk_i32 s66, 0x220
	s_movk_i32 s67, 0x230
	s_movk_i32 s68, 0x240
	s_movk_i32 s69, 0x250
	v_add_co_u32 v48, vcc_lo, s0, v6
	s_wait_alu 0xfffd
	v_add_co_ci_u32_e64 v49, null, s1, v7, vcc_lo
	v_ashrrev_i32_e32 v6, 31, v5
	s_movk_i32 s70, 0x260
	s_movk_i32 s71, 0x270
	s_movk_i32 s72, 0x280
	s_movk_i32 s73, 0x290
	;; [unrolled: 14-line block ×3, first 2 shown]
	v_lshlrev_b64_e32 v[6:7], 4, v[5:6]
	v_add_nc_u32_e32 v5, s5, v5
	s_movk_i32 s82, 0x320
	s_wait_alu 0xfffe
	s_add_co_i32 s56, s11, 16
	s_add_co_i32 s55, s14, 16
	s_add_co_i32 s54, s16, 16
	v_add_co_u32 v52, vcc_lo, s0, v6
	s_wait_alu 0xfffd
	v_add_co_ci_u32_e64 v53, null, s1, v7, vcc_lo
	v_ashrrev_i32_e32 v6, 31, v5
	s_add_co_i32 s53, s17, 16
	s_add_co_i32 s52, s18, 16
	s_add_co_i32 s51, s19, 16
	s_add_co_i32 s50, s20, 16
	v_lshlrev_b64_e32 v[6:7], 4, v[5:6]
	v_add_nc_u32_e32 v5, s5, v5
	s_add_co_i32 s49, s21, 16
	s_add_co_i32 s48, s22, 16
	s_add_co_i32 s47, s23, 16
	s_add_co_i32 s46, s24, 16
	v_add_co_u32 v54, vcc_lo, s0, v6
	s_wait_alu 0xfffd
	v_add_co_ci_u32_e64 v55, null, s1, v7, vcc_lo
	v_ashrrev_i32_e32 v6, 31, v5
	s_add_co_i32 s45, s25, 16
	s_add_co_i32 s44, s26, 16
	s_add_co_i32 s43, s27, 16
	s_add_co_i32 s42, s28, 16
	v_lshlrev_b64_e32 v[6:7], 4, v[5:6]
	v_add_nc_u32_e32 v5, s5, v5
	s_add_co_i32 s41, s29, 16
	;; [unrolled: 14-line block ×5, first 2 shown]
	s_add_co_i32 s14, s80, 16
	s_add_co_i32 s11, s81, 16
	s_mov_b32 s15, 32
	v_add_co_u32 v62, vcc_lo, s0, v6
	s_wait_alu 0xfffd
	v_add_co_ci_u32_e64 v63, null, s1, v7, vcc_lo
	v_ashrrev_i32_e32 v6, 31, v5
	s_mov_b32 s13, 48
	s_mov_b32 s10, 64
	s_movk_i32 s4, 0x50
	s_delay_alu instid0(VALU_DEP_1) | instskip(SKIP_1) | instid1(VALU_DEP_2)
	v_lshlrev_b64_e32 v[6:7], 4, v[5:6]
	v_add_nc_u32_e32 v5, s5, v5
	v_add_co_u32 v64, vcc_lo, s0, v6
	s_wait_alu 0xfffd
	s_delay_alu instid0(VALU_DEP_3) | instskip(NEXT) | instid1(VALU_DEP_3)
	v_add_co_ci_u32_e64 v65, null, s1, v7, vcc_lo
	v_ashrrev_i32_e32 v6, 31, v5
	s_delay_alu instid0(VALU_DEP_1) | instskip(SKIP_1) | instid1(VALU_DEP_2)
	v_lshlrev_b64_e32 v[6:7], 4, v[5:6]
	v_add_nc_u32_e32 v5, s5, v5
	v_add_co_u32 v66, vcc_lo, s0, v6
	s_wait_alu 0xfffd
	s_delay_alu instid0(VALU_DEP_3) | instskip(NEXT) | instid1(VALU_DEP_3)
	v_add_co_ci_u32_e64 v67, null, s1, v7, vcc_lo
	v_ashrrev_i32_e32 v6, 31, v5
	;; [unrolled: 8-line block ×12, first 2 shown]
	s_delay_alu instid0(VALU_DEP_1)
	v_lshlrev_b64_e32 v[6:7], 4, v[5:6]
	s_wait_loadcnt_dscnt 0x0
	scratch_store_b128 off, v[1:4], off offset:16
	flat_load_b128 v[1:4], v[44:45]
	v_add_nc_u32_e32 v5, s5, v5
	v_add_co_u32 v88, vcc_lo, s0, v6
	s_wait_alu 0xfffd
	v_add_co_ci_u32_e64 v89, null, s1, v7, vcc_lo
	s_delay_alu instid0(VALU_DEP_3) | instskip(NEXT) | instid1(VALU_DEP_1)
	v_ashrrev_i32_e32 v6, 31, v5
	v_lshlrev_b64_e32 v[6:7], 4, v[5:6]
	v_add_nc_u32_e32 v5, s5, v5
	s_delay_alu instid0(VALU_DEP_2) | instskip(SKIP_1) | instid1(VALU_DEP_3)
	v_add_co_u32 v90, vcc_lo, s0, v6
	s_wait_alu 0xfffd
	v_add_co_ci_u32_e64 v91, null, s1, v7, vcc_lo
	s_delay_alu instid0(VALU_DEP_3) | instskip(NEXT) | instid1(VALU_DEP_1)
	v_ashrrev_i32_e32 v6, 31, v5
	v_lshlrev_b64_e32 v[6:7], 4, v[5:6]
	v_add_nc_u32_e32 v5, s5, v5
	s_delay_alu instid0(VALU_DEP_2) | instskip(SKIP_1) | instid1(VALU_DEP_3)
	;; [unrolled: 8-line block ×20, first 2 shown]
	v_add_co_u32 v128, vcc_lo, s0, v6
	s_wait_alu 0xfffd
	v_add_co_ci_u32_e64 v129, null, s1, v7, vcc_lo
	s_delay_alu instid0(VALU_DEP_3) | instskip(NEXT) | instid1(VALU_DEP_1)
	v_ashrrev_i32_e32 v6, 31, v5
	v_lshlrev_b64_e32 v[6:7], 4, v[5:6]
	v_add_nc_u32_e32 v5, s5, v5
	s_delay_alu instid0(VALU_DEP_2)
	v_add_co_u32 v130, vcc_lo, s0, v6
	s_wait_loadcnt_dscnt 0x0
	scratch_store_b128 off, v[1:4], off offset:32
	flat_load_b128 v[1:4], v[46:47]
	s_wait_alu 0xfffd
	v_add_co_ci_u32_e64 v131, null, s1, v7, vcc_lo
	v_ashrrev_i32_e32 v6, 31, v5
	s_delay_alu instid0(VALU_DEP_1) | instskip(SKIP_1) | instid1(VALU_DEP_2)
	v_lshlrev_b64_e32 v[6:7], 4, v[5:6]
	v_add_nc_u32_e32 v5, s5, v5
	v_add_co_u32 v132, vcc_lo, s0, v6
	s_wait_alu 0xfffd
	s_delay_alu instid0(VALU_DEP_3) | instskip(NEXT) | instid1(VALU_DEP_3)
	v_add_co_ci_u32_e64 v133, null, s1, v7, vcc_lo
	v_ashrrev_i32_e32 v6, 31, v5
	s_delay_alu instid0(VALU_DEP_1) | instskip(SKIP_1) | instid1(VALU_DEP_2)
	v_lshlrev_b64_e32 v[6:7], 4, v[5:6]
	v_add_nc_u32_e32 v5, s5, v5
	v_add_co_u32 v134, vcc_lo, s0, v6
	s_wait_alu 0xfffd
	s_delay_alu instid0(VALU_DEP_3) | instskip(NEXT) | instid1(VALU_DEP_3)
	;; [unrolled: 8-line block ×4, first 2 shown]
	v_add_co_ci_u32_e64 v139, null, s1, v7, vcc_lo
	v_ashrrev_i32_e32 v6, 31, v5
	s_delay_alu instid0(VALU_DEP_1)
	v_lshlrev_b64_e32 v[6:7], 4, v[5:6]
	v_add_nc_u32_e32 v5, s5, v5
	s_movk_i32 s5, 0x70
	s_wait_alu 0xfffe
	s_add_co_i32 s57, s5, 16
	s_add_co_i32 s5, s82, 16
	v_add_co_u32 v140, vcc_lo, s0, v6
	s_wait_alu 0xfffd
	v_add_co_ci_u32_e64 v141, null, s1, v7, vcc_lo
	v_ashrrev_i32_e32 v6, 31, v5
	s_delay_alu instid0(VALU_DEP_1) | instskip(NEXT) | instid1(VALU_DEP_1)
	v_lshlrev_b64_e32 v[5:6], 4, v[5:6]
	v_add_co_u32 v142, vcc_lo, s0, v5
	s_wait_alu 0xfffd
	s_delay_alu instid0(VALU_DEP_2)
	v_add_co_ci_u32_e64 v143, null, s1, v6, vcc_lo
	s_movk_i32 s0, 0x50
	s_movk_i32 s1, 0x60
	s_wait_alu 0xfffe
	s_add_co_i32 s59, s0, 16
	s_add_co_i32 s58, s1, 16
	s_bitcmp0_b32 s60, 0
	s_mov_b32 s1, -1
	s_wait_loadcnt_dscnt 0x0
	scratch_store_b128 off, v[1:4], off offset:48
	flat_load_b128 v[1:4], v[48:49]
	s_wait_loadcnt_dscnt 0x0
	scratch_store_b128 off, v[1:4], off offset:64
	flat_load_b128 v[1:4], v[50:51]
	;; [unrolled: 3-line block ×48, first 2 shown]
	s_wait_loadcnt_dscnt 0x0
	scratch_store_b128 off, v[1:4], off offset:816
	s_cbranch_scc1 .LBB114_216
; %bb.4:
	v_cmp_eq_u32_e64 s0, 0, v0
	s_and_saveexec_b32 s1, s0
; %bb.5:
	v_mov_b32_e32 v1, 0
	ds_store_b32 v1, v1 offset:1632
; %bb.6:
	s_wait_alu 0xfffe
	s_or_b32 exec_lo, exec_lo, s1
	s_wait_storecnt_dscnt 0x0
	s_barrier_signal -1
	s_barrier_wait -1
	global_inv scope:SCOPE_SE
	scratch_load_b128 v[1:4], v13, off offset:16
	s_wait_loadcnt 0x0
	v_cmp_eq_f64_e32 vcc_lo, 0, v[1:2]
	v_cmp_eq_f64_e64 s1, 0, v[3:4]
	s_and_b32 s1, vcc_lo, s1
	s_wait_alu 0xfffe
	s_and_saveexec_b32 s60, s1
	s_cbranch_execz .LBB114_10
; %bb.7:
	v_mov_b32_e32 v1, 0
	s_mov_b32 s61, 0
	ds_load_b32 v2, v1 offset:1632
	s_wait_dscnt 0x0
	v_readfirstlane_b32 s1, v2
	v_add_nc_u32_e32 v2, 1, v0
	s_cmp_eq_u32 s1, 0
	s_delay_alu instid0(VALU_DEP_1) | instskip(SKIP_1) | instid1(SALU_CYCLE_1)
	v_cmp_gt_i32_e32 vcc_lo, s1, v2
	s_cselect_b32 s62, -1, 0
	s_or_b32 s62, s62, vcc_lo
	s_delay_alu instid0(SALU_CYCLE_1)
	s_and_b32 exec_lo, exec_lo, s62
	s_cbranch_execz .LBB114_10
; %bb.8:
	v_mov_b32_e32 v3, s1
.LBB114_9:                              ; =>This Inner Loop Header: Depth=1
	ds_cmpstore_rtn_b32 v3, v1, v2, v3 offset:1632
	s_wait_dscnt 0x0
	v_cmp_ne_u32_e32 vcc_lo, 0, v3
	v_cmp_le_i32_e64 s1, v3, v2
	s_and_b32 s1, vcc_lo, s1
	s_wait_alu 0xfffe
	s_and_b32 s1, exec_lo, s1
	s_wait_alu 0xfffe
	s_or_b32 s61, s1, s61
	s_delay_alu instid0(SALU_CYCLE_1)
	s_and_not1_b32 exec_lo, exec_lo, s61
	s_cbranch_execnz .LBB114_9
.LBB114_10:
	s_or_b32 exec_lo, exec_lo, s60
	v_mov_b32_e32 v1, 0
	s_barrier_signal -1
	s_barrier_wait -1
	global_inv scope:SCOPE_SE
	ds_load_b32 v2, v1 offset:1632
	s_and_saveexec_b32 s1, s0
	s_cbranch_execz .LBB114_12
; %bb.11:
	s_lshl_b64 s[60:61], s[8:9], 2
	s_delay_alu instid0(SALU_CYCLE_1)
	s_add_nc_u64 s[60:61], s[6:7], s[60:61]
	s_wait_dscnt 0x0
	global_store_b32 v1, v2, s[60:61]
.LBB114_12:
	s_wait_alu 0xfffe
	s_or_b32 exec_lo, exec_lo, s1
	s_wait_dscnt 0x0
	v_cmp_ne_u32_e32 vcc_lo, 0, v2
	s_mov_b32 s1, 0
	s_cbranch_vccnz .LBB114_216
; %bb.13:
	v_add_nc_u32_e32 v14, 16, v13
                                        ; implicit-def: $vgpr1_vgpr2
                                        ; implicit-def: $vgpr9_vgpr10
	scratch_load_b128 v[5:8], v14, off
	s_wait_loadcnt 0x0
	v_cmp_ngt_f64_e64 s1, |v[5:6]|, |v[7:8]|
	s_wait_alu 0xfffe
	s_and_saveexec_b32 s60, s1
	s_delay_alu instid0(SALU_CYCLE_1)
	s_xor_b32 s1, exec_lo, s60
	s_cbranch_execz .LBB114_15
; %bb.14:
	v_div_scale_f64 v[1:2], null, v[7:8], v[7:8], v[5:6]
	v_div_scale_f64 v[11:12], vcc_lo, v[5:6], v[7:8], v[5:6]
	s_delay_alu instid0(VALU_DEP_2) | instskip(NEXT) | instid1(TRANS32_DEP_1)
	v_rcp_f64_e32 v[3:4], v[1:2]
	v_fma_f64 v[9:10], -v[1:2], v[3:4], 1.0
	s_delay_alu instid0(VALU_DEP_1) | instskip(NEXT) | instid1(VALU_DEP_1)
	v_fma_f64 v[3:4], v[3:4], v[9:10], v[3:4]
	v_fma_f64 v[9:10], -v[1:2], v[3:4], 1.0
	s_delay_alu instid0(VALU_DEP_1) | instskip(NEXT) | instid1(VALU_DEP_1)
	v_fma_f64 v[3:4], v[3:4], v[9:10], v[3:4]
	v_mul_f64_e32 v[9:10], v[11:12], v[3:4]
	s_delay_alu instid0(VALU_DEP_1) | instskip(SKIP_1) | instid1(VALU_DEP_1)
	v_fma_f64 v[1:2], -v[1:2], v[9:10], v[11:12]
	s_wait_alu 0xfffd
	v_div_fmas_f64 v[1:2], v[1:2], v[3:4], v[9:10]
	s_delay_alu instid0(VALU_DEP_1) | instskip(NEXT) | instid1(VALU_DEP_1)
	v_div_fixup_f64 v[1:2], v[1:2], v[7:8], v[5:6]
	v_fma_f64 v[3:4], v[5:6], v[1:2], v[7:8]
	s_delay_alu instid0(VALU_DEP_1) | instskip(SKIP_1) | instid1(VALU_DEP_2)
	v_div_scale_f64 v[5:6], null, v[3:4], v[3:4], 1.0
	v_div_scale_f64 v[11:12], vcc_lo, 1.0, v[3:4], 1.0
	v_rcp_f64_e32 v[7:8], v[5:6]
	s_delay_alu instid0(TRANS32_DEP_1) | instskip(NEXT) | instid1(VALU_DEP_1)
	v_fma_f64 v[9:10], -v[5:6], v[7:8], 1.0
	v_fma_f64 v[7:8], v[7:8], v[9:10], v[7:8]
	s_delay_alu instid0(VALU_DEP_1) | instskip(NEXT) | instid1(VALU_DEP_1)
	v_fma_f64 v[9:10], -v[5:6], v[7:8], 1.0
	v_fma_f64 v[7:8], v[7:8], v[9:10], v[7:8]
	s_delay_alu instid0(VALU_DEP_1) | instskip(NEXT) | instid1(VALU_DEP_1)
	v_mul_f64_e32 v[9:10], v[11:12], v[7:8]
	v_fma_f64 v[5:6], -v[5:6], v[9:10], v[11:12]
	s_wait_alu 0xfffd
	s_delay_alu instid0(VALU_DEP_1) | instskip(NEXT) | instid1(VALU_DEP_1)
	v_div_fmas_f64 v[5:6], v[5:6], v[7:8], v[9:10]
	v_div_fixup_f64 v[3:4], v[5:6], v[3:4], 1.0
                                        ; implicit-def: $vgpr5_vgpr6
	s_delay_alu instid0(VALU_DEP_1) | instskip(SKIP_1) | instid1(VALU_DEP_2)
	v_mul_f64_e32 v[1:2], v[1:2], v[3:4]
	v_xor_b32_e32 v4, 0x80000000, v4
	v_xor_b32_e32 v10, 0x80000000, v2
	s_delay_alu instid0(VALU_DEP_3)
	v_mov_b32_e32 v9, v1
.LBB114_15:
	s_wait_alu 0xfffe
	s_and_not1_saveexec_b32 s1, s1
	s_cbranch_execz .LBB114_17
; %bb.16:
	v_div_scale_f64 v[1:2], null, v[5:6], v[5:6], v[7:8]
	v_div_scale_f64 v[11:12], vcc_lo, v[7:8], v[5:6], v[7:8]
	s_delay_alu instid0(VALU_DEP_2) | instskip(NEXT) | instid1(TRANS32_DEP_1)
	v_rcp_f64_e32 v[3:4], v[1:2]
	v_fma_f64 v[9:10], -v[1:2], v[3:4], 1.0
	s_delay_alu instid0(VALU_DEP_1) | instskip(NEXT) | instid1(VALU_DEP_1)
	v_fma_f64 v[3:4], v[3:4], v[9:10], v[3:4]
	v_fma_f64 v[9:10], -v[1:2], v[3:4], 1.0
	s_delay_alu instid0(VALU_DEP_1) | instskip(NEXT) | instid1(VALU_DEP_1)
	v_fma_f64 v[3:4], v[3:4], v[9:10], v[3:4]
	v_mul_f64_e32 v[9:10], v[11:12], v[3:4]
	s_delay_alu instid0(VALU_DEP_1) | instskip(SKIP_1) | instid1(VALU_DEP_1)
	v_fma_f64 v[1:2], -v[1:2], v[9:10], v[11:12]
	s_wait_alu 0xfffd
	v_div_fmas_f64 v[1:2], v[1:2], v[3:4], v[9:10]
	s_delay_alu instid0(VALU_DEP_1) | instskip(NEXT) | instid1(VALU_DEP_1)
	v_div_fixup_f64 v[3:4], v[1:2], v[5:6], v[7:8]
	v_fma_f64 v[1:2], v[7:8], v[3:4], v[5:6]
	s_delay_alu instid0(VALU_DEP_1) | instskip(NEXT) | instid1(VALU_DEP_1)
	v_div_scale_f64 v[5:6], null, v[1:2], v[1:2], 1.0
	v_rcp_f64_e32 v[7:8], v[5:6]
	s_delay_alu instid0(TRANS32_DEP_1) | instskip(NEXT) | instid1(VALU_DEP_1)
	v_fma_f64 v[9:10], -v[5:6], v[7:8], 1.0
	v_fma_f64 v[7:8], v[7:8], v[9:10], v[7:8]
	s_delay_alu instid0(VALU_DEP_1) | instskip(NEXT) | instid1(VALU_DEP_1)
	v_fma_f64 v[9:10], -v[5:6], v[7:8], 1.0
	v_fma_f64 v[7:8], v[7:8], v[9:10], v[7:8]
	v_div_scale_f64 v[9:10], vcc_lo, 1.0, v[1:2], 1.0
	s_delay_alu instid0(VALU_DEP_1) | instskip(NEXT) | instid1(VALU_DEP_1)
	v_mul_f64_e32 v[11:12], v[9:10], v[7:8]
	v_fma_f64 v[5:6], -v[5:6], v[11:12], v[9:10]
	s_wait_alu 0xfffd
	s_delay_alu instid0(VALU_DEP_1) | instskip(NEXT) | instid1(VALU_DEP_1)
	v_div_fmas_f64 v[5:6], v[5:6], v[7:8], v[11:12]
	v_div_fixup_f64 v[1:2], v[5:6], v[1:2], 1.0
	s_delay_alu instid0(VALU_DEP_1)
	v_mul_f64_e64 v[3:4], v[3:4], -v[1:2]
	v_xor_b32_e32 v10, 0x80000000, v2
	v_mov_b32_e32 v9, v1
.LBB114_17:
	s_wait_alu 0xfffe
	s_or_b32 exec_lo, exec_lo, s1
	scratch_store_b128 v14, v[1:4], off
	scratch_load_b128 v[15:18], off, s15
	v_xor_b32_e32 v12, 0x80000000, v4
	v_mov_b32_e32 v11, v3
	v_add_nc_u32_e32 v5, 0x330, v13
	ds_store_b128 v13, v[9:12]
	s_wait_loadcnt 0x0
	ds_store_b128 v13, v[15:18] offset:816
	s_wait_storecnt_dscnt 0x0
	s_barrier_signal -1
	s_barrier_wait -1
	global_inv scope:SCOPE_SE
	s_and_saveexec_b32 s1, s0
	s_cbranch_execz .LBB114_19
; %bb.18:
	scratch_load_b128 v[1:4], v14, off
	ds_load_b128 v[6:9], v5
	v_mov_b32_e32 v10, 0
	ds_load_b128 v[15:18], v10 offset:16
	s_wait_loadcnt_dscnt 0x1
	v_mul_f64_e32 v[10:11], v[6:7], v[3:4]
	v_mul_f64_e32 v[3:4], v[8:9], v[3:4]
	s_delay_alu instid0(VALU_DEP_2) | instskip(NEXT) | instid1(VALU_DEP_2)
	v_fma_f64 v[8:9], v[8:9], v[1:2], v[10:11]
	v_fma_f64 v[1:2], v[6:7], v[1:2], -v[3:4]
	s_delay_alu instid0(VALU_DEP_2) | instskip(NEXT) | instid1(VALU_DEP_2)
	v_add_f64_e32 v[3:4], 0, v[8:9]
	v_add_f64_e32 v[1:2], 0, v[1:2]
	s_wait_dscnt 0x0
	s_delay_alu instid0(VALU_DEP_2) | instskip(NEXT) | instid1(VALU_DEP_2)
	v_mul_f64_e32 v[6:7], v[3:4], v[17:18]
	v_mul_f64_e32 v[8:9], v[1:2], v[17:18]
	s_delay_alu instid0(VALU_DEP_2) | instskip(NEXT) | instid1(VALU_DEP_2)
	v_fma_f64 v[1:2], v[1:2], v[15:16], -v[6:7]
	v_fma_f64 v[3:4], v[3:4], v[15:16], v[8:9]
	scratch_store_b128 off, v[1:4], off offset:32
.LBB114_19:
	s_wait_alu 0xfffe
	s_or_b32 exec_lo, exec_lo, s1
	s_wait_loadcnt 0x0
	s_wait_storecnt 0x0
	s_barrier_signal -1
	s_barrier_wait -1
	global_inv scope:SCOPE_SE
	scratch_load_b128 v[1:4], off, s13
	s_mov_b32 s1, exec_lo
	s_wait_loadcnt 0x0
	ds_store_b128 v5, v[1:4]
	s_wait_dscnt 0x0
	s_barrier_signal -1
	s_barrier_wait -1
	global_inv scope:SCOPE_SE
	v_cmpx_gt_u32_e32 2, v0
	s_cbranch_execz .LBB114_23
; %bb.20:
	scratch_load_b128 v[1:4], v14, off
	ds_load_b128 v[6:9], v5
	s_wait_loadcnt_dscnt 0x0
	v_mul_f64_e32 v[10:11], v[8:9], v[3:4]
	v_mul_f64_e32 v[3:4], v[6:7], v[3:4]
	s_delay_alu instid0(VALU_DEP_2) | instskip(NEXT) | instid1(VALU_DEP_2)
	v_fma_f64 v[6:7], v[6:7], v[1:2], -v[10:11]
	v_fma_f64 v[3:4], v[8:9], v[1:2], v[3:4]
	s_delay_alu instid0(VALU_DEP_2) | instskip(NEXT) | instid1(VALU_DEP_2)
	v_add_f64_e32 v[1:2], 0, v[6:7]
	v_add_f64_e32 v[3:4], 0, v[3:4]
	s_and_saveexec_b32 s60, s0
	s_cbranch_execz .LBB114_22
; %bb.21:
	scratch_load_b128 v[6:9], off, off offset:32
	v_mov_b32_e32 v10, 0
	ds_load_b128 v[15:18], v10 offset:832
	s_wait_loadcnt_dscnt 0x0
	v_mul_f64_e32 v[10:11], v[15:16], v[8:9]
	v_mul_f64_e32 v[8:9], v[17:18], v[8:9]
	s_delay_alu instid0(VALU_DEP_2) | instskip(NEXT) | instid1(VALU_DEP_2)
	v_fma_f64 v[10:11], v[17:18], v[6:7], v[10:11]
	v_fma_f64 v[6:7], v[15:16], v[6:7], -v[8:9]
	s_delay_alu instid0(VALU_DEP_2) | instskip(NEXT) | instid1(VALU_DEP_2)
	v_add_f64_e32 v[3:4], v[3:4], v[10:11]
	v_add_f64_e32 v[1:2], v[1:2], v[6:7]
.LBB114_22:
	s_or_b32 exec_lo, exec_lo, s60
	v_mov_b32_e32 v6, 0
	ds_load_b128 v[6:9], v6 offset:32
	s_wait_dscnt 0x0
	v_mul_f64_e32 v[10:11], v[3:4], v[8:9]
	v_mul_f64_e32 v[8:9], v[1:2], v[8:9]
	s_delay_alu instid0(VALU_DEP_2) | instskip(NEXT) | instid1(VALU_DEP_2)
	v_fma_f64 v[1:2], v[1:2], v[6:7], -v[10:11]
	v_fma_f64 v[3:4], v[3:4], v[6:7], v[8:9]
	scratch_store_b128 off, v[1:4], off offset:48
.LBB114_23:
	s_wait_alu 0xfffe
	s_or_b32 exec_lo, exec_lo, s1
	s_wait_loadcnt 0x0
	s_wait_storecnt 0x0
	s_barrier_signal -1
	s_barrier_wait -1
	global_inv scope:SCOPE_SE
	scratch_load_b128 v[1:4], off, s10
	v_add_nc_u32_e32 v6, -1, v0
	s_mov_b32 s0, exec_lo
	s_wait_loadcnt 0x0
	ds_store_b128 v5, v[1:4]
	s_wait_dscnt 0x0
	s_barrier_signal -1
	s_barrier_wait -1
	global_inv scope:SCOPE_SE
	v_cmpx_gt_u32_e32 3, v0
	s_cbranch_execz .LBB114_27
; %bb.24:
	v_dual_mov_b32 v1, 0 :: v_dual_add_nc_u32 v8, 0x330, v13
	v_mov_b32_e32 v3, 0
	v_dual_mov_b32 v2, 0 :: v_dual_add_nc_u32 v7, -1, v0
	v_mov_b32_e32 v4, 0
	v_or_b32_e32 v9, 8, v14
	s_mov_b32 s1, 0
.LBB114_25:                             ; =>This Inner Loop Header: Depth=1
	scratch_load_b128 v[15:18], v9, off offset:-8
	ds_load_b128 v[19:22], v8
	v_add_nc_u32_e32 v7, 1, v7
	v_add_nc_u32_e32 v8, 16, v8
	v_add_nc_u32_e32 v9, 16, v9
	s_delay_alu instid0(VALU_DEP_3)
	v_cmp_lt_u32_e32 vcc_lo, 1, v7
	s_wait_alu 0xfffe
	s_or_b32 s1, vcc_lo, s1
	s_wait_loadcnt_dscnt 0x0
	v_mul_f64_e32 v[10:11], v[21:22], v[17:18]
	v_mul_f64_e32 v[17:18], v[19:20], v[17:18]
	s_delay_alu instid0(VALU_DEP_2) | instskip(NEXT) | instid1(VALU_DEP_2)
	v_fma_f64 v[10:11], v[19:20], v[15:16], -v[10:11]
	v_fma_f64 v[15:16], v[21:22], v[15:16], v[17:18]
	s_delay_alu instid0(VALU_DEP_2) | instskip(NEXT) | instid1(VALU_DEP_2)
	v_add_f64_e32 v[3:4], v[3:4], v[10:11]
	v_add_f64_e32 v[1:2], v[1:2], v[15:16]
	s_wait_alu 0xfffe
	s_and_not1_b32 exec_lo, exec_lo, s1
	s_cbranch_execnz .LBB114_25
; %bb.26:
	s_or_b32 exec_lo, exec_lo, s1
	v_mov_b32_e32 v7, 0
	ds_load_b128 v[7:10], v7 offset:48
	s_wait_dscnt 0x0
	v_mul_f64_e32 v[11:12], v[1:2], v[9:10]
	v_mul_f64_e32 v[15:16], v[3:4], v[9:10]
	s_delay_alu instid0(VALU_DEP_2) | instskip(NEXT) | instid1(VALU_DEP_2)
	v_fma_f64 v[9:10], v[3:4], v[7:8], -v[11:12]
	v_fma_f64 v[11:12], v[1:2], v[7:8], v[15:16]
	scratch_store_b128 off, v[9:12], off offset:64
.LBB114_27:
	s_wait_alu 0xfffe
	s_or_b32 exec_lo, exec_lo, s0
	s_wait_loadcnt 0x0
	s_wait_storecnt 0x0
	s_barrier_signal -1
	s_barrier_wait -1
	global_inv scope:SCOPE_SE
	scratch_load_b128 v[1:4], off, s4
	s_mov_b32 s0, exec_lo
	s_wait_loadcnt 0x0
	ds_store_b128 v5, v[1:4]
	s_wait_dscnt 0x0
	s_barrier_signal -1
	s_barrier_wait -1
	global_inv scope:SCOPE_SE
	v_cmpx_gt_u32_e32 4, v0
	s_cbranch_execz .LBB114_31
; %bb.28:
	v_dual_mov_b32 v1, 0 :: v_dual_add_nc_u32 v8, 0x330, v13
	v_mov_b32_e32 v3, 0
	v_dual_mov_b32 v2, 0 :: v_dual_add_nc_u32 v7, -1, v0
	v_mov_b32_e32 v4, 0
	v_or_b32_e32 v9, 8, v14
	s_mov_b32 s1, 0
.LBB114_29:                             ; =>This Inner Loop Header: Depth=1
	scratch_load_b128 v[15:18], v9, off offset:-8
	ds_load_b128 v[19:22], v8
	v_add_nc_u32_e32 v7, 1, v7
	v_add_nc_u32_e32 v8, 16, v8
	v_add_nc_u32_e32 v9, 16, v9
	s_delay_alu instid0(VALU_DEP_3)
	v_cmp_lt_u32_e32 vcc_lo, 2, v7
	s_wait_alu 0xfffe
	s_or_b32 s1, vcc_lo, s1
	s_wait_loadcnt_dscnt 0x0
	v_mul_f64_e32 v[10:11], v[21:22], v[17:18]
	v_mul_f64_e32 v[17:18], v[19:20], v[17:18]
	s_delay_alu instid0(VALU_DEP_2) | instskip(NEXT) | instid1(VALU_DEP_2)
	v_fma_f64 v[10:11], v[19:20], v[15:16], -v[10:11]
	v_fma_f64 v[15:16], v[21:22], v[15:16], v[17:18]
	s_delay_alu instid0(VALU_DEP_2) | instskip(NEXT) | instid1(VALU_DEP_2)
	v_add_f64_e32 v[3:4], v[3:4], v[10:11]
	v_add_f64_e32 v[1:2], v[1:2], v[15:16]
	s_wait_alu 0xfffe
	s_and_not1_b32 exec_lo, exec_lo, s1
	s_cbranch_execnz .LBB114_29
; %bb.30:
	s_or_b32 exec_lo, exec_lo, s1
	v_mov_b32_e32 v7, 0
	ds_load_b128 v[7:10], v7 offset:64
	s_wait_dscnt 0x0
	v_mul_f64_e32 v[11:12], v[1:2], v[9:10]
	v_mul_f64_e32 v[15:16], v[3:4], v[9:10]
	s_delay_alu instid0(VALU_DEP_2) | instskip(NEXT) | instid1(VALU_DEP_2)
	v_fma_f64 v[9:10], v[3:4], v[7:8], -v[11:12]
	v_fma_f64 v[11:12], v[1:2], v[7:8], v[15:16]
	scratch_store_b128 off, v[9:12], off offset:80
.LBB114_31:
	s_wait_alu 0xfffe
	s_or_b32 exec_lo, exec_lo, s0
	s_wait_loadcnt 0x0
	s_wait_storecnt 0x0
	s_barrier_signal -1
	s_barrier_wait -1
	global_inv scope:SCOPE_SE
	scratch_load_b128 v[1:4], off, s59
	;; [unrolled: 58-line block ×19, first 2 shown]
	s_mov_b32 s0, exec_lo
	s_wait_loadcnt 0x0
	ds_store_b128 v5, v[1:4]
	s_wait_dscnt 0x0
	s_barrier_signal -1
	s_barrier_wait -1
	global_inv scope:SCOPE_SE
	v_cmpx_gt_u32_e32 22, v0
	s_cbranch_execz .LBB114_103
; %bb.100:
	v_dual_mov_b32 v1, 0 :: v_dual_add_nc_u32 v8, 0x330, v13
	v_mov_b32_e32 v3, 0
	v_dual_mov_b32 v2, 0 :: v_dual_add_nc_u32 v7, -1, v0
	v_mov_b32_e32 v4, 0
	v_or_b32_e32 v9, 8, v14
	s_mov_b32 s1, 0
.LBB114_101:                            ; =>This Inner Loop Header: Depth=1
	scratch_load_b128 v[15:18], v9, off offset:-8
	ds_load_b128 v[19:22], v8
	v_add_nc_u32_e32 v7, 1, v7
	v_add_nc_u32_e32 v8, 16, v8
	v_add_nc_u32_e32 v9, 16, v9
	s_delay_alu instid0(VALU_DEP_3)
	v_cmp_lt_u32_e32 vcc_lo, 20, v7
	s_wait_alu 0xfffe
	s_or_b32 s1, vcc_lo, s1
	s_wait_loadcnt_dscnt 0x0
	v_mul_f64_e32 v[10:11], v[21:22], v[17:18]
	v_mul_f64_e32 v[17:18], v[19:20], v[17:18]
	s_delay_alu instid0(VALU_DEP_2) | instskip(NEXT) | instid1(VALU_DEP_2)
	v_fma_f64 v[10:11], v[19:20], v[15:16], -v[10:11]
	v_fma_f64 v[15:16], v[21:22], v[15:16], v[17:18]
	s_delay_alu instid0(VALU_DEP_2) | instskip(NEXT) | instid1(VALU_DEP_2)
	v_add_f64_e32 v[3:4], v[3:4], v[10:11]
	v_add_f64_e32 v[1:2], v[1:2], v[15:16]
	s_wait_alu 0xfffe
	s_and_not1_b32 exec_lo, exec_lo, s1
	s_cbranch_execnz .LBB114_101
; %bb.102:
	s_or_b32 exec_lo, exec_lo, s1
	v_mov_b32_e32 v7, 0
	ds_load_b128 v[7:10], v7 offset:352
	s_wait_dscnt 0x0
	v_mul_f64_e32 v[11:12], v[1:2], v[9:10]
	v_mul_f64_e32 v[15:16], v[3:4], v[9:10]
	s_delay_alu instid0(VALU_DEP_2) | instskip(NEXT) | instid1(VALU_DEP_2)
	v_fma_f64 v[9:10], v[3:4], v[7:8], -v[11:12]
	v_fma_f64 v[11:12], v[1:2], v[7:8], v[15:16]
	scratch_store_b128 off, v[9:12], off offset:368
.LBB114_103:
	s_wait_alu 0xfffe
	s_or_b32 exec_lo, exec_lo, s0
	s_wait_loadcnt 0x0
	s_wait_storecnt 0x0
	s_barrier_signal -1
	s_barrier_wait -1
	global_inv scope:SCOPE_SE
	scratch_load_b128 v[1:4], off, s41
	s_mov_b32 s0, exec_lo
	s_wait_loadcnt 0x0
	ds_store_b128 v5, v[1:4]
	s_wait_dscnt 0x0
	s_barrier_signal -1
	s_barrier_wait -1
	global_inv scope:SCOPE_SE
	v_cmpx_gt_u32_e32 23, v0
	s_cbranch_execz .LBB114_107
; %bb.104:
	v_dual_mov_b32 v1, 0 :: v_dual_add_nc_u32 v8, 0x330, v13
	v_mov_b32_e32 v3, 0
	v_dual_mov_b32 v2, 0 :: v_dual_add_nc_u32 v7, -1, v0
	v_mov_b32_e32 v4, 0
	v_or_b32_e32 v9, 8, v14
	s_mov_b32 s1, 0
.LBB114_105:                            ; =>This Inner Loop Header: Depth=1
	scratch_load_b128 v[15:18], v9, off offset:-8
	ds_load_b128 v[19:22], v8
	v_add_nc_u32_e32 v7, 1, v7
	v_add_nc_u32_e32 v8, 16, v8
	v_add_nc_u32_e32 v9, 16, v9
	s_delay_alu instid0(VALU_DEP_3)
	v_cmp_lt_u32_e32 vcc_lo, 21, v7
	s_wait_alu 0xfffe
	s_or_b32 s1, vcc_lo, s1
	s_wait_loadcnt_dscnt 0x0
	v_mul_f64_e32 v[10:11], v[21:22], v[17:18]
	v_mul_f64_e32 v[17:18], v[19:20], v[17:18]
	s_delay_alu instid0(VALU_DEP_2) | instskip(NEXT) | instid1(VALU_DEP_2)
	v_fma_f64 v[10:11], v[19:20], v[15:16], -v[10:11]
	v_fma_f64 v[15:16], v[21:22], v[15:16], v[17:18]
	s_delay_alu instid0(VALU_DEP_2) | instskip(NEXT) | instid1(VALU_DEP_2)
	v_add_f64_e32 v[3:4], v[3:4], v[10:11]
	v_add_f64_e32 v[1:2], v[1:2], v[15:16]
	s_wait_alu 0xfffe
	s_and_not1_b32 exec_lo, exec_lo, s1
	s_cbranch_execnz .LBB114_105
; %bb.106:
	s_or_b32 exec_lo, exec_lo, s1
	v_mov_b32_e32 v7, 0
	ds_load_b128 v[7:10], v7 offset:368
	s_wait_dscnt 0x0
	v_mul_f64_e32 v[11:12], v[1:2], v[9:10]
	v_mul_f64_e32 v[15:16], v[3:4], v[9:10]
	s_delay_alu instid0(VALU_DEP_2) | instskip(NEXT) | instid1(VALU_DEP_2)
	v_fma_f64 v[9:10], v[3:4], v[7:8], -v[11:12]
	v_fma_f64 v[11:12], v[1:2], v[7:8], v[15:16]
	scratch_store_b128 off, v[9:12], off offset:384
.LBB114_107:
	s_wait_alu 0xfffe
	s_or_b32 exec_lo, exec_lo, s0
	s_wait_loadcnt 0x0
	s_wait_storecnt 0x0
	s_barrier_signal -1
	s_barrier_wait -1
	global_inv scope:SCOPE_SE
	scratch_load_b128 v[1:4], off, s40
	s_mov_b32 s0, exec_lo
	s_wait_loadcnt 0x0
	ds_store_b128 v5, v[1:4]
	s_wait_dscnt 0x0
	s_barrier_signal -1
	s_barrier_wait -1
	global_inv scope:SCOPE_SE
	v_cmpx_gt_u32_e32 24, v0
	s_cbranch_execz .LBB114_111
; %bb.108:
	v_dual_mov_b32 v1, 0 :: v_dual_add_nc_u32 v8, 0x330, v13
	v_mov_b32_e32 v3, 0
	v_dual_mov_b32 v2, 0 :: v_dual_add_nc_u32 v7, -1, v0
	v_mov_b32_e32 v4, 0
	v_or_b32_e32 v9, 8, v14
	s_mov_b32 s1, 0
.LBB114_109:                            ; =>This Inner Loop Header: Depth=1
	scratch_load_b128 v[15:18], v9, off offset:-8
	ds_load_b128 v[19:22], v8
	v_add_nc_u32_e32 v7, 1, v7
	v_add_nc_u32_e32 v8, 16, v8
	v_add_nc_u32_e32 v9, 16, v9
	s_delay_alu instid0(VALU_DEP_3)
	v_cmp_lt_u32_e32 vcc_lo, 22, v7
	s_wait_alu 0xfffe
	s_or_b32 s1, vcc_lo, s1
	s_wait_loadcnt_dscnt 0x0
	v_mul_f64_e32 v[10:11], v[21:22], v[17:18]
	v_mul_f64_e32 v[17:18], v[19:20], v[17:18]
	s_delay_alu instid0(VALU_DEP_2) | instskip(NEXT) | instid1(VALU_DEP_2)
	v_fma_f64 v[10:11], v[19:20], v[15:16], -v[10:11]
	v_fma_f64 v[15:16], v[21:22], v[15:16], v[17:18]
	s_delay_alu instid0(VALU_DEP_2) | instskip(NEXT) | instid1(VALU_DEP_2)
	v_add_f64_e32 v[3:4], v[3:4], v[10:11]
	v_add_f64_e32 v[1:2], v[1:2], v[15:16]
	s_wait_alu 0xfffe
	s_and_not1_b32 exec_lo, exec_lo, s1
	s_cbranch_execnz .LBB114_109
; %bb.110:
	s_or_b32 exec_lo, exec_lo, s1
	v_mov_b32_e32 v7, 0
	ds_load_b128 v[7:10], v7 offset:384
	s_wait_dscnt 0x0
	v_mul_f64_e32 v[11:12], v[1:2], v[9:10]
	v_mul_f64_e32 v[15:16], v[3:4], v[9:10]
	s_delay_alu instid0(VALU_DEP_2) | instskip(NEXT) | instid1(VALU_DEP_2)
	v_fma_f64 v[9:10], v[3:4], v[7:8], -v[11:12]
	v_fma_f64 v[11:12], v[1:2], v[7:8], v[15:16]
	scratch_store_b128 off, v[9:12], off offset:400
.LBB114_111:
	s_wait_alu 0xfffe
	s_or_b32 exec_lo, exec_lo, s0
	s_wait_loadcnt 0x0
	s_wait_storecnt 0x0
	s_barrier_signal -1
	s_barrier_wait -1
	global_inv scope:SCOPE_SE
	scratch_load_b128 v[1:4], off, s39
	s_mov_b32 s0, exec_lo
	s_wait_loadcnt 0x0
	ds_store_b128 v5, v[1:4]
	s_wait_dscnt 0x0
	s_barrier_signal -1
	s_barrier_wait -1
	global_inv scope:SCOPE_SE
	v_cmpx_gt_u32_e32 25, v0
	s_cbranch_execz .LBB114_115
; %bb.112:
	v_dual_mov_b32 v1, 0 :: v_dual_add_nc_u32 v8, 0x330, v13
	v_mov_b32_e32 v3, 0
	v_dual_mov_b32 v2, 0 :: v_dual_add_nc_u32 v7, -1, v0
	v_mov_b32_e32 v4, 0
	v_or_b32_e32 v9, 8, v14
	s_mov_b32 s1, 0
.LBB114_113:                            ; =>This Inner Loop Header: Depth=1
	scratch_load_b128 v[15:18], v9, off offset:-8
	ds_load_b128 v[19:22], v8
	v_add_nc_u32_e32 v7, 1, v7
	v_add_nc_u32_e32 v8, 16, v8
	v_add_nc_u32_e32 v9, 16, v9
	s_delay_alu instid0(VALU_DEP_3)
	v_cmp_lt_u32_e32 vcc_lo, 23, v7
	s_wait_alu 0xfffe
	s_or_b32 s1, vcc_lo, s1
	s_wait_loadcnt_dscnt 0x0
	v_mul_f64_e32 v[10:11], v[21:22], v[17:18]
	v_mul_f64_e32 v[17:18], v[19:20], v[17:18]
	s_delay_alu instid0(VALU_DEP_2) | instskip(NEXT) | instid1(VALU_DEP_2)
	v_fma_f64 v[10:11], v[19:20], v[15:16], -v[10:11]
	v_fma_f64 v[15:16], v[21:22], v[15:16], v[17:18]
	s_delay_alu instid0(VALU_DEP_2) | instskip(NEXT) | instid1(VALU_DEP_2)
	v_add_f64_e32 v[3:4], v[3:4], v[10:11]
	v_add_f64_e32 v[1:2], v[1:2], v[15:16]
	s_wait_alu 0xfffe
	s_and_not1_b32 exec_lo, exec_lo, s1
	s_cbranch_execnz .LBB114_113
; %bb.114:
	s_or_b32 exec_lo, exec_lo, s1
	v_mov_b32_e32 v7, 0
	ds_load_b128 v[7:10], v7 offset:400
	s_wait_dscnt 0x0
	v_mul_f64_e32 v[11:12], v[1:2], v[9:10]
	v_mul_f64_e32 v[15:16], v[3:4], v[9:10]
	s_delay_alu instid0(VALU_DEP_2) | instskip(NEXT) | instid1(VALU_DEP_2)
	v_fma_f64 v[9:10], v[3:4], v[7:8], -v[11:12]
	v_fma_f64 v[11:12], v[1:2], v[7:8], v[15:16]
	scratch_store_b128 off, v[9:12], off offset:416
.LBB114_115:
	s_wait_alu 0xfffe
	s_or_b32 exec_lo, exec_lo, s0
	s_wait_loadcnt 0x0
	s_wait_storecnt 0x0
	s_barrier_signal -1
	s_barrier_wait -1
	global_inv scope:SCOPE_SE
	scratch_load_b128 v[1:4], off, s38
	s_mov_b32 s0, exec_lo
	s_wait_loadcnt 0x0
	ds_store_b128 v5, v[1:4]
	s_wait_dscnt 0x0
	s_barrier_signal -1
	s_barrier_wait -1
	global_inv scope:SCOPE_SE
	v_cmpx_gt_u32_e32 26, v0
	s_cbranch_execz .LBB114_119
; %bb.116:
	v_dual_mov_b32 v1, 0 :: v_dual_add_nc_u32 v8, 0x330, v13
	v_mov_b32_e32 v3, 0
	v_dual_mov_b32 v2, 0 :: v_dual_add_nc_u32 v7, -1, v0
	v_mov_b32_e32 v4, 0
	v_or_b32_e32 v9, 8, v14
	s_mov_b32 s1, 0
.LBB114_117:                            ; =>This Inner Loop Header: Depth=1
	scratch_load_b128 v[15:18], v9, off offset:-8
	ds_load_b128 v[19:22], v8
	v_add_nc_u32_e32 v7, 1, v7
	v_add_nc_u32_e32 v8, 16, v8
	v_add_nc_u32_e32 v9, 16, v9
	s_delay_alu instid0(VALU_DEP_3)
	v_cmp_lt_u32_e32 vcc_lo, 24, v7
	s_wait_alu 0xfffe
	s_or_b32 s1, vcc_lo, s1
	s_wait_loadcnt_dscnt 0x0
	v_mul_f64_e32 v[10:11], v[21:22], v[17:18]
	v_mul_f64_e32 v[17:18], v[19:20], v[17:18]
	s_delay_alu instid0(VALU_DEP_2) | instskip(NEXT) | instid1(VALU_DEP_2)
	v_fma_f64 v[10:11], v[19:20], v[15:16], -v[10:11]
	v_fma_f64 v[15:16], v[21:22], v[15:16], v[17:18]
	s_delay_alu instid0(VALU_DEP_2) | instskip(NEXT) | instid1(VALU_DEP_2)
	v_add_f64_e32 v[3:4], v[3:4], v[10:11]
	v_add_f64_e32 v[1:2], v[1:2], v[15:16]
	s_wait_alu 0xfffe
	s_and_not1_b32 exec_lo, exec_lo, s1
	s_cbranch_execnz .LBB114_117
; %bb.118:
	s_or_b32 exec_lo, exec_lo, s1
	v_mov_b32_e32 v7, 0
	ds_load_b128 v[7:10], v7 offset:416
	s_wait_dscnt 0x0
	v_mul_f64_e32 v[11:12], v[1:2], v[9:10]
	v_mul_f64_e32 v[15:16], v[3:4], v[9:10]
	s_delay_alu instid0(VALU_DEP_2) | instskip(NEXT) | instid1(VALU_DEP_2)
	v_fma_f64 v[9:10], v[3:4], v[7:8], -v[11:12]
	v_fma_f64 v[11:12], v[1:2], v[7:8], v[15:16]
	scratch_store_b128 off, v[9:12], off offset:432
.LBB114_119:
	s_wait_alu 0xfffe
	s_or_b32 exec_lo, exec_lo, s0
	s_wait_loadcnt 0x0
	s_wait_storecnt 0x0
	s_barrier_signal -1
	s_barrier_wait -1
	global_inv scope:SCOPE_SE
	scratch_load_b128 v[1:4], off, s37
	s_mov_b32 s0, exec_lo
	s_wait_loadcnt 0x0
	ds_store_b128 v5, v[1:4]
	s_wait_dscnt 0x0
	s_barrier_signal -1
	s_barrier_wait -1
	global_inv scope:SCOPE_SE
	v_cmpx_gt_u32_e32 27, v0
	s_cbranch_execz .LBB114_123
; %bb.120:
	v_dual_mov_b32 v1, 0 :: v_dual_add_nc_u32 v8, 0x330, v13
	v_mov_b32_e32 v3, 0
	v_dual_mov_b32 v2, 0 :: v_dual_add_nc_u32 v7, -1, v0
	v_mov_b32_e32 v4, 0
	v_or_b32_e32 v9, 8, v14
	s_mov_b32 s1, 0
.LBB114_121:                            ; =>This Inner Loop Header: Depth=1
	scratch_load_b128 v[15:18], v9, off offset:-8
	ds_load_b128 v[19:22], v8
	v_add_nc_u32_e32 v7, 1, v7
	v_add_nc_u32_e32 v8, 16, v8
	v_add_nc_u32_e32 v9, 16, v9
	s_delay_alu instid0(VALU_DEP_3)
	v_cmp_lt_u32_e32 vcc_lo, 25, v7
	s_wait_alu 0xfffe
	s_or_b32 s1, vcc_lo, s1
	s_wait_loadcnt_dscnt 0x0
	v_mul_f64_e32 v[10:11], v[21:22], v[17:18]
	v_mul_f64_e32 v[17:18], v[19:20], v[17:18]
	s_delay_alu instid0(VALU_DEP_2) | instskip(NEXT) | instid1(VALU_DEP_2)
	v_fma_f64 v[10:11], v[19:20], v[15:16], -v[10:11]
	v_fma_f64 v[15:16], v[21:22], v[15:16], v[17:18]
	s_delay_alu instid0(VALU_DEP_2) | instskip(NEXT) | instid1(VALU_DEP_2)
	v_add_f64_e32 v[3:4], v[3:4], v[10:11]
	v_add_f64_e32 v[1:2], v[1:2], v[15:16]
	s_wait_alu 0xfffe
	s_and_not1_b32 exec_lo, exec_lo, s1
	s_cbranch_execnz .LBB114_121
; %bb.122:
	s_or_b32 exec_lo, exec_lo, s1
	v_mov_b32_e32 v7, 0
	ds_load_b128 v[7:10], v7 offset:432
	s_wait_dscnt 0x0
	v_mul_f64_e32 v[11:12], v[1:2], v[9:10]
	v_mul_f64_e32 v[15:16], v[3:4], v[9:10]
	s_delay_alu instid0(VALU_DEP_2) | instskip(NEXT) | instid1(VALU_DEP_2)
	v_fma_f64 v[9:10], v[3:4], v[7:8], -v[11:12]
	v_fma_f64 v[11:12], v[1:2], v[7:8], v[15:16]
	scratch_store_b128 off, v[9:12], off offset:448
.LBB114_123:
	s_wait_alu 0xfffe
	s_or_b32 exec_lo, exec_lo, s0
	s_wait_loadcnt 0x0
	s_wait_storecnt 0x0
	s_barrier_signal -1
	s_barrier_wait -1
	global_inv scope:SCOPE_SE
	scratch_load_b128 v[1:4], off, s36
	s_mov_b32 s0, exec_lo
	s_wait_loadcnt 0x0
	ds_store_b128 v5, v[1:4]
	s_wait_dscnt 0x0
	s_barrier_signal -1
	s_barrier_wait -1
	global_inv scope:SCOPE_SE
	v_cmpx_gt_u32_e32 28, v0
	s_cbranch_execz .LBB114_127
; %bb.124:
	v_dual_mov_b32 v1, 0 :: v_dual_add_nc_u32 v8, 0x330, v13
	v_mov_b32_e32 v3, 0
	v_dual_mov_b32 v2, 0 :: v_dual_add_nc_u32 v7, -1, v0
	v_mov_b32_e32 v4, 0
	v_or_b32_e32 v9, 8, v14
	s_mov_b32 s1, 0
.LBB114_125:                            ; =>This Inner Loop Header: Depth=1
	scratch_load_b128 v[15:18], v9, off offset:-8
	ds_load_b128 v[19:22], v8
	v_add_nc_u32_e32 v7, 1, v7
	v_add_nc_u32_e32 v8, 16, v8
	v_add_nc_u32_e32 v9, 16, v9
	s_delay_alu instid0(VALU_DEP_3)
	v_cmp_lt_u32_e32 vcc_lo, 26, v7
	s_wait_alu 0xfffe
	s_or_b32 s1, vcc_lo, s1
	s_wait_loadcnt_dscnt 0x0
	v_mul_f64_e32 v[10:11], v[21:22], v[17:18]
	v_mul_f64_e32 v[17:18], v[19:20], v[17:18]
	s_delay_alu instid0(VALU_DEP_2) | instskip(NEXT) | instid1(VALU_DEP_2)
	v_fma_f64 v[10:11], v[19:20], v[15:16], -v[10:11]
	v_fma_f64 v[15:16], v[21:22], v[15:16], v[17:18]
	s_delay_alu instid0(VALU_DEP_2) | instskip(NEXT) | instid1(VALU_DEP_2)
	v_add_f64_e32 v[3:4], v[3:4], v[10:11]
	v_add_f64_e32 v[1:2], v[1:2], v[15:16]
	s_wait_alu 0xfffe
	s_and_not1_b32 exec_lo, exec_lo, s1
	s_cbranch_execnz .LBB114_125
; %bb.126:
	s_or_b32 exec_lo, exec_lo, s1
	v_mov_b32_e32 v7, 0
	ds_load_b128 v[7:10], v7 offset:448
	s_wait_dscnt 0x0
	v_mul_f64_e32 v[11:12], v[1:2], v[9:10]
	v_mul_f64_e32 v[15:16], v[3:4], v[9:10]
	s_delay_alu instid0(VALU_DEP_2) | instskip(NEXT) | instid1(VALU_DEP_2)
	v_fma_f64 v[9:10], v[3:4], v[7:8], -v[11:12]
	v_fma_f64 v[11:12], v[1:2], v[7:8], v[15:16]
	scratch_store_b128 off, v[9:12], off offset:464
.LBB114_127:
	s_wait_alu 0xfffe
	s_or_b32 exec_lo, exec_lo, s0
	s_wait_loadcnt 0x0
	s_wait_storecnt 0x0
	s_barrier_signal -1
	s_barrier_wait -1
	global_inv scope:SCOPE_SE
	scratch_load_b128 v[1:4], off, s35
	s_mov_b32 s0, exec_lo
	s_wait_loadcnt 0x0
	ds_store_b128 v5, v[1:4]
	s_wait_dscnt 0x0
	s_barrier_signal -1
	s_barrier_wait -1
	global_inv scope:SCOPE_SE
	v_cmpx_gt_u32_e32 29, v0
	s_cbranch_execz .LBB114_131
; %bb.128:
	v_dual_mov_b32 v1, 0 :: v_dual_add_nc_u32 v8, 0x330, v13
	v_mov_b32_e32 v3, 0
	v_dual_mov_b32 v2, 0 :: v_dual_add_nc_u32 v7, -1, v0
	v_mov_b32_e32 v4, 0
	v_or_b32_e32 v9, 8, v14
	s_mov_b32 s1, 0
.LBB114_129:                            ; =>This Inner Loop Header: Depth=1
	scratch_load_b128 v[15:18], v9, off offset:-8
	ds_load_b128 v[19:22], v8
	v_add_nc_u32_e32 v7, 1, v7
	v_add_nc_u32_e32 v8, 16, v8
	v_add_nc_u32_e32 v9, 16, v9
	s_delay_alu instid0(VALU_DEP_3)
	v_cmp_lt_u32_e32 vcc_lo, 27, v7
	s_wait_alu 0xfffe
	s_or_b32 s1, vcc_lo, s1
	s_wait_loadcnt_dscnt 0x0
	v_mul_f64_e32 v[10:11], v[21:22], v[17:18]
	v_mul_f64_e32 v[17:18], v[19:20], v[17:18]
	s_delay_alu instid0(VALU_DEP_2) | instskip(NEXT) | instid1(VALU_DEP_2)
	v_fma_f64 v[10:11], v[19:20], v[15:16], -v[10:11]
	v_fma_f64 v[15:16], v[21:22], v[15:16], v[17:18]
	s_delay_alu instid0(VALU_DEP_2) | instskip(NEXT) | instid1(VALU_DEP_2)
	v_add_f64_e32 v[3:4], v[3:4], v[10:11]
	v_add_f64_e32 v[1:2], v[1:2], v[15:16]
	s_wait_alu 0xfffe
	s_and_not1_b32 exec_lo, exec_lo, s1
	s_cbranch_execnz .LBB114_129
; %bb.130:
	s_or_b32 exec_lo, exec_lo, s1
	v_mov_b32_e32 v7, 0
	ds_load_b128 v[7:10], v7 offset:464
	s_wait_dscnt 0x0
	v_mul_f64_e32 v[11:12], v[1:2], v[9:10]
	v_mul_f64_e32 v[15:16], v[3:4], v[9:10]
	s_delay_alu instid0(VALU_DEP_2) | instskip(NEXT) | instid1(VALU_DEP_2)
	v_fma_f64 v[9:10], v[3:4], v[7:8], -v[11:12]
	v_fma_f64 v[11:12], v[1:2], v[7:8], v[15:16]
	scratch_store_b128 off, v[9:12], off offset:480
.LBB114_131:
	s_wait_alu 0xfffe
	s_or_b32 exec_lo, exec_lo, s0
	s_wait_loadcnt 0x0
	s_wait_storecnt 0x0
	s_barrier_signal -1
	s_barrier_wait -1
	global_inv scope:SCOPE_SE
	scratch_load_b128 v[1:4], off, s34
	s_mov_b32 s0, exec_lo
	s_wait_loadcnt 0x0
	ds_store_b128 v5, v[1:4]
	s_wait_dscnt 0x0
	s_barrier_signal -1
	s_barrier_wait -1
	global_inv scope:SCOPE_SE
	v_cmpx_gt_u32_e32 30, v0
	s_cbranch_execz .LBB114_135
; %bb.132:
	v_dual_mov_b32 v1, 0 :: v_dual_add_nc_u32 v8, 0x330, v13
	v_mov_b32_e32 v3, 0
	v_dual_mov_b32 v2, 0 :: v_dual_add_nc_u32 v7, -1, v0
	v_mov_b32_e32 v4, 0
	v_or_b32_e32 v9, 8, v14
	s_mov_b32 s1, 0
.LBB114_133:                            ; =>This Inner Loop Header: Depth=1
	scratch_load_b128 v[15:18], v9, off offset:-8
	ds_load_b128 v[19:22], v8
	v_add_nc_u32_e32 v7, 1, v7
	v_add_nc_u32_e32 v8, 16, v8
	v_add_nc_u32_e32 v9, 16, v9
	s_delay_alu instid0(VALU_DEP_3)
	v_cmp_lt_u32_e32 vcc_lo, 28, v7
	s_wait_alu 0xfffe
	s_or_b32 s1, vcc_lo, s1
	s_wait_loadcnt_dscnt 0x0
	v_mul_f64_e32 v[10:11], v[21:22], v[17:18]
	v_mul_f64_e32 v[17:18], v[19:20], v[17:18]
	s_delay_alu instid0(VALU_DEP_2) | instskip(NEXT) | instid1(VALU_DEP_2)
	v_fma_f64 v[10:11], v[19:20], v[15:16], -v[10:11]
	v_fma_f64 v[15:16], v[21:22], v[15:16], v[17:18]
	s_delay_alu instid0(VALU_DEP_2) | instskip(NEXT) | instid1(VALU_DEP_2)
	v_add_f64_e32 v[3:4], v[3:4], v[10:11]
	v_add_f64_e32 v[1:2], v[1:2], v[15:16]
	s_wait_alu 0xfffe
	s_and_not1_b32 exec_lo, exec_lo, s1
	s_cbranch_execnz .LBB114_133
; %bb.134:
	s_or_b32 exec_lo, exec_lo, s1
	v_mov_b32_e32 v7, 0
	ds_load_b128 v[7:10], v7 offset:480
	s_wait_dscnt 0x0
	v_mul_f64_e32 v[11:12], v[1:2], v[9:10]
	v_mul_f64_e32 v[15:16], v[3:4], v[9:10]
	s_delay_alu instid0(VALU_DEP_2) | instskip(NEXT) | instid1(VALU_DEP_2)
	v_fma_f64 v[9:10], v[3:4], v[7:8], -v[11:12]
	v_fma_f64 v[11:12], v[1:2], v[7:8], v[15:16]
	scratch_store_b128 off, v[9:12], off offset:496
.LBB114_135:
	s_wait_alu 0xfffe
	s_or_b32 exec_lo, exec_lo, s0
	s_wait_loadcnt 0x0
	s_wait_storecnt 0x0
	s_barrier_signal -1
	s_barrier_wait -1
	global_inv scope:SCOPE_SE
	scratch_load_b128 v[1:4], off, s33
	s_mov_b32 s0, exec_lo
	s_wait_loadcnt 0x0
	ds_store_b128 v5, v[1:4]
	s_wait_dscnt 0x0
	s_barrier_signal -1
	s_barrier_wait -1
	global_inv scope:SCOPE_SE
	v_cmpx_gt_u32_e32 31, v0
	s_cbranch_execz .LBB114_139
; %bb.136:
	v_dual_mov_b32 v1, 0 :: v_dual_add_nc_u32 v8, 0x330, v13
	v_mov_b32_e32 v3, 0
	v_dual_mov_b32 v2, 0 :: v_dual_add_nc_u32 v7, -1, v0
	v_mov_b32_e32 v4, 0
	v_or_b32_e32 v9, 8, v14
	s_mov_b32 s1, 0
.LBB114_137:                            ; =>This Inner Loop Header: Depth=1
	scratch_load_b128 v[15:18], v9, off offset:-8
	ds_load_b128 v[19:22], v8
	v_add_nc_u32_e32 v7, 1, v7
	v_add_nc_u32_e32 v8, 16, v8
	v_add_nc_u32_e32 v9, 16, v9
	s_delay_alu instid0(VALU_DEP_3)
	v_cmp_lt_u32_e32 vcc_lo, 29, v7
	s_wait_alu 0xfffe
	s_or_b32 s1, vcc_lo, s1
	s_wait_loadcnt_dscnt 0x0
	v_mul_f64_e32 v[10:11], v[21:22], v[17:18]
	v_mul_f64_e32 v[17:18], v[19:20], v[17:18]
	s_delay_alu instid0(VALU_DEP_2) | instskip(NEXT) | instid1(VALU_DEP_2)
	v_fma_f64 v[10:11], v[19:20], v[15:16], -v[10:11]
	v_fma_f64 v[15:16], v[21:22], v[15:16], v[17:18]
	s_delay_alu instid0(VALU_DEP_2) | instskip(NEXT) | instid1(VALU_DEP_2)
	v_add_f64_e32 v[3:4], v[3:4], v[10:11]
	v_add_f64_e32 v[1:2], v[1:2], v[15:16]
	s_wait_alu 0xfffe
	s_and_not1_b32 exec_lo, exec_lo, s1
	s_cbranch_execnz .LBB114_137
; %bb.138:
	s_or_b32 exec_lo, exec_lo, s1
	v_mov_b32_e32 v7, 0
	ds_load_b128 v[7:10], v7 offset:496
	s_wait_dscnt 0x0
	v_mul_f64_e32 v[11:12], v[1:2], v[9:10]
	v_mul_f64_e32 v[15:16], v[3:4], v[9:10]
	s_delay_alu instid0(VALU_DEP_2) | instskip(NEXT) | instid1(VALU_DEP_2)
	v_fma_f64 v[9:10], v[3:4], v[7:8], -v[11:12]
	v_fma_f64 v[11:12], v[1:2], v[7:8], v[15:16]
	scratch_store_b128 off, v[9:12], off offset:512
.LBB114_139:
	s_wait_alu 0xfffe
	s_or_b32 exec_lo, exec_lo, s0
	s_wait_loadcnt 0x0
	s_wait_storecnt 0x0
	s_barrier_signal -1
	s_barrier_wait -1
	global_inv scope:SCOPE_SE
	scratch_load_b128 v[1:4], off, s31
	s_mov_b32 s0, exec_lo
	s_wait_loadcnt 0x0
	ds_store_b128 v5, v[1:4]
	s_wait_dscnt 0x0
	s_barrier_signal -1
	s_barrier_wait -1
	global_inv scope:SCOPE_SE
	v_cmpx_gt_u32_e32 32, v0
	s_cbranch_execz .LBB114_143
; %bb.140:
	v_dual_mov_b32 v1, 0 :: v_dual_add_nc_u32 v8, 0x330, v13
	v_mov_b32_e32 v3, 0
	v_dual_mov_b32 v2, 0 :: v_dual_add_nc_u32 v7, -1, v0
	v_mov_b32_e32 v4, 0
	v_or_b32_e32 v9, 8, v14
	s_mov_b32 s1, 0
.LBB114_141:                            ; =>This Inner Loop Header: Depth=1
	scratch_load_b128 v[15:18], v9, off offset:-8
	ds_load_b128 v[19:22], v8
	v_add_nc_u32_e32 v7, 1, v7
	v_add_nc_u32_e32 v8, 16, v8
	v_add_nc_u32_e32 v9, 16, v9
	s_delay_alu instid0(VALU_DEP_3)
	v_cmp_lt_u32_e32 vcc_lo, 30, v7
	s_wait_alu 0xfffe
	s_or_b32 s1, vcc_lo, s1
	s_wait_loadcnt_dscnt 0x0
	v_mul_f64_e32 v[10:11], v[21:22], v[17:18]
	v_mul_f64_e32 v[17:18], v[19:20], v[17:18]
	s_delay_alu instid0(VALU_DEP_2) | instskip(NEXT) | instid1(VALU_DEP_2)
	v_fma_f64 v[10:11], v[19:20], v[15:16], -v[10:11]
	v_fma_f64 v[15:16], v[21:22], v[15:16], v[17:18]
	s_delay_alu instid0(VALU_DEP_2) | instskip(NEXT) | instid1(VALU_DEP_2)
	v_add_f64_e32 v[3:4], v[3:4], v[10:11]
	v_add_f64_e32 v[1:2], v[1:2], v[15:16]
	s_wait_alu 0xfffe
	s_and_not1_b32 exec_lo, exec_lo, s1
	s_cbranch_execnz .LBB114_141
; %bb.142:
	s_or_b32 exec_lo, exec_lo, s1
	v_mov_b32_e32 v7, 0
	ds_load_b128 v[7:10], v7 offset:512
	s_wait_dscnt 0x0
	v_mul_f64_e32 v[11:12], v[1:2], v[9:10]
	v_mul_f64_e32 v[15:16], v[3:4], v[9:10]
	s_delay_alu instid0(VALU_DEP_2) | instskip(NEXT) | instid1(VALU_DEP_2)
	v_fma_f64 v[9:10], v[3:4], v[7:8], -v[11:12]
	v_fma_f64 v[11:12], v[1:2], v[7:8], v[15:16]
	scratch_store_b128 off, v[9:12], off offset:528
.LBB114_143:
	s_wait_alu 0xfffe
	s_or_b32 exec_lo, exec_lo, s0
	s_wait_loadcnt 0x0
	s_wait_storecnt 0x0
	s_barrier_signal -1
	s_barrier_wait -1
	global_inv scope:SCOPE_SE
	scratch_load_b128 v[1:4], off, s30
	s_mov_b32 s0, exec_lo
	s_wait_loadcnt 0x0
	ds_store_b128 v5, v[1:4]
	s_wait_dscnt 0x0
	s_barrier_signal -1
	s_barrier_wait -1
	global_inv scope:SCOPE_SE
	v_cmpx_gt_u32_e32 33, v0
	s_cbranch_execz .LBB114_147
; %bb.144:
	v_dual_mov_b32 v1, 0 :: v_dual_add_nc_u32 v8, 0x330, v13
	v_mov_b32_e32 v3, 0
	v_dual_mov_b32 v2, 0 :: v_dual_add_nc_u32 v7, -1, v0
	v_mov_b32_e32 v4, 0
	v_or_b32_e32 v9, 8, v14
	s_mov_b32 s1, 0
.LBB114_145:                            ; =>This Inner Loop Header: Depth=1
	scratch_load_b128 v[15:18], v9, off offset:-8
	ds_load_b128 v[19:22], v8
	v_add_nc_u32_e32 v7, 1, v7
	v_add_nc_u32_e32 v8, 16, v8
	v_add_nc_u32_e32 v9, 16, v9
	s_delay_alu instid0(VALU_DEP_3)
	v_cmp_lt_u32_e32 vcc_lo, 31, v7
	s_wait_alu 0xfffe
	s_or_b32 s1, vcc_lo, s1
	s_wait_loadcnt_dscnt 0x0
	v_mul_f64_e32 v[10:11], v[21:22], v[17:18]
	v_mul_f64_e32 v[17:18], v[19:20], v[17:18]
	s_delay_alu instid0(VALU_DEP_2) | instskip(NEXT) | instid1(VALU_DEP_2)
	v_fma_f64 v[10:11], v[19:20], v[15:16], -v[10:11]
	v_fma_f64 v[15:16], v[21:22], v[15:16], v[17:18]
	s_delay_alu instid0(VALU_DEP_2) | instskip(NEXT) | instid1(VALU_DEP_2)
	v_add_f64_e32 v[3:4], v[3:4], v[10:11]
	v_add_f64_e32 v[1:2], v[1:2], v[15:16]
	s_wait_alu 0xfffe
	s_and_not1_b32 exec_lo, exec_lo, s1
	s_cbranch_execnz .LBB114_145
; %bb.146:
	s_or_b32 exec_lo, exec_lo, s1
	v_mov_b32_e32 v7, 0
	ds_load_b128 v[7:10], v7 offset:528
	s_wait_dscnt 0x0
	v_mul_f64_e32 v[11:12], v[1:2], v[9:10]
	v_mul_f64_e32 v[15:16], v[3:4], v[9:10]
	s_delay_alu instid0(VALU_DEP_2) | instskip(NEXT) | instid1(VALU_DEP_2)
	v_fma_f64 v[9:10], v[3:4], v[7:8], -v[11:12]
	v_fma_f64 v[11:12], v[1:2], v[7:8], v[15:16]
	scratch_store_b128 off, v[9:12], off offset:544
.LBB114_147:
	s_wait_alu 0xfffe
	s_or_b32 exec_lo, exec_lo, s0
	s_wait_loadcnt 0x0
	s_wait_storecnt 0x0
	s_barrier_signal -1
	s_barrier_wait -1
	global_inv scope:SCOPE_SE
	scratch_load_b128 v[1:4], off, s29
	s_mov_b32 s0, exec_lo
	s_wait_loadcnt 0x0
	ds_store_b128 v5, v[1:4]
	s_wait_dscnt 0x0
	s_barrier_signal -1
	s_barrier_wait -1
	global_inv scope:SCOPE_SE
	v_cmpx_gt_u32_e32 34, v0
	s_cbranch_execz .LBB114_151
; %bb.148:
	v_dual_mov_b32 v1, 0 :: v_dual_add_nc_u32 v8, 0x330, v13
	v_mov_b32_e32 v3, 0
	v_dual_mov_b32 v2, 0 :: v_dual_add_nc_u32 v7, -1, v0
	v_mov_b32_e32 v4, 0
	v_or_b32_e32 v9, 8, v14
	s_mov_b32 s1, 0
.LBB114_149:                            ; =>This Inner Loop Header: Depth=1
	scratch_load_b128 v[15:18], v9, off offset:-8
	ds_load_b128 v[19:22], v8
	v_add_nc_u32_e32 v7, 1, v7
	v_add_nc_u32_e32 v8, 16, v8
	v_add_nc_u32_e32 v9, 16, v9
	s_delay_alu instid0(VALU_DEP_3)
	v_cmp_lt_u32_e32 vcc_lo, 32, v7
	s_wait_alu 0xfffe
	s_or_b32 s1, vcc_lo, s1
	s_wait_loadcnt_dscnt 0x0
	v_mul_f64_e32 v[10:11], v[21:22], v[17:18]
	v_mul_f64_e32 v[17:18], v[19:20], v[17:18]
	s_delay_alu instid0(VALU_DEP_2) | instskip(NEXT) | instid1(VALU_DEP_2)
	v_fma_f64 v[10:11], v[19:20], v[15:16], -v[10:11]
	v_fma_f64 v[15:16], v[21:22], v[15:16], v[17:18]
	s_delay_alu instid0(VALU_DEP_2) | instskip(NEXT) | instid1(VALU_DEP_2)
	v_add_f64_e32 v[3:4], v[3:4], v[10:11]
	v_add_f64_e32 v[1:2], v[1:2], v[15:16]
	s_wait_alu 0xfffe
	s_and_not1_b32 exec_lo, exec_lo, s1
	s_cbranch_execnz .LBB114_149
; %bb.150:
	s_or_b32 exec_lo, exec_lo, s1
	v_mov_b32_e32 v7, 0
	ds_load_b128 v[7:10], v7 offset:544
	s_wait_dscnt 0x0
	v_mul_f64_e32 v[11:12], v[1:2], v[9:10]
	v_mul_f64_e32 v[15:16], v[3:4], v[9:10]
	s_delay_alu instid0(VALU_DEP_2) | instskip(NEXT) | instid1(VALU_DEP_2)
	v_fma_f64 v[9:10], v[3:4], v[7:8], -v[11:12]
	v_fma_f64 v[11:12], v[1:2], v[7:8], v[15:16]
	scratch_store_b128 off, v[9:12], off offset:560
.LBB114_151:
	s_wait_alu 0xfffe
	s_or_b32 exec_lo, exec_lo, s0
	s_wait_loadcnt 0x0
	s_wait_storecnt 0x0
	s_barrier_signal -1
	s_barrier_wait -1
	global_inv scope:SCOPE_SE
	scratch_load_b128 v[1:4], off, s28
	s_mov_b32 s0, exec_lo
	s_wait_loadcnt 0x0
	ds_store_b128 v5, v[1:4]
	s_wait_dscnt 0x0
	s_barrier_signal -1
	s_barrier_wait -1
	global_inv scope:SCOPE_SE
	v_cmpx_gt_u32_e32 35, v0
	s_cbranch_execz .LBB114_155
; %bb.152:
	v_dual_mov_b32 v1, 0 :: v_dual_add_nc_u32 v8, 0x330, v13
	v_mov_b32_e32 v3, 0
	v_dual_mov_b32 v2, 0 :: v_dual_add_nc_u32 v7, -1, v0
	v_mov_b32_e32 v4, 0
	v_or_b32_e32 v9, 8, v14
	s_mov_b32 s1, 0
.LBB114_153:                            ; =>This Inner Loop Header: Depth=1
	scratch_load_b128 v[15:18], v9, off offset:-8
	ds_load_b128 v[19:22], v8
	v_add_nc_u32_e32 v7, 1, v7
	v_add_nc_u32_e32 v8, 16, v8
	v_add_nc_u32_e32 v9, 16, v9
	s_delay_alu instid0(VALU_DEP_3)
	v_cmp_lt_u32_e32 vcc_lo, 33, v7
	s_wait_alu 0xfffe
	s_or_b32 s1, vcc_lo, s1
	s_wait_loadcnt_dscnt 0x0
	v_mul_f64_e32 v[10:11], v[21:22], v[17:18]
	v_mul_f64_e32 v[17:18], v[19:20], v[17:18]
	s_delay_alu instid0(VALU_DEP_2) | instskip(NEXT) | instid1(VALU_DEP_2)
	v_fma_f64 v[10:11], v[19:20], v[15:16], -v[10:11]
	v_fma_f64 v[15:16], v[21:22], v[15:16], v[17:18]
	s_delay_alu instid0(VALU_DEP_2) | instskip(NEXT) | instid1(VALU_DEP_2)
	v_add_f64_e32 v[3:4], v[3:4], v[10:11]
	v_add_f64_e32 v[1:2], v[1:2], v[15:16]
	s_wait_alu 0xfffe
	s_and_not1_b32 exec_lo, exec_lo, s1
	s_cbranch_execnz .LBB114_153
; %bb.154:
	s_or_b32 exec_lo, exec_lo, s1
	v_mov_b32_e32 v7, 0
	ds_load_b128 v[7:10], v7 offset:560
	s_wait_dscnt 0x0
	v_mul_f64_e32 v[11:12], v[1:2], v[9:10]
	v_mul_f64_e32 v[15:16], v[3:4], v[9:10]
	s_delay_alu instid0(VALU_DEP_2) | instskip(NEXT) | instid1(VALU_DEP_2)
	v_fma_f64 v[9:10], v[3:4], v[7:8], -v[11:12]
	v_fma_f64 v[11:12], v[1:2], v[7:8], v[15:16]
	scratch_store_b128 off, v[9:12], off offset:576
.LBB114_155:
	s_wait_alu 0xfffe
	s_or_b32 exec_lo, exec_lo, s0
	s_wait_loadcnt 0x0
	s_wait_storecnt 0x0
	s_barrier_signal -1
	s_barrier_wait -1
	global_inv scope:SCOPE_SE
	scratch_load_b128 v[1:4], off, s27
	s_mov_b32 s0, exec_lo
	s_wait_loadcnt 0x0
	ds_store_b128 v5, v[1:4]
	s_wait_dscnt 0x0
	s_barrier_signal -1
	s_barrier_wait -1
	global_inv scope:SCOPE_SE
	v_cmpx_gt_u32_e32 36, v0
	s_cbranch_execz .LBB114_159
; %bb.156:
	v_dual_mov_b32 v1, 0 :: v_dual_add_nc_u32 v8, 0x330, v13
	v_mov_b32_e32 v3, 0
	v_dual_mov_b32 v2, 0 :: v_dual_add_nc_u32 v7, -1, v0
	v_mov_b32_e32 v4, 0
	v_or_b32_e32 v9, 8, v14
	s_mov_b32 s1, 0
.LBB114_157:                            ; =>This Inner Loop Header: Depth=1
	scratch_load_b128 v[15:18], v9, off offset:-8
	ds_load_b128 v[19:22], v8
	v_add_nc_u32_e32 v7, 1, v7
	v_add_nc_u32_e32 v8, 16, v8
	v_add_nc_u32_e32 v9, 16, v9
	s_delay_alu instid0(VALU_DEP_3)
	v_cmp_lt_u32_e32 vcc_lo, 34, v7
	s_wait_alu 0xfffe
	s_or_b32 s1, vcc_lo, s1
	s_wait_loadcnt_dscnt 0x0
	v_mul_f64_e32 v[10:11], v[21:22], v[17:18]
	v_mul_f64_e32 v[17:18], v[19:20], v[17:18]
	s_delay_alu instid0(VALU_DEP_2) | instskip(NEXT) | instid1(VALU_DEP_2)
	v_fma_f64 v[10:11], v[19:20], v[15:16], -v[10:11]
	v_fma_f64 v[15:16], v[21:22], v[15:16], v[17:18]
	s_delay_alu instid0(VALU_DEP_2) | instskip(NEXT) | instid1(VALU_DEP_2)
	v_add_f64_e32 v[3:4], v[3:4], v[10:11]
	v_add_f64_e32 v[1:2], v[1:2], v[15:16]
	s_wait_alu 0xfffe
	s_and_not1_b32 exec_lo, exec_lo, s1
	s_cbranch_execnz .LBB114_157
; %bb.158:
	s_or_b32 exec_lo, exec_lo, s1
	v_mov_b32_e32 v7, 0
	ds_load_b128 v[7:10], v7 offset:576
	s_wait_dscnt 0x0
	v_mul_f64_e32 v[11:12], v[1:2], v[9:10]
	v_mul_f64_e32 v[15:16], v[3:4], v[9:10]
	s_delay_alu instid0(VALU_DEP_2) | instskip(NEXT) | instid1(VALU_DEP_2)
	v_fma_f64 v[9:10], v[3:4], v[7:8], -v[11:12]
	v_fma_f64 v[11:12], v[1:2], v[7:8], v[15:16]
	scratch_store_b128 off, v[9:12], off offset:592
.LBB114_159:
	s_wait_alu 0xfffe
	s_or_b32 exec_lo, exec_lo, s0
	s_wait_loadcnt 0x0
	s_wait_storecnt 0x0
	s_barrier_signal -1
	s_barrier_wait -1
	global_inv scope:SCOPE_SE
	scratch_load_b128 v[1:4], off, s26
	s_mov_b32 s0, exec_lo
	s_wait_loadcnt 0x0
	ds_store_b128 v5, v[1:4]
	s_wait_dscnt 0x0
	s_barrier_signal -1
	s_barrier_wait -1
	global_inv scope:SCOPE_SE
	v_cmpx_gt_u32_e32 37, v0
	s_cbranch_execz .LBB114_163
; %bb.160:
	v_dual_mov_b32 v1, 0 :: v_dual_add_nc_u32 v8, 0x330, v13
	v_mov_b32_e32 v3, 0
	v_dual_mov_b32 v2, 0 :: v_dual_add_nc_u32 v7, -1, v0
	v_mov_b32_e32 v4, 0
	v_or_b32_e32 v9, 8, v14
	s_mov_b32 s1, 0
.LBB114_161:                            ; =>This Inner Loop Header: Depth=1
	scratch_load_b128 v[15:18], v9, off offset:-8
	ds_load_b128 v[19:22], v8
	v_add_nc_u32_e32 v7, 1, v7
	v_add_nc_u32_e32 v8, 16, v8
	v_add_nc_u32_e32 v9, 16, v9
	s_delay_alu instid0(VALU_DEP_3)
	v_cmp_lt_u32_e32 vcc_lo, 35, v7
	s_wait_alu 0xfffe
	s_or_b32 s1, vcc_lo, s1
	s_wait_loadcnt_dscnt 0x0
	v_mul_f64_e32 v[10:11], v[21:22], v[17:18]
	v_mul_f64_e32 v[17:18], v[19:20], v[17:18]
	s_delay_alu instid0(VALU_DEP_2) | instskip(NEXT) | instid1(VALU_DEP_2)
	v_fma_f64 v[10:11], v[19:20], v[15:16], -v[10:11]
	v_fma_f64 v[15:16], v[21:22], v[15:16], v[17:18]
	s_delay_alu instid0(VALU_DEP_2) | instskip(NEXT) | instid1(VALU_DEP_2)
	v_add_f64_e32 v[3:4], v[3:4], v[10:11]
	v_add_f64_e32 v[1:2], v[1:2], v[15:16]
	s_wait_alu 0xfffe
	s_and_not1_b32 exec_lo, exec_lo, s1
	s_cbranch_execnz .LBB114_161
; %bb.162:
	s_or_b32 exec_lo, exec_lo, s1
	v_mov_b32_e32 v7, 0
	ds_load_b128 v[7:10], v7 offset:592
	s_wait_dscnt 0x0
	v_mul_f64_e32 v[11:12], v[1:2], v[9:10]
	v_mul_f64_e32 v[15:16], v[3:4], v[9:10]
	s_delay_alu instid0(VALU_DEP_2) | instskip(NEXT) | instid1(VALU_DEP_2)
	v_fma_f64 v[9:10], v[3:4], v[7:8], -v[11:12]
	v_fma_f64 v[11:12], v[1:2], v[7:8], v[15:16]
	scratch_store_b128 off, v[9:12], off offset:608
.LBB114_163:
	s_wait_alu 0xfffe
	s_or_b32 exec_lo, exec_lo, s0
	s_wait_loadcnt 0x0
	s_wait_storecnt 0x0
	s_barrier_signal -1
	s_barrier_wait -1
	global_inv scope:SCOPE_SE
	scratch_load_b128 v[1:4], off, s25
	s_mov_b32 s0, exec_lo
	s_wait_loadcnt 0x0
	ds_store_b128 v5, v[1:4]
	s_wait_dscnt 0x0
	s_barrier_signal -1
	s_barrier_wait -1
	global_inv scope:SCOPE_SE
	v_cmpx_gt_u32_e32 38, v0
	s_cbranch_execz .LBB114_167
; %bb.164:
	v_dual_mov_b32 v1, 0 :: v_dual_add_nc_u32 v8, 0x330, v13
	v_mov_b32_e32 v3, 0
	v_dual_mov_b32 v2, 0 :: v_dual_add_nc_u32 v7, -1, v0
	v_mov_b32_e32 v4, 0
	v_or_b32_e32 v9, 8, v14
	s_mov_b32 s1, 0
.LBB114_165:                            ; =>This Inner Loop Header: Depth=1
	scratch_load_b128 v[15:18], v9, off offset:-8
	ds_load_b128 v[19:22], v8
	v_add_nc_u32_e32 v7, 1, v7
	v_add_nc_u32_e32 v8, 16, v8
	v_add_nc_u32_e32 v9, 16, v9
	s_delay_alu instid0(VALU_DEP_3)
	v_cmp_lt_u32_e32 vcc_lo, 36, v7
	s_wait_alu 0xfffe
	s_or_b32 s1, vcc_lo, s1
	s_wait_loadcnt_dscnt 0x0
	v_mul_f64_e32 v[10:11], v[21:22], v[17:18]
	v_mul_f64_e32 v[17:18], v[19:20], v[17:18]
	s_delay_alu instid0(VALU_DEP_2) | instskip(NEXT) | instid1(VALU_DEP_2)
	v_fma_f64 v[10:11], v[19:20], v[15:16], -v[10:11]
	v_fma_f64 v[15:16], v[21:22], v[15:16], v[17:18]
	s_delay_alu instid0(VALU_DEP_2) | instskip(NEXT) | instid1(VALU_DEP_2)
	v_add_f64_e32 v[3:4], v[3:4], v[10:11]
	v_add_f64_e32 v[1:2], v[1:2], v[15:16]
	s_wait_alu 0xfffe
	s_and_not1_b32 exec_lo, exec_lo, s1
	s_cbranch_execnz .LBB114_165
; %bb.166:
	s_or_b32 exec_lo, exec_lo, s1
	v_mov_b32_e32 v7, 0
	ds_load_b128 v[7:10], v7 offset:608
	s_wait_dscnt 0x0
	v_mul_f64_e32 v[11:12], v[1:2], v[9:10]
	v_mul_f64_e32 v[15:16], v[3:4], v[9:10]
	s_delay_alu instid0(VALU_DEP_2) | instskip(NEXT) | instid1(VALU_DEP_2)
	v_fma_f64 v[9:10], v[3:4], v[7:8], -v[11:12]
	v_fma_f64 v[11:12], v[1:2], v[7:8], v[15:16]
	scratch_store_b128 off, v[9:12], off offset:624
.LBB114_167:
	s_wait_alu 0xfffe
	s_or_b32 exec_lo, exec_lo, s0
	s_wait_loadcnt 0x0
	s_wait_storecnt 0x0
	s_barrier_signal -1
	s_barrier_wait -1
	global_inv scope:SCOPE_SE
	scratch_load_b128 v[1:4], off, s24
	s_mov_b32 s0, exec_lo
	s_wait_loadcnt 0x0
	ds_store_b128 v5, v[1:4]
	s_wait_dscnt 0x0
	s_barrier_signal -1
	s_barrier_wait -1
	global_inv scope:SCOPE_SE
	v_cmpx_gt_u32_e32 39, v0
	s_cbranch_execz .LBB114_171
; %bb.168:
	v_dual_mov_b32 v1, 0 :: v_dual_add_nc_u32 v8, 0x330, v13
	v_mov_b32_e32 v3, 0
	v_dual_mov_b32 v2, 0 :: v_dual_add_nc_u32 v7, -1, v0
	v_mov_b32_e32 v4, 0
	v_or_b32_e32 v9, 8, v14
	s_mov_b32 s1, 0
.LBB114_169:                            ; =>This Inner Loop Header: Depth=1
	scratch_load_b128 v[15:18], v9, off offset:-8
	ds_load_b128 v[19:22], v8
	v_add_nc_u32_e32 v7, 1, v7
	v_add_nc_u32_e32 v8, 16, v8
	v_add_nc_u32_e32 v9, 16, v9
	s_delay_alu instid0(VALU_DEP_3)
	v_cmp_lt_u32_e32 vcc_lo, 37, v7
	s_wait_alu 0xfffe
	s_or_b32 s1, vcc_lo, s1
	s_wait_loadcnt_dscnt 0x0
	v_mul_f64_e32 v[10:11], v[21:22], v[17:18]
	v_mul_f64_e32 v[17:18], v[19:20], v[17:18]
	s_delay_alu instid0(VALU_DEP_2) | instskip(NEXT) | instid1(VALU_DEP_2)
	v_fma_f64 v[10:11], v[19:20], v[15:16], -v[10:11]
	v_fma_f64 v[15:16], v[21:22], v[15:16], v[17:18]
	s_delay_alu instid0(VALU_DEP_2) | instskip(NEXT) | instid1(VALU_DEP_2)
	v_add_f64_e32 v[3:4], v[3:4], v[10:11]
	v_add_f64_e32 v[1:2], v[1:2], v[15:16]
	s_wait_alu 0xfffe
	s_and_not1_b32 exec_lo, exec_lo, s1
	s_cbranch_execnz .LBB114_169
; %bb.170:
	s_or_b32 exec_lo, exec_lo, s1
	v_mov_b32_e32 v7, 0
	ds_load_b128 v[7:10], v7 offset:624
	s_wait_dscnt 0x0
	v_mul_f64_e32 v[11:12], v[1:2], v[9:10]
	v_mul_f64_e32 v[15:16], v[3:4], v[9:10]
	s_delay_alu instid0(VALU_DEP_2) | instskip(NEXT) | instid1(VALU_DEP_2)
	v_fma_f64 v[9:10], v[3:4], v[7:8], -v[11:12]
	v_fma_f64 v[11:12], v[1:2], v[7:8], v[15:16]
	scratch_store_b128 off, v[9:12], off offset:640
.LBB114_171:
	s_wait_alu 0xfffe
	s_or_b32 exec_lo, exec_lo, s0
	s_wait_loadcnt 0x0
	s_wait_storecnt 0x0
	s_barrier_signal -1
	s_barrier_wait -1
	global_inv scope:SCOPE_SE
	scratch_load_b128 v[1:4], off, s23
	s_mov_b32 s0, exec_lo
	s_wait_loadcnt 0x0
	ds_store_b128 v5, v[1:4]
	s_wait_dscnt 0x0
	s_barrier_signal -1
	s_barrier_wait -1
	global_inv scope:SCOPE_SE
	v_cmpx_gt_u32_e32 40, v0
	s_cbranch_execz .LBB114_175
; %bb.172:
	v_dual_mov_b32 v1, 0 :: v_dual_add_nc_u32 v8, 0x330, v13
	v_mov_b32_e32 v3, 0
	v_dual_mov_b32 v2, 0 :: v_dual_add_nc_u32 v7, -1, v0
	v_mov_b32_e32 v4, 0
	v_or_b32_e32 v9, 8, v14
	s_mov_b32 s1, 0
.LBB114_173:                            ; =>This Inner Loop Header: Depth=1
	scratch_load_b128 v[15:18], v9, off offset:-8
	ds_load_b128 v[19:22], v8
	v_add_nc_u32_e32 v7, 1, v7
	v_add_nc_u32_e32 v8, 16, v8
	v_add_nc_u32_e32 v9, 16, v9
	s_delay_alu instid0(VALU_DEP_3)
	v_cmp_lt_u32_e32 vcc_lo, 38, v7
	s_wait_alu 0xfffe
	s_or_b32 s1, vcc_lo, s1
	s_wait_loadcnt_dscnt 0x0
	v_mul_f64_e32 v[10:11], v[21:22], v[17:18]
	v_mul_f64_e32 v[17:18], v[19:20], v[17:18]
	s_delay_alu instid0(VALU_DEP_2) | instskip(NEXT) | instid1(VALU_DEP_2)
	v_fma_f64 v[10:11], v[19:20], v[15:16], -v[10:11]
	v_fma_f64 v[15:16], v[21:22], v[15:16], v[17:18]
	s_delay_alu instid0(VALU_DEP_2) | instskip(NEXT) | instid1(VALU_DEP_2)
	v_add_f64_e32 v[3:4], v[3:4], v[10:11]
	v_add_f64_e32 v[1:2], v[1:2], v[15:16]
	s_wait_alu 0xfffe
	s_and_not1_b32 exec_lo, exec_lo, s1
	s_cbranch_execnz .LBB114_173
; %bb.174:
	s_or_b32 exec_lo, exec_lo, s1
	v_mov_b32_e32 v7, 0
	ds_load_b128 v[7:10], v7 offset:640
	s_wait_dscnt 0x0
	v_mul_f64_e32 v[11:12], v[1:2], v[9:10]
	v_mul_f64_e32 v[15:16], v[3:4], v[9:10]
	s_delay_alu instid0(VALU_DEP_2) | instskip(NEXT) | instid1(VALU_DEP_2)
	v_fma_f64 v[9:10], v[3:4], v[7:8], -v[11:12]
	v_fma_f64 v[11:12], v[1:2], v[7:8], v[15:16]
	scratch_store_b128 off, v[9:12], off offset:656
.LBB114_175:
	s_wait_alu 0xfffe
	s_or_b32 exec_lo, exec_lo, s0
	s_wait_loadcnt 0x0
	s_wait_storecnt 0x0
	s_barrier_signal -1
	s_barrier_wait -1
	global_inv scope:SCOPE_SE
	scratch_load_b128 v[1:4], off, s22
	s_mov_b32 s0, exec_lo
	s_wait_loadcnt 0x0
	ds_store_b128 v5, v[1:4]
	s_wait_dscnt 0x0
	s_barrier_signal -1
	s_barrier_wait -1
	global_inv scope:SCOPE_SE
	v_cmpx_gt_u32_e32 41, v0
	s_cbranch_execz .LBB114_179
; %bb.176:
	v_dual_mov_b32 v1, 0 :: v_dual_add_nc_u32 v8, 0x330, v13
	v_mov_b32_e32 v3, 0
	v_dual_mov_b32 v2, 0 :: v_dual_add_nc_u32 v7, -1, v0
	v_mov_b32_e32 v4, 0
	v_or_b32_e32 v9, 8, v14
	s_mov_b32 s1, 0
.LBB114_177:                            ; =>This Inner Loop Header: Depth=1
	scratch_load_b128 v[15:18], v9, off offset:-8
	ds_load_b128 v[19:22], v8
	v_add_nc_u32_e32 v7, 1, v7
	v_add_nc_u32_e32 v8, 16, v8
	v_add_nc_u32_e32 v9, 16, v9
	s_delay_alu instid0(VALU_DEP_3)
	v_cmp_lt_u32_e32 vcc_lo, 39, v7
	s_wait_alu 0xfffe
	s_or_b32 s1, vcc_lo, s1
	s_wait_loadcnt_dscnt 0x0
	v_mul_f64_e32 v[10:11], v[21:22], v[17:18]
	v_mul_f64_e32 v[17:18], v[19:20], v[17:18]
	s_delay_alu instid0(VALU_DEP_2) | instskip(NEXT) | instid1(VALU_DEP_2)
	v_fma_f64 v[10:11], v[19:20], v[15:16], -v[10:11]
	v_fma_f64 v[15:16], v[21:22], v[15:16], v[17:18]
	s_delay_alu instid0(VALU_DEP_2) | instskip(NEXT) | instid1(VALU_DEP_2)
	v_add_f64_e32 v[3:4], v[3:4], v[10:11]
	v_add_f64_e32 v[1:2], v[1:2], v[15:16]
	s_wait_alu 0xfffe
	s_and_not1_b32 exec_lo, exec_lo, s1
	s_cbranch_execnz .LBB114_177
; %bb.178:
	s_or_b32 exec_lo, exec_lo, s1
	v_mov_b32_e32 v7, 0
	ds_load_b128 v[7:10], v7 offset:656
	s_wait_dscnt 0x0
	v_mul_f64_e32 v[11:12], v[1:2], v[9:10]
	v_mul_f64_e32 v[15:16], v[3:4], v[9:10]
	s_delay_alu instid0(VALU_DEP_2) | instskip(NEXT) | instid1(VALU_DEP_2)
	v_fma_f64 v[9:10], v[3:4], v[7:8], -v[11:12]
	v_fma_f64 v[11:12], v[1:2], v[7:8], v[15:16]
	scratch_store_b128 off, v[9:12], off offset:672
.LBB114_179:
	s_wait_alu 0xfffe
	s_or_b32 exec_lo, exec_lo, s0
	s_wait_loadcnt 0x0
	s_wait_storecnt 0x0
	s_barrier_signal -1
	s_barrier_wait -1
	global_inv scope:SCOPE_SE
	scratch_load_b128 v[1:4], off, s21
	s_mov_b32 s0, exec_lo
	s_wait_loadcnt 0x0
	ds_store_b128 v5, v[1:4]
	s_wait_dscnt 0x0
	s_barrier_signal -1
	s_barrier_wait -1
	global_inv scope:SCOPE_SE
	v_cmpx_gt_u32_e32 42, v0
	s_cbranch_execz .LBB114_183
; %bb.180:
	v_dual_mov_b32 v1, 0 :: v_dual_add_nc_u32 v8, 0x330, v13
	v_mov_b32_e32 v3, 0
	v_dual_mov_b32 v2, 0 :: v_dual_add_nc_u32 v7, -1, v0
	v_mov_b32_e32 v4, 0
	v_or_b32_e32 v9, 8, v14
	s_mov_b32 s1, 0
.LBB114_181:                            ; =>This Inner Loop Header: Depth=1
	scratch_load_b128 v[15:18], v9, off offset:-8
	ds_load_b128 v[19:22], v8
	v_add_nc_u32_e32 v7, 1, v7
	v_add_nc_u32_e32 v8, 16, v8
	v_add_nc_u32_e32 v9, 16, v9
	s_delay_alu instid0(VALU_DEP_3)
	v_cmp_lt_u32_e32 vcc_lo, 40, v7
	s_wait_alu 0xfffe
	s_or_b32 s1, vcc_lo, s1
	s_wait_loadcnt_dscnt 0x0
	v_mul_f64_e32 v[10:11], v[21:22], v[17:18]
	v_mul_f64_e32 v[17:18], v[19:20], v[17:18]
	s_delay_alu instid0(VALU_DEP_2) | instskip(NEXT) | instid1(VALU_DEP_2)
	v_fma_f64 v[10:11], v[19:20], v[15:16], -v[10:11]
	v_fma_f64 v[15:16], v[21:22], v[15:16], v[17:18]
	s_delay_alu instid0(VALU_DEP_2) | instskip(NEXT) | instid1(VALU_DEP_2)
	v_add_f64_e32 v[3:4], v[3:4], v[10:11]
	v_add_f64_e32 v[1:2], v[1:2], v[15:16]
	s_wait_alu 0xfffe
	s_and_not1_b32 exec_lo, exec_lo, s1
	s_cbranch_execnz .LBB114_181
; %bb.182:
	s_or_b32 exec_lo, exec_lo, s1
	v_mov_b32_e32 v7, 0
	ds_load_b128 v[7:10], v7 offset:672
	s_wait_dscnt 0x0
	v_mul_f64_e32 v[11:12], v[1:2], v[9:10]
	v_mul_f64_e32 v[15:16], v[3:4], v[9:10]
	s_delay_alu instid0(VALU_DEP_2) | instskip(NEXT) | instid1(VALU_DEP_2)
	v_fma_f64 v[9:10], v[3:4], v[7:8], -v[11:12]
	v_fma_f64 v[11:12], v[1:2], v[7:8], v[15:16]
	scratch_store_b128 off, v[9:12], off offset:688
.LBB114_183:
	s_wait_alu 0xfffe
	s_or_b32 exec_lo, exec_lo, s0
	s_wait_loadcnt 0x0
	s_wait_storecnt 0x0
	s_barrier_signal -1
	s_barrier_wait -1
	global_inv scope:SCOPE_SE
	scratch_load_b128 v[1:4], off, s20
	s_mov_b32 s0, exec_lo
	s_wait_loadcnt 0x0
	ds_store_b128 v5, v[1:4]
	s_wait_dscnt 0x0
	s_barrier_signal -1
	s_barrier_wait -1
	global_inv scope:SCOPE_SE
	v_cmpx_gt_u32_e32 43, v0
	s_cbranch_execz .LBB114_187
; %bb.184:
	v_dual_mov_b32 v1, 0 :: v_dual_add_nc_u32 v8, 0x330, v13
	v_mov_b32_e32 v3, 0
	v_dual_mov_b32 v2, 0 :: v_dual_add_nc_u32 v7, -1, v0
	v_mov_b32_e32 v4, 0
	v_or_b32_e32 v9, 8, v14
	s_mov_b32 s1, 0
.LBB114_185:                            ; =>This Inner Loop Header: Depth=1
	scratch_load_b128 v[15:18], v9, off offset:-8
	ds_load_b128 v[19:22], v8
	v_add_nc_u32_e32 v7, 1, v7
	v_add_nc_u32_e32 v8, 16, v8
	v_add_nc_u32_e32 v9, 16, v9
	s_delay_alu instid0(VALU_DEP_3)
	v_cmp_lt_u32_e32 vcc_lo, 41, v7
	s_wait_alu 0xfffe
	s_or_b32 s1, vcc_lo, s1
	s_wait_loadcnt_dscnt 0x0
	v_mul_f64_e32 v[10:11], v[21:22], v[17:18]
	v_mul_f64_e32 v[17:18], v[19:20], v[17:18]
	s_delay_alu instid0(VALU_DEP_2) | instskip(NEXT) | instid1(VALU_DEP_2)
	v_fma_f64 v[10:11], v[19:20], v[15:16], -v[10:11]
	v_fma_f64 v[15:16], v[21:22], v[15:16], v[17:18]
	s_delay_alu instid0(VALU_DEP_2) | instskip(NEXT) | instid1(VALU_DEP_2)
	v_add_f64_e32 v[3:4], v[3:4], v[10:11]
	v_add_f64_e32 v[1:2], v[1:2], v[15:16]
	s_wait_alu 0xfffe
	s_and_not1_b32 exec_lo, exec_lo, s1
	s_cbranch_execnz .LBB114_185
; %bb.186:
	s_or_b32 exec_lo, exec_lo, s1
	v_mov_b32_e32 v7, 0
	ds_load_b128 v[7:10], v7 offset:688
	s_wait_dscnt 0x0
	v_mul_f64_e32 v[11:12], v[1:2], v[9:10]
	v_mul_f64_e32 v[15:16], v[3:4], v[9:10]
	s_delay_alu instid0(VALU_DEP_2) | instskip(NEXT) | instid1(VALU_DEP_2)
	v_fma_f64 v[9:10], v[3:4], v[7:8], -v[11:12]
	v_fma_f64 v[11:12], v[1:2], v[7:8], v[15:16]
	scratch_store_b128 off, v[9:12], off offset:704
.LBB114_187:
	s_wait_alu 0xfffe
	s_or_b32 exec_lo, exec_lo, s0
	s_wait_loadcnt 0x0
	s_wait_storecnt 0x0
	s_barrier_signal -1
	s_barrier_wait -1
	global_inv scope:SCOPE_SE
	scratch_load_b128 v[1:4], off, s19
	s_mov_b32 s0, exec_lo
	s_wait_loadcnt 0x0
	ds_store_b128 v5, v[1:4]
	s_wait_dscnt 0x0
	s_barrier_signal -1
	s_barrier_wait -1
	global_inv scope:SCOPE_SE
	v_cmpx_gt_u32_e32 44, v0
	s_cbranch_execz .LBB114_191
; %bb.188:
	v_dual_mov_b32 v1, 0 :: v_dual_add_nc_u32 v8, 0x330, v13
	v_mov_b32_e32 v3, 0
	v_dual_mov_b32 v2, 0 :: v_dual_add_nc_u32 v7, -1, v0
	v_mov_b32_e32 v4, 0
	v_or_b32_e32 v9, 8, v14
	s_mov_b32 s1, 0
.LBB114_189:                            ; =>This Inner Loop Header: Depth=1
	scratch_load_b128 v[15:18], v9, off offset:-8
	ds_load_b128 v[19:22], v8
	v_add_nc_u32_e32 v7, 1, v7
	v_add_nc_u32_e32 v8, 16, v8
	v_add_nc_u32_e32 v9, 16, v9
	s_delay_alu instid0(VALU_DEP_3)
	v_cmp_lt_u32_e32 vcc_lo, 42, v7
	s_wait_alu 0xfffe
	s_or_b32 s1, vcc_lo, s1
	s_wait_loadcnt_dscnt 0x0
	v_mul_f64_e32 v[10:11], v[21:22], v[17:18]
	v_mul_f64_e32 v[17:18], v[19:20], v[17:18]
	s_delay_alu instid0(VALU_DEP_2) | instskip(NEXT) | instid1(VALU_DEP_2)
	v_fma_f64 v[10:11], v[19:20], v[15:16], -v[10:11]
	v_fma_f64 v[15:16], v[21:22], v[15:16], v[17:18]
	s_delay_alu instid0(VALU_DEP_2) | instskip(NEXT) | instid1(VALU_DEP_2)
	v_add_f64_e32 v[3:4], v[3:4], v[10:11]
	v_add_f64_e32 v[1:2], v[1:2], v[15:16]
	s_wait_alu 0xfffe
	s_and_not1_b32 exec_lo, exec_lo, s1
	s_cbranch_execnz .LBB114_189
; %bb.190:
	s_or_b32 exec_lo, exec_lo, s1
	v_mov_b32_e32 v7, 0
	ds_load_b128 v[7:10], v7 offset:704
	s_wait_dscnt 0x0
	v_mul_f64_e32 v[11:12], v[1:2], v[9:10]
	v_mul_f64_e32 v[15:16], v[3:4], v[9:10]
	s_delay_alu instid0(VALU_DEP_2) | instskip(NEXT) | instid1(VALU_DEP_2)
	v_fma_f64 v[9:10], v[3:4], v[7:8], -v[11:12]
	v_fma_f64 v[11:12], v[1:2], v[7:8], v[15:16]
	scratch_store_b128 off, v[9:12], off offset:720
.LBB114_191:
	s_wait_alu 0xfffe
	s_or_b32 exec_lo, exec_lo, s0
	s_wait_loadcnt 0x0
	s_wait_storecnt 0x0
	s_barrier_signal -1
	s_barrier_wait -1
	global_inv scope:SCOPE_SE
	scratch_load_b128 v[1:4], off, s18
	s_mov_b32 s0, exec_lo
	s_wait_loadcnt 0x0
	ds_store_b128 v5, v[1:4]
	s_wait_dscnt 0x0
	s_barrier_signal -1
	s_barrier_wait -1
	global_inv scope:SCOPE_SE
	v_cmpx_gt_u32_e32 45, v0
	s_cbranch_execz .LBB114_195
; %bb.192:
	v_dual_mov_b32 v1, 0 :: v_dual_add_nc_u32 v8, 0x330, v13
	v_mov_b32_e32 v3, 0
	v_dual_mov_b32 v2, 0 :: v_dual_add_nc_u32 v7, -1, v0
	v_mov_b32_e32 v4, 0
	v_or_b32_e32 v9, 8, v14
	s_mov_b32 s1, 0
.LBB114_193:                            ; =>This Inner Loop Header: Depth=1
	scratch_load_b128 v[15:18], v9, off offset:-8
	ds_load_b128 v[19:22], v8
	v_add_nc_u32_e32 v7, 1, v7
	v_add_nc_u32_e32 v8, 16, v8
	v_add_nc_u32_e32 v9, 16, v9
	s_delay_alu instid0(VALU_DEP_3)
	v_cmp_lt_u32_e32 vcc_lo, 43, v7
	s_wait_alu 0xfffe
	s_or_b32 s1, vcc_lo, s1
	s_wait_loadcnt_dscnt 0x0
	v_mul_f64_e32 v[10:11], v[21:22], v[17:18]
	v_mul_f64_e32 v[17:18], v[19:20], v[17:18]
	s_delay_alu instid0(VALU_DEP_2) | instskip(NEXT) | instid1(VALU_DEP_2)
	v_fma_f64 v[10:11], v[19:20], v[15:16], -v[10:11]
	v_fma_f64 v[15:16], v[21:22], v[15:16], v[17:18]
	s_delay_alu instid0(VALU_DEP_2) | instskip(NEXT) | instid1(VALU_DEP_2)
	v_add_f64_e32 v[3:4], v[3:4], v[10:11]
	v_add_f64_e32 v[1:2], v[1:2], v[15:16]
	s_wait_alu 0xfffe
	s_and_not1_b32 exec_lo, exec_lo, s1
	s_cbranch_execnz .LBB114_193
; %bb.194:
	s_or_b32 exec_lo, exec_lo, s1
	v_mov_b32_e32 v7, 0
	ds_load_b128 v[7:10], v7 offset:720
	s_wait_dscnt 0x0
	v_mul_f64_e32 v[11:12], v[1:2], v[9:10]
	v_mul_f64_e32 v[15:16], v[3:4], v[9:10]
	s_delay_alu instid0(VALU_DEP_2) | instskip(NEXT) | instid1(VALU_DEP_2)
	v_fma_f64 v[9:10], v[3:4], v[7:8], -v[11:12]
	v_fma_f64 v[11:12], v[1:2], v[7:8], v[15:16]
	scratch_store_b128 off, v[9:12], off offset:736
.LBB114_195:
	s_wait_alu 0xfffe
	s_or_b32 exec_lo, exec_lo, s0
	s_wait_loadcnt 0x0
	s_wait_storecnt 0x0
	s_barrier_signal -1
	s_barrier_wait -1
	global_inv scope:SCOPE_SE
	scratch_load_b128 v[1:4], off, s17
	s_mov_b32 s0, exec_lo
	s_wait_loadcnt 0x0
	ds_store_b128 v5, v[1:4]
	s_wait_dscnt 0x0
	s_barrier_signal -1
	s_barrier_wait -1
	global_inv scope:SCOPE_SE
	v_cmpx_gt_u32_e32 46, v0
	s_cbranch_execz .LBB114_199
; %bb.196:
	v_dual_mov_b32 v1, 0 :: v_dual_add_nc_u32 v8, 0x330, v13
	v_mov_b32_e32 v3, 0
	v_dual_mov_b32 v2, 0 :: v_dual_add_nc_u32 v7, -1, v0
	v_mov_b32_e32 v4, 0
	v_or_b32_e32 v9, 8, v14
	s_mov_b32 s1, 0
.LBB114_197:                            ; =>This Inner Loop Header: Depth=1
	scratch_load_b128 v[15:18], v9, off offset:-8
	ds_load_b128 v[19:22], v8
	v_add_nc_u32_e32 v7, 1, v7
	v_add_nc_u32_e32 v8, 16, v8
	v_add_nc_u32_e32 v9, 16, v9
	s_delay_alu instid0(VALU_DEP_3)
	v_cmp_lt_u32_e32 vcc_lo, 44, v7
	s_wait_alu 0xfffe
	s_or_b32 s1, vcc_lo, s1
	s_wait_loadcnt_dscnt 0x0
	v_mul_f64_e32 v[10:11], v[21:22], v[17:18]
	v_mul_f64_e32 v[17:18], v[19:20], v[17:18]
	s_delay_alu instid0(VALU_DEP_2) | instskip(NEXT) | instid1(VALU_DEP_2)
	v_fma_f64 v[10:11], v[19:20], v[15:16], -v[10:11]
	v_fma_f64 v[15:16], v[21:22], v[15:16], v[17:18]
	s_delay_alu instid0(VALU_DEP_2) | instskip(NEXT) | instid1(VALU_DEP_2)
	v_add_f64_e32 v[3:4], v[3:4], v[10:11]
	v_add_f64_e32 v[1:2], v[1:2], v[15:16]
	s_wait_alu 0xfffe
	s_and_not1_b32 exec_lo, exec_lo, s1
	s_cbranch_execnz .LBB114_197
; %bb.198:
	s_or_b32 exec_lo, exec_lo, s1
	v_mov_b32_e32 v7, 0
	ds_load_b128 v[7:10], v7 offset:736
	s_wait_dscnt 0x0
	v_mul_f64_e32 v[11:12], v[1:2], v[9:10]
	v_mul_f64_e32 v[15:16], v[3:4], v[9:10]
	s_delay_alu instid0(VALU_DEP_2) | instskip(NEXT) | instid1(VALU_DEP_2)
	v_fma_f64 v[9:10], v[3:4], v[7:8], -v[11:12]
	v_fma_f64 v[11:12], v[1:2], v[7:8], v[15:16]
	scratch_store_b128 off, v[9:12], off offset:752
.LBB114_199:
	s_wait_alu 0xfffe
	s_or_b32 exec_lo, exec_lo, s0
	s_wait_loadcnt 0x0
	s_wait_storecnt 0x0
	s_barrier_signal -1
	s_barrier_wait -1
	global_inv scope:SCOPE_SE
	scratch_load_b128 v[1:4], off, s16
	s_mov_b32 s0, exec_lo
	s_wait_loadcnt 0x0
	ds_store_b128 v5, v[1:4]
	s_wait_dscnt 0x0
	s_barrier_signal -1
	s_barrier_wait -1
	global_inv scope:SCOPE_SE
	v_cmpx_gt_u32_e32 47, v0
	s_cbranch_execz .LBB114_203
; %bb.200:
	v_dual_mov_b32 v1, 0 :: v_dual_add_nc_u32 v8, 0x330, v13
	v_mov_b32_e32 v3, 0
	v_dual_mov_b32 v2, 0 :: v_dual_add_nc_u32 v7, -1, v0
	v_mov_b32_e32 v4, 0
	v_or_b32_e32 v9, 8, v14
	s_mov_b32 s1, 0
.LBB114_201:                            ; =>This Inner Loop Header: Depth=1
	scratch_load_b128 v[15:18], v9, off offset:-8
	ds_load_b128 v[19:22], v8
	v_add_nc_u32_e32 v7, 1, v7
	v_add_nc_u32_e32 v8, 16, v8
	v_add_nc_u32_e32 v9, 16, v9
	s_delay_alu instid0(VALU_DEP_3)
	v_cmp_lt_u32_e32 vcc_lo, 45, v7
	s_wait_alu 0xfffe
	s_or_b32 s1, vcc_lo, s1
	s_wait_loadcnt_dscnt 0x0
	v_mul_f64_e32 v[10:11], v[21:22], v[17:18]
	v_mul_f64_e32 v[17:18], v[19:20], v[17:18]
	s_delay_alu instid0(VALU_DEP_2) | instskip(NEXT) | instid1(VALU_DEP_2)
	v_fma_f64 v[10:11], v[19:20], v[15:16], -v[10:11]
	v_fma_f64 v[15:16], v[21:22], v[15:16], v[17:18]
	s_delay_alu instid0(VALU_DEP_2) | instskip(NEXT) | instid1(VALU_DEP_2)
	v_add_f64_e32 v[3:4], v[3:4], v[10:11]
	v_add_f64_e32 v[1:2], v[1:2], v[15:16]
	s_wait_alu 0xfffe
	s_and_not1_b32 exec_lo, exec_lo, s1
	s_cbranch_execnz .LBB114_201
; %bb.202:
	s_or_b32 exec_lo, exec_lo, s1
	v_mov_b32_e32 v7, 0
	ds_load_b128 v[7:10], v7 offset:752
	s_wait_dscnt 0x0
	v_mul_f64_e32 v[11:12], v[1:2], v[9:10]
	v_mul_f64_e32 v[15:16], v[3:4], v[9:10]
	s_delay_alu instid0(VALU_DEP_2) | instskip(NEXT) | instid1(VALU_DEP_2)
	v_fma_f64 v[9:10], v[3:4], v[7:8], -v[11:12]
	v_fma_f64 v[11:12], v[1:2], v[7:8], v[15:16]
	scratch_store_b128 off, v[9:12], off offset:768
.LBB114_203:
	s_wait_alu 0xfffe
	s_or_b32 exec_lo, exec_lo, s0
	s_wait_loadcnt 0x0
	s_wait_storecnt 0x0
	s_barrier_signal -1
	s_barrier_wait -1
	global_inv scope:SCOPE_SE
	scratch_load_b128 v[1:4], off, s14
	s_mov_b32 s0, exec_lo
	s_wait_loadcnt 0x0
	ds_store_b128 v5, v[1:4]
	s_wait_dscnt 0x0
	s_barrier_signal -1
	s_barrier_wait -1
	global_inv scope:SCOPE_SE
	v_cmpx_gt_u32_e32 48, v0
	s_cbranch_execz .LBB114_207
; %bb.204:
	v_dual_mov_b32 v1, 0 :: v_dual_add_nc_u32 v8, 0x330, v13
	v_mov_b32_e32 v3, 0
	v_dual_mov_b32 v2, 0 :: v_dual_add_nc_u32 v7, -1, v0
	v_mov_b32_e32 v4, 0
	v_or_b32_e32 v9, 8, v14
	s_mov_b32 s1, 0
.LBB114_205:                            ; =>This Inner Loop Header: Depth=1
	scratch_load_b128 v[15:18], v9, off offset:-8
	ds_load_b128 v[19:22], v8
	v_add_nc_u32_e32 v7, 1, v7
	v_add_nc_u32_e32 v8, 16, v8
	v_add_nc_u32_e32 v9, 16, v9
	s_delay_alu instid0(VALU_DEP_3)
	v_cmp_lt_u32_e32 vcc_lo, 46, v7
	s_wait_alu 0xfffe
	s_or_b32 s1, vcc_lo, s1
	s_wait_loadcnt_dscnt 0x0
	v_mul_f64_e32 v[10:11], v[21:22], v[17:18]
	v_mul_f64_e32 v[17:18], v[19:20], v[17:18]
	s_delay_alu instid0(VALU_DEP_2) | instskip(NEXT) | instid1(VALU_DEP_2)
	v_fma_f64 v[10:11], v[19:20], v[15:16], -v[10:11]
	v_fma_f64 v[15:16], v[21:22], v[15:16], v[17:18]
	s_delay_alu instid0(VALU_DEP_2) | instskip(NEXT) | instid1(VALU_DEP_2)
	v_add_f64_e32 v[3:4], v[3:4], v[10:11]
	v_add_f64_e32 v[1:2], v[1:2], v[15:16]
	s_wait_alu 0xfffe
	s_and_not1_b32 exec_lo, exec_lo, s1
	s_cbranch_execnz .LBB114_205
; %bb.206:
	s_or_b32 exec_lo, exec_lo, s1
	v_mov_b32_e32 v7, 0
	ds_load_b128 v[7:10], v7 offset:768
	s_wait_dscnt 0x0
	v_mul_f64_e32 v[11:12], v[1:2], v[9:10]
	v_mul_f64_e32 v[15:16], v[3:4], v[9:10]
	s_delay_alu instid0(VALU_DEP_2) | instskip(NEXT) | instid1(VALU_DEP_2)
	v_fma_f64 v[9:10], v[3:4], v[7:8], -v[11:12]
	v_fma_f64 v[11:12], v[1:2], v[7:8], v[15:16]
	scratch_store_b128 off, v[9:12], off offset:784
.LBB114_207:
	s_wait_alu 0xfffe
	s_or_b32 exec_lo, exec_lo, s0
	s_wait_loadcnt 0x0
	s_wait_storecnt 0x0
	s_barrier_signal -1
	s_barrier_wait -1
	global_inv scope:SCOPE_SE
	scratch_load_b128 v[1:4], off, s11
	s_mov_b32 s0, exec_lo
	s_wait_loadcnt 0x0
	ds_store_b128 v5, v[1:4]
	s_wait_dscnt 0x0
	s_barrier_signal -1
	s_barrier_wait -1
	global_inv scope:SCOPE_SE
	v_cmpx_gt_u32_e32 49, v0
	s_cbranch_execz .LBB114_211
; %bb.208:
	v_dual_mov_b32 v1, 0 :: v_dual_add_nc_u32 v8, 0x330, v13
	v_mov_b32_e32 v3, 0
	v_dual_mov_b32 v2, 0 :: v_dual_add_nc_u32 v7, -1, v0
	v_mov_b32_e32 v4, 0
	v_or_b32_e32 v9, 8, v14
	s_mov_b32 s1, 0
.LBB114_209:                            ; =>This Inner Loop Header: Depth=1
	scratch_load_b128 v[10:13], v9, off offset:-8
	ds_load_b128 v[15:18], v8
	v_add_nc_u32_e32 v7, 1, v7
	v_add_nc_u32_e32 v8, 16, v8
	v_add_nc_u32_e32 v9, 16, v9
	s_delay_alu instid0(VALU_DEP_3)
	v_cmp_lt_u32_e32 vcc_lo, 47, v7
	s_wait_alu 0xfffe
	s_or_b32 s1, vcc_lo, s1
	s_wait_loadcnt_dscnt 0x0
	v_mul_f64_e32 v[19:20], v[17:18], v[12:13]
	v_mul_f64_e32 v[12:13], v[15:16], v[12:13]
	s_delay_alu instid0(VALU_DEP_2) | instskip(NEXT) | instid1(VALU_DEP_2)
	v_fma_f64 v[15:16], v[15:16], v[10:11], -v[19:20]
	v_fma_f64 v[10:11], v[17:18], v[10:11], v[12:13]
	s_delay_alu instid0(VALU_DEP_2) | instskip(NEXT) | instid1(VALU_DEP_2)
	v_add_f64_e32 v[3:4], v[3:4], v[15:16]
	v_add_f64_e32 v[1:2], v[1:2], v[10:11]
	s_wait_alu 0xfffe
	s_and_not1_b32 exec_lo, exec_lo, s1
	s_cbranch_execnz .LBB114_209
; %bb.210:
	s_or_b32 exec_lo, exec_lo, s1
	v_mov_b32_e32 v7, 0
	ds_load_b128 v[7:10], v7 offset:784
	s_wait_dscnt 0x0
	v_mul_f64_e32 v[11:12], v[1:2], v[9:10]
	v_mul_f64_e32 v[15:16], v[3:4], v[9:10]
	s_delay_alu instid0(VALU_DEP_2) | instskip(NEXT) | instid1(VALU_DEP_2)
	v_fma_f64 v[9:10], v[3:4], v[7:8], -v[11:12]
	v_fma_f64 v[11:12], v[1:2], v[7:8], v[15:16]
	scratch_store_b128 off, v[9:12], off offset:800
.LBB114_211:
	s_wait_alu 0xfffe
	s_or_b32 exec_lo, exec_lo, s0
	s_wait_loadcnt 0x0
	s_wait_storecnt 0x0
	s_barrier_signal -1
	s_barrier_wait -1
	global_inv scope:SCOPE_SE
	scratch_load_b128 v[1:4], off, s5
	s_mov_b32 s0, exec_lo
	s_wait_loadcnt 0x0
	ds_store_b128 v5, v[1:4]
	s_wait_dscnt 0x0
	s_barrier_signal -1
	s_barrier_wait -1
	global_inv scope:SCOPE_SE
	v_cmpx_ne_u32_e32 50, v0
	s_cbranch_execz .LBB114_215
; %bb.212:
	v_mov_b32_e32 v1, 0
	v_dual_mov_b32 v2, 0 :: v_dual_mov_b32 v3, 0
	v_mov_b32_e32 v4, 0
	v_or_b32_e32 v7, 8, v14
	s_mov_b32 s1, 0
.LBB114_213:                            ; =>This Inner Loop Header: Depth=1
	scratch_load_b128 v[8:11], v7, off offset:-8
	ds_load_b128 v[12:15], v5
	v_add_nc_u32_e32 v6, 1, v6
	v_add_nc_u32_e32 v5, 16, v5
	;; [unrolled: 1-line block ×3, first 2 shown]
	s_delay_alu instid0(VALU_DEP_3)
	v_cmp_lt_u32_e32 vcc_lo, 48, v6
	s_wait_alu 0xfffe
	s_or_b32 s1, vcc_lo, s1
	s_wait_loadcnt_dscnt 0x0
	v_mul_f64_e32 v[16:17], v[14:15], v[10:11]
	v_mul_f64_e32 v[10:11], v[12:13], v[10:11]
	s_delay_alu instid0(VALU_DEP_2) | instskip(NEXT) | instid1(VALU_DEP_2)
	v_fma_f64 v[12:13], v[12:13], v[8:9], -v[16:17]
	v_fma_f64 v[8:9], v[14:15], v[8:9], v[10:11]
	s_delay_alu instid0(VALU_DEP_2) | instskip(NEXT) | instid1(VALU_DEP_2)
	v_add_f64_e32 v[3:4], v[3:4], v[12:13]
	v_add_f64_e32 v[1:2], v[1:2], v[8:9]
	s_wait_alu 0xfffe
	s_and_not1_b32 exec_lo, exec_lo, s1
	s_cbranch_execnz .LBB114_213
; %bb.214:
	s_or_b32 exec_lo, exec_lo, s1
	v_mov_b32_e32 v5, 0
	ds_load_b128 v[5:8], v5 offset:800
	s_wait_dscnt 0x0
	v_mul_f64_e32 v[9:10], v[1:2], v[7:8]
	v_mul_f64_e32 v[7:8], v[3:4], v[7:8]
	s_delay_alu instid0(VALU_DEP_2) | instskip(NEXT) | instid1(VALU_DEP_2)
	v_fma_f64 v[3:4], v[3:4], v[5:6], -v[9:10]
	v_fma_f64 v[5:6], v[1:2], v[5:6], v[7:8]
	scratch_store_b128 off, v[3:6], off offset:816
.LBB114_215:
	s_wait_alu 0xfffe
	s_or_b32 exec_lo, exec_lo, s0
	s_mov_b32 s1, -1
	s_wait_loadcnt 0x0
	s_wait_storecnt 0x0
	s_barrier_signal -1
	s_barrier_wait -1
	global_inv scope:SCOPE_SE
.LBB114_216:
	s_wait_alu 0xfffe
	s_and_b32 vcc_lo, exec_lo, s1
	s_wait_alu 0xfffe
	s_cbranch_vccz .LBB114_218
; %bb.217:
	v_mov_b32_e32 v1, 0
	s_lshl_b64 s[0:1], s[8:9], 2
	s_wait_alu 0xfffe
	s_add_nc_u64 s[0:1], s[6:7], s[0:1]
	global_load_b32 v1, v1, s[0:1]
	s_wait_loadcnt 0x0
	v_cmp_ne_u32_e32 vcc_lo, 0, v1
	s_cbranch_vccz .LBB114_219
.LBB114_218:
	s_nop 0
	s_sendmsg sendmsg(MSG_DEALLOC_VGPRS)
	s_endpgm
.LBB114_219:
	v_lshl_add_u32 v144, v0, 4, 0x330
	s_mov_b32 s0, exec_lo
	v_cmpx_eq_u32_e32 50, v0
	s_cbranch_execz .LBB114_221
; %bb.220:
	scratch_load_b128 v[1:4], off, s11
	v_mov_b32_e32 v5, 0
	s_delay_alu instid0(VALU_DEP_1)
	v_dual_mov_b32 v6, v5 :: v_dual_mov_b32 v7, v5
	v_mov_b32_e32 v8, v5
	scratch_store_b128 off, v[5:8], off offset:800
	s_wait_loadcnt 0x0
	ds_store_b128 v144, v[1:4]
.LBB114_221:
	s_wait_alu 0xfffe
	s_or_b32 exec_lo, exec_lo, s0
	s_wait_storecnt_dscnt 0x0
	s_barrier_signal -1
	s_barrier_wait -1
	global_inv scope:SCOPE_SE
	s_clause 0x1
	scratch_load_b128 v[2:5], off, off offset:816
	scratch_load_b128 v[6:9], off, off offset:800
	v_mov_b32_e32 v1, 0
	s_mov_b32 s0, exec_lo
	ds_load_b128 v[10:13], v1 offset:1616
	s_wait_loadcnt_dscnt 0x100
	v_mul_f64_e32 v[14:15], v[12:13], v[4:5]
	v_mul_f64_e32 v[4:5], v[10:11], v[4:5]
	s_delay_alu instid0(VALU_DEP_2) | instskip(NEXT) | instid1(VALU_DEP_2)
	v_fma_f64 v[10:11], v[10:11], v[2:3], -v[14:15]
	v_fma_f64 v[2:3], v[12:13], v[2:3], v[4:5]
	s_delay_alu instid0(VALU_DEP_2) | instskip(NEXT) | instid1(VALU_DEP_2)
	v_add_f64_e32 v[4:5], 0, v[10:11]
	v_add_f64_e32 v[10:11], 0, v[2:3]
	s_wait_loadcnt 0x0
	s_delay_alu instid0(VALU_DEP_2) | instskip(NEXT) | instid1(VALU_DEP_2)
	v_add_f64_e64 v[2:3], v[6:7], -v[4:5]
	v_add_f64_e64 v[4:5], v[8:9], -v[10:11]
	scratch_store_b128 off, v[2:5], off offset:800
	v_cmpx_lt_u32_e32 48, v0
	s_cbranch_execz .LBB114_223
; %bb.222:
	scratch_load_b128 v[5:8], off, s14
	v_dual_mov_b32 v2, v1 :: v_dual_mov_b32 v3, v1
	v_mov_b32_e32 v4, v1
	scratch_store_b128 off, v[1:4], off offset:784
	s_wait_loadcnt 0x0
	ds_store_b128 v144, v[5:8]
.LBB114_223:
	s_wait_alu 0xfffe
	s_or_b32 exec_lo, exec_lo, s0
	s_wait_storecnt_dscnt 0x0
	s_barrier_signal -1
	s_barrier_wait -1
	global_inv scope:SCOPE_SE
	s_clause 0x2
	scratch_load_b128 v[2:5], off, off offset:800
	scratch_load_b128 v[6:9], off, off offset:816
	;; [unrolled: 1-line block ×3, first 2 shown]
	ds_load_b128 v[14:17], v1 offset:1600
	ds_load_b128 v[18:21], v1 offset:1616
	s_mov_b32 s0, exec_lo
	s_wait_loadcnt_dscnt 0x201
	v_mul_f64_e32 v[22:23], v[16:17], v[4:5]
	v_mul_f64_e32 v[4:5], v[14:15], v[4:5]
	s_wait_loadcnt_dscnt 0x100
	v_mul_f64_e32 v[24:25], v[18:19], v[8:9]
	v_mul_f64_e32 v[8:9], v[20:21], v[8:9]
	s_delay_alu instid0(VALU_DEP_4) | instskip(NEXT) | instid1(VALU_DEP_4)
	v_fma_f64 v[14:15], v[14:15], v[2:3], -v[22:23]
	v_fma_f64 v[1:2], v[16:17], v[2:3], v[4:5]
	s_delay_alu instid0(VALU_DEP_4) | instskip(NEXT) | instid1(VALU_DEP_4)
	v_fma_f64 v[3:4], v[20:21], v[6:7], v[24:25]
	v_fma_f64 v[5:6], v[18:19], v[6:7], -v[8:9]
	s_delay_alu instid0(VALU_DEP_4) | instskip(NEXT) | instid1(VALU_DEP_4)
	v_add_f64_e32 v[7:8], 0, v[14:15]
	v_add_f64_e32 v[1:2], 0, v[1:2]
	s_delay_alu instid0(VALU_DEP_2) | instskip(NEXT) | instid1(VALU_DEP_2)
	v_add_f64_e32 v[5:6], v[7:8], v[5:6]
	v_add_f64_e32 v[3:4], v[1:2], v[3:4]
	s_wait_loadcnt 0x0
	s_delay_alu instid0(VALU_DEP_2) | instskip(NEXT) | instid1(VALU_DEP_2)
	v_add_f64_e64 v[1:2], v[10:11], -v[5:6]
	v_add_f64_e64 v[3:4], v[12:13], -v[3:4]
	scratch_store_b128 off, v[1:4], off offset:784
	v_cmpx_lt_u32_e32 47, v0
	s_cbranch_execz .LBB114_225
; %bb.224:
	scratch_load_b128 v[1:4], off, s16
	v_mov_b32_e32 v5, 0
	s_delay_alu instid0(VALU_DEP_1)
	v_dual_mov_b32 v6, v5 :: v_dual_mov_b32 v7, v5
	v_mov_b32_e32 v8, v5
	scratch_store_b128 off, v[5:8], off offset:768
	s_wait_loadcnt 0x0
	ds_store_b128 v144, v[1:4]
.LBB114_225:
	s_wait_alu 0xfffe
	s_or_b32 exec_lo, exec_lo, s0
	s_wait_storecnt_dscnt 0x0
	s_barrier_signal -1
	s_barrier_wait -1
	global_inv scope:SCOPE_SE
	s_clause 0x3
	scratch_load_b128 v[2:5], off, off offset:784
	scratch_load_b128 v[6:9], off, off offset:800
	;; [unrolled: 1-line block ×4, first 2 shown]
	v_mov_b32_e32 v1, 0
	ds_load_b128 v[18:21], v1 offset:1584
	ds_load_b128 v[22:25], v1 offset:1600
	s_mov_b32 s0, exec_lo
	s_wait_loadcnt_dscnt 0x301
	v_mul_f64_e32 v[26:27], v[20:21], v[4:5]
	v_mul_f64_e32 v[4:5], v[18:19], v[4:5]
	s_wait_loadcnt_dscnt 0x200
	v_mul_f64_e32 v[28:29], v[22:23], v[8:9]
	v_mul_f64_e32 v[8:9], v[24:25], v[8:9]
	s_delay_alu instid0(VALU_DEP_4) | instskip(NEXT) | instid1(VALU_DEP_4)
	v_fma_f64 v[18:19], v[18:19], v[2:3], -v[26:27]
	v_fma_f64 v[20:21], v[20:21], v[2:3], v[4:5]
	ds_load_b128 v[2:5], v1 offset:1616
	v_fma_f64 v[24:25], v[24:25], v[6:7], v[28:29]
	v_fma_f64 v[6:7], v[22:23], v[6:7], -v[8:9]
	s_wait_loadcnt_dscnt 0x100
	v_mul_f64_e32 v[26:27], v[2:3], v[12:13]
	v_mul_f64_e32 v[12:13], v[4:5], v[12:13]
	v_add_f64_e32 v[8:9], 0, v[18:19]
	v_add_f64_e32 v[18:19], 0, v[20:21]
	s_delay_alu instid0(VALU_DEP_4) | instskip(NEXT) | instid1(VALU_DEP_4)
	v_fma_f64 v[4:5], v[4:5], v[10:11], v[26:27]
	v_fma_f64 v[2:3], v[2:3], v[10:11], -v[12:13]
	s_delay_alu instid0(VALU_DEP_4) | instskip(NEXT) | instid1(VALU_DEP_4)
	v_add_f64_e32 v[6:7], v[8:9], v[6:7]
	v_add_f64_e32 v[8:9], v[18:19], v[24:25]
	s_delay_alu instid0(VALU_DEP_2) | instskip(NEXT) | instid1(VALU_DEP_2)
	v_add_f64_e32 v[2:3], v[6:7], v[2:3]
	v_add_f64_e32 v[4:5], v[8:9], v[4:5]
	s_wait_loadcnt 0x0
	s_delay_alu instid0(VALU_DEP_2) | instskip(NEXT) | instid1(VALU_DEP_2)
	v_add_f64_e64 v[2:3], v[14:15], -v[2:3]
	v_add_f64_e64 v[4:5], v[16:17], -v[4:5]
	scratch_store_b128 off, v[2:5], off offset:768
	v_cmpx_lt_u32_e32 46, v0
	s_cbranch_execz .LBB114_227
; %bb.226:
	scratch_load_b128 v[5:8], off, s17
	v_dual_mov_b32 v2, v1 :: v_dual_mov_b32 v3, v1
	v_mov_b32_e32 v4, v1
	scratch_store_b128 off, v[1:4], off offset:752
	s_wait_loadcnt 0x0
	ds_store_b128 v144, v[5:8]
.LBB114_227:
	s_wait_alu 0xfffe
	s_or_b32 exec_lo, exec_lo, s0
	s_wait_storecnt_dscnt 0x0
	s_barrier_signal -1
	s_barrier_wait -1
	global_inv scope:SCOPE_SE
	s_clause 0x4
	scratch_load_b128 v[2:5], off, off offset:768
	scratch_load_b128 v[6:9], off, off offset:784
	;; [unrolled: 1-line block ×5, first 2 shown]
	ds_load_b128 v[22:25], v1 offset:1568
	ds_load_b128 v[26:29], v1 offset:1584
	s_mov_b32 s0, exec_lo
	s_wait_loadcnt_dscnt 0x401
	v_mul_f64_e32 v[30:31], v[24:25], v[4:5]
	v_mul_f64_e32 v[4:5], v[22:23], v[4:5]
	s_wait_loadcnt_dscnt 0x300
	v_mul_f64_e32 v[32:33], v[26:27], v[8:9]
	v_mul_f64_e32 v[8:9], v[28:29], v[8:9]
	s_delay_alu instid0(VALU_DEP_4) | instskip(NEXT) | instid1(VALU_DEP_4)
	v_fma_f64 v[30:31], v[22:23], v[2:3], -v[30:31]
	v_fma_f64 v[34:35], v[24:25], v[2:3], v[4:5]
	ds_load_b128 v[2:5], v1 offset:1600
	ds_load_b128 v[22:25], v1 offset:1616
	v_fma_f64 v[28:29], v[28:29], v[6:7], v[32:33]
	v_fma_f64 v[6:7], v[26:27], v[6:7], -v[8:9]
	s_wait_loadcnt_dscnt 0x201
	v_mul_f64_e32 v[36:37], v[2:3], v[12:13]
	v_mul_f64_e32 v[12:13], v[4:5], v[12:13]
	v_add_f64_e32 v[8:9], 0, v[30:31]
	v_add_f64_e32 v[26:27], 0, v[34:35]
	s_wait_loadcnt_dscnt 0x100
	v_mul_f64_e32 v[30:31], v[22:23], v[16:17]
	v_mul_f64_e32 v[16:17], v[24:25], v[16:17]
	v_fma_f64 v[4:5], v[4:5], v[10:11], v[36:37]
	v_fma_f64 v[1:2], v[2:3], v[10:11], -v[12:13]
	v_add_f64_e32 v[6:7], v[8:9], v[6:7]
	v_add_f64_e32 v[8:9], v[26:27], v[28:29]
	v_fma_f64 v[10:11], v[24:25], v[14:15], v[30:31]
	v_fma_f64 v[12:13], v[22:23], v[14:15], -v[16:17]
	s_delay_alu instid0(VALU_DEP_4) | instskip(NEXT) | instid1(VALU_DEP_4)
	v_add_f64_e32 v[1:2], v[6:7], v[1:2]
	v_add_f64_e32 v[3:4], v[8:9], v[4:5]
	s_delay_alu instid0(VALU_DEP_2) | instskip(NEXT) | instid1(VALU_DEP_2)
	v_add_f64_e32 v[1:2], v[1:2], v[12:13]
	v_add_f64_e32 v[3:4], v[3:4], v[10:11]
	s_wait_loadcnt 0x0
	s_delay_alu instid0(VALU_DEP_2) | instskip(NEXT) | instid1(VALU_DEP_2)
	v_add_f64_e64 v[1:2], v[18:19], -v[1:2]
	v_add_f64_e64 v[3:4], v[20:21], -v[3:4]
	scratch_store_b128 off, v[1:4], off offset:752
	v_cmpx_lt_u32_e32 45, v0
	s_cbranch_execz .LBB114_229
; %bb.228:
	scratch_load_b128 v[1:4], off, s18
	v_mov_b32_e32 v5, 0
	s_delay_alu instid0(VALU_DEP_1)
	v_dual_mov_b32 v6, v5 :: v_dual_mov_b32 v7, v5
	v_mov_b32_e32 v8, v5
	scratch_store_b128 off, v[5:8], off offset:736
	s_wait_loadcnt 0x0
	ds_store_b128 v144, v[1:4]
.LBB114_229:
	s_wait_alu 0xfffe
	s_or_b32 exec_lo, exec_lo, s0
	s_wait_storecnt_dscnt 0x0
	s_barrier_signal -1
	s_barrier_wait -1
	global_inv scope:SCOPE_SE
	s_clause 0x5
	scratch_load_b128 v[2:5], off, off offset:752
	scratch_load_b128 v[6:9], off, off offset:768
	scratch_load_b128 v[10:13], off, off offset:784
	scratch_load_b128 v[14:17], off, off offset:800
	scratch_load_b128 v[18:21], off, off offset:816
	scratch_load_b128 v[22:25], off, off offset:736
	v_mov_b32_e32 v1, 0
	ds_load_b128 v[26:29], v1 offset:1552
	ds_load_b128 v[30:33], v1 offset:1568
	s_mov_b32 s0, exec_lo
	s_wait_loadcnt_dscnt 0x501
	v_mul_f64_e32 v[34:35], v[28:29], v[4:5]
	v_mul_f64_e32 v[4:5], v[26:27], v[4:5]
	s_wait_loadcnt_dscnt 0x400
	v_mul_f64_e32 v[36:37], v[30:31], v[8:9]
	v_mul_f64_e32 v[8:9], v[32:33], v[8:9]
	s_delay_alu instid0(VALU_DEP_4) | instskip(NEXT) | instid1(VALU_DEP_4)
	v_fma_f64 v[34:35], v[26:27], v[2:3], -v[34:35]
	v_fma_f64 v[38:39], v[28:29], v[2:3], v[4:5]
	ds_load_b128 v[2:5], v1 offset:1584
	ds_load_b128 v[26:29], v1 offset:1600
	v_fma_f64 v[32:33], v[32:33], v[6:7], v[36:37]
	v_fma_f64 v[6:7], v[30:31], v[6:7], -v[8:9]
	s_wait_loadcnt_dscnt 0x301
	v_mul_f64_e32 v[40:41], v[2:3], v[12:13]
	v_mul_f64_e32 v[12:13], v[4:5], v[12:13]
	v_add_f64_e32 v[8:9], 0, v[34:35]
	v_add_f64_e32 v[30:31], 0, v[38:39]
	s_wait_loadcnt_dscnt 0x200
	v_mul_f64_e32 v[34:35], v[26:27], v[16:17]
	v_mul_f64_e32 v[16:17], v[28:29], v[16:17]
	v_fma_f64 v[36:37], v[4:5], v[10:11], v[40:41]
	v_fma_f64 v[10:11], v[2:3], v[10:11], -v[12:13]
	ds_load_b128 v[2:5], v1 offset:1616
	v_add_f64_e32 v[6:7], v[8:9], v[6:7]
	v_add_f64_e32 v[8:9], v[30:31], v[32:33]
	v_fma_f64 v[28:29], v[28:29], v[14:15], v[34:35]
	v_fma_f64 v[14:15], v[26:27], v[14:15], -v[16:17]
	s_wait_loadcnt_dscnt 0x100
	v_mul_f64_e32 v[12:13], v[2:3], v[20:21]
	v_mul_f64_e32 v[20:21], v[4:5], v[20:21]
	v_add_f64_e32 v[6:7], v[6:7], v[10:11]
	v_add_f64_e32 v[8:9], v[8:9], v[36:37]
	s_delay_alu instid0(VALU_DEP_4) | instskip(NEXT) | instid1(VALU_DEP_4)
	v_fma_f64 v[4:5], v[4:5], v[18:19], v[12:13]
	v_fma_f64 v[2:3], v[2:3], v[18:19], -v[20:21]
	s_delay_alu instid0(VALU_DEP_4) | instskip(NEXT) | instid1(VALU_DEP_4)
	v_add_f64_e32 v[6:7], v[6:7], v[14:15]
	v_add_f64_e32 v[8:9], v[8:9], v[28:29]
	s_delay_alu instid0(VALU_DEP_2) | instskip(NEXT) | instid1(VALU_DEP_2)
	v_add_f64_e32 v[2:3], v[6:7], v[2:3]
	v_add_f64_e32 v[4:5], v[8:9], v[4:5]
	s_wait_loadcnt 0x0
	s_delay_alu instid0(VALU_DEP_2) | instskip(NEXT) | instid1(VALU_DEP_2)
	v_add_f64_e64 v[2:3], v[22:23], -v[2:3]
	v_add_f64_e64 v[4:5], v[24:25], -v[4:5]
	scratch_store_b128 off, v[2:5], off offset:736
	v_cmpx_lt_u32_e32 44, v0
	s_cbranch_execz .LBB114_231
; %bb.230:
	scratch_load_b128 v[5:8], off, s19
	v_dual_mov_b32 v2, v1 :: v_dual_mov_b32 v3, v1
	v_mov_b32_e32 v4, v1
	scratch_store_b128 off, v[1:4], off offset:720
	s_wait_loadcnt 0x0
	ds_store_b128 v144, v[5:8]
.LBB114_231:
	s_wait_alu 0xfffe
	s_or_b32 exec_lo, exec_lo, s0
	s_wait_storecnt_dscnt 0x0
	s_barrier_signal -1
	s_barrier_wait -1
	global_inv scope:SCOPE_SE
	s_clause 0x5
	scratch_load_b128 v[2:5], off, off offset:736
	scratch_load_b128 v[6:9], off, off offset:752
	scratch_load_b128 v[10:13], off, off offset:768
	scratch_load_b128 v[14:17], off, off offset:784
	scratch_load_b128 v[18:21], off, off offset:800
	scratch_load_b128 v[22:25], off, off offset:816
	ds_load_b128 v[26:29], v1 offset:1536
	ds_load_b128 v[34:37], v1 offset:1552
	scratch_load_b128 v[30:33], off, off offset:720
	s_mov_b32 s0, exec_lo
	s_wait_loadcnt_dscnt 0x601
	v_mul_f64_e32 v[38:39], v[28:29], v[4:5]
	v_mul_f64_e32 v[4:5], v[26:27], v[4:5]
	s_wait_loadcnt_dscnt 0x500
	v_mul_f64_e32 v[40:41], v[34:35], v[8:9]
	v_mul_f64_e32 v[8:9], v[36:37], v[8:9]
	s_delay_alu instid0(VALU_DEP_4) | instskip(NEXT) | instid1(VALU_DEP_4)
	v_fma_f64 v[38:39], v[26:27], v[2:3], -v[38:39]
	v_fma_f64 v[145:146], v[28:29], v[2:3], v[4:5]
	ds_load_b128 v[2:5], v1 offset:1568
	ds_load_b128 v[26:29], v1 offset:1584
	v_fma_f64 v[36:37], v[36:37], v[6:7], v[40:41]
	v_fma_f64 v[6:7], v[34:35], v[6:7], -v[8:9]
	s_wait_loadcnt_dscnt 0x401
	v_mul_f64_e32 v[147:148], v[2:3], v[12:13]
	v_mul_f64_e32 v[12:13], v[4:5], v[12:13]
	v_add_f64_e32 v[8:9], 0, v[38:39]
	v_add_f64_e32 v[34:35], 0, v[145:146]
	s_wait_loadcnt_dscnt 0x300
	v_mul_f64_e32 v[38:39], v[26:27], v[16:17]
	v_mul_f64_e32 v[16:17], v[28:29], v[16:17]
	v_fma_f64 v[40:41], v[4:5], v[10:11], v[147:148]
	v_fma_f64 v[10:11], v[2:3], v[10:11], -v[12:13]
	v_add_f64_e32 v[12:13], v[8:9], v[6:7]
	v_add_f64_e32 v[34:35], v[34:35], v[36:37]
	ds_load_b128 v[2:5], v1 offset:1600
	ds_load_b128 v[6:9], v1 offset:1616
	v_fma_f64 v[28:29], v[28:29], v[14:15], v[38:39]
	v_fma_f64 v[14:15], v[26:27], v[14:15], -v[16:17]
	s_wait_loadcnt_dscnt 0x201
	v_mul_f64_e32 v[36:37], v[2:3], v[20:21]
	v_mul_f64_e32 v[20:21], v[4:5], v[20:21]
	s_wait_loadcnt_dscnt 0x100
	v_mul_f64_e32 v[16:17], v[6:7], v[24:25]
	v_mul_f64_e32 v[24:25], v[8:9], v[24:25]
	v_add_f64_e32 v[10:11], v[12:13], v[10:11]
	v_add_f64_e32 v[12:13], v[34:35], v[40:41]
	v_fma_f64 v[4:5], v[4:5], v[18:19], v[36:37]
	v_fma_f64 v[1:2], v[2:3], v[18:19], -v[20:21]
	v_fma_f64 v[8:9], v[8:9], v[22:23], v[16:17]
	v_fma_f64 v[6:7], v[6:7], v[22:23], -v[24:25]
	v_add_f64_e32 v[10:11], v[10:11], v[14:15]
	v_add_f64_e32 v[12:13], v[12:13], v[28:29]
	s_delay_alu instid0(VALU_DEP_2) | instskip(NEXT) | instid1(VALU_DEP_2)
	v_add_f64_e32 v[1:2], v[10:11], v[1:2]
	v_add_f64_e32 v[3:4], v[12:13], v[4:5]
	s_delay_alu instid0(VALU_DEP_2) | instskip(NEXT) | instid1(VALU_DEP_2)
	v_add_f64_e32 v[1:2], v[1:2], v[6:7]
	v_add_f64_e32 v[3:4], v[3:4], v[8:9]
	s_wait_loadcnt 0x0
	s_delay_alu instid0(VALU_DEP_2) | instskip(NEXT) | instid1(VALU_DEP_2)
	v_add_f64_e64 v[1:2], v[30:31], -v[1:2]
	v_add_f64_e64 v[3:4], v[32:33], -v[3:4]
	scratch_store_b128 off, v[1:4], off offset:720
	v_cmpx_lt_u32_e32 43, v0
	s_cbranch_execz .LBB114_233
; %bb.232:
	scratch_load_b128 v[1:4], off, s20
	v_mov_b32_e32 v5, 0
	s_delay_alu instid0(VALU_DEP_1)
	v_dual_mov_b32 v6, v5 :: v_dual_mov_b32 v7, v5
	v_mov_b32_e32 v8, v5
	scratch_store_b128 off, v[5:8], off offset:704
	s_wait_loadcnt 0x0
	ds_store_b128 v144, v[1:4]
.LBB114_233:
	s_wait_alu 0xfffe
	s_or_b32 exec_lo, exec_lo, s0
	s_wait_storecnt_dscnt 0x0
	s_barrier_signal -1
	s_barrier_wait -1
	global_inv scope:SCOPE_SE
	s_clause 0x6
	scratch_load_b128 v[2:5], off, off offset:720
	scratch_load_b128 v[6:9], off, off offset:736
	;; [unrolled: 1-line block ×7, first 2 shown]
	v_mov_b32_e32 v1, 0
	scratch_load_b128 v[34:37], off, off offset:704
	s_mov_b32 s0, exec_lo
	ds_load_b128 v[30:33], v1 offset:1520
	ds_load_b128 v[38:41], v1 offset:1536
	s_wait_loadcnt_dscnt 0x701
	v_mul_f64_e32 v[145:146], v[32:33], v[4:5]
	v_mul_f64_e32 v[4:5], v[30:31], v[4:5]
	s_wait_loadcnt_dscnt 0x600
	v_mul_f64_e32 v[147:148], v[38:39], v[8:9]
	v_mul_f64_e32 v[8:9], v[40:41], v[8:9]
	s_delay_alu instid0(VALU_DEP_4) | instskip(NEXT) | instid1(VALU_DEP_4)
	v_fma_f64 v[145:146], v[30:31], v[2:3], -v[145:146]
	v_fma_f64 v[149:150], v[32:33], v[2:3], v[4:5]
	ds_load_b128 v[2:5], v1 offset:1552
	ds_load_b128 v[30:33], v1 offset:1568
	v_fma_f64 v[40:41], v[40:41], v[6:7], v[147:148]
	v_fma_f64 v[6:7], v[38:39], v[6:7], -v[8:9]
	s_wait_loadcnt_dscnt 0x501
	v_mul_f64_e32 v[151:152], v[2:3], v[12:13]
	v_mul_f64_e32 v[12:13], v[4:5], v[12:13]
	v_add_f64_e32 v[8:9], 0, v[145:146]
	v_add_f64_e32 v[38:39], 0, v[149:150]
	s_wait_loadcnt_dscnt 0x400
	v_mul_f64_e32 v[145:146], v[30:31], v[16:17]
	v_mul_f64_e32 v[16:17], v[32:33], v[16:17]
	v_fma_f64 v[147:148], v[4:5], v[10:11], v[151:152]
	v_fma_f64 v[10:11], v[2:3], v[10:11], -v[12:13]
	v_add_f64_e32 v[12:13], v[8:9], v[6:7]
	v_add_f64_e32 v[38:39], v[38:39], v[40:41]
	ds_load_b128 v[2:5], v1 offset:1584
	ds_load_b128 v[6:9], v1 offset:1600
	v_fma_f64 v[32:33], v[32:33], v[14:15], v[145:146]
	v_fma_f64 v[14:15], v[30:31], v[14:15], -v[16:17]
	s_wait_loadcnt_dscnt 0x301
	v_mul_f64_e32 v[40:41], v[2:3], v[20:21]
	v_mul_f64_e32 v[20:21], v[4:5], v[20:21]
	s_wait_loadcnt_dscnt 0x200
	v_mul_f64_e32 v[16:17], v[6:7], v[24:25]
	v_mul_f64_e32 v[24:25], v[8:9], v[24:25]
	v_add_f64_e32 v[10:11], v[12:13], v[10:11]
	v_add_f64_e32 v[12:13], v[38:39], v[147:148]
	v_fma_f64 v[30:31], v[4:5], v[18:19], v[40:41]
	v_fma_f64 v[18:19], v[2:3], v[18:19], -v[20:21]
	ds_load_b128 v[2:5], v1 offset:1616
	v_fma_f64 v[8:9], v[8:9], v[22:23], v[16:17]
	v_fma_f64 v[6:7], v[6:7], v[22:23], -v[24:25]
	v_add_f64_e32 v[10:11], v[10:11], v[14:15]
	v_add_f64_e32 v[12:13], v[12:13], v[32:33]
	s_wait_loadcnt_dscnt 0x100
	v_mul_f64_e32 v[14:15], v[2:3], v[28:29]
	v_mul_f64_e32 v[20:21], v[4:5], v[28:29]
	s_delay_alu instid0(VALU_DEP_4) | instskip(NEXT) | instid1(VALU_DEP_4)
	v_add_f64_e32 v[10:11], v[10:11], v[18:19]
	v_add_f64_e32 v[12:13], v[12:13], v[30:31]
	s_delay_alu instid0(VALU_DEP_4) | instskip(NEXT) | instid1(VALU_DEP_4)
	v_fma_f64 v[4:5], v[4:5], v[26:27], v[14:15]
	v_fma_f64 v[2:3], v[2:3], v[26:27], -v[20:21]
	s_delay_alu instid0(VALU_DEP_4) | instskip(NEXT) | instid1(VALU_DEP_4)
	v_add_f64_e32 v[6:7], v[10:11], v[6:7]
	v_add_f64_e32 v[8:9], v[12:13], v[8:9]
	s_delay_alu instid0(VALU_DEP_2) | instskip(NEXT) | instid1(VALU_DEP_2)
	v_add_f64_e32 v[2:3], v[6:7], v[2:3]
	v_add_f64_e32 v[4:5], v[8:9], v[4:5]
	s_wait_loadcnt 0x0
	s_delay_alu instid0(VALU_DEP_2) | instskip(NEXT) | instid1(VALU_DEP_2)
	v_add_f64_e64 v[2:3], v[34:35], -v[2:3]
	v_add_f64_e64 v[4:5], v[36:37], -v[4:5]
	scratch_store_b128 off, v[2:5], off offset:704
	v_cmpx_lt_u32_e32 42, v0
	s_cbranch_execz .LBB114_235
; %bb.234:
	scratch_load_b128 v[5:8], off, s21
	v_dual_mov_b32 v2, v1 :: v_dual_mov_b32 v3, v1
	v_mov_b32_e32 v4, v1
	scratch_store_b128 off, v[1:4], off offset:688
	s_wait_loadcnt 0x0
	ds_store_b128 v144, v[5:8]
.LBB114_235:
	s_wait_alu 0xfffe
	s_or_b32 exec_lo, exec_lo, s0
	s_wait_storecnt_dscnt 0x0
	s_barrier_signal -1
	s_barrier_wait -1
	global_inv scope:SCOPE_SE
	s_clause 0x7
	scratch_load_b128 v[2:5], off, off offset:704
	scratch_load_b128 v[6:9], off, off offset:720
	;; [unrolled: 1-line block ×8, first 2 shown]
	ds_load_b128 v[34:37], v1 offset:1504
	ds_load_b128 v[38:41], v1 offset:1520
	scratch_load_b128 v[145:148], off, off offset:688
	s_mov_b32 s0, exec_lo
	s_wait_loadcnt_dscnt 0x801
	v_mul_f64_e32 v[149:150], v[36:37], v[4:5]
	v_mul_f64_e32 v[4:5], v[34:35], v[4:5]
	s_wait_loadcnt_dscnt 0x700
	v_mul_f64_e32 v[151:152], v[38:39], v[8:9]
	v_mul_f64_e32 v[8:9], v[40:41], v[8:9]
	s_delay_alu instid0(VALU_DEP_4) | instskip(NEXT) | instid1(VALU_DEP_4)
	v_fma_f64 v[149:150], v[34:35], v[2:3], -v[149:150]
	v_fma_f64 v[153:154], v[36:37], v[2:3], v[4:5]
	ds_load_b128 v[2:5], v1 offset:1536
	ds_load_b128 v[34:37], v1 offset:1552
	v_fma_f64 v[40:41], v[40:41], v[6:7], v[151:152]
	v_fma_f64 v[6:7], v[38:39], v[6:7], -v[8:9]
	s_wait_loadcnt_dscnt 0x601
	v_mul_f64_e32 v[155:156], v[2:3], v[12:13]
	v_mul_f64_e32 v[12:13], v[4:5], v[12:13]
	v_add_f64_e32 v[8:9], 0, v[149:150]
	v_add_f64_e32 v[38:39], 0, v[153:154]
	s_wait_loadcnt_dscnt 0x500
	v_mul_f64_e32 v[149:150], v[34:35], v[16:17]
	v_mul_f64_e32 v[16:17], v[36:37], v[16:17]
	v_fma_f64 v[151:152], v[4:5], v[10:11], v[155:156]
	v_fma_f64 v[10:11], v[2:3], v[10:11], -v[12:13]
	v_add_f64_e32 v[12:13], v[8:9], v[6:7]
	v_add_f64_e32 v[38:39], v[38:39], v[40:41]
	ds_load_b128 v[2:5], v1 offset:1568
	ds_load_b128 v[6:9], v1 offset:1584
	v_fma_f64 v[36:37], v[36:37], v[14:15], v[149:150]
	v_fma_f64 v[14:15], v[34:35], v[14:15], -v[16:17]
	s_wait_loadcnt_dscnt 0x401
	v_mul_f64_e32 v[40:41], v[2:3], v[20:21]
	v_mul_f64_e32 v[20:21], v[4:5], v[20:21]
	s_wait_loadcnt_dscnt 0x300
	v_mul_f64_e32 v[16:17], v[6:7], v[24:25]
	v_mul_f64_e32 v[24:25], v[8:9], v[24:25]
	v_add_f64_e32 v[10:11], v[12:13], v[10:11]
	v_add_f64_e32 v[12:13], v[38:39], v[151:152]
	v_fma_f64 v[34:35], v[4:5], v[18:19], v[40:41]
	v_fma_f64 v[18:19], v[2:3], v[18:19], -v[20:21]
	v_fma_f64 v[8:9], v[8:9], v[22:23], v[16:17]
	v_fma_f64 v[6:7], v[6:7], v[22:23], -v[24:25]
	v_add_f64_e32 v[14:15], v[10:11], v[14:15]
	v_add_f64_e32 v[20:21], v[12:13], v[36:37]
	ds_load_b128 v[2:5], v1 offset:1600
	ds_load_b128 v[10:13], v1 offset:1616
	s_wait_loadcnt_dscnt 0x201
	v_mul_f64_e32 v[36:37], v[2:3], v[28:29]
	v_mul_f64_e32 v[28:29], v[4:5], v[28:29]
	v_add_f64_e32 v[14:15], v[14:15], v[18:19]
	v_add_f64_e32 v[16:17], v[20:21], v[34:35]
	s_wait_loadcnt_dscnt 0x100
	v_mul_f64_e32 v[18:19], v[10:11], v[32:33]
	v_mul_f64_e32 v[20:21], v[12:13], v[32:33]
	v_fma_f64 v[4:5], v[4:5], v[26:27], v[36:37]
	v_fma_f64 v[1:2], v[2:3], v[26:27], -v[28:29]
	v_add_f64_e32 v[6:7], v[14:15], v[6:7]
	v_add_f64_e32 v[8:9], v[16:17], v[8:9]
	v_fma_f64 v[12:13], v[12:13], v[30:31], v[18:19]
	v_fma_f64 v[10:11], v[10:11], v[30:31], -v[20:21]
	s_delay_alu instid0(VALU_DEP_4) | instskip(NEXT) | instid1(VALU_DEP_4)
	v_add_f64_e32 v[1:2], v[6:7], v[1:2]
	v_add_f64_e32 v[3:4], v[8:9], v[4:5]
	s_delay_alu instid0(VALU_DEP_2) | instskip(NEXT) | instid1(VALU_DEP_2)
	v_add_f64_e32 v[1:2], v[1:2], v[10:11]
	v_add_f64_e32 v[3:4], v[3:4], v[12:13]
	s_wait_loadcnt 0x0
	s_delay_alu instid0(VALU_DEP_2) | instskip(NEXT) | instid1(VALU_DEP_2)
	v_add_f64_e64 v[1:2], v[145:146], -v[1:2]
	v_add_f64_e64 v[3:4], v[147:148], -v[3:4]
	scratch_store_b128 off, v[1:4], off offset:688
	v_cmpx_lt_u32_e32 41, v0
	s_cbranch_execz .LBB114_237
; %bb.236:
	scratch_load_b128 v[1:4], off, s22
	v_mov_b32_e32 v5, 0
	s_delay_alu instid0(VALU_DEP_1)
	v_dual_mov_b32 v6, v5 :: v_dual_mov_b32 v7, v5
	v_mov_b32_e32 v8, v5
	scratch_store_b128 off, v[5:8], off offset:672
	s_wait_loadcnt 0x0
	ds_store_b128 v144, v[1:4]
.LBB114_237:
	s_wait_alu 0xfffe
	s_or_b32 exec_lo, exec_lo, s0
	s_wait_storecnt_dscnt 0x0
	s_barrier_signal -1
	s_barrier_wait -1
	global_inv scope:SCOPE_SE
	s_clause 0x7
	scratch_load_b128 v[2:5], off, off offset:688
	scratch_load_b128 v[6:9], off, off offset:704
	;; [unrolled: 1-line block ×8, first 2 shown]
	v_mov_b32_e32 v1, 0
	s_mov_b32 s0, exec_lo
	ds_load_b128 v[34:37], v1 offset:1488
	s_clause 0x1
	scratch_load_b128 v[38:41], off, off offset:816
	scratch_load_b128 v[145:148], off, off offset:672
	ds_load_b128 v[149:152], v1 offset:1504
	s_wait_loadcnt_dscnt 0x901
	v_mul_f64_e32 v[153:154], v[36:37], v[4:5]
	v_mul_f64_e32 v[4:5], v[34:35], v[4:5]
	s_wait_loadcnt_dscnt 0x800
	v_mul_f64_e32 v[155:156], v[149:150], v[8:9]
	v_mul_f64_e32 v[8:9], v[151:152], v[8:9]
	s_delay_alu instid0(VALU_DEP_4) | instskip(NEXT) | instid1(VALU_DEP_4)
	v_fma_f64 v[153:154], v[34:35], v[2:3], -v[153:154]
	v_fma_f64 v[157:158], v[36:37], v[2:3], v[4:5]
	ds_load_b128 v[2:5], v1 offset:1520
	ds_load_b128 v[34:37], v1 offset:1536
	v_fma_f64 v[151:152], v[151:152], v[6:7], v[155:156]
	v_fma_f64 v[6:7], v[149:150], v[6:7], -v[8:9]
	s_wait_loadcnt_dscnt 0x701
	v_mul_f64_e32 v[159:160], v[2:3], v[12:13]
	v_mul_f64_e32 v[12:13], v[4:5], v[12:13]
	v_add_f64_e32 v[8:9], 0, v[153:154]
	v_add_f64_e32 v[149:150], 0, v[157:158]
	s_wait_loadcnt_dscnt 0x600
	v_mul_f64_e32 v[153:154], v[34:35], v[16:17]
	v_mul_f64_e32 v[16:17], v[36:37], v[16:17]
	v_fma_f64 v[155:156], v[4:5], v[10:11], v[159:160]
	v_fma_f64 v[10:11], v[2:3], v[10:11], -v[12:13]
	v_add_f64_e32 v[12:13], v[8:9], v[6:7]
	v_add_f64_e32 v[149:150], v[149:150], v[151:152]
	ds_load_b128 v[2:5], v1 offset:1552
	ds_load_b128 v[6:9], v1 offset:1568
	v_fma_f64 v[36:37], v[36:37], v[14:15], v[153:154]
	v_fma_f64 v[14:15], v[34:35], v[14:15], -v[16:17]
	s_wait_loadcnt_dscnt 0x501
	v_mul_f64_e32 v[151:152], v[2:3], v[20:21]
	v_mul_f64_e32 v[20:21], v[4:5], v[20:21]
	s_wait_loadcnt_dscnt 0x400
	v_mul_f64_e32 v[16:17], v[6:7], v[24:25]
	v_mul_f64_e32 v[24:25], v[8:9], v[24:25]
	v_add_f64_e32 v[10:11], v[12:13], v[10:11]
	v_add_f64_e32 v[12:13], v[149:150], v[155:156]
	v_fma_f64 v[34:35], v[4:5], v[18:19], v[151:152]
	v_fma_f64 v[18:19], v[2:3], v[18:19], -v[20:21]
	v_fma_f64 v[8:9], v[8:9], v[22:23], v[16:17]
	v_fma_f64 v[6:7], v[6:7], v[22:23], -v[24:25]
	v_add_f64_e32 v[14:15], v[10:11], v[14:15]
	v_add_f64_e32 v[20:21], v[12:13], v[36:37]
	ds_load_b128 v[2:5], v1 offset:1584
	ds_load_b128 v[10:13], v1 offset:1600
	s_wait_loadcnt_dscnt 0x301
	v_mul_f64_e32 v[36:37], v[2:3], v[28:29]
	v_mul_f64_e32 v[28:29], v[4:5], v[28:29]
	v_add_f64_e32 v[14:15], v[14:15], v[18:19]
	v_add_f64_e32 v[16:17], v[20:21], v[34:35]
	s_wait_loadcnt_dscnt 0x200
	v_mul_f64_e32 v[18:19], v[10:11], v[32:33]
	v_mul_f64_e32 v[20:21], v[12:13], v[32:33]
	v_fma_f64 v[22:23], v[4:5], v[26:27], v[36:37]
	v_fma_f64 v[24:25], v[2:3], v[26:27], -v[28:29]
	ds_load_b128 v[2:5], v1 offset:1616
	v_add_f64_e32 v[6:7], v[14:15], v[6:7]
	v_add_f64_e32 v[8:9], v[16:17], v[8:9]
	v_fma_f64 v[12:13], v[12:13], v[30:31], v[18:19]
	v_fma_f64 v[10:11], v[10:11], v[30:31], -v[20:21]
	s_wait_loadcnt_dscnt 0x100
	v_mul_f64_e32 v[14:15], v[2:3], v[40:41]
	v_mul_f64_e32 v[16:17], v[4:5], v[40:41]
	v_add_f64_e32 v[6:7], v[6:7], v[24:25]
	v_add_f64_e32 v[8:9], v[8:9], v[22:23]
	s_delay_alu instid0(VALU_DEP_4) | instskip(NEXT) | instid1(VALU_DEP_4)
	v_fma_f64 v[4:5], v[4:5], v[38:39], v[14:15]
	v_fma_f64 v[2:3], v[2:3], v[38:39], -v[16:17]
	s_delay_alu instid0(VALU_DEP_4) | instskip(NEXT) | instid1(VALU_DEP_4)
	v_add_f64_e32 v[6:7], v[6:7], v[10:11]
	v_add_f64_e32 v[8:9], v[8:9], v[12:13]
	s_delay_alu instid0(VALU_DEP_2) | instskip(NEXT) | instid1(VALU_DEP_2)
	v_add_f64_e32 v[2:3], v[6:7], v[2:3]
	v_add_f64_e32 v[4:5], v[8:9], v[4:5]
	s_wait_loadcnt 0x0
	s_delay_alu instid0(VALU_DEP_2) | instskip(NEXT) | instid1(VALU_DEP_2)
	v_add_f64_e64 v[2:3], v[145:146], -v[2:3]
	v_add_f64_e64 v[4:5], v[147:148], -v[4:5]
	scratch_store_b128 off, v[2:5], off offset:672
	v_cmpx_lt_u32_e32 40, v0
	s_cbranch_execz .LBB114_239
; %bb.238:
	scratch_load_b128 v[5:8], off, s23
	v_dual_mov_b32 v2, v1 :: v_dual_mov_b32 v3, v1
	v_mov_b32_e32 v4, v1
	scratch_store_b128 off, v[1:4], off offset:656
	s_wait_loadcnt 0x0
	ds_store_b128 v144, v[5:8]
.LBB114_239:
	s_wait_alu 0xfffe
	s_or_b32 exec_lo, exec_lo, s0
	s_wait_storecnt_dscnt 0x0
	s_barrier_signal -1
	s_barrier_wait -1
	global_inv scope:SCOPE_SE
	s_clause 0x8
	scratch_load_b128 v[2:5], off, off offset:672
	scratch_load_b128 v[6:9], off, off offset:688
	;; [unrolled: 1-line block ×9, first 2 shown]
	ds_load_b128 v[38:41], v1 offset:1472
	ds_load_b128 v[145:148], v1 offset:1488
	s_clause 0x1
	scratch_load_b128 v[149:152], off, off offset:656
	scratch_load_b128 v[153:156], off, off offset:816
	s_mov_b32 s0, exec_lo
	s_wait_loadcnt_dscnt 0xa01
	v_mul_f64_e32 v[157:158], v[40:41], v[4:5]
	v_mul_f64_e32 v[4:5], v[38:39], v[4:5]
	s_wait_loadcnt_dscnt 0x900
	v_mul_f64_e32 v[159:160], v[145:146], v[8:9]
	v_mul_f64_e32 v[8:9], v[147:148], v[8:9]
	s_delay_alu instid0(VALU_DEP_4) | instskip(NEXT) | instid1(VALU_DEP_4)
	v_fma_f64 v[157:158], v[38:39], v[2:3], -v[157:158]
	v_fma_f64 v[161:162], v[40:41], v[2:3], v[4:5]
	ds_load_b128 v[2:5], v1 offset:1504
	ds_load_b128 v[38:41], v1 offset:1520
	v_fma_f64 v[147:148], v[147:148], v[6:7], v[159:160]
	v_fma_f64 v[6:7], v[145:146], v[6:7], -v[8:9]
	s_wait_loadcnt_dscnt 0x801
	v_mul_f64_e32 v[163:164], v[2:3], v[12:13]
	v_mul_f64_e32 v[12:13], v[4:5], v[12:13]
	v_add_f64_e32 v[8:9], 0, v[157:158]
	v_add_f64_e32 v[145:146], 0, v[161:162]
	s_wait_loadcnt_dscnt 0x700
	v_mul_f64_e32 v[157:158], v[38:39], v[16:17]
	v_mul_f64_e32 v[16:17], v[40:41], v[16:17]
	v_fma_f64 v[159:160], v[4:5], v[10:11], v[163:164]
	v_fma_f64 v[10:11], v[2:3], v[10:11], -v[12:13]
	v_add_f64_e32 v[12:13], v[8:9], v[6:7]
	v_add_f64_e32 v[145:146], v[145:146], v[147:148]
	ds_load_b128 v[2:5], v1 offset:1536
	ds_load_b128 v[6:9], v1 offset:1552
	v_fma_f64 v[40:41], v[40:41], v[14:15], v[157:158]
	v_fma_f64 v[14:15], v[38:39], v[14:15], -v[16:17]
	s_wait_loadcnt_dscnt 0x601
	v_mul_f64_e32 v[147:148], v[2:3], v[20:21]
	v_mul_f64_e32 v[20:21], v[4:5], v[20:21]
	s_wait_loadcnt_dscnt 0x500
	v_mul_f64_e32 v[16:17], v[6:7], v[24:25]
	v_mul_f64_e32 v[24:25], v[8:9], v[24:25]
	v_add_f64_e32 v[10:11], v[12:13], v[10:11]
	v_add_f64_e32 v[12:13], v[145:146], v[159:160]
	v_fma_f64 v[38:39], v[4:5], v[18:19], v[147:148]
	v_fma_f64 v[18:19], v[2:3], v[18:19], -v[20:21]
	v_fma_f64 v[8:9], v[8:9], v[22:23], v[16:17]
	v_fma_f64 v[6:7], v[6:7], v[22:23], -v[24:25]
	v_add_f64_e32 v[14:15], v[10:11], v[14:15]
	v_add_f64_e32 v[20:21], v[12:13], v[40:41]
	ds_load_b128 v[2:5], v1 offset:1568
	ds_load_b128 v[10:13], v1 offset:1584
	s_wait_loadcnt_dscnt 0x401
	v_mul_f64_e32 v[40:41], v[2:3], v[28:29]
	v_mul_f64_e32 v[28:29], v[4:5], v[28:29]
	v_add_f64_e32 v[14:15], v[14:15], v[18:19]
	v_add_f64_e32 v[16:17], v[20:21], v[38:39]
	s_wait_loadcnt_dscnt 0x300
	v_mul_f64_e32 v[18:19], v[10:11], v[32:33]
	v_mul_f64_e32 v[20:21], v[12:13], v[32:33]
	v_fma_f64 v[22:23], v[4:5], v[26:27], v[40:41]
	v_fma_f64 v[24:25], v[2:3], v[26:27], -v[28:29]
	v_add_f64_e32 v[14:15], v[14:15], v[6:7]
	v_add_f64_e32 v[16:17], v[16:17], v[8:9]
	ds_load_b128 v[2:5], v1 offset:1600
	ds_load_b128 v[6:9], v1 offset:1616
	v_fma_f64 v[12:13], v[12:13], v[30:31], v[18:19]
	v_fma_f64 v[10:11], v[10:11], v[30:31], -v[20:21]
	s_wait_loadcnt_dscnt 0x201
	v_mul_f64_e32 v[26:27], v[2:3], v[36:37]
	v_mul_f64_e32 v[28:29], v[4:5], v[36:37]
	s_wait_loadcnt_dscnt 0x0
	v_mul_f64_e32 v[18:19], v[6:7], v[155:156]
	v_mul_f64_e32 v[20:21], v[8:9], v[155:156]
	v_add_f64_e32 v[14:15], v[14:15], v[24:25]
	v_add_f64_e32 v[16:17], v[16:17], v[22:23]
	v_fma_f64 v[4:5], v[4:5], v[34:35], v[26:27]
	v_fma_f64 v[1:2], v[2:3], v[34:35], -v[28:29]
	v_fma_f64 v[8:9], v[8:9], v[153:154], v[18:19]
	v_fma_f64 v[6:7], v[6:7], v[153:154], -v[20:21]
	v_add_f64_e32 v[10:11], v[14:15], v[10:11]
	v_add_f64_e32 v[12:13], v[16:17], v[12:13]
	s_delay_alu instid0(VALU_DEP_2) | instskip(NEXT) | instid1(VALU_DEP_2)
	v_add_f64_e32 v[1:2], v[10:11], v[1:2]
	v_add_f64_e32 v[3:4], v[12:13], v[4:5]
	s_delay_alu instid0(VALU_DEP_2) | instskip(NEXT) | instid1(VALU_DEP_2)
	;; [unrolled: 3-line block ×3, first 2 shown]
	v_add_f64_e64 v[1:2], v[149:150], -v[1:2]
	v_add_f64_e64 v[3:4], v[151:152], -v[3:4]
	scratch_store_b128 off, v[1:4], off offset:656
	v_cmpx_lt_u32_e32 39, v0
	s_cbranch_execz .LBB114_241
; %bb.240:
	scratch_load_b128 v[1:4], off, s24
	v_mov_b32_e32 v5, 0
	s_delay_alu instid0(VALU_DEP_1)
	v_dual_mov_b32 v6, v5 :: v_dual_mov_b32 v7, v5
	v_mov_b32_e32 v8, v5
	scratch_store_b128 off, v[5:8], off offset:640
	s_wait_loadcnt 0x0
	ds_store_b128 v144, v[1:4]
.LBB114_241:
	s_wait_alu 0xfffe
	s_or_b32 exec_lo, exec_lo, s0
	s_wait_storecnt_dscnt 0x0
	s_barrier_signal -1
	s_barrier_wait -1
	global_inv scope:SCOPE_SE
	s_clause 0x7
	scratch_load_b128 v[2:5], off, off offset:656
	scratch_load_b128 v[6:9], off, off offset:672
	;; [unrolled: 1-line block ×8, first 2 shown]
	v_mov_b32_e32 v1, 0
	s_clause 0x1
	scratch_load_b128 v[38:41], off, off offset:784
	scratch_load_b128 v[149:152], off, off offset:800
	s_mov_b32 s0, exec_lo
	ds_load_b128 v[34:37], v1 offset:1456
	ds_load_b128 v[145:148], v1 offset:1472
	s_wait_loadcnt_dscnt 0x901
	v_mul_f64_e32 v[153:154], v[36:37], v[4:5]
	v_mul_f64_e32 v[4:5], v[34:35], v[4:5]
	s_wait_loadcnt_dscnt 0x800
	v_mul_f64_e32 v[155:156], v[145:146], v[8:9]
	v_mul_f64_e32 v[8:9], v[147:148], v[8:9]
	s_delay_alu instid0(VALU_DEP_4) | instskip(NEXT) | instid1(VALU_DEP_4)
	v_fma_f64 v[153:154], v[34:35], v[2:3], -v[153:154]
	v_fma_f64 v[157:158], v[36:37], v[2:3], v[4:5]
	ds_load_b128 v[2:5], v1 offset:1488
	scratch_load_b128 v[34:37], off, off offset:816
	v_fma_f64 v[147:148], v[147:148], v[6:7], v[155:156]
	v_fma_f64 v[145:146], v[145:146], v[6:7], -v[8:9]
	ds_load_b128 v[6:9], v1 offset:1504
	s_wait_loadcnt_dscnt 0x801
	v_mul_f64_e32 v[159:160], v[2:3], v[12:13]
	v_mul_f64_e32 v[12:13], v[4:5], v[12:13]
	v_add_f64_e32 v[153:154], 0, v[153:154]
	v_add_f64_e32 v[155:156], 0, v[157:158]
	s_wait_loadcnt_dscnt 0x700
	v_mul_f64_e32 v[157:158], v[6:7], v[16:17]
	v_mul_f64_e32 v[16:17], v[8:9], v[16:17]
	v_fma_f64 v[159:160], v[4:5], v[10:11], v[159:160]
	v_fma_f64 v[10:11], v[2:3], v[10:11], -v[12:13]
	ds_load_b128 v[2:5], v1 offset:1520
	v_add_f64_e32 v[12:13], v[153:154], v[145:146]
	v_add_f64_e32 v[145:146], v[155:156], v[147:148]
	v_fma_f64 v[153:154], v[8:9], v[14:15], v[157:158]
	v_fma_f64 v[14:15], v[6:7], v[14:15], -v[16:17]
	ds_load_b128 v[6:9], v1 offset:1536
	s_wait_loadcnt_dscnt 0x601
	v_mul_f64_e32 v[147:148], v[2:3], v[20:21]
	v_mul_f64_e32 v[20:21], v[4:5], v[20:21]
	s_wait_loadcnt_dscnt 0x500
	v_mul_f64_e32 v[155:156], v[6:7], v[24:25]
	v_mul_f64_e32 v[24:25], v[8:9], v[24:25]
	v_add_f64_e32 v[16:17], v[12:13], v[10:11]
	v_add_f64_e32 v[145:146], v[145:146], v[159:160]
	scratch_load_b128 v[10:13], off, off offset:640
	v_fma_f64 v[147:148], v[4:5], v[18:19], v[147:148]
	v_fma_f64 v[18:19], v[2:3], v[18:19], -v[20:21]
	ds_load_b128 v[2:5], v1 offset:1552
	v_add_f64_e32 v[14:15], v[16:17], v[14:15]
	v_add_f64_e32 v[16:17], v[145:146], v[153:154]
	v_fma_f64 v[145:146], v[8:9], v[22:23], v[155:156]
	v_fma_f64 v[22:23], v[6:7], v[22:23], -v[24:25]
	ds_load_b128 v[6:9], v1 offset:1568
	s_wait_loadcnt_dscnt 0x501
	v_mul_f64_e32 v[20:21], v[2:3], v[28:29]
	v_mul_f64_e32 v[28:29], v[4:5], v[28:29]
	s_wait_loadcnt_dscnt 0x400
	v_mul_f64_e32 v[24:25], v[8:9], v[32:33]
	v_add_f64_e32 v[14:15], v[14:15], v[18:19]
	v_add_f64_e32 v[16:17], v[16:17], v[147:148]
	v_mul_f64_e32 v[18:19], v[6:7], v[32:33]
	v_fma_f64 v[20:21], v[4:5], v[26:27], v[20:21]
	v_fma_f64 v[26:27], v[2:3], v[26:27], -v[28:29]
	ds_load_b128 v[2:5], v1 offset:1584
	v_fma_f64 v[24:25], v[6:7], v[30:31], -v[24:25]
	v_add_f64_e32 v[14:15], v[14:15], v[22:23]
	v_add_f64_e32 v[16:17], v[16:17], v[145:146]
	v_fma_f64 v[18:19], v[8:9], v[30:31], v[18:19]
	ds_load_b128 v[6:9], v1 offset:1600
	s_wait_loadcnt_dscnt 0x301
	v_mul_f64_e32 v[22:23], v[2:3], v[40:41]
	v_mul_f64_e32 v[28:29], v[4:5], v[40:41]
	v_add_f64_e32 v[14:15], v[14:15], v[26:27]
	v_add_f64_e32 v[16:17], v[16:17], v[20:21]
	s_wait_loadcnt_dscnt 0x200
	v_mul_f64_e32 v[20:21], v[6:7], v[151:152]
	v_mul_f64_e32 v[26:27], v[8:9], v[151:152]
	v_fma_f64 v[22:23], v[4:5], v[38:39], v[22:23]
	v_fma_f64 v[28:29], v[2:3], v[38:39], -v[28:29]
	ds_load_b128 v[2:5], v1 offset:1616
	v_add_f64_e32 v[14:15], v[14:15], v[24:25]
	v_add_f64_e32 v[16:17], v[16:17], v[18:19]
	v_fma_f64 v[8:9], v[8:9], v[149:150], v[20:21]
	v_fma_f64 v[6:7], v[6:7], v[149:150], -v[26:27]
	s_wait_loadcnt_dscnt 0x100
	v_mul_f64_e32 v[18:19], v[2:3], v[36:37]
	v_mul_f64_e32 v[24:25], v[4:5], v[36:37]
	v_add_f64_e32 v[14:15], v[14:15], v[28:29]
	v_add_f64_e32 v[16:17], v[16:17], v[22:23]
	s_delay_alu instid0(VALU_DEP_4) | instskip(NEXT) | instid1(VALU_DEP_4)
	v_fma_f64 v[4:5], v[4:5], v[34:35], v[18:19]
	v_fma_f64 v[2:3], v[2:3], v[34:35], -v[24:25]
	s_delay_alu instid0(VALU_DEP_4) | instskip(NEXT) | instid1(VALU_DEP_4)
	v_add_f64_e32 v[6:7], v[14:15], v[6:7]
	v_add_f64_e32 v[8:9], v[16:17], v[8:9]
	s_delay_alu instid0(VALU_DEP_2) | instskip(NEXT) | instid1(VALU_DEP_2)
	v_add_f64_e32 v[2:3], v[6:7], v[2:3]
	v_add_f64_e32 v[4:5], v[8:9], v[4:5]
	s_wait_loadcnt 0x0
	s_delay_alu instid0(VALU_DEP_2) | instskip(NEXT) | instid1(VALU_DEP_2)
	v_add_f64_e64 v[2:3], v[10:11], -v[2:3]
	v_add_f64_e64 v[4:5], v[12:13], -v[4:5]
	scratch_store_b128 off, v[2:5], off offset:640
	v_cmpx_lt_u32_e32 38, v0
	s_cbranch_execz .LBB114_243
; %bb.242:
	scratch_load_b128 v[5:8], off, s25
	v_dual_mov_b32 v2, v1 :: v_dual_mov_b32 v3, v1
	v_mov_b32_e32 v4, v1
	scratch_store_b128 off, v[1:4], off offset:624
	s_wait_loadcnt 0x0
	ds_store_b128 v144, v[5:8]
.LBB114_243:
	s_wait_alu 0xfffe
	s_or_b32 exec_lo, exec_lo, s0
	s_wait_storecnt_dscnt 0x0
	s_barrier_signal -1
	s_barrier_wait -1
	global_inv scope:SCOPE_SE
	s_clause 0x7
	scratch_load_b128 v[2:5], off, off offset:640
	scratch_load_b128 v[6:9], off, off offset:656
	scratch_load_b128 v[10:13], off, off offset:672
	scratch_load_b128 v[14:17], off, off offset:688
	scratch_load_b128 v[18:21], off, off offset:704
	scratch_load_b128 v[22:25], off, off offset:720
	scratch_load_b128 v[26:29], off, off offset:736
	scratch_load_b128 v[30:33], off, off offset:752
	ds_load_b128 v[34:37], v1 offset:1440
	ds_load_b128 v[145:148], v1 offset:1456
	s_clause 0x1
	scratch_load_b128 v[38:41], off, off offset:768
	scratch_load_b128 v[149:152], off, off offset:784
	s_mov_b32 s0, exec_lo
	s_wait_loadcnt_dscnt 0x901
	v_mul_f64_e32 v[153:154], v[36:37], v[4:5]
	v_mul_f64_e32 v[4:5], v[34:35], v[4:5]
	s_wait_loadcnt_dscnt 0x800
	v_mul_f64_e32 v[155:156], v[145:146], v[8:9]
	v_mul_f64_e32 v[8:9], v[147:148], v[8:9]
	s_delay_alu instid0(VALU_DEP_4) | instskip(NEXT) | instid1(VALU_DEP_4)
	v_fma_f64 v[153:154], v[34:35], v[2:3], -v[153:154]
	v_fma_f64 v[157:158], v[36:37], v[2:3], v[4:5]
	ds_load_b128 v[2:5], v1 offset:1472
	scratch_load_b128 v[34:37], off, off offset:800
	v_fma_f64 v[155:156], v[147:148], v[6:7], v[155:156]
	v_fma_f64 v[161:162], v[145:146], v[6:7], -v[8:9]
	ds_load_b128 v[6:9], v1 offset:1488
	scratch_load_b128 v[145:148], off, off offset:816
	s_wait_loadcnt_dscnt 0x901
	v_mul_f64_e32 v[159:160], v[2:3], v[12:13]
	v_mul_f64_e32 v[12:13], v[4:5], v[12:13]
	s_wait_loadcnt_dscnt 0x800
	v_mul_f64_e32 v[163:164], v[6:7], v[16:17]
	v_mul_f64_e32 v[16:17], v[8:9], v[16:17]
	v_add_f64_e32 v[153:154], 0, v[153:154]
	v_add_f64_e32 v[157:158], 0, v[157:158]
	v_fma_f64 v[159:160], v[4:5], v[10:11], v[159:160]
	v_fma_f64 v[10:11], v[2:3], v[10:11], -v[12:13]
	ds_load_b128 v[2:5], v1 offset:1504
	v_add_f64_e32 v[12:13], v[153:154], v[161:162]
	v_add_f64_e32 v[153:154], v[157:158], v[155:156]
	v_fma_f64 v[157:158], v[8:9], v[14:15], v[163:164]
	v_fma_f64 v[14:15], v[6:7], v[14:15], -v[16:17]
	ds_load_b128 v[6:9], v1 offset:1520
	s_wait_loadcnt_dscnt 0x701
	v_mul_f64_e32 v[155:156], v[2:3], v[20:21]
	v_mul_f64_e32 v[20:21], v[4:5], v[20:21]
	s_wait_loadcnt_dscnt 0x600
	v_mul_f64_e32 v[16:17], v[6:7], v[24:25]
	v_mul_f64_e32 v[24:25], v[8:9], v[24:25]
	v_add_f64_e32 v[10:11], v[12:13], v[10:11]
	v_add_f64_e32 v[12:13], v[153:154], v[159:160]
	v_fma_f64 v[153:154], v[4:5], v[18:19], v[155:156]
	v_fma_f64 v[18:19], v[2:3], v[18:19], -v[20:21]
	ds_load_b128 v[2:5], v1 offset:1536
	v_fma_f64 v[16:17], v[8:9], v[22:23], v[16:17]
	v_fma_f64 v[22:23], v[6:7], v[22:23], -v[24:25]
	ds_load_b128 v[6:9], v1 offset:1552
	s_wait_loadcnt_dscnt 0x501
	v_mul_f64_e32 v[155:156], v[2:3], v[28:29]
	v_mul_f64_e32 v[28:29], v[4:5], v[28:29]
	v_add_f64_e32 v[14:15], v[10:11], v[14:15]
	v_add_f64_e32 v[20:21], v[12:13], v[157:158]
	scratch_load_b128 v[10:13], off, off offset:624
	s_wait_loadcnt_dscnt 0x500
	v_mul_f64_e32 v[24:25], v[8:9], v[32:33]
	v_add_f64_e32 v[14:15], v[14:15], v[18:19]
	v_add_f64_e32 v[18:19], v[20:21], v[153:154]
	v_mul_f64_e32 v[20:21], v[6:7], v[32:33]
	v_fma_f64 v[32:33], v[4:5], v[26:27], v[155:156]
	v_fma_f64 v[26:27], v[2:3], v[26:27], -v[28:29]
	ds_load_b128 v[2:5], v1 offset:1568
	v_fma_f64 v[24:25], v[6:7], v[30:31], -v[24:25]
	v_add_f64_e32 v[14:15], v[14:15], v[22:23]
	v_add_f64_e32 v[16:17], v[18:19], v[16:17]
	v_fma_f64 v[20:21], v[8:9], v[30:31], v[20:21]
	ds_load_b128 v[6:9], v1 offset:1584
	s_wait_loadcnt_dscnt 0x401
	v_mul_f64_e32 v[18:19], v[2:3], v[40:41]
	v_mul_f64_e32 v[22:23], v[4:5], v[40:41]
	s_wait_loadcnt_dscnt 0x300
	v_mul_f64_e32 v[28:29], v[8:9], v[151:152]
	v_add_f64_e32 v[14:15], v[14:15], v[26:27]
	v_add_f64_e32 v[16:17], v[16:17], v[32:33]
	v_mul_f64_e32 v[26:27], v[6:7], v[151:152]
	v_fma_f64 v[18:19], v[4:5], v[38:39], v[18:19]
	v_fma_f64 v[22:23], v[2:3], v[38:39], -v[22:23]
	ds_load_b128 v[2:5], v1 offset:1600
	v_fma_f64 v[28:29], v[6:7], v[149:150], -v[28:29]
	v_add_f64_e32 v[14:15], v[14:15], v[24:25]
	v_add_f64_e32 v[16:17], v[16:17], v[20:21]
	v_fma_f64 v[26:27], v[8:9], v[149:150], v[26:27]
	ds_load_b128 v[6:9], v1 offset:1616
	s_wait_loadcnt_dscnt 0x201
	v_mul_f64_e32 v[20:21], v[2:3], v[36:37]
	v_mul_f64_e32 v[24:25], v[4:5], v[36:37]
	v_add_f64_e32 v[14:15], v[14:15], v[22:23]
	v_add_f64_e32 v[16:17], v[16:17], v[18:19]
	s_wait_loadcnt_dscnt 0x100
	v_mul_f64_e32 v[18:19], v[6:7], v[147:148]
	v_mul_f64_e32 v[22:23], v[8:9], v[147:148]
	v_fma_f64 v[4:5], v[4:5], v[34:35], v[20:21]
	v_fma_f64 v[1:2], v[2:3], v[34:35], -v[24:25]
	v_add_f64_e32 v[14:15], v[14:15], v[28:29]
	v_add_f64_e32 v[16:17], v[16:17], v[26:27]
	v_fma_f64 v[8:9], v[8:9], v[145:146], v[18:19]
	v_fma_f64 v[6:7], v[6:7], v[145:146], -v[22:23]
	s_delay_alu instid0(VALU_DEP_4) | instskip(NEXT) | instid1(VALU_DEP_4)
	v_add_f64_e32 v[1:2], v[14:15], v[1:2]
	v_add_f64_e32 v[3:4], v[16:17], v[4:5]
	s_delay_alu instid0(VALU_DEP_2) | instskip(NEXT) | instid1(VALU_DEP_2)
	v_add_f64_e32 v[1:2], v[1:2], v[6:7]
	v_add_f64_e32 v[3:4], v[3:4], v[8:9]
	s_wait_loadcnt 0x0
	s_delay_alu instid0(VALU_DEP_2) | instskip(NEXT) | instid1(VALU_DEP_2)
	v_add_f64_e64 v[1:2], v[10:11], -v[1:2]
	v_add_f64_e64 v[3:4], v[12:13], -v[3:4]
	scratch_store_b128 off, v[1:4], off offset:624
	v_cmpx_lt_u32_e32 37, v0
	s_cbranch_execz .LBB114_245
; %bb.244:
	scratch_load_b128 v[1:4], off, s26
	v_mov_b32_e32 v5, 0
	s_delay_alu instid0(VALU_DEP_1)
	v_dual_mov_b32 v6, v5 :: v_dual_mov_b32 v7, v5
	v_mov_b32_e32 v8, v5
	scratch_store_b128 off, v[5:8], off offset:608
	s_wait_loadcnt 0x0
	ds_store_b128 v144, v[1:4]
.LBB114_245:
	s_wait_alu 0xfffe
	s_or_b32 exec_lo, exec_lo, s0
	s_wait_storecnt_dscnt 0x0
	s_barrier_signal -1
	s_barrier_wait -1
	global_inv scope:SCOPE_SE
	s_clause 0x7
	scratch_load_b128 v[2:5], off, off offset:624
	scratch_load_b128 v[6:9], off, off offset:640
	scratch_load_b128 v[10:13], off, off offset:656
	scratch_load_b128 v[14:17], off, off offset:672
	scratch_load_b128 v[18:21], off, off offset:688
	scratch_load_b128 v[22:25], off, off offset:704
	scratch_load_b128 v[26:29], off, off offset:720
	scratch_load_b128 v[30:33], off, off offset:736
	v_mov_b32_e32 v1, 0
	s_clause 0x1
	scratch_load_b128 v[38:41], off, off offset:752
	scratch_load_b128 v[149:152], off, off offset:768
	s_mov_b32 s0, exec_lo
	ds_load_b128 v[34:37], v1 offset:1424
	ds_load_b128 v[145:148], v1 offset:1440
	s_wait_loadcnt_dscnt 0x901
	v_mul_f64_e32 v[153:154], v[36:37], v[4:5]
	v_mul_f64_e32 v[4:5], v[34:35], v[4:5]
	s_wait_loadcnt_dscnt 0x800
	v_mul_f64_e32 v[155:156], v[145:146], v[8:9]
	v_mul_f64_e32 v[8:9], v[147:148], v[8:9]
	s_delay_alu instid0(VALU_DEP_4) | instskip(NEXT) | instid1(VALU_DEP_4)
	v_fma_f64 v[153:154], v[34:35], v[2:3], -v[153:154]
	v_fma_f64 v[157:158], v[36:37], v[2:3], v[4:5]
	ds_load_b128 v[2:5], v1 offset:1456
	scratch_load_b128 v[34:37], off, off offset:784
	v_fma_f64 v[155:156], v[147:148], v[6:7], v[155:156]
	v_fma_f64 v[161:162], v[145:146], v[6:7], -v[8:9]
	ds_load_b128 v[6:9], v1 offset:1472
	scratch_load_b128 v[145:148], off, off offset:800
	s_wait_loadcnt_dscnt 0x901
	v_mul_f64_e32 v[159:160], v[2:3], v[12:13]
	v_mul_f64_e32 v[12:13], v[4:5], v[12:13]
	s_wait_loadcnt_dscnt 0x800
	v_mul_f64_e32 v[163:164], v[6:7], v[16:17]
	v_mul_f64_e32 v[16:17], v[8:9], v[16:17]
	v_add_f64_e32 v[153:154], 0, v[153:154]
	v_add_f64_e32 v[157:158], 0, v[157:158]
	v_fma_f64 v[159:160], v[4:5], v[10:11], v[159:160]
	v_fma_f64 v[165:166], v[2:3], v[10:11], -v[12:13]
	ds_load_b128 v[2:5], v1 offset:1488
	scratch_load_b128 v[10:13], off, off offset:816
	v_add_f64_e32 v[153:154], v[153:154], v[161:162]
	v_add_f64_e32 v[155:156], v[157:158], v[155:156]
	v_fma_f64 v[161:162], v[8:9], v[14:15], v[163:164]
	v_fma_f64 v[14:15], v[6:7], v[14:15], -v[16:17]
	ds_load_b128 v[6:9], v1 offset:1504
	s_wait_loadcnt_dscnt 0x801
	v_mul_f64_e32 v[157:158], v[2:3], v[20:21]
	v_mul_f64_e32 v[20:21], v[4:5], v[20:21]
	v_add_f64_e32 v[16:17], v[153:154], v[165:166]
	v_add_f64_e32 v[153:154], v[155:156], v[159:160]
	s_wait_loadcnt_dscnt 0x700
	v_mul_f64_e32 v[155:156], v[6:7], v[24:25]
	v_mul_f64_e32 v[24:25], v[8:9], v[24:25]
	v_fma_f64 v[157:158], v[4:5], v[18:19], v[157:158]
	v_fma_f64 v[18:19], v[2:3], v[18:19], -v[20:21]
	ds_load_b128 v[2:5], v1 offset:1520
	v_add_f64_e32 v[14:15], v[16:17], v[14:15]
	v_add_f64_e32 v[16:17], v[153:154], v[161:162]
	v_fma_f64 v[153:154], v[8:9], v[22:23], v[155:156]
	v_fma_f64 v[22:23], v[6:7], v[22:23], -v[24:25]
	ds_load_b128 v[6:9], v1 offset:1536
	s_wait_loadcnt_dscnt 0x601
	v_mul_f64_e32 v[20:21], v[2:3], v[28:29]
	v_mul_f64_e32 v[28:29], v[4:5], v[28:29]
	s_wait_loadcnt_dscnt 0x500
	v_mul_f64_e32 v[155:156], v[6:7], v[32:33]
	v_mul_f64_e32 v[32:33], v[8:9], v[32:33]
	v_add_f64_e32 v[18:19], v[14:15], v[18:19]
	v_add_f64_e32 v[24:25], v[16:17], v[157:158]
	scratch_load_b128 v[14:17], off, off offset:608
	v_fma_f64 v[20:21], v[4:5], v[26:27], v[20:21]
	v_fma_f64 v[26:27], v[2:3], v[26:27], -v[28:29]
	ds_load_b128 v[2:5], v1 offset:1552
	s_wait_loadcnt_dscnt 0x500
	v_mul_f64_e32 v[28:29], v[4:5], v[40:41]
	v_add_f64_e32 v[18:19], v[18:19], v[22:23]
	v_add_f64_e32 v[22:23], v[24:25], v[153:154]
	v_mul_f64_e32 v[24:25], v[2:3], v[40:41]
	v_fma_f64 v[40:41], v[8:9], v[30:31], v[155:156]
	v_fma_f64 v[30:31], v[6:7], v[30:31], -v[32:33]
	ds_load_b128 v[6:9], v1 offset:1568
	v_fma_f64 v[28:29], v[2:3], v[38:39], -v[28:29]
	v_add_f64_e32 v[18:19], v[18:19], v[26:27]
	v_add_f64_e32 v[20:21], v[22:23], v[20:21]
	v_fma_f64 v[24:25], v[4:5], v[38:39], v[24:25]
	ds_load_b128 v[2:5], v1 offset:1584
	s_wait_loadcnt_dscnt 0x401
	v_mul_f64_e32 v[22:23], v[6:7], v[151:152]
	v_mul_f64_e32 v[26:27], v[8:9], v[151:152]
	v_add_f64_e32 v[18:19], v[18:19], v[30:31]
	v_add_f64_e32 v[20:21], v[20:21], v[40:41]
	s_delay_alu instid0(VALU_DEP_4) | instskip(NEXT) | instid1(VALU_DEP_4)
	v_fma_f64 v[22:23], v[8:9], v[149:150], v[22:23]
	v_fma_f64 v[26:27], v[6:7], v[149:150], -v[26:27]
	ds_load_b128 v[6:9], v1 offset:1600
	s_wait_loadcnt_dscnt 0x301
	v_mul_f64_e32 v[30:31], v[2:3], v[36:37]
	v_mul_f64_e32 v[32:33], v[4:5], v[36:37]
	v_add_f64_e32 v[18:19], v[18:19], v[28:29]
	v_add_f64_e32 v[20:21], v[20:21], v[24:25]
	s_delay_alu instid0(VALU_DEP_4) | instskip(NEXT) | instid1(VALU_DEP_4)
	v_fma_f64 v[30:31], v[4:5], v[34:35], v[30:31]
	v_fma_f64 v[32:33], v[2:3], v[34:35], -v[32:33]
	ds_load_b128 v[2:5], v1 offset:1616
	s_wait_loadcnt_dscnt 0x201
	v_mul_f64_e32 v[24:25], v[6:7], v[147:148]
	v_mul_f64_e32 v[28:29], v[8:9], v[147:148]
	v_add_f64_e32 v[18:19], v[18:19], v[26:27]
	v_add_f64_e32 v[20:21], v[20:21], v[22:23]
	s_wait_loadcnt_dscnt 0x100
	v_mul_f64_e32 v[22:23], v[2:3], v[12:13]
	v_mul_f64_e32 v[12:13], v[4:5], v[12:13]
	v_fma_f64 v[8:9], v[8:9], v[145:146], v[24:25]
	v_fma_f64 v[6:7], v[6:7], v[145:146], -v[28:29]
	v_add_f64_e32 v[18:19], v[18:19], v[32:33]
	v_add_f64_e32 v[20:21], v[20:21], v[30:31]
	v_fma_f64 v[4:5], v[4:5], v[10:11], v[22:23]
	v_fma_f64 v[2:3], v[2:3], v[10:11], -v[12:13]
	s_delay_alu instid0(VALU_DEP_4) | instskip(NEXT) | instid1(VALU_DEP_4)
	v_add_f64_e32 v[6:7], v[18:19], v[6:7]
	v_add_f64_e32 v[8:9], v[20:21], v[8:9]
	s_delay_alu instid0(VALU_DEP_2) | instskip(NEXT) | instid1(VALU_DEP_2)
	v_add_f64_e32 v[2:3], v[6:7], v[2:3]
	v_add_f64_e32 v[4:5], v[8:9], v[4:5]
	s_wait_loadcnt 0x0
	s_delay_alu instid0(VALU_DEP_2) | instskip(NEXT) | instid1(VALU_DEP_2)
	v_add_f64_e64 v[2:3], v[14:15], -v[2:3]
	v_add_f64_e64 v[4:5], v[16:17], -v[4:5]
	scratch_store_b128 off, v[2:5], off offset:608
	v_cmpx_lt_u32_e32 36, v0
	s_cbranch_execz .LBB114_247
; %bb.246:
	scratch_load_b128 v[5:8], off, s27
	v_dual_mov_b32 v2, v1 :: v_dual_mov_b32 v3, v1
	v_mov_b32_e32 v4, v1
	scratch_store_b128 off, v[1:4], off offset:592
	s_wait_loadcnt 0x0
	ds_store_b128 v144, v[5:8]
.LBB114_247:
	s_wait_alu 0xfffe
	s_or_b32 exec_lo, exec_lo, s0
	s_wait_storecnt_dscnt 0x0
	s_barrier_signal -1
	s_barrier_wait -1
	global_inv scope:SCOPE_SE
	s_clause 0x7
	scratch_load_b128 v[2:5], off, off offset:608
	scratch_load_b128 v[6:9], off, off offset:624
	;; [unrolled: 1-line block ×8, first 2 shown]
	ds_load_b128 v[34:37], v1 offset:1408
	ds_load_b128 v[145:148], v1 offset:1424
	s_clause 0x1
	scratch_load_b128 v[38:41], off, off offset:736
	scratch_load_b128 v[149:152], off, off offset:752
	s_mov_b32 s0, exec_lo
	s_wait_loadcnt_dscnt 0x901
	v_mul_f64_e32 v[153:154], v[36:37], v[4:5]
	v_mul_f64_e32 v[4:5], v[34:35], v[4:5]
	s_wait_loadcnt_dscnt 0x800
	v_mul_f64_e32 v[155:156], v[145:146], v[8:9]
	v_mul_f64_e32 v[8:9], v[147:148], v[8:9]
	s_delay_alu instid0(VALU_DEP_4) | instskip(NEXT) | instid1(VALU_DEP_4)
	v_fma_f64 v[153:154], v[34:35], v[2:3], -v[153:154]
	v_fma_f64 v[157:158], v[36:37], v[2:3], v[4:5]
	ds_load_b128 v[2:5], v1 offset:1440
	scratch_load_b128 v[34:37], off, off offset:768
	v_fma_f64 v[155:156], v[147:148], v[6:7], v[155:156]
	v_fma_f64 v[161:162], v[145:146], v[6:7], -v[8:9]
	ds_load_b128 v[6:9], v1 offset:1456
	scratch_load_b128 v[145:148], off, off offset:784
	s_wait_loadcnt_dscnt 0x901
	v_mul_f64_e32 v[159:160], v[2:3], v[12:13]
	v_mul_f64_e32 v[12:13], v[4:5], v[12:13]
	s_wait_loadcnt_dscnt 0x800
	v_mul_f64_e32 v[163:164], v[6:7], v[16:17]
	v_mul_f64_e32 v[16:17], v[8:9], v[16:17]
	v_add_f64_e32 v[153:154], 0, v[153:154]
	v_add_f64_e32 v[157:158], 0, v[157:158]
	v_fma_f64 v[159:160], v[4:5], v[10:11], v[159:160]
	v_fma_f64 v[165:166], v[2:3], v[10:11], -v[12:13]
	ds_load_b128 v[2:5], v1 offset:1472
	scratch_load_b128 v[10:13], off, off offset:800
	v_add_f64_e32 v[153:154], v[153:154], v[161:162]
	v_add_f64_e32 v[155:156], v[157:158], v[155:156]
	v_fma_f64 v[161:162], v[8:9], v[14:15], v[163:164]
	v_fma_f64 v[163:164], v[6:7], v[14:15], -v[16:17]
	ds_load_b128 v[6:9], v1 offset:1488
	scratch_load_b128 v[14:17], off, off offset:816
	s_wait_loadcnt_dscnt 0x901
	v_mul_f64_e32 v[157:158], v[2:3], v[20:21]
	v_mul_f64_e32 v[20:21], v[4:5], v[20:21]
	v_add_f64_e32 v[153:154], v[153:154], v[165:166]
	v_add_f64_e32 v[155:156], v[155:156], v[159:160]
	s_wait_loadcnt_dscnt 0x800
	v_mul_f64_e32 v[159:160], v[6:7], v[24:25]
	v_mul_f64_e32 v[24:25], v[8:9], v[24:25]
	v_fma_f64 v[157:158], v[4:5], v[18:19], v[157:158]
	v_fma_f64 v[18:19], v[2:3], v[18:19], -v[20:21]
	ds_load_b128 v[2:5], v1 offset:1504
	v_add_f64_e32 v[20:21], v[153:154], v[163:164]
	v_add_f64_e32 v[153:154], v[155:156], v[161:162]
	v_fma_f64 v[159:160], v[8:9], v[22:23], v[159:160]
	v_fma_f64 v[22:23], v[6:7], v[22:23], -v[24:25]
	ds_load_b128 v[6:9], v1 offset:1520
	s_wait_loadcnt_dscnt 0x701
	v_mul_f64_e32 v[155:156], v[2:3], v[28:29]
	v_mul_f64_e32 v[28:29], v[4:5], v[28:29]
	s_wait_loadcnt_dscnt 0x600
	v_mul_f64_e32 v[24:25], v[6:7], v[32:33]
	v_mul_f64_e32 v[32:33], v[8:9], v[32:33]
	v_add_f64_e32 v[18:19], v[20:21], v[18:19]
	v_add_f64_e32 v[20:21], v[153:154], v[157:158]
	v_fma_f64 v[153:154], v[4:5], v[26:27], v[155:156]
	v_fma_f64 v[26:27], v[2:3], v[26:27], -v[28:29]
	ds_load_b128 v[2:5], v1 offset:1536
	v_fma_f64 v[24:25], v[8:9], v[30:31], v[24:25]
	v_fma_f64 v[30:31], v[6:7], v[30:31], -v[32:33]
	ds_load_b128 v[6:9], v1 offset:1552
	v_add_f64_e32 v[22:23], v[18:19], v[22:23]
	v_add_f64_e32 v[28:29], v[20:21], v[159:160]
	scratch_load_b128 v[18:21], off, off offset:592
	s_wait_loadcnt_dscnt 0x601
	v_mul_f64_e32 v[155:156], v[2:3], v[40:41]
	v_mul_f64_e32 v[40:41], v[4:5], v[40:41]
	s_wait_loadcnt_dscnt 0x500
	v_mul_f64_e32 v[32:33], v[8:9], v[151:152]
	v_add_f64_e32 v[22:23], v[22:23], v[26:27]
	v_add_f64_e32 v[26:27], v[28:29], v[153:154]
	v_mul_f64_e32 v[28:29], v[6:7], v[151:152]
	v_fma_f64 v[151:152], v[4:5], v[38:39], v[155:156]
	v_fma_f64 v[38:39], v[2:3], v[38:39], -v[40:41]
	ds_load_b128 v[2:5], v1 offset:1568
	v_fma_f64 v[32:33], v[6:7], v[149:150], -v[32:33]
	v_add_f64_e32 v[22:23], v[22:23], v[30:31]
	v_add_f64_e32 v[24:25], v[26:27], v[24:25]
	v_fma_f64 v[28:29], v[8:9], v[149:150], v[28:29]
	ds_load_b128 v[6:9], v1 offset:1584
	s_wait_loadcnt_dscnt 0x401
	v_mul_f64_e32 v[26:27], v[2:3], v[36:37]
	v_mul_f64_e32 v[30:31], v[4:5], v[36:37]
	s_wait_loadcnt_dscnt 0x300
	v_mul_f64_e32 v[36:37], v[6:7], v[147:148]
	v_add_f64_e32 v[22:23], v[22:23], v[38:39]
	v_add_f64_e32 v[24:25], v[24:25], v[151:152]
	v_mul_f64_e32 v[38:39], v[8:9], v[147:148]
	v_fma_f64 v[26:27], v[4:5], v[34:35], v[26:27]
	v_fma_f64 v[30:31], v[2:3], v[34:35], -v[30:31]
	ds_load_b128 v[2:5], v1 offset:1600
	v_add_f64_e32 v[22:23], v[22:23], v[32:33]
	v_add_f64_e32 v[24:25], v[24:25], v[28:29]
	v_fma_f64 v[32:33], v[8:9], v[145:146], v[36:37]
	v_fma_f64 v[34:35], v[6:7], v[145:146], -v[38:39]
	ds_load_b128 v[6:9], v1 offset:1616
	s_wait_loadcnt_dscnt 0x201
	v_mul_f64_e32 v[28:29], v[2:3], v[12:13]
	v_mul_f64_e32 v[12:13], v[4:5], v[12:13]
	v_add_f64_e32 v[22:23], v[22:23], v[30:31]
	v_add_f64_e32 v[24:25], v[24:25], v[26:27]
	s_wait_loadcnt_dscnt 0x100
	v_mul_f64_e32 v[26:27], v[6:7], v[16:17]
	v_mul_f64_e32 v[16:17], v[8:9], v[16:17]
	v_fma_f64 v[4:5], v[4:5], v[10:11], v[28:29]
	v_fma_f64 v[1:2], v[2:3], v[10:11], -v[12:13]
	v_add_f64_e32 v[10:11], v[22:23], v[34:35]
	v_add_f64_e32 v[12:13], v[24:25], v[32:33]
	v_fma_f64 v[8:9], v[8:9], v[14:15], v[26:27]
	v_fma_f64 v[6:7], v[6:7], v[14:15], -v[16:17]
	s_delay_alu instid0(VALU_DEP_4) | instskip(NEXT) | instid1(VALU_DEP_4)
	v_add_f64_e32 v[1:2], v[10:11], v[1:2]
	v_add_f64_e32 v[3:4], v[12:13], v[4:5]
	s_delay_alu instid0(VALU_DEP_2) | instskip(NEXT) | instid1(VALU_DEP_2)
	v_add_f64_e32 v[1:2], v[1:2], v[6:7]
	v_add_f64_e32 v[3:4], v[3:4], v[8:9]
	s_wait_loadcnt 0x0
	s_delay_alu instid0(VALU_DEP_2) | instskip(NEXT) | instid1(VALU_DEP_2)
	v_add_f64_e64 v[1:2], v[18:19], -v[1:2]
	v_add_f64_e64 v[3:4], v[20:21], -v[3:4]
	scratch_store_b128 off, v[1:4], off offset:592
	v_cmpx_lt_u32_e32 35, v0
	s_cbranch_execz .LBB114_249
; %bb.248:
	scratch_load_b128 v[1:4], off, s28
	v_mov_b32_e32 v5, 0
	s_delay_alu instid0(VALU_DEP_1)
	v_dual_mov_b32 v6, v5 :: v_dual_mov_b32 v7, v5
	v_mov_b32_e32 v8, v5
	scratch_store_b128 off, v[5:8], off offset:576
	s_wait_loadcnt 0x0
	ds_store_b128 v144, v[1:4]
.LBB114_249:
	s_wait_alu 0xfffe
	s_or_b32 exec_lo, exec_lo, s0
	s_wait_storecnt_dscnt 0x0
	s_barrier_signal -1
	s_barrier_wait -1
	global_inv scope:SCOPE_SE
	s_clause 0x7
	scratch_load_b128 v[2:5], off, off offset:592
	scratch_load_b128 v[6:9], off, off offset:608
	;; [unrolled: 1-line block ×8, first 2 shown]
	v_mov_b32_e32 v1, 0
	s_clause 0x1
	scratch_load_b128 v[38:41], off, off offset:720
	scratch_load_b128 v[149:152], off, off offset:736
	s_mov_b32 s0, exec_lo
	ds_load_b128 v[34:37], v1 offset:1392
	ds_load_b128 v[145:148], v1 offset:1408
	s_wait_loadcnt_dscnt 0x901
	v_mul_f64_e32 v[153:154], v[36:37], v[4:5]
	v_mul_f64_e32 v[4:5], v[34:35], v[4:5]
	s_wait_loadcnt_dscnt 0x800
	v_mul_f64_e32 v[155:156], v[145:146], v[8:9]
	v_mul_f64_e32 v[8:9], v[147:148], v[8:9]
	s_delay_alu instid0(VALU_DEP_4) | instskip(NEXT) | instid1(VALU_DEP_4)
	v_fma_f64 v[153:154], v[34:35], v[2:3], -v[153:154]
	v_fma_f64 v[157:158], v[36:37], v[2:3], v[4:5]
	ds_load_b128 v[2:5], v1 offset:1424
	scratch_load_b128 v[34:37], off, off offset:752
	v_fma_f64 v[155:156], v[147:148], v[6:7], v[155:156]
	v_fma_f64 v[161:162], v[145:146], v[6:7], -v[8:9]
	ds_load_b128 v[6:9], v1 offset:1440
	scratch_load_b128 v[145:148], off, off offset:768
	s_wait_loadcnt_dscnt 0x901
	v_mul_f64_e32 v[159:160], v[2:3], v[12:13]
	v_mul_f64_e32 v[12:13], v[4:5], v[12:13]
	s_wait_loadcnt_dscnt 0x800
	v_mul_f64_e32 v[163:164], v[6:7], v[16:17]
	v_mul_f64_e32 v[16:17], v[8:9], v[16:17]
	v_add_f64_e32 v[153:154], 0, v[153:154]
	v_add_f64_e32 v[157:158], 0, v[157:158]
	v_fma_f64 v[159:160], v[4:5], v[10:11], v[159:160]
	v_fma_f64 v[165:166], v[2:3], v[10:11], -v[12:13]
	ds_load_b128 v[2:5], v1 offset:1456
	scratch_load_b128 v[10:13], off, off offset:784
	v_add_f64_e32 v[153:154], v[153:154], v[161:162]
	v_add_f64_e32 v[155:156], v[157:158], v[155:156]
	v_fma_f64 v[161:162], v[8:9], v[14:15], v[163:164]
	v_fma_f64 v[163:164], v[6:7], v[14:15], -v[16:17]
	ds_load_b128 v[6:9], v1 offset:1472
	scratch_load_b128 v[14:17], off, off offset:800
	s_wait_loadcnt_dscnt 0x901
	v_mul_f64_e32 v[157:158], v[2:3], v[20:21]
	v_mul_f64_e32 v[20:21], v[4:5], v[20:21]
	v_add_f64_e32 v[153:154], v[153:154], v[165:166]
	v_add_f64_e32 v[155:156], v[155:156], v[159:160]
	s_wait_loadcnt_dscnt 0x800
	v_mul_f64_e32 v[159:160], v[6:7], v[24:25]
	v_mul_f64_e32 v[24:25], v[8:9], v[24:25]
	v_fma_f64 v[157:158], v[4:5], v[18:19], v[157:158]
	v_fma_f64 v[165:166], v[2:3], v[18:19], -v[20:21]
	ds_load_b128 v[2:5], v1 offset:1488
	scratch_load_b128 v[18:21], off, off offset:816
	v_add_f64_e32 v[153:154], v[153:154], v[163:164]
	v_add_f64_e32 v[155:156], v[155:156], v[161:162]
	v_fma_f64 v[159:160], v[8:9], v[22:23], v[159:160]
	v_fma_f64 v[22:23], v[6:7], v[22:23], -v[24:25]
	ds_load_b128 v[6:9], v1 offset:1504
	s_wait_loadcnt_dscnt 0x801
	v_mul_f64_e32 v[161:162], v[2:3], v[28:29]
	v_mul_f64_e32 v[28:29], v[4:5], v[28:29]
	v_add_f64_e32 v[24:25], v[153:154], v[165:166]
	v_add_f64_e32 v[153:154], v[155:156], v[157:158]
	s_wait_loadcnt_dscnt 0x700
	v_mul_f64_e32 v[155:156], v[6:7], v[32:33]
	v_mul_f64_e32 v[32:33], v[8:9], v[32:33]
	v_fma_f64 v[157:158], v[4:5], v[26:27], v[161:162]
	v_fma_f64 v[26:27], v[2:3], v[26:27], -v[28:29]
	ds_load_b128 v[2:5], v1 offset:1520
	v_add_f64_e32 v[22:23], v[24:25], v[22:23]
	v_add_f64_e32 v[24:25], v[153:154], v[159:160]
	v_fma_f64 v[153:154], v[8:9], v[30:31], v[155:156]
	v_fma_f64 v[30:31], v[6:7], v[30:31], -v[32:33]
	ds_load_b128 v[6:9], v1 offset:1536
	s_wait_loadcnt_dscnt 0x500
	v_mul_f64_e32 v[155:156], v[6:7], v[151:152]
	v_mul_f64_e32 v[151:152], v[8:9], v[151:152]
	v_add_f64_e32 v[26:27], v[22:23], v[26:27]
	v_add_f64_e32 v[32:33], v[24:25], v[157:158]
	scratch_load_b128 v[22:25], off, off offset:576
	v_mul_f64_e32 v[28:29], v[2:3], v[40:41]
	v_mul_f64_e32 v[40:41], v[4:5], v[40:41]
	v_add_f64_e32 v[26:27], v[26:27], v[30:31]
	v_add_f64_e32 v[30:31], v[32:33], v[153:154]
	s_delay_alu instid0(VALU_DEP_4) | instskip(NEXT) | instid1(VALU_DEP_4)
	v_fma_f64 v[28:29], v[4:5], v[38:39], v[28:29]
	v_fma_f64 v[38:39], v[2:3], v[38:39], -v[40:41]
	ds_load_b128 v[2:5], v1 offset:1552
	v_fma_f64 v[40:41], v[8:9], v[149:150], v[155:156]
	v_fma_f64 v[149:150], v[6:7], v[149:150], -v[151:152]
	ds_load_b128 v[6:9], v1 offset:1568
	s_wait_loadcnt_dscnt 0x501
	v_mul_f64_e32 v[32:33], v[2:3], v[36:37]
	v_mul_f64_e32 v[36:37], v[4:5], v[36:37]
	v_add_f64_e32 v[28:29], v[30:31], v[28:29]
	v_add_f64_e32 v[26:27], v[26:27], v[38:39]
	s_wait_loadcnt_dscnt 0x400
	v_mul_f64_e32 v[30:31], v[6:7], v[147:148]
	v_mul_f64_e32 v[38:39], v[8:9], v[147:148]
	v_fma_f64 v[32:33], v[4:5], v[34:35], v[32:33]
	v_fma_f64 v[34:35], v[2:3], v[34:35], -v[36:37]
	ds_load_b128 v[2:5], v1 offset:1584
	v_add_f64_e32 v[28:29], v[28:29], v[40:41]
	v_add_f64_e32 v[26:27], v[26:27], v[149:150]
	v_fma_f64 v[30:31], v[8:9], v[145:146], v[30:31]
	v_fma_f64 v[38:39], v[6:7], v[145:146], -v[38:39]
	ds_load_b128 v[6:9], v1 offset:1600
	s_wait_loadcnt_dscnt 0x301
	v_mul_f64_e32 v[36:37], v[2:3], v[12:13]
	v_mul_f64_e32 v[12:13], v[4:5], v[12:13]
	v_add_f64_e32 v[28:29], v[28:29], v[32:33]
	v_add_f64_e32 v[26:27], v[26:27], v[34:35]
	s_wait_loadcnt_dscnt 0x200
	v_mul_f64_e32 v[32:33], v[6:7], v[16:17]
	v_mul_f64_e32 v[16:17], v[8:9], v[16:17]
	v_fma_f64 v[34:35], v[4:5], v[10:11], v[36:37]
	v_fma_f64 v[10:11], v[2:3], v[10:11], -v[12:13]
	ds_load_b128 v[2:5], v1 offset:1616
	v_add_f64_e32 v[12:13], v[26:27], v[38:39]
	v_add_f64_e32 v[26:27], v[28:29], v[30:31]
	s_wait_loadcnt_dscnt 0x100
	v_mul_f64_e32 v[28:29], v[2:3], v[20:21]
	v_mul_f64_e32 v[20:21], v[4:5], v[20:21]
	v_fma_f64 v[8:9], v[8:9], v[14:15], v[32:33]
	v_fma_f64 v[6:7], v[6:7], v[14:15], -v[16:17]
	v_add_f64_e32 v[10:11], v[12:13], v[10:11]
	v_add_f64_e32 v[12:13], v[26:27], v[34:35]
	v_fma_f64 v[4:5], v[4:5], v[18:19], v[28:29]
	v_fma_f64 v[2:3], v[2:3], v[18:19], -v[20:21]
	s_delay_alu instid0(VALU_DEP_4) | instskip(NEXT) | instid1(VALU_DEP_4)
	v_add_f64_e32 v[6:7], v[10:11], v[6:7]
	v_add_f64_e32 v[8:9], v[12:13], v[8:9]
	s_delay_alu instid0(VALU_DEP_2) | instskip(NEXT) | instid1(VALU_DEP_2)
	v_add_f64_e32 v[2:3], v[6:7], v[2:3]
	v_add_f64_e32 v[4:5], v[8:9], v[4:5]
	s_wait_loadcnt 0x0
	s_delay_alu instid0(VALU_DEP_2) | instskip(NEXT) | instid1(VALU_DEP_2)
	v_add_f64_e64 v[2:3], v[22:23], -v[2:3]
	v_add_f64_e64 v[4:5], v[24:25], -v[4:5]
	scratch_store_b128 off, v[2:5], off offset:576
	v_cmpx_lt_u32_e32 34, v0
	s_cbranch_execz .LBB114_251
; %bb.250:
	scratch_load_b128 v[5:8], off, s29
	v_dual_mov_b32 v2, v1 :: v_dual_mov_b32 v3, v1
	v_mov_b32_e32 v4, v1
	scratch_store_b128 off, v[1:4], off offset:560
	s_wait_loadcnt 0x0
	ds_store_b128 v144, v[5:8]
.LBB114_251:
	s_wait_alu 0xfffe
	s_or_b32 exec_lo, exec_lo, s0
	s_wait_storecnt_dscnt 0x0
	s_barrier_signal -1
	s_barrier_wait -1
	global_inv scope:SCOPE_SE
	s_clause 0x7
	scratch_load_b128 v[2:5], off, off offset:576
	scratch_load_b128 v[6:9], off, off offset:592
	;; [unrolled: 1-line block ×8, first 2 shown]
	ds_load_b128 v[34:37], v1 offset:1376
	ds_load_b128 v[145:148], v1 offset:1392
	s_clause 0x1
	scratch_load_b128 v[38:41], off, off offset:704
	scratch_load_b128 v[149:152], off, off offset:720
	s_mov_b32 s0, exec_lo
	s_wait_loadcnt_dscnt 0x901
	v_mul_f64_e32 v[153:154], v[36:37], v[4:5]
	v_mul_f64_e32 v[4:5], v[34:35], v[4:5]
	s_wait_loadcnt_dscnt 0x800
	v_mul_f64_e32 v[155:156], v[145:146], v[8:9]
	v_mul_f64_e32 v[8:9], v[147:148], v[8:9]
	s_delay_alu instid0(VALU_DEP_4) | instskip(NEXT) | instid1(VALU_DEP_4)
	v_fma_f64 v[153:154], v[34:35], v[2:3], -v[153:154]
	v_fma_f64 v[157:158], v[36:37], v[2:3], v[4:5]
	ds_load_b128 v[2:5], v1 offset:1408
	scratch_load_b128 v[34:37], off, off offset:736
	v_fma_f64 v[155:156], v[147:148], v[6:7], v[155:156]
	v_fma_f64 v[161:162], v[145:146], v[6:7], -v[8:9]
	ds_load_b128 v[6:9], v1 offset:1424
	scratch_load_b128 v[145:148], off, off offset:752
	s_wait_loadcnt_dscnt 0x901
	v_mul_f64_e32 v[159:160], v[2:3], v[12:13]
	v_mul_f64_e32 v[12:13], v[4:5], v[12:13]
	s_wait_loadcnt_dscnt 0x800
	v_mul_f64_e32 v[163:164], v[6:7], v[16:17]
	v_mul_f64_e32 v[16:17], v[8:9], v[16:17]
	v_add_f64_e32 v[153:154], 0, v[153:154]
	v_add_f64_e32 v[157:158], 0, v[157:158]
	v_fma_f64 v[159:160], v[4:5], v[10:11], v[159:160]
	v_fma_f64 v[165:166], v[2:3], v[10:11], -v[12:13]
	ds_load_b128 v[2:5], v1 offset:1440
	scratch_load_b128 v[10:13], off, off offset:768
	v_add_f64_e32 v[153:154], v[153:154], v[161:162]
	v_add_f64_e32 v[155:156], v[157:158], v[155:156]
	v_fma_f64 v[161:162], v[8:9], v[14:15], v[163:164]
	v_fma_f64 v[163:164], v[6:7], v[14:15], -v[16:17]
	ds_load_b128 v[6:9], v1 offset:1456
	scratch_load_b128 v[14:17], off, off offset:784
	s_wait_loadcnt_dscnt 0x901
	v_mul_f64_e32 v[157:158], v[2:3], v[20:21]
	v_mul_f64_e32 v[20:21], v[4:5], v[20:21]
	v_add_f64_e32 v[153:154], v[153:154], v[165:166]
	v_add_f64_e32 v[155:156], v[155:156], v[159:160]
	s_wait_loadcnt_dscnt 0x800
	v_mul_f64_e32 v[159:160], v[6:7], v[24:25]
	v_mul_f64_e32 v[24:25], v[8:9], v[24:25]
	v_fma_f64 v[157:158], v[4:5], v[18:19], v[157:158]
	v_fma_f64 v[165:166], v[2:3], v[18:19], -v[20:21]
	ds_load_b128 v[2:5], v1 offset:1472
	scratch_load_b128 v[18:21], off, off offset:800
	v_add_f64_e32 v[153:154], v[153:154], v[163:164]
	v_add_f64_e32 v[155:156], v[155:156], v[161:162]
	v_fma_f64 v[159:160], v[8:9], v[22:23], v[159:160]
	v_fma_f64 v[163:164], v[6:7], v[22:23], -v[24:25]
	ds_load_b128 v[6:9], v1 offset:1488
	s_wait_loadcnt_dscnt 0x801
	v_mul_f64_e32 v[161:162], v[2:3], v[28:29]
	v_mul_f64_e32 v[28:29], v[4:5], v[28:29]
	scratch_load_b128 v[22:25], off, off offset:816
	v_add_f64_e32 v[153:154], v[153:154], v[165:166]
	v_add_f64_e32 v[155:156], v[155:156], v[157:158]
	s_wait_loadcnt_dscnt 0x800
	v_mul_f64_e32 v[157:158], v[6:7], v[32:33]
	v_mul_f64_e32 v[32:33], v[8:9], v[32:33]
	v_fma_f64 v[161:162], v[4:5], v[26:27], v[161:162]
	v_fma_f64 v[26:27], v[2:3], v[26:27], -v[28:29]
	ds_load_b128 v[2:5], v1 offset:1504
	v_add_f64_e32 v[28:29], v[153:154], v[163:164]
	v_add_f64_e32 v[153:154], v[155:156], v[159:160]
	v_fma_f64 v[157:158], v[8:9], v[30:31], v[157:158]
	v_fma_f64 v[30:31], v[6:7], v[30:31], -v[32:33]
	ds_load_b128 v[6:9], v1 offset:1520
	s_wait_loadcnt_dscnt 0x701
	v_mul_f64_e32 v[155:156], v[2:3], v[40:41]
	v_mul_f64_e32 v[40:41], v[4:5], v[40:41]
	v_add_f64_e32 v[26:27], v[28:29], v[26:27]
	v_add_f64_e32 v[28:29], v[153:154], v[161:162]
	s_delay_alu instid0(VALU_DEP_4) | instskip(NEXT) | instid1(VALU_DEP_4)
	v_fma_f64 v[153:154], v[4:5], v[38:39], v[155:156]
	v_fma_f64 v[38:39], v[2:3], v[38:39], -v[40:41]
	ds_load_b128 v[2:5], v1 offset:1536
	v_add_f64_e32 v[30:31], v[26:27], v[30:31]
	v_add_f64_e32 v[40:41], v[28:29], v[157:158]
	scratch_load_b128 v[26:29], off, off offset:560
	s_wait_loadcnt_dscnt 0x701
	v_mul_f64_e32 v[32:33], v[6:7], v[151:152]
	v_mul_f64_e32 v[151:152], v[8:9], v[151:152]
	v_add_f64_e32 v[30:31], v[30:31], v[38:39]
	v_add_f64_e32 v[38:39], v[40:41], v[153:154]
	s_delay_alu instid0(VALU_DEP_4) | instskip(NEXT) | instid1(VALU_DEP_4)
	v_fma_f64 v[32:33], v[8:9], v[149:150], v[32:33]
	v_fma_f64 v[149:150], v[6:7], v[149:150], -v[151:152]
	ds_load_b128 v[6:9], v1 offset:1552
	s_wait_loadcnt_dscnt 0x601
	v_mul_f64_e32 v[155:156], v[2:3], v[36:37]
	v_mul_f64_e32 v[36:37], v[4:5], v[36:37]
	s_wait_loadcnt_dscnt 0x500
	v_mul_f64_e32 v[40:41], v[6:7], v[147:148]
	v_mul_f64_e32 v[147:148], v[8:9], v[147:148]
	v_add_f64_e32 v[32:33], v[38:39], v[32:33]
	v_add_f64_e32 v[30:31], v[30:31], v[149:150]
	v_fma_f64 v[151:152], v[4:5], v[34:35], v[155:156]
	v_fma_f64 v[34:35], v[2:3], v[34:35], -v[36:37]
	ds_load_b128 v[2:5], v1 offset:1568
	v_fma_f64 v[38:39], v[8:9], v[145:146], v[40:41]
	v_fma_f64 v[40:41], v[6:7], v[145:146], -v[147:148]
	ds_load_b128 v[6:9], v1 offset:1584
	s_wait_loadcnt_dscnt 0x401
	v_mul_f64_e32 v[36:37], v[2:3], v[12:13]
	v_mul_f64_e32 v[12:13], v[4:5], v[12:13]
	v_add_f64_e32 v[32:33], v[32:33], v[151:152]
	v_add_f64_e32 v[30:31], v[30:31], v[34:35]
	s_wait_loadcnt_dscnt 0x300
	v_mul_f64_e32 v[34:35], v[6:7], v[16:17]
	v_mul_f64_e32 v[16:17], v[8:9], v[16:17]
	v_fma_f64 v[36:37], v[4:5], v[10:11], v[36:37]
	v_fma_f64 v[10:11], v[2:3], v[10:11], -v[12:13]
	ds_load_b128 v[2:5], v1 offset:1600
	v_add_f64_e32 v[12:13], v[30:31], v[40:41]
	v_add_f64_e32 v[30:31], v[32:33], v[38:39]
	v_fma_f64 v[34:35], v[8:9], v[14:15], v[34:35]
	v_fma_f64 v[14:15], v[6:7], v[14:15], -v[16:17]
	ds_load_b128 v[6:9], v1 offset:1616
	s_wait_loadcnt_dscnt 0x201
	v_mul_f64_e32 v[32:33], v[2:3], v[20:21]
	v_mul_f64_e32 v[20:21], v[4:5], v[20:21]
	s_wait_loadcnt_dscnt 0x100
	v_mul_f64_e32 v[16:17], v[6:7], v[24:25]
	v_mul_f64_e32 v[24:25], v[8:9], v[24:25]
	v_add_f64_e32 v[10:11], v[12:13], v[10:11]
	v_add_f64_e32 v[12:13], v[30:31], v[36:37]
	v_fma_f64 v[4:5], v[4:5], v[18:19], v[32:33]
	v_fma_f64 v[1:2], v[2:3], v[18:19], -v[20:21]
	v_fma_f64 v[8:9], v[8:9], v[22:23], v[16:17]
	v_fma_f64 v[6:7], v[6:7], v[22:23], -v[24:25]
	v_add_f64_e32 v[10:11], v[10:11], v[14:15]
	v_add_f64_e32 v[12:13], v[12:13], v[34:35]
	s_delay_alu instid0(VALU_DEP_2) | instskip(NEXT) | instid1(VALU_DEP_2)
	v_add_f64_e32 v[1:2], v[10:11], v[1:2]
	v_add_f64_e32 v[3:4], v[12:13], v[4:5]
	s_delay_alu instid0(VALU_DEP_2) | instskip(NEXT) | instid1(VALU_DEP_2)
	v_add_f64_e32 v[1:2], v[1:2], v[6:7]
	v_add_f64_e32 v[3:4], v[3:4], v[8:9]
	s_wait_loadcnt 0x0
	s_delay_alu instid0(VALU_DEP_2) | instskip(NEXT) | instid1(VALU_DEP_2)
	v_add_f64_e64 v[1:2], v[26:27], -v[1:2]
	v_add_f64_e64 v[3:4], v[28:29], -v[3:4]
	scratch_store_b128 off, v[1:4], off offset:560
	v_cmpx_lt_u32_e32 33, v0
	s_cbranch_execz .LBB114_253
; %bb.252:
	scratch_load_b128 v[1:4], off, s30
	v_mov_b32_e32 v5, 0
	s_delay_alu instid0(VALU_DEP_1)
	v_dual_mov_b32 v6, v5 :: v_dual_mov_b32 v7, v5
	v_mov_b32_e32 v8, v5
	scratch_store_b128 off, v[5:8], off offset:544
	s_wait_loadcnt 0x0
	ds_store_b128 v144, v[1:4]
.LBB114_253:
	s_wait_alu 0xfffe
	s_or_b32 exec_lo, exec_lo, s0
	s_wait_storecnt_dscnt 0x0
	s_barrier_signal -1
	s_barrier_wait -1
	global_inv scope:SCOPE_SE
	s_clause 0x7
	scratch_load_b128 v[2:5], off, off offset:560
	scratch_load_b128 v[6:9], off, off offset:576
	;; [unrolled: 1-line block ×8, first 2 shown]
	v_mov_b32_e32 v1, 0
	s_clause 0x1
	scratch_load_b128 v[38:41], off, off offset:688
	scratch_load_b128 v[149:152], off, off offset:704
	s_mov_b32 s0, exec_lo
	ds_load_b128 v[34:37], v1 offset:1360
	ds_load_b128 v[145:148], v1 offset:1376
	s_wait_loadcnt_dscnt 0x901
	v_mul_f64_e32 v[153:154], v[36:37], v[4:5]
	v_mul_f64_e32 v[4:5], v[34:35], v[4:5]
	s_wait_loadcnt_dscnt 0x800
	v_mul_f64_e32 v[155:156], v[145:146], v[8:9]
	v_mul_f64_e32 v[8:9], v[147:148], v[8:9]
	s_delay_alu instid0(VALU_DEP_4) | instskip(NEXT) | instid1(VALU_DEP_4)
	v_fma_f64 v[153:154], v[34:35], v[2:3], -v[153:154]
	v_fma_f64 v[157:158], v[36:37], v[2:3], v[4:5]
	ds_load_b128 v[2:5], v1 offset:1392
	scratch_load_b128 v[34:37], off, off offset:720
	v_fma_f64 v[155:156], v[147:148], v[6:7], v[155:156]
	v_fma_f64 v[161:162], v[145:146], v[6:7], -v[8:9]
	ds_load_b128 v[6:9], v1 offset:1408
	scratch_load_b128 v[145:148], off, off offset:736
	s_wait_loadcnt_dscnt 0x901
	v_mul_f64_e32 v[159:160], v[2:3], v[12:13]
	v_mul_f64_e32 v[12:13], v[4:5], v[12:13]
	s_wait_loadcnt_dscnt 0x800
	v_mul_f64_e32 v[163:164], v[6:7], v[16:17]
	v_mul_f64_e32 v[16:17], v[8:9], v[16:17]
	v_add_f64_e32 v[153:154], 0, v[153:154]
	v_add_f64_e32 v[157:158], 0, v[157:158]
	v_fma_f64 v[159:160], v[4:5], v[10:11], v[159:160]
	v_fma_f64 v[165:166], v[2:3], v[10:11], -v[12:13]
	ds_load_b128 v[2:5], v1 offset:1424
	scratch_load_b128 v[10:13], off, off offset:752
	v_add_f64_e32 v[153:154], v[153:154], v[161:162]
	v_add_f64_e32 v[155:156], v[157:158], v[155:156]
	v_fma_f64 v[161:162], v[8:9], v[14:15], v[163:164]
	v_fma_f64 v[163:164], v[6:7], v[14:15], -v[16:17]
	ds_load_b128 v[6:9], v1 offset:1440
	scratch_load_b128 v[14:17], off, off offset:768
	s_wait_loadcnt_dscnt 0x901
	v_mul_f64_e32 v[157:158], v[2:3], v[20:21]
	v_mul_f64_e32 v[20:21], v[4:5], v[20:21]
	v_add_f64_e32 v[153:154], v[153:154], v[165:166]
	v_add_f64_e32 v[155:156], v[155:156], v[159:160]
	s_wait_loadcnt_dscnt 0x800
	v_mul_f64_e32 v[159:160], v[6:7], v[24:25]
	v_mul_f64_e32 v[24:25], v[8:9], v[24:25]
	v_fma_f64 v[157:158], v[4:5], v[18:19], v[157:158]
	v_fma_f64 v[165:166], v[2:3], v[18:19], -v[20:21]
	ds_load_b128 v[2:5], v1 offset:1456
	scratch_load_b128 v[18:21], off, off offset:784
	v_add_f64_e32 v[153:154], v[153:154], v[163:164]
	v_add_f64_e32 v[155:156], v[155:156], v[161:162]
	v_fma_f64 v[159:160], v[8:9], v[22:23], v[159:160]
	v_fma_f64 v[163:164], v[6:7], v[22:23], -v[24:25]
	ds_load_b128 v[6:9], v1 offset:1472
	s_wait_loadcnt_dscnt 0x801
	v_mul_f64_e32 v[161:162], v[2:3], v[28:29]
	v_mul_f64_e32 v[28:29], v[4:5], v[28:29]
	scratch_load_b128 v[22:25], off, off offset:800
	v_add_f64_e32 v[153:154], v[153:154], v[165:166]
	v_add_f64_e32 v[155:156], v[155:156], v[157:158]
	s_wait_loadcnt_dscnt 0x800
	v_mul_f64_e32 v[157:158], v[6:7], v[32:33]
	v_mul_f64_e32 v[32:33], v[8:9], v[32:33]
	v_fma_f64 v[161:162], v[4:5], v[26:27], v[161:162]
	v_fma_f64 v[165:166], v[2:3], v[26:27], -v[28:29]
	ds_load_b128 v[2:5], v1 offset:1488
	scratch_load_b128 v[26:29], off, off offset:816
	v_add_f64_e32 v[153:154], v[153:154], v[163:164]
	v_add_f64_e32 v[155:156], v[155:156], v[159:160]
	v_fma_f64 v[157:158], v[8:9], v[30:31], v[157:158]
	v_fma_f64 v[30:31], v[6:7], v[30:31], -v[32:33]
	ds_load_b128 v[6:9], v1 offset:1504
	s_wait_loadcnt_dscnt 0x801
	v_mul_f64_e32 v[159:160], v[2:3], v[40:41]
	v_mul_f64_e32 v[40:41], v[4:5], v[40:41]
	v_add_f64_e32 v[32:33], v[153:154], v[165:166]
	v_add_f64_e32 v[153:154], v[155:156], v[161:162]
	s_wait_loadcnt_dscnt 0x700
	v_mul_f64_e32 v[155:156], v[6:7], v[151:152]
	v_mul_f64_e32 v[151:152], v[8:9], v[151:152]
	v_fma_f64 v[159:160], v[4:5], v[38:39], v[159:160]
	v_fma_f64 v[38:39], v[2:3], v[38:39], -v[40:41]
	ds_load_b128 v[2:5], v1 offset:1520
	v_add_f64_e32 v[30:31], v[32:33], v[30:31]
	v_add_f64_e32 v[32:33], v[153:154], v[157:158]
	v_fma_f64 v[153:154], v[8:9], v[149:150], v[155:156]
	v_fma_f64 v[149:150], v[6:7], v[149:150], -v[151:152]
	ds_load_b128 v[6:9], v1 offset:1536
	s_wait_loadcnt_dscnt 0x500
	v_mul_f64_e32 v[155:156], v[6:7], v[147:148]
	v_mul_f64_e32 v[147:148], v[8:9], v[147:148]
	v_add_f64_e32 v[38:39], v[30:31], v[38:39]
	v_add_f64_e32 v[151:152], v[32:33], v[159:160]
	scratch_load_b128 v[30:33], off, off offset:544
	v_mul_f64_e32 v[40:41], v[2:3], v[36:37]
	v_mul_f64_e32 v[36:37], v[4:5], v[36:37]
	s_delay_alu instid0(VALU_DEP_2) | instskip(NEXT) | instid1(VALU_DEP_2)
	v_fma_f64 v[40:41], v[4:5], v[34:35], v[40:41]
	v_fma_f64 v[34:35], v[2:3], v[34:35], -v[36:37]
	v_add_f64_e32 v[36:37], v[38:39], v[149:150]
	v_add_f64_e32 v[38:39], v[151:152], v[153:154]
	ds_load_b128 v[2:5], v1 offset:1552
	v_fma_f64 v[151:152], v[8:9], v[145:146], v[155:156]
	v_fma_f64 v[145:146], v[6:7], v[145:146], -v[147:148]
	ds_load_b128 v[6:9], v1 offset:1568
	s_wait_loadcnt_dscnt 0x501
	v_mul_f64_e32 v[149:150], v[2:3], v[12:13]
	v_mul_f64_e32 v[12:13], v[4:5], v[12:13]
	v_add_f64_e32 v[34:35], v[36:37], v[34:35]
	v_add_f64_e32 v[36:37], v[38:39], v[40:41]
	s_wait_loadcnt_dscnt 0x400
	v_mul_f64_e32 v[38:39], v[6:7], v[16:17]
	v_mul_f64_e32 v[16:17], v[8:9], v[16:17]
	v_fma_f64 v[40:41], v[4:5], v[10:11], v[149:150]
	v_fma_f64 v[10:11], v[2:3], v[10:11], -v[12:13]
	ds_load_b128 v[2:5], v1 offset:1584
	v_add_f64_e32 v[12:13], v[34:35], v[145:146]
	v_add_f64_e32 v[34:35], v[36:37], v[151:152]
	v_fma_f64 v[38:39], v[8:9], v[14:15], v[38:39]
	v_fma_f64 v[14:15], v[6:7], v[14:15], -v[16:17]
	ds_load_b128 v[6:9], v1 offset:1600
	s_wait_loadcnt_dscnt 0x301
	v_mul_f64_e32 v[36:37], v[2:3], v[20:21]
	v_mul_f64_e32 v[20:21], v[4:5], v[20:21]
	s_wait_loadcnt_dscnt 0x200
	v_mul_f64_e32 v[16:17], v[6:7], v[24:25]
	v_mul_f64_e32 v[24:25], v[8:9], v[24:25]
	v_add_f64_e32 v[10:11], v[12:13], v[10:11]
	v_add_f64_e32 v[12:13], v[34:35], v[40:41]
	v_fma_f64 v[34:35], v[4:5], v[18:19], v[36:37]
	v_fma_f64 v[18:19], v[2:3], v[18:19], -v[20:21]
	ds_load_b128 v[2:5], v1 offset:1616
	v_fma_f64 v[8:9], v[8:9], v[22:23], v[16:17]
	v_fma_f64 v[6:7], v[6:7], v[22:23], -v[24:25]
	s_wait_loadcnt_dscnt 0x100
	v_mul_f64_e32 v[20:21], v[4:5], v[28:29]
	v_add_f64_e32 v[10:11], v[10:11], v[14:15]
	v_add_f64_e32 v[12:13], v[12:13], v[38:39]
	v_mul_f64_e32 v[14:15], v[2:3], v[28:29]
	s_delay_alu instid0(VALU_DEP_4) | instskip(NEXT) | instid1(VALU_DEP_4)
	v_fma_f64 v[2:3], v[2:3], v[26:27], -v[20:21]
	v_add_f64_e32 v[10:11], v[10:11], v[18:19]
	s_delay_alu instid0(VALU_DEP_4) | instskip(NEXT) | instid1(VALU_DEP_4)
	v_add_f64_e32 v[12:13], v[12:13], v[34:35]
	v_fma_f64 v[4:5], v[4:5], v[26:27], v[14:15]
	s_delay_alu instid0(VALU_DEP_3) | instskip(NEXT) | instid1(VALU_DEP_3)
	v_add_f64_e32 v[6:7], v[10:11], v[6:7]
	v_add_f64_e32 v[8:9], v[12:13], v[8:9]
	s_delay_alu instid0(VALU_DEP_2) | instskip(NEXT) | instid1(VALU_DEP_2)
	v_add_f64_e32 v[2:3], v[6:7], v[2:3]
	v_add_f64_e32 v[4:5], v[8:9], v[4:5]
	s_wait_loadcnt 0x0
	s_delay_alu instid0(VALU_DEP_2) | instskip(NEXT) | instid1(VALU_DEP_2)
	v_add_f64_e64 v[2:3], v[30:31], -v[2:3]
	v_add_f64_e64 v[4:5], v[32:33], -v[4:5]
	scratch_store_b128 off, v[2:5], off offset:544
	v_cmpx_lt_u32_e32 32, v0
	s_cbranch_execz .LBB114_255
; %bb.254:
	scratch_load_b128 v[5:8], off, s31
	v_dual_mov_b32 v2, v1 :: v_dual_mov_b32 v3, v1
	v_mov_b32_e32 v4, v1
	scratch_store_b128 off, v[1:4], off offset:528
	s_wait_loadcnt 0x0
	ds_store_b128 v144, v[5:8]
.LBB114_255:
	s_wait_alu 0xfffe
	s_or_b32 exec_lo, exec_lo, s0
	s_wait_storecnt_dscnt 0x0
	s_barrier_signal -1
	s_barrier_wait -1
	global_inv scope:SCOPE_SE
	s_clause 0x7
	scratch_load_b128 v[2:5], off, off offset:544
	scratch_load_b128 v[6:9], off, off offset:560
	;; [unrolled: 1-line block ×8, first 2 shown]
	ds_load_b128 v[34:37], v1 offset:1344
	ds_load_b128 v[145:148], v1 offset:1360
	s_clause 0x1
	scratch_load_b128 v[38:41], off, off offset:672
	scratch_load_b128 v[149:152], off, off offset:688
	s_mov_b32 s0, exec_lo
	s_wait_loadcnt_dscnt 0x901
	v_mul_f64_e32 v[153:154], v[36:37], v[4:5]
	v_mul_f64_e32 v[4:5], v[34:35], v[4:5]
	s_wait_loadcnt_dscnt 0x800
	v_mul_f64_e32 v[155:156], v[145:146], v[8:9]
	v_mul_f64_e32 v[8:9], v[147:148], v[8:9]
	s_delay_alu instid0(VALU_DEP_4) | instskip(NEXT) | instid1(VALU_DEP_4)
	v_fma_f64 v[153:154], v[34:35], v[2:3], -v[153:154]
	v_fma_f64 v[157:158], v[36:37], v[2:3], v[4:5]
	scratch_load_b128 v[34:37], off, off offset:704
	ds_load_b128 v[2:5], v1 offset:1376
	v_fma_f64 v[155:156], v[147:148], v[6:7], v[155:156]
	v_fma_f64 v[161:162], v[145:146], v[6:7], -v[8:9]
	ds_load_b128 v[6:9], v1 offset:1392
	scratch_load_b128 v[145:148], off, off offset:720
	s_wait_loadcnt_dscnt 0x901
	v_mul_f64_e32 v[159:160], v[2:3], v[12:13]
	v_mul_f64_e32 v[12:13], v[4:5], v[12:13]
	s_wait_loadcnt_dscnt 0x800
	v_mul_f64_e32 v[163:164], v[6:7], v[16:17]
	v_mul_f64_e32 v[16:17], v[8:9], v[16:17]
	v_add_f64_e32 v[153:154], 0, v[153:154]
	v_add_f64_e32 v[157:158], 0, v[157:158]
	v_fma_f64 v[159:160], v[4:5], v[10:11], v[159:160]
	v_fma_f64 v[165:166], v[2:3], v[10:11], -v[12:13]
	ds_load_b128 v[2:5], v1 offset:1408
	scratch_load_b128 v[10:13], off, off offset:736
	v_add_f64_e32 v[153:154], v[153:154], v[161:162]
	v_add_f64_e32 v[155:156], v[157:158], v[155:156]
	v_fma_f64 v[161:162], v[8:9], v[14:15], v[163:164]
	v_fma_f64 v[163:164], v[6:7], v[14:15], -v[16:17]
	ds_load_b128 v[6:9], v1 offset:1424
	scratch_load_b128 v[14:17], off, off offset:752
	s_wait_loadcnt_dscnt 0x901
	v_mul_f64_e32 v[157:158], v[2:3], v[20:21]
	v_mul_f64_e32 v[20:21], v[4:5], v[20:21]
	v_add_f64_e32 v[153:154], v[153:154], v[165:166]
	v_add_f64_e32 v[155:156], v[155:156], v[159:160]
	s_wait_loadcnt_dscnt 0x800
	v_mul_f64_e32 v[159:160], v[6:7], v[24:25]
	v_mul_f64_e32 v[24:25], v[8:9], v[24:25]
	v_fma_f64 v[157:158], v[4:5], v[18:19], v[157:158]
	v_fma_f64 v[165:166], v[2:3], v[18:19], -v[20:21]
	ds_load_b128 v[2:5], v1 offset:1440
	scratch_load_b128 v[18:21], off, off offset:768
	v_add_f64_e32 v[153:154], v[153:154], v[163:164]
	v_add_f64_e32 v[155:156], v[155:156], v[161:162]
	v_fma_f64 v[159:160], v[8:9], v[22:23], v[159:160]
	v_fma_f64 v[163:164], v[6:7], v[22:23], -v[24:25]
	ds_load_b128 v[6:9], v1 offset:1456
	s_wait_loadcnt_dscnt 0x801
	v_mul_f64_e32 v[161:162], v[2:3], v[28:29]
	v_mul_f64_e32 v[28:29], v[4:5], v[28:29]
	scratch_load_b128 v[22:25], off, off offset:784
	v_add_f64_e32 v[153:154], v[153:154], v[165:166]
	v_add_f64_e32 v[155:156], v[155:156], v[157:158]
	s_wait_loadcnt_dscnt 0x800
	v_mul_f64_e32 v[157:158], v[6:7], v[32:33]
	v_mul_f64_e32 v[32:33], v[8:9], v[32:33]
	v_fma_f64 v[161:162], v[4:5], v[26:27], v[161:162]
	v_fma_f64 v[165:166], v[2:3], v[26:27], -v[28:29]
	ds_load_b128 v[2:5], v1 offset:1472
	scratch_load_b128 v[26:29], off, off offset:800
	v_add_f64_e32 v[153:154], v[153:154], v[163:164]
	v_add_f64_e32 v[155:156], v[155:156], v[159:160]
	v_fma_f64 v[157:158], v[8:9], v[30:31], v[157:158]
	v_fma_f64 v[163:164], v[6:7], v[30:31], -v[32:33]
	ds_load_b128 v[6:9], v1 offset:1488
	s_wait_loadcnt_dscnt 0x801
	v_mul_f64_e32 v[159:160], v[2:3], v[40:41]
	v_mul_f64_e32 v[40:41], v[4:5], v[40:41]
	scratch_load_b128 v[30:33], off, off offset:816
	v_add_f64_e32 v[153:154], v[153:154], v[165:166]
	v_add_f64_e32 v[155:156], v[155:156], v[161:162]
	v_fma_f64 v[159:160], v[4:5], v[38:39], v[159:160]
	v_fma_f64 v[38:39], v[2:3], v[38:39], -v[40:41]
	ds_load_b128 v[2:5], v1 offset:1504
	v_add_f64_e32 v[40:41], v[153:154], v[163:164]
	v_add_f64_e32 v[153:154], v[155:156], v[157:158]
	s_wait_loadcnt_dscnt 0x700
	v_mul_f64_e32 v[155:156], v[2:3], v[36:37]
	v_mul_f64_e32 v[36:37], v[4:5], v[36:37]
	s_delay_alu instid0(VALU_DEP_4) | instskip(NEXT) | instid1(VALU_DEP_4)
	v_add_f64_e32 v[38:39], v[40:41], v[38:39]
	v_add_f64_e32 v[40:41], v[153:154], v[159:160]
	s_delay_alu instid0(VALU_DEP_4) | instskip(NEXT) | instid1(VALU_DEP_4)
	v_fma_f64 v[153:154], v[4:5], v[34:35], v[155:156]
	v_fma_f64 v[155:156], v[2:3], v[34:35], -v[36:37]
	scratch_load_b128 v[34:37], off, off offset:528
	v_mul_f64_e32 v[161:162], v[6:7], v[151:152]
	v_mul_f64_e32 v[151:152], v[8:9], v[151:152]
	ds_load_b128 v[2:5], v1 offset:1536
	v_fma_f64 v[157:158], v[8:9], v[149:150], v[161:162]
	v_fma_f64 v[149:150], v[6:7], v[149:150], -v[151:152]
	ds_load_b128 v[6:9], v1 offset:1520
	s_wait_loadcnt_dscnt 0x700
	v_mul_f64_e32 v[151:152], v[6:7], v[147:148]
	v_mul_f64_e32 v[147:148], v[8:9], v[147:148]
	v_add_f64_e32 v[40:41], v[40:41], v[157:158]
	v_add_f64_e32 v[38:39], v[38:39], v[149:150]
	s_wait_loadcnt 0x6
	v_mul_f64_e32 v[149:150], v[2:3], v[12:13]
	v_mul_f64_e32 v[12:13], v[4:5], v[12:13]
	v_fma_f64 v[151:152], v[8:9], v[145:146], v[151:152]
	v_fma_f64 v[145:146], v[6:7], v[145:146], -v[147:148]
	ds_load_b128 v[6:9], v1 offset:1552
	v_add_f64_e32 v[40:41], v[40:41], v[153:154]
	v_add_f64_e32 v[38:39], v[38:39], v[155:156]
	v_fma_f64 v[149:150], v[4:5], v[10:11], v[149:150]
	v_fma_f64 v[10:11], v[2:3], v[10:11], -v[12:13]
	ds_load_b128 v[2:5], v1 offset:1568
	s_wait_loadcnt_dscnt 0x501
	v_mul_f64_e32 v[147:148], v[6:7], v[16:17]
	v_mul_f64_e32 v[16:17], v[8:9], v[16:17]
	v_add_f64_e32 v[12:13], v[38:39], v[145:146]
	v_add_f64_e32 v[38:39], v[40:41], v[151:152]
	s_wait_loadcnt_dscnt 0x400
	v_mul_f64_e32 v[40:41], v[2:3], v[20:21]
	v_mul_f64_e32 v[20:21], v[4:5], v[20:21]
	v_fma_f64 v[145:146], v[8:9], v[14:15], v[147:148]
	v_fma_f64 v[14:15], v[6:7], v[14:15], -v[16:17]
	ds_load_b128 v[6:9], v1 offset:1584
	v_add_f64_e32 v[10:11], v[12:13], v[10:11]
	v_add_f64_e32 v[12:13], v[38:39], v[149:150]
	v_fma_f64 v[38:39], v[4:5], v[18:19], v[40:41]
	v_fma_f64 v[18:19], v[2:3], v[18:19], -v[20:21]
	ds_load_b128 v[2:5], v1 offset:1600
	s_wait_loadcnt_dscnt 0x301
	v_mul_f64_e32 v[16:17], v[6:7], v[24:25]
	v_mul_f64_e32 v[24:25], v[8:9], v[24:25]
	s_wait_loadcnt_dscnt 0x200
	v_mul_f64_e32 v[20:21], v[4:5], v[28:29]
	v_add_f64_e32 v[10:11], v[10:11], v[14:15]
	v_add_f64_e32 v[12:13], v[12:13], v[145:146]
	v_mul_f64_e32 v[14:15], v[2:3], v[28:29]
	v_fma_f64 v[16:17], v[8:9], v[22:23], v[16:17]
	v_fma_f64 v[22:23], v[6:7], v[22:23], -v[24:25]
	ds_load_b128 v[6:9], v1 offset:1616
	v_fma_f64 v[1:2], v[2:3], v[26:27], -v[20:21]
	s_wait_loadcnt_dscnt 0x100
	v_mul_f64_e32 v[24:25], v[8:9], v[32:33]
	v_add_f64_e32 v[10:11], v[10:11], v[18:19]
	v_add_f64_e32 v[12:13], v[12:13], v[38:39]
	v_mul_f64_e32 v[18:19], v[6:7], v[32:33]
	v_fma_f64 v[4:5], v[4:5], v[26:27], v[14:15]
	v_fma_f64 v[6:7], v[6:7], v[30:31], -v[24:25]
	v_add_f64_e32 v[10:11], v[10:11], v[22:23]
	v_add_f64_e32 v[12:13], v[12:13], v[16:17]
	v_fma_f64 v[8:9], v[8:9], v[30:31], v[18:19]
	s_delay_alu instid0(VALU_DEP_3) | instskip(NEXT) | instid1(VALU_DEP_3)
	v_add_f64_e32 v[1:2], v[10:11], v[1:2]
	v_add_f64_e32 v[3:4], v[12:13], v[4:5]
	s_delay_alu instid0(VALU_DEP_2) | instskip(NEXT) | instid1(VALU_DEP_2)
	v_add_f64_e32 v[1:2], v[1:2], v[6:7]
	v_add_f64_e32 v[3:4], v[3:4], v[8:9]
	s_wait_loadcnt 0x0
	s_delay_alu instid0(VALU_DEP_2) | instskip(NEXT) | instid1(VALU_DEP_2)
	v_add_f64_e64 v[1:2], v[34:35], -v[1:2]
	v_add_f64_e64 v[3:4], v[36:37], -v[3:4]
	scratch_store_b128 off, v[1:4], off offset:528
	v_cmpx_lt_u32_e32 31, v0
	s_cbranch_execz .LBB114_257
; %bb.256:
	scratch_load_b128 v[1:4], off, s33
	v_mov_b32_e32 v5, 0
	s_delay_alu instid0(VALU_DEP_1)
	v_dual_mov_b32 v6, v5 :: v_dual_mov_b32 v7, v5
	v_mov_b32_e32 v8, v5
	scratch_store_b128 off, v[5:8], off offset:512
	s_wait_loadcnt 0x0
	ds_store_b128 v144, v[1:4]
.LBB114_257:
	s_wait_alu 0xfffe
	s_or_b32 exec_lo, exec_lo, s0
	s_wait_storecnt_dscnt 0x0
	s_barrier_signal -1
	s_barrier_wait -1
	global_inv scope:SCOPE_SE
	s_clause 0x7
	scratch_load_b128 v[2:5], off, off offset:528
	scratch_load_b128 v[6:9], off, off offset:544
	;; [unrolled: 1-line block ×8, first 2 shown]
	v_mov_b32_e32 v1, 0
	s_clause 0x1
	scratch_load_b128 v[38:41], off, off offset:656
	scratch_load_b128 v[149:152], off, off offset:672
	s_mov_b32 s0, exec_lo
	ds_load_b128 v[34:37], v1 offset:1328
	ds_load_b128 v[145:148], v1 offset:1344
	s_wait_loadcnt_dscnt 0x901
	v_mul_f64_e32 v[153:154], v[36:37], v[4:5]
	v_mul_f64_e32 v[4:5], v[34:35], v[4:5]
	s_wait_loadcnt_dscnt 0x800
	v_mul_f64_e32 v[155:156], v[145:146], v[8:9]
	v_mul_f64_e32 v[8:9], v[147:148], v[8:9]
	s_delay_alu instid0(VALU_DEP_4) | instskip(NEXT) | instid1(VALU_DEP_4)
	v_fma_f64 v[153:154], v[34:35], v[2:3], -v[153:154]
	v_fma_f64 v[157:158], v[36:37], v[2:3], v[4:5]
	ds_load_b128 v[2:5], v1 offset:1360
	scratch_load_b128 v[34:37], off, off offset:688
	v_fma_f64 v[155:156], v[147:148], v[6:7], v[155:156]
	v_fma_f64 v[161:162], v[145:146], v[6:7], -v[8:9]
	ds_load_b128 v[6:9], v1 offset:1376
	scratch_load_b128 v[145:148], off, off offset:704
	s_wait_loadcnt_dscnt 0x901
	v_mul_f64_e32 v[159:160], v[2:3], v[12:13]
	v_mul_f64_e32 v[12:13], v[4:5], v[12:13]
	s_wait_loadcnt_dscnt 0x800
	v_mul_f64_e32 v[163:164], v[6:7], v[16:17]
	v_mul_f64_e32 v[16:17], v[8:9], v[16:17]
	v_add_f64_e32 v[153:154], 0, v[153:154]
	v_add_f64_e32 v[157:158], 0, v[157:158]
	v_fma_f64 v[159:160], v[4:5], v[10:11], v[159:160]
	v_fma_f64 v[165:166], v[2:3], v[10:11], -v[12:13]
	ds_load_b128 v[2:5], v1 offset:1392
	scratch_load_b128 v[10:13], off, off offset:720
	v_add_f64_e32 v[153:154], v[153:154], v[161:162]
	v_add_f64_e32 v[155:156], v[157:158], v[155:156]
	v_fma_f64 v[161:162], v[8:9], v[14:15], v[163:164]
	v_fma_f64 v[163:164], v[6:7], v[14:15], -v[16:17]
	ds_load_b128 v[6:9], v1 offset:1408
	scratch_load_b128 v[14:17], off, off offset:736
	s_wait_loadcnt_dscnt 0x901
	v_mul_f64_e32 v[157:158], v[2:3], v[20:21]
	v_mul_f64_e32 v[20:21], v[4:5], v[20:21]
	v_add_f64_e32 v[153:154], v[153:154], v[165:166]
	v_add_f64_e32 v[155:156], v[155:156], v[159:160]
	s_wait_loadcnt_dscnt 0x800
	v_mul_f64_e32 v[159:160], v[6:7], v[24:25]
	v_mul_f64_e32 v[24:25], v[8:9], v[24:25]
	v_fma_f64 v[157:158], v[4:5], v[18:19], v[157:158]
	v_fma_f64 v[165:166], v[2:3], v[18:19], -v[20:21]
	ds_load_b128 v[2:5], v1 offset:1424
	scratch_load_b128 v[18:21], off, off offset:752
	v_add_f64_e32 v[153:154], v[153:154], v[163:164]
	v_add_f64_e32 v[155:156], v[155:156], v[161:162]
	v_fma_f64 v[159:160], v[8:9], v[22:23], v[159:160]
	v_fma_f64 v[163:164], v[6:7], v[22:23], -v[24:25]
	ds_load_b128 v[6:9], v1 offset:1440
	s_wait_loadcnt_dscnt 0x801
	v_mul_f64_e32 v[161:162], v[2:3], v[28:29]
	v_mul_f64_e32 v[28:29], v[4:5], v[28:29]
	scratch_load_b128 v[22:25], off, off offset:768
	v_add_f64_e32 v[153:154], v[153:154], v[165:166]
	v_add_f64_e32 v[155:156], v[155:156], v[157:158]
	s_wait_loadcnt_dscnt 0x800
	v_mul_f64_e32 v[157:158], v[6:7], v[32:33]
	v_mul_f64_e32 v[32:33], v[8:9], v[32:33]
	v_fma_f64 v[161:162], v[4:5], v[26:27], v[161:162]
	v_fma_f64 v[165:166], v[2:3], v[26:27], -v[28:29]
	ds_load_b128 v[2:5], v1 offset:1456
	scratch_load_b128 v[26:29], off, off offset:784
	v_add_f64_e32 v[153:154], v[153:154], v[163:164]
	v_add_f64_e32 v[155:156], v[155:156], v[159:160]
	v_fma_f64 v[157:158], v[8:9], v[30:31], v[157:158]
	v_fma_f64 v[163:164], v[6:7], v[30:31], -v[32:33]
	ds_load_b128 v[6:9], v1 offset:1472
	s_wait_loadcnt_dscnt 0x801
	v_mul_f64_e32 v[159:160], v[2:3], v[40:41]
	v_mul_f64_e32 v[40:41], v[4:5], v[40:41]
	scratch_load_b128 v[30:33], off, off offset:800
	v_add_f64_e32 v[153:154], v[153:154], v[165:166]
	v_add_f64_e32 v[155:156], v[155:156], v[161:162]
	s_wait_loadcnt_dscnt 0x800
	v_mul_f64_e32 v[161:162], v[6:7], v[151:152]
	v_mul_f64_e32 v[151:152], v[8:9], v[151:152]
	v_fma_f64 v[159:160], v[4:5], v[38:39], v[159:160]
	v_fma_f64 v[165:166], v[2:3], v[38:39], -v[40:41]
	ds_load_b128 v[2:5], v1 offset:1488
	scratch_load_b128 v[38:41], off, off offset:816
	v_add_f64_e32 v[153:154], v[153:154], v[163:164]
	v_add_f64_e32 v[155:156], v[155:156], v[157:158]
	v_fma_f64 v[161:162], v[8:9], v[149:150], v[161:162]
	v_fma_f64 v[149:150], v[6:7], v[149:150], -v[151:152]
	ds_load_b128 v[6:9], v1 offset:1504
	s_wait_loadcnt_dscnt 0x801
	v_mul_f64_e32 v[157:158], v[2:3], v[36:37]
	v_mul_f64_e32 v[36:37], v[4:5], v[36:37]
	v_add_f64_e32 v[151:152], v[153:154], v[165:166]
	v_add_f64_e32 v[153:154], v[155:156], v[159:160]
	s_wait_loadcnt_dscnt 0x700
	v_mul_f64_e32 v[155:156], v[6:7], v[147:148]
	v_mul_f64_e32 v[147:148], v[8:9], v[147:148]
	v_fma_f64 v[157:158], v[4:5], v[34:35], v[157:158]
	v_fma_f64 v[34:35], v[2:3], v[34:35], -v[36:37]
	ds_load_b128 v[2:5], v1 offset:1520
	v_add_f64_e32 v[36:37], v[151:152], v[149:150]
	v_add_f64_e32 v[149:150], v[153:154], v[161:162]
	v_fma_f64 v[153:154], v[8:9], v[145:146], v[155:156]
	v_fma_f64 v[145:146], v[6:7], v[145:146], -v[147:148]
	ds_load_b128 v[6:9], v1 offset:1536
	s_wait_loadcnt_dscnt 0x500
	v_mul_f64_e32 v[155:156], v[6:7], v[16:17]
	v_mul_f64_e32 v[16:17], v[8:9], v[16:17]
	v_add_f64_e32 v[147:148], v[36:37], v[34:35]
	v_add_f64_e32 v[149:150], v[149:150], v[157:158]
	scratch_load_b128 v[34:37], off, off offset:512
	v_mul_f64_e32 v[151:152], v[2:3], v[12:13]
	v_mul_f64_e32 v[12:13], v[4:5], v[12:13]
	s_delay_alu instid0(VALU_DEP_2) | instskip(NEXT) | instid1(VALU_DEP_2)
	v_fma_f64 v[151:152], v[4:5], v[10:11], v[151:152]
	v_fma_f64 v[10:11], v[2:3], v[10:11], -v[12:13]
	v_add_f64_e32 v[12:13], v[147:148], v[145:146]
	v_add_f64_e32 v[145:146], v[149:150], v[153:154]
	ds_load_b128 v[2:5], v1 offset:1552
	v_fma_f64 v[149:150], v[8:9], v[14:15], v[155:156]
	v_fma_f64 v[14:15], v[6:7], v[14:15], -v[16:17]
	ds_load_b128 v[6:9], v1 offset:1568
	s_wait_loadcnt_dscnt 0x501
	v_mul_f64_e32 v[147:148], v[2:3], v[20:21]
	v_mul_f64_e32 v[20:21], v[4:5], v[20:21]
	s_wait_loadcnt_dscnt 0x400
	v_mul_f64_e32 v[16:17], v[6:7], v[24:25]
	v_mul_f64_e32 v[24:25], v[8:9], v[24:25]
	v_add_f64_e32 v[10:11], v[12:13], v[10:11]
	v_add_f64_e32 v[12:13], v[145:146], v[151:152]
	v_fma_f64 v[145:146], v[4:5], v[18:19], v[147:148]
	v_fma_f64 v[18:19], v[2:3], v[18:19], -v[20:21]
	ds_load_b128 v[2:5], v1 offset:1584
	v_fma_f64 v[16:17], v[8:9], v[22:23], v[16:17]
	v_fma_f64 v[22:23], v[6:7], v[22:23], -v[24:25]
	ds_load_b128 v[6:9], v1 offset:1600
	v_add_f64_e32 v[10:11], v[10:11], v[14:15]
	v_add_f64_e32 v[12:13], v[12:13], v[149:150]
	s_wait_loadcnt_dscnt 0x301
	v_mul_f64_e32 v[14:15], v[2:3], v[28:29]
	v_mul_f64_e32 v[20:21], v[4:5], v[28:29]
	s_wait_loadcnt_dscnt 0x200
	v_mul_f64_e32 v[24:25], v[8:9], v[32:33]
	v_add_f64_e32 v[10:11], v[10:11], v[18:19]
	v_add_f64_e32 v[12:13], v[12:13], v[145:146]
	v_mul_f64_e32 v[18:19], v[6:7], v[32:33]
	v_fma_f64 v[14:15], v[4:5], v[26:27], v[14:15]
	v_fma_f64 v[20:21], v[2:3], v[26:27], -v[20:21]
	ds_load_b128 v[2:5], v1 offset:1616
	v_fma_f64 v[6:7], v[6:7], v[30:31], -v[24:25]
	v_add_f64_e32 v[10:11], v[10:11], v[22:23]
	v_add_f64_e32 v[12:13], v[12:13], v[16:17]
	s_wait_loadcnt_dscnt 0x100
	v_mul_f64_e32 v[16:17], v[2:3], v[40:41]
	v_mul_f64_e32 v[22:23], v[4:5], v[40:41]
	v_fma_f64 v[8:9], v[8:9], v[30:31], v[18:19]
	v_add_f64_e32 v[10:11], v[10:11], v[20:21]
	v_add_f64_e32 v[12:13], v[12:13], v[14:15]
	v_fma_f64 v[4:5], v[4:5], v[38:39], v[16:17]
	v_fma_f64 v[2:3], v[2:3], v[38:39], -v[22:23]
	s_delay_alu instid0(VALU_DEP_4) | instskip(NEXT) | instid1(VALU_DEP_4)
	v_add_f64_e32 v[6:7], v[10:11], v[6:7]
	v_add_f64_e32 v[8:9], v[12:13], v[8:9]
	s_delay_alu instid0(VALU_DEP_2) | instskip(NEXT) | instid1(VALU_DEP_2)
	v_add_f64_e32 v[2:3], v[6:7], v[2:3]
	v_add_f64_e32 v[4:5], v[8:9], v[4:5]
	s_wait_loadcnt 0x0
	s_delay_alu instid0(VALU_DEP_2) | instskip(NEXT) | instid1(VALU_DEP_2)
	v_add_f64_e64 v[2:3], v[34:35], -v[2:3]
	v_add_f64_e64 v[4:5], v[36:37], -v[4:5]
	scratch_store_b128 off, v[2:5], off offset:512
	v_cmpx_lt_u32_e32 30, v0
	s_cbranch_execz .LBB114_259
; %bb.258:
	scratch_load_b128 v[5:8], off, s34
	v_dual_mov_b32 v2, v1 :: v_dual_mov_b32 v3, v1
	v_mov_b32_e32 v4, v1
	scratch_store_b128 off, v[1:4], off offset:496
	s_wait_loadcnt 0x0
	ds_store_b128 v144, v[5:8]
.LBB114_259:
	s_wait_alu 0xfffe
	s_or_b32 exec_lo, exec_lo, s0
	s_wait_storecnt_dscnt 0x0
	s_barrier_signal -1
	s_barrier_wait -1
	global_inv scope:SCOPE_SE
	s_clause 0x7
	scratch_load_b128 v[2:5], off, off offset:512
	scratch_load_b128 v[6:9], off, off offset:528
	;; [unrolled: 1-line block ×8, first 2 shown]
	ds_load_b128 v[34:37], v1 offset:1312
	ds_load_b128 v[145:148], v1 offset:1328
	s_clause 0x1
	scratch_load_b128 v[38:41], off, off offset:640
	scratch_load_b128 v[149:152], off, off offset:656
	s_mov_b32 s0, exec_lo
	s_wait_loadcnt_dscnt 0x901
	v_mul_f64_e32 v[153:154], v[36:37], v[4:5]
	v_mul_f64_e32 v[4:5], v[34:35], v[4:5]
	s_wait_loadcnt_dscnt 0x800
	v_mul_f64_e32 v[155:156], v[145:146], v[8:9]
	v_mul_f64_e32 v[8:9], v[147:148], v[8:9]
	s_delay_alu instid0(VALU_DEP_4) | instskip(NEXT) | instid1(VALU_DEP_4)
	v_fma_f64 v[153:154], v[34:35], v[2:3], -v[153:154]
	v_fma_f64 v[157:158], v[36:37], v[2:3], v[4:5]
	ds_load_b128 v[2:5], v1 offset:1344
	scratch_load_b128 v[34:37], off, off offset:672
	v_fma_f64 v[155:156], v[147:148], v[6:7], v[155:156]
	v_fma_f64 v[161:162], v[145:146], v[6:7], -v[8:9]
	ds_load_b128 v[6:9], v1 offset:1360
	scratch_load_b128 v[145:148], off, off offset:688
	s_wait_loadcnt_dscnt 0x901
	v_mul_f64_e32 v[159:160], v[2:3], v[12:13]
	v_mul_f64_e32 v[12:13], v[4:5], v[12:13]
	s_wait_loadcnt_dscnt 0x800
	v_mul_f64_e32 v[163:164], v[6:7], v[16:17]
	v_mul_f64_e32 v[16:17], v[8:9], v[16:17]
	v_add_f64_e32 v[153:154], 0, v[153:154]
	v_add_f64_e32 v[157:158], 0, v[157:158]
	v_fma_f64 v[159:160], v[4:5], v[10:11], v[159:160]
	v_fma_f64 v[165:166], v[2:3], v[10:11], -v[12:13]
	scratch_load_b128 v[10:13], off, off offset:704
	ds_load_b128 v[2:5], v1 offset:1376
	v_add_f64_e32 v[153:154], v[153:154], v[161:162]
	v_add_f64_e32 v[155:156], v[157:158], v[155:156]
	v_fma_f64 v[161:162], v[8:9], v[14:15], v[163:164]
	v_fma_f64 v[163:164], v[6:7], v[14:15], -v[16:17]
	ds_load_b128 v[6:9], v1 offset:1392
	scratch_load_b128 v[14:17], off, off offset:720
	s_wait_loadcnt_dscnt 0x901
	v_mul_f64_e32 v[157:158], v[2:3], v[20:21]
	v_mul_f64_e32 v[20:21], v[4:5], v[20:21]
	v_add_f64_e32 v[153:154], v[153:154], v[165:166]
	v_add_f64_e32 v[155:156], v[155:156], v[159:160]
	s_wait_loadcnt_dscnt 0x800
	v_mul_f64_e32 v[159:160], v[6:7], v[24:25]
	v_mul_f64_e32 v[24:25], v[8:9], v[24:25]
	v_fma_f64 v[157:158], v[4:5], v[18:19], v[157:158]
	v_fma_f64 v[165:166], v[2:3], v[18:19], -v[20:21]
	ds_load_b128 v[2:5], v1 offset:1408
	scratch_load_b128 v[18:21], off, off offset:736
	v_add_f64_e32 v[153:154], v[153:154], v[163:164]
	v_add_f64_e32 v[155:156], v[155:156], v[161:162]
	v_fma_f64 v[159:160], v[8:9], v[22:23], v[159:160]
	v_fma_f64 v[163:164], v[6:7], v[22:23], -v[24:25]
	ds_load_b128 v[6:9], v1 offset:1424
	s_wait_loadcnt_dscnt 0x801
	v_mul_f64_e32 v[161:162], v[2:3], v[28:29]
	v_mul_f64_e32 v[28:29], v[4:5], v[28:29]
	scratch_load_b128 v[22:25], off, off offset:752
	v_add_f64_e32 v[153:154], v[153:154], v[165:166]
	v_add_f64_e32 v[155:156], v[155:156], v[157:158]
	s_wait_loadcnt_dscnt 0x800
	v_mul_f64_e32 v[157:158], v[6:7], v[32:33]
	v_mul_f64_e32 v[32:33], v[8:9], v[32:33]
	v_fma_f64 v[161:162], v[4:5], v[26:27], v[161:162]
	v_fma_f64 v[165:166], v[2:3], v[26:27], -v[28:29]
	ds_load_b128 v[2:5], v1 offset:1440
	scratch_load_b128 v[26:29], off, off offset:768
	v_add_f64_e32 v[153:154], v[153:154], v[163:164]
	v_add_f64_e32 v[155:156], v[155:156], v[159:160]
	v_fma_f64 v[157:158], v[8:9], v[30:31], v[157:158]
	v_fma_f64 v[163:164], v[6:7], v[30:31], -v[32:33]
	ds_load_b128 v[6:9], v1 offset:1456
	s_wait_loadcnt_dscnt 0x801
	v_mul_f64_e32 v[159:160], v[2:3], v[40:41]
	v_mul_f64_e32 v[40:41], v[4:5], v[40:41]
	scratch_load_b128 v[30:33], off, off offset:784
	v_add_f64_e32 v[153:154], v[153:154], v[165:166]
	v_add_f64_e32 v[155:156], v[155:156], v[161:162]
	s_wait_loadcnt_dscnt 0x800
	v_mul_f64_e32 v[161:162], v[6:7], v[151:152]
	v_mul_f64_e32 v[151:152], v[8:9], v[151:152]
	v_fma_f64 v[159:160], v[4:5], v[38:39], v[159:160]
	v_fma_f64 v[165:166], v[2:3], v[38:39], -v[40:41]
	ds_load_b128 v[2:5], v1 offset:1472
	scratch_load_b128 v[38:41], off, off offset:800
	v_add_f64_e32 v[153:154], v[153:154], v[163:164]
	v_add_f64_e32 v[155:156], v[155:156], v[157:158]
	v_fma_f64 v[161:162], v[8:9], v[149:150], v[161:162]
	v_fma_f64 v[163:164], v[6:7], v[149:150], -v[151:152]
	ds_load_b128 v[6:9], v1 offset:1488
	scratch_load_b128 v[149:152], off, off offset:816
	s_wait_loadcnt_dscnt 0x901
	v_mul_f64_e32 v[157:158], v[2:3], v[36:37]
	v_mul_f64_e32 v[36:37], v[4:5], v[36:37]
	v_add_f64_e32 v[153:154], v[153:154], v[165:166]
	v_add_f64_e32 v[155:156], v[155:156], v[159:160]
	s_delay_alu instid0(VALU_DEP_4) | instskip(NEXT) | instid1(VALU_DEP_4)
	v_fma_f64 v[157:158], v[4:5], v[34:35], v[157:158]
	v_fma_f64 v[34:35], v[2:3], v[34:35], -v[36:37]
	ds_load_b128 v[2:5], v1 offset:1504
	v_add_f64_e32 v[36:37], v[153:154], v[163:164]
	v_add_f64_e32 v[153:154], v[155:156], v[161:162]
	s_wait_loadcnt_dscnt 0x700
	v_mul_f64_e32 v[155:156], v[2:3], v[12:13]
	v_mul_f64_e32 v[12:13], v[4:5], v[12:13]
	s_delay_alu instid0(VALU_DEP_4) | instskip(NEXT) | instid1(VALU_DEP_4)
	v_add_f64_e32 v[34:35], v[36:37], v[34:35]
	v_add_f64_e32 v[36:37], v[153:154], v[157:158]
	s_delay_alu instid0(VALU_DEP_4) | instskip(NEXT) | instid1(VALU_DEP_4)
	v_fma_f64 v[153:154], v[4:5], v[10:11], v[155:156]
	v_fma_f64 v[155:156], v[2:3], v[10:11], -v[12:13]
	scratch_load_b128 v[10:13], off, off offset:496
	v_mul_f64_e32 v[159:160], v[6:7], v[147:148]
	v_mul_f64_e32 v[147:148], v[8:9], v[147:148]
	ds_load_b128 v[2:5], v1 offset:1536
	v_fma_f64 v[159:160], v[8:9], v[145:146], v[159:160]
	v_fma_f64 v[145:146], v[6:7], v[145:146], -v[147:148]
	ds_load_b128 v[6:9], v1 offset:1520
	s_wait_loadcnt_dscnt 0x700
	v_mul_f64_e32 v[147:148], v[6:7], v[16:17]
	v_mul_f64_e32 v[16:17], v[8:9], v[16:17]
	v_add_f64_e32 v[36:37], v[36:37], v[159:160]
	v_add_f64_e32 v[34:35], v[34:35], v[145:146]
	s_wait_loadcnt 0x6
	v_mul_f64_e32 v[145:146], v[2:3], v[20:21]
	v_mul_f64_e32 v[20:21], v[4:5], v[20:21]
	v_fma_f64 v[147:148], v[8:9], v[14:15], v[147:148]
	v_fma_f64 v[14:15], v[6:7], v[14:15], -v[16:17]
	ds_load_b128 v[6:9], v1 offset:1552
	v_add_f64_e32 v[16:17], v[34:35], v[155:156]
	v_add_f64_e32 v[34:35], v[36:37], v[153:154]
	v_fma_f64 v[145:146], v[4:5], v[18:19], v[145:146]
	v_fma_f64 v[18:19], v[2:3], v[18:19], -v[20:21]
	ds_load_b128 v[2:5], v1 offset:1568
	s_wait_loadcnt_dscnt 0x501
	v_mul_f64_e32 v[36:37], v[6:7], v[24:25]
	v_mul_f64_e32 v[24:25], v[8:9], v[24:25]
	s_wait_loadcnt_dscnt 0x400
	v_mul_f64_e32 v[20:21], v[2:3], v[28:29]
	v_mul_f64_e32 v[28:29], v[4:5], v[28:29]
	v_add_f64_e32 v[14:15], v[16:17], v[14:15]
	v_add_f64_e32 v[16:17], v[34:35], v[147:148]
	v_fma_f64 v[34:35], v[8:9], v[22:23], v[36:37]
	v_fma_f64 v[22:23], v[6:7], v[22:23], -v[24:25]
	ds_load_b128 v[6:9], v1 offset:1584
	v_fma_f64 v[20:21], v[4:5], v[26:27], v[20:21]
	v_fma_f64 v[26:27], v[2:3], v[26:27], -v[28:29]
	ds_load_b128 v[2:5], v1 offset:1600
	s_wait_loadcnt_dscnt 0x301
	v_mul_f64_e32 v[24:25], v[8:9], v[32:33]
	v_add_f64_e32 v[14:15], v[14:15], v[18:19]
	v_add_f64_e32 v[16:17], v[16:17], v[145:146]
	v_mul_f64_e32 v[18:19], v[6:7], v[32:33]
	s_wait_loadcnt_dscnt 0x200
	v_mul_f64_e32 v[28:29], v[4:5], v[40:41]
	v_fma_f64 v[24:25], v[6:7], v[30:31], -v[24:25]
	v_add_f64_e32 v[14:15], v[14:15], v[22:23]
	v_add_f64_e32 v[16:17], v[16:17], v[34:35]
	v_mul_f64_e32 v[22:23], v[2:3], v[40:41]
	v_fma_f64 v[18:19], v[8:9], v[30:31], v[18:19]
	ds_load_b128 v[6:9], v1 offset:1616
	v_fma_f64 v[1:2], v[2:3], v[38:39], -v[28:29]
	v_add_f64_e32 v[14:15], v[14:15], v[26:27]
	v_add_f64_e32 v[16:17], v[16:17], v[20:21]
	s_wait_loadcnt_dscnt 0x100
	v_mul_f64_e32 v[20:21], v[6:7], v[151:152]
	v_mul_f64_e32 v[26:27], v[8:9], v[151:152]
	v_fma_f64 v[4:5], v[4:5], v[38:39], v[22:23]
	v_add_f64_e32 v[14:15], v[14:15], v[24:25]
	v_add_f64_e32 v[16:17], v[16:17], v[18:19]
	v_fma_f64 v[8:9], v[8:9], v[149:150], v[20:21]
	v_fma_f64 v[6:7], v[6:7], v[149:150], -v[26:27]
	s_delay_alu instid0(VALU_DEP_4) | instskip(NEXT) | instid1(VALU_DEP_4)
	v_add_f64_e32 v[1:2], v[14:15], v[1:2]
	v_add_f64_e32 v[3:4], v[16:17], v[4:5]
	s_delay_alu instid0(VALU_DEP_2) | instskip(NEXT) | instid1(VALU_DEP_2)
	v_add_f64_e32 v[1:2], v[1:2], v[6:7]
	v_add_f64_e32 v[3:4], v[3:4], v[8:9]
	s_wait_loadcnt 0x0
	s_delay_alu instid0(VALU_DEP_2) | instskip(NEXT) | instid1(VALU_DEP_2)
	v_add_f64_e64 v[1:2], v[10:11], -v[1:2]
	v_add_f64_e64 v[3:4], v[12:13], -v[3:4]
	scratch_store_b128 off, v[1:4], off offset:496
	v_cmpx_lt_u32_e32 29, v0
	s_cbranch_execz .LBB114_261
; %bb.260:
	scratch_load_b128 v[1:4], off, s35
	v_mov_b32_e32 v5, 0
	s_delay_alu instid0(VALU_DEP_1)
	v_dual_mov_b32 v6, v5 :: v_dual_mov_b32 v7, v5
	v_mov_b32_e32 v8, v5
	scratch_store_b128 off, v[5:8], off offset:480
	s_wait_loadcnt 0x0
	ds_store_b128 v144, v[1:4]
.LBB114_261:
	s_wait_alu 0xfffe
	s_or_b32 exec_lo, exec_lo, s0
	s_wait_storecnt_dscnt 0x0
	s_barrier_signal -1
	s_barrier_wait -1
	global_inv scope:SCOPE_SE
	s_clause 0x7
	scratch_load_b128 v[2:5], off, off offset:496
	scratch_load_b128 v[6:9], off, off offset:512
	;; [unrolled: 1-line block ×8, first 2 shown]
	v_mov_b32_e32 v1, 0
	s_clause 0x1
	scratch_load_b128 v[38:41], off, off offset:624
	scratch_load_b128 v[149:152], off, off offset:640
	s_mov_b32 s0, exec_lo
	ds_load_b128 v[34:37], v1 offset:1296
	ds_load_b128 v[145:148], v1 offset:1312
	s_wait_loadcnt_dscnt 0x901
	v_mul_f64_e32 v[153:154], v[36:37], v[4:5]
	v_mul_f64_e32 v[4:5], v[34:35], v[4:5]
	s_wait_loadcnt_dscnt 0x800
	v_mul_f64_e32 v[155:156], v[145:146], v[8:9]
	v_mul_f64_e32 v[8:9], v[147:148], v[8:9]
	s_delay_alu instid0(VALU_DEP_4) | instskip(NEXT) | instid1(VALU_DEP_4)
	v_fma_f64 v[153:154], v[34:35], v[2:3], -v[153:154]
	v_fma_f64 v[157:158], v[36:37], v[2:3], v[4:5]
	ds_load_b128 v[2:5], v1 offset:1328
	scratch_load_b128 v[34:37], off, off offset:656
	v_fma_f64 v[155:156], v[147:148], v[6:7], v[155:156]
	v_fma_f64 v[161:162], v[145:146], v[6:7], -v[8:9]
	ds_load_b128 v[6:9], v1 offset:1344
	scratch_load_b128 v[145:148], off, off offset:672
	s_wait_loadcnt_dscnt 0x901
	v_mul_f64_e32 v[159:160], v[2:3], v[12:13]
	v_mul_f64_e32 v[12:13], v[4:5], v[12:13]
	s_wait_loadcnt_dscnt 0x800
	v_mul_f64_e32 v[163:164], v[6:7], v[16:17]
	v_mul_f64_e32 v[16:17], v[8:9], v[16:17]
	v_add_f64_e32 v[153:154], 0, v[153:154]
	v_add_f64_e32 v[157:158], 0, v[157:158]
	v_fma_f64 v[159:160], v[4:5], v[10:11], v[159:160]
	v_fma_f64 v[165:166], v[2:3], v[10:11], -v[12:13]
	ds_load_b128 v[2:5], v1 offset:1360
	scratch_load_b128 v[10:13], off, off offset:688
	v_add_f64_e32 v[153:154], v[153:154], v[161:162]
	v_add_f64_e32 v[155:156], v[157:158], v[155:156]
	v_fma_f64 v[161:162], v[8:9], v[14:15], v[163:164]
	v_fma_f64 v[163:164], v[6:7], v[14:15], -v[16:17]
	ds_load_b128 v[6:9], v1 offset:1376
	scratch_load_b128 v[14:17], off, off offset:704
	s_wait_loadcnt_dscnt 0x901
	v_mul_f64_e32 v[157:158], v[2:3], v[20:21]
	v_mul_f64_e32 v[20:21], v[4:5], v[20:21]
	v_add_f64_e32 v[153:154], v[153:154], v[165:166]
	v_add_f64_e32 v[155:156], v[155:156], v[159:160]
	s_wait_loadcnt_dscnt 0x800
	v_mul_f64_e32 v[159:160], v[6:7], v[24:25]
	v_mul_f64_e32 v[24:25], v[8:9], v[24:25]
	v_fma_f64 v[157:158], v[4:5], v[18:19], v[157:158]
	v_fma_f64 v[165:166], v[2:3], v[18:19], -v[20:21]
	ds_load_b128 v[2:5], v1 offset:1392
	scratch_load_b128 v[18:21], off, off offset:720
	v_add_f64_e32 v[153:154], v[153:154], v[163:164]
	v_add_f64_e32 v[155:156], v[155:156], v[161:162]
	v_fma_f64 v[159:160], v[8:9], v[22:23], v[159:160]
	v_fma_f64 v[163:164], v[6:7], v[22:23], -v[24:25]
	ds_load_b128 v[6:9], v1 offset:1408
	s_wait_loadcnt_dscnt 0x801
	v_mul_f64_e32 v[161:162], v[2:3], v[28:29]
	v_mul_f64_e32 v[28:29], v[4:5], v[28:29]
	scratch_load_b128 v[22:25], off, off offset:736
	v_add_f64_e32 v[153:154], v[153:154], v[165:166]
	v_add_f64_e32 v[155:156], v[155:156], v[157:158]
	s_wait_loadcnt_dscnt 0x800
	v_mul_f64_e32 v[157:158], v[6:7], v[32:33]
	v_mul_f64_e32 v[32:33], v[8:9], v[32:33]
	v_fma_f64 v[161:162], v[4:5], v[26:27], v[161:162]
	v_fma_f64 v[165:166], v[2:3], v[26:27], -v[28:29]
	ds_load_b128 v[2:5], v1 offset:1424
	scratch_load_b128 v[26:29], off, off offset:752
	v_add_f64_e32 v[153:154], v[153:154], v[163:164]
	v_add_f64_e32 v[155:156], v[155:156], v[159:160]
	v_fma_f64 v[157:158], v[8:9], v[30:31], v[157:158]
	v_fma_f64 v[163:164], v[6:7], v[30:31], -v[32:33]
	ds_load_b128 v[6:9], v1 offset:1440
	s_wait_loadcnt_dscnt 0x801
	v_mul_f64_e32 v[159:160], v[2:3], v[40:41]
	v_mul_f64_e32 v[40:41], v[4:5], v[40:41]
	scratch_load_b128 v[30:33], off, off offset:768
	v_add_f64_e32 v[153:154], v[153:154], v[165:166]
	v_add_f64_e32 v[155:156], v[155:156], v[161:162]
	s_wait_loadcnt_dscnt 0x800
	v_mul_f64_e32 v[161:162], v[6:7], v[151:152]
	v_mul_f64_e32 v[151:152], v[8:9], v[151:152]
	v_fma_f64 v[159:160], v[4:5], v[38:39], v[159:160]
	v_fma_f64 v[165:166], v[2:3], v[38:39], -v[40:41]
	ds_load_b128 v[2:5], v1 offset:1456
	scratch_load_b128 v[38:41], off, off offset:784
	v_add_f64_e32 v[153:154], v[153:154], v[163:164]
	v_add_f64_e32 v[155:156], v[155:156], v[157:158]
	v_fma_f64 v[161:162], v[8:9], v[149:150], v[161:162]
	v_fma_f64 v[163:164], v[6:7], v[149:150], -v[151:152]
	ds_load_b128 v[6:9], v1 offset:1472
	scratch_load_b128 v[149:152], off, off offset:800
	s_wait_loadcnt_dscnt 0x901
	v_mul_f64_e32 v[157:158], v[2:3], v[36:37]
	v_mul_f64_e32 v[36:37], v[4:5], v[36:37]
	v_add_f64_e32 v[153:154], v[153:154], v[165:166]
	v_add_f64_e32 v[155:156], v[155:156], v[159:160]
	s_wait_loadcnt_dscnt 0x800
	v_mul_f64_e32 v[159:160], v[6:7], v[147:148]
	v_mul_f64_e32 v[147:148], v[8:9], v[147:148]
	v_fma_f64 v[157:158], v[4:5], v[34:35], v[157:158]
	v_fma_f64 v[165:166], v[2:3], v[34:35], -v[36:37]
	ds_load_b128 v[2:5], v1 offset:1488
	scratch_load_b128 v[34:37], off, off offset:816
	v_add_f64_e32 v[153:154], v[153:154], v[163:164]
	v_add_f64_e32 v[155:156], v[155:156], v[161:162]
	v_fma_f64 v[159:160], v[8:9], v[145:146], v[159:160]
	v_fma_f64 v[145:146], v[6:7], v[145:146], -v[147:148]
	ds_load_b128 v[6:9], v1 offset:1504
	s_wait_loadcnt_dscnt 0x801
	v_mul_f64_e32 v[161:162], v[2:3], v[12:13]
	v_mul_f64_e32 v[12:13], v[4:5], v[12:13]
	v_add_f64_e32 v[147:148], v[153:154], v[165:166]
	v_add_f64_e32 v[153:154], v[155:156], v[157:158]
	s_wait_loadcnt_dscnt 0x700
	v_mul_f64_e32 v[155:156], v[6:7], v[16:17]
	v_mul_f64_e32 v[16:17], v[8:9], v[16:17]
	v_fma_f64 v[157:158], v[4:5], v[10:11], v[161:162]
	v_fma_f64 v[10:11], v[2:3], v[10:11], -v[12:13]
	ds_load_b128 v[2:5], v1 offset:1520
	v_add_f64_e32 v[12:13], v[147:148], v[145:146]
	v_add_f64_e32 v[145:146], v[153:154], v[159:160]
	v_fma_f64 v[153:154], v[8:9], v[14:15], v[155:156]
	v_fma_f64 v[14:15], v[6:7], v[14:15], -v[16:17]
	ds_load_b128 v[6:9], v1 offset:1536
	s_wait_loadcnt_dscnt 0x500
	v_mul_f64_e32 v[155:156], v[6:7], v[24:25]
	v_mul_f64_e32 v[24:25], v[8:9], v[24:25]
	v_add_f64_e32 v[16:17], v[12:13], v[10:11]
	v_add_f64_e32 v[145:146], v[145:146], v[157:158]
	scratch_load_b128 v[10:13], off, off offset:480
	v_mul_f64_e32 v[147:148], v[2:3], v[20:21]
	v_mul_f64_e32 v[20:21], v[4:5], v[20:21]
	v_add_f64_e32 v[14:15], v[16:17], v[14:15]
	v_add_f64_e32 v[16:17], v[145:146], v[153:154]
	v_fma_f64 v[145:146], v[8:9], v[22:23], v[155:156]
	v_fma_f64 v[147:148], v[4:5], v[18:19], v[147:148]
	v_fma_f64 v[18:19], v[2:3], v[18:19], -v[20:21]
	ds_load_b128 v[2:5], v1 offset:1552
	v_fma_f64 v[22:23], v[6:7], v[22:23], -v[24:25]
	ds_load_b128 v[6:9], v1 offset:1568
	s_wait_loadcnt_dscnt 0x501
	v_mul_f64_e32 v[20:21], v[2:3], v[28:29]
	v_mul_f64_e32 v[28:29], v[4:5], v[28:29]
	s_wait_loadcnt_dscnt 0x400
	v_mul_f64_e32 v[24:25], v[8:9], v[32:33]
	v_add_f64_e32 v[16:17], v[16:17], v[147:148]
	v_add_f64_e32 v[14:15], v[14:15], v[18:19]
	v_mul_f64_e32 v[18:19], v[6:7], v[32:33]
	v_fma_f64 v[20:21], v[4:5], v[26:27], v[20:21]
	v_fma_f64 v[26:27], v[2:3], v[26:27], -v[28:29]
	ds_load_b128 v[2:5], v1 offset:1584
	v_fma_f64 v[24:25], v[6:7], v[30:31], -v[24:25]
	v_add_f64_e32 v[16:17], v[16:17], v[145:146]
	v_add_f64_e32 v[14:15], v[14:15], v[22:23]
	v_fma_f64 v[18:19], v[8:9], v[30:31], v[18:19]
	ds_load_b128 v[6:9], v1 offset:1600
	s_wait_loadcnt_dscnt 0x301
	v_mul_f64_e32 v[22:23], v[2:3], v[40:41]
	v_mul_f64_e32 v[28:29], v[4:5], v[40:41]
	v_add_f64_e32 v[16:17], v[16:17], v[20:21]
	v_add_f64_e32 v[14:15], v[14:15], v[26:27]
	s_wait_loadcnt_dscnt 0x200
	v_mul_f64_e32 v[20:21], v[6:7], v[151:152]
	v_mul_f64_e32 v[26:27], v[8:9], v[151:152]
	v_fma_f64 v[22:23], v[4:5], v[38:39], v[22:23]
	v_fma_f64 v[28:29], v[2:3], v[38:39], -v[28:29]
	ds_load_b128 v[2:5], v1 offset:1616
	v_add_f64_e32 v[16:17], v[16:17], v[18:19]
	v_add_f64_e32 v[14:15], v[14:15], v[24:25]
	s_wait_loadcnt_dscnt 0x100
	v_mul_f64_e32 v[18:19], v[2:3], v[36:37]
	v_mul_f64_e32 v[24:25], v[4:5], v[36:37]
	v_fma_f64 v[8:9], v[8:9], v[149:150], v[20:21]
	v_fma_f64 v[6:7], v[6:7], v[149:150], -v[26:27]
	v_add_f64_e32 v[16:17], v[16:17], v[22:23]
	v_add_f64_e32 v[14:15], v[14:15], v[28:29]
	v_fma_f64 v[4:5], v[4:5], v[34:35], v[18:19]
	v_fma_f64 v[2:3], v[2:3], v[34:35], -v[24:25]
	s_delay_alu instid0(VALU_DEP_4) | instskip(NEXT) | instid1(VALU_DEP_4)
	v_add_f64_e32 v[8:9], v[16:17], v[8:9]
	v_add_f64_e32 v[6:7], v[14:15], v[6:7]
	s_delay_alu instid0(VALU_DEP_2) | instskip(NEXT) | instid1(VALU_DEP_2)
	v_add_f64_e32 v[4:5], v[8:9], v[4:5]
	v_add_f64_e32 v[2:3], v[6:7], v[2:3]
	s_wait_loadcnt 0x0
	s_delay_alu instid0(VALU_DEP_2) | instskip(NEXT) | instid1(VALU_DEP_2)
	v_add_f64_e64 v[4:5], v[12:13], -v[4:5]
	v_add_f64_e64 v[2:3], v[10:11], -v[2:3]
	scratch_store_b128 off, v[2:5], off offset:480
	v_cmpx_lt_u32_e32 28, v0
	s_cbranch_execz .LBB114_263
; %bb.262:
	scratch_load_b128 v[5:8], off, s36
	v_dual_mov_b32 v2, v1 :: v_dual_mov_b32 v3, v1
	v_mov_b32_e32 v4, v1
	scratch_store_b128 off, v[1:4], off offset:464
	s_wait_loadcnt 0x0
	ds_store_b128 v144, v[5:8]
.LBB114_263:
	s_wait_alu 0xfffe
	s_or_b32 exec_lo, exec_lo, s0
	s_wait_storecnt_dscnt 0x0
	s_barrier_signal -1
	s_barrier_wait -1
	global_inv scope:SCOPE_SE
	s_clause 0x7
	scratch_load_b128 v[2:5], off, off offset:480
	scratch_load_b128 v[6:9], off, off offset:496
	;; [unrolled: 1-line block ×8, first 2 shown]
	ds_load_b128 v[34:37], v1 offset:1280
	ds_load_b128 v[145:148], v1 offset:1296
	s_clause 0x1
	scratch_load_b128 v[38:41], off, off offset:608
	scratch_load_b128 v[149:152], off, off offset:624
	s_mov_b32 s0, exec_lo
	s_wait_loadcnt_dscnt 0x901
	v_mul_f64_e32 v[153:154], v[36:37], v[4:5]
	v_mul_f64_e32 v[4:5], v[34:35], v[4:5]
	s_wait_loadcnt_dscnt 0x800
	v_mul_f64_e32 v[155:156], v[145:146], v[8:9]
	v_mul_f64_e32 v[8:9], v[147:148], v[8:9]
	s_delay_alu instid0(VALU_DEP_4) | instskip(NEXT) | instid1(VALU_DEP_4)
	v_fma_f64 v[153:154], v[34:35], v[2:3], -v[153:154]
	v_fma_f64 v[157:158], v[36:37], v[2:3], v[4:5]
	ds_load_b128 v[2:5], v1 offset:1312
	scratch_load_b128 v[34:37], off, off offset:640
	v_fma_f64 v[155:156], v[147:148], v[6:7], v[155:156]
	v_fma_f64 v[161:162], v[145:146], v[6:7], -v[8:9]
	ds_load_b128 v[6:9], v1 offset:1328
	scratch_load_b128 v[145:148], off, off offset:656
	s_wait_loadcnt_dscnt 0x901
	v_mul_f64_e32 v[159:160], v[2:3], v[12:13]
	v_mul_f64_e32 v[12:13], v[4:5], v[12:13]
	s_wait_loadcnt_dscnt 0x800
	v_mul_f64_e32 v[163:164], v[6:7], v[16:17]
	v_mul_f64_e32 v[16:17], v[8:9], v[16:17]
	v_add_f64_e32 v[153:154], 0, v[153:154]
	v_add_f64_e32 v[157:158], 0, v[157:158]
	v_fma_f64 v[159:160], v[4:5], v[10:11], v[159:160]
	v_fma_f64 v[165:166], v[2:3], v[10:11], -v[12:13]
	ds_load_b128 v[2:5], v1 offset:1344
	scratch_load_b128 v[10:13], off, off offset:672
	v_add_f64_e32 v[153:154], v[153:154], v[161:162]
	v_add_f64_e32 v[155:156], v[157:158], v[155:156]
	v_fma_f64 v[161:162], v[8:9], v[14:15], v[163:164]
	v_fma_f64 v[163:164], v[6:7], v[14:15], -v[16:17]
	ds_load_b128 v[6:9], v1 offset:1360
	scratch_load_b128 v[14:17], off, off offset:688
	s_wait_loadcnt_dscnt 0x901
	v_mul_f64_e32 v[157:158], v[2:3], v[20:21]
	v_mul_f64_e32 v[20:21], v[4:5], v[20:21]
	v_add_f64_e32 v[153:154], v[153:154], v[165:166]
	v_add_f64_e32 v[155:156], v[155:156], v[159:160]
	s_wait_loadcnt_dscnt 0x800
	v_mul_f64_e32 v[159:160], v[6:7], v[24:25]
	v_mul_f64_e32 v[24:25], v[8:9], v[24:25]
	v_fma_f64 v[157:158], v[4:5], v[18:19], v[157:158]
	v_fma_f64 v[165:166], v[2:3], v[18:19], -v[20:21]
	ds_load_b128 v[2:5], v1 offset:1376
	scratch_load_b128 v[18:21], off, off offset:704
	v_add_f64_e32 v[153:154], v[153:154], v[163:164]
	v_add_f64_e32 v[155:156], v[155:156], v[161:162]
	v_fma_f64 v[159:160], v[8:9], v[22:23], v[159:160]
	v_fma_f64 v[163:164], v[6:7], v[22:23], -v[24:25]
	ds_load_b128 v[6:9], v1 offset:1392
	s_wait_loadcnt_dscnt 0x801
	v_mul_f64_e32 v[161:162], v[2:3], v[28:29]
	v_mul_f64_e32 v[28:29], v[4:5], v[28:29]
	scratch_load_b128 v[22:25], off, off offset:720
	v_add_f64_e32 v[153:154], v[153:154], v[165:166]
	v_add_f64_e32 v[155:156], v[155:156], v[157:158]
	s_wait_loadcnt_dscnt 0x800
	v_mul_f64_e32 v[157:158], v[6:7], v[32:33]
	v_mul_f64_e32 v[32:33], v[8:9], v[32:33]
	v_fma_f64 v[161:162], v[4:5], v[26:27], v[161:162]
	v_fma_f64 v[165:166], v[2:3], v[26:27], -v[28:29]
	ds_load_b128 v[2:5], v1 offset:1408
	scratch_load_b128 v[26:29], off, off offset:736
	v_add_f64_e32 v[153:154], v[153:154], v[163:164]
	v_add_f64_e32 v[155:156], v[155:156], v[159:160]
	v_fma_f64 v[157:158], v[8:9], v[30:31], v[157:158]
	v_fma_f64 v[163:164], v[6:7], v[30:31], -v[32:33]
	ds_load_b128 v[6:9], v1 offset:1424
	s_wait_loadcnt_dscnt 0x801
	v_mul_f64_e32 v[159:160], v[2:3], v[40:41]
	v_mul_f64_e32 v[40:41], v[4:5], v[40:41]
	scratch_load_b128 v[30:33], off, off offset:752
	v_add_f64_e32 v[153:154], v[153:154], v[165:166]
	v_add_f64_e32 v[155:156], v[155:156], v[161:162]
	s_wait_loadcnt_dscnt 0x800
	v_mul_f64_e32 v[161:162], v[6:7], v[151:152]
	v_mul_f64_e32 v[151:152], v[8:9], v[151:152]
	v_fma_f64 v[159:160], v[4:5], v[38:39], v[159:160]
	v_fma_f64 v[165:166], v[2:3], v[38:39], -v[40:41]
	ds_load_b128 v[2:5], v1 offset:1440
	scratch_load_b128 v[38:41], off, off offset:768
	v_add_f64_e32 v[153:154], v[153:154], v[163:164]
	v_add_f64_e32 v[155:156], v[155:156], v[157:158]
	v_fma_f64 v[161:162], v[8:9], v[149:150], v[161:162]
	v_fma_f64 v[163:164], v[6:7], v[149:150], -v[151:152]
	ds_load_b128 v[6:9], v1 offset:1456
	scratch_load_b128 v[149:152], off, off offset:784
	s_wait_loadcnt_dscnt 0x901
	v_mul_f64_e32 v[157:158], v[2:3], v[36:37]
	v_mul_f64_e32 v[36:37], v[4:5], v[36:37]
	v_add_f64_e32 v[153:154], v[153:154], v[165:166]
	v_add_f64_e32 v[155:156], v[155:156], v[159:160]
	s_wait_loadcnt_dscnt 0x800
	v_mul_f64_e32 v[159:160], v[6:7], v[147:148]
	v_mul_f64_e32 v[147:148], v[8:9], v[147:148]
	v_fma_f64 v[157:158], v[4:5], v[34:35], v[157:158]
	v_fma_f64 v[165:166], v[2:3], v[34:35], -v[36:37]
	ds_load_b128 v[2:5], v1 offset:1472
	scratch_load_b128 v[34:37], off, off offset:800
	v_add_f64_e32 v[153:154], v[153:154], v[163:164]
	v_add_f64_e32 v[155:156], v[155:156], v[161:162]
	v_fma_f64 v[159:160], v[8:9], v[145:146], v[159:160]
	v_fma_f64 v[163:164], v[6:7], v[145:146], -v[147:148]
	ds_load_b128 v[6:9], v1 offset:1488
	s_wait_loadcnt_dscnt 0x801
	v_mul_f64_e32 v[161:162], v[2:3], v[12:13]
	v_mul_f64_e32 v[12:13], v[4:5], v[12:13]
	scratch_load_b128 v[145:148], off, off offset:816
	v_add_f64_e32 v[153:154], v[153:154], v[165:166]
	v_add_f64_e32 v[155:156], v[155:156], v[157:158]
	s_wait_loadcnt_dscnt 0x800
	v_mul_f64_e32 v[157:158], v[6:7], v[16:17]
	v_mul_f64_e32 v[16:17], v[8:9], v[16:17]
	v_fma_f64 v[161:162], v[4:5], v[10:11], v[161:162]
	v_fma_f64 v[10:11], v[2:3], v[10:11], -v[12:13]
	ds_load_b128 v[2:5], v1 offset:1504
	v_add_f64_e32 v[12:13], v[153:154], v[163:164]
	v_add_f64_e32 v[153:154], v[155:156], v[159:160]
	v_fma_f64 v[157:158], v[8:9], v[14:15], v[157:158]
	v_fma_f64 v[14:15], v[6:7], v[14:15], -v[16:17]
	ds_load_b128 v[6:9], v1 offset:1520
	s_wait_loadcnt_dscnt 0x701
	v_mul_f64_e32 v[155:156], v[2:3], v[20:21]
	v_mul_f64_e32 v[20:21], v[4:5], v[20:21]
	v_add_f64_e32 v[10:11], v[12:13], v[10:11]
	v_add_f64_e32 v[12:13], v[153:154], v[161:162]
	s_delay_alu instid0(VALU_DEP_4) | instskip(NEXT) | instid1(VALU_DEP_4)
	v_fma_f64 v[153:154], v[4:5], v[18:19], v[155:156]
	v_fma_f64 v[18:19], v[2:3], v[18:19], -v[20:21]
	ds_load_b128 v[2:5], v1 offset:1536
	v_add_f64_e32 v[14:15], v[10:11], v[14:15]
	v_add_f64_e32 v[20:21], v[12:13], v[157:158]
	scratch_load_b128 v[10:13], off, off offset:464
	s_wait_loadcnt_dscnt 0x701
	v_mul_f64_e32 v[16:17], v[6:7], v[24:25]
	v_mul_f64_e32 v[24:25], v[8:9], v[24:25]
	v_add_f64_e32 v[14:15], v[14:15], v[18:19]
	v_add_f64_e32 v[18:19], v[20:21], v[153:154]
	s_delay_alu instid0(VALU_DEP_4) | instskip(NEXT) | instid1(VALU_DEP_4)
	v_fma_f64 v[16:17], v[8:9], v[22:23], v[16:17]
	v_fma_f64 v[22:23], v[6:7], v[22:23], -v[24:25]
	ds_load_b128 v[6:9], v1 offset:1552
	s_wait_loadcnt_dscnt 0x601
	v_mul_f64_e32 v[155:156], v[2:3], v[28:29]
	v_mul_f64_e32 v[28:29], v[4:5], v[28:29]
	s_wait_loadcnt_dscnt 0x500
	v_mul_f64_e32 v[20:21], v[6:7], v[32:33]
	v_mul_f64_e32 v[24:25], v[8:9], v[32:33]
	v_add_f64_e32 v[16:17], v[18:19], v[16:17]
	v_add_f64_e32 v[14:15], v[14:15], v[22:23]
	v_fma_f64 v[32:33], v[4:5], v[26:27], v[155:156]
	v_fma_f64 v[26:27], v[2:3], v[26:27], -v[28:29]
	ds_load_b128 v[2:5], v1 offset:1568
	v_fma_f64 v[20:21], v[8:9], v[30:31], v[20:21]
	v_fma_f64 v[24:25], v[6:7], v[30:31], -v[24:25]
	ds_load_b128 v[6:9], v1 offset:1584
	s_wait_loadcnt_dscnt 0x401
	v_mul_f64_e32 v[18:19], v[2:3], v[40:41]
	v_mul_f64_e32 v[22:23], v[4:5], v[40:41]
	v_add_f64_e32 v[16:17], v[16:17], v[32:33]
	v_add_f64_e32 v[14:15], v[14:15], v[26:27]
	s_wait_loadcnt_dscnt 0x300
	v_mul_f64_e32 v[26:27], v[6:7], v[151:152]
	v_mul_f64_e32 v[28:29], v[8:9], v[151:152]
	v_fma_f64 v[18:19], v[4:5], v[38:39], v[18:19]
	v_fma_f64 v[22:23], v[2:3], v[38:39], -v[22:23]
	ds_load_b128 v[2:5], v1 offset:1600
	v_add_f64_e32 v[16:17], v[16:17], v[20:21]
	v_add_f64_e32 v[14:15], v[14:15], v[24:25]
	v_fma_f64 v[26:27], v[8:9], v[149:150], v[26:27]
	v_fma_f64 v[28:29], v[6:7], v[149:150], -v[28:29]
	ds_load_b128 v[6:9], v1 offset:1616
	s_wait_loadcnt_dscnt 0x201
	v_mul_f64_e32 v[20:21], v[2:3], v[36:37]
	v_mul_f64_e32 v[24:25], v[4:5], v[36:37]
	v_add_f64_e32 v[16:17], v[16:17], v[18:19]
	v_add_f64_e32 v[14:15], v[14:15], v[22:23]
	s_wait_loadcnt_dscnt 0x100
	v_mul_f64_e32 v[18:19], v[6:7], v[147:148]
	v_mul_f64_e32 v[22:23], v[8:9], v[147:148]
	v_fma_f64 v[4:5], v[4:5], v[34:35], v[20:21]
	v_fma_f64 v[1:2], v[2:3], v[34:35], -v[24:25]
	v_add_f64_e32 v[16:17], v[16:17], v[26:27]
	v_add_f64_e32 v[14:15], v[14:15], v[28:29]
	v_fma_f64 v[8:9], v[8:9], v[145:146], v[18:19]
	v_fma_f64 v[6:7], v[6:7], v[145:146], -v[22:23]
	s_delay_alu instid0(VALU_DEP_4) | instskip(NEXT) | instid1(VALU_DEP_4)
	v_add_f64_e32 v[3:4], v[16:17], v[4:5]
	v_add_f64_e32 v[1:2], v[14:15], v[1:2]
	s_delay_alu instid0(VALU_DEP_2) | instskip(NEXT) | instid1(VALU_DEP_2)
	v_add_f64_e32 v[3:4], v[3:4], v[8:9]
	v_add_f64_e32 v[1:2], v[1:2], v[6:7]
	s_wait_loadcnt 0x0
	s_delay_alu instid0(VALU_DEP_2) | instskip(NEXT) | instid1(VALU_DEP_2)
	v_add_f64_e64 v[3:4], v[12:13], -v[3:4]
	v_add_f64_e64 v[1:2], v[10:11], -v[1:2]
	scratch_store_b128 off, v[1:4], off offset:464
	v_cmpx_lt_u32_e32 27, v0
	s_cbranch_execz .LBB114_265
; %bb.264:
	scratch_load_b128 v[1:4], off, s37
	v_mov_b32_e32 v5, 0
	s_delay_alu instid0(VALU_DEP_1)
	v_dual_mov_b32 v6, v5 :: v_dual_mov_b32 v7, v5
	v_mov_b32_e32 v8, v5
	scratch_store_b128 off, v[5:8], off offset:448
	s_wait_loadcnt 0x0
	ds_store_b128 v144, v[1:4]
.LBB114_265:
	s_wait_alu 0xfffe
	s_or_b32 exec_lo, exec_lo, s0
	s_wait_storecnt_dscnt 0x0
	s_barrier_signal -1
	s_barrier_wait -1
	global_inv scope:SCOPE_SE
	s_clause 0x7
	scratch_load_b128 v[2:5], off, off offset:464
	scratch_load_b128 v[6:9], off, off offset:480
	scratch_load_b128 v[10:13], off, off offset:496
	scratch_load_b128 v[14:17], off, off offset:512
	scratch_load_b128 v[18:21], off, off offset:528
	scratch_load_b128 v[22:25], off, off offset:544
	scratch_load_b128 v[26:29], off, off offset:560
	scratch_load_b128 v[30:33], off, off offset:576
	v_mov_b32_e32 v1, 0
	s_clause 0x1
	scratch_load_b128 v[38:41], off, off offset:592
	scratch_load_b128 v[149:152], off, off offset:608
	s_mov_b32 s0, exec_lo
	ds_load_b128 v[34:37], v1 offset:1264
	ds_load_b128 v[145:148], v1 offset:1280
	s_wait_loadcnt_dscnt 0x901
	v_mul_f64_e32 v[153:154], v[36:37], v[4:5]
	v_mul_f64_e32 v[4:5], v[34:35], v[4:5]
	s_wait_loadcnt_dscnt 0x800
	v_mul_f64_e32 v[155:156], v[145:146], v[8:9]
	v_mul_f64_e32 v[8:9], v[147:148], v[8:9]
	s_delay_alu instid0(VALU_DEP_4) | instskip(NEXT) | instid1(VALU_DEP_4)
	v_fma_f64 v[153:154], v[34:35], v[2:3], -v[153:154]
	v_fma_f64 v[157:158], v[36:37], v[2:3], v[4:5]
	ds_load_b128 v[2:5], v1 offset:1296
	scratch_load_b128 v[34:37], off, off offset:624
	v_fma_f64 v[155:156], v[147:148], v[6:7], v[155:156]
	v_fma_f64 v[161:162], v[145:146], v[6:7], -v[8:9]
	ds_load_b128 v[6:9], v1 offset:1312
	scratch_load_b128 v[145:148], off, off offset:640
	s_wait_loadcnt_dscnt 0x901
	v_mul_f64_e32 v[159:160], v[2:3], v[12:13]
	v_mul_f64_e32 v[12:13], v[4:5], v[12:13]
	s_wait_loadcnt_dscnt 0x800
	v_mul_f64_e32 v[163:164], v[6:7], v[16:17]
	v_mul_f64_e32 v[16:17], v[8:9], v[16:17]
	v_add_f64_e32 v[153:154], 0, v[153:154]
	v_add_f64_e32 v[157:158], 0, v[157:158]
	v_fma_f64 v[159:160], v[4:5], v[10:11], v[159:160]
	v_fma_f64 v[165:166], v[2:3], v[10:11], -v[12:13]
	ds_load_b128 v[2:5], v1 offset:1328
	scratch_load_b128 v[10:13], off, off offset:656
	v_add_f64_e32 v[153:154], v[153:154], v[161:162]
	v_add_f64_e32 v[155:156], v[157:158], v[155:156]
	v_fma_f64 v[161:162], v[8:9], v[14:15], v[163:164]
	v_fma_f64 v[163:164], v[6:7], v[14:15], -v[16:17]
	ds_load_b128 v[6:9], v1 offset:1344
	scratch_load_b128 v[14:17], off, off offset:672
	s_wait_loadcnt_dscnt 0x901
	v_mul_f64_e32 v[157:158], v[2:3], v[20:21]
	v_mul_f64_e32 v[20:21], v[4:5], v[20:21]
	v_add_f64_e32 v[153:154], v[153:154], v[165:166]
	v_add_f64_e32 v[155:156], v[155:156], v[159:160]
	s_wait_loadcnt_dscnt 0x800
	v_mul_f64_e32 v[159:160], v[6:7], v[24:25]
	v_mul_f64_e32 v[24:25], v[8:9], v[24:25]
	v_fma_f64 v[157:158], v[4:5], v[18:19], v[157:158]
	v_fma_f64 v[165:166], v[2:3], v[18:19], -v[20:21]
	ds_load_b128 v[2:5], v1 offset:1360
	scratch_load_b128 v[18:21], off, off offset:688
	v_add_f64_e32 v[153:154], v[153:154], v[163:164]
	v_add_f64_e32 v[155:156], v[155:156], v[161:162]
	v_fma_f64 v[159:160], v[8:9], v[22:23], v[159:160]
	v_fma_f64 v[163:164], v[6:7], v[22:23], -v[24:25]
	ds_load_b128 v[6:9], v1 offset:1376
	s_wait_loadcnt_dscnt 0x801
	v_mul_f64_e32 v[161:162], v[2:3], v[28:29]
	v_mul_f64_e32 v[28:29], v[4:5], v[28:29]
	scratch_load_b128 v[22:25], off, off offset:704
	v_add_f64_e32 v[153:154], v[153:154], v[165:166]
	v_add_f64_e32 v[155:156], v[155:156], v[157:158]
	s_wait_loadcnt_dscnt 0x800
	v_mul_f64_e32 v[157:158], v[6:7], v[32:33]
	v_mul_f64_e32 v[32:33], v[8:9], v[32:33]
	v_fma_f64 v[161:162], v[4:5], v[26:27], v[161:162]
	v_fma_f64 v[165:166], v[2:3], v[26:27], -v[28:29]
	ds_load_b128 v[2:5], v1 offset:1392
	scratch_load_b128 v[26:29], off, off offset:720
	v_add_f64_e32 v[153:154], v[153:154], v[163:164]
	v_add_f64_e32 v[155:156], v[155:156], v[159:160]
	v_fma_f64 v[157:158], v[8:9], v[30:31], v[157:158]
	v_fma_f64 v[163:164], v[6:7], v[30:31], -v[32:33]
	ds_load_b128 v[6:9], v1 offset:1408
	s_wait_loadcnt_dscnt 0x801
	v_mul_f64_e32 v[159:160], v[2:3], v[40:41]
	v_mul_f64_e32 v[40:41], v[4:5], v[40:41]
	scratch_load_b128 v[30:33], off, off offset:736
	v_add_f64_e32 v[153:154], v[153:154], v[165:166]
	v_add_f64_e32 v[155:156], v[155:156], v[161:162]
	s_wait_loadcnt_dscnt 0x800
	v_mul_f64_e32 v[161:162], v[6:7], v[151:152]
	v_mul_f64_e32 v[151:152], v[8:9], v[151:152]
	v_fma_f64 v[159:160], v[4:5], v[38:39], v[159:160]
	v_fma_f64 v[165:166], v[2:3], v[38:39], -v[40:41]
	ds_load_b128 v[2:5], v1 offset:1424
	scratch_load_b128 v[38:41], off, off offset:752
	v_add_f64_e32 v[153:154], v[153:154], v[163:164]
	v_add_f64_e32 v[155:156], v[155:156], v[157:158]
	v_fma_f64 v[161:162], v[8:9], v[149:150], v[161:162]
	v_fma_f64 v[163:164], v[6:7], v[149:150], -v[151:152]
	ds_load_b128 v[6:9], v1 offset:1440
	scratch_load_b128 v[149:152], off, off offset:768
	s_wait_loadcnt_dscnt 0x901
	v_mul_f64_e32 v[157:158], v[2:3], v[36:37]
	v_mul_f64_e32 v[36:37], v[4:5], v[36:37]
	v_add_f64_e32 v[153:154], v[153:154], v[165:166]
	v_add_f64_e32 v[155:156], v[155:156], v[159:160]
	s_wait_loadcnt_dscnt 0x800
	v_mul_f64_e32 v[159:160], v[6:7], v[147:148]
	v_mul_f64_e32 v[147:148], v[8:9], v[147:148]
	v_fma_f64 v[157:158], v[4:5], v[34:35], v[157:158]
	v_fma_f64 v[165:166], v[2:3], v[34:35], -v[36:37]
	ds_load_b128 v[2:5], v1 offset:1456
	scratch_load_b128 v[34:37], off, off offset:784
	v_add_f64_e32 v[153:154], v[153:154], v[163:164]
	v_add_f64_e32 v[155:156], v[155:156], v[161:162]
	v_fma_f64 v[159:160], v[8:9], v[145:146], v[159:160]
	v_fma_f64 v[163:164], v[6:7], v[145:146], -v[147:148]
	ds_load_b128 v[6:9], v1 offset:1472
	s_wait_loadcnt_dscnt 0x801
	v_mul_f64_e32 v[161:162], v[2:3], v[12:13]
	v_mul_f64_e32 v[12:13], v[4:5], v[12:13]
	scratch_load_b128 v[145:148], off, off offset:800
	v_add_f64_e32 v[153:154], v[153:154], v[165:166]
	v_add_f64_e32 v[155:156], v[155:156], v[157:158]
	s_wait_loadcnt_dscnt 0x800
	v_mul_f64_e32 v[157:158], v[6:7], v[16:17]
	v_mul_f64_e32 v[16:17], v[8:9], v[16:17]
	v_fma_f64 v[161:162], v[4:5], v[10:11], v[161:162]
	v_fma_f64 v[165:166], v[2:3], v[10:11], -v[12:13]
	ds_load_b128 v[2:5], v1 offset:1488
	scratch_load_b128 v[10:13], off, off offset:816
	v_add_f64_e32 v[153:154], v[153:154], v[163:164]
	v_add_f64_e32 v[155:156], v[155:156], v[159:160]
	v_fma_f64 v[157:158], v[8:9], v[14:15], v[157:158]
	v_fma_f64 v[14:15], v[6:7], v[14:15], -v[16:17]
	ds_load_b128 v[6:9], v1 offset:1504
	s_wait_loadcnt_dscnt 0x801
	v_mul_f64_e32 v[159:160], v[2:3], v[20:21]
	v_mul_f64_e32 v[20:21], v[4:5], v[20:21]
	v_add_f64_e32 v[16:17], v[153:154], v[165:166]
	v_add_f64_e32 v[153:154], v[155:156], v[161:162]
	s_wait_loadcnt_dscnt 0x700
	v_mul_f64_e32 v[155:156], v[6:7], v[24:25]
	v_mul_f64_e32 v[24:25], v[8:9], v[24:25]
	v_fma_f64 v[159:160], v[4:5], v[18:19], v[159:160]
	v_fma_f64 v[18:19], v[2:3], v[18:19], -v[20:21]
	ds_load_b128 v[2:5], v1 offset:1520
	v_add_f64_e32 v[14:15], v[16:17], v[14:15]
	v_add_f64_e32 v[16:17], v[153:154], v[157:158]
	v_fma_f64 v[153:154], v[8:9], v[22:23], v[155:156]
	v_fma_f64 v[22:23], v[6:7], v[22:23], -v[24:25]
	ds_load_b128 v[6:9], v1 offset:1536
	s_wait_loadcnt_dscnt 0x500
	v_mul_f64_e32 v[155:156], v[6:7], v[32:33]
	v_mul_f64_e32 v[32:33], v[8:9], v[32:33]
	v_add_f64_e32 v[18:19], v[14:15], v[18:19]
	v_add_f64_e32 v[24:25], v[16:17], v[159:160]
	scratch_load_b128 v[14:17], off, off offset:448
	v_mul_f64_e32 v[20:21], v[2:3], v[28:29]
	v_mul_f64_e32 v[28:29], v[4:5], v[28:29]
	v_add_f64_e32 v[18:19], v[18:19], v[22:23]
	v_add_f64_e32 v[22:23], v[24:25], v[153:154]
	s_delay_alu instid0(VALU_DEP_4) | instskip(NEXT) | instid1(VALU_DEP_4)
	v_fma_f64 v[20:21], v[4:5], v[26:27], v[20:21]
	v_fma_f64 v[26:27], v[2:3], v[26:27], -v[28:29]
	ds_load_b128 v[2:5], v1 offset:1552
	s_wait_loadcnt_dscnt 0x500
	v_mul_f64_e32 v[24:25], v[2:3], v[40:41]
	v_mul_f64_e32 v[28:29], v[4:5], v[40:41]
	v_fma_f64 v[40:41], v[8:9], v[30:31], v[155:156]
	v_fma_f64 v[30:31], v[6:7], v[30:31], -v[32:33]
	ds_load_b128 v[6:9], v1 offset:1568
	v_add_f64_e32 v[20:21], v[22:23], v[20:21]
	v_add_f64_e32 v[18:19], v[18:19], v[26:27]
	v_fma_f64 v[24:25], v[4:5], v[38:39], v[24:25]
	v_fma_f64 v[28:29], v[2:3], v[38:39], -v[28:29]
	ds_load_b128 v[2:5], v1 offset:1584
	s_wait_loadcnt_dscnt 0x401
	v_mul_f64_e32 v[22:23], v[6:7], v[151:152]
	v_mul_f64_e32 v[26:27], v[8:9], v[151:152]
	v_add_f64_e32 v[20:21], v[20:21], v[40:41]
	v_add_f64_e32 v[18:19], v[18:19], v[30:31]
	s_wait_loadcnt_dscnt 0x300
	v_mul_f64_e32 v[30:31], v[2:3], v[36:37]
	v_mul_f64_e32 v[32:33], v[4:5], v[36:37]
	v_fma_f64 v[22:23], v[8:9], v[149:150], v[22:23]
	v_fma_f64 v[26:27], v[6:7], v[149:150], -v[26:27]
	ds_load_b128 v[6:9], v1 offset:1600
	v_add_f64_e32 v[20:21], v[20:21], v[24:25]
	v_add_f64_e32 v[18:19], v[18:19], v[28:29]
	v_fma_f64 v[30:31], v[4:5], v[34:35], v[30:31]
	v_fma_f64 v[32:33], v[2:3], v[34:35], -v[32:33]
	ds_load_b128 v[2:5], v1 offset:1616
	s_wait_loadcnt_dscnt 0x201
	v_mul_f64_e32 v[24:25], v[6:7], v[147:148]
	v_mul_f64_e32 v[28:29], v[8:9], v[147:148]
	v_add_f64_e32 v[20:21], v[20:21], v[22:23]
	v_add_f64_e32 v[18:19], v[18:19], v[26:27]
	s_wait_loadcnt_dscnt 0x100
	v_mul_f64_e32 v[22:23], v[2:3], v[12:13]
	v_mul_f64_e32 v[12:13], v[4:5], v[12:13]
	v_fma_f64 v[8:9], v[8:9], v[145:146], v[24:25]
	v_fma_f64 v[6:7], v[6:7], v[145:146], -v[28:29]
	v_add_f64_e32 v[20:21], v[20:21], v[30:31]
	v_add_f64_e32 v[18:19], v[18:19], v[32:33]
	v_fma_f64 v[4:5], v[4:5], v[10:11], v[22:23]
	v_fma_f64 v[2:3], v[2:3], v[10:11], -v[12:13]
	s_delay_alu instid0(VALU_DEP_4) | instskip(NEXT) | instid1(VALU_DEP_4)
	v_add_f64_e32 v[8:9], v[20:21], v[8:9]
	v_add_f64_e32 v[6:7], v[18:19], v[6:7]
	s_delay_alu instid0(VALU_DEP_2) | instskip(NEXT) | instid1(VALU_DEP_2)
	v_add_f64_e32 v[4:5], v[8:9], v[4:5]
	v_add_f64_e32 v[2:3], v[6:7], v[2:3]
	s_wait_loadcnt 0x0
	s_delay_alu instid0(VALU_DEP_2) | instskip(NEXT) | instid1(VALU_DEP_2)
	v_add_f64_e64 v[4:5], v[16:17], -v[4:5]
	v_add_f64_e64 v[2:3], v[14:15], -v[2:3]
	scratch_store_b128 off, v[2:5], off offset:448
	v_cmpx_lt_u32_e32 26, v0
	s_cbranch_execz .LBB114_267
; %bb.266:
	scratch_load_b128 v[5:8], off, s38
	v_dual_mov_b32 v2, v1 :: v_dual_mov_b32 v3, v1
	v_mov_b32_e32 v4, v1
	scratch_store_b128 off, v[1:4], off offset:432
	s_wait_loadcnt 0x0
	ds_store_b128 v144, v[5:8]
.LBB114_267:
	s_wait_alu 0xfffe
	s_or_b32 exec_lo, exec_lo, s0
	s_wait_storecnt_dscnt 0x0
	s_barrier_signal -1
	s_barrier_wait -1
	global_inv scope:SCOPE_SE
	s_clause 0x7
	scratch_load_b128 v[2:5], off, off offset:448
	scratch_load_b128 v[6:9], off, off offset:464
	;; [unrolled: 1-line block ×8, first 2 shown]
	ds_load_b128 v[34:37], v1 offset:1248
	ds_load_b128 v[145:148], v1 offset:1264
	s_clause 0x1
	scratch_load_b128 v[38:41], off, off offset:576
	scratch_load_b128 v[149:152], off, off offset:592
	s_mov_b32 s0, exec_lo
	s_wait_loadcnt_dscnt 0x901
	v_mul_f64_e32 v[153:154], v[36:37], v[4:5]
	v_mul_f64_e32 v[4:5], v[34:35], v[4:5]
	s_wait_loadcnt_dscnt 0x800
	v_mul_f64_e32 v[155:156], v[145:146], v[8:9]
	v_mul_f64_e32 v[8:9], v[147:148], v[8:9]
	s_delay_alu instid0(VALU_DEP_4) | instskip(NEXT) | instid1(VALU_DEP_4)
	v_fma_f64 v[153:154], v[34:35], v[2:3], -v[153:154]
	v_fma_f64 v[157:158], v[36:37], v[2:3], v[4:5]
	ds_load_b128 v[2:5], v1 offset:1280
	scratch_load_b128 v[34:37], off, off offset:608
	v_fma_f64 v[155:156], v[147:148], v[6:7], v[155:156]
	v_fma_f64 v[161:162], v[145:146], v[6:7], -v[8:9]
	ds_load_b128 v[6:9], v1 offset:1296
	scratch_load_b128 v[145:148], off, off offset:624
	s_wait_loadcnt_dscnt 0x901
	v_mul_f64_e32 v[159:160], v[2:3], v[12:13]
	v_mul_f64_e32 v[12:13], v[4:5], v[12:13]
	s_wait_loadcnt_dscnt 0x800
	v_mul_f64_e32 v[163:164], v[6:7], v[16:17]
	v_mul_f64_e32 v[16:17], v[8:9], v[16:17]
	v_add_f64_e32 v[153:154], 0, v[153:154]
	v_add_f64_e32 v[157:158], 0, v[157:158]
	v_fma_f64 v[159:160], v[4:5], v[10:11], v[159:160]
	v_fma_f64 v[165:166], v[2:3], v[10:11], -v[12:13]
	ds_load_b128 v[2:5], v1 offset:1312
	scratch_load_b128 v[10:13], off, off offset:640
	v_add_f64_e32 v[153:154], v[153:154], v[161:162]
	v_add_f64_e32 v[155:156], v[157:158], v[155:156]
	v_fma_f64 v[161:162], v[8:9], v[14:15], v[163:164]
	v_fma_f64 v[163:164], v[6:7], v[14:15], -v[16:17]
	ds_load_b128 v[6:9], v1 offset:1328
	scratch_load_b128 v[14:17], off, off offset:656
	s_wait_loadcnt_dscnt 0x901
	v_mul_f64_e32 v[157:158], v[2:3], v[20:21]
	v_mul_f64_e32 v[20:21], v[4:5], v[20:21]
	v_add_f64_e32 v[153:154], v[153:154], v[165:166]
	v_add_f64_e32 v[155:156], v[155:156], v[159:160]
	s_wait_loadcnt_dscnt 0x800
	v_mul_f64_e32 v[159:160], v[6:7], v[24:25]
	v_mul_f64_e32 v[24:25], v[8:9], v[24:25]
	v_fma_f64 v[157:158], v[4:5], v[18:19], v[157:158]
	v_fma_f64 v[165:166], v[2:3], v[18:19], -v[20:21]
	ds_load_b128 v[2:5], v1 offset:1344
	scratch_load_b128 v[18:21], off, off offset:672
	v_add_f64_e32 v[153:154], v[153:154], v[163:164]
	v_add_f64_e32 v[155:156], v[155:156], v[161:162]
	v_fma_f64 v[159:160], v[8:9], v[22:23], v[159:160]
	v_fma_f64 v[163:164], v[6:7], v[22:23], -v[24:25]
	ds_load_b128 v[6:9], v1 offset:1360
	s_wait_loadcnt_dscnt 0x801
	v_mul_f64_e32 v[161:162], v[2:3], v[28:29]
	v_mul_f64_e32 v[28:29], v[4:5], v[28:29]
	scratch_load_b128 v[22:25], off, off offset:688
	v_add_f64_e32 v[153:154], v[153:154], v[165:166]
	v_add_f64_e32 v[155:156], v[155:156], v[157:158]
	s_wait_loadcnt_dscnt 0x800
	v_mul_f64_e32 v[157:158], v[6:7], v[32:33]
	v_mul_f64_e32 v[32:33], v[8:9], v[32:33]
	v_fma_f64 v[161:162], v[4:5], v[26:27], v[161:162]
	v_fma_f64 v[165:166], v[2:3], v[26:27], -v[28:29]
	ds_load_b128 v[2:5], v1 offset:1376
	scratch_load_b128 v[26:29], off, off offset:704
	v_add_f64_e32 v[153:154], v[153:154], v[163:164]
	v_add_f64_e32 v[155:156], v[155:156], v[159:160]
	v_fma_f64 v[157:158], v[8:9], v[30:31], v[157:158]
	v_fma_f64 v[163:164], v[6:7], v[30:31], -v[32:33]
	ds_load_b128 v[6:9], v1 offset:1392
	s_wait_loadcnt_dscnt 0x801
	v_mul_f64_e32 v[159:160], v[2:3], v[40:41]
	v_mul_f64_e32 v[40:41], v[4:5], v[40:41]
	scratch_load_b128 v[30:33], off, off offset:720
	v_add_f64_e32 v[153:154], v[153:154], v[165:166]
	v_add_f64_e32 v[155:156], v[155:156], v[161:162]
	s_wait_loadcnt_dscnt 0x800
	v_mul_f64_e32 v[161:162], v[6:7], v[151:152]
	v_mul_f64_e32 v[151:152], v[8:9], v[151:152]
	v_fma_f64 v[159:160], v[4:5], v[38:39], v[159:160]
	v_fma_f64 v[165:166], v[2:3], v[38:39], -v[40:41]
	ds_load_b128 v[2:5], v1 offset:1408
	scratch_load_b128 v[38:41], off, off offset:736
	v_add_f64_e32 v[153:154], v[153:154], v[163:164]
	v_add_f64_e32 v[155:156], v[155:156], v[157:158]
	v_fma_f64 v[161:162], v[8:9], v[149:150], v[161:162]
	v_fma_f64 v[163:164], v[6:7], v[149:150], -v[151:152]
	ds_load_b128 v[6:9], v1 offset:1424
	scratch_load_b128 v[149:152], off, off offset:752
	s_wait_loadcnt_dscnt 0x901
	v_mul_f64_e32 v[157:158], v[2:3], v[36:37]
	v_mul_f64_e32 v[36:37], v[4:5], v[36:37]
	v_add_f64_e32 v[153:154], v[153:154], v[165:166]
	v_add_f64_e32 v[155:156], v[155:156], v[159:160]
	s_wait_loadcnt_dscnt 0x800
	v_mul_f64_e32 v[159:160], v[6:7], v[147:148]
	v_mul_f64_e32 v[147:148], v[8:9], v[147:148]
	v_fma_f64 v[157:158], v[4:5], v[34:35], v[157:158]
	v_fma_f64 v[165:166], v[2:3], v[34:35], -v[36:37]
	ds_load_b128 v[2:5], v1 offset:1440
	scratch_load_b128 v[34:37], off, off offset:768
	v_add_f64_e32 v[153:154], v[153:154], v[163:164]
	v_add_f64_e32 v[155:156], v[155:156], v[161:162]
	v_fma_f64 v[159:160], v[8:9], v[145:146], v[159:160]
	v_fma_f64 v[163:164], v[6:7], v[145:146], -v[147:148]
	ds_load_b128 v[6:9], v1 offset:1456
	s_wait_loadcnt_dscnt 0x801
	v_mul_f64_e32 v[161:162], v[2:3], v[12:13]
	v_mul_f64_e32 v[12:13], v[4:5], v[12:13]
	scratch_load_b128 v[145:148], off, off offset:784
	v_add_f64_e32 v[153:154], v[153:154], v[165:166]
	v_add_f64_e32 v[155:156], v[155:156], v[157:158]
	s_wait_loadcnt_dscnt 0x800
	v_mul_f64_e32 v[157:158], v[6:7], v[16:17]
	v_mul_f64_e32 v[16:17], v[8:9], v[16:17]
	v_fma_f64 v[161:162], v[4:5], v[10:11], v[161:162]
	v_fma_f64 v[165:166], v[2:3], v[10:11], -v[12:13]
	ds_load_b128 v[2:5], v1 offset:1472
	scratch_load_b128 v[10:13], off, off offset:800
	v_add_f64_e32 v[153:154], v[153:154], v[163:164]
	v_add_f64_e32 v[155:156], v[155:156], v[159:160]
	v_fma_f64 v[157:158], v[8:9], v[14:15], v[157:158]
	v_fma_f64 v[163:164], v[6:7], v[14:15], -v[16:17]
	ds_load_b128 v[6:9], v1 offset:1488
	s_wait_loadcnt_dscnt 0x801
	v_mul_f64_e32 v[159:160], v[2:3], v[20:21]
	v_mul_f64_e32 v[20:21], v[4:5], v[20:21]
	scratch_load_b128 v[14:17], off, off offset:816
	v_add_f64_e32 v[153:154], v[153:154], v[165:166]
	v_add_f64_e32 v[155:156], v[155:156], v[161:162]
	s_wait_loadcnt_dscnt 0x800
	v_mul_f64_e32 v[161:162], v[6:7], v[24:25]
	v_mul_f64_e32 v[24:25], v[8:9], v[24:25]
	v_fma_f64 v[159:160], v[4:5], v[18:19], v[159:160]
	v_fma_f64 v[18:19], v[2:3], v[18:19], -v[20:21]
	ds_load_b128 v[2:5], v1 offset:1504
	v_add_f64_e32 v[20:21], v[153:154], v[163:164]
	v_add_f64_e32 v[153:154], v[155:156], v[157:158]
	v_fma_f64 v[157:158], v[8:9], v[22:23], v[161:162]
	v_fma_f64 v[22:23], v[6:7], v[22:23], -v[24:25]
	ds_load_b128 v[6:9], v1 offset:1520
	s_wait_loadcnt_dscnt 0x701
	v_mul_f64_e32 v[155:156], v[2:3], v[28:29]
	v_mul_f64_e32 v[28:29], v[4:5], v[28:29]
	v_add_f64_e32 v[18:19], v[20:21], v[18:19]
	v_add_f64_e32 v[20:21], v[153:154], v[159:160]
	s_delay_alu instid0(VALU_DEP_4) | instskip(NEXT) | instid1(VALU_DEP_4)
	v_fma_f64 v[153:154], v[4:5], v[26:27], v[155:156]
	v_fma_f64 v[26:27], v[2:3], v[26:27], -v[28:29]
	ds_load_b128 v[2:5], v1 offset:1536
	v_add_f64_e32 v[22:23], v[18:19], v[22:23]
	v_add_f64_e32 v[28:29], v[20:21], v[157:158]
	scratch_load_b128 v[18:21], off, off offset:432
	s_wait_loadcnt_dscnt 0x701
	v_mul_f64_e32 v[24:25], v[6:7], v[32:33]
	v_mul_f64_e32 v[32:33], v[8:9], v[32:33]
	v_add_f64_e32 v[22:23], v[22:23], v[26:27]
	v_add_f64_e32 v[26:27], v[28:29], v[153:154]
	s_delay_alu instid0(VALU_DEP_4) | instskip(NEXT) | instid1(VALU_DEP_4)
	v_fma_f64 v[24:25], v[8:9], v[30:31], v[24:25]
	v_fma_f64 v[30:31], v[6:7], v[30:31], -v[32:33]
	ds_load_b128 v[6:9], v1 offset:1552
	s_wait_loadcnt_dscnt 0x601
	v_mul_f64_e32 v[155:156], v[2:3], v[40:41]
	v_mul_f64_e32 v[40:41], v[4:5], v[40:41]
	s_wait_loadcnt_dscnt 0x500
	v_mul_f64_e32 v[28:29], v[6:7], v[151:152]
	v_mul_f64_e32 v[32:33], v[8:9], v[151:152]
	v_add_f64_e32 v[24:25], v[26:27], v[24:25]
	v_add_f64_e32 v[22:23], v[22:23], v[30:31]
	v_fma_f64 v[151:152], v[4:5], v[38:39], v[155:156]
	v_fma_f64 v[38:39], v[2:3], v[38:39], -v[40:41]
	ds_load_b128 v[2:5], v1 offset:1568
	v_fma_f64 v[28:29], v[8:9], v[149:150], v[28:29]
	v_fma_f64 v[32:33], v[6:7], v[149:150], -v[32:33]
	ds_load_b128 v[6:9], v1 offset:1584
	s_wait_loadcnt_dscnt 0x401
	v_mul_f64_e32 v[26:27], v[2:3], v[36:37]
	v_mul_f64_e32 v[30:31], v[4:5], v[36:37]
	v_add_f64_e32 v[24:25], v[24:25], v[151:152]
	v_add_f64_e32 v[22:23], v[22:23], v[38:39]
	s_wait_loadcnt_dscnt 0x300
	v_mul_f64_e32 v[36:37], v[6:7], v[147:148]
	v_mul_f64_e32 v[38:39], v[8:9], v[147:148]
	v_fma_f64 v[26:27], v[4:5], v[34:35], v[26:27]
	v_fma_f64 v[30:31], v[2:3], v[34:35], -v[30:31]
	ds_load_b128 v[2:5], v1 offset:1600
	v_add_f64_e32 v[24:25], v[24:25], v[28:29]
	v_add_f64_e32 v[22:23], v[22:23], v[32:33]
	v_fma_f64 v[32:33], v[8:9], v[145:146], v[36:37]
	v_fma_f64 v[34:35], v[6:7], v[145:146], -v[38:39]
	ds_load_b128 v[6:9], v1 offset:1616
	s_wait_loadcnt_dscnt 0x201
	v_mul_f64_e32 v[28:29], v[2:3], v[12:13]
	v_mul_f64_e32 v[12:13], v[4:5], v[12:13]
	v_add_f64_e32 v[24:25], v[24:25], v[26:27]
	v_add_f64_e32 v[22:23], v[22:23], v[30:31]
	s_wait_loadcnt_dscnt 0x100
	v_mul_f64_e32 v[26:27], v[6:7], v[16:17]
	v_mul_f64_e32 v[16:17], v[8:9], v[16:17]
	v_fma_f64 v[4:5], v[4:5], v[10:11], v[28:29]
	v_fma_f64 v[1:2], v[2:3], v[10:11], -v[12:13]
	v_add_f64_e32 v[12:13], v[24:25], v[32:33]
	v_add_f64_e32 v[10:11], v[22:23], v[34:35]
	v_fma_f64 v[8:9], v[8:9], v[14:15], v[26:27]
	v_fma_f64 v[6:7], v[6:7], v[14:15], -v[16:17]
	s_delay_alu instid0(VALU_DEP_4) | instskip(NEXT) | instid1(VALU_DEP_4)
	v_add_f64_e32 v[3:4], v[12:13], v[4:5]
	v_add_f64_e32 v[1:2], v[10:11], v[1:2]
	s_delay_alu instid0(VALU_DEP_2) | instskip(NEXT) | instid1(VALU_DEP_2)
	v_add_f64_e32 v[3:4], v[3:4], v[8:9]
	v_add_f64_e32 v[1:2], v[1:2], v[6:7]
	s_wait_loadcnt 0x0
	s_delay_alu instid0(VALU_DEP_2) | instskip(NEXT) | instid1(VALU_DEP_2)
	v_add_f64_e64 v[3:4], v[20:21], -v[3:4]
	v_add_f64_e64 v[1:2], v[18:19], -v[1:2]
	scratch_store_b128 off, v[1:4], off offset:432
	v_cmpx_lt_u32_e32 25, v0
	s_cbranch_execz .LBB114_269
; %bb.268:
	scratch_load_b128 v[1:4], off, s39
	v_mov_b32_e32 v5, 0
	s_delay_alu instid0(VALU_DEP_1)
	v_dual_mov_b32 v6, v5 :: v_dual_mov_b32 v7, v5
	v_mov_b32_e32 v8, v5
	scratch_store_b128 off, v[5:8], off offset:416
	s_wait_loadcnt 0x0
	ds_store_b128 v144, v[1:4]
.LBB114_269:
	s_wait_alu 0xfffe
	s_or_b32 exec_lo, exec_lo, s0
	s_wait_storecnt_dscnt 0x0
	s_barrier_signal -1
	s_barrier_wait -1
	global_inv scope:SCOPE_SE
	s_clause 0x7
	scratch_load_b128 v[2:5], off, off offset:432
	scratch_load_b128 v[6:9], off, off offset:448
	;; [unrolled: 1-line block ×8, first 2 shown]
	v_mov_b32_e32 v1, 0
	s_clause 0x1
	scratch_load_b128 v[38:41], off, off offset:560
	scratch_load_b128 v[149:152], off, off offset:576
	s_mov_b32 s0, exec_lo
	ds_load_b128 v[34:37], v1 offset:1232
	ds_load_b128 v[145:148], v1 offset:1248
	s_wait_loadcnt_dscnt 0x901
	v_mul_f64_e32 v[153:154], v[36:37], v[4:5]
	v_mul_f64_e32 v[4:5], v[34:35], v[4:5]
	s_wait_loadcnt_dscnt 0x800
	v_mul_f64_e32 v[155:156], v[145:146], v[8:9]
	v_mul_f64_e32 v[8:9], v[147:148], v[8:9]
	s_delay_alu instid0(VALU_DEP_4) | instskip(NEXT) | instid1(VALU_DEP_4)
	v_fma_f64 v[153:154], v[34:35], v[2:3], -v[153:154]
	v_fma_f64 v[157:158], v[36:37], v[2:3], v[4:5]
	ds_load_b128 v[2:5], v1 offset:1264
	scratch_load_b128 v[34:37], off, off offset:592
	v_fma_f64 v[155:156], v[147:148], v[6:7], v[155:156]
	v_fma_f64 v[161:162], v[145:146], v[6:7], -v[8:9]
	ds_load_b128 v[6:9], v1 offset:1280
	scratch_load_b128 v[145:148], off, off offset:608
	s_wait_loadcnt_dscnt 0x901
	v_mul_f64_e32 v[159:160], v[2:3], v[12:13]
	v_mul_f64_e32 v[12:13], v[4:5], v[12:13]
	s_wait_loadcnt_dscnt 0x800
	v_mul_f64_e32 v[163:164], v[6:7], v[16:17]
	v_mul_f64_e32 v[16:17], v[8:9], v[16:17]
	v_add_f64_e32 v[153:154], 0, v[153:154]
	v_add_f64_e32 v[157:158], 0, v[157:158]
	v_fma_f64 v[159:160], v[4:5], v[10:11], v[159:160]
	v_fma_f64 v[165:166], v[2:3], v[10:11], -v[12:13]
	ds_load_b128 v[2:5], v1 offset:1296
	scratch_load_b128 v[10:13], off, off offset:624
	v_add_f64_e32 v[153:154], v[153:154], v[161:162]
	v_add_f64_e32 v[155:156], v[157:158], v[155:156]
	v_fma_f64 v[161:162], v[8:9], v[14:15], v[163:164]
	v_fma_f64 v[163:164], v[6:7], v[14:15], -v[16:17]
	ds_load_b128 v[6:9], v1 offset:1312
	scratch_load_b128 v[14:17], off, off offset:640
	s_wait_loadcnt_dscnt 0x901
	v_mul_f64_e32 v[157:158], v[2:3], v[20:21]
	v_mul_f64_e32 v[20:21], v[4:5], v[20:21]
	v_add_f64_e32 v[153:154], v[153:154], v[165:166]
	v_add_f64_e32 v[155:156], v[155:156], v[159:160]
	s_wait_loadcnt_dscnt 0x800
	v_mul_f64_e32 v[159:160], v[6:7], v[24:25]
	v_mul_f64_e32 v[24:25], v[8:9], v[24:25]
	v_fma_f64 v[157:158], v[4:5], v[18:19], v[157:158]
	v_fma_f64 v[165:166], v[2:3], v[18:19], -v[20:21]
	ds_load_b128 v[2:5], v1 offset:1328
	scratch_load_b128 v[18:21], off, off offset:656
	v_add_f64_e32 v[153:154], v[153:154], v[163:164]
	v_add_f64_e32 v[155:156], v[155:156], v[161:162]
	v_fma_f64 v[159:160], v[8:9], v[22:23], v[159:160]
	v_fma_f64 v[163:164], v[6:7], v[22:23], -v[24:25]
	ds_load_b128 v[6:9], v1 offset:1344
	s_wait_loadcnt_dscnt 0x801
	v_mul_f64_e32 v[161:162], v[2:3], v[28:29]
	v_mul_f64_e32 v[28:29], v[4:5], v[28:29]
	scratch_load_b128 v[22:25], off, off offset:672
	v_add_f64_e32 v[153:154], v[153:154], v[165:166]
	v_add_f64_e32 v[155:156], v[155:156], v[157:158]
	s_wait_loadcnt_dscnt 0x800
	v_mul_f64_e32 v[157:158], v[6:7], v[32:33]
	v_mul_f64_e32 v[32:33], v[8:9], v[32:33]
	v_fma_f64 v[161:162], v[4:5], v[26:27], v[161:162]
	v_fma_f64 v[165:166], v[2:3], v[26:27], -v[28:29]
	ds_load_b128 v[2:5], v1 offset:1360
	scratch_load_b128 v[26:29], off, off offset:688
	v_add_f64_e32 v[153:154], v[153:154], v[163:164]
	v_add_f64_e32 v[155:156], v[155:156], v[159:160]
	v_fma_f64 v[157:158], v[8:9], v[30:31], v[157:158]
	v_fma_f64 v[163:164], v[6:7], v[30:31], -v[32:33]
	ds_load_b128 v[6:9], v1 offset:1376
	s_wait_loadcnt_dscnt 0x801
	v_mul_f64_e32 v[159:160], v[2:3], v[40:41]
	v_mul_f64_e32 v[40:41], v[4:5], v[40:41]
	scratch_load_b128 v[30:33], off, off offset:704
	v_add_f64_e32 v[153:154], v[153:154], v[165:166]
	v_add_f64_e32 v[155:156], v[155:156], v[161:162]
	s_wait_loadcnt_dscnt 0x800
	v_mul_f64_e32 v[161:162], v[6:7], v[151:152]
	v_mul_f64_e32 v[151:152], v[8:9], v[151:152]
	v_fma_f64 v[159:160], v[4:5], v[38:39], v[159:160]
	v_fma_f64 v[165:166], v[2:3], v[38:39], -v[40:41]
	ds_load_b128 v[2:5], v1 offset:1392
	scratch_load_b128 v[38:41], off, off offset:720
	v_add_f64_e32 v[153:154], v[153:154], v[163:164]
	v_add_f64_e32 v[155:156], v[155:156], v[157:158]
	v_fma_f64 v[161:162], v[8:9], v[149:150], v[161:162]
	v_fma_f64 v[163:164], v[6:7], v[149:150], -v[151:152]
	ds_load_b128 v[6:9], v1 offset:1408
	scratch_load_b128 v[149:152], off, off offset:736
	s_wait_loadcnt_dscnt 0x901
	v_mul_f64_e32 v[157:158], v[2:3], v[36:37]
	v_mul_f64_e32 v[36:37], v[4:5], v[36:37]
	v_add_f64_e32 v[153:154], v[153:154], v[165:166]
	v_add_f64_e32 v[155:156], v[155:156], v[159:160]
	s_wait_loadcnt_dscnt 0x800
	v_mul_f64_e32 v[159:160], v[6:7], v[147:148]
	v_mul_f64_e32 v[147:148], v[8:9], v[147:148]
	v_fma_f64 v[157:158], v[4:5], v[34:35], v[157:158]
	v_fma_f64 v[165:166], v[2:3], v[34:35], -v[36:37]
	ds_load_b128 v[2:5], v1 offset:1424
	scratch_load_b128 v[34:37], off, off offset:752
	v_add_f64_e32 v[153:154], v[153:154], v[163:164]
	v_add_f64_e32 v[155:156], v[155:156], v[161:162]
	v_fma_f64 v[159:160], v[8:9], v[145:146], v[159:160]
	v_fma_f64 v[163:164], v[6:7], v[145:146], -v[147:148]
	ds_load_b128 v[6:9], v1 offset:1440
	s_wait_loadcnt_dscnt 0x801
	v_mul_f64_e32 v[161:162], v[2:3], v[12:13]
	v_mul_f64_e32 v[12:13], v[4:5], v[12:13]
	scratch_load_b128 v[145:148], off, off offset:768
	v_add_f64_e32 v[153:154], v[153:154], v[165:166]
	v_add_f64_e32 v[155:156], v[155:156], v[157:158]
	s_wait_loadcnt_dscnt 0x800
	v_mul_f64_e32 v[157:158], v[6:7], v[16:17]
	v_mul_f64_e32 v[16:17], v[8:9], v[16:17]
	v_fma_f64 v[161:162], v[4:5], v[10:11], v[161:162]
	v_fma_f64 v[165:166], v[2:3], v[10:11], -v[12:13]
	ds_load_b128 v[2:5], v1 offset:1456
	scratch_load_b128 v[10:13], off, off offset:784
	v_add_f64_e32 v[153:154], v[153:154], v[163:164]
	v_add_f64_e32 v[155:156], v[155:156], v[159:160]
	v_fma_f64 v[157:158], v[8:9], v[14:15], v[157:158]
	v_fma_f64 v[163:164], v[6:7], v[14:15], -v[16:17]
	ds_load_b128 v[6:9], v1 offset:1472
	s_wait_loadcnt_dscnt 0x801
	v_mul_f64_e32 v[159:160], v[2:3], v[20:21]
	v_mul_f64_e32 v[20:21], v[4:5], v[20:21]
	scratch_load_b128 v[14:17], off, off offset:800
	v_add_f64_e32 v[153:154], v[153:154], v[165:166]
	v_add_f64_e32 v[155:156], v[155:156], v[161:162]
	s_wait_loadcnt_dscnt 0x800
	v_mul_f64_e32 v[161:162], v[6:7], v[24:25]
	v_mul_f64_e32 v[24:25], v[8:9], v[24:25]
	v_fma_f64 v[159:160], v[4:5], v[18:19], v[159:160]
	v_fma_f64 v[165:166], v[2:3], v[18:19], -v[20:21]
	ds_load_b128 v[2:5], v1 offset:1488
	scratch_load_b128 v[18:21], off, off offset:816
	v_add_f64_e32 v[153:154], v[153:154], v[163:164]
	v_add_f64_e32 v[155:156], v[155:156], v[157:158]
	v_fma_f64 v[161:162], v[8:9], v[22:23], v[161:162]
	v_fma_f64 v[22:23], v[6:7], v[22:23], -v[24:25]
	ds_load_b128 v[6:9], v1 offset:1504
	s_wait_loadcnt_dscnt 0x801
	v_mul_f64_e32 v[157:158], v[2:3], v[28:29]
	v_mul_f64_e32 v[28:29], v[4:5], v[28:29]
	v_add_f64_e32 v[24:25], v[153:154], v[165:166]
	v_add_f64_e32 v[153:154], v[155:156], v[159:160]
	s_wait_loadcnt_dscnt 0x700
	v_mul_f64_e32 v[155:156], v[6:7], v[32:33]
	v_mul_f64_e32 v[32:33], v[8:9], v[32:33]
	v_fma_f64 v[157:158], v[4:5], v[26:27], v[157:158]
	v_fma_f64 v[26:27], v[2:3], v[26:27], -v[28:29]
	ds_load_b128 v[2:5], v1 offset:1520
	v_add_f64_e32 v[22:23], v[24:25], v[22:23]
	v_add_f64_e32 v[24:25], v[153:154], v[161:162]
	v_fma_f64 v[153:154], v[8:9], v[30:31], v[155:156]
	v_fma_f64 v[30:31], v[6:7], v[30:31], -v[32:33]
	ds_load_b128 v[6:9], v1 offset:1536
	s_wait_loadcnt_dscnt 0x500
	v_mul_f64_e32 v[155:156], v[6:7], v[151:152]
	v_mul_f64_e32 v[151:152], v[8:9], v[151:152]
	v_add_f64_e32 v[26:27], v[22:23], v[26:27]
	v_add_f64_e32 v[32:33], v[24:25], v[157:158]
	scratch_load_b128 v[22:25], off, off offset:416
	v_mul_f64_e32 v[28:29], v[2:3], v[40:41]
	v_mul_f64_e32 v[40:41], v[4:5], v[40:41]
	v_add_f64_e32 v[26:27], v[26:27], v[30:31]
	v_add_f64_e32 v[30:31], v[32:33], v[153:154]
	s_delay_alu instid0(VALU_DEP_4) | instskip(NEXT) | instid1(VALU_DEP_4)
	v_fma_f64 v[28:29], v[4:5], v[38:39], v[28:29]
	v_fma_f64 v[38:39], v[2:3], v[38:39], -v[40:41]
	ds_load_b128 v[2:5], v1 offset:1552
	v_fma_f64 v[40:41], v[8:9], v[149:150], v[155:156]
	v_fma_f64 v[149:150], v[6:7], v[149:150], -v[151:152]
	ds_load_b128 v[6:9], v1 offset:1568
	s_wait_loadcnt_dscnt 0x501
	v_mul_f64_e32 v[32:33], v[2:3], v[36:37]
	v_mul_f64_e32 v[36:37], v[4:5], v[36:37]
	v_add_f64_e32 v[28:29], v[30:31], v[28:29]
	v_add_f64_e32 v[26:27], v[26:27], v[38:39]
	s_wait_loadcnt_dscnt 0x400
	v_mul_f64_e32 v[30:31], v[6:7], v[147:148]
	v_mul_f64_e32 v[38:39], v[8:9], v[147:148]
	v_fma_f64 v[32:33], v[4:5], v[34:35], v[32:33]
	v_fma_f64 v[34:35], v[2:3], v[34:35], -v[36:37]
	ds_load_b128 v[2:5], v1 offset:1584
	v_add_f64_e32 v[28:29], v[28:29], v[40:41]
	v_add_f64_e32 v[26:27], v[26:27], v[149:150]
	v_fma_f64 v[30:31], v[8:9], v[145:146], v[30:31]
	v_fma_f64 v[38:39], v[6:7], v[145:146], -v[38:39]
	ds_load_b128 v[6:9], v1 offset:1600
	s_wait_loadcnt_dscnt 0x301
	v_mul_f64_e32 v[36:37], v[2:3], v[12:13]
	v_mul_f64_e32 v[12:13], v[4:5], v[12:13]
	v_add_f64_e32 v[28:29], v[28:29], v[32:33]
	v_add_f64_e32 v[26:27], v[26:27], v[34:35]
	s_wait_loadcnt_dscnt 0x200
	v_mul_f64_e32 v[32:33], v[6:7], v[16:17]
	v_mul_f64_e32 v[16:17], v[8:9], v[16:17]
	v_fma_f64 v[34:35], v[4:5], v[10:11], v[36:37]
	v_fma_f64 v[10:11], v[2:3], v[10:11], -v[12:13]
	ds_load_b128 v[2:5], v1 offset:1616
	v_add_f64_e32 v[12:13], v[26:27], v[38:39]
	v_add_f64_e32 v[26:27], v[28:29], v[30:31]
	s_wait_loadcnt_dscnt 0x100
	v_mul_f64_e32 v[28:29], v[2:3], v[20:21]
	v_mul_f64_e32 v[20:21], v[4:5], v[20:21]
	v_fma_f64 v[8:9], v[8:9], v[14:15], v[32:33]
	v_fma_f64 v[6:7], v[6:7], v[14:15], -v[16:17]
	v_add_f64_e32 v[10:11], v[12:13], v[10:11]
	v_add_f64_e32 v[12:13], v[26:27], v[34:35]
	v_fma_f64 v[4:5], v[4:5], v[18:19], v[28:29]
	v_fma_f64 v[2:3], v[2:3], v[18:19], -v[20:21]
	s_delay_alu instid0(VALU_DEP_4) | instskip(NEXT) | instid1(VALU_DEP_4)
	v_add_f64_e32 v[6:7], v[10:11], v[6:7]
	v_add_f64_e32 v[8:9], v[12:13], v[8:9]
	s_delay_alu instid0(VALU_DEP_2) | instskip(NEXT) | instid1(VALU_DEP_2)
	v_add_f64_e32 v[2:3], v[6:7], v[2:3]
	v_add_f64_e32 v[4:5], v[8:9], v[4:5]
	s_wait_loadcnt 0x0
	s_delay_alu instid0(VALU_DEP_2) | instskip(NEXT) | instid1(VALU_DEP_2)
	v_add_f64_e64 v[2:3], v[22:23], -v[2:3]
	v_add_f64_e64 v[4:5], v[24:25], -v[4:5]
	scratch_store_b128 off, v[2:5], off offset:416
	v_cmpx_lt_u32_e32 24, v0
	s_cbranch_execz .LBB114_271
; %bb.270:
	scratch_load_b128 v[5:8], off, s40
	v_dual_mov_b32 v2, v1 :: v_dual_mov_b32 v3, v1
	v_mov_b32_e32 v4, v1
	scratch_store_b128 off, v[1:4], off offset:400
	s_wait_loadcnt 0x0
	ds_store_b128 v144, v[5:8]
.LBB114_271:
	s_wait_alu 0xfffe
	s_or_b32 exec_lo, exec_lo, s0
	s_wait_storecnt_dscnt 0x0
	s_barrier_signal -1
	s_barrier_wait -1
	global_inv scope:SCOPE_SE
	s_clause 0x7
	scratch_load_b128 v[2:5], off, off offset:416
	scratch_load_b128 v[6:9], off, off offset:432
	scratch_load_b128 v[10:13], off, off offset:448
	scratch_load_b128 v[14:17], off, off offset:464
	scratch_load_b128 v[18:21], off, off offset:480
	scratch_load_b128 v[22:25], off, off offset:496
	scratch_load_b128 v[26:29], off, off offset:512
	scratch_load_b128 v[30:33], off, off offset:528
	ds_load_b128 v[34:37], v1 offset:1216
	ds_load_b128 v[145:148], v1 offset:1232
	s_clause 0x1
	scratch_load_b128 v[38:41], off, off offset:544
	scratch_load_b128 v[149:152], off, off offset:560
	s_mov_b32 s0, exec_lo
	s_wait_loadcnt_dscnt 0x901
	v_mul_f64_e32 v[153:154], v[36:37], v[4:5]
	v_mul_f64_e32 v[4:5], v[34:35], v[4:5]
	s_wait_loadcnt_dscnt 0x800
	v_mul_f64_e32 v[155:156], v[145:146], v[8:9]
	v_mul_f64_e32 v[8:9], v[147:148], v[8:9]
	s_delay_alu instid0(VALU_DEP_4) | instskip(NEXT) | instid1(VALU_DEP_4)
	v_fma_f64 v[153:154], v[34:35], v[2:3], -v[153:154]
	v_fma_f64 v[157:158], v[36:37], v[2:3], v[4:5]
	ds_load_b128 v[2:5], v1 offset:1248
	scratch_load_b128 v[34:37], off, off offset:576
	v_fma_f64 v[155:156], v[147:148], v[6:7], v[155:156]
	v_fma_f64 v[161:162], v[145:146], v[6:7], -v[8:9]
	ds_load_b128 v[6:9], v1 offset:1264
	scratch_load_b128 v[145:148], off, off offset:592
	s_wait_loadcnt_dscnt 0x901
	v_mul_f64_e32 v[159:160], v[2:3], v[12:13]
	v_mul_f64_e32 v[12:13], v[4:5], v[12:13]
	s_wait_loadcnt_dscnt 0x800
	v_mul_f64_e32 v[163:164], v[6:7], v[16:17]
	v_mul_f64_e32 v[16:17], v[8:9], v[16:17]
	v_add_f64_e32 v[153:154], 0, v[153:154]
	v_add_f64_e32 v[157:158], 0, v[157:158]
	v_fma_f64 v[159:160], v[4:5], v[10:11], v[159:160]
	v_fma_f64 v[165:166], v[2:3], v[10:11], -v[12:13]
	ds_load_b128 v[2:5], v1 offset:1280
	scratch_load_b128 v[10:13], off, off offset:608
	v_add_f64_e32 v[153:154], v[153:154], v[161:162]
	v_add_f64_e32 v[155:156], v[157:158], v[155:156]
	v_fma_f64 v[161:162], v[8:9], v[14:15], v[163:164]
	v_fma_f64 v[163:164], v[6:7], v[14:15], -v[16:17]
	ds_load_b128 v[6:9], v1 offset:1296
	scratch_load_b128 v[14:17], off, off offset:624
	s_wait_loadcnt_dscnt 0x901
	v_mul_f64_e32 v[157:158], v[2:3], v[20:21]
	v_mul_f64_e32 v[20:21], v[4:5], v[20:21]
	v_add_f64_e32 v[153:154], v[153:154], v[165:166]
	v_add_f64_e32 v[155:156], v[155:156], v[159:160]
	s_wait_loadcnt_dscnt 0x800
	v_mul_f64_e32 v[159:160], v[6:7], v[24:25]
	v_mul_f64_e32 v[24:25], v[8:9], v[24:25]
	v_fma_f64 v[157:158], v[4:5], v[18:19], v[157:158]
	v_fma_f64 v[165:166], v[2:3], v[18:19], -v[20:21]
	ds_load_b128 v[2:5], v1 offset:1312
	scratch_load_b128 v[18:21], off, off offset:640
	v_add_f64_e32 v[153:154], v[153:154], v[163:164]
	v_add_f64_e32 v[155:156], v[155:156], v[161:162]
	v_fma_f64 v[159:160], v[8:9], v[22:23], v[159:160]
	v_fma_f64 v[163:164], v[6:7], v[22:23], -v[24:25]
	ds_load_b128 v[6:9], v1 offset:1328
	s_wait_loadcnt_dscnt 0x801
	v_mul_f64_e32 v[161:162], v[2:3], v[28:29]
	v_mul_f64_e32 v[28:29], v[4:5], v[28:29]
	scratch_load_b128 v[22:25], off, off offset:656
	v_add_f64_e32 v[153:154], v[153:154], v[165:166]
	v_add_f64_e32 v[155:156], v[155:156], v[157:158]
	s_wait_loadcnt_dscnt 0x800
	v_mul_f64_e32 v[157:158], v[6:7], v[32:33]
	v_mul_f64_e32 v[32:33], v[8:9], v[32:33]
	v_fma_f64 v[161:162], v[4:5], v[26:27], v[161:162]
	v_fma_f64 v[165:166], v[2:3], v[26:27], -v[28:29]
	ds_load_b128 v[2:5], v1 offset:1344
	scratch_load_b128 v[26:29], off, off offset:672
	v_add_f64_e32 v[153:154], v[153:154], v[163:164]
	v_add_f64_e32 v[155:156], v[155:156], v[159:160]
	v_fma_f64 v[157:158], v[8:9], v[30:31], v[157:158]
	v_fma_f64 v[163:164], v[6:7], v[30:31], -v[32:33]
	ds_load_b128 v[6:9], v1 offset:1360
	s_wait_loadcnt_dscnt 0x801
	v_mul_f64_e32 v[159:160], v[2:3], v[40:41]
	v_mul_f64_e32 v[40:41], v[4:5], v[40:41]
	scratch_load_b128 v[30:33], off, off offset:688
	v_add_f64_e32 v[153:154], v[153:154], v[165:166]
	v_add_f64_e32 v[155:156], v[155:156], v[161:162]
	s_wait_loadcnt_dscnt 0x800
	v_mul_f64_e32 v[161:162], v[6:7], v[151:152]
	v_mul_f64_e32 v[151:152], v[8:9], v[151:152]
	v_fma_f64 v[159:160], v[4:5], v[38:39], v[159:160]
	v_fma_f64 v[165:166], v[2:3], v[38:39], -v[40:41]
	ds_load_b128 v[2:5], v1 offset:1376
	scratch_load_b128 v[38:41], off, off offset:704
	v_add_f64_e32 v[153:154], v[153:154], v[163:164]
	v_add_f64_e32 v[155:156], v[155:156], v[157:158]
	v_fma_f64 v[161:162], v[8:9], v[149:150], v[161:162]
	v_fma_f64 v[163:164], v[6:7], v[149:150], -v[151:152]
	ds_load_b128 v[6:9], v1 offset:1392
	scratch_load_b128 v[149:152], off, off offset:720
	s_wait_loadcnt_dscnt 0x901
	v_mul_f64_e32 v[157:158], v[2:3], v[36:37]
	v_mul_f64_e32 v[36:37], v[4:5], v[36:37]
	v_add_f64_e32 v[153:154], v[153:154], v[165:166]
	v_add_f64_e32 v[155:156], v[155:156], v[159:160]
	s_wait_loadcnt_dscnt 0x800
	v_mul_f64_e32 v[159:160], v[6:7], v[147:148]
	v_mul_f64_e32 v[147:148], v[8:9], v[147:148]
	v_fma_f64 v[157:158], v[4:5], v[34:35], v[157:158]
	v_fma_f64 v[165:166], v[2:3], v[34:35], -v[36:37]
	ds_load_b128 v[2:5], v1 offset:1408
	scratch_load_b128 v[34:37], off, off offset:736
	v_add_f64_e32 v[153:154], v[153:154], v[163:164]
	v_add_f64_e32 v[155:156], v[155:156], v[161:162]
	v_fma_f64 v[159:160], v[8:9], v[145:146], v[159:160]
	v_fma_f64 v[163:164], v[6:7], v[145:146], -v[147:148]
	ds_load_b128 v[6:9], v1 offset:1424
	s_wait_loadcnt_dscnt 0x801
	v_mul_f64_e32 v[161:162], v[2:3], v[12:13]
	v_mul_f64_e32 v[12:13], v[4:5], v[12:13]
	scratch_load_b128 v[145:148], off, off offset:752
	v_add_f64_e32 v[153:154], v[153:154], v[165:166]
	v_add_f64_e32 v[155:156], v[155:156], v[157:158]
	s_wait_loadcnt_dscnt 0x800
	v_mul_f64_e32 v[157:158], v[6:7], v[16:17]
	v_mul_f64_e32 v[16:17], v[8:9], v[16:17]
	v_fma_f64 v[161:162], v[4:5], v[10:11], v[161:162]
	v_fma_f64 v[165:166], v[2:3], v[10:11], -v[12:13]
	ds_load_b128 v[2:5], v1 offset:1440
	scratch_load_b128 v[10:13], off, off offset:768
	v_add_f64_e32 v[153:154], v[153:154], v[163:164]
	v_add_f64_e32 v[155:156], v[155:156], v[159:160]
	v_fma_f64 v[157:158], v[8:9], v[14:15], v[157:158]
	v_fma_f64 v[163:164], v[6:7], v[14:15], -v[16:17]
	ds_load_b128 v[6:9], v1 offset:1456
	s_wait_loadcnt_dscnt 0x801
	v_mul_f64_e32 v[159:160], v[2:3], v[20:21]
	v_mul_f64_e32 v[20:21], v[4:5], v[20:21]
	scratch_load_b128 v[14:17], off, off offset:784
	;; [unrolled: 18-line block ×3, first 2 shown]
	v_add_f64_e32 v[153:154], v[153:154], v[165:166]
	v_add_f64_e32 v[155:156], v[155:156], v[159:160]
	s_wait_loadcnt_dscnt 0x800
	v_mul_f64_e32 v[159:160], v[6:7], v[32:33]
	v_mul_f64_e32 v[32:33], v[8:9], v[32:33]
	v_fma_f64 v[157:158], v[4:5], v[26:27], v[157:158]
	v_fma_f64 v[26:27], v[2:3], v[26:27], -v[28:29]
	ds_load_b128 v[2:5], v1 offset:1504
	v_add_f64_e32 v[28:29], v[153:154], v[163:164]
	v_add_f64_e32 v[153:154], v[155:156], v[161:162]
	v_fma_f64 v[159:160], v[8:9], v[30:31], v[159:160]
	v_fma_f64 v[30:31], v[6:7], v[30:31], -v[32:33]
	ds_load_b128 v[6:9], v1 offset:1520
	s_wait_loadcnt_dscnt 0x701
	v_mul_f64_e32 v[155:156], v[2:3], v[40:41]
	v_mul_f64_e32 v[40:41], v[4:5], v[40:41]
	v_add_f64_e32 v[26:27], v[28:29], v[26:27]
	v_add_f64_e32 v[28:29], v[153:154], v[157:158]
	s_delay_alu instid0(VALU_DEP_4) | instskip(NEXT) | instid1(VALU_DEP_4)
	v_fma_f64 v[153:154], v[4:5], v[38:39], v[155:156]
	v_fma_f64 v[38:39], v[2:3], v[38:39], -v[40:41]
	ds_load_b128 v[2:5], v1 offset:1536
	v_add_f64_e32 v[30:31], v[26:27], v[30:31]
	v_add_f64_e32 v[40:41], v[28:29], v[159:160]
	scratch_load_b128 v[26:29], off, off offset:400
	s_wait_loadcnt_dscnt 0x701
	v_mul_f64_e32 v[32:33], v[6:7], v[151:152]
	v_mul_f64_e32 v[151:152], v[8:9], v[151:152]
	v_add_f64_e32 v[30:31], v[30:31], v[38:39]
	v_add_f64_e32 v[38:39], v[40:41], v[153:154]
	s_delay_alu instid0(VALU_DEP_4) | instskip(NEXT) | instid1(VALU_DEP_4)
	v_fma_f64 v[32:33], v[8:9], v[149:150], v[32:33]
	v_fma_f64 v[149:150], v[6:7], v[149:150], -v[151:152]
	ds_load_b128 v[6:9], v1 offset:1552
	s_wait_loadcnt_dscnt 0x601
	v_mul_f64_e32 v[155:156], v[2:3], v[36:37]
	v_mul_f64_e32 v[36:37], v[4:5], v[36:37]
	s_wait_loadcnt_dscnt 0x500
	v_mul_f64_e32 v[40:41], v[6:7], v[147:148]
	v_mul_f64_e32 v[147:148], v[8:9], v[147:148]
	v_add_f64_e32 v[32:33], v[38:39], v[32:33]
	v_add_f64_e32 v[30:31], v[30:31], v[149:150]
	v_fma_f64 v[151:152], v[4:5], v[34:35], v[155:156]
	v_fma_f64 v[34:35], v[2:3], v[34:35], -v[36:37]
	ds_load_b128 v[2:5], v1 offset:1568
	v_fma_f64 v[38:39], v[8:9], v[145:146], v[40:41]
	v_fma_f64 v[40:41], v[6:7], v[145:146], -v[147:148]
	ds_load_b128 v[6:9], v1 offset:1584
	s_wait_loadcnt_dscnt 0x401
	v_mul_f64_e32 v[36:37], v[2:3], v[12:13]
	v_mul_f64_e32 v[12:13], v[4:5], v[12:13]
	v_add_f64_e32 v[32:33], v[32:33], v[151:152]
	v_add_f64_e32 v[30:31], v[30:31], v[34:35]
	s_wait_loadcnt_dscnt 0x300
	v_mul_f64_e32 v[34:35], v[6:7], v[16:17]
	v_mul_f64_e32 v[16:17], v[8:9], v[16:17]
	v_fma_f64 v[36:37], v[4:5], v[10:11], v[36:37]
	v_fma_f64 v[10:11], v[2:3], v[10:11], -v[12:13]
	ds_load_b128 v[2:5], v1 offset:1600
	v_add_f64_e32 v[12:13], v[30:31], v[40:41]
	v_add_f64_e32 v[30:31], v[32:33], v[38:39]
	v_fma_f64 v[34:35], v[8:9], v[14:15], v[34:35]
	v_fma_f64 v[14:15], v[6:7], v[14:15], -v[16:17]
	ds_load_b128 v[6:9], v1 offset:1616
	s_wait_loadcnt_dscnt 0x201
	v_mul_f64_e32 v[32:33], v[2:3], v[20:21]
	v_mul_f64_e32 v[20:21], v[4:5], v[20:21]
	s_wait_loadcnt_dscnt 0x100
	v_mul_f64_e32 v[16:17], v[6:7], v[24:25]
	v_mul_f64_e32 v[24:25], v[8:9], v[24:25]
	v_add_f64_e32 v[10:11], v[12:13], v[10:11]
	v_add_f64_e32 v[12:13], v[30:31], v[36:37]
	v_fma_f64 v[4:5], v[4:5], v[18:19], v[32:33]
	v_fma_f64 v[1:2], v[2:3], v[18:19], -v[20:21]
	v_fma_f64 v[8:9], v[8:9], v[22:23], v[16:17]
	v_fma_f64 v[6:7], v[6:7], v[22:23], -v[24:25]
	v_add_f64_e32 v[10:11], v[10:11], v[14:15]
	v_add_f64_e32 v[12:13], v[12:13], v[34:35]
	s_delay_alu instid0(VALU_DEP_2) | instskip(NEXT) | instid1(VALU_DEP_2)
	v_add_f64_e32 v[1:2], v[10:11], v[1:2]
	v_add_f64_e32 v[3:4], v[12:13], v[4:5]
	s_delay_alu instid0(VALU_DEP_2) | instskip(NEXT) | instid1(VALU_DEP_2)
	v_add_f64_e32 v[1:2], v[1:2], v[6:7]
	v_add_f64_e32 v[3:4], v[3:4], v[8:9]
	s_wait_loadcnt 0x0
	s_delay_alu instid0(VALU_DEP_2) | instskip(NEXT) | instid1(VALU_DEP_2)
	v_add_f64_e64 v[1:2], v[26:27], -v[1:2]
	v_add_f64_e64 v[3:4], v[28:29], -v[3:4]
	scratch_store_b128 off, v[1:4], off offset:400
	v_cmpx_lt_u32_e32 23, v0
	s_cbranch_execz .LBB114_273
; %bb.272:
	scratch_load_b128 v[1:4], off, s41
	v_mov_b32_e32 v5, 0
	s_delay_alu instid0(VALU_DEP_1)
	v_dual_mov_b32 v6, v5 :: v_dual_mov_b32 v7, v5
	v_mov_b32_e32 v8, v5
	scratch_store_b128 off, v[5:8], off offset:384
	s_wait_loadcnt 0x0
	ds_store_b128 v144, v[1:4]
.LBB114_273:
	s_wait_alu 0xfffe
	s_or_b32 exec_lo, exec_lo, s0
	s_wait_storecnt_dscnt 0x0
	s_barrier_signal -1
	s_barrier_wait -1
	global_inv scope:SCOPE_SE
	s_clause 0x7
	scratch_load_b128 v[2:5], off, off offset:400
	scratch_load_b128 v[6:9], off, off offset:416
	;; [unrolled: 1-line block ×8, first 2 shown]
	v_mov_b32_e32 v1, 0
	s_clause 0x1
	scratch_load_b128 v[38:41], off, off offset:528
	scratch_load_b128 v[149:152], off, off offset:544
	s_mov_b32 s0, exec_lo
	ds_load_b128 v[34:37], v1 offset:1200
	ds_load_b128 v[145:148], v1 offset:1216
	s_wait_loadcnt_dscnt 0x901
	v_mul_f64_e32 v[153:154], v[36:37], v[4:5]
	v_mul_f64_e32 v[4:5], v[34:35], v[4:5]
	s_wait_loadcnt_dscnt 0x800
	v_mul_f64_e32 v[155:156], v[145:146], v[8:9]
	v_mul_f64_e32 v[8:9], v[147:148], v[8:9]
	s_delay_alu instid0(VALU_DEP_4) | instskip(NEXT) | instid1(VALU_DEP_4)
	v_fma_f64 v[153:154], v[34:35], v[2:3], -v[153:154]
	v_fma_f64 v[157:158], v[36:37], v[2:3], v[4:5]
	ds_load_b128 v[2:5], v1 offset:1232
	scratch_load_b128 v[34:37], off, off offset:560
	v_fma_f64 v[155:156], v[147:148], v[6:7], v[155:156]
	v_fma_f64 v[161:162], v[145:146], v[6:7], -v[8:9]
	ds_load_b128 v[6:9], v1 offset:1248
	scratch_load_b128 v[145:148], off, off offset:576
	s_wait_loadcnt_dscnt 0x901
	v_mul_f64_e32 v[159:160], v[2:3], v[12:13]
	v_mul_f64_e32 v[12:13], v[4:5], v[12:13]
	s_wait_loadcnt_dscnt 0x800
	v_mul_f64_e32 v[163:164], v[6:7], v[16:17]
	v_mul_f64_e32 v[16:17], v[8:9], v[16:17]
	v_add_f64_e32 v[153:154], 0, v[153:154]
	v_add_f64_e32 v[157:158], 0, v[157:158]
	v_fma_f64 v[159:160], v[4:5], v[10:11], v[159:160]
	v_fma_f64 v[165:166], v[2:3], v[10:11], -v[12:13]
	ds_load_b128 v[2:5], v1 offset:1264
	scratch_load_b128 v[10:13], off, off offset:592
	v_add_f64_e32 v[153:154], v[153:154], v[161:162]
	v_add_f64_e32 v[155:156], v[157:158], v[155:156]
	v_fma_f64 v[161:162], v[8:9], v[14:15], v[163:164]
	v_fma_f64 v[163:164], v[6:7], v[14:15], -v[16:17]
	ds_load_b128 v[6:9], v1 offset:1280
	scratch_load_b128 v[14:17], off, off offset:608
	s_wait_loadcnt_dscnt 0x901
	v_mul_f64_e32 v[157:158], v[2:3], v[20:21]
	v_mul_f64_e32 v[20:21], v[4:5], v[20:21]
	v_add_f64_e32 v[153:154], v[153:154], v[165:166]
	v_add_f64_e32 v[155:156], v[155:156], v[159:160]
	s_wait_loadcnt_dscnt 0x800
	v_mul_f64_e32 v[159:160], v[6:7], v[24:25]
	v_mul_f64_e32 v[24:25], v[8:9], v[24:25]
	v_fma_f64 v[157:158], v[4:5], v[18:19], v[157:158]
	v_fma_f64 v[165:166], v[2:3], v[18:19], -v[20:21]
	ds_load_b128 v[2:5], v1 offset:1296
	scratch_load_b128 v[18:21], off, off offset:624
	v_add_f64_e32 v[153:154], v[153:154], v[163:164]
	v_add_f64_e32 v[155:156], v[155:156], v[161:162]
	v_fma_f64 v[159:160], v[8:9], v[22:23], v[159:160]
	v_fma_f64 v[163:164], v[6:7], v[22:23], -v[24:25]
	ds_load_b128 v[6:9], v1 offset:1312
	s_wait_loadcnt_dscnt 0x801
	v_mul_f64_e32 v[161:162], v[2:3], v[28:29]
	v_mul_f64_e32 v[28:29], v[4:5], v[28:29]
	scratch_load_b128 v[22:25], off, off offset:640
	v_add_f64_e32 v[153:154], v[153:154], v[165:166]
	v_add_f64_e32 v[155:156], v[155:156], v[157:158]
	s_wait_loadcnt_dscnt 0x800
	v_mul_f64_e32 v[157:158], v[6:7], v[32:33]
	v_mul_f64_e32 v[32:33], v[8:9], v[32:33]
	v_fma_f64 v[161:162], v[4:5], v[26:27], v[161:162]
	v_fma_f64 v[165:166], v[2:3], v[26:27], -v[28:29]
	ds_load_b128 v[2:5], v1 offset:1328
	scratch_load_b128 v[26:29], off, off offset:656
	v_add_f64_e32 v[153:154], v[153:154], v[163:164]
	v_add_f64_e32 v[155:156], v[155:156], v[159:160]
	v_fma_f64 v[157:158], v[8:9], v[30:31], v[157:158]
	v_fma_f64 v[163:164], v[6:7], v[30:31], -v[32:33]
	ds_load_b128 v[6:9], v1 offset:1344
	s_wait_loadcnt_dscnt 0x801
	v_mul_f64_e32 v[159:160], v[2:3], v[40:41]
	v_mul_f64_e32 v[40:41], v[4:5], v[40:41]
	scratch_load_b128 v[30:33], off, off offset:672
	v_add_f64_e32 v[153:154], v[153:154], v[165:166]
	v_add_f64_e32 v[155:156], v[155:156], v[161:162]
	s_wait_loadcnt_dscnt 0x800
	v_mul_f64_e32 v[161:162], v[6:7], v[151:152]
	v_mul_f64_e32 v[151:152], v[8:9], v[151:152]
	v_fma_f64 v[159:160], v[4:5], v[38:39], v[159:160]
	v_fma_f64 v[165:166], v[2:3], v[38:39], -v[40:41]
	ds_load_b128 v[2:5], v1 offset:1360
	scratch_load_b128 v[38:41], off, off offset:688
	v_add_f64_e32 v[153:154], v[153:154], v[163:164]
	v_add_f64_e32 v[155:156], v[155:156], v[157:158]
	v_fma_f64 v[161:162], v[8:9], v[149:150], v[161:162]
	v_fma_f64 v[163:164], v[6:7], v[149:150], -v[151:152]
	ds_load_b128 v[6:9], v1 offset:1376
	scratch_load_b128 v[149:152], off, off offset:704
	s_wait_loadcnt_dscnt 0x901
	v_mul_f64_e32 v[157:158], v[2:3], v[36:37]
	v_mul_f64_e32 v[36:37], v[4:5], v[36:37]
	v_add_f64_e32 v[153:154], v[153:154], v[165:166]
	v_add_f64_e32 v[155:156], v[155:156], v[159:160]
	s_wait_loadcnt_dscnt 0x800
	v_mul_f64_e32 v[159:160], v[6:7], v[147:148]
	v_mul_f64_e32 v[147:148], v[8:9], v[147:148]
	v_fma_f64 v[157:158], v[4:5], v[34:35], v[157:158]
	v_fma_f64 v[165:166], v[2:3], v[34:35], -v[36:37]
	ds_load_b128 v[2:5], v1 offset:1392
	scratch_load_b128 v[34:37], off, off offset:720
	v_add_f64_e32 v[153:154], v[153:154], v[163:164]
	v_add_f64_e32 v[155:156], v[155:156], v[161:162]
	v_fma_f64 v[159:160], v[8:9], v[145:146], v[159:160]
	v_fma_f64 v[163:164], v[6:7], v[145:146], -v[147:148]
	ds_load_b128 v[6:9], v1 offset:1408
	s_wait_loadcnt_dscnt 0x801
	v_mul_f64_e32 v[161:162], v[2:3], v[12:13]
	v_mul_f64_e32 v[12:13], v[4:5], v[12:13]
	scratch_load_b128 v[145:148], off, off offset:736
	v_add_f64_e32 v[153:154], v[153:154], v[165:166]
	v_add_f64_e32 v[155:156], v[155:156], v[157:158]
	s_wait_loadcnt_dscnt 0x800
	v_mul_f64_e32 v[157:158], v[6:7], v[16:17]
	v_mul_f64_e32 v[16:17], v[8:9], v[16:17]
	v_fma_f64 v[161:162], v[4:5], v[10:11], v[161:162]
	v_fma_f64 v[165:166], v[2:3], v[10:11], -v[12:13]
	ds_load_b128 v[2:5], v1 offset:1424
	scratch_load_b128 v[10:13], off, off offset:752
	v_add_f64_e32 v[153:154], v[153:154], v[163:164]
	v_add_f64_e32 v[155:156], v[155:156], v[159:160]
	v_fma_f64 v[157:158], v[8:9], v[14:15], v[157:158]
	v_fma_f64 v[163:164], v[6:7], v[14:15], -v[16:17]
	ds_load_b128 v[6:9], v1 offset:1440
	s_wait_loadcnt_dscnt 0x801
	v_mul_f64_e32 v[159:160], v[2:3], v[20:21]
	v_mul_f64_e32 v[20:21], v[4:5], v[20:21]
	scratch_load_b128 v[14:17], off, off offset:768
	;; [unrolled: 18-line block ×3, first 2 shown]
	v_add_f64_e32 v[153:154], v[153:154], v[165:166]
	v_add_f64_e32 v[155:156], v[155:156], v[159:160]
	s_wait_loadcnt_dscnt 0x800
	v_mul_f64_e32 v[159:160], v[6:7], v[32:33]
	v_mul_f64_e32 v[32:33], v[8:9], v[32:33]
	v_fma_f64 v[157:158], v[4:5], v[26:27], v[157:158]
	v_fma_f64 v[165:166], v[2:3], v[26:27], -v[28:29]
	ds_load_b128 v[2:5], v1 offset:1488
	scratch_load_b128 v[26:29], off, off offset:816
	v_add_f64_e32 v[153:154], v[153:154], v[163:164]
	v_add_f64_e32 v[155:156], v[155:156], v[161:162]
	v_fma_f64 v[159:160], v[8:9], v[30:31], v[159:160]
	v_fma_f64 v[30:31], v[6:7], v[30:31], -v[32:33]
	ds_load_b128 v[6:9], v1 offset:1504
	s_wait_loadcnt_dscnt 0x801
	v_mul_f64_e32 v[161:162], v[2:3], v[40:41]
	v_mul_f64_e32 v[40:41], v[4:5], v[40:41]
	v_add_f64_e32 v[32:33], v[153:154], v[165:166]
	v_add_f64_e32 v[153:154], v[155:156], v[157:158]
	s_wait_loadcnt_dscnt 0x700
	v_mul_f64_e32 v[155:156], v[6:7], v[151:152]
	v_mul_f64_e32 v[151:152], v[8:9], v[151:152]
	v_fma_f64 v[157:158], v[4:5], v[38:39], v[161:162]
	v_fma_f64 v[38:39], v[2:3], v[38:39], -v[40:41]
	ds_load_b128 v[2:5], v1 offset:1520
	v_add_f64_e32 v[30:31], v[32:33], v[30:31]
	v_add_f64_e32 v[32:33], v[153:154], v[159:160]
	v_fma_f64 v[153:154], v[8:9], v[149:150], v[155:156]
	v_fma_f64 v[149:150], v[6:7], v[149:150], -v[151:152]
	ds_load_b128 v[6:9], v1 offset:1536
	s_wait_loadcnt_dscnt 0x500
	v_mul_f64_e32 v[155:156], v[6:7], v[147:148]
	v_mul_f64_e32 v[147:148], v[8:9], v[147:148]
	v_add_f64_e32 v[38:39], v[30:31], v[38:39]
	v_add_f64_e32 v[151:152], v[32:33], v[157:158]
	scratch_load_b128 v[30:33], off, off offset:384
	v_mul_f64_e32 v[40:41], v[2:3], v[36:37]
	v_mul_f64_e32 v[36:37], v[4:5], v[36:37]
	s_delay_alu instid0(VALU_DEP_2) | instskip(NEXT) | instid1(VALU_DEP_2)
	v_fma_f64 v[40:41], v[4:5], v[34:35], v[40:41]
	v_fma_f64 v[34:35], v[2:3], v[34:35], -v[36:37]
	v_add_f64_e32 v[36:37], v[38:39], v[149:150]
	v_add_f64_e32 v[38:39], v[151:152], v[153:154]
	ds_load_b128 v[2:5], v1 offset:1552
	v_fma_f64 v[151:152], v[8:9], v[145:146], v[155:156]
	v_fma_f64 v[145:146], v[6:7], v[145:146], -v[147:148]
	ds_load_b128 v[6:9], v1 offset:1568
	s_wait_loadcnt_dscnt 0x501
	v_mul_f64_e32 v[149:150], v[2:3], v[12:13]
	v_mul_f64_e32 v[12:13], v[4:5], v[12:13]
	v_add_f64_e32 v[34:35], v[36:37], v[34:35]
	v_add_f64_e32 v[36:37], v[38:39], v[40:41]
	s_wait_loadcnt_dscnt 0x400
	v_mul_f64_e32 v[38:39], v[6:7], v[16:17]
	v_mul_f64_e32 v[16:17], v[8:9], v[16:17]
	v_fma_f64 v[40:41], v[4:5], v[10:11], v[149:150]
	v_fma_f64 v[10:11], v[2:3], v[10:11], -v[12:13]
	ds_load_b128 v[2:5], v1 offset:1584
	v_add_f64_e32 v[12:13], v[34:35], v[145:146]
	v_add_f64_e32 v[34:35], v[36:37], v[151:152]
	v_fma_f64 v[38:39], v[8:9], v[14:15], v[38:39]
	v_fma_f64 v[14:15], v[6:7], v[14:15], -v[16:17]
	ds_load_b128 v[6:9], v1 offset:1600
	s_wait_loadcnt_dscnt 0x301
	v_mul_f64_e32 v[36:37], v[2:3], v[20:21]
	v_mul_f64_e32 v[20:21], v[4:5], v[20:21]
	s_wait_loadcnt_dscnt 0x200
	v_mul_f64_e32 v[16:17], v[6:7], v[24:25]
	v_mul_f64_e32 v[24:25], v[8:9], v[24:25]
	v_add_f64_e32 v[10:11], v[12:13], v[10:11]
	v_add_f64_e32 v[12:13], v[34:35], v[40:41]
	v_fma_f64 v[34:35], v[4:5], v[18:19], v[36:37]
	v_fma_f64 v[18:19], v[2:3], v[18:19], -v[20:21]
	ds_load_b128 v[2:5], v1 offset:1616
	v_fma_f64 v[8:9], v[8:9], v[22:23], v[16:17]
	v_fma_f64 v[6:7], v[6:7], v[22:23], -v[24:25]
	s_wait_loadcnt_dscnt 0x100
	v_mul_f64_e32 v[20:21], v[4:5], v[28:29]
	v_add_f64_e32 v[10:11], v[10:11], v[14:15]
	v_add_f64_e32 v[12:13], v[12:13], v[38:39]
	v_mul_f64_e32 v[14:15], v[2:3], v[28:29]
	s_delay_alu instid0(VALU_DEP_4) | instskip(NEXT) | instid1(VALU_DEP_4)
	v_fma_f64 v[2:3], v[2:3], v[26:27], -v[20:21]
	v_add_f64_e32 v[10:11], v[10:11], v[18:19]
	s_delay_alu instid0(VALU_DEP_4) | instskip(NEXT) | instid1(VALU_DEP_4)
	v_add_f64_e32 v[12:13], v[12:13], v[34:35]
	v_fma_f64 v[4:5], v[4:5], v[26:27], v[14:15]
	s_delay_alu instid0(VALU_DEP_3) | instskip(NEXT) | instid1(VALU_DEP_3)
	v_add_f64_e32 v[6:7], v[10:11], v[6:7]
	v_add_f64_e32 v[8:9], v[12:13], v[8:9]
	s_delay_alu instid0(VALU_DEP_2) | instskip(NEXT) | instid1(VALU_DEP_2)
	v_add_f64_e32 v[2:3], v[6:7], v[2:3]
	v_add_f64_e32 v[4:5], v[8:9], v[4:5]
	s_wait_loadcnt 0x0
	s_delay_alu instid0(VALU_DEP_2) | instskip(NEXT) | instid1(VALU_DEP_2)
	v_add_f64_e64 v[2:3], v[30:31], -v[2:3]
	v_add_f64_e64 v[4:5], v[32:33], -v[4:5]
	scratch_store_b128 off, v[2:5], off offset:384
	v_cmpx_lt_u32_e32 22, v0
	s_cbranch_execz .LBB114_275
; %bb.274:
	scratch_load_b128 v[5:8], off, s42
	v_dual_mov_b32 v2, v1 :: v_dual_mov_b32 v3, v1
	v_mov_b32_e32 v4, v1
	scratch_store_b128 off, v[1:4], off offset:368
	s_wait_loadcnt 0x0
	ds_store_b128 v144, v[5:8]
.LBB114_275:
	s_wait_alu 0xfffe
	s_or_b32 exec_lo, exec_lo, s0
	s_wait_storecnt_dscnt 0x0
	s_barrier_signal -1
	s_barrier_wait -1
	global_inv scope:SCOPE_SE
	s_clause 0x7
	scratch_load_b128 v[2:5], off, off offset:384
	scratch_load_b128 v[6:9], off, off offset:400
	;; [unrolled: 1-line block ×8, first 2 shown]
	ds_load_b128 v[34:37], v1 offset:1184
	ds_load_b128 v[145:148], v1 offset:1200
	s_clause 0x1
	scratch_load_b128 v[38:41], off, off offset:512
	scratch_load_b128 v[149:152], off, off offset:528
	s_mov_b32 s0, exec_lo
	s_wait_loadcnt_dscnt 0x901
	v_mul_f64_e32 v[153:154], v[36:37], v[4:5]
	v_mul_f64_e32 v[4:5], v[34:35], v[4:5]
	s_wait_loadcnt_dscnt 0x800
	v_mul_f64_e32 v[155:156], v[145:146], v[8:9]
	v_mul_f64_e32 v[8:9], v[147:148], v[8:9]
	s_delay_alu instid0(VALU_DEP_4) | instskip(NEXT) | instid1(VALU_DEP_4)
	v_fma_f64 v[153:154], v[34:35], v[2:3], -v[153:154]
	v_fma_f64 v[157:158], v[36:37], v[2:3], v[4:5]
	scratch_load_b128 v[34:37], off, off offset:544
	ds_load_b128 v[2:5], v1 offset:1216
	v_fma_f64 v[155:156], v[147:148], v[6:7], v[155:156]
	v_fma_f64 v[161:162], v[145:146], v[6:7], -v[8:9]
	ds_load_b128 v[6:9], v1 offset:1232
	scratch_load_b128 v[145:148], off, off offset:560
	s_wait_loadcnt_dscnt 0x901
	v_mul_f64_e32 v[159:160], v[2:3], v[12:13]
	v_mul_f64_e32 v[12:13], v[4:5], v[12:13]
	s_wait_loadcnt_dscnt 0x800
	v_mul_f64_e32 v[163:164], v[6:7], v[16:17]
	v_mul_f64_e32 v[16:17], v[8:9], v[16:17]
	v_add_f64_e32 v[153:154], 0, v[153:154]
	v_add_f64_e32 v[157:158], 0, v[157:158]
	v_fma_f64 v[159:160], v[4:5], v[10:11], v[159:160]
	v_fma_f64 v[165:166], v[2:3], v[10:11], -v[12:13]
	ds_load_b128 v[2:5], v1 offset:1248
	scratch_load_b128 v[10:13], off, off offset:576
	v_add_f64_e32 v[153:154], v[153:154], v[161:162]
	v_add_f64_e32 v[155:156], v[157:158], v[155:156]
	v_fma_f64 v[161:162], v[8:9], v[14:15], v[163:164]
	v_fma_f64 v[163:164], v[6:7], v[14:15], -v[16:17]
	ds_load_b128 v[6:9], v1 offset:1264
	scratch_load_b128 v[14:17], off, off offset:592
	s_wait_loadcnt_dscnt 0x901
	v_mul_f64_e32 v[157:158], v[2:3], v[20:21]
	v_mul_f64_e32 v[20:21], v[4:5], v[20:21]
	v_add_f64_e32 v[153:154], v[153:154], v[165:166]
	v_add_f64_e32 v[155:156], v[155:156], v[159:160]
	s_wait_loadcnt_dscnt 0x800
	v_mul_f64_e32 v[159:160], v[6:7], v[24:25]
	v_mul_f64_e32 v[24:25], v[8:9], v[24:25]
	v_fma_f64 v[157:158], v[4:5], v[18:19], v[157:158]
	v_fma_f64 v[165:166], v[2:3], v[18:19], -v[20:21]
	ds_load_b128 v[2:5], v1 offset:1280
	scratch_load_b128 v[18:21], off, off offset:608
	v_add_f64_e32 v[153:154], v[153:154], v[163:164]
	v_add_f64_e32 v[155:156], v[155:156], v[161:162]
	v_fma_f64 v[159:160], v[8:9], v[22:23], v[159:160]
	v_fma_f64 v[163:164], v[6:7], v[22:23], -v[24:25]
	ds_load_b128 v[6:9], v1 offset:1296
	s_wait_loadcnt_dscnt 0x801
	v_mul_f64_e32 v[161:162], v[2:3], v[28:29]
	v_mul_f64_e32 v[28:29], v[4:5], v[28:29]
	scratch_load_b128 v[22:25], off, off offset:624
	v_add_f64_e32 v[153:154], v[153:154], v[165:166]
	v_add_f64_e32 v[155:156], v[155:156], v[157:158]
	s_wait_loadcnt_dscnt 0x800
	v_mul_f64_e32 v[157:158], v[6:7], v[32:33]
	v_mul_f64_e32 v[32:33], v[8:9], v[32:33]
	v_fma_f64 v[161:162], v[4:5], v[26:27], v[161:162]
	v_fma_f64 v[165:166], v[2:3], v[26:27], -v[28:29]
	ds_load_b128 v[2:5], v1 offset:1312
	scratch_load_b128 v[26:29], off, off offset:640
	v_add_f64_e32 v[153:154], v[153:154], v[163:164]
	v_add_f64_e32 v[155:156], v[155:156], v[159:160]
	v_fma_f64 v[157:158], v[8:9], v[30:31], v[157:158]
	v_fma_f64 v[163:164], v[6:7], v[30:31], -v[32:33]
	ds_load_b128 v[6:9], v1 offset:1328
	s_wait_loadcnt_dscnt 0x801
	v_mul_f64_e32 v[159:160], v[2:3], v[40:41]
	v_mul_f64_e32 v[40:41], v[4:5], v[40:41]
	scratch_load_b128 v[30:33], off, off offset:656
	v_add_f64_e32 v[153:154], v[153:154], v[165:166]
	v_add_f64_e32 v[155:156], v[155:156], v[161:162]
	s_wait_loadcnt_dscnt 0x800
	v_mul_f64_e32 v[161:162], v[6:7], v[151:152]
	v_mul_f64_e32 v[151:152], v[8:9], v[151:152]
	v_fma_f64 v[159:160], v[4:5], v[38:39], v[159:160]
	v_fma_f64 v[165:166], v[2:3], v[38:39], -v[40:41]
	ds_load_b128 v[2:5], v1 offset:1344
	scratch_load_b128 v[38:41], off, off offset:672
	v_add_f64_e32 v[153:154], v[153:154], v[163:164]
	v_add_f64_e32 v[155:156], v[155:156], v[157:158]
	v_fma_f64 v[161:162], v[8:9], v[149:150], v[161:162]
	v_fma_f64 v[163:164], v[6:7], v[149:150], -v[151:152]
	ds_load_b128 v[6:9], v1 offset:1360
	scratch_load_b128 v[149:152], off, off offset:688
	s_wait_loadcnt_dscnt 0x901
	v_mul_f64_e32 v[157:158], v[2:3], v[36:37]
	v_mul_f64_e32 v[36:37], v[4:5], v[36:37]
	v_add_f64_e32 v[153:154], v[153:154], v[165:166]
	v_add_f64_e32 v[155:156], v[155:156], v[159:160]
	s_wait_loadcnt_dscnt 0x800
	v_mul_f64_e32 v[159:160], v[6:7], v[147:148]
	v_mul_f64_e32 v[147:148], v[8:9], v[147:148]
	v_fma_f64 v[157:158], v[4:5], v[34:35], v[157:158]
	v_fma_f64 v[165:166], v[2:3], v[34:35], -v[36:37]
	scratch_load_b128 v[34:37], off, off offset:704
	ds_load_b128 v[2:5], v1 offset:1376
	v_add_f64_e32 v[153:154], v[153:154], v[163:164]
	v_add_f64_e32 v[155:156], v[155:156], v[161:162]
	v_fma_f64 v[159:160], v[8:9], v[145:146], v[159:160]
	v_fma_f64 v[163:164], v[6:7], v[145:146], -v[147:148]
	ds_load_b128 v[6:9], v1 offset:1392
	s_wait_loadcnt_dscnt 0x801
	v_mul_f64_e32 v[161:162], v[2:3], v[12:13]
	v_mul_f64_e32 v[12:13], v[4:5], v[12:13]
	scratch_load_b128 v[145:148], off, off offset:720
	v_add_f64_e32 v[153:154], v[153:154], v[165:166]
	v_add_f64_e32 v[155:156], v[155:156], v[157:158]
	s_wait_loadcnt_dscnt 0x800
	v_mul_f64_e32 v[157:158], v[6:7], v[16:17]
	v_mul_f64_e32 v[16:17], v[8:9], v[16:17]
	v_fma_f64 v[161:162], v[4:5], v[10:11], v[161:162]
	v_fma_f64 v[165:166], v[2:3], v[10:11], -v[12:13]
	ds_load_b128 v[2:5], v1 offset:1408
	scratch_load_b128 v[10:13], off, off offset:736
	v_add_f64_e32 v[153:154], v[153:154], v[163:164]
	v_add_f64_e32 v[155:156], v[155:156], v[159:160]
	v_fma_f64 v[157:158], v[8:9], v[14:15], v[157:158]
	v_fma_f64 v[163:164], v[6:7], v[14:15], -v[16:17]
	ds_load_b128 v[6:9], v1 offset:1424
	s_wait_loadcnt_dscnt 0x801
	v_mul_f64_e32 v[159:160], v[2:3], v[20:21]
	v_mul_f64_e32 v[20:21], v[4:5], v[20:21]
	scratch_load_b128 v[14:17], off, off offset:752
	v_add_f64_e32 v[153:154], v[153:154], v[165:166]
	v_add_f64_e32 v[155:156], v[155:156], v[161:162]
	s_wait_loadcnt_dscnt 0x800
	v_mul_f64_e32 v[161:162], v[6:7], v[24:25]
	v_mul_f64_e32 v[24:25], v[8:9], v[24:25]
	v_fma_f64 v[159:160], v[4:5], v[18:19], v[159:160]
	v_fma_f64 v[165:166], v[2:3], v[18:19], -v[20:21]
	ds_load_b128 v[2:5], v1 offset:1440
	scratch_load_b128 v[18:21], off, off offset:768
	;; [unrolled: 18-line block ×3, first 2 shown]
	v_add_f64_e32 v[153:154], v[153:154], v[163:164]
	v_add_f64_e32 v[155:156], v[155:156], v[161:162]
	v_fma_f64 v[159:160], v[8:9], v[30:31], v[159:160]
	v_fma_f64 v[163:164], v[6:7], v[30:31], -v[32:33]
	ds_load_b128 v[6:9], v1 offset:1488
	s_wait_loadcnt_dscnt 0x801
	v_mul_f64_e32 v[161:162], v[2:3], v[40:41]
	v_mul_f64_e32 v[40:41], v[4:5], v[40:41]
	scratch_load_b128 v[30:33], off, off offset:816
	v_add_f64_e32 v[153:154], v[153:154], v[165:166]
	v_add_f64_e32 v[155:156], v[155:156], v[157:158]
	v_fma_f64 v[161:162], v[4:5], v[38:39], v[161:162]
	v_fma_f64 v[38:39], v[2:3], v[38:39], -v[40:41]
	ds_load_b128 v[2:5], v1 offset:1504
	v_add_f64_e32 v[40:41], v[153:154], v[163:164]
	v_add_f64_e32 v[153:154], v[155:156], v[159:160]
	s_wait_loadcnt_dscnt 0x700
	v_mul_f64_e32 v[155:156], v[2:3], v[36:37]
	v_mul_f64_e32 v[36:37], v[4:5], v[36:37]
	s_delay_alu instid0(VALU_DEP_4) | instskip(NEXT) | instid1(VALU_DEP_4)
	v_add_f64_e32 v[38:39], v[40:41], v[38:39]
	v_add_f64_e32 v[40:41], v[153:154], v[161:162]
	s_delay_alu instid0(VALU_DEP_4) | instskip(NEXT) | instid1(VALU_DEP_4)
	v_fma_f64 v[153:154], v[4:5], v[34:35], v[155:156]
	v_fma_f64 v[155:156], v[2:3], v[34:35], -v[36:37]
	scratch_load_b128 v[34:37], off, off offset:368
	v_mul_f64_e32 v[157:158], v[6:7], v[151:152]
	v_mul_f64_e32 v[151:152], v[8:9], v[151:152]
	ds_load_b128 v[2:5], v1 offset:1536
	v_fma_f64 v[157:158], v[8:9], v[149:150], v[157:158]
	v_fma_f64 v[149:150], v[6:7], v[149:150], -v[151:152]
	ds_load_b128 v[6:9], v1 offset:1520
	s_wait_loadcnt_dscnt 0x700
	v_mul_f64_e32 v[151:152], v[6:7], v[147:148]
	v_mul_f64_e32 v[147:148], v[8:9], v[147:148]
	v_add_f64_e32 v[40:41], v[40:41], v[157:158]
	v_add_f64_e32 v[38:39], v[38:39], v[149:150]
	s_wait_loadcnt 0x6
	v_mul_f64_e32 v[149:150], v[2:3], v[12:13]
	v_mul_f64_e32 v[12:13], v[4:5], v[12:13]
	v_fma_f64 v[151:152], v[8:9], v[145:146], v[151:152]
	v_fma_f64 v[145:146], v[6:7], v[145:146], -v[147:148]
	ds_load_b128 v[6:9], v1 offset:1552
	v_add_f64_e32 v[40:41], v[40:41], v[153:154]
	v_add_f64_e32 v[38:39], v[38:39], v[155:156]
	v_fma_f64 v[149:150], v[4:5], v[10:11], v[149:150]
	v_fma_f64 v[10:11], v[2:3], v[10:11], -v[12:13]
	ds_load_b128 v[2:5], v1 offset:1568
	s_wait_loadcnt_dscnt 0x501
	v_mul_f64_e32 v[147:148], v[6:7], v[16:17]
	v_mul_f64_e32 v[16:17], v[8:9], v[16:17]
	v_add_f64_e32 v[12:13], v[38:39], v[145:146]
	v_add_f64_e32 v[38:39], v[40:41], v[151:152]
	s_wait_loadcnt_dscnt 0x400
	v_mul_f64_e32 v[40:41], v[2:3], v[20:21]
	v_mul_f64_e32 v[20:21], v[4:5], v[20:21]
	v_fma_f64 v[145:146], v[8:9], v[14:15], v[147:148]
	v_fma_f64 v[14:15], v[6:7], v[14:15], -v[16:17]
	ds_load_b128 v[6:9], v1 offset:1584
	v_add_f64_e32 v[10:11], v[12:13], v[10:11]
	v_add_f64_e32 v[12:13], v[38:39], v[149:150]
	v_fma_f64 v[38:39], v[4:5], v[18:19], v[40:41]
	v_fma_f64 v[18:19], v[2:3], v[18:19], -v[20:21]
	ds_load_b128 v[2:5], v1 offset:1600
	s_wait_loadcnt_dscnt 0x301
	v_mul_f64_e32 v[16:17], v[6:7], v[24:25]
	v_mul_f64_e32 v[24:25], v[8:9], v[24:25]
	s_wait_loadcnt_dscnt 0x200
	v_mul_f64_e32 v[20:21], v[4:5], v[28:29]
	v_add_f64_e32 v[10:11], v[10:11], v[14:15]
	v_add_f64_e32 v[12:13], v[12:13], v[145:146]
	v_mul_f64_e32 v[14:15], v[2:3], v[28:29]
	v_fma_f64 v[16:17], v[8:9], v[22:23], v[16:17]
	v_fma_f64 v[22:23], v[6:7], v[22:23], -v[24:25]
	ds_load_b128 v[6:9], v1 offset:1616
	v_fma_f64 v[1:2], v[2:3], v[26:27], -v[20:21]
	s_wait_loadcnt_dscnt 0x100
	v_mul_f64_e32 v[24:25], v[8:9], v[32:33]
	v_add_f64_e32 v[10:11], v[10:11], v[18:19]
	v_add_f64_e32 v[12:13], v[12:13], v[38:39]
	v_mul_f64_e32 v[18:19], v[6:7], v[32:33]
	v_fma_f64 v[4:5], v[4:5], v[26:27], v[14:15]
	v_fma_f64 v[6:7], v[6:7], v[30:31], -v[24:25]
	v_add_f64_e32 v[10:11], v[10:11], v[22:23]
	v_add_f64_e32 v[12:13], v[12:13], v[16:17]
	v_fma_f64 v[8:9], v[8:9], v[30:31], v[18:19]
	s_delay_alu instid0(VALU_DEP_3) | instskip(NEXT) | instid1(VALU_DEP_3)
	v_add_f64_e32 v[1:2], v[10:11], v[1:2]
	v_add_f64_e32 v[3:4], v[12:13], v[4:5]
	s_delay_alu instid0(VALU_DEP_2) | instskip(NEXT) | instid1(VALU_DEP_2)
	v_add_f64_e32 v[1:2], v[1:2], v[6:7]
	v_add_f64_e32 v[3:4], v[3:4], v[8:9]
	s_wait_loadcnt 0x0
	s_delay_alu instid0(VALU_DEP_2) | instskip(NEXT) | instid1(VALU_DEP_2)
	v_add_f64_e64 v[1:2], v[34:35], -v[1:2]
	v_add_f64_e64 v[3:4], v[36:37], -v[3:4]
	scratch_store_b128 off, v[1:4], off offset:368
	v_cmpx_lt_u32_e32 21, v0
	s_cbranch_execz .LBB114_277
; %bb.276:
	scratch_load_b128 v[1:4], off, s43
	v_mov_b32_e32 v5, 0
	s_delay_alu instid0(VALU_DEP_1)
	v_dual_mov_b32 v6, v5 :: v_dual_mov_b32 v7, v5
	v_mov_b32_e32 v8, v5
	scratch_store_b128 off, v[5:8], off offset:352
	s_wait_loadcnt 0x0
	ds_store_b128 v144, v[1:4]
.LBB114_277:
	s_wait_alu 0xfffe
	s_or_b32 exec_lo, exec_lo, s0
	s_wait_storecnt_dscnt 0x0
	s_barrier_signal -1
	s_barrier_wait -1
	global_inv scope:SCOPE_SE
	s_clause 0x7
	scratch_load_b128 v[2:5], off, off offset:368
	scratch_load_b128 v[6:9], off, off offset:384
	;; [unrolled: 1-line block ×8, first 2 shown]
	v_mov_b32_e32 v1, 0
	s_clause 0x1
	scratch_load_b128 v[38:41], off, off offset:496
	scratch_load_b128 v[149:152], off, off offset:512
	s_mov_b32 s0, exec_lo
	ds_load_b128 v[34:37], v1 offset:1168
	ds_load_b128 v[145:148], v1 offset:1184
	s_wait_loadcnt_dscnt 0x901
	v_mul_f64_e32 v[153:154], v[36:37], v[4:5]
	v_mul_f64_e32 v[4:5], v[34:35], v[4:5]
	s_wait_loadcnt_dscnt 0x800
	v_mul_f64_e32 v[155:156], v[145:146], v[8:9]
	v_mul_f64_e32 v[8:9], v[147:148], v[8:9]
	s_delay_alu instid0(VALU_DEP_4) | instskip(NEXT) | instid1(VALU_DEP_4)
	v_fma_f64 v[153:154], v[34:35], v[2:3], -v[153:154]
	v_fma_f64 v[157:158], v[36:37], v[2:3], v[4:5]
	ds_load_b128 v[2:5], v1 offset:1200
	scratch_load_b128 v[34:37], off, off offset:528
	v_fma_f64 v[155:156], v[147:148], v[6:7], v[155:156]
	v_fma_f64 v[161:162], v[145:146], v[6:7], -v[8:9]
	ds_load_b128 v[6:9], v1 offset:1216
	scratch_load_b128 v[145:148], off, off offset:544
	s_wait_loadcnt_dscnt 0x901
	v_mul_f64_e32 v[159:160], v[2:3], v[12:13]
	v_mul_f64_e32 v[12:13], v[4:5], v[12:13]
	s_wait_loadcnt_dscnt 0x800
	v_mul_f64_e32 v[163:164], v[6:7], v[16:17]
	v_mul_f64_e32 v[16:17], v[8:9], v[16:17]
	v_add_f64_e32 v[153:154], 0, v[153:154]
	v_add_f64_e32 v[157:158], 0, v[157:158]
	v_fma_f64 v[159:160], v[4:5], v[10:11], v[159:160]
	v_fma_f64 v[165:166], v[2:3], v[10:11], -v[12:13]
	ds_load_b128 v[2:5], v1 offset:1232
	scratch_load_b128 v[10:13], off, off offset:560
	v_add_f64_e32 v[153:154], v[153:154], v[161:162]
	v_add_f64_e32 v[155:156], v[157:158], v[155:156]
	v_fma_f64 v[161:162], v[8:9], v[14:15], v[163:164]
	v_fma_f64 v[163:164], v[6:7], v[14:15], -v[16:17]
	ds_load_b128 v[6:9], v1 offset:1248
	scratch_load_b128 v[14:17], off, off offset:576
	s_wait_loadcnt_dscnt 0x901
	v_mul_f64_e32 v[157:158], v[2:3], v[20:21]
	v_mul_f64_e32 v[20:21], v[4:5], v[20:21]
	v_add_f64_e32 v[153:154], v[153:154], v[165:166]
	v_add_f64_e32 v[155:156], v[155:156], v[159:160]
	s_wait_loadcnt_dscnt 0x800
	v_mul_f64_e32 v[159:160], v[6:7], v[24:25]
	v_mul_f64_e32 v[24:25], v[8:9], v[24:25]
	v_fma_f64 v[157:158], v[4:5], v[18:19], v[157:158]
	v_fma_f64 v[165:166], v[2:3], v[18:19], -v[20:21]
	ds_load_b128 v[2:5], v1 offset:1264
	scratch_load_b128 v[18:21], off, off offset:592
	v_add_f64_e32 v[153:154], v[153:154], v[163:164]
	v_add_f64_e32 v[155:156], v[155:156], v[161:162]
	v_fma_f64 v[159:160], v[8:9], v[22:23], v[159:160]
	v_fma_f64 v[163:164], v[6:7], v[22:23], -v[24:25]
	ds_load_b128 v[6:9], v1 offset:1280
	s_wait_loadcnt_dscnt 0x801
	v_mul_f64_e32 v[161:162], v[2:3], v[28:29]
	v_mul_f64_e32 v[28:29], v[4:5], v[28:29]
	scratch_load_b128 v[22:25], off, off offset:608
	v_add_f64_e32 v[153:154], v[153:154], v[165:166]
	v_add_f64_e32 v[155:156], v[155:156], v[157:158]
	s_wait_loadcnt_dscnt 0x800
	v_mul_f64_e32 v[157:158], v[6:7], v[32:33]
	v_mul_f64_e32 v[32:33], v[8:9], v[32:33]
	v_fma_f64 v[161:162], v[4:5], v[26:27], v[161:162]
	v_fma_f64 v[165:166], v[2:3], v[26:27], -v[28:29]
	ds_load_b128 v[2:5], v1 offset:1296
	scratch_load_b128 v[26:29], off, off offset:624
	v_add_f64_e32 v[153:154], v[153:154], v[163:164]
	v_add_f64_e32 v[155:156], v[155:156], v[159:160]
	v_fma_f64 v[157:158], v[8:9], v[30:31], v[157:158]
	v_fma_f64 v[163:164], v[6:7], v[30:31], -v[32:33]
	ds_load_b128 v[6:9], v1 offset:1312
	s_wait_loadcnt_dscnt 0x801
	v_mul_f64_e32 v[159:160], v[2:3], v[40:41]
	v_mul_f64_e32 v[40:41], v[4:5], v[40:41]
	scratch_load_b128 v[30:33], off, off offset:640
	v_add_f64_e32 v[153:154], v[153:154], v[165:166]
	v_add_f64_e32 v[155:156], v[155:156], v[161:162]
	s_wait_loadcnt_dscnt 0x800
	v_mul_f64_e32 v[161:162], v[6:7], v[151:152]
	v_mul_f64_e32 v[151:152], v[8:9], v[151:152]
	v_fma_f64 v[159:160], v[4:5], v[38:39], v[159:160]
	v_fma_f64 v[165:166], v[2:3], v[38:39], -v[40:41]
	ds_load_b128 v[2:5], v1 offset:1328
	scratch_load_b128 v[38:41], off, off offset:656
	v_add_f64_e32 v[153:154], v[153:154], v[163:164]
	v_add_f64_e32 v[155:156], v[155:156], v[157:158]
	v_fma_f64 v[161:162], v[8:9], v[149:150], v[161:162]
	v_fma_f64 v[163:164], v[6:7], v[149:150], -v[151:152]
	ds_load_b128 v[6:9], v1 offset:1344
	scratch_load_b128 v[149:152], off, off offset:672
	s_wait_loadcnt_dscnt 0x901
	v_mul_f64_e32 v[157:158], v[2:3], v[36:37]
	v_mul_f64_e32 v[36:37], v[4:5], v[36:37]
	v_add_f64_e32 v[153:154], v[153:154], v[165:166]
	v_add_f64_e32 v[155:156], v[155:156], v[159:160]
	s_wait_loadcnt_dscnt 0x800
	v_mul_f64_e32 v[159:160], v[6:7], v[147:148]
	v_mul_f64_e32 v[147:148], v[8:9], v[147:148]
	v_fma_f64 v[157:158], v[4:5], v[34:35], v[157:158]
	v_fma_f64 v[165:166], v[2:3], v[34:35], -v[36:37]
	ds_load_b128 v[2:5], v1 offset:1360
	scratch_load_b128 v[34:37], off, off offset:688
	v_add_f64_e32 v[153:154], v[153:154], v[163:164]
	v_add_f64_e32 v[155:156], v[155:156], v[161:162]
	v_fma_f64 v[159:160], v[8:9], v[145:146], v[159:160]
	v_fma_f64 v[163:164], v[6:7], v[145:146], -v[147:148]
	ds_load_b128 v[6:9], v1 offset:1376
	s_wait_loadcnt_dscnt 0x801
	v_mul_f64_e32 v[161:162], v[2:3], v[12:13]
	v_mul_f64_e32 v[12:13], v[4:5], v[12:13]
	scratch_load_b128 v[145:148], off, off offset:704
	v_add_f64_e32 v[153:154], v[153:154], v[165:166]
	v_add_f64_e32 v[155:156], v[155:156], v[157:158]
	s_wait_loadcnt_dscnt 0x800
	v_mul_f64_e32 v[157:158], v[6:7], v[16:17]
	v_mul_f64_e32 v[16:17], v[8:9], v[16:17]
	v_fma_f64 v[161:162], v[4:5], v[10:11], v[161:162]
	v_fma_f64 v[165:166], v[2:3], v[10:11], -v[12:13]
	ds_load_b128 v[2:5], v1 offset:1392
	scratch_load_b128 v[10:13], off, off offset:720
	v_add_f64_e32 v[153:154], v[153:154], v[163:164]
	v_add_f64_e32 v[155:156], v[155:156], v[159:160]
	v_fma_f64 v[157:158], v[8:9], v[14:15], v[157:158]
	v_fma_f64 v[163:164], v[6:7], v[14:15], -v[16:17]
	ds_load_b128 v[6:9], v1 offset:1408
	s_wait_loadcnt_dscnt 0x801
	v_mul_f64_e32 v[159:160], v[2:3], v[20:21]
	v_mul_f64_e32 v[20:21], v[4:5], v[20:21]
	scratch_load_b128 v[14:17], off, off offset:736
	;; [unrolled: 18-line block ×4, first 2 shown]
	v_add_f64_e32 v[153:154], v[153:154], v[165:166]
	v_add_f64_e32 v[155:156], v[155:156], v[157:158]
	s_wait_loadcnt_dscnt 0x800
	v_mul_f64_e32 v[157:158], v[6:7], v[151:152]
	v_mul_f64_e32 v[151:152], v[8:9], v[151:152]
	v_fma_f64 v[161:162], v[4:5], v[38:39], v[161:162]
	v_fma_f64 v[165:166], v[2:3], v[38:39], -v[40:41]
	ds_load_b128 v[2:5], v1 offset:1488
	scratch_load_b128 v[38:41], off, off offset:816
	v_add_f64_e32 v[153:154], v[153:154], v[163:164]
	v_add_f64_e32 v[155:156], v[155:156], v[159:160]
	v_fma_f64 v[157:158], v[8:9], v[149:150], v[157:158]
	v_fma_f64 v[149:150], v[6:7], v[149:150], -v[151:152]
	ds_load_b128 v[6:9], v1 offset:1504
	s_wait_loadcnt_dscnt 0x801
	v_mul_f64_e32 v[159:160], v[2:3], v[36:37]
	v_mul_f64_e32 v[36:37], v[4:5], v[36:37]
	v_add_f64_e32 v[151:152], v[153:154], v[165:166]
	v_add_f64_e32 v[153:154], v[155:156], v[161:162]
	s_wait_loadcnt_dscnt 0x700
	v_mul_f64_e32 v[155:156], v[6:7], v[147:148]
	v_mul_f64_e32 v[147:148], v[8:9], v[147:148]
	v_fma_f64 v[159:160], v[4:5], v[34:35], v[159:160]
	v_fma_f64 v[34:35], v[2:3], v[34:35], -v[36:37]
	ds_load_b128 v[2:5], v1 offset:1520
	v_add_f64_e32 v[36:37], v[151:152], v[149:150]
	v_add_f64_e32 v[149:150], v[153:154], v[157:158]
	v_fma_f64 v[153:154], v[8:9], v[145:146], v[155:156]
	v_fma_f64 v[145:146], v[6:7], v[145:146], -v[147:148]
	ds_load_b128 v[6:9], v1 offset:1536
	s_wait_loadcnt_dscnt 0x500
	v_mul_f64_e32 v[155:156], v[6:7], v[16:17]
	v_mul_f64_e32 v[16:17], v[8:9], v[16:17]
	v_add_f64_e32 v[147:148], v[36:37], v[34:35]
	v_add_f64_e32 v[149:150], v[149:150], v[159:160]
	scratch_load_b128 v[34:37], off, off offset:352
	v_mul_f64_e32 v[151:152], v[2:3], v[12:13]
	v_mul_f64_e32 v[12:13], v[4:5], v[12:13]
	s_delay_alu instid0(VALU_DEP_2) | instskip(NEXT) | instid1(VALU_DEP_2)
	v_fma_f64 v[151:152], v[4:5], v[10:11], v[151:152]
	v_fma_f64 v[10:11], v[2:3], v[10:11], -v[12:13]
	v_add_f64_e32 v[12:13], v[147:148], v[145:146]
	v_add_f64_e32 v[145:146], v[149:150], v[153:154]
	ds_load_b128 v[2:5], v1 offset:1552
	v_fma_f64 v[149:150], v[8:9], v[14:15], v[155:156]
	v_fma_f64 v[14:15], v[6:7], v[14:15], -v[16:17]
	ds_load_b128 v[6:9], v1 offset:1568
	s_wait_loadcnt_dscnt 0x501
	v_mul_f64_e32 v[147:148], v[2:3], v[20:21]
	v_mul_f64_e32 v[20:21], v[4:5], v[20:21]
	s_wait_loadcnt_dscnt 0x400
	v_mul_f64_e32 v[16:17], v[6:7], v[24:25]
	v_mul_f64_e32 v[24:25], v[8:9], v[24:25]
	v_add_f64_e32 v[10:11], v[12:13], v[10:11]
	v_add_f64_e32 v[12:13], v[145:146], v[151:152]
	v_fma_f64 v[145:146], v[4:5], v[18:19], v[147:148]
	v_fma_f64 v[18:19], v[2:3], v[18:19], -v[20:21]
	ds_load_b128 v[2:5], v1 offset:1584
	v_fma_f64 v[16:17], v[8:9], v[22:23], v[16:17]
	v_fma_f64 v[22:23], v[6:7], v[22:23], -v[24:25]
	ds_load_b128 v[6:9], v1 offset:1600
	v_add_f64_e32 v[10:11], v[10:11], v[14:15]
	v_add_f64_e32 v[12:13], v[12:13], v[149:150]
	s_wait_loadcnt_dscnt 0x301
	v_mul_f64_e32 v[14:15], v[2:3], v[28:29]
	v_mul_f64_e32 v[20:21], v[4:5], v[28:29]
	s_wait_loadcnt_dscnt 0x200
	v_mul_f64_e32 v[24:25], v[8:9], v[32:33]
	v_add_f64_e32 v[10:11], v[10:11], v[18:19]
	v_add_f64_e32 v[12:13], v[12:13], v[145:146]
	v_mul_f64_e32 v[18:19], v[6:7], v[32:33]
	v_fma_f64 v[14:15], v[4:5], v[26:27], v[14:15]
	v_fma_f64 v[20:21], v[2:3], v[26:27], -v[20:21]
	ds_load_b128 v[2:5], v1 offset:1616
	v_fma_f64 v[6:7], v[6:7], v[30:31], -v[24:25]
	v_add_f64_e32 v[10:11], v[10:11], v[22:23]
	v_add_f64_e32 v[12:13], v[12:13], v[16:17]
	s_wait_loadcnt_dscnt 0x100
	v_mul_f64_e32 v[16:17], v[2:3], v[40:41]
	v_mul_f64_e32 v[22:23], v[4:5], v[40:41]
	v_fma_f64 v[8:9], v[8:9], v[30:31], v[18:19]
	v_add_f64_e32 v[10:11], v[10:11], v[20:21]
	v_add_f64_e32 v[12:13], v[12:13], v[14:15]
	v_fma_f64 v[4:5], v[4:5], v[38:39], v[16:17]
	v_fma_f64 v[2:3], v[2:3], v[38:39], -v[22:23]
	s_delay_alu instid0(VALU_DEP_4) | instskip(NEXT) | instid1(VALU_DEP_4)
	v_add_f64_e32 v[6:7], v[10:11], v[6:7]
	v_add_f64_e32 v[8:9], v[12:13], v[8:9]
	s_delay_alu instid0(VALU_DEP_2) | instskip(NEXT) | instid1(VALU_DEP_2)
	v_add_f64_e32 v[2:3], v[6:7], v[2:3]
	v_add_f64_e32 v[4:5], v[8:9], v[4:5]
	s_wait_loadcnt 0x0
	s_delay_alu instid0(VALU_DEP_2) | instskip(NEXT) | instid1(VALU_DEP_2)
	v_add_f64_e64 v[2:3], v[34:35], -v[2:3]
	v_add_f64_e64 v[4:5], v[36:37], -v[4:5]
	scratch_store_b128 off, v[2:5], off offset:352
	v_cmpx_lt_u32_e32 20, v0
	s_cbranch_execz .LBB114_279
; %bb.278:
	scratch_load_b128 v[5:8], off, s44
	v_dual_mov_b32 v2, v1 :: v_dual_mov_b32 v3, v1
	v_mov_b32_e32 v4, v1
	scratch_store_b128 off, v[1:4], off offset:336
	s_wait_loadcnt 0x0
	ds_store_b128 v144, v[5:8]
.LBB114_279:
	s_wait_alu 0xfffe
	s_or_b32 exec_lo, exec_lo, s0
	s_wait_storecnt_dscnt 0x0
	s_barrier_signal -1
	s_barrier_wait -1
	global_inv scope:SCOPE_SE
	s_clause 0x7
	scratch_load_b128 v[2:5], off, off offset:352
	scratch_load_b128 v[6:9], off, off offset:368
	;; [unrolled: 1-line block ×8, first 2 shown]
	ds_load_b128 v[34:37], v1 offset:1152
	ds_load_b128 v[145:148], v1 offset:1168
	s_clause 0x1
	scratch_load_b128 v[38:41], off, off offset:480
	scratch_load_b128 v[149:152], off, off offset:496
	s_mov_b32 s0, exec_lo
	s_wait_loadcnt_dscnt 0x901
	v_mul_f64_e32 v[153:154], v[36:37], v[4:5]
	v_mul_f64_e32 v[4:5], v[34:35], v[4:5]
	s_wait_loadcnt_dscnt 0x800
	v_mul_f64_e32 v[155:156], v[145:146], v[8:9]
	v_mul_f64_e32 v[8:9], v[147:148], v[8:9]
	s_delay_alu instid0(VALU_DEP_4) | instskip(NEXT) | instid1(VALU_DEP_4)
	v_fma_f64 v[153:154], v[34:35], v[2:3], -v[153:154]
	v_fma_f64 v[157:158], v[36:37], v[2:3], v[4:5]
	ds_load_b128 v[2:5], v1 offset:1184
	scratch_load_b128 v[34:37], off, off offset:512
	v_fma_f64 v[155:156], v[147:148], v[6:7], v[155:156]
	v_fma_f64 v[161:162], v[145:146], v[6:7], -v[8:9]
	ds_load_b128 v[6:9], v1 offset:1200
	scratch_load_b128 v[145:148], off, off offset:528
	s_wait_loadcnt_dscnt 0x901
	v_mul_f64_e32 v[159:160], v[2:3], v[12:13]
	v_mul_f64_e32 v[12:13], v[4:5], v[12:13]
	s_wait_loadcnt_dscnt 0x800
	v_mul_f64_e32 v[163:164], v[6:7], v[16:17]
	v_mul_f64_e32 v[16:17], v[8:9], v[16:17]
	v_add_f64_e32 v[153:154], 0, v[153:154]
	v_add_f64_e32 v[157:158], 0, v[157:158]
	v_fma_f64 v[159:160], v[4:5], v[10:11], v[159:160]
	v_fma_f64 v[165:166], v[2:3], v[10:11], -v[12:13]
	scratch_load_b128 v[10:13], off, off offset:544
	ds_load_b128 v[2:5], v1 offset:1216
	v_add_f64_e32 v[153:154], v[153:154], v[161:162]
	v_add_f64_e32 v[155:156], v[157:158], v[155:156]
	v_fma_f64 v[161:162], v[8:9], v[14:15], v[163:164]
	v_fma_f64 v[163:164], v[6:7], v[14:15], -v[16:17]
	ds_load_b128 v[6:9], v1 offset:1232
	scratch_load_b128 v[14:17], off, off offset:560
	s_wait_loadcnt_dscnt 0x901
	v_mul_f64_e32 v[157:158], v[2:3], v[20:21]
	v_mul_f64_e32 v[20:21], v[4:5], v[20:21]
	v_add_f64_e32 v[153:154], v[153:154], v[165:166]
	v_add_f64_e32 v[155:156], v[155:156], v[159:160]
	s_wait_loadcnt_dscnt 0x800
	v_mul_f64_e32 v[159:160], v[6:7], v[24:25]
	v_mul_f64_e32 v[24:25], v[8:9], v[24:25]
	v_fma_f64 v[157:158], v[4:5], v[18:19], v[157:158]
	v_fma_f64 v[165:166], v[2:3], v[18:19], -v[20:21]
	ds_load_b128 v[2:5], v1 offset:1248
	scratch_load_b128 v[18:21], off, off offset:576
	v_add_f64_e32 v[153:154], v[153:154], v[163:164]
	v_add_f64_e32 v[155:156], v[155:156], v[161:162]
	v_fma_f64 v[159:160], v[8:9], v[22:23], v[159:160]
	v_fma_f64 v[163:164], v[6:7], v[22:23], -v[24:25]
	ds_load_b128 v[6:9], v1 offset:1264
	s_wait_loadcnt_dscnt 0x801
	v_mul_f64_e32 v[161:162], v[2:3], v[28:29]
	v_mul_f64_e32 v[28:29], v[4:5], v[28:29]
	scratch_load_b128 v[22:25], off, off offset:592
	v_add_f64_e32 v[153:154], v[153:154], v[165:166]
	v_add_f64_e32 v[155:156], v[155:156], v[157:158]
	s_wait_loadcnt_dscnt 0x800
	v_mul_f64_e32 v[157:158], v[6:7], v[32:33]
	v_mul_f64_e32 v[32:33], v[8:9], v[32:33]
	v_fma_f64 v[161:162], v[4:5], v[26:27], v[161:162]
	v_fma_f64 v[165:166], v[2:3], v[26:27], -v[28:29]
	ds_load_b128 v[2:5], v1 offset:1280
	scratch_load_b128 v[26:29], off, off offset:608
	v_add_f64_e32 v[153:154], v[153:154], v[163:164]
	v_add_f64_e32 v[155:156], v[155:156], v[159:160]
	v_fma_f64 v[157:158], v[8:9], v[30:31], v[157:158]
	v_fma_f64 v[163:164], v[6:7], v[30:31], -v[32:33]
	ds_load_b128 v[6:9], v1 offset:1296
	s_wait_loadcnt_dscnt 0x801
	v_mul_f64_e32 v[159:160], v[2:3], v[40:41]
	v_mul_f64_e32 v[40:41], v[4:5], v[40:41]
	scratch_load_b128 v[30:33], off, off offset:624
	v_add_f64_e32 v[153:154], v[153:154], v[165:166]
	v_add_f64_e32 v[155:156], v[155:156], v[161:162]
	s_wait_loadcnt_dscnt 0x800
	v_mul_f64_e32 v[161:162], v[6:7], v[151:152]
	v_mul_f64_e32 v[151:152], v[8:9], v[151:152]
	v_fma_f64 v[159:160], v[4:5], v[38:39], v[159:160]
	v_fma_f64 v[165:166], v[2:3], v[38:39], -v[40:41]
	ds_load_b128 v[2:5], v1 offset:1312
	scratch_load_b128 v[38:41], off, off offset:640
	v_add_f64_e32 v[153:154], v[153:154], v[163:164]
	v_add_f64_e32 v[155:156], v[155:156], v[157:158]
	v_fma_f64 v[161:162], v[8:9], v[149:150], v[161:162]
	v_fma_f64 v[163:164], v[6:7], v[149:150], -v[151:152]
	ds_load_b128 v[6:9], v1 offset:1328
	scratch_load_b128 v[149:152], off, off offset:656
	s_wait_loadcnt_dscnt 0x901
	v_mul_f64_e32 v[157:158], v[2:3], v[36:37]
	v_mul_f64_e32 v[36:37], v[4:5], v[36:37]
	v_add_f64_e32 v[153:154], v[153:154], v[165:166]
	v_add_f64_e32 v[155:156], v[155:156], v[159:160]
	s_wait_loadcnt_dscnt 0x800
	v_mul_f64_e32 v[159:160], v[6:7], v[147:148]
	v_mul_f64_e32 v[147:148], v[8:9], v[147:148]
	v_fma_f64 v[157:158], v[4:5], v[34:35], v[157:158]
	v_fma_f64 v[165:166], v[2:3], v[34:35], -v[36:37]
	ds_load_b128 v[2:5], v1 offset:1344
	scratch_load_b128 v[34:37], off, off offset:672
	v_add_f64_e32 v[153:154], v[153:154], v[163:164]
	v_add_f64_e32 v[155:156], v[155:156], v[161:162]
	v_fma_f64 v[159:160], v[8:9], v[145:146], v[159:160]
	v_fma_f64 v[163:164], v[6:7], v[145:146], -v[147:148]
	ds_load_b128 v[6:9], v1 offset:1360
	s_wait_loadcnt_dscnt 0x801
	v_mul_f64_e32 v[161:162], v[2:3], v[12:13]
	v_mul_f64_e32 v[12:13], v[4:5], v[12:13]
	scratch_load_b128 v[145:148], off, off offset:688
	v_add_f64_e32 v[153:154], v[153:154], v[165:166]
	v_add_f64_e32 v[155:156], v[155:156], v[157:158]
	s_wait_loadcnt_dscnt 0x800
	v_mul_f64_e32 v[157:158], v[6:7], v[16:17]
	v_mul_f64_e32 v[16:17], v[8:9], v[16:17]
	v_fma_f64 v[161:162], v[4:5], v[10:11], v[161:162]
	v_fma_f64 v[165:166], v[2:3], v[10:11], -v[12:13]
	scratch_load_b128 v[10:13], off, off offset:704
	ds_load_b128 v[2:5], v1 offset:1376
	v_add_f64_e32 v[153:154], v[153:154], v[163:164]
	v_add_f64_e32 v[155:156], v[155:156], v[159:160]
	v_fma_f64 v[157:158], v[8:9], v[14:15], v[157:158]
	v_fma_f64 v[163:164], v[6:7], v[14:15], -v[16:17]
	ds_load_b128 v[6:9], v1 offset:1392
	s_wait_loadcnt_dscnt 0x801
	v_mul_f64_e32 v[159:160], v[2:3], v[20:21]
	v_mul_f64_e32 v[20:21], v[4:5], v[20:21]
	scratch_load_b128 v[14:17], off, off offset:720
	v_add_f64_e32 v[153:154], v[153:154], v[165:166]
	v_add_f64_e32 v[155:156], v[155:156], v[161:162]
	s_wait_loadcnt_dscnt 0x800
	v_mul_f64_e32 v[161:162], v[6:7], v[24:25]
	v_mul_f64_e32 v[24:25], v[8:9], v[24:25]
	v_fma_f64 v[159:160], v[4:5], v[18:19], v[159:160]
	v_fma_f64 v[165:166], v[2:3], v[18:19], -v[20:21]
	ds_load_b128 v[2:5], v1 offset:1408
	scratch_load_b128 v[18:21], off, off offset:736
	v_add_f64_e32 v[153:154], v[153:154], v[163:164]
	v_add_f64_e32 v[155:156], v[155:156], v[157:158]
	v_fma_f64 v[161:162], v[8:9], v[22:23], v[161:162]
	v_fma_f64 v[163:164], v[6:7], v[22:23], -v[24:25]
	ds_load_b128 v[6:9], v1 offset:1424
	s_wait_loadcnt_dscnt 0x801
	v_mul_f64_e32 v[157:158], v[2:3], v[28:29]
	v_mul_f64_e32 v[28:29], v[4:5], v[28:29]
	scratch_load_b128 v[22:25], off, off offset:752
	v_add_f64_e32 v[153:154], v[153:154], v[165:166]
	v_add_f64_e32 v[155:156], v[155:156], v[159:160]
	s_wait_loadcnt_dscnt 0x800
	v_mul_f64_e32 v[159:160], v[6:7], v[32:33]
	v_mul_f64_e32 v[32:33], v[8:9], v[32:33]
	v_fma_f64 v[157:158], v[4:5], v[26:27], v[157:158]
	v_fma_f64 v[165:166], v[2:3], v[26:27], -v[28:29]
	ds_load_b128 v[2:5], v1 offset:1440
	scratch_load_b128 v[26:29], off, off offset:768
	v_add_f64_e32 v[153:154], v[153:154], v[163:164]
	v_add_f64_e32 v[155:156], v[155:156], v[161:162]
	v_fma_f64 v[159:160], v[8:9], v[30:31], v[159:160]
	v_fma_f64 v[163:164], v[6:7], v[30:31], -v[32:33]
	ds_load_b128 v[6:9], v1 offset:1456
	s_wait_loadcnt_dscnt 0x801
	v_mul_f64_e32 v[161:162], v[2:3], v[40:41]
	v_mul_f64_e32 v[40:41], v[4:5], v[40:41]
	scratch_load_b128 v[30:33], off, off offset:784
	v_add_f64_e32 v[153:154], v[153:154], v[165:166]
	v_add_f64_e32 v[155:156], v[155:156], v[157:158]
	s_wait_loadcnt_dscnt 0x800
	v_mul_f64_e32 v[157:158], v[6:7], v[151:152]
	v_mul_f64_e32 v[151:152], v[8:9], v[151:152]
	v_fma_f64 v[161:162], v[4:5], v[38:39], v[161:162]
	v_fma_f64 v[165:166], v[2:3], v[38:39], -v[40:41]
	ds_load_b128 v[2:5], v1 offset:1472
	scratch_load_b128 v[38:41], off, off offset:800
	v_add_f64_e32 v[153:154], v[153:154], v[163:164]
	v_add_f64_e32 v[155:156], v[155:156], v[159:160]
	v_fma_f64 v[157:158], v[8:9], v[149:150], v[157:158]
	v_fma_f64 v[163:164], v[6:7], v[149:150], -v[151:152]
	ds_load_b128 v[6:9], v1 offset:1488
	s_wait_loadcnt_dscnt 0x801
	v_mul_f64_e32 v[159:160], v[2:3], v[36:37]
	v_mul_f64_e32 v[36:37], v[4:5], v[36:37]
	scratch_load_b128 v[149:152], off, off offset:816
	v_add_f64_e32 v[153:154], v[153:154], v[165:166]
	v_add_f64_e32 v[155:156], v[155:156], v[161:162]
	v_fma_f64 v[159:160], v[4:5], v[34:35], v[159:160]
	v_fma_f64 v[34:35], v[2:3], v[34:35], -v[36:37]
	ds_load_b128 v[2:5], v1 offset:1504
	v_add_f64_e32 v[36:37], v[153:154], v[163:164]
	v_add_f64_e32 v[153:154], v[155:156], v[157:158]
	s_wait_loadcnt_dscnt 0x700
	v_mul_f64_e32 v[155:156], v[2:3], v[12:13]
	v_mul_f64_e32 v[12:13], v[4:5], v[12:13]
	s_delay_alu instid0(VALU_DEP_4) | instskip(NEXT) | instid1(VALU_DEP_4)
	v_add_f64_e32 v[34:35], v[36:37], v[34:35]
	v_add_f64_e32 v[36:37], v[153:154], v[159:160]
	s_delay_alu instid0(VALU_DEP_4) | instskip(NEXT) | instid1(VALU_DEP_4)
	v_fma_f64 v[153:154], v[4:5], v[10:11], v[155:156]
	v_fma_f64 v[155:156], v[2:3], v[10:11], -v[12:13]
	scratch_load_b128 v[10:13], off, off offset:336
	v_mul_f64_e32 v[161:162], v[6:7], v[147:148]
	v_mul_f64_e32 v[147:148], v[8:9], v[147:148]
	ds_load_b128 v[2:5], v1 offset:1536
	v_fma_f64 v[157:158], v[8:9], v[145:146], v[161:162]
	v_fma_f64 v[145:146], v[6:7], v[145:146], -v[147:148]
	ds_load_b128 v[6:9], v1 offset:1520
	s_wait_loadcnt_dscnt 0x700
	v_mul_f64_e32 v[147:148], v[6:7], v[16:17]
	v_mul_f64_e32 v[16:17], v[8:9], v[16:17]
	v_add_f64_e32 v[36:37], v[36:37], v[157:158]
	v_add_f64_e32 v[34:35], v[34:35], v[145:146]
	s_wait_loadcnt 0x6
	v_mul_f64_e32 v[145:146], v[2:3], v[20:21]
	v_mul_f64_e32 v[20:21], v[4:5], v[20:21]
	v_fma_f64 v[147:148], v[8:9], v[14:15], v[147:148]
	v_fma_f64 v[14:15], v[6:7], v[14:15], -v[16:17]
	ds_load_b128 v[6:9], v1 offset:1552
	v_add_f64_e32 v[16:17], v[34:35], v[155:156]
	v_add_f64_e32 v[34:35], v[36:37], v[153:154]
	v_fma_f64 v[145:146], v[4:5], v[18:19], v[145:146]
	v_fma_f64 v[18:19], v[2:3], v[18:19], -v[20:21]
	ds_load_b128 v[2:5], v1 offset:1568
	s_wait_loadcnt_dscnt 0x501
	v_mul_f64_e32 v[36:37], v[6:7], v[24:25]
	v_mul_f64_e32 v[24:25], v[8:9], v[24:25]
	s_wait_loadcnt_dscnt 0x400
	v_mul_f64_e32 v[20:21], v[2:3], v[28:29]
	v_mul_f64_e32 v[28:29], v[4:5], v[28:29]
	v_add_f64_e32 v[14:15], v[16:17], v[14:15]
	v_add_f64_e32 v[16:17], v[34:35], v[147:148]
	v_fma_f64 v[34:35], v[8:9], v[22:23], v[36:37]
	v_fma_f64 v[22:23], v[6:7], v[22:23], -v[24:25]
	ds_load_b128 v[6:9], v1 offset:1584
	v_fma_f64 v[20:21], v[4:5], v[26:27], v[20:21]
	v_fma_f64 v[26:27], v[2:3], v[26:27], -v[28:29]
	ds_load_b128 v[2:5], v1 offset:1600
	s_wait_loadcnt_dscnt 0x301
	v_mul_f64_e32 v[24:25], v[8:9], v[32:33]
	v_add_f64_e32 v[14:15], v[14:15], v[18:19]
	v_add_f64_e32 v[16:17], v[16:17], v[145:146]
	v_mul_f64_e32 v[18:19], v[6:7], v[32:33]
	s_wait_loadcnt_dscnt 0x200
	v_mul_f64_e32 v[28:29], v[4:5], v[40:41]
	v_fma_f64 v[24:25], v[6:7], v[30:31], -v[24:25]
	v_add_f64_e32 v[14:15], v[14:15], v[22:23]
	v_add_f64_e32 v[16:17], v[16:17], v[34:35]
	v_mul_f64_e32 v[22:23], v[2:3], v[40:41]
	v_fma_f64 v[18:19], v[8:9], v[30:31], v[18:19]
	ds_load_b128 v[6:9], v1 offset:1616
	v_fma_f64 v[1:2], v[2:3], v[38:39], -v[28:29]
	v_add_f64_e32 v[14:15], v[14:15], v[26:27]
	v_add_f64_e32 v[16:17], v[16:17], v[20:21]
	s_wait_loadcnt_dscnt 0x100
	v_mul_f64_e32 v[20:21], v[6:7], v[151:152]
	v_mul_f64_e32 v[26:27], v[8:9], v[151:152]
	v_fma_f64 v[4:5], v[4:5], v[38:39], v[22:23]
	v_add_f64_e32 v[14:15], v[14:15], v[24:25]
	v_add_f64_e32 v[16:17], v[16:17], v[18:19]
	v_fma_f64 v[8:9], v[8:9], v[149:150], v[20:21]
	v_fma_f64 v[6:7], v[6:7], v[149:150], -v[26:27]
	s_delay_alu instid0(VALU_DEP_4) | instskip(NEXT) | instid1(VALU_DEP_4)
	v_add_f64_e32 v[1:2], v[14:15], v[1:2]
	v_add_f64_e32 v[3:4], v[16:17], v[4:5]
	s_delay_alu instid0(VALU_DEP_2) | instskip(NEXT) | instid1(VALU_DEP_2)
	v_add_f64_e32 v[1:2], v[1:2], v[6:7]
	v_add_f64_e32 v[3:4], v[3:4], v[8:9]
	s_wait_loadcnt 0x0
	s_delay_alu instid0(VALU_DEP_2) | instskip(NEXT) | instid1(VALU_DEP_2)
	v_add_f64_e64 v[1:2], v[10:11], -v[1:2]
	v_add_f64_e64 v[3:4], v[12:13], -v[3:4]
	scratch_store_b128 off, v[1:4], off offset:336
	v_cmpx_lt_u32_e32 19, v0
	s_cbranch_execz .LBB114_281
; %bb.280:
	scratch_load_b128 v[1:4], off, s45
	v_mov_b32_e32 v5, 0
	s_delay_alu instid0(VALU_DEP_1)
	v_dual_mov_b32 v6, v5 :: v_dual_mov_b32 v7, v5
	v_mov_b32_e32 v8, v5
	scratch_store_b128 off, v[5:8], off offset:320
	s_wait_loadcnt 0x0
	ds_store_b128 v144, v[1:4]
.LBB114_281:
	s_wait_alu 0xfffe
	s_or_b32 exec_lo, exec_lo, s0
	s_wait_storecnt_dscnt 0x0
	s_barrier_signal -1
	s_barrier_wait -1
	global_inv scope:SCOPE_SE
	s_clause 0x7
	scratch_load_b128 v[2:5], off, off offset:336
	scratch_load_b128 v[6:9], off, off offset:352
	;; [unrolled: 1-line block ×8, first 2 shown]
	v_mov_b32_e32 v1, 0
	s_clause 0x1
	scratch_load_b128 v[38:41], off, off offset:464
	scratch_load_b128 v[149:152], off, off offset:480
	s_mov_b32 s0, exec_lo
	ds_load_b128 v[34:37], v1 offset:1136
	ds_load_b128 v[145:148], v1 offset:1152
	s_wait_loadcnt_dscnt 0x901
	v_mul_f64_e32 v[153:154], v[36:37], v[4:5]
	v_mul_f64_e32 v[4:5], v[34:35], v[4:5]
	s_wait_loadcnt_dscnt 0x800
	v_mul_f64_e32 v[155:156], v[145:146], v[8:9]
	v_mul_f64_e32 v[8:9], v[147:148], v[8:9]
	s_delay_alu instid0(VALU_DEP_4) | instskip(NEXT) | instid1(VALU_DEP_4)
	v_fma_f64 v[153:154], v[34:35], v[2:3], -v[153:154]
	v_fma_f64 v[157:158], v[36:37], v[2:3], v[4:5]
	ds_load_b128 v[2:5], v1 offset:1168
	scratch_load_b128 v[34:37], off, off offset:496
	v_fma_f64 v[155:156], v[147:148], v[6:7], v[155:156]
	v_fma_f64 v[161:162], v[145:146], v[6:7], -v[8:9]
	ds_load_b128 v[6:9], v1 offset:1184
	scratch_load_b128 v[145:148], off, off offset:512
	s_wait_loadcnt_dscnt 0x901
	v_mul_f64_e32 v[159:160], v[2:3], v[12:13]
	v_mul_f64_e32 v[12:13], v[4:5], v[12:13]
	s_wait_loadcnt_dscnt 0x800
	v_mul_f64_e32 v[163:164], v[6:7], v[16:17]
	v_mul_f64_e32 v[16:17], v[8:9], v[16:17]
	v_add_f64_e32 v[153:154], 0, v[153:154]
	v_add_f64_e32 v[157:158], 0, v[157:158]
	v_fma_f64 v[159:160], v[4:5], v[10:11], v[159:160]
	v_fma_f64 v[165:166], v[2:3], v[10:11], -v[12:13]
	ds_load_b128 v[2:5], v1 offset:1200
	scratch_load_b128 v[10:13], off, off offset:528
	v_add_f64_e32 v[153:154], v[153:154], v[161:162]
	v_add_f64_e32 v[155:156], v[157:158], v[155:156]
	v_fma_f64 v[161:162], v[8:9], v[14:15], v[163:164]
	v_fma_f64 v[163:164], v[6:7], v[14:15], -v[16:17]
	ds_load_b128 v[6:9], v1 offset:1216
	scratch_load_b128 v[14:17], off, off offset:544
	s_wait_loadcnt_dscnt 0x901
	v_mul_f64_e32 v[157:158], v[2:3], v[20:21]
	v_mul_f64_e32 v[20:21], v[4:5], v[20:21]
	v_add_f64_e32 v[153:154], v[153:154], v[165:166]
	v_add_f64_e32 v[155:156], v[155:156], v[159:160]
	s_wait_loadcnt_dscnt 0x800
	v_mul_f64_e32 v[159:160], v[6:7], v[24:25]
	v_mul_f64_e32 v[24:25], v[8:9], v[24:25]
	v_fma_f64 v[157:158], v[4:5], v[18:19], v[157:158]
	v_fma_f64 v[165:166], v[2:3], v[18:19], -v[20:21]
	ds_load_b128 v[2:5], v1 offset:1232
	scratch_load_b128 v[18:21], off, off offset:560
	v_add_f64_e32 v[153:154], v[153:154], v[163:164]
	v_add_f64_e32 v[155:156], v[155:156], v[161:162]
	v_fma_f64 v[159:160], v[8:9], v[22:23], v[159:160]
	v_fma_f64 v[163:164], v[6:7], v[22:23], -v[24:25]
	ds_load_b128 v[6:9], v1 offset:1248
	s_wait_loadcnt_dscnt 0x801
	v_mul_f64_e32 v[161:162], v[2:3], v[28:29]
	v_mul_f64_e32 v[28:29], v[4:5], v[28:29]
	scratch_load_b128 v[22:25], off, off offset:576
	v_add_f64_e32 v[153:154], v[153:154], v[165:166]
	v_add_f64_e32 v[155:156], v[155:156], v[157:158]
	s_wait_loadcnt_dscnt 0x800
	v_mul_f64_e32 v[157:158], v[6:7], v[32:33]
	v_mul_f64_e32 v[32:33], v[8:9], v[32:33]
	v_fma_f64 v[161:162], v[4:5], v[26:27], v[161:162]
	v_fma_f64 v[165:166], v[2:3], v[26:27], -v[28:29]
	ds_load_b128 v[2:5], v1 offset:1264
	scratch_load_b128 v[26:29], off, off offset:592
	v_add_f64_e32 v[153:154], v[153:154], v[163:164]
	v_add_f64_e32 v[155:156], v[155:156], v[159:160]
	v_fma_f64 v[157:158], v[8:9], v[30:31], v[157:158]
	v_fma_f64 v[163:164], v[6:7], v[30:31], -v[32:33]
	ds_load_b128 v[6:9], v1 offset:1280
	s_wait_loadcnt_dscnt 0x801
	v_mul_f64_e32 v[159:160], v[2:3], v[40:41]
	v_mul_f64_e32 v[40:41], v[4:5], v[40:41]
	scratch_load_b128 v[30:33], off, off offset:608
	v_add_f64_e32 v[153:154], v[153:154], v[165:166]
	v_add_f64_e32 v[155:156], v[155:156], v[161:162]
	s_wait_loadcnt_dscnt 0x800
	v_mul_f64_e32 v[161:162], v[6:7], v[151:152]
	v_mul_f64_e32 v[151:152], v[8:9], v[151:152]
	v_fma_f64 v[159:160], v[4:5], v[38:39], v[159:160]
	v_fma_f64 v[165:166], v[2:3], v[38:39], -v[40:41]
	ds_load_b128 v[2:5], v1 offset:1296
	scratch_load_b128 v[38:41], off, off offset:624
	v_add_f64_e32 v[153:154], v[153:154], v[163:164]
	v_add_f64_e32 v[155:156], v[155:156], v[157:158]
	v_fma_f64 v[161:162], v[8:9], v[149:150], v[161:162]
	v_fma_f64 v[163:164], v[6:7], v[149:150], -v[151:152]
	ds_load_b128 v[6:9], v1 offset:1312
	scratch_load_b128 v[149:152], off, off offset:640
	s_wait_loadcnt_dscnt 0x901
	v_mul_f64_e32 v[157:158], v[2:3], v[36:37]
	v_mul_f64_e32 v[36:37], v[4:5], v[36:37]
	v_add_f64_e32 v[153:154], v[153:154], v[165:166]
	v_add_f64_e32 v[155:156], v[155:156], v[159:160]
	s_wait_loadcnt_dscnt 0x800
	v_mul_f64_e32 v[159:160], v[6:7], v[147:148]
	v_mul_f64_e32 v[147:148], v[8:9], v[147:148]
	v_fma_f64 v[157:158], v[4:5], v[34:35], v[157:158]
	v_fma_f64 v[165:166], v[2:3], v[34:35], -v[36:37]
	ds_load_b128 v[2:5], v1 offset:1328
	scratch_load_b128 v[34:37], off, off offset:656
	v_add_f64_e32 v[153:154], v[153:154], v[163:164]
	v_add_f64_e32 v[155:156], v[155:156], v[161:162]
	v_fma_f64 v[159:160], v[8:9], v[145:146], v[159:160]
	v_fma_f64 v[163:164], v[6:7], v[145:146], -v[147:148]
	ds_load_b128 v[6:9], v1 offset:1344
	s_wait_loadcnt_dscnt 0x801
	v_mul_f64_e32 v[161:162], v[2:3], v[12:13]
	v_mul_f64_e32 v[12:13], v[4:5], v[12:13]
	scratch_load_b128 v[145:148], off, off offset:672
	v_add_f64_e32 v[153:154], v[153:154], v[165:166]
	v_add_f64_e32 v[155:156], v[155:156], v[157:158]
	s_wait_loadcnt_dscnt 0x800
	v_mul_f64_e32 v[157:158], v[6:7], v[16:17]
	v_mul_f64_e32 v[16:17], v[8:9], v[16:17]
	v_fma_f64 v[161:162], v[4:5], v[10:11], v[161:162]
	v_fma_f64 v[165:166], v[2:3], v[10:11], -v[12:13]
	ds_load_b128 v[2:5], v1 offset:1360
	scratch_load_b128 v[10:13], off, off offset:688
	v_add_f64_e32 v[153:154], v[153:154], v[163:164]
	v_add_f64_e32 v[155:156], v[155:156], v[159:160]
	v_fma_f64 v[157:158], v[8:9], v[14:15], v[157:158]
	v_fma_f64 v[163:164], v[6:7], v[14:15], -v[16:17]
	ds_load_b128 v[6:9], v1 offset:1376
	s_wait_loadcnt_dscnt 0x801
	v_mul_f64_e32 v[159:160], v[2:3], v[20:21]
	v_mul_f64_e32 v[20:21], v[4:5], v[20:21]
	scratch_load_b128 v[14:17], off, off offset:704
	v_add_f64_e32 v[153:154], v[153:154], v[165:166]
	v_add_f64_e32 v[155:156], v[155:156], v[161:162]
	s_wait_loadcnt_dscnt 0x800
	v_mul_f64_e32 v[161:162], v[6:7], v[24:25]
	v_mul_f64_e32 v[24:25], v[8:9], v[24:25]
	v_fma_f64 v[159:160], v[4:5], v[18:19], v[159:160]
	v_fma_f64 v[165:166], v[2:3], v[18:19], -v[20:21]
	ds_load_b128 v[2:5], v1 offset:1392
	scratch_load_b128 v[18:21], off, off offset:720
	v_add_f64_e32 v[153:154], v[153:154], v[163:164]
	v_add_f64_e32 v[155:156], v[155:156], v[157:158]
	v_fma_f64 v[161:162], v[8:9], v[22:23], v[161:162]
	v_fma_f64 v[163:164], v[6:7], v[22:23], -v[24:25]
	ds_load_b128 v[6:9], v1 offset:1408
	s_wait_loadcnt_dscnt 0x801
	v_mul_f64_e32 v[157:158], v[2:3], v[28:29]
	v_mul_f64_e32 v[28:29], v[4:5], v[28:29]
	scratch_load_b128 v[22:25], off, off offset:736
	v_add_f64_e32 v[153:154], v[153:154], v[165:166]
	v_add_f64_e32 v[155:156], v[155:156], v[159:160]
	s_wait_loadcnt_dscnt 0x800
	v_mul_f64_e32 v[159:160], v[6:7], v[32:33]
	v_mul_f64_e32 v[32:33], v[8:9], v[32:33]
	v_fma_f64 v[157:158], v[4:5], v[26:27], v[157:158]
	v_fma_f64 v[165:166], v[2:3], v[26:27], -v[28:29]
	ds_load_b128 v[2:5], v1 offset:1424
	scratch_load_b128 v[26:29], off, off offset:752
	v_add_f64_e32 v[153:154], v[153:154], v[163:164]
	v_add_f64_e32 v[155:156], v[155:156], v[161:162]
	v_fma_f64 v[159:160], v[8:9], v[30:31], v[159:160]
	v_fma_f64 v[163:164], v[6:7], v[30:31], -v[32:33]
	ds_load_b128 v[6:9], v1 offset:1440
	s_wait_loadcnt_dscnt 0x801
	v_mul_f64_e32 v[161:162], v[2:3], v[40:41]
	v_mul_f64_e32 v[40:41], v[4:5], v[40:41]
	scratch_load_b128 v[30:33], off, off offset:768
	v_add_f64_e32 v[153:154], v[153:154], v[165:166]
	v_add_f64_e32 v[155:156], v[155:156], v[157:158]
	s_wait_loadcnt_dscnt 0x800
	v_mul_f64_e32 v[157:158], v[6:7], v[151:152]
	v_mul_f64_e32 v[151:152], v[8:9], v[151:152]
	v_fma_f64 v[161:162], v[4:5], v[38:39], v[161:162]
	v_fma_f64 v[165:166], v[2:3], v[38:39], -v[40:41]
	ds_load_b128 v[2:5], v1 offset:1456
	scratch_load_b128 v[38:41], off, off offset:784
	v_add_f64_e32 v[153:154], v[153:154], v[163:164]
	v_add_f64_e32 v[155:156], v[155:156], v[159:160]
	v_fma_f64 v[157:158], v[8:9], v[149:150], v[157:158]
	v_fma_f64 v[163:164], v[6:7], v[149:150], -v[151:152]
	ds_load_b128 v[6:9], v1 offset:1472
	s_wait_loadcnt_dscnt 0x801
	v_mul_f64_e32 v[159:160], v[2:3], v[36:37]
	v_mul_f64_e32 v[36:37], v[4:5], v[36:37]
	scratch_load_b128 v[149:152], off, off offset:800
	v_add_f64_e32 v[153:154], v[153:154], v[165:166]
	v_add_f64_e32 v[155:156], v[155:156], v[161:162]
	s_wait_loadcnt_dscnt 0x800
	v_mul_f64_e32 v[161:162], v[6:7], v[147:148]
	v_mul_f64_e32 v[147:148], v[8:9], v[147:148]
	v_fma_f64 v[159:160], v[4:5], v[34:35], v[159:160]
	v_fma_f64 v[165:166], v[2:3], v[34:35], -v[36:37]
	ds_load_b128 v[2:5], v1 offset:1488
	scratch_load_b128 v[34:37], off, off offset:816
	v_add_f64_e32 v[153:154], v[153:154], v[163:164]
	v_add_f64_e32 v[155:156], v[155:156], v[157:158]
	v_fma_f64 v[161:162], v[8:9], v[145:146], v[161:162]
	v_fma_f64 v[145:146], v[6:7], v[145:146], -v[147:148]
	ds_load_b128 v[6:9], v1 offset:1504
	s_wait_loadcnt_dscnt 0x801
	v_mul_f64_e32 v[157:158], v[2:3], v[12:13]
	v_mul_f64_e32 v[12:13], v[4:5], v[12:13]
	v_add_f64_e32 v[147:148], v[153:154], v[165:166]
	v_add_f64_e32 v[153:154], v[155:156], v[159:160]
	s_wait_loadcnt_dscnt 0x700
	v_mul_f64_e32 v[155:156], v[6:7], v[16:17]
	v_mul_f64_e32 v[16:17], v[8:9], v[16:17]
	v_fma_f64 v[157:158], v[4:5], v[10:11], v[157:158]
	v_fma_f64 v[10:11], v[2:3], v[10:11], -v[12:13]
	ds_load_b128 v[2:5], v1 offset:1520
	v_add_f64_e32 v[12:13], v[147:148], v[145:146]
	v_add_f64_e32 v[145:146], v[153:154], v[161:162]
	v_fma_f64 v[153:154], v[8:9], v[14:15], v[155:156]
	v_fma_f64 v[14:15], v[6:7], v[14:15], -v[16:17]
	ds_load_b128 v[6:9], v1 offset:1536
	s_wait_loadcnt_dscnt 0x500
	v_mul_f64_e32 v[155:156], v[6:7], v[24:25]
	v_mul_f64_e32 v[24:25], v[8:9], v[24:25]
	v_add_f64_e32 v[16:17], v[12:13], v[10:11]
	v_add_f64_e32 v[145:146], v[145:146], v[157:158]
	scratch_load_b128 v[10:13], off, off offset:320
	v_mul_f64_e32 v[147:148], v[2:3], v[20:21]
	v_mul_f64_e32 v[20:21], v[4:5], v[20:21]
	v_add_f64_e32 v[14:15], v[16:17], v[14:15]
	v_add_f64_e32 v[16:17], v[145:146], v[153:154]
	v_fma_f64 v[145:146], v[8:9], v[22:23], v[155:156]
	v_fma_f64 v[147:148], v[4:5], v[18:19], v[147:148]
	v_fma_f64 v[18:19], v[2:3], v[18:19], -v[20:21]
	ds_load_b128 v[2:5], v1 offset:1552
	v_fma_f64 v[22:23], v[6:7], v[22:23], -v[24:25]
	ds_load_b128 v[6:9], v1 offset:1568
	s_wait_loadcnt_dscnt 0x501
	v_mul_f64_e32 v[20:21], v[2:3], v[28:29]
	v_mul_f64_e32 v[28:29], v[4:5], v[28:29]
	s_wait_loadcnt_dscnt 0x400
	v_mul_f64_e32 v[24:25], v[8:9], v[32:33]
	v_add_f64_e32 v[16:17], v[16:17], v[147:148]
	v_add_f64_e32 v[14:15], v[14:15], v[18:19]
	v_mul_f64_e32 v[18:19], v[6:7], v[32:33]
	v_fma_f64 v[20:21], v[4:5], v[26:27], v[20:21]
	v_fma_f64 v[26:27], v[2:3], v[26:27], -v[28:29]
	ds_load_b128 v[2:5], v1 offset:1584
	v_fma_f64 v[24:25], v[6:7], v[30:31], -v[24:25]
	v_add_f64_e32 v[16:17], v[16:17], v[145:146]
	v_add_f64_e32 v[14:15], v[14:15], v[22:23]
	v_fma_f64 v[18:19], v[8:9], v[30:31], v[18:19]
	ds_load_b128 v[6:9], v1 offset:1600
	s_wait_loadcnt_dscnt 0x301
	v_mul_f64_e32 v[22:23], v[2:3], v[40:41]
	v_mul_f64_e32 v[28:29], v[4:5], v[40:41]
	v_add_f64_e32 v[16:17], v[16:17], v[20:21]
	v_add_f64_e32 v[14:15], v[14:15], v[26:27]
	s_wait_loadcnt_dscnt 0x200
	v_mul_f64_e32 v[20:21], v[6:7], v[151:152]
	v_mul_f64_e32 v[26:27], v[8:9], v[151:152]
	v_fma_f64 v[22:23], v[4:5], v[38:39], v[22:23]
	v_fma_f64 v[28:29], v[2:3], v[38:39], -v[28:29]
	ds_load_b128 v[2:5], v1 offset:1616
	v_add_f64_e32 v[16:17], v[16:17], v[18:19]
	v_add_f64_e32 v[14:15], v[14:15], v[24:25]
	s_wait_loadcnt_dscnt 0x100
	v_mul_f64_e32 v[18:19], v[2:3], v[36:37]
	v_mul_f64_e32 v[24:25], v[4:5], v[36:37]
	v_fma_f64 v[8:9], v[8:9], v[149:150], v[20:21]
	v_fma_f64 v[6:7], v[6:7], v[149:150], -v[26:27]
	v_add_f64_e32 v[16:17], v[16:17], v[22:23]
	v_add_f64_e32 v[14:15], v[14:15], v[28:29]
	v_fma_f64 v[4:5], v[4:5], v[34:35], v[18:19]
	v_fma_f64 v[2:3], v[2:3], v[34:35], -v[24:25]
	s_delay_alu instid0(VALU_DEP_4) | instskip(NEXT) | instid1(VALU_DEP_4)
	v_add_f64_e32 v[8:9], v[16:17], v[8:9]
	v_add_f64_e32 v[6:7], v[14:15], v[6:7]
	s_delay_alu instid0(VALU_DEP_2) | instskip(NEXT) | instid1(VALU_DEP_2)
	v_add_f64_e32 v[4:5], v[8:9], v[4:5]
	v_add_f64_e32 v[2:3], v[6:7], v[2:3]
	s_wait_loadcnt 0x0
	s_delay_alu instid0(VALU_DEP_2) | instskip(NEXT) | instid1(VALU_DEP_2)
	v_add_f64_e64 v[4:5], v[12:13], -v[4:5]
	v_add_f64_e64 v[2:3], v[10:11], -v[2:3]
	scratch_store_b128 off, v[2:5], off offset:320
	v_cmpx_lt_u32_e32 18, v0
	s_cbranch_execz .LBB114_283
; %bb.282:
	scratch_load_b128 v[5:8], off, s46
	v_dual_mov_b32 v2, v1 :: v_dual_mov_b32 v3, v1
	v_mov_b32_e32 v4, v1
	scratch_store_b128 off, v[1:4], off offset:304
	s_wait_loadcnt 0x0
	ds_store_b128 v144, v[5:8]
.LBB114_283:
	s_wait_alu 0xfffe
	s_or_b32 exec_lo, exec_lo, s0
	s_wait_storecnt_dscnt 0x0
	s_barrier_signal -1
	s_barrier_wait -1
	global_inv scope:SCOPE_SE
	s_clause 0x7
	scratch_load_b128 v[2:5], off, off offset:320
	scratch_load_b128 v[6:9], off, off offset:336
	scratch_load_b128 v[10:13], off, off offset:352
	scratch_load_b128 v[14:17], off, off offset:368
	scratch_load_b128 v[18:21], off, off offset:384
	scratch_load_b128 v[22:25], off, off offset:400
	scratch_load_b128 v[26:29], off, off offset:416
	scratch_load_b128 v[30:33], off, off offset:432
	ds_load_b128 v[34:37], v1 offset:1120
	ds_load_b128 v[145:148], v1 offset:1136
	s_clause 0x1
	scratch_load_b128 v[38:41], off, off offset:448
	scratch_load_b128 v[149:152], off, off offset:464
	s_mov_b32 s0, exec_lo
	s_wait_loadcnt_dscnt 0x901
	v_mul_f64_e32 v[153:154], v[36:37], v[4:5]
	v_mul_f64_e32 v[4:5], v[34:35], v[4:5]
	s_wait_loadcnt_dscnt 0x800
	v_mul_f64_e32 v[155:156], v[145:146], v[8:9]
	v_mul_f64_e32 v[8:9], v[147:148], v[8:9]
	s_delay_alu instid0(VALU_DEP_4) | instskip(NEXT) | instid1(VALU_DEP_4)
	v_fma_f64 v[153:154], v[34:35], v[2:3], -v[153:154]
	v_fma_f64 v[157:158], v[36:37], v[2:3], v[4:5]
	ds_load_b128 v[2:5], v1 offset:1152
	scratch_load_b128 v[34:37], off, off offset:480
	v_fma_f64 v[155:156], v[147:148], v[6:7], v[155:156]
	v_fma_f64 v[161:162], v[145:146], v[6:7], -v[8:9]
	ds_load_b128 v[6:9], v1 offset:1168
	scratch_load_b128 v[145:148], off, off offset:496
	s_wait_loadcnt_dscnt 0x901
	v_mul_f64_e32 v[159:160], v[2:3], v[12:13]
	v_mul_f64_e32 v[12:13], v[4:5], v[12:13]
	s_wait_loadcnt_dscnt 0x800
	v_mul_f64_e32 v[163:164], v[6:7], v[16:17]
	v_mul_f64_e32 v[16:17], v[8:9], v[16:17]
	v_add_f64_e32 v[153:154], 0, v[153:154]
	v_add_f64_e32 v[157:158], 0, v[157:158]
	v_fma_f64 v[159:160], v[4:5], v[10:11], v[159:160]
	v_fma_f64 v[165:166], v[2:3], v[10:11], -v[12:13]
	ds_load_b128 v[2:5], v1 offset:1184
	scratch_load_b128 v[10:13], off, off offset:512
	v_add_f64_e32 v[153:154], v[153:154], v[161:162]
	v_add_f64_e32 v[155:156], v[157:158], v[155:156]
	v_fma_f64 v[161:162], v[8:9], v[14:15], v[163:164]
	v_fma_f64 v[163:164], v[6:7], v[14:15], -v[16:17]
	ds_load_b128 v[6:9], v1 offset:1200
	scratch_load_b128 v[14:17], off, off offset:528
	s_wait_loadcnt_dscnt 0x901
	v_mul_f64_e32 v[157:158], v[2:3], v[20:21]
	v_mul_f64_e32 v[20:21], v[4:5], v[20:21]
	v_add_f64_e32 v[153:154], v[153:154], v[165:166]
	v_add_f64_e32 v[155:156], v[155:156], v[159:160]
	s_wait_loadcnt_dscnt 0x800
	v_mul_f64_e32 v[159:160], v[6:7], v[24:25]
	v_mul_f64_e32 v[24:25], v[8:9], v[24:25]
	v_fma_f64 v[157:158], v[4:5], v[18:19], v[157:158]
	v_fma_f64 v[165:166], v[2:3], v[18:19], -v[20:21]
	ds_load_b128 v[2:5], v1 offset:1216
	scratch_load_b128 v[18:21], off, off offset:544
	v_add_f64_e32 v[153:154], v[153:154], v[163:164]
	v_add_f64_e32 v[155:156], v[155:156], v[161:162]
	v_fma_f64 v[159:160], v[8:9], v[22:23], v[159:160]
	v_fma_f64 v[163:164], v[6:7], v[22:23], -v[24:25]
	ds_load_b128 v[6:9], v1 offset:1232
	s_wait_loadcnt_dscnt 0x801
	v_mul_f64_e32 v[161:162], v[2:3], v[28:29]
	v_mul_f64_e32 v[28:29], v[4:5], v[28:29]
	scratch_load_b128 v[22:25], off, off offset:560
	v_add_f64_e32 v[153:154], v[153:154], v[165:166]
	v_add_f64_e32 v[155:156], v[155:156], v[157:158]
	s_wait_loadcnt_dscnt 0x800
	v_mul_f64_e32 v[157:158], v[6:7], v[32:33]
	v_mul_f64_e32 v[32:33], v[8:9], v[32:33]
	v_fma_f64 v[161:162], v[4:5], v[26:27], v[161:162]
	v_fma_f64 v[165:166], v[2:3], v[26:27], -v[28:29]
	ds_load_b128 v[2:5], v1 offset:1248
	scratch_load_b128 v[26:29], off, off offset:576
	v_add_f64_e32 v[153:154], v[153:154], v[163:164]
	v_add_f64_e32 v[155:156], v[155:156], v[159:160]
	v_fma_f64 v[157:158], v[8:9], v[30:31], v[157:158]
	v_fma_f64 v[163:164], v[6:7], v[30:31], -v[32:33]
	ds_load_b128 v[6:9], v1 offset:1264
	s_wait_loadcnt_dscnt 0x801
	v_mul_f64_e32 v[159:160], v[2:3], v[40:41]
	v_mul_f64_e32 v[40:41], v[4:5], v[40:41]
	scratch_load_b128 v[30:33], off, off offset:592
	v_add_f64_e32 v[153:154], v[153:154], v[165:166]
	v_add_f64_e32 v[155:156], v[155:156], v[161:162]
	s_wait_loadcnt_dscnt 0x800
	v_mul_f64_e32 v[161:162], v[6:7], v[151:152]
	v_mul_f64_e32 v[151:152], v[8:9], v[151:152]
	v_fma_f64 v[159:160], v[4:5], v[38:39], v[159:160]
	v_fma_f64 v[165:166], v[2:3], v[38:39], -v[40:41]
	ds_load_b128 v[2:5], v1 offset:1280
	scratch_load_b128 v[38:41], off, off offset:608
	v_add_f64_e32 v[153:154], v[153:154], v[163:164]
	v_add_f64_e32 v[155:156], v[155:156], v[157:158]
	v_fma_f64 v[161:162], v[8:9], v[149:150], v[161:162]
	v_fma_f64 v[163:164], v[6:7], v[149:150], -v[151:152]
	ds_load_b128 v[6:9], v1 offset:1296
	scratch_load_b128 v[149:152], off, off offset:624
	s_wait_loadcnt_dscnt 0x901
	v_mul_f64_e32 v[157:158], v[2:3], v[36:37]
	v_mul_f64_e32 v[36:37], v[4:5], v[36:37]
	v_add_f64_e32 v[153:154], v[153:154], v[165:166]
	v_add_f64_e32 v[155:156], v[155:156], v[159:160]
	s_wait_loadcnt_dscnt 0x800
	v_mul_f64_e32 v[159:160], v[6:7], v[147:148]
	v_mul_f64_e32 v[147:148], v[8:9], v[147:148]
	v_fma_f64 v[157:158], v[4:5], v[34:35], v[157:158]
	v_fma_f64 v[165:166], v[2:3], v[34:35], -v[36:37]
	ds_load_b128 v[2:5], v1 offset:1312
	scratch_load_b128 v[34:37], off, off offset:640
	v_add_f64_e32 v[153:154], v[153:154], v[163:164]
	v_add_f64_e32 v[155:156], v[155:156], v[161:162]
	v_fma_f64 v[159:160], v[8:9], v[145:146], v[159:160]
	v_fma_f64 v[163:164], v[6:7], v[145:146], -v[147:148]
	ds_load_b128 v[6:9], v1 offset:1328
	s_wait_loadcnt_dscnt 0x801
	v_mul_f64_e32 v[161:162], v[2:3], v[12:13]
	v_mul_f64_e32 v[12:13], v[4:5], v[12:13]
	scratch_load_b128 v[145:148], off, off offset:656
	v_add_f64_e32 v[153:154], v[153:154], v[165:166]
	v_add_f64_e32 v[155:156], v[155:156], v[157:158]
	s_wait_loadcnt_dscnt 0x800
	v_mul_f64_e32 v[157:158], v[6:7], v[16:17]
	v_mul_f64_e32 v[16:17], v[8:9], v[16:17]
	v_fma_f64 v[161:162], v[4:5], v[10:11], v[161:162]
	v_fma_f64 v[165:166], v[2:3], v[10:11], -v[12:13]
	ds_load_b128 v[2:5], v1 offset:1344
	scratch_load_b128 v[10:13], off, off offset:672
	v_add_f64_e32 v[153:154], v[153:154], v[163:164]
	v_add_f64_e32 v[155:156], v[155:156], v[159:160]
	v_fma_f64 v[157:158], v[8:9], v[14:15], v[157:158]
	v_fma_f64 v[163:164], v[6:7], v[14:15], -v[16:17]
	ds_load_b128 v[6:9], v1 offset:1360
	s_wait_loadcnt_dscnt 0x801
	v_mul_f64_e32 v[159:160], v[2:3], v[20:21]
	v_mul_f64_e32 v[20:21], v[4:5], v[20:21]
	scratch_load_b128 v[14:17], off, off offset:688
	;; [unrolled: 18-line block ×6, first 2 shown]
	v_add_f64_e32 v[153:154], v[153:154], v[165:166]
	v_add_f64_e32 v[155:156], v[155:156], v[159:160]
	s_wait_loadcnt_dscnt 0x800
	v_mul_f64_e32 v[159:160], v[6:7], v[16:17]
	v_mul_f64_e32 v[16:17], v[8:9], v[16:17]
	v_fma_f64 v[157:158], v[4:5], v[10:11], v[157:158]
	v_fma_f64 v[10:11], v[2:3], v[10:11], -v[12:13]
	ds_load_b128 v[2:5], v1 offset:1504
	v_add_f64_e32 v[12:13], v[153:154], v[163:164]
	v_add_f64_e32 v[153:154], v[155:156], v[161:162]
	v_fma_f64 v[159:160], v[8:9], v[14:15], v[159:160]
	v_fma_f64 v[14:15], v[6:7], v[14:15], -v[16:17]
	ds_load_b128 v[6:9], v1 offset:1520
	s_wait_loadcnt_dscnt 0x701
	v_mul_f64_e32 v[155:156], v[2:3], v[20:21]
	v_mul_f64_e32 v[20:21], v[4:5], v[20:21]
	v_add_f64_e32 v[10:11], v[12:13], v[10:11]
	v_add_f64_e32 v[12:13], v[153:154], v[157:158]
	s_delay_alu instid0(VALU_DEP_4) | instskip(NEXT) | instid1(VALU_DEP_4)
	v_fma_f64 v[153:154], v[4:5], v[18:19], v[155:156]
	v_fma_f64 v[18:19], v[2:3], v[18:19], -v[20:21]
	ds_load_b128 v[2:5], v1 offset:1536
	v_add_f64_e32 v[14:15], v[10:11], v[14:15]
	v_add_f64_e32 v[20:21], v[12:13], v[159:160]
	scratch_load_b128 v[10:13], off, off offset:304
	s_wait_loadcnt_dscnt 0x701
	v_mul_f64_e32 v[16:17], v[6:7], v[24:25]
	v_mul_f64_e32 v[24:25], v[8:9], v[24:25]
	v_add_f64_e32 v[14:15], v[14:15], v[18:19]
	v_add_f64_e32 v[18:19], v[20:21], v[153:154]
	s_delay_alu instid0(VALU_DEP_4) | instskip(NEXT) | instid1(VALU_DEP_4)
	v_fma_f64 v[16:17], v[8:9], v[22:23], v[16:17]
	v_fma_f64 v[22:23], v[6:7], v[22:23], -v[24:25]
	ds_load_b128 v[6:9], v1 offset:1552
	s_wait_loadcnt_dscnt 0x601
	v_mul_f64_e32 v[155:156], v[2:3], v[28:29]
	v_mul_f64_e32 v[28:29], v[4:5], v[28:29]
	s_wait_loadcnt_dscnt 0x500
	v_mul_f64_e32 v[20:21], v[6:7], v[32:33]
	v_mul_f64_e32 v[24:25], v[8:9], v[32:33]
	v_add_f64_e32 v[16:17], v[18:19], v[16:17]
	v_add_f64_e32 v[14:15], v[14:15], v[22:23]
	v_fma_f64 v[32:33], v[4:5], v[26:27], v[155:156]
	v_fma_f64 v[26:27], v[2:3], v[26:27], -v[28:29]
	ds_load_b128 v[2:5], v1 offset:1568
	v_fma_f64 v[20:21], v[8:9], v[30:31], v[20:21]
	v_fma_f64 v[24:25], v[6:7], v[30:31], -v[24:25]
	ds_load_b128 v[6:9], v1 offset:1584
	s_wait_loadcnt_dscnt 0x401
	v_mul_f64_e32 v[18:19], v[2:3], v[40:41]
	v_mul_f64_e32 v[22:23], v[4:5], v[40:41]
	v_add_f64_e32 v[16:17], v[16:17], v[32:33]
	v_add_f64_e32 v[14:15], v[14:15], v[26:27]
	s_wait_loadcnt_dscnt 0x300
	v_mul_f64_e32 v[26:27], v[6:7], v[151:152]
	v_mul_f64_e32 v[28:29], v[8:9], v[151:152]
	v_fma_f64 v[18:19], v[4:5], v[38:39], v[18:19]
	v_fma_f64 v[22:23], v[2:3], v[38:39], -v[22:23]
	ds_load_b128 v[2:5], v1 offset:1600
	v_add_f64_e32 v[16:17], v[16:17], v[20:21]
	v_add_f64_e32 v[14:15], v[14:15], v[24:25]
	v_fma_f64 v[26:27], v[8:9], v[149:150], v[26:27]
	v_fma_f64 v[28:29], v[6:7], v[149:150], -v[28:29]
	ds_load_b128 v[6:9], v1 offset:1616
	s_wait_loadcnt_dscnt 0x201
	v_mul_f64_e32 v[20:21], v[2:3], v[36:37]
	v_mul_f64_e32 v[24:25], v[4:5], v[36:37]
	v_add_f64_e32 v[16:17], v[16:17], v[18:19]
	v_add_f64_e32 v[14:15], v[14:15], v[22:23]
	s_wait_loadcnt_dscnt 0x100
	v_mul_f64_e32 v[18:19], v[6:7], v[147:148]
	v_mul_f64_e32 v[22:23], v[8:9], v[147:148]
	v_fma_f64 v[4:5], v[4:5], v[34:35], v[20:21]
	v_fma_f64 v[1:2], v[2:3], v[34:35], -v[24:25]
	v_add_f64_e32 v[16:17], v[16:17], v[26:27]
	v_add_f64_e32 v[14:15], v[14:15], v[28:29]
	v_fma_f64 v[8:9], v[8:9], v[145:146], v[18:19]
	v_fma_f64 v[6:7], v[6:7], v[145:146], -v[22:23]
	s_delay_alu instid0(VALU_DEP_4) | instskip(NEXT) | instid1(VALU_DEP_4)
	v_add_f64_e32 v[3:4], v[16:17], v[4:5]
	v_add_f64_e32 v[1:2], v[14:15], v[1:2]
	s_delay_alu instid0(VALU_DEP_2) | instskip(NEXT) | instid1(VALU_DEP_2)
	v_add_f64_e32 v[3:4], v[3:4], v[8:9]
	v_add_f64_e32 v[1:2], v[1:2], v[6:7]
	s_wait_loadcnt 0x0
	s_delay_alu instid0(VALU_DEP_2) | instskip(NEXT) | instid1(VALU_DEP_2)
	v_add_f64_e64 v[3:4], v[12:13], -v[3:4]
	v_add_f64_e64 v[1:2], v[10:11], -v[1:2]
	scratch_store_b128 off, v[1:4], off offset:304
	v_cmpx_lt_u32_e32 17, v0
	s_cbranch_execz .LBB114_285
; %bb.284:
	scratch_load_b128 v[1:4], off, s47
	v_mov_b32_e32 v5, 0
	s_delay_alu instid0(VALU_DEP_1)
	v_dual_mov_b32 v6, v5 :: v_dual_mov_b32 v7, v5
	v_mov_b32_e32 v8, v5
	scratch_store_b128 off, v[5:8], off offset:288
	s_wait_loadcnt 0x0
	ds_store_b128 v144, v[1:4]
.LBB114_285:
	s_wait_alu 0xfffe
	s_or_b32 exec_lo, exec_lo, s0
	s_wait_storecnt_dscnt 0x0
	s_barrier_signal -1
	s_barrier_wait -1
	global_inv scope:SCOPE_SE
	s_clause 0x7
	scratch_load_b128 v[2:5], off, off offset:304
	scratch_load_b128 v[6:9], off, off offset:320
	;; [unrolled: 1-line block ×8, first 2 shown]
	v_mov_b32_e32 v1, 0
	s_clause 0x1
	scratch_load_b128 v[38:41], off, off offset:432
	scratch_load_b128 v[149:152], off, off offset:448
	s_mov_b32 s0, exec_lo
	ds_load_b128 v[34:37], v1 offset:1104
	ds_load_b128 v[145:148], v1 offset:1120
	s_wait_loadcnt_dscnt 0x901
	v_mul_f64_e32 v[153:154], v[36:37], v[4:5]
	v_mul_f64_e32 v[4:5], v[34:35], v[4:5]
	s_wait_loadcnt_dscnt 0x800
	v_mul_f64_e32 v[155:156], v[145:146], v[8:9]
	v_mul_f64_e32 v[8:9], v[147:148], v[8:9]
	s_delay_alu instid0(VALU_DEP_4) | instskip(NEXT) | instid1(VALU_DEP_4)
	v_fma_f64 v[153:154], v[34:35], v[2:3], -v[153:154]
	v_fma_f64 v[157:158], v[36:37], v[2:3], v[4:5]
	ds_load_b128 v[2:5], v1 offset:1136
	scratch_load_b128 v[34:37], off, off offset:464
	v_fma_f64 v[155:156], v[147:148], v[6:7], v[155:156]
	v_fma_f64 v[161:162], v[145:146], v[6:7], -v[8:9]
	ds_load_b128 v[6:9], v1 offset:1152
	scratch_load_b128 v[145:148], off, off offset:480
	s_wait_loadcnt_dscnt 0x901
	v_mul_f64_e32 v[159:160], v[2:3], v[12:13]
	v_mul_f64_e32 v[12:13], v[4:5], v[12:13]
	s_wait_loadcnt_dscnt 0x800
	v_mul_f64_e32 v[163:164], v[6:7], v[16:17]
	v_mul_f64_e32 v[16:17], v[8:9], v[16:17]
	v_add_f64_e32 v[153:154], 0, v[153:154]
	v_add_f64_e32 v[157:158], 0, v[157:158]
	v_fma_f64 v[159:160], v[4:5], v[10:11], v[159:160]
	v_fma_f64 v[165:166], v[2:3], v[10:11], -v[12:13]
	ds_load_b128 v[2:5], v1 offset:1168
	scratch_load_b128 v[10:13], off, off offset:496
	v_add_f64_e32 v[153:154], v[153:154], v[161:162]
	v_add_f64_e32 v[155:156], v[157:158], v[155:156]
	v_fma_f64 v[161:162], v[8:9], v[14:15], v[163:164]
	v_fma_f64 v[163:164], v[6:7], v[14:15], -v[16:17]
	ds_load_b128 v[6:9], v1 offset:1184
	scratch_load_b128 v[14:17], off, off offset:512
	s_wait_loadcnt_dscnt 0x901
	v_mul_f64_e32 v[157:158], v[2:3], v[20:21]
	v_mul_f64_e32 v[20:21], v[4:5], v[20:21]
	v_add_f64_e32 v[153:154], v[153:154], v[165:166]
	v_add_f64_e32 v[155:156], v[155:156], v[159:160]
	s_wait_loadcnt_dscnt 0x800
	v_mul_f64_e32 v[159:160], v[6:7], v[24:25]
	v_mul_f64_e32 v[24:25], v[8:9], v[24:25]
	v_fma_f64 v[157:158], v[4:5], v[18:19], v[157:158]
	v_fma_f64 v[165:166], v[2:3], v[18:19], -v[20:21]
	ds_load_b128 v[2:5], v1 offset:1200
	scratch_load_b128 v[18:21], off, off offset:528
	v_add_f64_e32 v[153:154], v[153:154], v[163:164]
	v_add_f64_e32 v[155:156], v[155:156], v[161:162]
	v_fma_f64 v[159:160], v[8:9], v[22:23], v[159:160]
	v_fma_f64 v[163:164], v[6:7], v[22:23], -v[24:25]
	ds_load_b128 v[6:9], v1 offset:1216
	s_wait_loadcnt_dscnt 0x801
	v_mul_f64_e32 v[161:162], v[2:3], v[28:29]
	v_mul_f64_e32 v[28:29], v[4:5], v[28:29]
	scratch_load_b128 v[22:25], off, off offset:544
	v_add_f64_e32 v[153:154], v[153:154], v[165:166]
	v_add_f64_e32 v[155:156], v[155:156], v[157:158]
	s_wait_loadcnt_dscnt 0x800
	v_mul_f64_e32 v[157:158], v[6:7], v[32:33]
	v_mul_f64_e32 v[32:33], v[8:9], v[32:33]
	v_fma_f64 v[161:162], v[4:5], v[26:27], v[161:162]
	v_fma_f64 v[165:166], v[2:3], v[26:27], -v[28:29]
	ds_load_b128 v[2:5], v1 offset:1232
	scratch_load_b128 v[26:29], off, off offset:560
	v_add_f64_e32 v[153:154], v[153:154], v[163:164]
	v_add_f64_e32 v[155:156], v[155:156], v[159:160]
	v_fma_f64 v[157:158], v[8:9], v[30:31], v[157:158]
	v_fma_f64 v[163:164], v[6:7], v[30:31], -v[32:33]
	ds_load_b128 v[6:9], v1 offset:1248
	s_wait_loadcnt_dscnt 0x801
	v_mul_f64_e32 v[159:160], v[2:3], v[40:41]
	v_mul_f64_e32 v[40:41], v[4:5], v[40:41]
	scratch_load_b128 v[30:33], off, off offset:576
	v_add_f64_e32 v[153:154], v[153:154], v[165:166]
	v_add_f64_e32 v[155:156], v[155:156], v[161:162]
	s_wait_loadcnt_dscnt 0x800
	v_mul_f64_e32 v[161:162], v[6:7], v[151:152]
	v_mul_f64_e32 v[151:152], v[8:9], v[151:152]
	v_fma_f64 v[159:160], v[4:5], v[38:39], v[159:160]
	v_fma_f64 v[165:166], v[2:3], v[38:39], -v[40:41]
	ds_load_b128 v[2:5], v1 offset:1264
	scratch_load_b128 v[38:41], off, off offset:592
	v_add_f64_e32 v[153:154], v[153:154], v[163:164]
	v_add_f64_e32 v[155:156], v[155:156], v[157:158]
	v_fma_f64 v[161:162], v[8:9], v[149:150], v[161:162]
	v_fma_f64 v[163:164], v[6:7], v[149:150], -v[151:152]
	ds_load_b128 v[6:9], v1 offset:1280
	scratch_load_b128 v[149:152], off, off offset:608
	s_wait_loadcnt_dscnt 0x901
	v_mul_f64_e32 v[157:158], v[2:3], v[36:37]
	v_mul_f64_e32 v[36:37], v[4:5], v[36:37]
	v_add_f64_e32 v[153:154], v[153:154], v[165:166]
	v_add_f64_e32 v[155:156], v[155:156], v[159:160]
	s_wait_loadcnt_dscnt 0x800
	v_mul_f64_e32 v[159:160], v[6:7], v[147:148]
	v_mul_f64_e32 v[147:148], v[8:9], v[147:148]
	v_fma_f64 v[157:158], v[4:5], v[34:35], v[157:158]
	v_fma_f64 v[165:166], v[2:3], v[34:35], -v[36:37]
	ds_load_b128 v[2:5], v1 offset:1296
	scratch_load_b128 v[34:37], off, off offset:624
	v_add_f64_e32 v[153:154], v[153:154], v[163:164]
	v_add_f64_e32 v[155:156], v[155:156], v[161:162]
	v_fma_f64 v[159:160], v[8:9], v[145:146], v[159:160]
	v_fma_f64 v[163:164], v[6:7], v[145:146], -v[147:148]
	ds_load_b128 v[6:9], v1 offset:1312
	s_wait_loadcnt_dscnt 0x801
	v_mul_f64_e32 v[161:162], v[2:3], v[12:13]
	v_mul_f64_e32 v[12:13], v[4:5], v[12:13]
	scratch_load_b128 v[145:148], off, off offset:640
	v_add_f64_e32 v[153:154], v[153:154], v[165:166]
	v_add_f64_e32 v[155:156], v[155:156], v[157:158]
	s_wait_loadcnt_dscnt 0x800
	v_mul_f64_e32 v[157:158], v[6:7], v[16:17]
	v_mul_f64_e32 v[16:17], v[8:9], v[16:17]
	v_fma_f64 v[161:162], v[4:5], v[10:11], v[161:162]
	v_fma_f64 v[165:166], v[2:3], v[10:11], -v[12:13]
	ds_load_b128 v[2:5], v1 offset:1328
	scratch_load_b128 v[10:13], off, off offset:656
	v_add_f64_e32 v[153:154], v[153:154], v[163:164]
	v_add_f64_e32 v[155:156], v[155:156], v[159:160]
	v_fma_f64 v[157:158], v[8:9], v[14:15], v[157:158]
	v_fma_f64 v[163:164], v[6:7], v[14:15], -v[16:17]
	ds_load_b128 v[6:9], v1 offset:1344
	s_wait_loadcnt_dscnt 0x801
	v_mul_f64_e32 v[159:160], v[2:3], v[20:21]
	v_mul_f64_e32 v[20:21], v[4:5], v[20:21]
	scratch_load_b128 v[14:17], off, off offset:672
	;; [unrolled: 18-line block ×6, first 2 shown]
	v_add_f64_e32 v[153:154], v[153:154], v[165:166]
	v_add_f64_e32 v[155:156], v[155:156], v[159:160]
	s_wait_loadcnt_dscnt 0x800
	v_mul_f64_e32 v[159:160], v[6:7], v[16:17]
	v_mul_f64_e32 v[16:17], v[8:9], v[16:17]
	v_fma_f64 v[157:158], v[4:5], v[10:11], v[157:158]
	v_fma_f64 v[165:166], v[2:3], v[10:11], -v[12:13]
	ds_load_b128 v[2:5], v1 offset:1488
	scratch_load_b128 v[10:13], off, off offset:816
	v_add_f64_e32 v[153:154], v[153:154], v[163:164]
	v_add_f64_e32 v[155:156], v[155:156], v[161:162]
	v_fma_f64 v[159:160], v[8:9], v[14:15], v[159:160]
	v_fma_f64 v[14:15], v[6:7], v[14:15], -v[16:17]
	ds_load_b128 v[6:9], v1 offset:1504
	s_wait_loadcnt_dscnt 0x801
	v_mul_f64_e32 v[161:162], v[2:3], v[20:21]
	v_mul_f64_e32 v[20:21], v[4:5], v[20:21]
	v_add_f64_e32 v[16:17], v[153:154], v[165:166]
	v_add_f64_e32 v[153:154], v[155:156], v[157:158]
	s_wait_loadcnt_dscnt 0x700
	v_mul_f64_e32 v[155:156], v[6:7], v[24:25]
	v_mul_f64_e32 v[24:25], v[8:9], v[24:25]
	v_fma_f64 v[157:158], v[4:5], v[18:19], v[161:162]
	v_fma_f64 v[18:19], v[2:3], v[18:19], -v[20:21]
	ds_load_b128 v[2:5], v1 offset:1520
	v_add_f64_e32 v[14:15], v[16:17], v[14:15]
	v_add_f64_e32 v[16:17], v[153:154], v[159:160]
	v_fma_f64 v[153:154], v[8:9], v[22:23], v[155:156]
	v_fma_f64 v[22:23], v[6:7], v[22:23], -v[24:25]
	ds_load_b128 v[6:9], v1 offset:1536
	s_wait_loadcnt_dscnt 0x500
	v_mul_f64_e32 v[155:156], v[6:7], v[32:33]
	v_mul_f64_e32 v[32:33], v[8:9], v[32:33]
	v_add_f64_e32 v[18:19], v[14:15], v[18:19]
	v_add_f64_e32 v[24:25], v[16:17], v[157:158]
	scratch_load_b128 v[14:17], off, off offset:288
	v_mul_f64_e32 v[20:21], v[2:3], v[28:29]
	v_mul_f64_e32 v[28:29], v[4:5], v[28:29]
	v_add_f64_e32 v[18:19], v[18:19], v[22:23]
	v_add_f64_e32 v[22:23], v[24:25], v[153:154]
	s_delay_alu instid0(VALU_DEP_4) | instskip(NEXT) | instid1(VALU_DEP_4)
	v_fma_f64 v[20:21], v[4:5], v[26:27], v[20:21]
	v_fma_f64 v[26:27], v[2:3], v[26:27], -v[28:29]
	ds_load_b128 v[2:5], v1 offset:1552
	s_wait_loadcnt_dscnt 0x500
	v_mul_f64_e32 v[24:25], v[2:3], v[40:41]
	v_mul_f64_e32 v[28:29], v[4:5], v[40:41]
	v_fma_f64 v[40:41], v[8:9], v[30:31], v[155:156]
	v_fma_f64 v[30:31], v[6:7], v[30:31], -v[32:33]
	ds_load_b128 v[6:9], v1 offset:1568
	v_add_f64_e32 v[20:21], v[22:23], v[20:21]
	v_add_f64_e32 v[18:19], v[18:19], v[26:27]
	v_fma_f64 v[24:25], v[4:5], v[38:39], v[24:25]
	v_fma_f64 v[28:29], v[2:3], v[38:39], -v[28:29]
	ds_load_b128 v[2:5], v1 offset:1584
	s_wait_loadcnt_dscnt 0x401
	v_mul_f64_e32 v[22:23], v[6:7], v[151:152]
	v_mul_f64_e32 v[26:27], v[8:9], v[151:152]
	v_add_f64_e32 v[20:21], v[20:21], v[40:41]
	v_add_f64_e32 v[18:19], v[18:19], v[30:31]
	s_wait_loadcnt_dscnt 0x300
	v_mul_f64_e32 v[30:31], v[2:3], v[36:37]
	v_mul_f64_e32 v[32:33], v[4:5], v[36:37]
	v_fma_f64 v[22:23], v[8:9], v[149:150], v[22:23]
	v_fma_f64 v[26:27], v[6:7], v[149:150], -v[26:27]
	ds_load_b128 v[6:9], v1 offset:1600
	v_add_f64_e32 v[20:21], v[20:21], v[24:25]
	v_add_f64_e32 v[18:19], v[18:19], v[28:29]
	v_fma_f64 v[30:31], v[4:5], v[34:35], v[30:31]
	v_fma_f64 v[32:33], v[2:3], v[34:35], -v[32:33]
	ds_load_b128 v[2:5], v1 offset:1616
	s_wait_loadcnt_dscnt 0x201
	v_mul_f64_e32 v[24:25], v[6:7], v[147:148]
	v_mul_f64_e32 v[28:29], v[8:9], v[147:148]
	v_add_f64_e32 v[20:21], v[20:21], v[22:23]
	v_add_f64_e32 v[18:19], v[18:19], v[26:27]
	s_wait_loadcnt_dscnt 0x100
	v_mul_f64_e32 v[22:23], v[2:3], v[12:13]
	v_mul_f64_e32 v[12:13], v[4:5], v[12:13]
	v_fma_f64 v[8:9], v[8:9], v[145:146], v[24:25]
	v_fma_f64 v[6:7], v[6:7], v[145:146], -v[28:29]
	v_add_f64_e32 v[20:21], v[20:21], v[30:31]
	v_add_f64_e32 v[18:19], v[18:19], v[32:33]
	v_fma_f64 v[4:5], v[4:5], v[10:11], v[22:23]
	v_fma_f64 v[2:3], v[2:3], v[10:11], -v[12:13]
	s_delay_alu instid0(VALU_DEP_4) | instskip(NEXT) | instid1(VALU_DEP_4)
	v_add_f64_e32 v[8:9], v[20:21], v[8:9]
	v_add_f64_e32 v[6:7], v[18:19], v[6:7]
	s_delay_alu instid0(VALU_DEP_2) | instskip(NEXT) | instid1(VALU_DEP_2)
	v_add_f64_e32 v[4:5], v[8:9], v[4:5]
	v_add_f64_e32 v[2:3], v[6:7], v[2:3]
	s_wait_loadcnt 0x0
	s_delay_alu instid0(VALU_DEP_2) | instskip(NEXT) | instid1(VALU_DEP_2)
	v_add_f64_e64 v[4:5], v[16:17], -v[4:5]
	v_add_f64_e64 v[2:3], v[14:15], -v[2:3]
	scratch_store_b128 off, v[2:5], off offset:288
	v_cmpx_lt_u32_e32 16, v0
	s_cbranch_execz .LBB114_287
; %bb.286:
	scratch_load_b128 v[5:8], off, s48
	v_dual_mov_b32 v2, v1 :: v_dual_mov_b32 v3, v1
	v_mov_b32_e32 v4, v1
	scratch_store_b128 off, v[1:4], off offset:272
	s_wait_loadcnt 0x0
	ds_store_b128 v144, v[5:8]
.LBB114_287:
	s_wait_alu 0xfffe
	s_or_b32 exec_lo, exec_lo, s0
	s_wait_storecnt_dscnt 0x0
	s_barrier_signal -1
	s_barrier_wait -1
	global_inv scope:SCOPE_SE
	s_clause 0x7
	scratch_load_b128 v[2:5], off, off offset:288
	scratch_load_b128 v[6:9], off, off offset:304
	;; [unrolled: 1-line block ×8, first 2 shown]
	ds_load_b128 v[38:41], v1 offset:1088
	ds_load_b128 v[145:148], v1 offset:1104
	s_clause 0x1
	scratch_load_b128 v[34:37], off, off offset:416
	scratch_load_b128 v[149:152], off, off offset:432
	s_mov_b32 s0, exec_lo
	s_wait_loadcnt_dscnt 0x901
	v_mul_f64_e32 v[153:154], v[40:41], v[4:5]
	v_mul_f64_e32 v[4:5], v[38:39], v[4:5]
	s_wait_loadcnt_dscnt 0x800
	v_mul_f64_e32 v[155:156], v[145:146], v[8:9]
	v_mul_f64_e32 v[8:9], v[147:148], v[8:9]
	s_delay_alu instid0(VALU_DEP_4) | instskip(NEXT) | instid1(VALU_DEP_4)
	v_fma_f64 v[153:154], v[38:39], v[2:3], -v[153:154]
	v_fma_f64 v[157:158], v[40:41], v[2:3], v[4:5]
	ds_load_b128 v[2:5], v1 offset:1120
	scratch_load_b128 v[38:41], off, off offset:448
	v_fma_f64 v[155:156], v[147:148], v[6:7], v[155:156]
	v_fma_f64 v[161:162], v[145:146], v[6:7], -v[8:9]
	ds_load_b128 v[6:9], v1 offset:1136
	scratch_load_b128 v[145:148], off, off offset:464
	s_wait_loadcnt_dscnt 0x901
	v_mul_f64_e32 v[159:160], v[2:3], v[12:13]
	v_mul_f64_e32 v[12:13], v[4:5], v[12:13]
	s_wait_loadcnt_dscnt 0x800
	v_mul_f64_e32 v[163:164], v[6:7], v[16:17]
	v_mul_f64_e32 v[16:17], v[8:9], v[16:17]
	v_add_f64_e32 v[153:154], 0, v[153:154]
	v_add_f64_e32 v[157:158], 0, v[157:158]
	v_fma_f64 v[159:160], v[4:5], v[10:11], v[159:160]
	v_fma_f64 v[165:166], v[2:3], v[10:11], -v[12:13]
	ds_load_b128 v[2:5], v1 offset:1152
	scratch_load_b128 v[10:13], off, off offset:480
	v_add_f64_e32 v[153:154], v[153:154], v[161:162]
	v_add_f64_e32 v[155:156], v[157:158], v[155:156]
	v_fma_f64 v[161:162], v[8:9], v[14:15], v[163:164]
	v_fma_f64 v[163:164], v[6:7], v[14:15], -v[16:17]
	ds_load_b128 v[6:9], v1 offset:1168
	scratch_load_b128 v[14:17], off, off offset:496
	s_wait_loadcnt_dscnt 0x901
	v_mul_f64_e32 v[157:158], v[2:3], v[20:21]
	v_mul_f64_e32 v[20:21], v[4:5], v[20:21]
	v_add_f64_e32 v[153:154], v[153:154], v[165:166]
	v_add_f64_e32 v[155:156], v[155:156], v[159:160]
	s_wait_loadcnt_dscnt 0x800
	v_mul_f64_e32 v[159:160], v[6:7], v[24:25]
	v_mul_f64_e32 v[24:25], v[8:9], v[24:25]
	v_fma_f64 v[157:158], v[4:5], v[18:19], v[157:158]
	v_fma_f64 v[165:166], v[2:3], v[18:19], -v[20:21]
	ds_load_b128 v[2:5], v1 offset:1184
	scratch_load_b128 v[18:21], off, off offset:512
	v_add_f64_e32 v[153:154], v[153:154], v[163:164]
	v_add_f64_e32 v[155:156], v[155:156], v[161:162]
	v_fma_f64 v[159:160], v[8:9], v[22:23], v[159:160]
	v_fma_f64 v[163:164], v[6:7], v[22:23], -v[24:25]
	ds_load_b128 v[6:9], v1 offset:1200
	s_wait_loadcnt_dscnt 0x801
	v_mul_f64_e32 v[161:162], v[2:3], v[28:29]
	v_mul_f64_e32 v[28:29], v[4:5], v[28:29]
	scratch_load_b128 v[22:25], off, off offset:528
	v_add_f64_e32 v[153:154], v[153:154], v[165:166]
	v_add_f64_e32 v[155:156], v[155:156], v[157:158]
	s_wait_loadcnt_dscnt 0x800
	v_mul_f64_e32 v[157:158], v[6:7], v[32:33]
	v_mul_f64_e32 v[32:33], v[8:9], v[32:33]
	v_fma_f64 v[161:162], v[4:5], v[26:27], v[161:162]
	v_fma_f64 v[165:166], v[2:3], v[26:27], -v[28:29]
	ds_load_b128 v[2:5], v1 offset:1216
	scratch_load_b128 v[26:29], off, off offset:544
	v_add_f64_e32 v[153:154], v[153:154], v[163:164]
	v_add_f64_e32 v[155:156], v[155:156], v[159:160]
	v_fma_f64 v[157:158], v[8:9], v[30:31], v[157:158]
	v_fma_f64 v[163:164], v[6:7], v[30:31], -v[32:33]
	ds_load_b128 v[6:9], v1 offset:1232
	s_wait_loadcnt_dscnt 0x801
	v_mul_f64_e32 v[159:160], v[2:3], v[36:37]
	v_mul_f64_e32 v[36:37], v[4:5], v[36:37]
	scratch_load_b128 v[30:33], off, off offset:560
	v_add_f64_e32 v[153:154], v[153:154], v[165:166]
	v_add_f64_e32 v[155:156], v[155:156], v[161:162]
	s_wait_loadcnt_dscnt 0x800
	v_mul_f64_e32 v[161:162], v[6:7], v[151:152]
	v_mul_f64_e32 v[151:152], v[8:9], v[151:152]
	v_fma_f64 v[159:160], v[4:5], v[34:35], v[159:160]
	v_fma_f64 v[165:166], v[2:3], v[34:35], -v[36:37]
	ds_load_b128 v[2:5], v1 offset:1248
	scratch_load_b128 v[34:37], off, off offset:576
	v_add_f64_e32 v[153:154], v[153:154], v[163:164]
	v_add_f64_e32 v[155:156], v[155:156], v[157:158]
	v_fma_f64 v[161:162], v[8:9], v[149:150], v[161:162]
	v_fma_f64 v[163:164], v[6:7], v[149:150], -v[151:152]
	ds_load_b128 v[6:9], v1 offset:1264
	scratch_load_b128 v[149:152], off, off offset:592
	s_wait_loadcnt_dscnt 0x901
	v_mul_f64_e32 v[157:158], v[2:3], v[40:41]
	v_mul_f64_e32 v[40:41], v[4:5], v[40:41]
	v_add_f64_e32 v[153:154], v[153:154], v[165:166]
	v_add_f64_e32 v[155:156], v[155:156], v[159:160]
	s_wait_loadcnt_dscnt 0x800
	v_mul_f64_e32 v[159:160], v[6:7], v[147:148]
	v_mul_f64_e32 v[147:148], v[8:9], v[147:148]
	v_fma_f64 v[157:158], v[4:5], v[38:39], v[157:158]
	v_fma_f64 v[165:166], v[2:3], v[38:39], -v[40:41]
	ds_load_b128 v[2:5], v1 offset:1280
	scratch_load_b128 v[38:41], off, off offset:608
	v_add_f64_e32 v[153:154], v[153:154], v[163:164]
	v_add_f64_e32 v[155:156], v[155:156], v[161:162]
	v_fma_f64 v[159:160], v[8:9], v[145:146], v[159:160]
	v_fma_f64 v[163:164], v[6:7], v[145:146], -v[147:148]
	ds_load_b128 v[6:9], v1 offset:1296
	s_wait_loadcnt_dscnt 0x801
	v_mul_f64_e32 v[161:162], v[2:3], v[12:13]
	v_mul_f64_e32 v[12:13], v[4:5], v[12:13]
	scratch_load_b128 v[145:148], off, off offset:624
	v_add_f64_e32 v[153:154], v[153:154], v[165:166]
	v_add_f64_e32 v[155:156], v[155:156], v[157:158]
	s_wait_loadcnt_dscnt 0x800
	v_mul_f64_e32 v[157:158], v[6:7], v[16:17]
	v_mul_f64_e32 v[16:17], v[8:9], v[16:17]
	v_fma_f64 v[161:162], v[4:5], v[10:11], v[161:162]
	v_fma_f64 v[165:166], v[2:3], v[10:11], -v[12:13]
	ds_load_b128 v[2:5], v1 offset:1312
	scratch_load_b128 v[10:13], off, off offset:640
	v_add_f64_e32 v[153:154], v[153:154], v[163:164]
	v_add_f64_e32 v[155:156], v[155:156], v[159:160]
	v_fma_f64 v[157:158], v[8:9], v[14:15], v[157:158]
	v_fma_f64 v[163:164], v[6:7], v[14:15], -v[16:17]
	ds_load_b128 v[6:9], v1 offset:1328
	s_wait_loadcnt_dscnt 0x801
	v_mul_f64_e32 v[159:160], v[2:3], v[20:21]
	v_mul_f64_e32 v[20:21], v[4:5], v[20:21]
	scratch_load_b128 v[14:17], off, off offset:656
	;; [unrolled: 18-line block ×7, first 2 shown]
	v_add_f64_e32 v[153:154], v[153:154], v[165:166]
	v_add_f64_e32 v[155:156], v[155:156], v[157:158]
	s_wait_loadcnt_dscnt 0x800
	v_mul_f64_e32 v[157:158], v[6:7], v[24:25]
	v_mul_f64_e32 v[24:25], v[8:9], v[24:25]
	v_fma_f64 v[161:162], v[4:5], v[18:19], v[161:162]
	v_fma_f64 v[18:19], v[2:3], v[18:19], -v[20:21]
	ds_load_b128 v[2:5], v1 offset:1504
	v_add_f64_e32 v[20:21], v[153:154], v[163:164]
	v_add_f64_e32 v[153:154], v[155:156], v[159:160]
	v_fma_f64 v[157:158], v[8:9], v[22:23], v[157:158]
	v_fma_f64 v[22:23], v[6:7], v[22:23], -v[24:25]
	ds_load_b128 v[6:9], v1 offset:1520
	s_wait_loadcnt_dscnt 0x701
	v_mul_f64_e32 v[155:156], v[2:3], v[28:29]
	v_mul_f64_e32 v[28:29], v[4:5], v[28:29]
	v_add_f64_e32 v[18:19], v[20:21], v[18:19]
	v_add_f64_e32 v[20:21], v[153:154], v[161:162]
	s_delay_alu instid0(VALU_DEP_4) | instskip(NEXT) | instid1(VALU_DEP_4)
	v_fma_f64 v[153:154], v[4:5], v[26:27], v[155:156]
	v_fma_f64 v[26:27], v[2:3], v[26:27], -v[28:29]
	ds_load_b128 v[2:5], v1 offset:1536
	v_add_f64_e32 v[22:23], v[18:19], v[22:23]
	v_add_f64_e32 v[28:29], v[20:21], v[157:158]
	scratch_load_b128 v[18:21], off, off offset:272
	s_wait_loadcnt_dscnt 0x701
	v_mul_f64_e32 v[24:25], v[6:7], v[32:33]
	v_mul_f64_e32 v[32:33], v[8:9], v[32:33]
	v_add_f64_e32 v[22:23], v[22:23], v[26:27]
	v_add_f64_e32 v[26:27], v[28:29], v[153:154]
	s_delay_alu instid0(VALU_DEP_4) | instskip(NEXT) | instid1(VALU_DEP_4)
	v_fma_f64 v[24:25], v[8:9], v[30:31], v[24:25]
	v_fma_f64 v[30:31], v[6:7], v[30:31], -v[32:33]
	ds_load_b128 v[6:9], v1 offset:1552
	s_wait_loadcnt_dscnt 0x601
	v_mul_f64_e32 v[155:156], v[2:3], v[36:37]
	v_mul_f64_e32 v[36:37], v[4:5], v[36:37]
	s_wait_loadcnt_dscnt 0x500
	v_mul_f64_e32 v[28:29], v[6:7], v[151:152]
	v_mul_f64_e32 v[32:33], v[8:9], v[151:152]
	v_add_f64_e32 v[24:25], v[26:27], v[24:25]
	v_add_f64_e32 v[22:23], v[22:23], v[30:31]
	v_fma_f64 v[151:152], v[4:5], v[34:35], v[155:156]
	v_fma_f64 v[34:35], v[2:3], v[34:35], -v[36:37]
	ds_load_b128 v[2:5], v1 offset:1568
	v_fma_f64 v[28:29], v[8:9], v[149:150], v[28:29]
	v_fma_f64 v[32:33], v[6:7], v[149:150], -v[32:33]
	ds_load_b128 v[6:9], v1 offset:1584
	s_wait_loadcnt_dscnt 0x401
	v_mul_f64_e32 v[26:27], v[2:3], v[40:41]
	v_mul_f64_e32 v[30:31], v[4:5], v[40:41]
	v_add_f64_e32 v[24:25], v[24:25], v[151:152]
	v_add_f64_e32 v[22:23], v[22:23], v[34:35]
	s_wait_loadcnt_dscnt 0x300
	v_mul_f64_e32 v[34:35], v[6:7], v[147:148]
	v_mul_f64_e32 v[36:37], v[8:9], v[147:148]
	v_fma_f64 v[26:27], v[4:5], v[38:39], v[26:27]
	v_fma_f64 v[30:31], v[2:3], v[38:39], -v[30:31]
	ds_load_b128 v[2:5], v1 offset:1600
	v_add_f64_e32 v[24:25], v[24:25], v[28:29]
	v_add_f64_e32 v[22:23], v[22:23], v[32:33]
	v_fma_f64 v[32:33], v[8:9], v[145:146], v[34:35]
	v_fma_f64 v[34:35], v[6:7], v[145:146], -v[36:37]
	ds_load_b128 v[6:9], v1 offset:1616
	s_wait_loadcnt_dscnt 0x201
	v_mul_f64_e32 v[28:29], v[2:3], v[12:13]
	v_mul_f64_e32 v[12:13], v[4:5], v[12:13]
	v_add_f64_e32 v[24:25], v[24:25], v[26:27]
	v_add_f64_e32 v[22:23], v[22:23], v[30:31]
	s_wait_loadcnt_dscnt 0x100
	v_mul_f64_e32 v[26:27], v[6:7], v[16:17]
	v_mul_f64_e32 v[16:17], v[8:9], v[16:17]
	v_fma_f64 v[4:5], v[4:5], v[10:11], v[28:29]
	v_fma_f64 v[1:2], v[2:3], v[10:11], -v[12:13]
	v_add_f64_e32 v[12:13], v[24:25], v[32:33]
	v_add_f64_e32 v[10:11], v[22:23], v[34:35]
	v_fma_f64 v[8:9], v[8:9], v[14:15], v[26:27]
	v_fma_f64 v[6:7], v[6:7], v[14:15], -v[16:17]
	s_delay_alu instid0(VALU_DEP_4) | instskip(NEXT) | instid1(VALU_DEP_4)
	v_add_f64_e32 v[3:4], v[12:13], v[4:5]
	v_add_f64_e32 v[1:2], v[10:11], v[1:2]
	s_delay_alu instid0(VALU_DEP_2) | instskip(NEXT) | instid1(VALU_DEP_2)
	v_add_f64_e32 v[3:4], v[3:4], v[8:9]
	v_add_f64_e32 v[1:2], v[1:2], v[6:7]
	s_wait_loadcnt 0x0
	s_delay_alu instid0(VALU_DEP_2) | instskip(NEXT) | instid1(VALU_DEP_2)
	v_add_f64_e64 v[3:4], v[20:21], -v[3:4]
	v_add_f64_e64 v[1:2], v[18:19], -v[1:2]
	scratch_store_b128 off, v[1:4], off offset:272
	v_cmpx_lt_u32_e32 15, v0
	s_cbranch_execz .LBB114_289
; %bb.288:
	scratch_load_b128 v[1:4], off, s49
	v_mov_b32_e32 v5, 0
	s_delay_alu instid0(VALU_DEP_1)
	v_dual_mov_b32 v6, v5 :: v_dual_mov_b32 v7, v5
	v_mov_b32_e32 v8, v5
	scratch_store_b128 off, v[5:8], off offset:256
	s_wait_loadcnt 0x0
	ds_store_b128 v144, v[1:4]
.LBB114_289:
	s_wait_alu 0xfffe
	s_or_b32 exec_lo, exec_lo, s0
	s_wait_storecnt_dscnt 0x0
	s_barrier_signal -1
	s_barrier_wait -1
	global_inv scope:SCOPE_SE
	s_clause 0x7
	scratch_load_b128 v[2:5], off, off offset:272
	scratch_load_b128 v[6:9], off, off offset:288
	;; [unrolled: 1-line block ×8, first 2 shown]
	v_mov_b32_e32 v1, 0
	s_clause 0x1
	scratch_load_b128 v[34:37], off, off offset:400
	scratch_load_b128 v[149:152], off, off offset:416
	s_mov_b32 s0, exec_lo
	ds_load_b128 v[38:41], v1 offset:1072
	ds_load_b128 v[145:148], v1 offset:1088
	s_wait_loadcnt_dscnt 0x901
	v_mul_f64_e32 v[153:154], v[40:41], v[4:5]
	v_mul_f64_e32 v[4:5], v[38:39], v[4:5]
	s_wait_loadcnt_dscnt 0x800
	v_mul_f64_e32 v[155:156], v[145:146], v[8:9]
	v_mul_f64_e32 v[8:9], v[147:148], v[8:9]
	s_delay_alu instid0(VALU_DEP_4) | instskip(NEXT) | instid1(VALU_DEP_4)
	v_fma_f64 v[153:154], v[38:39], v[2:3], -v[153:154]
	v_fma_f64 v[157:158], v[40:41], v[2:3], v[4:5]
	ds_load_b128 v[2:5], v1 offset:1104
	scratch_load_b128 v[38:41], off, off offset:432
	v_fma_f64 v[155:156], v[147:148], v[6:7], v[155:156]
	v_fma_f64 v[161:162], v[145:146], v[6:7], -v[8:9]
	ds_load_b128 v[6:9], v1 offset:1120
	scratch_load_b128 v[145:148], off, off offset:448
	s_wait_loadcnt_dscnt 0x901
	v_mul_f64_e32 v[159:160], v[2:3], v[12:13]
	v_mul_f64_e32 v[12:13], v[4:5], v[12:13]
	s_wait_loadcnt_dscnt 0x800
	v_mul_f64_e32 v[163:164], v[6:7], v[16:17]
	v_mul_f64_e32 v[16:17], v[8:9], v[16:17]
	v_add_f64_e32 v[153:154], 0, v[153:154]
	v_add_f64_e32 v[157:158], 0, v[157:158]
	v_fma_f64 v[159:160], v[4:5], v[10:11], v[159:160]
	v_fma_f64 v[165:166], v[2:3], v[10:11], -v[12:13]
	ds_load_b128 v[2:5], v1 offset:1136
	scratch_load_b128 v[10:13], off, off offset:464
	v_add_f64_e32 v[153:154], v[153:154], v[161:162]
	v_add_f64_e32 v[155:156], v[157:158], v[155:156]
	v_fma_f64 v[161:162], v[8:9], v[14:15], v[163:164]
	v_fma_f64 v[163:164], v[6:7], v[14:15], -v[16:17]
	ds_load_b128 v[6:9], v1 offset:1152
	scratch_load_b128 v[14:17], off, off offset:480
	s_wait_loadcnt_dscnt 0x901
	v_mul_f64_e32 v[157:158], v[2:3], v[20:21]
	v_mul_f64_e32 v[20:21], v[4:5], v[20:21]
	v_add_f64_e32 v[153:154], v[153:154], v[165:166]
	v_add_f64_e32 v[155:156], v[155:156], v[159:160]
	s_wait_loadcnt_dscnt 0x800
	v_mul_f64_e32 v[159:160], v[6:7], v[24:25]
	v_mul_f64_e32 v[24:25], v[8:9], v[24:25]
	v_fma_f64 v[157:158], v[4:5], v[18:19], v[157:158]
	v_fma_f64 v[165:166], v[2:3], v[18:19], -v[20:21]
	ds_load_b128 v[2:5], v1 offset:1168
	scratch_load_b128 v[18:21], off, off offset:496
	v_add_f64_e32 v[153:154], v[153:154], v[163:164]
	v_add_f64_e32 v[155:156], v[155:156], v[161:162]
	v_fma_f64 v[159:160], v[8:9], v[22:23], v[159:160]
	v_fma_f64 v[163:164], v[6:7], v[22:23], -v[24:25]
	ds_load_b128 v[6:9], v1 offset:1184
	s_wait_loadcnt_dscnt 0x801
	v_mul_f64_e32 v[161:162], v[2:3], v[28:29]
	v_mul_f64_e32 v[28:29], v[4:5], v[28:29]
	scratch_load_b128 v[22:25], off, off offset:512
	v_add_f64_e32 v[153:154], v[153:154], v[165:166]
	v_add_f64_e32 v[155:156], v[155:156], v[157:158]
	s_wait_loadcnt_dscnt 0x800
	v_mul_f64_e32 v[157:158], v[6:7], v[32:33]
	v_mul_f64_e32 v[32:33], v[8:9], v[32:33]
	v_fma_f64 v[161:162], v[4:5], v[26:27], v[161:162]
	v_fma_f64 v[165:166], v[2:3], v[26:27], -v[28:29]
	ds_load_b128 v[2:5], v1 offset:1200
	scratch_load_b128 v[26:29], off, off offset:528
	v_add_f64_e32 v[153:154], v[153:154], v[163:164]
	v_add_f64_e32 v[155:156], v[155:156], v[159:160]
	v_fma_f64 v[157:158], v[8:9], v[30:31], v[157:158]
	v_fma_f64 v[163:164], v[6:7], v[30:31], -v[32:33]
	ds_load_b128 v[6:9], v1 offset:1216
	s_wait_loadcnt_dscnt 0x801
	v_mul_f64_e32 v[159:160], v[2:3], v[36:37]
	v_mul_f64_e32 v[36:37], v[4:5], v[36:37]
	scratch_load_b128 v[30:33], off, off offset:544
	v_add_f64_e32 v[153:154], v[153:154], v[165:166]
	v_add_f64_e32 v[155:156], v[155:156], v[161:162]
	s_wait_loadcnt_dscnt 0x800
	v_mul_f64_e32 v[161:162], v[6:7], v[151:152]
	v_mul_f64_e32 v[151:152], v[8:9], v[151:152]
	v_fma_f64 v[159:160], v[4:5], v[34:35], v[159:160]
	v_fma_f64 v[165:166], v[2:3], v[34:35], -v[36:37]
	ds_load_b128 v[2:5], v1 offset:1232
	scratch_load_b128 v[34:37], off, off offset:560
	v_add_f64_e32 v[153:154], v[153:154], v[163:164]
	v_add_f64_e32 v[155:156], v[155:156], v[157:158]
	v_fma_f64 v[161:162], v[8:9], v[149:150], v[161:162]
	v_fma_f64 v[163:164], v[6:7], v[149:150], -v[151:152]
	ds_load_b128 v[6:9], v1 offset:1248
	scratch_load_b128 v[149:152], off, off offset:576
	s_wait_loadcnt_dscnt 0x901
	v_mul_f64_e32 v[157:158], v[2:3], v[40:41]
	v_mul_f64_e32 v[40:41], v[4:5], v[40:41]
	v_add_f64_e32 v[153:154], v[153:154], v[165:166]
	v_add_f64_e32 v[155:156], v[155:156], v[159:160]
	s_wait_loadcnt_dscnt 0x800
	v_mul_f64_e32 v[159:160], v[6:7], v[147:148]
	v_mul_f64_e32 v[147:148], v[8:9], v[147:148]
	v_fma_f64 v[157:158], v[4:5], v[38:39], v[157:158]
	v_fma_f64 v[165:166], v[2:3], v[38:39], -v[40:41]
	ds_load_b128 v[2:5], v1 offset:1264
	scratch_load_b128 v[38:41], off, off offset:592
	v_add_f64_e32 v[153:154], v[153:154], v[163:164]
	v_add_f64_e32 v[155:156], v[155:156], v[161:162]
	v_fma_f64 v[159:160], v[8:9], v[145:146], v[159:160]
	v_fma_f64 v[163:164], v[6:7], v[145:146], -v[147:148]
	ds_load_b128 v[6:9], v1 offset:1280
	s_wait_loadcnt_dscnt 0x801
	v_mul_f64_e32 v[161:162], v[2:3], v[12:13]
	v_mul_f64_e32 v[12:13], v[4:5], v[12:13]
	scratch_load_b128 v[145:148], off, off offset:608
	v_add_f64_e32 v[153:154], v[153:154], v[165:166]
	v_add_f64_e32 v[155:156], v[155:156], v[157:158]
	s_wait_loadcnt_dscnt 0x800
	v_mul_f64_e32 v[157:158], v[6:7], v[16:17]
	v_mul_f64_e32 v[16:17], v[8:9], v[16:17]
	v_fma_f64 v[161:162], v[4:5], v[10:11], v[161:162]
	v_fma_f64 v[165:166], v[2:3], v[10:11], -v[12:13]
	ds_load_b128 v[2:5], v1 offset:1296
	scratch_load_b128 v[10:13], off, off offset:624
	v_add_f64_e32 v[153:154], v[153:154], v[163:164]
	v_add_f64_e32 v[155:156], v[155:156], v[159:160]
	v_fma_f64 v[157:158], v[8:9], v[14:15], v[157:158]
	v_fma_f64 v[163:164], v[6:7], v[14:15], -v[16:17]
	ds_load_b128 v[6:9], v1 offset:1312
	s_wait_loadcnt_dscnt 0x801
	v_mul_f64_e32 v[159:160], v[2:3], v[20:21]
	v_mul_f64_e32 v[20:21], v[4:5], v[20:21]
	scratch_load_b128 v[14:17], off, off offset:640
	;; [unrolled: 18-line block ×7, first 2 shown]
	v_add_f64_e32 v[153:154], v[153:154], v[165:166]
	v_add_f64_e32 v[155:156], v[155:156], v[157:158]
	s_wait_loadcnt_dscnt 0x800
	v_mul_f64_e32 v[157:158], v[6:7], v[24:25]
	v_mul_f64_e32 v[24:25], v[8:9], v[24:25]
	v_fma_f64 v[161:162], v[4:5], v[18:19], v[161:162]
	v_fma_f64 v[165:166], v[2:3], v[18:19], -v[20:21]
	ds_load_b128 v[2:5], v1 offset:1488
	scratch_load_b128 v[18:21], off, off offset:816
	v_add_f64_e32 v[153:154], v[153:154], v[163:164]
	v_add_f64_e32 v[155:156], v[155:156], v[159:160]
	v_fma_f64 v[157:158], v[8:9], v[22:23], v[157:158]
	v_fma_f64 v[22:23], v[6:7], v[22:23], -v[24:25]
	ds_load_b128 v[6:9], v1 offset:1504
	s_wait_loadcnt_dscnt 0x801
	v_mul_f64_e32 v[159:160], v[2:3], v[28:29]
	v_mul_f64_e32 v[28:29], v[4:5], v[28:29]
	v_add_f64_e32 v[24:25], v[153:154], v[165:166]
	v_add_f64_e32 v[153:154], v[155:156], v[161:162]
	s_wait_loadcnt_dscnt 0x700
	v_mul_f64_e32 v[155:156], v[6:7], v[32:33]
	v_mul_f64_e32 v[32:33], v[8:9], v[32:33]
	v_fma_f64 v[159:160], v[4:5], v[26:27], v[159:160]
	v_fma_f64 v[26:27], v[2:3], v[26:27], -v[28:29]
	ds_load_b128 v[2:5], v1 offset:1520
	v_add_f64_e32 v[22:23], v[24:25], v[22:23]
	v_add_f64_e32 v[24:25], v[153:154], v[157:158]
	v_fma_f64 v[153:154], v[8:9], v[30:31], v[155:156]
	v_fma_f64 v[30:31], v[6:7], v[30:31], -v[32:33]
	ds_load_b128 v[6:9], v1 offset:1536
	s_wait_loadcnt_dscnt 0x500
	v_mul_f64_e32 v[155:156], v[6:7], v[151:152]
	v_mul_f64_e32 v[151:152], v[8:9], v[151:152]
	v_add_f64_e32 v[26:27], v[22:23], v[26:27]
	v_add_f64_e32 v[32:33], v[24:25], v[159:160]
	scratch_load_b128 v[22:25], off, off offset:256
	v_mul_f64_e32 v[28:29], v[2:3], v[36:37]
	v_mul_f64_e32 v[36:37], v[4:5], v[36:37]
	v_add_f64_e32 v[26:27], v[26:27], v[30:31]
	v_add_f64_e32 v[30:31], v[32:33], v[153:154]
	s_delay_alu instid0(VALU_DEP_4) | instskip(NEXT) | instid1(VALU_DEP_4)
	v_fma_f64 v[28:29], v[4:5], v[34:35], v[28:29]
	v_fma_f64 v[34:35], v[2:3], v[34:35], -v[36:37]
	ds_load_b128 v[2:5], v1 offset:1552
	s_wait_loadcnt_dscnt 0x500
	v_mul_f64_e32 v[32:33], v[2:3], v[40:41]
	v_mul_f64_e32 v[36:37], v[4:5], v[40:41]
	v_fma_f64 v[40:41], v[8:9], v[149:150], v[155:156]
	v_fma_f64 v[149:150], v[6:7], v[149:150], -v[151:152]
	ds_load_b128 v[6:9], v1 offset:1568
	v_add_f64_e32 v[28:29], v[30:31], v[28:29]
	v_add_f64_e32 v[26:27], v[26:27], v[34:35]
	v_fma_f64 v[32:33], v[4:5], v[38:39], v[32:33]
	v_fma_f64 v[36:37], v[2:3], v[38:39], -v[36:37]
	ds_load_b128 v[2:5], v1 offset:1584
	s_wait_loadcnt_dscnt 0x401
	v_mul_f64_e32 v[30:31], v[6:7], v[147:148]
	v_mul_f64_e32 v[34:35], v[8:9], v[147:148]
	v_add_f64_e32 v[28:29], v[28:29], v[40:41]
	v_add_f64_e32 v[26:27], v[26:27], v[149:150]
	s_wait_loadcnt_dscnt 0x300
	v_mul_f64_e32 v[38:39], v[2:3], v[12:13]
	v_mul_f64_e32 v[12:13], v[4:5], v[12:13]
	v_fma_f64 v[30:31], v[8:9], v[145:146], v[30:31]
	v_fma_f64 v[34:35], v[6:7], v[145:146], -v[34:35]
	ds_load_b128 v[6:9], v1 offset:1600
	v_add_f64_e32 v[28:29], v[28:29], v[32:33]
	v_add_f64_e32 v[26:27], v[26:27], v[36:37]
	v_fma_f64 v[36:37], v[4:5], v[10:11], v[38:39]
	v_fma_f64 v[10:11], v[2:3], v[10:11], -v[12:13]
	ds_load_b128 v[2:5], v1 offset:1616
	s_wait_loadcnt_dscnt 0x201
	v_mul_f64_e32 v[32:33], v[6:7], v[16:17]
	v_mul_f64_e32 v[16:17], v[8:9], v[16:17]
	v_add_f64_e32 v[12:13], v[26:27], v[34:35]
	v_add_f64_e32 v[26:27], v[28:29], v[30:31]
	s_wait_loadcnt_dscnt 0x100
	v_mul_f64_e32 v[28:29], v[2:3], v[20:21]
	v_mul_f64_e32 v[20:21], v[4:5], v[20:21]
	v_fma_f64 v[8:9], v[8:9], v[14:15], v[32:33]
	v_fma_f64 v[6:7], v[6:7], v[14:15], -v[16:17]
	v_add_f64_e32 v[10:11], v[12:13], v[10:11]
	v_add_f64_e32 v[12:13], v[26:27], v[36:37]
	v_fma_f64 v[4:5], v[4:5], v[18:19], v[28:29]
	v_fma_f64 v[2:3], v[2:3], v[18:19], -v[20:21]
	s_delay_alu instid0(VALU_DEP_4) | instskip(NEXT) | instid1(VALU_DEP_4)
	v_add_f64_e32 v[6:7], v[10:11], v[6:7]
	v_add_f64_e32 v[8:9], v[12:13], v[8:9]
	s_delay_alu instid0(VALU_DEP_2) | instskip(NEXT) | instid1(VALU_DEP_2)
	v_add_f64_e32 v[2:3], v[6:7], v[2:3]
	v_add_f64_e32 v[4:5], v[8:9], v[4:5]
	s_wait_loadcnt 0x0
	s_delay_alu instid0(VALU_DEP_2) | instskip(NEXT) | instid1(VALU_DEP_2)
	v_add_f64_e64 v[2:3], v[22:23], -v[2:3]
	v_add_f64_e64 v[4:5], v[24:25], -v[4:5]
	scratch_store_b128 off, v[2:5], off offset:256
	v_cmpx_lt_u32_e32 14, v0
	s_cbranch_execz .LBB114_291
; %bb.290:
	scratch_load_b128 v[5:8], off, s50
	v_dual_mov_b32 v2, v1 :: v_dual_mov_b32 v3, v1
	v_mov_b32_e32 v4, v1
	scratch_store_b128 off, v[1:4], off offset:240
	s_wait_loadcnt 0x0
	ds_store_b128 v144, v[5:8]
.LBB114_291:
	s_wait_alu 0xfffe
	s_or_b32 exec_lo, exec_lo, s0
	s_wait_storecnt_dscnt 0x0
	s_barrier_signal -1
	s_barrier_wait -1
	global_inv scope:SCOPE_SE
	s_clause 0x7
	scratch_load_b128 v[2:5], off, off offset:256
	scratch_load_b128 v[6:9], off, off offset:272
	;; [unrolled: 1-line block ×8, first 2 shown]
	ds_load_b128 v[38:41], v1 offset:1056
	ds_load_b128 v[145:148], v1 offset:1072
	s_clause 0x1
	scratch_load_b128 v[34:37], off, off offset:384
	scratch_load_b128 v[149:152], off, off offset:400
	s_mov_b32 s0, exec_lo
	s_wait_loadcnt_dscnt 0x901
	v_mul_f64_e32 v[153:154], v[40:41], v[4:5]
	v_mul_f64_e32 v[4:5], v[38:39], v[4:5]
	s_wait_loadcnt_dscnt 0x800
	v_mul_f64_e32 v[155:156], v[145:146], v[8:9]
	v_mul_f64_e32 v[8:9], v[147:148], v[8:9]
	s_delay_alu instid0(VALU_DEP_4) | instskip(NEXT) | instid1(VALU_DEP_4)
	v_fma_f64 v[153:154], v[38:39], v[2:3], -v[153:154]
	v_fma_f64 v[157:158], v[40:41], v[2:3], v[4:5]
	ds_load_b128 v[2:5], v1 offset:1088
	scratch_load_b128 v[38:41], off, off offset:416
	v_fma_f64 v[155:156], v[147:148], v[6:7], v[155:156]
	v_fma_f64 v[161:162], v[145:146], v[6:7], -v[8:9]
	ds_load_b128 v[6:9], v1 offset:1104
	scratch_load_b128 v[145:148], off, off offset:432
	s_wait_loadcnt_dscnt 0x901
	v_mul_f64_e32 v[159:160], v[2:3], v[12:13]
	v_mul_f64_e32 v[12:13], v[4:5], v[12:13]
	s_wait_loadcnt_dscnt 0x800
	v_mul_f64_e32 v[163:164], v[6:7], v[16:17]
	v_mul_f64_e32 v[16:17], v[8:9], v[16:17]
	v_add_f64_e32 v[153:154], 0, v[153:154]
	v_add_f64_e32 v[157:158], 0, v[157:158]
	v_fma_f64 v[159:160], v[4:5], v[10:11], v[159:160]
	v_fma_f64 v[165:166], v[2:3], v[10:11], -v[12:13]
	ds_load_b128 v[2:5], v1 offset:1120
	scratch_load_b128 v[10:13], off, off offset:448
	v_add_f64_e32 v[153:154], v[153:154], v[161:162]
	v_add_f64_e32 v[155:156], v[157:158], v[155:156]
	v_fma_f64 v[161:162], v[8:9], v[14:15], v[163:164]
	v_fma_f64 v[163:164], v[6:7], v[14:15], -v[16:17]
	ds_load_b128 v[6:9], v1 offset:1136
	scratch_load_b128 v[14:17], off, off offset:464
	s_wait_loadcnt_dscnt 0x901
	v_mul_f64_e32 v[157:158], v[2:3], v[20:21]
	v_mul_f64_e32 v[20:21], v[4:5], v[20:21]
	v_add_f64_e32 v[153:154], v[153:154], v[165:166]
	v_add_f64_e32 v[155:156], v[155:156], v[159:160]
	s_wait_loadcnt_dscnt 0x800
	v_mul_f64_e32 v[159:160], v[6:7], v[24:25]
	v_mul_f64_e32 v[24:25], v[8:9], v[24:25]
	v_fma_f64 v[157:158], v[4:5], v[18:19], v[157:158]
	v_fma_f64 v[165:166], v[2:3], v[18:19], -v[20:21]
	ds_load_b128 v[2:5], v1 offset:1152
	scratch_load_b128 v[18:21], off, off offset:480
	v_add_f64_e32 v[153:154], v[153:154], v[163:164]
	v_add_f64_e32 v[155:156], v[155:156], v[161:162]
	v_fma_f64 v[159:160], v[8:9], v[22:23], v[159:160]
	v_fma_f64 v[163:164], v[6:7], v[22:23], -v[24:25]
	ds_load_b128 v[6:9], v1 offset:1168
	s_wait_loadcnt_dscnt 0x801
	v_mul_f64_e32 v[161:162], v[2:3], v[28:29]
	v_mul_f64_e32 v[28:29], v[4:5], v[28:29]
	scratch_load_b128 v[22:25], off, off offset:496
	v_add_f64_e32 v[153:154], v[153:154], v[165:166]
	v_add_f64_e32 v[155:156], v[155:156], v[157:158]
	s_wait_loadcnt_dscnt 0x800
	v_mul_f64_e32 v[157:158], v[6:7], v[32:33]
	v_mul_f64_e32 v[32:33], v[8:9], v[32:33]
	v_fma_f64 v[161:162], v[4:5], v[26:27], v[161:162]
	v_fma_f64 v[165:166], v[2:3], v[26:27], -v[28:29]
	ds_load_b128 v[2:5], v1 offset:1184
	scratch_load_b128 v[26:29], off, off offset:512
	v_add_f64_e32 v[153:154], v[153:154], v[163:164]
	v_add_f64_e32 v[155:156], v[155:156], v[159:160]
	v_fma_f64 v[157:158], v[8:9], v[30:31], v[157:158]
	v_fma_f64 v[163:164], v[6:7], v[30:31], -v[32:33]
	ds_load_b128 v[6:9], v1 offset:1200
	s_wait_loadcnt_dscnt 0x801
	v_mul_f64_e32 v[159:160], v[2:3], v[36:37]
	v_mul_f64_e32 v[36:37], v[4:5], v[36:37]
	scratch_load_b128 v[30:33], off, off offset:528
	v_add_f64_e32 v[153:154], v[153:154], v[165:166]
	v_add_f64_e32 v[155:156], v[155:156], v[161:162]
	s_wait_loadcnt_dscnt 0x800
	v_mul_f64_e32 v[161:162], v[6:7], v[151:152]
	v_mul_f64_e32 v[151:152], v[8:9], v[151:152]
	v_fma_f64 v[159:160], v[4:5], v[34:35], v[159:160]
	v_fma_f64 v[165:166], v[2:3], v[34:35], -v[36:37]
	ds_load_b128 v[2:5], v1 offset:1216
	scratch_load_b128 v[34:37], off, off offset:544
	v_add_f64_e32 v[153:154], v[153:154], v[163:164]
	v_add_f64_e32 v[155:156], v[155:156], v[157:158]
	v_fma_f64 v[161:162], v[8:9], v[149:150], v[161:162]
	v_fma_f64 v[163:164], v[6:7], v[149:150], -v[151:152]
	ds_load_b128 v[6:9], v1 offset:1232
	scratch_load_b128 v[149:152], off, off offset:560
	s_wait_loadcnt_dscnt 0x901
	v_mul_f64_e32 v[157:158], v[2:3], v[40:41]
	v_mul_f64_e32 v[40:41], v[4:5], v[40:41]
	v_add_f64_e32 v[153:154], v[153:154], v[165:166]
	v_add_f64_e32 v[155:156], v[155:156], v[159:160]
	s_wait_loadcnt_dscnt 0x800
	v_mul_f64_e32 v[159:160], v[6:7], v[147:148]
	v_mul_f64_e32 v[147:148], v[8:9], v[147:148]
	v_fma_f64 v[157:158], v[4:5], v[38:39], v[157:158]
	v_fma_f64 v[165:166], v[2:3], v[38:39], -v[40:41]
	ds_load_b128 v[2:5], v1 offset:1248
	scratch_load_b128 v[38:41], off, off offset:576
	v_add_f64_e32 v[153:154], v[153:154], v[163:164]
	v_add_f64_e32 v[155:156], v[155:156], v[161:162]
	v_fma_f64 v[159:160], v[8:9], v[145:146], v[159:160]
	v_fma_f64 v[163:164], v[6:7], v[145:146], -v[147:148]
	ds_load_b128 v[6:9], v1 offset:1264
	s_wait_loadcnt_dscnt 0x801
	v_mul_f64_e32 v[161:162], v[2:3], v[12:13]
	v_mul_f64_e32 v[12:13], v[4:5], v[12:13]
	scratch_load_b128 v[145:148], off, off offset:592
	v_add_f64_e32 v[153:154], v[153:154], v[165:166]
	v_add_f64_e32 v[155:156], v[155:156], v[157:158]
	s_wait_loadcnt_dscnt 0x800
	v_mul_f64_e32 v[157:158], v[6:7], v[16:17]
	v_mul_f64_e32 v[16:17], v[8:9], v[16:17]
	v_fma_f64 v[161:162], v[4:5], v[10:11], v[161:162]
	v_fma_f64 v[165:166], v[2:3], v[10:11], -v[12:13]
	ds_load_b128 v[2:5], v1 offset:1280
	scratch_load_b128 v[10:13], off, off offset:608
	v_add_f64_e32 v[153:154], v[153:154], v[163:164]
	v_add_f64_e32 v[155:156], v[155:156], v[159:160]
	v_fma_f64 v[157:158], v[8:9], v[14:15], v[157:158]
	v_fma_f64 v[163:164], v[6:7], v[14:15], -v[16:17]
	ds_load_b128 v[6:9], v1 offset:1296
	s_wait_loadcnt_dscnt 0x801
	v_mul_f64_e32 v[159:160], v[2:3], v[20:21]
	v_mul_f64_e32 v[20:21], v[4:5], v[20:21]
	scratch_load_b128 v[14:17], off, off offset:624
	;; [unrolled: 18-line block ×8, first 2 shown]
	v_add_f64_e32 v[153:154], v[153:154], v[165:166]
	v_add_f64_e32 v[155:156], v[155:156], v[161:162]
	s_wait_loadcnt_dscnt 0x800
	v_mul_f64_e32 v[161:162], v[6:7], v[32:33]
	v_mul_f64_e32 v[32:33], v[8:9], v[32:33]
	v_fma_f64 v[159:160], v[4:5], v[26:27], v[159:160]
	v_fma_f64 v[26:27], v[2:3], v[26:27], -v[28:29]
	ds_load_b128 v[2:5], v1 offset:1504
	v_add_f64_e32 v[28:29], v[153:154], v[163:164]
	v_add_f64_e32 v[153:154], v[155:156], v[157:158]
	v_fma_f64 v[157:158], v[8:9], v[30:31], v[161:162]
	v_fma_f64 v[30:31], v[6:7], v[30:31], -v[32:33]
	ds_load_b128 v[6:9], v1 offset:1520
	s_wait_loadcnt_dscnt 0x701
	v_mul_f64_e32 v[155:156], v[2:3], v[36:37]
	v_mul_f64_e32 v[36:37], v[4:5], v[36:37]
	v_add_f64_e32 v[26:27], v[28:29], v[26:27]
	v_add_f64_e32 v[28:29], v[153:154], v[159:160]
	s_delay_alu instid0(VALU_DEP_4) | instskip(NEXT) | instid1(VALU_DEP_4)
	v_fma_f64 v[153:154], v[4:5], v[34:35], v[155:156]
	v_fma_f64 v[34:35], v[2:3], v[34:35], -v[36:37]
	ds_load_b128 v[2:5], v1 offset:1536
	v_add_f64_e32 v[30:31], v[26:27], v[30:31]
	v_add_f64_e32 v[36:37], v[28:29], v[157:158]
	scratch_load_b128 v[26:29], off, off offset:240
	s_wait_loadcnt_dscnt 0x701
	v_mul_f64_e32 v[32:33], v[6:7], v[151:152]
	v_mul_f64_e32 v[151:152], v[8:9], v[151:152]
	v_add_f64_e32 v[30:31], v[30:31], v[34:35]
	v_add_f64_e32 v[34:35], v[36:37], v[153:154]
	s_delay_alu instid0(VALU_DEP_4) | instskip(NEXT) | instid1(VALU_DEP_4)
	v_fma_f64 v[32:33], v[8:9], v[149:150], v[32:33]
	v_fma_f64 v[149:150], v[6:7], v[149:150], -v[151:152]
	ds_load_b128 v[6:9], v1 offset:1552
	s_wait_loadcnt_dscnt 0x601
	v_mul_f64_e32 v[155:156], v[2:3], v[40:41]
	v_mul_f64_e32 v[40:41], v[4:5], v[40:41]
	s_wait_loadcnt_dscnt 0x500
	v_mul_f64_e32 v[36:37], v[6:7], v[147:148]
	v_mul_f64_e32 v[147:148], v[8:9], v[147:148]
	v_add_f64_e32 v[32:33], v[34:35], v[32:33]
	v_add_f64_e32 v[30:31], v[30:31], v[149:150]
	v_fma_f64 v[151:152], v[4:5], v[38:39], v[155:156]
	v_fma_f64 v[38:39], v[2:3], v[38:39], -v[40:41]
	ds_load_b128 v[2:5], v1 offset:1568
	v_fma_f64 v[36:37], v[8:9], v[145:146], v[36:37]
	v_fma_f64 v[40:41], v[6:7], v[145:146], -v[147:148]
	ds_load_b128 v[6:9], v1 offset:1584
	s_wait_loadcnt_dscnt 0x401
	v_mul_f64_e32 v[34:35], v[2:3], v[12:13]
	v_mul_f64_e32 v[12:13], v[4:5], v[12:13]
	v_add_f64_e32 v[32:33], v[32:33], v[151:152]
	v_add_f64_e32 v[30:31], v[30:31], v[38:39]
	s_wait_loadcnt_dscnt 0x300
	v_mul_f64_e32 v[38:39], v[6:7], v[16:17]
	v_mul_f64_e32 v[16:17], v[8:9], v[16:17]
	v_fma_f64 v[34:35], v[4:5], v[10:11], v[34:35]
	v_fma_f64 v[10:11], v[2:3], v[10:11], -v[12:13]
	ds_load_b128 v[2:5], v1 offset:1600
	v_add_f64_e32 v[12:13], v[30:31], v[40:41]
	v_add_f64_e32 v[30:31], v[32:33], v[36:37]
	v_fma_f64 v[36:37], v[8:9], v[14:15], v[38:39]
	v_fma_f64 v[14:15], v[6:7], v[14:15], -v[16:17]
	ds_load_b128 v[6:9], v1 offset:1616
	s_wait_loadcnt_dscnt 0x201
	v_mul_f64_e32 v[32:33], v[2:3], v[20:21]
	v_mul_f64_e32 v[20:21], v[4:5], v[20:21]
	s_wait_loadcnt_dscnt 0x100
	v_mul_f64_e32 v[16:17], v[6:7], v[24:25]
	v_mul_f64_e32 v[24:25], v[8:9], v[24:25]
	v_add_f64_e32 v[10:11], v[12:13], v[10:11]
	v_add_f64_e32 v[12:13], v[30:31], v[34:35]
	v_fma_f64 v[4:5], v[4:5], v[18:19], v[32:33]
	v_fma_f64 v[1:2], v[2:3], v[18:19], -v[20:21]
	v_fma_f64 v[8:9], v[8:9], v[22:23], v[16:17]
	v_fma_f64 v[6:7], v[6:7], v[22:23], -v[24:25]
	v_add_f64_e32 v[10:11], v[10:11], v[14:15]
	v_add_f64_e32 v[12:13], v[12:13], v[36:37]
	s_delay_alu instid0(VALU_DEP_2) | instskip(NEXT) | instid1(VALU_DEP_2)
	v_add_f64_e32 v[1:2], v[10:11], v[1:2]
	v_add_f64_e32 v[3:4], v[12:13], v[4:5]
	s_delay_alu instid0(VALU_DEP_2) | instskip(NEXT) | instid1(VALU_DEP_2)
	v_add_f64_e32 v[1:2], v[1:2], v[6:7]
	v_add_f64_e32 v[3:4], v[3:4], v[8:9]
	s_wait_loadcnt 0x0
	s_delay_alu instid0(VALU_DEP_2) | instskip(NEXT) | instid1(VALU_DEP_2)
	v_add_f64_e64 v[1:2], v[26:27], -v[1:2]
	v_add_f64_e64 v[3:4], v[28:29], -v[3:4]
	scratch_store_b128 off, v[1:4], off offset:240
	v_cmpx_lt_u32_e32 13, v0
	s_cbranch_execz .LBB114_293
; %bb.292:
	scratch_load_b128 v[1:4], off, s51
	v_mov_b32_e32 v5, 0
	s_delay_alu instid0(VALU_DEP_1)
	v_dual_mov_b32 v6, v5 :: v_dual_mov_b32 v7, v5
	v_mov_b32_e32 v8, v5
	scratch_store_b128 off, v[5:8], off offset:224
	s_wait_loadcnt 0x0
	ds_store_b128 v144, v[1:4]
.LBB114_293:
	s_wait_alu 0xfffe
	s_or_b32 exec_lo, exec_lo, s0
	s_wait_storecnt_dscnt 0x0
	s_barrier_signal -1
	s_barrier_wait -1
	global_inv scope:SCOPE_SE
	s_clause 0x7
	scratch_load_b128 v[2:5], off, off offset:240
	scratch_load_b128 v[6:9], off, off offset:256
	scratch_load_b128 v[10:13], off, off offset:272
	scratch_load_b128 v[14:17], off, off offset:288
	scratch_load_b128 v[18:21], off, off offset:304
	scratch_load_b128 v[22:25], off, off offset:320
	scratch_load_b128 v[26:29], off, off offset:336
	scratch_load_b128 v[30:33], off, off offset:352
	v_mov_b32_e32 v1, 0
	s_clause 0x1
	scratch_load_b128 v[34:37], off, off offset:368
	scratch_load_b128 v[149:152], off, off offset:384
	s_mov_b32 s0, exec_lo
	ds_load_b128 v[38:41], v1 offset:1040
	ds_load_b128 v[145:148], v1 offset:1056
	s_wait_loadcnt_dscnt 0x901
	v_mul_f64_e32 v[153:154], v[40:41], v[4:5]
	v_mul_f64_e32 v[4:5], v[38:39], v[4:5]
	s_wait_loadcnt_dscnt 0x800
	v_mul_f64_e32 v[155:156], v[145:146], v[8:9]
	v_mul_f64_e32 v[8:9], v[147:148], v[8:9]
	s_delay_alu instid0(VALU_DEP_4) | instskip(NEXT) | instid1(VALU_DEP_4)
	v_fma_f64 v[153:154], v[38:39], v[2:3], -v[153:154]
	v_fma_f64 v[157:158], v[40:41], v[2:3], v[4:5]
	ds_load_b128 v[2:5], v1 offset:1072
	scratch_load_b128 v[38:41], off, off offset:400
	v_fma_f64 v[155:156], v[147:148], v[6:7], v[155:156]
	v_fma_f64 v[161:162], v[145:146], v[6:7], -v[8:9]
	ds_load_b128 v[6:9], v1 offset:1088
	scratch_load_b128 v[145:148], off, off offset:416
	s_wait_loadcnt_dscnt 0x901
	v_mul_f64_e32 v[159:160], v[2:3], v[12:13]
	v_mul_f64_e32 v[12:13], v[4:5], v[12:13]
	s_wait_loadcnt_dscnt 0x800
	v_mul_f64_e32 v[163:164], v[6:7], v[16:17]
	v_mul_f64_e32 v[16:17], v[8:9], v[16:17]
	v_add_f64_e32 v[153:154], 0, v[153:154]
	v_add_f64_e32 v[157:158], 0, v[157:158]
	v_fma_f64 v[159:160], v[4:5], v[10:11], v[159:160]
	v_fma_f64 v[165:166], v[2:3], v[10:11], -v[12:13]
	ds_load_b128 v[2:5], v1 offset:1104
	scratch_load_b128 v[10:13], off, off offset:432
	v_add_f64_e32 v[153:154], v[153:154], v[161:162]
	v_add_f64_e32 v[155:156], v[157:158], v[155:156]
	v_fma_f64 v[161:162], v[8:9], v[14:15], v[163:164]
	v_fma_f64 v[163:164], v[6:7], v[14:15], -v[16:17]
	ds_load_b128 v[6:9], v1 offset:1120
	scratch_load_b128 v[14:17], off, off offset:448
	s_wait_loadcnt_dscnt 0x901
	v_mul_f64_e32 v[157:158], v[2:3], v[20:21]
	v_mul_f64_e32 v[20:21], v[4:5], v[20:21]
	v_add_f64_e32 v[153:154], v[153:154], v[165:166]
	v_add_f64_e32 v[155:156], v[155:156], v[159:160]
	s_wait_loadcnt_dscnt 0x800
	v_mul_f64_e32 v[159:160], v[6:7], v[24:25]
	v_mul_f64_e32 v[24:25], v[8:9], v[24:25]
	v_fma_f64 v[157:158], v[4:5], v[18:19], v[157:158]
	v_fma_f64 v[165:166], v[2:3], v[18:19], -v[20:21]
	ds_load_b128 v[2:5], v1 offset:1136
	scratch_load_b128 v[18:21], off, off offset:464
	v_add_f64_e32 v[153:154], v[153:154], v[163:164]
	v_add_f64_e32 v[155:156], v[155:156], v[161:162]
	v_fma_f64 v[159:160], v[8:9], v[22:23], v[159:160]
	v_fma_f64 v[163:164], v[6:7], v[22:23], -v[24:25]
	ds_load_b128 v[6:9], v1 offset:1152
	s_wait_loadcnt_dscnt 0x801
	v_mul_f64_e32 v[161:162], v[2:3], v[28:29]
	v_mul_f64_e32 v[28:29], v[4:5], v[28:29]
	scratch_load_b128 v[22:25], off, off offset:480
	v_add_f64_e32 v[153:154], v[153:154], v[165:166]
	v_add_f64_e32 v[155:156], v[155:156], v[157:158]
	s_wait_loadcnt_dscnt 0x800
	v_mul_f64_e32 v[157:158], v[6:7], v[32:33]
	v_mul_f64_e32 v[32:33], v[8:9], v[32:33]
	v_fma_f64 v[161:162], v[4:5], v[26:27], v[161:162]
	v_fma_f64 v[165:166], v[2:3], v[26:27], -v[28:29]
	ds_load_b128 v[2:5], v1 offset:1168
	scratch_load_b128 v[26:29], off, off offset:496
	v_add_f64_e32 v[153:154], v[153:154], v[163:164]
	v_add_f64_e32 v[155:156], v[155:156], v[159:160]
	v_fma_f64 v[157:158], v[8:9], v[30:31], v[157:158]
	v_fma_f64 v[163:164], v[6:7], v[30:31], -v[32:33]
	ds_load_b128 v[6:9], v1 offset:1184
	s_wait_loadcnt_dscnt 0x801
	v_mul_f64_e32 v[159:160], v[2:3], v[36:37]
	v_mul_f64_e32 v[36:37], v[4:5], v[36:37]
	scratch_load_b128 v[30:33], off, off offset:512
	v_add_f64_e32 v[153:154], v[153:154], v[165:166]
	v_add_f64_e32 v[155:156], v[155:156], v[161:162]
	s_wait_loadcnt_dscnt 0x800
	v_mul_f64_e32 v[161:162], v[6:7], v[151:152]
	v_mul_f64_e32 v[151:152], v[8:9], v[151:152]
	v_fma_f64 v[159:160], v[4:5], v[34:35], v[159:160]
	v_fma_f64 v[165:166], v[2:3], v[34:35], -v[36:37]
	ds_load_b128 v[2:5], v1 offset:1200
	scratch_load_b128 v[34:37], off, off offset:528
	v_add_f64_e32 v[153:154], v[153:154], v[163:164]
	v_add_f64_e32 v[155:156], v[155:156], v[157:158]
	v_fma_f64 v[161:162], v[8:9], v[149:150], v[161:162]
	v_fma_f64 v[163:164], v[6:7], v[149:150], -v[151:152]
	ds_load_b128 v[6:9], v1 offset:1216
	scratch_load_b128 v[149:152], off, off offset:544
	s_wait_loadcnt_dscnt 0x901
	v_mul_f64_e32 v[157:158], v[2:3], v[40:41]
	v_mul_f64_e32 v[40:41], v[4:5], v[40:41]
	v_add_f64_e32 v[153:154], v[153:154], v[165:166]
	v_add_f64_e32 v[155:156], v[155:156], v[159:160]
	s_wait_loadcnt_dscnt 0x800
	v_mul_f64_e32 v[159:160], v[6:7], v[147:148]
	v_mul_f64_e32 v[147:148], v[8:9], v[147:148]
	v_fma_f64 v[157:158], v[4:5], v[38:39], v[157:158]
	v_fma_f64 v[165:166], v[2:3], v[38:39], -v[40:41]
	ds_load_b128 v[2:5], v1 offset:1232
	scratch_load_b128 v[38:41], off, off offset:560
	v_add_f64_e32 v[153:154], v[153:154], v[163:164]
	v_add_f64_e32 v[155:156], v[155:156], v[161:162]
	v_fma_f64 v[159:160], v[8:9], v[145:146], v[159:160]
	v_fma_f64 v[163:164], v[6:7], v[145:146], -v[147:148]
	ds_load_b128 v[6:9], v1 offset:1248
	s_wait_loadcnt_dscnt 0x801
	v_mul_f64_e32 v[161:162], v[2:3], v[12:13]
	v_mul_f64_e32 v[12:13], v[4:5], v[12:13]
	scratch_load_b128 v[145:148], off, off offset:576
	v_add_f64_e32 v[153:154], v[153:154], v[165:166]
	v_add_f64_e32 v[155:156], v[155:156], v[157:158]
	s_wait_loadcnt_dscnt 0x800
	v_mul_f64_e32 v[157:158], v[6:7], v[16:17]
	v_mul_f64_e32 v[16:17], v[8:9], v[16:17]
	v_fma_f64 v[161:162], v[4:5], v[10:11], v[161:162]
	v_fma_f64 v[165:166], v[2:3], v[10:11], -v[12:13]
	ds_load_b128 v[2:5], v1 offset:1264
	scratch_load_b128 v[10:13], off, off offset:592
	v_add_f64_e32 v[153:154], v[153:154], v[163:164]
	v_add_f64_e32 v[155:156], v[155:156], v[159:160]
	v_fma_f64 v[157:158], v[8:9], v[14:15], v[157:158]
	v_fma_f64 v[163:164], v[6:7], v[14:15], -v[16:17]
	ds_load_b128 v[6:9], v1 offset:1280
	s_wait_loadcnt_dscnt 0x801
	v_mul_f64_e32 v[159:160], v[2:3], v[20:21]
	v_mul_f64_e32 v[20:21], v[4:5], v[20:21]
	scratch_load_b128 v[14:17], off, off offset:608
	;; [unrolled: 18-line block ×8, first 2 shown]
	v_add_f64_e32 v[153:154], v[153:154], v[165:166]
	v_add_f64_e32 v[155:156], v[155:156], v[161:162]
	s_wait_loadcnt_dscnt 0x800
	v_mul_f64_e32 v[161:162], v[6:7], v[32:33]
	v_mul_f64_e32 v[32:33], v[8:9], v[32:33]
	v_fma_f64 v[159:160], v[4:5], v[26:27], v[159:160]
	v_fma_f64 v[165:166], v[2:3], v[26:27], -v[28:29]
	ds_load_b128 v[2:5], v1 offset:1488
	scratch_load_b128 v[26:29], off, off offset:816
	v_add_f64_e32 v[153:154], v[153:154], v[163:164]
	v_add_f64_e32 v[155:156], v[155:156], v[157:158]
	v_fma_f64 v[161:162], v[8:9], v[30:31], v[161:162]
	v_fma_f64 v[30:31], v[6:7], v[30:31], -v[32:33]
	ds_load_b128 v[6:9], v1 offset:1504
	s_wait_loadcnt_dscnt 0x801
	v_mul_f64_e32 v[157:158], v[2:3], v[36:37]
	v_mul_f64_e32 v[36:37], v[4:5], v[36:37]
	v_add_f64_e32 v[32:33], v[153:154], v[165:166]
	v_add_f64_e32 v[153:154], v[155:156], v[159:160]
	s_wait_loadcnt_dscnt 0x700
	v_mul_f64_e32 v[155:156], v[6:7], v[151:152]
	v_mul_f64_e32 v[151:152], v[8:9], v[151:152]
	v_fma_f64 v[157:158], v[4:5], v[34:35], v[157:158]
	v_fma_f64 v[34:35], v[2:3], v[34:35], -v[36:37]
	ds_load_b128 v[2:5], v1 offset:1520
	v_add_f64_e32 v[30:31], v[32:33], v[30:31]
	v_add_f64_e32 v[32:33], v[153:154], v[161:162]
	v_fma_f64 v[153:154], v[8:9], v[149:150], v[155:156]
	v_fma_f64 v[149:150], v[6:7], v[149:150], -v[151:152]
	ds_load_b128 v[6:9], v1 offset:1536
	s_wait_loadcnt_dscnt 0x500
	v_mul_f64_e32 v[155:156], v[6:7], v[147:148]
	v_mul_f64_e32 v[147:148], v[8:9], v[147:148]
	v_add_f64_e32 v[34:35], v[30:31], v[34:35]
	v_add_f64_e32 v[151:152], v[32:33], v[157:158]
	scratch_load_b128 v[30:33], off, off offset:224
	v_mul_f64_e32 v[36:37], v[2:3], v[40:41]
	v_mul_f64_e32 v[40:41], v[4:5], v[40:41]
	v_add_f64_e32 v[34:35], v[34:35], v[149:150]
	s_delay_alu instid0(VALU_DEP_3) | instskip(NEXT) | instid1(VALU_DEP_3)
	v_fma_f64 v[36:37], v[4:5], v[38:39], v[36:37]
	v_fma_f64 v[38:39], v[2:3], v[38:39], -v[40:41]
	v_add_f64_e32 v[40:41], v[151:152], v[153:154]
	ds_load_b128 v[2:5], v1 offset:1552
	v_fma_f64 v[151:152], v[8:9], v[145:146], v[155:156]
	v_fma_f64 v[145:146], v[6:7], v[145:146], -v[147:148]
	ds_load_b128 v[6:9], v1 offset:1568
	s_wait_loadcnt_dscnt 0x501
	v_mul_f64_e32 v[149:150], v[2:3], v[12:13]
	v_mul_f64_e32 v[12:13], v[4:5], v[12:13]
	v_add_f64_e32 v[34:35], v[34:35], v[38:39]
	v_add_f64_e32 v[36:37], v[40:41], v[36:37]
	s_wait_loadcnt_dscnt 0x400
	v_mul_f64_e32 v[38:39], v[6:7], v[16:17]
	v_mul_f64_e32 v[16:17], v[8:9], v[16:17]
	v_fma_f64 v[40:41], v[4:5], v[10:11], v[149:150]
	v_fma_f64 v[10:11], v[2:3], v[10:11], -v[12:13]
	ds_load_b128 v[2:5], v1 offset:1584
	v_add_f64_e32 v[12:13], v[34:35], v[145:146]
	v_add_f64_e32 v[34:35], v[36:37], v[151:152]
	v_fma_f64 v[38:39], v[8:9], v[14:15], v[38:39]
	v_fma_f64 v[14:15], v[6:7], v[14:15], -v[16:17]
	ds_load_b128 v[6:9], v1 offset:1600
	s_wait_loadcnt_dscnt 0x301
	v_mul_f64_e32 v[36:37], v[2:3], v[20:21]
	v_mul_f64_e32 v[20:21], v[4:5], v[20:21]
	s_wait_loadcnt_dscnt 0x200
	v_mul_f64_e32 v[16:17], v[6:7], v[24:25]
	v_mul_f64_e32 v[24:25], v[8:9], v[24:25]
	v_add_f64_e32 v[10:11], v[12:13], v[10:11]
	v_add_f64_e32 v[12:13], v[34:35], v[40:41]
	v_fma_f64 v[34:35], v[4:5], v[18:19], v[36:37]
	v_fma_f64 v[18:19], v[2:3], v[18:19], -v[20:21]
	ds_load_b128 v[2:5], v1 offset:1616
	v_fma_f64 v[8:9], v[8:9], v[22:23], v[16:17]
	v_fma_f64 v[6:7], v[6:7], v[22:23], -v[24:25]
	s_wait_loadcnt_dscnt 0x100
	v_mul_f64_e32 v[20:21], v[4:5], v[28:29]
	v_add_f64_e32 v[10:11], v[10:11], v[14:15]
	v_add_f64_e32 v[12:13], v[12:13], v[38:39]
	v_mul_f64_e32 v[14:15], v[2:3], v[28:29]
	s_delay_alu instid0(VALU_DEP_4) | instskip(NEXT) | instid1(VALU_DEP_4)
	v_fma_f64 v[2:3], v[2:3], v[26:27], -v[20:21]
	v_add_f64_e32 v[10:11], v[10:11], v[18:19]
	s_delay_alu instid0(VALU_DEP_4) | instskip(NEXT) | instid1(VALU_DEP_4)
	v_add_f64_e32 v[12:13], v[12:13], v[34:35]
	v_fma_f64 v[4:5], v[4:5], v[26:27], v[14:15]
	s_delay_alu instid0(VALU_DEP_3) | instskip(NEXT) | instid1(VALU_DEP_3)
	v_add_f64_e32 v[6:7], v[10:11], v[6:7]
	v_add_f64_e32 v[8:9], v[12:13], v[8:9]
	s_delay_alu instid0(VALU_DEP_2) | instskip(NEXT) | instid1(VALU_DEP_2)
	v_add_f64_e32 v[2:3], v[6:7], v[2:3]
	v_add_f64_e32 v[4:5], v[8:9], v[4:5]
	s_wait_loadcnt 0x0
	s_delay_alu instid0(VALU_DEP_2) | instskip(NEXT) | instid1(VALU_DEP_2)
	v_add_f64_e64 v[2:3], v[30:31], -v[2:3]
	v_add_f64_e64 v[4:5], v[32:33], -v[4:5]
	scratch_store_b128 off, v[2:5], off offset:224
	v_cmpx_lt_u32_e32 12, v0
	s_cbranch_execz .LBB114_295
; %bb.294:
	scratch_load_b128 v[5:8], off, s52
	v_dual_mov_b32 v2, v1 :: v_dual_mov_b32 v3, v1
	v_mov_b32_e32 v4, v1
	scratch_store_b128 off, v[1:4], off offset:208
	s_wait_loadcnt 0x0
	ds_store_b128 v144, v[5:8]
.LBB114_295:
	s_wait_alu 0xfffe
	s_or_b32 exec_lo, exec_lo, s0
	s_wait_storecnt_dscnt 0x0
	s_barrier_signal -1
	s_barrier_wait -1
	global_inv scope:SCOPE_SE
	s_clause 0x7
	scratch_load_b128 v[2:5], off, off offset:224
	scratch_load_b128 v[6:9], off, off offset:240
	;; [unrolled: 1-line block ×8, first 2 shown]
	ds_load_b128 v[38:41], v1 offset:1024
	ds_load_b128 v[145:148], v1 offset:1040
	s_clause 0x1
	scratch_load_b128 v[34:37], off, off offset:352
	scratch_load_b128 v[149:152], off, off offset:368
	s_mov_b32 s0, exec_lo
	s_wait_loadcnt_dscnt 0x901
	v_mul_f64_e32 v[153:154], v[40:41], v[4:5]
	v_mul_f64_e32 v[4:5], v[38:39], v[4:5]
	s_wait_loadcnt_dscnt 0x800
	v_mul_f64_e32 v[155:156], v[145:146], v[8:9]
	v_mul_f64_e32 v[8:9], v[147:148], v[8:9]
	s_delay_alu instid0(VALU_DEP_4) | instskip(NEXT) | instid1(VALU_DEP_4)
	v_fma_f64 v[153:154], v[38:39], v[2:3], -v[153:154]
	v_fma_f64 v[157:158], v[40:41], v[2:3], v[4:5]
	ds_load_b128 v[2:5], v1 offset:1056
	scratch_load_b128 v[38:41], off, off offset:384
	v_fma_f64 v[155:156], v[147:148], v[6:7], v[155:156]
	v_fma_f64 v[161:162], v[145:146], v[6:7], -v[8:9]
	ds_load_b128 v[6:9], v1 offset:1072
	scratch_load_b128 v[145:148], off, off offset:400
	s_wait_loadcnt_dscnt 0x901
	v_mul_f64_e32 v[159:160], v[2:3], v[12:13]
	v_mul_f64_e32 v[12:13], v[4:5], v[12:13]
	s_wait_loadcnt_dscnt 0x800
	v_mul_f64_e32 v[163:164], v[6:7], v[16:17]
	v_mul_f64_e32 v[16:17], v[8:9], v[16:17]
	v_add_f64_e32 v[153:154], 0, v[153:154]
	v_add_f64_e32 v[157:158], 0, v[157:158]
	v_fma_f64 v[159:160], v[4:5], v[10:11], v[159:160]
	v_fma_f64 v[165:166], v[2:3], v[10:11], -v[12:13]
	ds_load_b128 v[2:5], v1 offset:1088
	scratch_load_b128 v[10:13], off, off offset:416
	v_add_f64_e32 v[153:154], v[153:154], v[161:162]
	v_add_f64_e32 v[155:156], v[157:158], v[155:156]
	v_fma_f64 v[161:162], v[8:9], v[14:15], v[163:164]
	v_fma_f64 v[163:164], v[6:7], v[14:15], -v[16:17]
	ds_load_b128 v[6:9], v1 offset:1104
	scratch_load_b128 v[14:17], off, off offset:432
	s_wait_loadcnt_dscnt 0x901
	v_mul_f64_e32 v[157:158], v[2:3], v[20:21]
	v_mul_f64_e32 v[20:21], v[4:5], v[20:21]
	v_add_f64_e32 v[153:154], v[153:154], v[165:166]
	v_add_f64_e32 v[155:156], v[155:156], v[159:160]
	s_wait_loadcnt_dscnt 0x800
	v_mul_f64_e32 v[159:160], v[6:7], v[24:25]
	v_mul_f64_e32 v[24:25], v[8:9], v[24:25]
	v_fma_f64 v[157:158], v[4:5], v[18:19], v[157:158]
	v_fma_f64 v[165:166], v[2:3], v[18:19], -v[20:21]
	ds_load_b128 v[2:5], v1 offset:1120
	scratch_load_b128 v[18:21], off, off offset:448
	v_add_f64_e32 v[153:154], v[153:154], v[163:164]
	v_add_f64_e32 v[155:156], v[155:156], v[161:162]
	v_fma_f64 v[159:160], v[8:9], v[22:23], v[159:160]
	v_fma_f64 v[163:164], v[6:7], v[22:23], -v[24:25]
	ds_load_b128 v[6:9], v1 offset:1136
	s_wait_loadcnt_dscnt 0x801
	v_mul_f64_e32 v[161:162], v[2:3], v[28:29]
	v_mul_f64_e32 v[28:29], v[4:5], v[28:29]
	scratch_load_b128 v[22:25], off, off offset:464
	v_add_f64_e32 v[153:154], v[153:154], v[165:166]
	v_add_f64_e32 v[155:156], v[155:156], v[157:158]
	s_wait_loadcnt_dscnt 0x800
	v_mul_f64_e32 v[157:158], v[6:7], v[32:33]
	v_mul_f64_e32 v[32:33], v[8:9], v[32:33]
	v_fma_f64 v[161:162], v[4:5], v[26:27], v[161:162]
	v_fma_f64 v[165:166], v[2:3], v[26:27], -v[28:29]
	ds_load_b128 v[2:5], v1 offset:1152
	scratch_load_b128 v[26:29], off, off offset:480
	v_add_f64_e32 v[153:154], v[153:154], v[163:164]
	v_add_f64_e32 v[155:156], v[155:156], v[159:160]
	v_fma_f64 v[157:158], v[8:9], v[30:31], v[157:158]
	v_fma_f64 v[163:164], v[6:7], v[30:31], -v[32:33]
	ds_load_b128 v[6:9], v1 offset:1168
	s_wait_loadcnt_dscnt 0x801
	v_mul_f64_e32 v[159:160], v[2:3], v[36:37]
	v_mul_f64_e32 v[36:37], v[4:5], v[36:37]
	scratch_load_b128 v[30:33], off, off offset:496
	v_add_f64_e32 v[153:154], v[153:154], v[165:166]
	v_add_f64_e32 v[155:156], v[155:156], v[161:162]
	s_wait_loadcnt_dscnt 0x800
	v_mul_f64_e32 v[161:162], v[6:7], v[151:152]
	v_mul_f64_e32 v[151:152], v[8:9], v[151:152]
	v_fma_f64 v[159:160], v[4:5], v[34:35], v[159:160]
	v_fma_f64 v[165:166], v[2:3], v[34:35], -v[36:37]
	ds_load_b128 v[2:5], v1 offset:1184
	scratch_load_b128 v[34:37], off, off offset:512
	v_add_f64_e32 v[153:154], v[153:154], v[163:164]
	v_add_f64_e32 v[155:156], v[155:156], v[157:158]
	v_fma_f64 v[161:162], v[8:9], v[149:150], v[161:162]
	v_fma_f64 v[163:164], v[6:7], v[149:150], -v[151:152]
	ds_load_b128 v[6:9], v1 offset:1200
	scratch_load_b128 v[149:152], off, off offset:528
	s_wait_loadcnt_dscnt 0x901
	v_mul_f64_e32 v[157:158], v[2:3], v[40:41]
	v_mul_f64_e32 v[40:41], v[4:5], v[40:41]
	v_add_f64_e32 v[153:154], v[153:154], v[165:166]
	v_add_f64_e32 v[155:156], v[155:156], v[159:160]
	s_wait_loadcnt_dscnt 0x800
	v_mul_f64_e32 v[159:160], v[6:7], v[147:148]
	v_mul_f64_e32 v[147:148], v[8:9], v[147:148]
	v_fma_f64 v[157:158], v[4:5], v[38:39], v[157:158]
	v_fma_f64 v[165:166], v[2:3], v[38:39], -v[40:41]
	ds_load_b128 v[2:5], v1 offset:1216
	scratch_load_b128 v[38:41], off, off offset:544
	v_add_f64_e32 v[153:154], v[153:154], v[163:164]
	v_add_f64_e32 v[155:156], v[155:156], v[161:162]
	v_fma_f64 v[159:160], v[8:9], v[145:146], v[159:160]
	v_fma_f64 v[163:164], v[6:7], v[145:146], -v[147:148]
	ds_load_b128 v[6:9], v1 offset:1232
	s_wait_loadcnt_dscnt 0x801
	v_mul_f64_e32 v[161:162], v[2:3], v[12:13]
	v_mul_f64_e32 v[12:13], v[4:5], v[12:13]
	scratch_load_b128 v[145:148], off, off offset:560
	v_add_f64_e32 v[153:154], v[153:154], v[165:166]
	v_add_f64_e32 v[155:156], v[155:156], v[157:158]
	s_wait_loadcnt_dscnt 0x800
	v_mul_f64_e32 v[157:158], v[6:7], v[16:17]
	v_mul_f64_e32 v[16:17], v[8:9], v[16:17]
	v_fma_f64 v[161:162], v[4:5], v[10:11], v[161:162]
	v_fma_f64 v[165:166], v[2:3], v[10:11], -v[12:13]
	ds_load_b128 v[2:5], v1 offset:1248
	scratch_load_b128 v[10:13], off, off offset:576
	v_add_f64_e32 v[153:154], v[153:154], v[163:164]
	v_add_f64_e32 v[155:156], v[155:156], v[159:160]
	v_fma_f64 v[157:158], v[8:9], v[14:15], v[157:158]
	v_fma_f64 v[163:164], v[6:7], v[14:15], -v[16:17]
	ds_load_b128 v[6:9], v1 offset:1264
	s_wait_loadcnt_dscnt 0x801
	v_mul_f64_e32 v[159:160], v[2:3], v[20:21]
	v_mul_f64_e32 v[20:21], v[4:5], v[20:21]
	scratch_load_b128 v[14:17], off, off offset:592
	;; [unrolled: 18-line block ×9, first 2 shown]
	v_add_f64_e32 v[153:154], v[153:154], v[165:166]
	v_add_f64_e32 v[155:156], v[155:156], v[159:160]
	s_wait_loadcnt_dscnt 0x800
	v_mul_f64_e32 v[159:160], v[6:7], v[151:152]
	v_mul_f64_e32 v[151:152], v[8:9], v[151:152]
	v_fma_f64 v[157:158], v[4:5], v[34:35], v[157:158]
	v_fma_f64 v[34:35], v[2:3], v[34:35], -v[36:37]
	ds_load_b128 v[2:5], v1 offset:1504
	v_add_f64_e32 v[36:37], v[153:154], v[163:164]
	v_add_f64_e32 v[153:154], v[155:156], v[161:162]
	v_fma_f64 v[159:160], v[8:9], v[149:150], v[159:160]
	v_fma_f64 v[149:150], v[6:7], v[149:150], -v[151:152]
	ds_load_b128 v[6:9], v1 offset:1520
	s_wait_loadcnt_dscnt 0x701
	v_mul_f64_e32 v[155:156], v[2:3], v[40:41]
	v_mul_f64_e32 v[40:41], v[4:5], v[40:41]
	v_add_f64_e32 v[34:35], v[36:37], v[34:35]
	v_add_f64_e32 v[36:37], v[153:154], v[157:158]
	s_delay_alu instid0(VALU_DEP_4) | instskip(NEXT) | instid1(VALU_DEP_4)
	v_fma_f64 v[153:154], v[4:5], v[38:39], v[155:156]
	v_fma_f64 v[38:39], v[2:3], v[38:39], -v[40:41]
	ds_load_b128 v[2:5], v1 offset:1536
	v_add_f64_e32 v[40:41], v[34:35], v[149:150]
	v_add_f64_e32 v[149:150], v[36:37], v[159:160]
	scratch_load_b128 v[34:37], off, off offset:208
	s_wait_loadcnt_dscnt 0x701
	v_mul_f64_e32 v[151:152], v[6:7], v[147:148]
	v_mul_f64_e32 v[147:148], v[8:9], v[147:148]
	v_add_f64_e32 v[38:39], v[40:41], v[38:39]
	v_add_f64_e32 v[40:41], v[149:150], v[153:154]
	s_delay_alu instid0(VALU_DEP_4) | instskip(NEXT) | instid1(VALU_DEP_4)
	v_fma_f64 v[151:152], v[8:9], v[145:146], v[151:152]
	v_fma_f64 v[145:146], v[6:7], v[145:146], -v[147:148]
	ds_load_b128 v[6:9], v1 offset:1552
	s_wait_loadcnt_dscnt 0x601
	v_mul_f64_e32 v[155:156], v[2:3], v[12:13]
	v_mul_f64_e32 v[12:13], v[4:5], v[12:13]
	s_wait_loadcnt_dscnt 0x500
	v_mul_f64_e32 v[147:148], v[6:7], v[16:17]
	v_mul_f64_e32 v[16:17], v[8:9], v[16:17]
	s_delay_alu instid0(VALU_DEP_4) | instskip(NEXT) | instid1(VALU_DEP_4)
	v_fma_f64 v[149:150], v[4:5], v[10:11], v[155:156]
	v_fma_f64 v[10:11], v[2:3], v[10:11], -v[12:13]
	v_add_f64_e32 v[12:13], v[38:39], v[145:146]
	v_add_f64_e32 v[38:39], v[40:41], v[151:152]
	ds_load_b128 v[2:5], v1 offset:1568
	v_fma_f64 v[145:146], v[8:9], v[14:15], v[147:148]
	v_fma_f64 v[14:15], v[6:7], v[14:15], -v[16:17]
	ds_load_b128 v[6:9], v1 offset:1584
	s_wait_loadcnt_dscnt 0x401
	v_mul_f64_e32 v[40:41], v[2:3], v[20:21]
	v_mul_f64_e32 v[20:21], v[4:5], v[20:21]
	v_add_f64_e32 v[10:11], v[12:13], v[10:11]
	v_add_f64_e32 v[12:13], v[38:39], v[149:150]
	s_wait_loadcnt_dscnt 0x300
	v_mul_f64_e32 v[16:17], v[6:7], v[24:25]
	v_mul_f64_e32 v[24:25], v[8:9], v[24:25]
	v_fma_f64 v[38:39], v[4:5], v[18:19], v[40:41]
	v_fma_f64 v[18:19], v[2:3], v[18:19], -v[20:21]
	ds_load_b128 v[2:5], v1 offset:1600
	v_add_f64_e32 v[10:11], v[10:11], v[14:15]
	v_add_f64_e32 v[12:13], v[12:13], v[145:146]
	v_fma_f64 v[16:17], v[8:9], v[22:23], v[16:17]
	v_fma_f64 v[22:23], v[6:7], v[22:23], -v[24:25]
	ds_load_b128 v[6:9], v1 offset:1616
	s_wait_loadcnt_dscnt 0x201
	v_mul_f64_e32 v[14:15], v[2:3], v[28:29]
	v_mul_f64_e32 v[20:21], v[4:5], v[28:29]
	s_wait_loadcnt_dscnt 0x100
	v_mul_f64_e32 v[24:25], v[8:9], v[32:33]
	v_add_f64_e32 v[10:11], v[10:11], v[18:19]
	v_add_f64_e32 v[12:13], v[12:13], v[38:39]
	v_mul_f64_e32 v[18:19], v[6:7], v[32:33]
	v_fma_f64 v[4:5], v[4:5], v[26:27], v[14:15]
	v_fma_f64 v[1:2], v[2:3], v[26:27], -v[20:21]
	v_fma_f64 v[6:7], v[6:7], v[30:31], -v[24:25]
	v_add_f64_e32 v[10:11], v[10:11], v[22:23]
	v_add_f64_e32 v[12:13], v[12:13], v[16:17]
	v_fma_f64 v[8:9], v[8:9], v[30:31], v[18:19]
	s_delay_alu instid0(VALU_DEP_3) | instskip(NEXT) | instid1(VALU_DEP_3)
	v_add_f64_e32 v[1:2], v[10:11], v[1:2]
	v_add_f64_e32 v[3:4], v[12:13], v[4:5]
	s_delay_alu instid0(VALU_DEP_2) | instskip(NEXT) | instid1(VALU_DEP_2)
	v_add_f64_e32 v[1:2], v[1:2], v[6:7]
	v_add_f64_e32 v[3:4], v[3:4], v[8:9]
	s_wait_loadcnt 0x0
	s_delay_alu instid0(VALU_DEP_2) | instskip(NEXT) | instid1(VALU_DEP_2)
	v_add_f64_e64 v[1:2], v[34:35], -v[1:2]
	v_add_f64_e64 v[3:4], v[36:37], -v[3:4]
	scratch_store_b128 off, v[1:4], off offset:208
	v_cmpx_lt_u32_e32 11, v0
	s_cbranch_execz .LBB114_297
; %bb.296:
	scratch_load_b128 v[1:4], off, s53
	v_mov_b32_e32 v5, 0
	s_delay_alu instid0(VALU_DEP_1)
	v_dual_mov_b32 v6, v5 :: v_dual_mov_b32 v7, v5
	v_mov_b32_e32 v8, v5
	scratch_store_b128 off, v[5:8], off offset:192
	s_wait_loadcnt 0x0
	ds_store_b128 v144, v[1:4]
.LBB114_297:
	s_wait_alu 0xfffe
	s_or_b32 exec_lo, exec_lo, s0
	s_wait_storecnt_dscnt 0x0
	s_barrier_signal -1
	s_barrier_wait -1
	global_inv scope:SCOPE_SE
	s_clause 0x7
	scratch_load_b128 v[2:5], off, off offset:208
	scratch_load_b128 v[6:9], off, off offset:224
	;; [unrolled: 1-line block ×8, first 2 shown]
	v_mov_b32_e32 v1, 0
	s_clause 0x1
	scratch_load_b128 v[34:37], off, off offset:336
	scratch_load_b128 v[149:152], off, off offset:352
	s_mov_b32 s0, exec_lo
	ds_load_b128 v[38:41], v1 offset:1008
	ds_load_b128 v[145:148], v1 offset:1024
	s_wait_loadcnt_dscnt 0x901
	v_mul_f64_e32 v[153:154], v[40:41], v[4:5]
	v_mul_f64_e32 v[4:5], v[38:39], v[4:5]
	s_wait_loadcnt_dscnt 0x800
	v_mul_f64_e32 v[155:156], v[145:146], v[8:9]
	v_mul_f64_e32 v[8:9], v[147:148], v[8:9]
	s_delay_alu instid0(VALU_DEP_4) | instskip(NEXT) | instid1(VALU_DEP_4)
	v_fma_f64 v[153:154], v[38:39], v[2:3], -v[153:154]
	v_fma_f64 v[157:158], v[40:41], v[2:3], v[4:5]
	ds_load_b128 v[2:5], v1 offset:1040
	scratch_load_b128 v[38:41], off, off offset:368
	v_fma_f64 v[155:156], v[147:148], v[6:7], v[155:156]
	v_fma_f64 v[161:162], v[145:146], v[6:7], -v[8:9]
	ds_load_b128 v[6:9], v1 offset:1056
	scratch_load_b128 v[145:148], off, off offset:384
	s_wait_loadcnt_dscnt 0x901
	v_mul_f64_e32 v[159:160], v[2:3], v[12:13]
	v_mul_f64_e32 v[12:13], v[4:5], v[12:13]
	s_wait_loadcnt_dscnt 0x800
	v_mul_f64_e32 v[163:164], v[6:7], v[16:17]
	v_mul_f64_e32 v[16:17], v[8:9], v[16:17]
	v_add_f64_e32 v[153:154], 0, v[153:154]
	v_add_f64_e32 v[157:158], 0, v[157:158]
	v_fma_f64 v[159:160], v[4:5], v[10:11], v[159:160]
	v_fma_f64 v[165:166], v[2:3], v[10:11], -v[12:13]
	ds_load_b128 v[2:5], v1 offset:1072
	scratch_load_b128 v[10:13], off, off offset:400
	v_add_f64_e32 v[153:154], v[153:154], v[161:162]
	v_add_f64_e32 v[155:156], v[157:158], v[155:156]
	v_fma_f64 v[161:162], v[8:9], v[14:15], v[163:164]
	v_fma_f64 v[163:164], v[6:7], v[14:15], -v[16:17]
	ds_load_b128 v[6:9], v1 offset:1088
	scratch_load_b128 v[14:17], off, off offset:416
	s_wait_loadcnt_dscnt 0x901
	v_mul_f64_e32 v[157:158], v[2:3], v[20:21]
	v_mul_f64_e32 v[20:21], v[4:5], v[20:21]
	v_add_f64_e32 v[153:154], v[153:154], v[165:166]
	v_add_f64_e32 v[155:156], v[155:156], v[159:160]
	s_wait_loadcnt_dscnt 0x800
	v_mul_f64_e32 v[159:160], v[6:7], v[24:25]
	v_mul_f64_e32 v[24:25], v[8:9], v[24:25]
	v_fma_f64 v[157:158], v[4:5], v[18:19], v[157:158]
	v_fma_f64 v[165:166], v[2:3], v[18:19], -v[20:21]
	ds_load_b128 v[2:5], v1 offset:1104
	scratch_load_b128 v[18:21], off, off offset:432
	v_add_f64_e32 v[153:154], v[153:154], v[163:164]
	v_add_f64_e32 v[155:156], v[155:156], v[161:162]
	v_fma_f64 v[159:160], v[8:9], v[22:23], v[159:160]
	v_fma_f64 v[163:164], v[6:7], v[22:23], -v[24:25]
	ds_load_b128 v[6:9], v1 offset:1120
	s_wait_loadcnt_dscnt 0x801
	v_mul_f64_e32 v[161:162], v[2:3], v[28:29]
	v_mul_f64_e32 v[28:29], v[4:5], v[28:29]
	scratch_load_b128 v[22:25], off, off offset:448
	v_add_f64_e32 v[153:154], v[153:154], v[165:166]
	v_add_f64_e32 v[155:156], v[155:156], v[157:158]
	s_wait_loadcnt_dscnt 0x800
	v_mul_f64_e32 v[157:158], v[6:7], v[32:33]
	v_mul_f64_e32 v[32:33], v[8:9], v[32:33]
	v_fma_f64 v[161:162], v[4:5], v[26:27], v[161:162]
	v_fma_f64 v[165:166], v[2:3], v[26:27], -v[28:29]
	ds_load_b128 v[2:5], v1 offset:1136
	scratch_load_b128 v[26:29], off, off offset:464
	v_add_f64_e32 v[153:154], v[153:154], v[163:164]
	v_add_f64_e32 v[155:156], v[155:156], v[159:160]
	v_fma_f64 v[157:158], v[8:9], v[30:31], v[157:158]
	v_fma_f64 v[163:164], v[6:7], v[30:31], -v[32:33]
	ds_load_b128 v[6:9], v1 offset:1152
	s_wait_loadcnt_dscnt 0x801
	v_mul_f64_e32 v[159:160], v[2:3], v[36:37]
	v_mul_f64_e32 v[36:37], v[4:5], v[36:37]
	scratch_load_b128 v[30:33], off, off offset:480
	v_add_f64_e32 v[153:154], v[153:154], v[165:166]
	v_add_f64_e32 v[155:156], v[155:156], v[161:162]
	s_wait_loadcnt_dscnt 0x800
	v_mul_f64_e32 v[161:162], v[6:7], v[151:152]
	v_mul_f64_e32 v[151:152], v[8:9], v[151:152]
	v_fma_f64 v[159:160], v[4:5], v[34:35], v[159:160]
	v_fma_f64 v[165:166], v[2:3], v[34:35], -v[36:37]
	ds_load_b128 v[2:5], v1 offset:1168
	scratch_load_b128 v[34:37], off, off offset:496
	v_add_f64_e32 v[153:154], v[153:154], v[163:164]
	v_add_f64_e32 v[155:156], v[155:156], v[157:158]
	v_fma_f64 v[161:162], v[8:9], v[149:150], v[161:162]
	v_fma_f64 v[163:164], v[6:7], v[149:150], -v[151:152]
	ds_load_b128 v[6:9], v1 offset:1184
	scratch_load_b128 v[149:152], off, off offset:512
	s_wait_loadcnt_dscnt 0x901
	v_mul_f64_e32 v[157:158], v[2:3], v[40:41]
	v_mul_f64_e32 v[40:41], v[4:5], v[40:41]
	v_add_f64_e32 v[153:154], v[153:154], v[165:166]
	v_add_f64_e32 v[155:156], v[155:156], v[159:160]
	s_wait_loadcnt_dscnt 0x800
	v_mul_f64_e32 v[159:160], v[6:7], v[147:148]
	v_mul_f64_e32 v[147:148], v[8:9], v[147:148]
	v_fma_f64 v[157:158], v[4:5], v[38:39], v[157:158]
	v_fma_f64 v[165:166], v[2:3], v[38:39], -v[40:41]
	ds_load_b128 v[2:5], v1 offset:1200
	scratch_load_b128 v[38:41], off, off offset:528
	v_add_f64_e32 v[153:154], v[153:154], v[163:164]
	v_add_f64_e32 v[155:156], v[155:156], v[161:162]
	v_fma_f64 v[159:160], v[8:9], v[145:146], v[159:160]
	v_fma_f64 v[163:164], v[6:7], v[145:146], -v[147:148]
	ds_load_b128 v[6:9], v1 offset:1216
	s_wait_loadcnt_dscnt 0x801
	v_mul_f64_e32 v[161:162], v[2:3], v[12:13]
	v_mul_f64_e32 v[12:13], v[4:5], v[12:13]
	scratch_load_b128 v[145:148], off, off offset:544
	v_add_f64_e32 v[153:154], v[153:154], v[165:166]
	v_add_f64_e32 v[155:156], v[155:156], v[157:158]
	s_wait_loadcnt_dscnt 0x800
	v_mul_f64_e32 v[157:158], v[6:7], v[16:17]
	v_mul_f64_e32 v[16:17], v[8:9], v[16:17]
	v_fma_f64 v[161:162], v[4:5], v[10:11], v[161:162]
	v_fma_f64 v[165:166], v[2:3], v[10:11], -v[12:13]
	ds_load_b128 v[2:5], v1 offset:1232
	scratch_load_b128 v[10:13], off, off offset:560
	v_add_f64_e32 v[153:154], v[153:154], v[163:164]
	v_add_f64_e32 v[155:156], v[155:156], v[159:160]
	v_fma_f64 v[157:158], v[8:9], v[14:15], v[157:158]
	v_fma_f64 v[163:164], v[6:7], v[14:15], -v[16:17]
	ds_load_b128 v[6:9], v1 offset:1248
	s_wait_loadcnt_dscnt 0x801
	v_mul_f64_e32 v[159:160], v[2:3], v[20:21]
	v_mul_f64_e32 v[20:21], v[4:5], v[20:21]
	scratch_load_b128 v[14:17], off, off offset:576
	;; [unrolled: 18-line block ×9, first 2 shown]
	v_add_f64_e32 v[153:154], v[153:154], v[165:166]
	v_add_f64_e32 v[155:156], v[155:156], v[159:160]
	s_wait_loadcnt_dscnt 0x800
	v_mul_f64_e32 v[159:160], v[6:7], v[151:152]
	v_mul_f64_e32 v[151:152], v[8:9], v[151:152]
	v_fma_f64 v[157:158], v[4:5], v[34:35], v[157:158]
	v_fma_f64 v[165:166], v[2:3], v[34:35], -v[36:37]
	ds_load_b128 v[2:5], v1 offset:1488
	scratch_load_b128 v[34:37], off, off offset:816
	v_add_f64_e32 v[153:154], v[153:154], v[163:164]
	v_add_f64_e32 v[155:156], v[155:156], v[161:162]
	v_fma_f64 v[159:160], v[8:9], v[149:150], v[159:160]
	v_fma_f64 v[149:150], v[6:7], v[149:150], -v[151:152]
	ds_load_b128 v[6:9], v1 offset:1504
	s_wait_loadcnt_dscnt 0x801
	v_mul_f64_e32 v[161:162], v[2:3], v[40:41]
	v_mul_f64_e32 v[40:41], v[4:5], v[40:41]
	v_add_f64_e32 v[151:152], v[153:154], v[165:166]
	v_add_f64_e32 v[153:154], v[155:156], v[157:158]
	s_wait_loadcnt_dscnt 0x700
	v_mul_f64_e32 v[155:156], v[6:7], v[147:148]
	v_mul_f64_e32 v[147:148], v[8:9], v[147:148]
	v_fma_f64 v[157:158], v[4:5], v[38:39], v[161:162]
	v_fma_f64 v[38:39], v[2:3], v[38:39], -v[40:41]
	ds_load_b128 v[2:5], v1 offset:1520
	v_add_f64_e32 v[40:41], v[151:152], v[149:150]
	v_add_f64_e32 v[149:150], v[153:154], v[159:160]
	v_fma_f64 v[153:154], v[8:9], v[145:146], v[155:156]
	v_fma_f64 v[145:146], v[6:7], v[145:146], -v[147:148]
	ds_load_b128 v[6:9], v1 offset:1536
	s_wait_loadcnt_dscnt 0x500
	v_mul_f64_e32 v[155:156], v[6:7], v[16:17]
	v_mul_f64_e32 v[16:17], v[8:9], v[16:17]
	v_add_f64_e32 v[147:148], v[40:41], v[38:39]
	v_add_f64_e32 v[149:150], v[149:150], v[157:158]
	scratch_load_b128 v[38:41], off, off offset:192
	v_mul_f64_e32 v[151:152], v[2:3], v[12:13]
	v_mul_f64_e32 v[12:13], v[4:5], v[12:13]
	s_delay_alu instid0(VALU_DEP_2) | instskip(NEXT) | instid1(VALU_DEP_2)
	v_fma_f64 v[151:152], v[4:5], v[10:11], v[151:152]
	v_fma_f64 v[10:11], v[2:3], v[10:11], -v[12:13]
	v_add_f64_e32 v[12:13], v[147:148], v[145:146]
	v_add_f64_e32 v[145:146], v[149:150], v[153:154]
	ds_load_b128 v[2:5], v1 offset:1552
	v_fma_f64 v[149:150], v[8:9], v[14:15], v[155:156]
	v_fma_f64 v[14:15], v[6:7], v[14:15], -v[16:17]
	ds_load_b128 v[6:9], v1 offset:1568
	s_wait_loadcnt_dscnt 0x501
	v_mul_f64_e32 v[147:148], v[2:3], v[20:21]
	v_mul_f64_e32 v[20:21], v[4:5], v[20:21]
	s_wait_loadcnt_dscnt 0x400
	v_mul_f64_e32 v[16:17], v[6:7], v[24:25]
	v_mul_f64_e32 v[24:25], v[8:9], v[24:25]
	v_add_f64_e32 v[10:11], v[12:13], v[10:11]
	v_add_f64_e32 v[12:13], v[145:146], v[151:152]
	v_fma_f64 v[145:146], v[4:5], v[18:19], v[147:148]
	v_fma_f64 v[18:19], v[2:3], v[18:19], -v[20:21]
	ds_load_b128 v[2:5], v1 offset:1584
	v_fma_f64 v[16:17], v[8:9], v[22:23], v[16:17]
	v_fma_f64 v[22:23], v[6:7], v[22:23], -v[24:25]
	ds_load_b128 v[6:9], v1 offset:1600
	v_add_f64_e32 v[10:11], v[10:11], v[14:15]
	v_add_f64_e32 v[12:13], v[12:13], v[149:150]
	s_wait_loadcnt_dscnt 0x301
	v_mul_f64_e32 v[14:15], v[2:3], v[28:29]
	v_mul_f64_e32 v[20:21], v[4:5], v[28:29]
	s_wait_loadcnt_dscnt 0x200
	v_mul_f64_e32 v[24:25], v[8:9], v[32:33]
	v_add_f64_e32 v[10:11], v[10:11], v[18:19]
	v_add_f64_e32 v[12:13], v[12:13], v[145:146]
	v_mul_f64_e32 v[18:19], v[6:7], v[32:33]
	v_fma_f64 v[14:15], v[4:5], v[26:27], v[14:15]
	v_fma_f64 v[20:21], v[2:3], v[26:27], -v[20:21]
	ds_load_b128 v[2:5], v1 offset:1616
	v_fma_f64 v[6:7], v[6:7], v[30:31], -v[24:25]
	v_add_f64_e32 v[10:11], v[10:11], v[22:23]
	v_add_f64_e32 v[12:13], v[12:13], v[16:17]
	s_wait_loadcnt_dscnt 0x100
	v_mul_f64_e32 v[16:17], v[2:3], v[36:37]
	v_mul_f64_e32 v[22:23], v[4:5], v[36:37]
	v_fma_f64 v[8:9], v[8:9], v[30:31], v[18:19]
	v_add_f64_e32 v[10:11], v[10:11], v[20:21]
	v_add_f64_e32 v[12:13], v[12:13], v[14:15]
	v_fma_f64 v[4:5], v[4:5], v[34:35], v[16:17]
	v_fma_f64 v[2:3], v[2:3], v[34:35], -v[22:23]
	s_delay_alu instid0(VALU_DEP_4) | instskip(NEXT) | instid1(VALU_DEP_4)
	v_add_f64_e32 v[6:7], v[10:11], v[6:7]
	v_add_f64_e32 v[8:9], v[12:13], v[8:9]
	s_delay_alu instid0(VALU_DEP_2) | instskip(NEXT) | instid1(VALU_DEP_2)
	v_add_f64_e32 v[2:3], v[6:7], v[2:3]
	v_add_f64_e32 v[4:5], v[8:9], v[4:5]
	s_wait_loadcnt 0x0
	s_delay_alu instid0(VALU_DEP_2) | instskip(NEXT) | instid1(VALU_DEP_2)
	v_add_f64_e64 v[2:3], v[38:39], -v[2:3]
	v_add_f64_e64 v[4:5], v[40:41], -v[4:5]
	scratch_store_b128 off, v[2:5], off offset:192
	v_cmpx_lt_u32_e32 10, v0
	s_cbranch_execz .LBB114_299
; %bb.298:
	scratch_load_b128 v[5:8], off, s54
	v_dual_mov_b32 v2, v1 :: v_dual_mov_b32 v3, v1
	v_mov_b32_e32 v4, v1
	scratch_store_b128 off, v[1:4], off offset:176
	s_wait_loadcnt 0x0
	ds_store_b128 v144, v[5:8]
.LBB114_299:
	s_wait_alu 0xfffe
	s_or_b32 exec_lo, exec_lo, s0
	s_wait_storecnt_dscnt 0x0
	s_barrier_signal -1
	s_barrier_wait -1
	global_inv scope:SCOPE_SE
	s_clause 0x7
	scratch_load_b128 v[2:5], off, off offset:192
	scratch_load_b128 v[6:9], off, off offset:208
	;; [unrolled: 1-line block ×8, first 2 shown]
	ds_load_b128 v[38:41], v1 offset:992
	ds_load_b128 v[145:148], v1 offset:1008
	s_clause 0x1
	scratch_load_b128 v[34:37], off, off offset:320
	scratch_load_b128 v[149:152], off, off offset:336
	s_mov_b32 s0, exec_lo
	s_wait_loadcnt_dscnt 0x901
	v_mul_f64_e32 v[153:154], v[40:41], v[4:5]
	v_mul_f64_e32 v[4:5], v[38:39], v[4:5]
	s_wait_loadcnt_dscnt 0x800
	v_mul_f64_e32 v[155:156], v[145:146], v[8:9]
	v_mul_f64_e32 v[8:9], v[147:148], v[8:9]
	s_delay_alu instid0(VALU_DEP_4) | instskip(NEXT) | instid1(VALU_DEP_4)
	v_fma_f64 v[153:154], v[38:39], v[2:3], -v[153:154]
	v_fma_f64 v[157:158], v[40:41], v[2:3], v[4:5]
	ds_load_b128 v[2:5], v1 offset:1024
	scratch_load_b128 v[38:41], off, off offset:352
	v_fma_f64 v[155:156], v[147:148], v[6:7], v[155:156]
	v_fma_f64 v[161:162], v[145:146], v[6:7], -v[8:9]
	ds_load_b128 v[6:9], v1 offset:1040
	scratch_load_b128 v[145:148], off, off offset:368
	s_wait_loadcnt_dscnt 0x901
	v_mul_f64_e32 v[159:160], v[2:3], v[12:13]
	v_mul_f64_e32 v[12:13], v[4:5], v[12:13]
	s_wait_loadcnt_dscnt 0x800
	v_mul_f64_e32 v[163:164], v[6:7], v[16:17]
	v_mul_f64_e32 v[16:17], v[8:9], v[16:17]
	v_add_f64_e32 v[153:154], 0, v[153:154]
	v_add_f64_e32 v[157:158], 0, v[157:158]
	v_fma_f64 v[159:160], v[4:5], v[10:11], v[159:160]
	v_fma_f64 v[165:166], v[2:3], v[10:11], -v[12:13]
	ds_load_b128 v[2:5], v1 offset:1056
	scratch_load_b128 v[10:13], off, off offset:384
	v_add_f64_e32 v[153:154], v[153:154], v[161:162]
	v_add_f64_e32 v[155:156], v[157:158], v[155:156]
	v_fma_f64 v[161:162], v[8:9], v[14:15], v[163:164]
	v_fma_f64 v[163:164], v[6:7], v[14:15], -v[16:17]
	ds_load_b128 v[6:9], v1 offset:1072
	scratch_load_b128 v[14:17], off, off offset:400
	s_wait_loadcnt_dscnt 0x901
	v_mul_f64_e32 v[157:158], v[2:3], v[20:21]
	v_mul_f64_e32 v[20:21], v[4:5], v[20:21]
	v_add_f64_e32 v[153:154], v[153:154], v[165:166]
	v_add_f64_e32 v[155:156], v[155:156], v[159:160]
	s_wait_loadcnt_dscnt 0x800
	v_mul_f64_e32 v[159:160], v[6:7], v[24:25]
	v_mul_f64_e32 v[24:25], v[8:9], v[24:25]
	v_fma_f64 v[157:158], v[4:5], v[18:19], v[157:158]
	v_fma_f64 v[165:166], v[2:3], v[18:19], -v[20:21]
	ds_load_b128 v[2:5], v1 offset:1088
	scratch_load_b128 v[18:21], off, off offset:416
	v_add_f64_e32 v[153:154], v[153:154], v[163:164]
	v_add_f64_e32 v[155:156], v[155:156], v[161:162]
	v_fma_f64 v[159:160], v[8:9], v[22:23], v[159:160]
	v_fma_f64 v[163:164], v[6:7], v[22:23], -v[24:25]
	ds_load_b128 v[6:9], v1 offset:1104
	s_wait_loadcnt_dscnt 0x801
	v_mul_f64_e32 v[161:162], v[2:3], v[28:29]
	v_mul_f64_e32 v[28:29], v[4:5], v[28:29]
	scratch_load_b128 v[22:25], off, off offset:432
	v_add_f64_e32 v[153:154], v[153:154], v[165:166]
	v_add_f64_e32 v[155:156], v[155:156], v[157:158]
	s_wait_loadcnt_dscnt 0x800
	v_mul_f64_e32 v[157:158], v[6:7], v[32:33]
	v_mul_f64_e32 v[32:33], v[8:9], v[32:33]
	v_fma_f64 v[161:162], v[4:5], v[26:27], v[161:162]
	v_fma_f64 v[165:166], v[2:3], v[26:27], -v[28:29]
	ds_load_b128 v[2:5], v1 offset:1120
	scratch_load_b128 v[26:29], off, off offset:448
	v_add_f64_e32 v[153:154], v[153:154], v[163:164]
	v_add_f64_e32 v[155:156], v[155:156], v[159:160]
	v_fma_f64 v[157:158], v[8:9], v[30:31], v[157:158]
	v_fma_f64 v[163:164], v[6:7], v[30:31], -v[32:33]
	ds_load_b128 v[6:9], v1 offset:1136
	s_wait_loadcnt_dscnt 0x801
	v_mul_f64_e32 v[159:160], v[2:3], v[36:37]
	v_mul_f64_e32 v[36:37], v[4:5], v[36:37]
	scratch_load_b128 v[30:33], off, off offset:464
	v_add_f64_e32 v[153:154], v[153:154], v[165:166]
	v_add_f64_e32 v[155:156], v[155:156], v[161:162]
	s_wait_loadcnt_dscnt 0x800
	v_mul_f64_e32 v[161:162], v[6:7], v[151:152]
	v_mul_f64_e32 v[151:152], v[8:9], v[151:152]
	v_fma_f64 v[159:160], v[4:5], v[34:35], v[159:160]
	v_fma_f64 v[165:166], v[2:3], v[34:35], -v[36:37]
	ds_load_b128 v[2:5], v1 offset:1152
	scratch_load_b128 v[34:37], off, off offset:480
	v_add_f64_e32 v[153:154], v[153:154], v[163:164]
	v_add_f64_e32 v[155:156], v[155:156], v[157:158]
	v_fma_f64 v[161:162], v[8:9], v[149:150], v[161:162]
	v_fma_f64 v[163:164], v[6:7], v[149:150], -v[151:152]
	ds_load_b128 v[6:9], v1 offset:1168
	scratch_load_b128 v[149:152], off, off offset:496
	s_wait_loadcnt_dscnt 0x901
	v_mul_f64_e32 v[157:158], v[2:3], v[40:41]
	v_mul_f64_e32 v[40:41], v[4:5], v[40:41]
	v_add_f64_e32 v[153:154], v[153:154], v[165:166]
	v_add_f64_e32 v[155:156], v[155:156], v[159:160]
	s_wait_loadcnt_dscnt 0x800
	v_mul_f64_e32 v[159:160], v[6:7], v[147:148]
	v_mul_f64_e32 v[147:148], v[8:9], v[147:148]
	v_fma_f64 v[157:158], v[4:5], v[38:39], v[157:158]
	v_fma_f64 v[165:166], v[2:3], v[38:39], -v[40:41]
	ds_load_b128 v[2:5], v1 offset:1184
	scratch_load_b128 v[38:41], off, off offset:512
	v_add_f64_e32 v[153:154], v[153:154], v[163:164]
	v_add_f64_e32 v[155:156], v[155:156], v[161:162]
	v_fma_f64 v[159:160], v[8:9], v[145:146], v[159:160]
	v_fma_f64 v[163:164], v[6:7], v[145:146], -v[147:148]
	ds_load_b128 v[6:9], v1 offset:1200
	s_wait_loadcnt_dscnt 0x801
	v_mul_f64_e32 v[161:162], v[2:3], v[12:13]
	v_mul_f64_e32 v[12:13], v[4:5], v[12:13]
	scratch_load_b128 v[145:148], off, off offset:528
	v_add_f64_e32 v[153:154], v[153:154], v[165:166]
	v_add_f64_e32 v[155:156], v[155:156], v[157:158]
	s_wait_loadcnt_dscnt 0x800
	v_mul_f64_e32 v[157:158], v[6:7], v[16:17]
	v_mul_f64_e32 v[16:17], v[8:9], v[16:17]
	v_fma_f64 v[161:162], v[4:5], v[10:11], v[161:162]
	v_fma_f64 v[165:166], v[2:3], v[10:11], -v[12:13]
	scratch_load_b128 v[10:13], off, off offset:544
	ds_load_b128 v[2:5], v1 offset:1216
	v_add_f64_e32 v[153:154], v[153:154], v[163:164]
	v_add_f64_e32 v[155:156], v[155:156], v[159:160]
	v_fma_f64 v[157:158], v[8:9], v[14:15], v[157:158]
	v_fma_f64 v[163:164], v[6:7], v[14:15], -v[16:17]
	ds_load_b128 v[6:9], v1 offset:1232
	s_wait_loadcnt_dscnt 0x801
	v_mul_f64_e32 v[159:160], v[2:3], v[20:21]
	v_mul_f64_e32 v[20:21], v[4:5], v[20:21]
	scratch_load_b128 v[14:17], off, off offset:560
	v_add_f64_e32 v[153:154], v[153:154], v[165:166]
	v_add_f64_e32 v[155:156], v[155:156], v[161:162]
	s_wait_loadcnt_dscnt 0x800
	v_mul_f64_e32 v[161:162], v[6:7], v[24:25]
	v_mul_f64_e32 v[24:25], v[8:9], v[24:25]
	v_fma_f64 v[159:160], v[4:5], v[18:19], v[159:160]
	v_fma_f64 v[165:166], v[2:3], v[18:19], -v[20:21]
	ds_load_b128 v[2:5], v1 offset:1248
	scratch_load_b128 v[18:21], off, off offset:576
	v_add_f64_e32 v[153:154], v[153:154], v[163:164]
	v_add_f64_e32 v[155:156], v[155:156], v[157:158]
	v_fma_f64 v[161:162], v[8:9], v[22:23], v[161:162]
	v_fma_f64 v[163:164], v[6:7], v[22:23], -v[24:25]
	ds_load_b128 v[6:9], v1 offset:1264
	s_wait_loadcnt_dscnt 0x801
	v_mul_f64_e32 v[157:158], v[2:3], v[28:29]
	v_mul_f64_e32 v[28:29], v[4:5], v[28:29]
	scratch_load_b128 v[22:25], off, off offset:592
	v_add_f64_e32 v[153:154], v[153:154], v[165:166]
	v_add_f64_e32 v[155:156], v[155:156], v[159:160]
	s_wait_loadcnt_dscnt 0x800
	v_mul_f64_e32 v[159:160], v[6:7], v[32:33]
	v_mul_f64_e32 v[32:33], v[8:9], v[32:33]
	v_fma_f64 v[157:158], v[4:5], v[26:27], v[157:158]
	v_fma_f64 v[165:166], v[2:3], v[26:27], -v[28:29]
	ds_load_b128 v[2:5], v1 offset:1280
	scratch_load_b128 v[26:29], off, off offset:608
	;; [unrolled: 18-line block ×4, first 2 shown]
	v_add_f64_e32 v[153:154], v[153:154], v[163:164]
	v_add_f64_e32 v[155:156], v[155:156], v[157:158]
	v_fma_f64 v[161:162], v[8:9], v[145:146], v[161:162]
	v_fma_f64 v[163:164], v[6:7], v[145:146], -v[147:148]
	ds_load_b128 v[6:9], v1 offset:1360
	s_wait_loadcnt_dscnt 0x801
	v_mul_f64_e32 v[157:158], v[2:3], v[12:13]
	v_mul_f64_e32 v[12:13], v[4:5], v[12:13]
	scratch_load_b128 v[145:148], off, off offset:688
	v_add_f64_e32 v[153:154], v[153:154], v[165:166]
	v_add_f64_e32 v[155:156], v[155:156], v[159:160]
	s_wait_loadcnt_dscnt 0x800
	v_mul_f64_e32 v[159:160], v[6:7], v[16:17]
	v_mul_f64_e32 v[16:17], v[8:9], v[16:17]
	v_fma_f64 v[157:158], v[4:5], v[10:11], v[157:158]
	v_fma_f64 v[165:166], v[2:3], v[10:11], -v[12:13]
	scratch_load_b128 v[10:13], off, off offset:704
	ds_load_b128 v[2:5], v1 offset:1376
	v_add_f64_e32 v[153:154], v[153:154], v[163:164]
	v_add_f64_e32 v[155:156], v[155:156], v[161:162]
	v_fma_f64 v[159:160], v[8:9], v[14:15], v[159:160]
	v_fma_f64 v[163:164], v[6:7], v[14:15], -v[16:17]
	ds_load_b128 v[6:9], v1 offset:1392
	s_wait_loadcnt_dscnt 0x801
	v_mul_f64_e32 v[161:162], v[2:3], v[20:21]
	v_mul_f64_e32 v[20:21], v[4:5], v[20:21]
	scratch_load_b128 v[14:17], off, off offset:720
	v_add_f64_e32 v[153:154], v[153:154], v[165:166]
	v_add_f64_e32 v[155:156], v[155:156], v[157:158]
	s_wait_loadcnt_dscnt 0x800
	v_mul_f64_e32 v[157:158], v[6:7], v[24:25]
	v_mul_f64_e32 v[24:25], v[8:9], v[24:25]
	v_fma_f64 v[161:162], v[4:5], v[18:19], v[161:162]
	v_fma_f64 v[165:166], v[2:3], v[18:19], -v[20:21]
	ds_load_b128 v[2:5], v1 offset:1408
	scratch_load_b128 v[18:21], off, off offset:736
	v_add_f64_e32 v[153:154], v[153:154], v[163:164]
	v_add_f64_e32 v[155:156], v[155:156], v[159:160]
	v_fma_f64 v[157:158], v[8:9], v[22:23], v[157:158]
	v_fma_f64 v[163:164], v[6:7], v[22:23], -v[24:25]
	ds_load_b128 v[6:9], v1 offset:1424
	s_wait_loadcnt_dscnt 0x801
	v_mul_f64_e32 v[159:160], v[2:3], v[28:29]
	v_mul_f64_e32 v[28:29], v[4:5], v[28:29]
	scratch_load_b128 v[22:25], off, off offset:752
	v_add_f64_e32 v[153:154], v[153:154], v[165:166]
	v_add_f64_e32 v[155:156], v[155:156], v[161:162]
	s_wait_loadcnt_dscnt 0x800
	v_mul_f64_e32 v[161:162], v[6:7], v[32:33]
	v_mul_f64_e32 v[32:33], v[8:9], v[32:33]
	v_fma_f64 v[159:160], v[4:5], v[26:27], v[159:160]
	v_fma_f64 v[165:166], v[2:3], v[26:27], -v[28:29]
	ds_load_b128 v[2:5], v1 offset:1440
	scratch_load_b128 v[26:29], off, off offset:768
	;; [unrolled: 18-line block ×3, first 2 shown]
	v_add_f64_e32 v[153:154], v[153:154], v[163:164]
	v_add_f64_e32 v[155:156], v[155:156], v[161:162]
	v_fma_f64 v[159:160], v[8:9], v[149:150], v[159:160]
	v_fma_f64 v[163:164], v[6:7], v[149:150], -v[151:152]
	ds_load_b128 v[6:9], v1 offset:1488
	s_wait_loadcnt_dscnt 0x801
	v_mul_f64_e32 v[161:162], v[2:3], v[40:41]
	v_mul_f64_e32 v[40:41], v[4:5], v[40:41]
	scratch_load_b128 v[149:152], off, off offset:816
	v_add_f64_e32 v[153:154], v[153:154], v[165:166]
	v_add_f64_e32 v[155:156], v[155:156], v[157:158]
	v_fma_f64 v[161:162], v[4:5], v[38:39], v[161:162]
	v_fma_f64 v[38:39], v[2:3], v[38:39], -v[40:41]
	ds_load_b128 v[2:5], v1 offset:1504
	v_add_f64_e32 v[40:41], v[153:154], v[163:164]
	v_add_f64_e32 v[153:154], v[155:156], v[159:160]
	s_wait_loadcnt_dscnt 0x700
	v_mul_f64_e32 v[155:156], v[2:3], v[12:13]
	v_mul_f64_e32 v[12:13], v[4:5], v[12:13]
	s_delay_alu instid0(VALU_DEP_4) | instskip(NEXT) | instid1(VALU_DEP_4)
	v_add_f64_e32 v[38:39], v[40:41], v[38:39]
	v_add_f64_e32 v[40:41], v[153:154], v[161:162]
	s_delay_alu instid0(VALU_DEP_4) | instskip(NEXT) | instid1(VALU_DEP_4)
	v_fma_f64 v[153:154], v[4:5], v[10:11], v[155:156]
	v_fma_f64 v[155:156], v[2:3], v[10:11], -v[12:13]
	scratch_load_b128 v[10:13], off, off offset:176
	v_mul_f64_e32 v[157:158], v[6:7], v[147:148]
	v_mul_f64_e32 v[147:148], v[8:9], v[147:148]
	ds_load_b128 v[2:5], v1 offset:1536
	v_fma_f64 v[157:158], v[8:9], v[145:146], v[157:158]
	v_fma_f64 v[145:146], v[6:7], v[145:146], -v[147:148]
	ds_load_b128 v[6:9], v1 offset:1520
	s_wait_loadcnt_dscnt 0x700
	v_mul_f64_e32 v[147:148], v[6:7], v[16:17]
	v_mul_f64_e32 v[16:17], v[8:9], v[16:17]
	v_add_f64_e32 v[40:41], v[40:41], v[157:158]
	v_add_f64_e32 v[38:39], v[38:39], v[145:146]
	s_wait_loadcnt 0x6
	v_mul_f64_e32 v[145:146], v[2:3], v[20:21]
	v_mul_f64_e32 v[20:21], v[4:5], v[20:21]
	v_fma_f64 v[147:148], v[8:9], v[14:15], v[147:148]
	v_fma_f64 v[14:15], v[6:7], v[14:15], -v[16:17]
	ds_load_b128 v[6:9], v1 offset:1552
	v_add_f64_e32 v[16:17], v[38:39], v[155:156]
	v_add_f64_e32 v[38:39], v[40:41], v[153:154]
	v_fma_f64 v[145:146], v[4:5], v[18:19], v[145:146]
	v_fma_f64 v[18:19], v[2:3], v[18:19], -v[20:21]
	ds_load_b128 v[2:5], v1 offset:1568
	s_wait_loadcnt_dscnt 0x501
	v_mul_f64_e32 v[40:41], v[6:7], v[24:25]
	v_mul_f64_e32 v[24:25], v[8:9], v[24:25]
	s_wait_loadcnt_dscnt 0x400
	v_mul_f64_e32 v[20:21], v[2:3], v[28:29]
	v_mul_f64_e32 v[28:29], v[4:5], v[28:29]
	v_add_f64_e32 v[14:15], v[16:17], v[14:15]
	v_add_f64_e32 v[16:17], v[38:39], v[147:148]
	v_fma_f64 v[38:39], v[8:9], v[22:23], v[40:41]
	v_fma_f64 v[22:23], v[6:7], v[22:23], -v[24:25]
	ds_load_b128 v[6:9], v1 offset:1584
	v_fma_f64 v[20:21], v[4:5], v[26:27], v[20:21]
	v_fma_f64 v[26:27], v[2:3], v[26:27], -v[28:29]
	ds_load_b128 v[2:5], v1 offset:1600
	s_wait_loadcnt_dscnt 0x301
	v_mul_f64_e32 v[24:25], v[8:9], v[32:33]
	v_add_f64_e32 v[14:15], v[14:15], v[18:19]
	v_add_f64_e32 v[16:17], v[16:17], v[145:146]
	v_mul_f64_e32 v[18:19], v[6:7], v[32:33]
	s_wait_loadcnt_dscnt 0x200
	v_mul_f64_e32 v[28:29], v[4:5], v[36:37]
	v_fma_f64 v[24:25], v[6:7], v[30:31], -v[24:25]
	v_add_f64_e32 v[14:15], v[14:15], v[22:23]
	v_add_f64_e32 v[16:17], v[16:17], v[38:39]
	v_mul_f64_e32 v[22:23], v[2:3], v[36:37]
	v_fma_f64 v[18:19], v[8:9], v[30:31], v[18:19]
	ds_load_b128 v[6:9], v1 offset:1616
	v_fma_f64 v[1:2], v[2:3], v[34:35], -v[28:29]
	v_add_f64_e32 v[14:15], v[14:15], v[26:27]
	v_add_f64_e32 v[16:17], v[16:17], v[20:21]
	s_wait_loadcnt_dscnt 0x100
	v_mul_f64_e32 v[20:21], v[6:7], v[151:152]
	v_mul_f64_e32 v[26:27], v[8:9], v[151:152]
	v_fma_f64 v[4:5], v[4:5], v[34:35], v[22:23]
	v_add_f64_e32 v[14:15], v[14:15], v[24:25]
	v_add_f64_e32 v[16:17], v[16:17], v[18:19]
	v_fma_f64 v[8:9], v[8:9], v[149:150], v[20:21]
	v_fma_f64 v[6:7], v[6:7], v[149:150], -v[26:27]
	s_delay_alu instid0(VALU_DEP_4) | instskip(NEXT) | instid1(VALU_DEP_4)
	v_add_f64_e32 v[1:2], v[14:15], v[1:2]
	v_add_f64_e32 v[3:4], v[16:17], v[4:5]
	s_delay_alu instid0(VALU_DEP_2) | instskip(NEXT) | instid1(VALU_DEP_2)
	v_add_f64_e32 v[1:2], v[1:2], v[6:7]
	v_add_f64_e32 v[3:4], v[3:4], v[8:9]
	s_wait_loadcnt 0x0
	s_delay_alu instid0(VALU_DEP_2) | instskip(NEXT) | instid1(VALU_DEP_2)
	v_add_f64_e64 v[1:2], v[10:11], -v[1:2]
	v_add_f64_e64 v[3:4], v[12:13], -v[3:4]
	scratch_store_b128 off, v[1:4], off offset:176
	v_cmpx_lt_u32_e32 9, v0
	s_cbranch_execz .LBB114_301
; %bb.300:
	scratch_load_b128 v[1:4], off, s55
	v_mov_b32_e32 v5, 0
	s_delay_alu instid0(VALU_DEP_1)
	v_dual_mov_b32 v6, v5 :: v_dual_mov_b32 v7, v5
	v_mov_b32_e32 v8, v5
	scratch_store_b128 off, v[5:8], off offset:160
	s_wait_loadcnt 0x0
	ds_store_b128 v144, v[1:4]
.LBB114_301:
	s_wait_alu 0xfffe
	s_or_b32 exec_lo, exec_lo, s0
	s_wait_storecnt_dscnt 0x0
	s_barrier_signal -1
	s_barrier_wait -1
	global_inv scope:SCOPE_SE
	s_clause 0x7
	scratch_load_b128 v[2:5], off, off offset:176
	scratch_load_b128 v[6:9], off, off offset:192
	;; [unrolled: 1-line block ×8, first 2 shown]
	v_mov_b32_e32 v1, 0
	s_clause 0x1
	scratch_load_b128 v[34:37], off, off offset:304
	scratch_load_b128 v[149:152], off, off offset:320
	s_mov_b32 s0, exec_lo
	ds_load_b128 v[38:41], v1 offset:976
	ds_load_b128 v[145:148], v1 offset:992
	s_wait_loadcnt_dscnt 0x901
	v_mul_f64_e32 v[153:154], v[40:41], v[4:5]
	v_mul_f64_e32 v[4:5], v[38:39], v[4:5]
	s_wait_loadcnt_dscnt 0x800
	v_mul_f64_e32 v[155:156], v[145:146], v[8:9]
	v_mul_f64_e32 v[8:9], v[147:148], v[8:9]
	s_delay_alu instid0(VALU_DEP_4) | instskip(NEXT) | instid1(VALU_DEP_4)
	v_fma_f64 v[153:154], v[38:39], v[2:3], -v[153:154]
	v_fma_f64 v[157:158], v[40:41], v[2:3], v[4:5]
	ds_load_b128 v[2:5], v1 offset:1008
	scratch_load_b128 v[38:41], off, off offset:336
	v_fma_f64 v[155:156], v[147:148], v[6:7], v[155:156]
	v_fma_f64 v[161:162], v[145:146], v[6:7], -v[8:9]
	ds_load_b128 v[6:9], v1 offset:1024
	scratch_load_b128 v[145:148], off, off offset:352
	s_wait_loadcnt_dscnt 0x901
	v_mul_f64_e32 v[159:160], v[2:3], v[12:13]
	v_mul_f64_e32 v[12:13], v[4:5], v[12:13]
	s_wait_loadcnt_dscnt 0x800
	v_mul_f64_e32 v[163:164], v[6:7], v[16:17]
	v_mul_f64_e32 v[16:17], v[8:9], v[16:17]
	v_add_f64_e32 v[153:154], 0, v[153:154]
	v_add_f64_e32 v[157:158], 0, v[157:158]
	v_fma_f64 v[159:160], v[4:5], v[10:11], v[159:160]
	v_fma_f64 v[165:166], v[2:3], v[10:11], -v[12:13]
	ds_load_b128 v[2:5], v1 offset:1040
	scratch_load_b128 v[10:13], off, off offset:368
	v_add_f64_e32 v[153:154], v[153:154], v[161:162]
	v_add_f64_e32 v[155:156], v[157:158], v[155:156]
	v_fma_f64 v[161:162], v[8:9], v[14:15], v[163:164]
	v_fma_f64 v[163:164], v[6:7], v[14:15], -v[16:17]
	ds_load_b128 v[6:9], v1 offset:1056
	scratch_load_b128 v[14:17], off, off offset:384
	s_wait_loadcnt_dscnt 0x901
	v_mul_f64_e32 v[157:158], v[2:3], v[20:21]
	v_mul_f64_e32 v[20:21], v[4:5], v[20:21]
	v_add_f64_e32 v[153:154], v[153:154], v[165:166]
	v_add_f64_e32 v[155:156], v[155:156], v[159:160]
	s_wait_loadcnt_dscnt 0x800
	v_mul_f64_e32 v[159:160], v[6:7], v[24:25]
	v_mul_f64_e32 v[24:25], v[8:9], v[24:25]
	v_fma_f64 v[157:158], v[4:5], v[18:19], v[157:158]
	v_fma_f64 v[165:166], v[2:3], v[18:19], -v[20:21]
	ds_load_b128 v[2:5], v1 offset:1072
	scratch_load_b128 v[18:21], off, off offset:400
	v_add_f64_e32 v[153:154], v[153:154], v[163:164]
	v_add_f64_e32 v[155:156], v[155:156], v[161:162]
	v_fma_f64 v[159:160], v[8:9], v[22:23], v[159:160]
	v_fma_f64 v[163:164], v[6:7], v[22:23], -v[24:25]
	ds_load_b128 v[6:9], v1 offset:1088
	s_wait_loadcnt_dscnt 0x801
	v_mul_f64_e32 v[161:162], v[2:3], v[28:29]
	v_mul_f64_e32 v[28:29], v[4:5], v[28:29]
	scratch_load_b128 v[22:25], off, off offset:416
	v_add_f64_e32 v[153:154], v[153:154], v[165:166]
	v_add_f64_e32 v[155:156], v[155:156], v[157:158]
	s_wait_loadcnt_dscnt 0x800
	v_mul_f64_e32 v[157:158], v[6:7], v[32:33]
	v_mul_f64_e32 v[32:33], v[8:9], v[32:33]
	v_fma_f64 v[161:162], v[4:5], v[26:27], v[161:162]
	v_fma_f64 v[165:166], v[2:3], v[26:27], -v[28:29]
	ds_load_b128 v[2:5], v1 offset:1104
	scratch_load_b128 v[26:29], off, off offset:432
	v_add_f64_e32 v[153:154], v[153:154], v[163:164]
	v_add_f64_e32 v[155:156], v[155:156], v[159:160]
	v_fma_f64 v[157:158], v[8:9], v[30:31], v[157:158]
	v_fma_f64 v[163:164], v[6:7], v[30:31], -v[32:33]
	ds_load_b128 v[6:9], v1 offset:1120
	s_wait_loadcnt_dscnt 0x801
	v_mul_f64_e32 v[159:160], v[2:3], v[36:37]
	v_mul_f64_e32 v[36:37], v[4:5], v[36:37]
	scratch_load_b128 v[30:33], off, off offset:448
	v_add_f64_e32 v[153:154], v[153:154], v[165:166]
	v_add_f64_e32 v[155:156], v[155:156], v[161:162]
	s_wait_loadcnt_dscnt 0x800
	v_mul_f64_e32 v[161:162], v[6:7], v[151:152]
	v_mul_f64_e32 v[151:152], v[8:9], v[151:152]
	v_fma_f64 v[159:160], v[4:5], v[34:35], v[159:160]
	v_fma_f64 v[165:166], v[2:3], v[34:35], -v[36:37]
	ds_load_b128 v[2:5], v1 offset:1136
	scratch_load_b128 v[34:37], off, off offset:464
	v_add_f64_e32 v[153:154], v[153:154], v[163:164]
	v_add_f64_e32 v[155:156], v[155:156], v[157:158]
	v_fma_f64 v[161:162], v[8:9], v[149:150], v[161:162]
	v_fma_f64 v[163:164], v[6:7], v[149:150], -v[151:152]
	ds_load_b128 v[6:9], v1 offset:1152
	scratch_load_b128 v[149:152], off, off offset:480
	s_wait_loadcnt_dscnt 0x901
	v_mul_f64_e32 v[157:158], v[2:3], v[40:41]
	v_mul_f64_e32 v[40:41], v[4:5], v[40:41]
	v_add_f64_e32 v[153:154], v[153:154], v[165:166]
	v_add_f64_e32 v[155:156], v[155:156], v[159:160]
	s_wait_loadcnt_dscnt 0x800
	v_mul_f64_e32 v[159:160], v[6:7], v[147:148]
	v_mul_f64_e32 v[147:148], v[8:9], v[147:148]
	v_fma_f64 v[157:158], v[4:5], v[38:39], v[157:158]
	v_fma_f64 v[165:166], v[2:3], v[38:39], -v[40:41]
	ds_load_b128 v[2:5], v1 offset:1168
	scratch_load_b128 v[38:41], off, off offset:496
	v_add_f64_e32 v[153:154], v[153:154], v[163:164]
	v_add_f64_e32 v[155:156], v[155:156], v[161:162]
	v_fma_f64 v[159:160], v[8:9], v[145:146], v[159:160]
	v_fma_f64 v[163:164], v[6:7], v[145:146], -v[147:148]
	ds_load_b128 v[6:9], v1 offset:1184
	s_wait_loadcnt_dscnt 0x801
	v_mul_f64_e32 v[161:162], v[2:3], v[12:13]
	v_mul_f64_e32 v[12:13], v[4:5], v[12:13]
	scratch_load_b128 v[145:148], off, off offset:512
	v_add_f64_e32 v[153:154], v[153:154], v[165:166]
	v_add_f64_e32 v[155:156], v[155:156], v[157:158]
	s_wait_loadcnt_dscnt 0x800
	v_mul_f64_e32 v[157:158], v[6:7], v[16:17]
	v_mul_f64_e32 v[16:17], v[8:9], v[16:17]
	v_fma_f64 v[161:162], v[4:5], v[10:11], v[161:162]
	v_fma_f64 v[165:166], v[2:3], v[10:11], -v[12:13]
	ds_load_b128 v[2:5], v1 offset:1200
	scratch_load_b128 v[10:13], off, off offset:528
	v_add_f64_e32 v[153:154], v[153:154], v[163:164]
	v_add_f64_e32 v[155:156], v[155:156], v[159:160]
	v_fma_f64 v[157:158], v[8:9], v[14:15], v[157:158]
	v_fma_f64 v[163:164], v[6:7], v[14:15], -v[16:17]
	ds_load_b128 v[6:9], v1 offset:1216
	s_wait_loadcnt_dscnt 0x801
	v_mul_f64_e32 v[159:160], v[2:3], v[20:21]
	v_mul_f64_e32 v[20:21], v[4:5], v[20:21]
	scratch_load_b128 v[14:17], off, off offset:544
	;; [unrolled: 18-line block ×10, first 2 shown]
	v_add_f64_e32 v[153:154], v[153:154], v[165:166]
	v_add_f64_e32 v[155:156], v[155:156], v[157:158]
	s_wait_loadcnt_dscnt 0x800
	v_mul_f64_e32 v[157:158], v[6:7], v[147:148]
	v_mul_f64_e32 v[147:148], v[8:9], v[147:148]
	v_fma_f64 v[161:162], v[4:5], v[38:39], v[161:162]
	v_fma_f64 v[165:166], v[2:3], v[38:39], -v[40:41]
	ds_load_b128 v[2:5], v1 offset:1488
	scratch_load_b128 v[38:41], off, off offset:816
	v_add_f64_e32 v[153:154], v[153:154], v[163:164]
	v_add_f64_e32 v[155:156], v[155:156], v[159:160]
	v_fma_f64 v[157:158], v[8:9], v[145:146], v[157:158]
	v_fma_f64 v[145:146], v[6:7], v[145:146], -v[147:148]
	ds_load_b128 v[6:9], v1 offset:1504
	s_wait_loadcnt_dscnt 0x801
	v_mul_f64_e32 v[159:160], v[2:3], v[12:13]
	v_mul_f64_e32 v[12:13], v[4:5], v[12:13]
	v_add_f64_e32 v[147:148], v[153:154], v[165:166]
	v_add_f64_e32 v[153:154], v[155:156], v[161:162]
	s_wait_loadcnt_dscnt 0x700
	v_mul_f64_e32 v[155:156], v[6:7], v[16:17]
	v_mul_f64_e32 v[16:17], v[8:9], v[16:17]
	v_fma_f64 v[159:160], v[4:5], v[10:11], v[159:160]
	v_fma_f64 v[10:11], v[2:3], v[10:11], -v[12:13]
	ds_load_b128 v[2:5], v1 offset:1520
	v_add_f64_e32 v[12:13], v[147:148], v[145:146]
	v_add_f64_e32 v[145:146], v[153:154], v[157:158]
	v_fma_f64 v[153:154], v[8:9], v[14:15], v[155:156]
	v_fma_f64 v[14:15], v[6:7], v[14:15], -v[16:17]
	ds_load_b128 v[6:9], v1 offset:1536
	s_wait_loadcnt_dscnt 0x500
	v_mul_f64_e32 v[155:156], v[6:7], v[24:25]
	v_mul_f64_e32 v[24:25], v[8:9], v[24:25]
	v_add_f64_e32 v[16:17], v[12:13], v[10:11]
	v_add_f64_e32 v[145:146], v[145:146], v[159:160]
	scratch_load_b128 v[10:13], off, off offset:160
	v_mul_f64_e32 v[147:148], v[2:3], v[20:21]
	v_mul_f64_e32 v[20:21], v[4:5], v[20:21]
	v_add_f64_e32 v[14:15], v[16:17], v[14:15]
	v_add_f64_e32 v[16:17], v[145:146], v[153:154]
	v_fma_f64 v[145:146], v[8:9], v[22:23], v[155:156]
	v_fma_f64 v[147:148], v[4:5], v[18:19], v[147:148]
	v_fma_f64 v[18:19], v[2:3], v[18:19], -v[20:21]
	ds_load_b128 v[2:5], v1 offset:1552
	v_fma_f64 v[22:23], v[6:7], v[22:23], -v[24:25]
	ds_load_b128 v[6:9], v1 offset:1568
	s_wait_loadcnt_dscnt 0x501
	v_mul_f64_e32 v[20:21], v[2:3], v[28:29]
	v_mul_f64_e32 v[28:29], v[4:5], v[28:29]
	s_wait_loadcnt_dscnt 0x400
	v_mul_f64_e32 v[24:25], v[8:9], v[32:33]
	v_add_f64_e32 v[16:17], v[16:17], v[147:148]
	v_add_f64_e32 v[14:15], v[14:15], v[18:19]
	v_mul_f64_e32 v[18:19], v[6:7], v[32:33]
	v_fma_f64 v[20:21], v[4:5], v[26:27], v[20:21]
	v_fma_f64 v[26:27], v[2:3], v[26:27], -v[28:29]
	ds_load_b128 v[2:5], v1 offset:1584
	v_fma_f64 v[24:25], v[6:7], v[30:31], -v[24:25]
	v_add_f64_e32 v[16:17], v[16:17], v[145:146]
	v_add_f64_e32 v[14:15], v[14:15], v[22:23]
	v_fma_f64 v[18:19], v[8:9], v[30:31], v[18:19]
	ds_load_b128 v[6:9], v1 offset:1600
	s_wait_loadcnt_dscnt 0x301
	v_mul_f64_e32 v[22:23], v[2:3], v[36:37]
	v_mul_f64_e32 v[28:29], v[4:5], v[36:37]
	v_add_f64_e32 v[16:17], v[16:17], v[20:21]
	v_add_f64_e32 v[14:15], v[14:15], v[26:27]
	s_wait_loadcnt_dscnt 0x200
	v_mul_f64_e32 v[20:21], v[6:7], v[151:152]
	v_mul_f64_e32 v[26:27], v[8:9], v[151:152]
	v_fma_f64 v[22:23], v[4:5], v[34:35], v[22:23]
	v_fma_f64 v[28:29], v[2:3], v[34:35], -v[28:29]
	ds_load_b128 v[2:5], v1 offset:1616
	v_add_f64_e32 v[16:17], v[16:17], v[18:19]
	v_add_f64_e32 v[14:15], v[14:15], v[24:25]
	s_wait_loadcnt_dscnt 0x100
	v_mul_f64_e32 v[18:19], v[2:3], v[40:41]
	v_mul_f64_e32 v[24:25], v[4:5], v[40:41]
	v_fma_f64 v[8:9], v[8:9], v[149:150], v[20:21]
	v_fma_f64 v[6:7], v[6:7], v[149:150], -v[26:27]
	v_add_f64_e32 v[16:17], v[16:17], v[22:23]
	v_add_f64_e32 v[14:15], v[14:15], v[28:29]
	v_fma_f64 v[4:5], v[4:5], v[38:39], v[18:19]
	v_fma_f64 v[2:3], v[2:3], v[38:39], -v[24:25]
	s_delay_alu instid0(VALU_DEP_4) | instskip(NEXT) | instid1(VALU_DEP_4)
	v_add_f64_e32 v[8:9], v[16:17], v[8:9]
	v_add_f64_e32 v[6:7], v[14:15], v[6:7]
	s_delay_alu instid0(VALU_DEP_2) | instskip(NEXT) | instid1(VALU_DEP_2)
	v_add_f64_e32 v[4:5], v[8:9], v[4:5]
	v_add_f64_e32 v[2:3], v[6:7], v[2:3]
	s_wait_loadcnt 0x0
	s_delay_alu instid0(VALU_DEP_2) | instskip(NEXT) | instid1(VALU_DEP_2)
	v_add_f64_e64 v[4:5], v[12:13], -v[4:5]
	v_add_f64_e64 v[2:3], v[10:11], -v[2:3]
	scratch_store_b128 off, v[2:5], off offset:160
	v_cmpx_lt_u32_e32 8, v0
	s_cbranch_execz .LBB114_303
; %bb.302:
	scratch_load_b128 v[5:8], off, s56
	v_dual_mov_b32 v2, v1 :: v_dual_mov_b32 v3, v1
	v_mov_b32_e32 v4, v1
	scratch_store_b128 off, v[1:4], off offset:144
	s_wait_loadcnt 0x0
	ds_store_b128 v144, v[5:8]
.LBB114_303:
	s_wait_alu 0xfffe
	s_or_b32 exec_lo, exec_lo, s0
	s_wait_storecnt_dscnt 0x0
	s_barrier_signal -1
	s_barrier_wait -1
	global_inv scope:SCOPE_SE
	s_clause 0x7
	scratch_load_b128 v[2:5], off, off offset:160
	scratch_load_b128 v[6:9], off, off offset:176
	;; [unrolled: 1-line block ×8, first 2 shown]
	ds_load_b128 v[38:41], v1 offset:960
	ds_load_b128 v[145:148], v1 offset:976
	s_clause 0x1
	scratch_load_b128 v[34:37], off, off offset:288
	scratch_load_b128 v[149:152], off, off offset:304
	s_mov_b32 s0, exec_lo
	s_wait_loadcnt_dscnt 0x901
	v_mul_f64_e32 v[153:154], v[40:41], v[4:5]
	v_mul_f64_e32 v[4:5], v[38:39], v[4:5]
	s_wait_loadcnt_dscnt 0x800
	v_mul_f64_e32 v[155:156], v[145:146], v[8:9]
	v_mul_f64_e32 v[8:9], v[147:148], v[8:9]
	s_delay_alu instid0(VALU_DEP_4) | instskip(NEXT) | instid1(VALU_DEP_4)
	v_fma_f64 v[153:154], v[38:39], v[2:3], -v[153:154]
	v_fma_f64 v[157:158], v[40:41], v[2:3], v[4:5]
	ds_load_b128 v[2:5], v1 offset:992
	scratch_load_b128 v[38:41], off, off offset:320
	v_fma_f64 v[155:156], v[147:148], v[6:7], v[155:156]
	v_fma_f64 v[161:162], v[145:146], v[6:7], -v[8:9]
	ds_load_b128 v[6:9], v1 offset:1008
	scratch_load_b128 v[145:148], off, off offset:336
	s_wait_loadcnt_dscnt 0x901
	v_mul_f64_e32 v[159:160], v[2:3], v[12:13]
	v_mul_f64_e32 v[12:13], v[4:5], v[12:13]
	s_wait_loadcnt_dscnt 0x800
	v_mul_f64_e32 v[163:164], v[6:7], v[16:17]
	v_mul_f64_e32 v[16:17], v[8:9], v[16:17]
	v_add_f64_e32 v[153:154], 0, v[153:154]
	v_add_f64_e32 v[157:158], 0, v[157:158]
	v_fma_f64 v[159:160], v[4:5], v[10:11], v[159:160]
	v_fma_f64 v[165:166], v[2:3], v[10:11], -v[12:13]
	ds_load_b128 v[2:5], v1 offset:1024
	scratch_load_b128 v[10:13], off, off offset:352
	v_add_f64_e32 v[153:154], v[153:154], v[161:162]
	v_add_f64_e32 v[155:156], v[157:158], v[155:156]
	v_fma_f64 v[161:162], v[8:9], v[14:15], v[163:164]
	v_fma_f64 v[163:164], v[6:7], v[14:15], -v[16:17]
	ds_load_b128 v[6:9], v1 offset:1040
	scratch_load_b128 v[14:17], off, off offset:368
	s_wait_loadcnt_dscnt 0x901
	v_mul_f64_e32 v[157:158], v[2:3], v[20:21]
	v_mul_f64_e32 v[20:21], v[4:5], v[20:21]
	v_add_f64_e32 v[153:154], v[153:154], v[165:166]
	v_add_f64_e32 v[155:156], v[155:156], v[159:160]
	s_wait_loadcnt_dscnt 0x800
	v_mul_f64_e32 v[159:160], v[6:7], v[24:25]
	v_mul_f64_e32 v[24:25], v[8:9], v[24:25]
	v_fma_f64 v[157:158], v[4:5], v[18:19], v[157:158]
	v_fma_f64 v[165:166], v[2:3], v[18:19], -v[20:21]
	ds_load_b128 v[2:5], v1 offset:1056
	scratch_load_b128 v[18:21], off, off offset:384
	v_add_f64_e32 v[153:154], v[153:154], v[163:164]
	v_add_f64_e32 v[155:156], v[155:156], v[161:162]
	v_fma_f64 v[159:160], v[8:9], v[22:23], v[159:160]
	v_fma_f64 v[163:164], v[6:7], v[22:23], -v[24:25]
	ds_load_b128 v[6:9], v1 offset:1072
	s_wait_loadcnt_dscnt 0x801
	v_mul_f64_e32 v[161:162], v[2:3], v[28:29]
	v_mul_f64_e32 v[28:29], v[4:5], v[28:29]
	scratch_load_b128 v[22:25], off, off offset:400
	v_add_f64_e32 v[153:154], v[153:154], v[165:166]
	v_add_f64_e32 v[155:156], v[155:156], v[157:158]
	s_wait_loadcnt_dscnt 0x800
	v_mul_f64_e32 v[157:158], v[6:7], v[32:33]
	v_mul_f64_e32 v[32:33], v[8:9], v[32:33]
	v_fma_f64 v[161:162], v[4:5], v[26:27], v[161:162]
	v_fma_f64 v[165:166], v[2:3], v[26:27], -v[28:29]
	ds_load_b128 v[2:5], v1 offset:1088
	scratch_load_b128 v[26:29], off, off offset:416
	v_add_f64_e32 v[153:154], v[153:154], v[163:164]
	v_add_f64_e32 v[155:156], v[155:156], v[159:160]
	v_fma_f64 v[157:158], v[8:9], v[30:31], v[157:158]
	v_fma_f64 v[163:164], v[6:7], v[30:31], -v[32:33]
	ds_load_b128 v[6:9], v1 offset:1104
	s_wait_loadcnt_dscnt 0x801
	v_mul_f64_e32 v[159:160], v[2:3], v[36:37]
	v_mul_f64_e32 v[36:37], v[4:5], v[36:37]
	scratch_load_b128 v[30:33], off, off offset:432
	v_add_f64_e32 v[153:154], v[153:154], v[165:166]
	v_add_f64_e32 v[155:156], v[155:156], v[161:162]
	s_wait_loadcnt_dscnt 0x800
	v_mul_f64_e32 v[161:162], v[6:7], v[151:152]
	v_mul_f64_e32 v[151:152], v[8:9], v[151:152]
	v_fma_f64 v[159:160], v[4:5], v[34:35], v[159:160]
	v_fma_f64 v[165:166], v[2:3], v[34:35], -v[36:37]
	ds_load_b128 v[2:5], v1 offset:1120
	scratch_load_b128 v[34:37], off, off offset:448
	v_add_f64_e32 v[153:154], v[153:154], v[163:164]
	v_add_f64_e32 v[155:156], v[155:156], v[157:158]
	v_fma_f64 v[161:162], v[8:9], v[149:150], v[161:162]
	v_fma_f64 v[163:164], v[6:7], v[149:150], -v[151:152]
	ds_load_b128 v[6:9], v1 offset:1136
	scratch_load_b128 v[149:152], off, off offset:464
	s_wait_loadcnt_dscnt 0x901
	v_mul_f64_e32 v[157:158], v[2:3], v[40:41]
	v_mul_f64_e32 v[40:41], v[4:5], v[40:41]
	v_add_f64_e32 v[153:154], v[153:154], v[165:166]
	v_add_f64_e32 v[155:156], v[155:156], v[159:160]
	s_wait_loadcnt_dscnt 0x800
	v_mul_f64_e32 v[159:160], v[6:7], v[147:148]
	v_mul_f64_e32 v[147:148], v[8:9], v[147:148]
	v_fma_f64 v[157:158], v[4:5], v[38:39], v[157:158]
	v_fma_f64 v[165:166], v[2:3], v[38:39], -v[40:41]
	ds_load_b128 v[2:5], v1 offset:1152
	scratch_load_b128 v[38:41], off, off offset:480
	v_add_f64_e32 v[153:154], v[153:154], v[163:164]
	v_add_f64_e32 v[155:156], v[155:156], v[161:162]
	v_fma_f64 v[159:160], v[8:9], v[145:146], v[159:160]
	v_fma_f64 v[163:164], v[6:7], v[145:146], -v[147:148]
	ds_load_b128 v[6:9], v1 offset:1168
	s_wait_loadcnt_dscnt 0x801
	v_mul_f64_e32 v[161:162], v[2:3], v[12:13]
	v_mul_f64_e32 v[12:13], v[4:5], v[12:13]
	scratch_load_b128 v[145:148], off, off offset:496
	v_add_f64_e32 v[153:154], v[153:154], v[165:166]
	v_add_f64_e32 v[155:156], v[155:156], v[157:158]
	s_wait_loadcnt_dscnt 0x800
	v_mul_f64_e32 v[157:158], v[6:7], v[16:17]
	v_mul_f64_e32 v[16:17], v[8:9], v[16:17]
	v_fma_f64 v[161:162], v[4:5], v[10:11], v[161:162]
	v_fma_f64 v[165:166], v[2:3], v[10:11], -v[12:13]
	ds_load_b128 v[2:5], v1 offset:1184
	scratch_load_b128 v[10:13], off, off offset:512
	v_add_f64_e32 v[153:154], v[153:154], v[163:164]
	v_add_f64_e32 v[155:156], v[155:156], v[159:160]
	v_fma_f64 v[157:158], v[8:9], v[14:15], v[157:158]
	v_fma_f64 v[163:164], v[6:7], v[14:15], -v[16:17]
	ds_load_b128 v[6:9], v1 offset:1200
	s_wait_loadcnt_dscnt 0x801
	v_mul_f64_e32 v[159:160], v[2:3], v[20:21]
	v_mul_f64_e32 v[20:21], v[4:5], v[20:21]
	scratch_load_b128 v[14:17], off, off offset:528
	;; [unrolled: 18-line block ×11, first 2 shown]
	v_add_f64_e32 v[153:154], v[153:154], v[165:166]
	v_add_f64_e32 v[155:156], v[155:156], v[161:162]
	s_wait_loadcnt_dscnt 0x800
	v_mul_f64_e32 v[161:162], v[6:7], v[16:17]
	v_mul_f64_e32 v[16:17], v[8:9], v[16:17]
	v_fma_f64 v[159:160], v[4:5], v[10:11], v[159:160]
	v_fma_f64 v[10:11], v[2:3], v[10:11], -v[12:13]
	ds_load_b128 v[2:5], v1 offset:1504
	v_add_f64_e32 v[12:13], v[153:154], v[163:164]
	v_add_f64_e32 v[153:154], v[155:156], v[157:158]
	v_fma_f64 v[157:158], v[8:9], v[14:15], v[161:162]
	v_fma_f64 v[14:15], v[6:7], v[14:15], -v[16:17]
	ds_load_b128 v[6:9], v1 offset:1520
	s_wait_loadcnt_dscnt 0x701
	v_mul_f64_e32 v[155:156], v[2:3], v[20:21]
	v_mul_f64_e32 v[20:21], v[4:5], v[20:21]
	v_add_f64_e32 v[10:11], v[12:13], v[10:11]
	v_add_f64_e32 v[12:13], v[153:154], v[159:160]
	s_delay_alu instid0(VALU_DEP_4) | instskip(NEXT) | instid1(VALU_DEP_4)
	v_fma_f64 v[153:154], v[4:5], v[18:19], v[155:156]
	v_fma_f64 v[18:19], v[2:3], v[18:19], -v[20:21]
	ds_load_b128 v[2:5], v1 offset:1536
	v_add_f64_e32 v[14:15], v[10:11], v[14:15]
	v_add_f64_e32 v[20:21], v[12:13], v[157:158]
	scratch_load_b128 v[10:13], off, off offset:144
	s_wait_loadcnt_dscnt 0x701
	v_mul_f64_e32 v[16:17], v[6:7], v[24:25]
	v_mul_f64_e32 v[24:25], v[8:9], v[24:25]
	v_add_f64_e32 v[14:15], v[14:15], v[18:19]
	v_add_f64_e32 v[18:19], v[20:21], v[153:154]
	s_delay_alu instid0(VALU_DEP_4) | instskip(NEXT) | instid1(VALU_DEP_4)
	v_fma_f64 v[16:17], v[8:9], v[22:23], v[16:17]
	v_fma_f64 v[22:23], v[6:7], v[22:23], -v[24:25]
	ds_load_b128 v[6:9], v1 offset:1552
	s_wait_loadcnt_dscnt 0x601
	v_mul_f64_e32 v[155:156], v[2:3], v[28:29]
	v_mul_f64_e32 v[28:29], v[4:5], v[28:29]
	s_wait_loadcnt_dscnt 0x500
	v_mul_f64_e32 v[20:21], v[6:7], v[32:33]
	v_mul_f64_e32 v[24:25], v[8:9], v[32:33]
	v_add_f64_e32 v[16:17], v[18:19], v[16:17]
	v_add_f64_e32 v[14:15], v[14:15], v[22:23]
	v_fma_f64 v[32:33], v[4:5], v[26:27], v[155:156]
	v_fma_f64 v[26:27], v[2:3], v[26:27], -v[28:29]
	ds_load_b128 v[2:5], v1 offset:1568
	v_fma_f64 v[20:21], v[8:9], v[30:31], v[20:21]
	v_fma_f64 v[24:25], v[6:7], v[30:31], -v[24:25]
	ds_load_b128 v[6:9], v1 offset:1584
	s_wait_loadcnt_dscnt 0x401
	v_mul_f64_e32 v[18:19], v[2:3], v[36:37]
	v_mul_f64_e32 v[22:23], v[4:5], v[36:37]
	v_add_f64_e32 v[16:17], v[16:17], v[32:33]
	v_add_f64_e32 v[14:15], v[14:15], v[26:27]
	s_wait_loadcnt_dscnt 0x300
	v_mul_f64_e32 v[26:27], v[6:7], v[151:152]
	v_mul_f64_e32 v[28:29], v[8:9], v[151:152]
	v_fma_f64 v[18:19], v[4:5], v[34:35], v[18:19]
	v_fma_f64 v[22:23], v[2:3], v[34:35], -v[22:23]
	ds_load_b128 v[2:5], v1 offset:1600
	v_add_f64_e32 v[16:17], v[16:17], v[20:21]
	v_add_f64_e32 v[14:15], v[14:15], v[24:25]
	v_fma_f64 v[26:27], v[8:9], v[149:150], v[26:27]
	v_fma_f64 v[28:29], v[6:7], v[149:150], -v[28:29]
	ds_load_b128 v[6:9], v1 offset:1616
	s_wait_loadcnt_dscnt 0x201
	v_mul_f64_e32 v[20:21], v[2:3], v[40:41]
	v_mul_f64_e32 v[24:25], v[4:5], v[40:41]
	v_add_f64_e32 v[16:17], v[16:17], v[18:19]
	v_add_f64_e32 v[14:15], v[14:15], v[22:23]
	s_wait_loadcnt_dscnt 0x100
	v_mul_f64_e32 v[18:19], v[6:7], v[147:148]
	v_mul_f64_e32 v[22:23], v[8:9], v[147:148]
	v_fma_f64 v[4:5], v[4:5], v[38:39], v[20:21]
	v_fma_f64 v[1:2], v[2:3], v[38:39], -v[24:25]
	v_add_f64_e32 v[16:17], v[16:17], v[26:27]
	v_add_f64_e32 v[14:15], v[14:15], v[28:29]
	v_fma_f64 v[8:9], v[8:9], v[145:146], v[18:19]
	v_fma_f64 v[6:7], v[6:7], v[145:146], -v[22:23]
	s_delay_alu instid0(VALU_DEP_4) | instskip(NEXT) | instid1(VALU_DEP_4)
	v_add_f64_e32 v[3:4], v[16:17], v[4:5]
	v_add_f64_e32 v[1:2], v[14:15], v[1:2]
	s_delay_alu instid0(VALU_DEP_2) | instskip(NEXT) | instid1(VALU_DEP_2)
	v_add_f64_e32 v[3:4], v[3:4], v[8:9]
	v_add_f64_e32 v[1:2], v[1:2], v[6:7]
	s_wait_loadcnt 0x0
	s_delay_alu instid0(VALU_DEP_2) | instskip(NEXT) | instid1(VALU_DEP_2)
	v_add_f64_e64 v[3:4], v[12:13], -v[3:4]
	v_add_f64_e64 v[1:2], v[10:11], -v[1:2]
	scratch_store_b128 off, v[1:4], off offset:144
	v_cmpx_lt_u32_e32 7, v0
	s_cbranch_execz .LBB114_305
; %bb.304:
	scratch_load_b128 v[1:4], off, s57
	v_mov_b32_e32 v5, 0
	s_delay_alu instid0(VALU_DEP_1)
	v_dual_mov_b32 v6, v5 :: v_dual_mov_b32 v7, v5
	v_mov_b32_e32 v8, v5
	scratch_store_b128 off, v[5:8], off offset:128
	s_wait_loadcnt 0x0
	ds_store_b128 v144, v[1:4]
.LBB114_305:
	s_wait_alu 0xfffe
	s_or_b32 exec_lo, exec_lo, s0
	s_wait_storecnt_dscnt 0x0
	s_barrier_signal -1
	s_barrier_wait -1
	global_inv scope:SCOPE_SE
	s_clause 0x7
	scratch_load_b128 v[2:5], off, off offset:144
	scratch_load_b128 v[6:9], off, off offset:160
	;; [unrolled: 1-line block ×8, first 2 shown]
	v_mov_b32_e32 v1, 0
	s_clause 0x1
	scratch_load_b128 v[34:37], off, off offset:272
	scratch_load_b128 v[149:152], off, off offset:288
	s_mov_b32 s0, exec_lo
	ds_load_b128 v[38:41], v1 offset:944
	ds_load_b128 v[145:148], v1 offset:960
	s_wait_loadcnt_dscnt 0x901
	v_mul_f64_e32 v[153:154], v[40:41], v[4:5]
	v_mul_f64_e32 v[4:5], v[38:39], v[4:5]
	s_wait_loadcnt_dscnt 0x800
	v_mul_f64_e32 v[155:156], v[145:146], v[8:9]
	v_mul_f64_e32 v[8:9], v[147:148], v[8:9]
	s_delay_alu instid0(VALU_DEP_4) | instskip(NEXT) | instid1(VALU_DEP_4)
	v_fma_f64 v[153:154], v[38:39], v[2:3], -v[153:154]
	v_fma_f64 v[157:158], v[40:41], v[2:3], v[4:5]
	ds_load_b128 v[2:5], v1 offset:976
	scratch_load_b128 v[38:41], off, off offset:304
	v_fma_f64 v[155:156], v[147:148], v[6:7], v[155:156]
	v_fma_f64 v[161:162], v[145:146], v[6:7], -v[8:9]
	ds_load_b128 v[6:9], v1 offset:992
	scratch_load_b128 v[145:148], off, off offset:320
	s_wait_loadcnt_dscnt 0x901
	v_mul_f64_e32 v[159:160], v[2:3], v[12:13]
	v_mul_f64_e32 v[12:13], v[4:5], v[12:13]
	s_wait_loadcnt_dscnt 0x800
	v_mul_f64_e32 v[163:164], v[6:7], v[16:17]
	v_mul_f64_e32 v[16:17], v[8:9], v[16:17]
	v_add_f64_e32 v[153:154], 0, v[153:154]
	v_add_f64_e32 v[157:158], 0, v[157:158]
	v_fma_f64 v[159:160], v[4:5], v[10:11], v[159:160]
	v_fma_f64 v[165:166], v[2:3], v[10:11], -v[12:13]
	ds_load_b128 v[2:5], v1 offset:1008
	scratch_load_b128 v[10:13], off, off offset:336
	v_add_f64_e32 v[153:154], v[153:154], v[161:162]
	v_add_f64_e32 v[155:156], v[157:158], v[155:156]
	v_fma_f64 v[161:162], v[8:9], v[14:15], v[163:164]
	v_fma_f64 v[163:164], v[6:7], v[14:15], -v[16:17]
	ds_load_b128 v[6:9], v1 offset:1024
	scratch_load_b128 v[14:17], off, off offset:352
	s_wait_loadcnt_dscnt 0x901
	v_mul_f64_e32 v[157:158], v[2:3], v[20:21]
	v_mul_f64_e32 v[20:21], v[4:5], v[20:21]
	v_add_f64_e32 v[153:154], v[153:154], v[165:166]
	v_add_f64_e32 v[155:156], v[155:156], v[159:160]
	s_wait_loadcnt_dscnt 0x800
	v_mul_f64_e32 v[159:160], v[6:7], v[24:25]
	v_mul_f64_e32 v[24:25], v[8:9], v[24:25]
	v_fma_f64 v[157:158], v[4:5], v[18:19], v[157:158]
	v_fma_f64 v[165:166], v[2:3], v[18:19], -v[20:21]
	ds_load_b128 v[2:5], v1 offset:1040
	scratch_load_b128 v[18:21], off, off offset:368
	v_add_f64_e32 v[153:154], v[153:154], v[163:164]
	v_add_f64_e32 v[155:156], v[155:156], v[161:162]
	v_fma_f64 v[159:160], v[8:9], v[22:23], v[159:160]
	v_fma_f64 v[163:164], v[6:7], v[22:23], -v[24:25]
	ds_load_b128 v[6:9], v1 offset:1056
	s_wait_loadcnt_dscnt 0x801
	v_mul_f64_e32 v[161:162], v[2:3], v[28:29]
	v_mul_f64_e32 v[28:29], v[4:5], v[28:29]
	scratch_load_b128 v[22:25], off, off offset:384
	v_add_f64_e32 v[153:154], v[153:154], v[165:166]
	v_add_f64_e32 v[155:156], v[155:156], v[157:158]
	s_wait_loadcnt_dscnt 0x800
	v_mul_f64_e32 v[157:158], v[6:7], v[32:33]
	v_mul_f64_e32 v[32:33], v[8:9], v[32:33]
	v_fma_f64 v[161:162], v[4:5], v[26:27], v[161:162]
	v_fma_f64 v[165:166], v[2:3], v[26:27], -v[28:29]
	ds_load_b128 v[2:5], v1 offset:1072
	scratch_load_b128 v[26:29], off, off offset:400
	v_add_f64_e32 v[153:154], v[153:154], v[163:164]
	v_add_f64_e32 v[155:156], v[155:156], v[159:160]
	v_fma_f64 v[157:158], v[8:9], v[30:31], v[157:158]
	v_fma_f64 v[163:164], v[6:7], v[30:31], -v[32:33]
	ds_load_b128 v[6:9], v1 offset:1088
	s_wait_loadcnt_dscnt 0x801
	v_mul_f64_e32 v[159:160], v[2:3], v[36:37]
	v_mul_f64_e32 v[36:37], v[4:5], v[36:37]
	scratch_load_b128 v[30:33], off, off offset:416
	v_add_f64_e32 v[153:154], v[153:154], v[165:166]
	v_add_f64_e32 v[155:156], v[155:156], v[161:162]
	s_wait_loadcnt_dscnt 0x800
	v_mul_f64_e32 v[161:162], v[6:7], v[151:152]
	v_mul_f64_e32 v[151:152], v[8:9], v[151:152]
	v_fma_f64 v[159:160], v[4:5], v[34:35], v[159:160]
	v_fma_f64 v[165:166], v[2:3], v[34:35], -v[36:37]
	ds_load_b128 v[2:5], v1 offset:1104
	scratch_load_b128 v[34:37], off, off offset:432
	v_add_f64_e32 v[153:154], v[153:154], v[163:164]
	v_add_f64_e32 v[155:156], v[155:156], v[157:158]
	v_fma_f64 v[161:162], v[8:9], v[149:150], v[161:162]
	v_fma_f64 v[163:164], v[6:7], v[149:150], -v[151:152]
	ds_load_b128 v[6:9], v1 offset:1120
	scratch_load_b128 v[149:152], off, off offset:448
	s_wait_loadcnt_dscnt 0x901
	v_mul_f64_e32 v[157:158], v[2:3], v[40:41]
	v_mul_f64_e32 v[40:41], v[4:5], v[40:41]
	v_add_f64_e32 v[153:154], v[153:154], v[165:166]
	v_add_f64_e32 v[155:156], v[155:156], v[159:160]
	s_wait_loadcnt_dscnt 0x800
	v_mul_f64_e32 v[159:160], v[6:7], v[147:148]
	v_mul_f64_e32 v[147:148], v[8:9], v[147:148]
	v_fma_f64 v[157:158], v[4:5], v[38:39], v[157:158]
	v_fma_f64 v[165:166], v[2:3], v[38:39], -v[40:41]
	ds_load_b128 v[2:5], v1 offset:1136
	scratch_load_b128 v[38:41], off, off offset:464
	v_add_f64_e32 v[153:154], v[153:154], v[163:164]
	v_add_f64_e32 v[155:156], v[155:156], v[161:162]
	v_fma_f64 v[159:160], v[8:9], v[145:146], v[159:160]
	v_fma_f64 v[163:164], v[6:7], v[145:146], -v[147:148]
	ds_load_b128 v[6:9], v1 offset:1152
	s_wait_loadcnt_dscnt 0x801
	v_mul_f64_e32 v[161:162], v[2:3], v[12:13]
	v_mul_f64_e32 v[12:13], v[4:5], v[12:13]
	scratch_load_b128 v[145:148], off, off offset:480
	v_add_f64_e32 v[153:154], v[153:154], v[165:166]
	v_add_f64_e32 v[155:156], v[155:156], v[157:158]
	s_wait_loadcnt_dscnt 0x800
	v_mul_f64_e32 v[157:158], v[6:7], v[16:17]
	v_mul_f64_e32 v[16:17], v[8:9], v[16:17]
	v_fma_f64 v[161:162], v[4:5], v[10:11], v[161:162]
	v_fma_f64 v[165:166], v[2:3], v[10:11], -v[12:13]
	ds_load_b128 v[2:5], v1 offset:1168
	scratch_load_b128 v[10:13], off, off offset:496
	v_add_f64_e32 v[153:154], v[153:154], v[163:164]
	v_add_f64_e32 v[155:156], v[155:156], v[159:160]
	v_fma_f64 v[157:158], v[8:9], v[14:15], v[157:158]
	v_fma_f64 v[163:164], v[6:7], v[14:15], -v[16:17]
	ds_load_b128 v[6:9], v1 offset:1184
	s_wait_loadcnt_dscnt 0x801
	v_mul_f64_e32 v[159:160], v[2:3], v[20:21]
	v_mul_f64_e32 v[20:21], v[4:5], v[20:21]
	scratch_load_b128 v[14:17], off, off offset:512
	;; [unrolled: 18-line block ×11, first 2 shown]
	v_add_f64_e32 v[153:154], v[153:154], v[165:166]
	v_add_f64_e32 v[155:156], v[155:156], v[161:162]
	s_wait_loadcnt_dscnt 0x800
	v_mul_f64_e32 v[161:162], v[6:7], v[16:17]
	v_mul_f64_e32 v[16:17], v[8:9], v[16:17]
	v_fma_f64 v[159:160], v[4:5], v[10:11], v[159:160]
	v_fma_f64 v[165:166], v[2:3], v[10:11], -v[12:13]
	ds_load_b128 v[2:5], v1 offset:1488
	scratch_load_b128 v[10:13], off, off offset:816
	v_add_f64_e32 v[153:154], v[153:154], v[163:164]
	v_add_f64_e32 v[155:156], v[155:156], v[157:158]
	v_fma_f64 v[161:162], v[8:9], v[14:15], v[161:162]
	v_fma_f64 v[14:15], v[6:7], v[14:15], -v[16:17]
	ds_load_b128 v[6:9], v1 offset:1504
	s_wait_loadcnt_dscnt 0x801
	v_mul_f64_e32 v[157:158], v[2:3], v[20:21]
	v_mul_f64_e32 v[20:21], v[4:5], v[20:21]
	v_add_f64_e32 v[16:17], v[153:154], v[165:166]
	v_add_f64_e32 v[153:154], v[155:156], v[159:160]
	s_wait_loadcnt_dscnt 0x700
	v_mul_f64_e32 v[155:156], v[6:7], v[24:25]
	v_mul_f64_e32 v[24:25], v[8:9], v[24:25]
	v_fma_f64 v[157:158], v[4:5], v[18:19], v[157:158]
	v_fma_f64 v[18:19], v[2:3], v[18:19], -v[20:21]
	ds_load_b128 v[2:5], v1 offset:1520
	v_add_f64_e32 v[14:15], v[16:17], v[14:15]
	v_add_f64_e32 v[16:17], v[153:154], v[161:162]
	v_fma_f64 v[153:154], v[8:9], v[22:23], v[155:156]
	v_fma_f64 v[22:23], v[6:7], v[22:23], -v[24:25]
	ds_load_b128 v[6:9], v1 offset:1536
	s_wait_loadcnt_dscnt 0x500
	v_mul_f64_e32 v[155:156], v[6:7], v[32:33]
	v_mul_f64_e32 v[32:33], v[8:9], v[32:33]
	v_add_f64_e32 v[18:19], v[14:15], v[18:19]
	v_add_f64_e32 v[24:25], v[16:17], v[157:158]
	scratch_load_b128 v[14:17], off, off offset:128
	v_mul_f64_e32 v[20:21], v[2:3], v[28:29]
	v_mul_f64_e32 v[28:29], v[4:5], v[28:29]
	v_add_f64_e32 v[18:19], v[18:19], v[22:23]
	v_add_f64_e32 v[22:23], v[24:25], v[153:154]
	s_delay_alu instid0(VALU_DEP_4) | instskip(NEXT) | instid1(VALU_DEP_4)
	v_fma_f64 v[20:21], v[4:5], v[26:27], v[20:21]
	v_fma_f64 v[26:27], v[2:3], v[26:27], -v[28:29]
	ds_load_b128 v[2:5], v1 offset:1552
	s_wait_loadcnt_dscnt 0x500
	v_mul_f64_e32 v[24:25], v[2:3], v[36:37]
	v_mul_f64_e32 v[28:29], v[4:5], v[36:37]
	v_fma_f64 v[36:37], v[8:9], v[30:31], v[155:156]
	v_fma_f64 v[30:31], v[6:7], v[30:31], -v[32:33]
	ds_load_b128 v[6:9], v1 offset:1568
	v_add_f64_e32 v[20:21], v[22:23], v[20:21]
	v_add_f64_e32 v[18:19], v[18:19], v[26:27]
	v_fma_f64 v[24:25], v[4:5], v[34:35], v[24:25]
	v_fma_f64 v[28:29], v[2:3], v[34:35], -v[28:29]
	ds_load_b128 v[2:5], v1 offset:1584
	s_wait_loadcnt_dscnt 0x401
	v_mul_f64_e32 v[22:23], v[6:7], v[151:152]
	v_mul_f64_e32 v[26:27], v[8:9], v[151:152]
	v_add_f64_e32 v[20:21], v[20:21], v[36:37]
	v_add_f64_e32 v[18:19], v[18:19], v[30:31]
	s_wait_loadcnt_dscnt 0x300
	v_mul_f64_e32 v[30:31], v[2:3], v[40:41]
	v_mul_f64_e32 v[32:33], v[4:5], v[40:41]
	v_fma_f64 v[22:23], v[8:9], v[149:150], v[22:23]
	v_fma_f64 v[26:27], v[6:7], v[149:150], -v[26:27]
	ds_load_b128 v[6:9], v1 offset:1600
	v_add_f64_e32 v[20:21], v[20:21], v[24:25]
	v_add_f64_e32 v[18:19], v[18:19], v[28:29]
	v_fma_f64 v[30:31], v[4:5], v[38:39], v[30:31]
	v_fma_f64 v[32:33], v[2:3], v[38:39], -v[32:33]
	ds_load_b128 v[2:5], v1 offset:1616
	s_wait_loadcnt_dscnt 0x201
	v_mul_f64_e32 v[24:25], v[6:7], v[147:148]
	v_mul_f64_e32 v[28:29], v[8:9], v[147:148]
	v_add_f64_e32 v[20:21], v[20:21], v[22:23]
	v_add_f64_e32 v[18:19], v[18:19], v[26:27]
	s_wait_loadcnt_dscnt 0x100
	v_mul_f64_e32 v[22:23], v[2:3], v[12:13]
	v_mul_f64_e32 v[12:13], v[4:5], v[12:13]
	v_fma_f64 v[8:9], v[8:9], v[145:146], v[24:25]
	v_fma_f64 v[6:7], v[6:7], v[145:146], -v[28:29]
	v_add_f64_e32 v[20:21], v[20:21], v[30:31]
	v_add_f64_e32 v[18:19], v[18:19], v[32:33]
	v_fma_f64 v[4:5], v[4:5], v[10:11], v[22:23]
	v_fma_f64 v[2:3], v[2:3], v[10:11], -v[12:13]
	s_delay_alu instid0(VALU_DEP_4) | instskip(NEXT) | instid1(VALU_DEP_4)
	v_add_f64_e32 v[8:9], v[20:21], v[8:9]
	v_add_f64_e32 v[6:7], v[18:19], v[6:7]
	s_delay_alu instid0(VALU_DEP_2) | instskip(NEXT) | instid1(VALU_DEP_2)
	v_add_f64_e32 v[4:5], v[8:9], v[4:5]
	v_add_f64_e32 v[2:3], v[6:7], v[2:3]
	s_wait_loadcnt 0x0
	s_delay_alu instid0(VALU_DEP_2) | instskip(NEXT) | instid1(VALU_DEP_2)
	v_add_f64_e64 v[4:5], v[16:17], -v[4:5]
	v_add_f64_e64 v[2:3], v[14:15], -v[2:3]
	scratch_store_b128 off, v[2:5], off offset:128
	v_cmpx_lt_u32_e32 6, v0
	s_cbranch_execz .LBB114_307
; %bb.306:
	scratch_load_b128 v[5:8], off, s58
	v_dual_mov_b32 v2, v1 :: v_dual_mov_b32 v3, v1
	v_mov_b32_e32 v4, v1
	scratch_store_b128 off, v[1:4], off offset:112
	s_wait_loadcnt 0x0
	ds_store_b128 v144, v[5:8]
.LBB114_307:
	s_wait_alu 0xfffe
	s_or_b32 exec_lo, exec_lo, s0
	s_wait_storecnt_dscnt 0x0
	s_barrier_signal -1
	s_barrier_wait -1
	global_inv scope:SCOPE_SE
	s_clause 0x7
	scratch_load_b128 v[2:5], off, off offset:128
	scratch_load_b128 v[6:9], off, off offset:144
	;; [unrolled: 1-line block ×8, first 2 shown]
	ds_load_b128 v[38:41], v1 offset:928
	ds_load_b128 v[145:148], v1 offset:944
	s_clause 0x1
	scratch_load_b128 v[34:37], off, off offset:256
	scratch_load_b128 v[149:152], off, off offset:272
	s_mov_b32 s0, exec_lo
	s_wait_loadcnt_dscnt 0x901
	v_mul_f64_e32 v[153:154], v[40:41], v[4:5]
	v_mul_f64_e32 v[4:5], v[38:39], v[4:5]
	s_wait_loadcnt_dscnt 0x800
	v_mul_f64_e32 v[155:156], v[145:146], v[8:9]
	v_mul_f64_e32 v[8:9], v[147:148], v[8:9]
	s_delay_alu instid0(VALU_DEP_4) | instskip(NEXT) | instid1(VALU_DEP_4)
	v_fma_f64 v[153:154], v[38:39], v[2:3], -v[153:154]
	v_fma_f64 v[157:158], v[40:41], v[2:3], v[4:5]
	ds_load_b128 v[2:5], v1 offset:960
	scratch_load_b128 v[38:41], off, off offset:288
	v_fma_f64 v[155:156], v[147:148], v[6:7], v[155:156]
	v_fma_f64 v[161:162], v[145:146], v[6:7], -v[8:9]
	ds_load_b128 v[6:9], v1 offset:976
	scratch_load_b128 v[145:148], off, off offset:304
	s_wait_loadcnt_dscnt 0x901
	v_mul_f64_e32 v[159:160], v[2:3], v[12:13]
	v_mul_f64_e32 v[12:13], v[4:5], v[12:13]
	s_wait_loadcnt_dscnt 0x800
	v_mul_f64_e32 v[163:164], v[6:7], v[16:17]
	v_mul_f64_e32 v[16:17], v[8:9], v[16:17]
	v_add_f64_e32 v[153:154], 0, v[153:154]
	v_add_f64_e32 v[157:158], 0, v[157:158]
	v_fma_f64 v[159:160], v[4:5], v[10:11], v[159:160]
	v_fma_f64 v[165:166], v[2:3], v[10:11], -v[12:13]
	ds_load_b128 v[2:5], v1 offset:992
	scratch_load_b128 v[10:13], off, off offset:320
	v_add_f64_e32 v[153:154], v[153:154], v[161:162]
	v_add_f64_e32 v[155:156], v[157:158], v[155:156]
	v_fma_f64 v[161:162], v[8:9], v[14:15], v[163:164]
	v_fma_f64 v[163:164], v[6:7], v[14:15], -v[16:17]
	ds_load_b128 v[6:9], v1 offset:1008
	scratch_load_b128 v[14:17], off, off offset:336
	s_wait_loadcnt_dscnt 0x901
	v_mul_f64_e32 v[157:158], v[2:3], v[20:21]
	v_mul_f64_e32 v[20:21], v[4:5], v[20:21]
	v_add_f64_e32 v[153:154], v[153:154], v[165:166]
	v_add_f64_e32 v[155:156], v[155:156], v[159:160]
	s_wait_loadcnt_dscnt 0x800
	v_mul_f64_e32 v[159:160], v[6:7], v[24:25]
	v_mul_f64_e32 v[24:25], v[8:9], v[24:25]
	v_fma_f64 v[157:158], v[4:5], v[18:19], v[157:158]
	v_fma_f64 v[165:166], v[2:3], v[18:19], -v[20:21]
	ds_load_b128 v[2:5], v1 offset:1024
	scratch_load_b128 v[18:21], off, off offset:352
	v_add_f64_e32 v[153:154], v[153:154], v[163:164]
	v_add_f64_e32 v[155:156], v[155:156], v[161:162]
	v_fma_f64 v[159:160], v[8:9], v[22:23], v[159:160]
	v_fma_f64 v[163:164], v[6:7], v[22:23], -v[24:25]
	ds_load_b128 v[6:9], v1 offset:1040
	s_wait_loadcnt_dscnt 0x801
	v_mul_f64_e32 v[161:162], v[2:3], v[28:29]
	v_mul_f64_e32 v[28:29], v[4:5], v[28:29]
	scratch_load_b128 v[22:25], off, off offset:368
	v_add_f64_e32 v[153:154], v[153:154], v[165:166]
	v_add_f64_e32 v[155:156], v[155:156], v[157:158]
	s_wait_loadcnt_dscnt 0x800
	v_mul_f64_e32 v[157:158], v[6:7], v[32:33]
	v_mul_f64_e32 v[32:33], v[8:9], v[32:33]
	v_fma_f64 v[161:162], v[4:5], v[26:27], v[161:162]
	v_fma_f64 v[165:166], v[2:3], v[26:27], -v[28:29]
	ds_load_b128 v[2:5], v1 offset:1056
	scratch_load_b128 v[26:29], off, off offset:384
	v_add_f64_e32 v[153:154], v[153:154], v[163:164]
	v_add_f64_e32 v[155:156], v[155:156], v[159:160]
	v_fma_f64 v[157:158], v[8:9], v[30:31], v[157:158]
	v_fma_f64 v[163:164], v[6:7], v[30:31], -v[32:33]
	ds_load_b128 v[6:9], v1 offset:1072
	s_wait_loadcnt_dscnt 0x801
	v_mul_f64_e32 v[159:160], v[2:3], v[36:37]
	v_mul_f64_e32 v[36:37], v[4:5], v[36:37]
	scratch_load_b128 v[30:33], off, off offset:400
	v_add_f64_e32 v[153:154], v[153:154], v[165:166]
	v_add_f64_e32 v[155:156], v[155:156], v[161:162]
	s_wait_loadcnt_dscnt 0x800
	v_mul_f64_e32 v[161:162], v[6:7], v[151:152]
	v_mul_f64_e32 v[151:152], v[8:9], v[151:152]
	v_fma_f64 v[159:160], v[4:5], v[34:35], v[159:160]
	v_fma_f64 v[165:166], v[2:3], v[34:35], -v[36:37]
	ds_load_b128 v[2:5], v1 offset:1088
	scratch_load_b128 v[34:37], off, off offset:416
	v_add_f64_e32 v[153:154], v[153:154], v[163:164]
	v_add_f64_e32 v[155:156], v[155:156], v[157:158]
	v_fma_f64 v[161:162], v[8:9], v[149:150], v[161:162]
	v_fma_f64 v[163:164], v[6:7], v[149:150], -v[151:152]
	ds_load_b128 v[6:9], v1 offset:1104
	scratch_load_b128 v[149:152], off, off offset:432
	s_wait_loadcnt_dscnt 0x901
	v_mul_f64_e32 v[157:158], v[2:3], v[40:41]
	v_mul_f64_e32 v[40:41], v[4:5], v[40:41]
	v_add_f64_e32 v[153:154], v[153:154], v[165:166]
	v_add_f64_e32 v[155:156], v[155:156], v[159:160]
	s_wait_loadcnt_dscnt 0x800
	v_mul_f64_e32 v[159:160], v[6:7], v[147:148]
	v_mul_f64_e32 v[147:148], v[8:9], v[147:148]
	v_fma_f64 v[157:158], v[4:5], v[38:39], v[157:158]
	v_fma_f64 v[165:166], v[2:3], v[38:39], -v[40:41]
	ds_load_b128 v[2:5], v1 offset:1120
	scratch_load_b128 v[38:41], off, off offset:448
	v_add_f64_e32 v[153:154], v[153:154], v[163:164]
	v_add_f64_e32 v[155:156], v[155:156], v[161:162]
	v_fma_f64 v[159:160], v[8:9], v[145:146], v[159:160]
	v_fma_f64 v[163:164], v[6:7], v[145:146], -v[147:148]
	ds_load_b128 v[6:9], v1 offset:1136
	s_wait_loadcnt_dscnt 0x801
	v_mul_f64_e32 v[161:162], v[2:3], v[12:13]
	v_mul_f64_e32 v[12:13], v[4:5], v[12:13]
	scratch_load_b128 v[145:148], off, off offset:464
	v_add_f64_e32 v[153:154], v[153:154], v[165:166]
	v_add_f64_e32 v[155:156], v[155:156], v[157:158]
	s_wait_loadcnt_dscnt 0x800
	v_mul_f64_e32 v[157:158], v[6:7], v[16:17]
	v_mul_f64_e32 v[16:17], v[8:9], v[16:17]
	v_fma_f64 v[161:162], v[4:5], v[10:11], v[161:162]
	v_fma_f64 v[165:166], v[2:3], v[10:11], -v[12:13]
	ds_load_b128 v[2:5], v1 offset:1152
	scratch_load_b128 v[10:13], off, off offset:480
	v_add_f64_e32 v[153:154], v[153:154], v[163:164]
	v_add_f64_e32 v[155:156], v[155:156], v[159:160]
	v_fma_f64 v[157:158], v[8:9], v[14:15], v[157:158]
	v_fma_f64 v[163:164], v[6:7], v[14:15], -v[16:17]
	ds_load_b128 v[6:9], v1 offset:1168
	s_wait_loadcnt_dscnt 0x801
	v_mul_f64_e32 v[159:160], v[2:3], v[20:21]
	v_mul_f64_e32 v[20:21], v[4:5], v[20:21]
	scratch_load_b128 v[14:17], off, off offset:496
	;; [unrolled: 18-line block ×12, first 2 shown]
	v_add_f64_e32 v[153:154], v[153:154], v[165:166]
	v_add_f64_e32 v[155:156], v[155:156], v[159:160]
	s_wait_loadcnt_dscnt 0x800
	v_mul_f64_e32 v[159:160], v[6:7], v[24:25]
	v_mul_f64_e32 v[24:25], v[8:9], v[24:25]
	v_fma_f64 v[157:158], v[4:5], v[18:19], v[157:158]
	v_fma_f64 v[18:19], v[2:3], v[18:19], -v[20:21]
	ds_load_b128 v[2:5], v1 offset:1504
	v_add_f64_e32 v[20:21], v[153:154], v[163:164]
	v_add_f64_e32 v[153:154], v[155:156], v[161:162]
	v_fma_f64 v[159:160], v[8:9], v[22:23], v[159:160]
	v_fma_f64 v[22:23], v[6:7], v[22:23], -v[24:25]
	ds_load_b128 v[6:9], v1 offset:1520
	s_wait_loadcnt_dscnt 0x701
	v_mul_f64_e32 v[155:156], v[2:3], v[28:29]
	v_mul_f64_e32 v[28:29], v[4:5], v[28:29]
	v_add_f64_e32 v[18:19], v[20:21], v[18:19]
	v_add_f64_e32 v[20:21], v[153:154], v[157:158]
	s_delay_alu instid0(VALU_DEP_4) | instskip(NEXT) | instid1(VALU_DEP_4)
	v_fma_f64 v[153:154], v[4:5], v[26:27], v[155:156]
	v_fma_f64 v[26:27], v[2:3], v[26:27], -v[28:29]
	ds_load_b128 v[2:5], v1 offset:1536
	v_add_f64_e32 v[22:23], v[18:19], v[22:23]
	v_add_f64_e32 v[28:29], v[20:21], v[159:160]
	scratch_load_b128 v[18:21], off, off offset:112
	s_wait_loadcnt_dscnt 0x701
	v_mul_f64_e32 v[24:25], v[6:7], v[32:33]
	v_mul_f64_e32 v[32:33], v[8:9], v[32:33]
	v_add_f64_e32 v[22:23], v[22:23], v[26:27]
	v_add_f64_e32 v[26:27], v[28:29], v[153:154]
	s_delay_alu instid0(VALU_DEP_4) | instskip(NEXT) | instid1(VALU_DEP_4)
	v_fma_f64 v[24:25], v[8:9], v[30:31], v[24:25]
	v_fma_f64 v[30:31], v[6:7], v[30:31], -v[32:33]
	ds_load_b128 v[6:9], v1 offset:1552
	s_wait_loadcnt_dscnt 0x601
	v_mul_f64_e32 v[155:156], v[2:3], v[36:37]
	v_mul_f64_e32 v[36:37], v[4:5], v[36:37]
	s_wait_loadcnt_dscnt 0x500
	v_mul_f64_e32 v[28:29], v[6:7], v[151:152]
	v_mul_f64_e32 v[32:33], v[8:9], v[151:152]
	v_add_f64_e32 v[24:25], v[26:27], v[24:25]
	v_add_f64_e32 v[22:23], v[22:23], v[30:31]
	v_fma_f64 v[151:152], v[4:5], v[34:35], v[155:156]
	v_fma_f64 v[34:35], v[2:3], v[34:35], -v[36:37]
	ds_load_b128 v[2:5], v1 offset:1568
	v_fma_f64 v[28:29], v[8:9], v[149:150], v[28:29]
	v_fma_f64 v[32:33], v[6:7], v[149:150], -v[32:33]
	ds_load_b128 v[6:9], v1 offset:1584
	s_wait_loadcnt_dscnt 0x401
	v_mul_f64_e32 v[26:27], v[2:3], v[40:41]
	v_mul_f64_e32 v[30:31], v[4:5], v[40:41]
	v_add_f64_e32 v[24:25], v[24:25], v[151:152]
	v_add_f64_e32 v[22:23], v[22:23], v[34:35]
	s_wait_loadcnt_dscnt 0x300
	v_mul_f64_e32 v[34:35], v[6:7], v[147:148]
	v_mul_f64_e32 v[36:37], v[8:9], v[147:148]
	v_fma_f64 v[26:27], v[4:5], v[38:39], v[26:27]
	v_fma_f64 v[30:31], v[2:3], v[38:39], -v[30:31]
	ds_load_b128 v[2:5], v1 offset:1600
	v_add_f64_e32 v[24:25], v[24:25], v[28:29]
	v_add_f64_e32 v[22:23], v[22:23], v[32:33]
	v_fma_f64 v[32:33], v[8:9], v[145:146], v[34:35]
	v_fma_f64 v[34:35], v[6:7], v[145:146], -v[36:37]
	ds_load_b128 v[6:9], v1 offset:1616
	s_wait_loadcnt_dscnt 0x201
	v_mul_f64_e32 v[28:29], v[2:3], v[12:13]
	v_mul_f64_e32 v[12:13], v[4:5], v[12:13]
	v_add_f64_e32 v[24:25], v[24:25], v[26:27]
	v_add_f64_e32 v[22:23], v[22:23], v[30:31]
	s_wait_loadcnt_dscnt 0x100
	v_mul_f64_e32 v[26:27], v[6:7], v[16:17]
	v_mul_f64_e32 v[16:17], v[8:9], v[16:17]
	v_fma_f64 v[4:5], v[4:5], v[10:11], v[28:29]
	v_fma_f64 v[1:2], v[2:3], v[10:11], -v[12:13]
	v_add_f64_e32 v[12:13], v[24:25], v[32:33]
	v_add_f64_e32 v[10:11], v[22:23], v[34:35]
	v_fma_f64 v[8:9], v[8:9], v[14:15], v[26:27]
	v_fma_f64 v[6:7], v[6:7], v[14:15], -v[16:17]
	s_delay_alu instid0(VALU_DEP_4) | instskip(NEXT) | instid1(VALU_DEP_4)
	v_add_f64_e32 v[3:4], v[12:13], v[4:5]
	v_add_f64_e32 v[1:2], v[10:11], v[1:2]
	s_delay_alu instid0(VALU_DEP_2) | instskip(NEXT) | instid1(VALU_DEP_2)
	v_add_f64_e32 v[3:4], v[3:4], v[8:9]
	v_add_f64_e32 v[1:2], v[1:2], v[6:7]
	s_wait_loadcnt 0x0
	s_delay_alu instid0(VALU_DEP_2) | instskip(NEXT) | instid1(VALU_DEP_2)
	v_add_f64_e64 v[3:4], v[20:21], -v[3:4]
	v_add_f64_e64 v[1:2], v[18:19], -v[1:2]
	scratch_store_b128 off, v[1:4], off offset:112
	v_cmpx_lt_u32_e32 5, v0
	s_cbranch_execz .LBB114_309
; %bb.308:
	scratch_load_b128 v[1:4], off, s59
	v_mov_b32_e32 v5, 0
	s_delay_alu instid0(VALU_DEP_1)
	v_dual_mov_b32 v6, v5 :: v_dual_mov_b32 v7, v5
	v_mov_b32_e32 v8, v5
	scratch_store_b128 off, v[5:8], off offset:96
	s_wait_loadcnt 0x0
	ds_store_b128 v144, v[1:4]
.LBB114_309:
	s_wait_alu 0xfffe
	s_or_b32 exec_lo, exec_lo, s0
	s_wait_storecnt_dscnt 0x0
	s_barrier_signal -1
	s_barrier_wait -1
	global_inv scope:SCOPE_SE
	s_clause 0x7
	scratch_load_b128 v[2:5], off, off offset:112
	scratch_load_b128 v[6:9], off, off offset:128
	;; [unrolled: 1-line block ×8, first 2 shown]
	v_mov_b32_e32 v1, 0
	s_clause 0x1
	scratch_load_b128 v[34:37], off, off offset:240
	scratch_load_b128 v[149:152], off, off offset:256
	s_mov_b32 s0, exec_lo
	ds_load_b128 v[38:41], v1 offset:912
	ds_load_b128 v[145:148], v1 offset:928
	s_wait_loadcnt_dscnt 0x901
	v_mul_f64_e32 v[153:154], v[40:41], v[4:5]
	v_mul_f64_e32 v[4:5], v[38:39], v[4:5]
	s_wait_loadcnt_dscnt 0x800
	v_mul_f64_e32 v[155:156], v[145:146], v[8:9]
	v_mul_f64_e32 v[8:9], v[147:148], v[8:9]
	s_delay_alu instid0(VALU_DEP_4) | instskip(NEXT) | instid1(VALU_DEP_4)
	v_fma_f64 v[153:154], v[38:39], v[2:3], -v[153:154]
	v_fma_f64 v[157:158], v[40:41], v[2:3], v[4:5]
	ds_load_b128 v[2:5], v1 offset:944
	scratch_load_b128 v[38:41], off, off offset:272
	v_fma_f64 v[155:156], v[147:148], v[6:7], v[155:156]
	v_fma_f64 v[161:162], v[145:146], v[6:7], -v[8:9]
	ds_load_b128 v[6:9], v1 offset:960
	scratch_load_b128 v[145:148], off, off offset:288
	s_wait_loadcnt_dscnt 0x901
	v_mul_f64_e32 v[159:160], v[2:3], v[12:13]
	v_mul_f64_e32 v[12:13], v[4:5], v[12:13]
	s_wait_loadcnt_dscnt 0x800
	v_mul_f64_e32 v[163:164], v[6:7], v[16:17]
	v_mul_f64_e32 v[16:17], v[8:9], v[16:17]
	v_add_f64_e32 v[153:154], 0, v[153:154]
	v_add_f64_e32 v[157:158], 0, v[157:158]
	v_fma_f64 v[159:160], v[4:5], v[10:11], v[159:160]
	v_fma_f64 v[165:166], v[2:3], v[10:11], -v[12:13]
	ds_load_b128 v[2:5], v1 offset:976
	scratch_load_b128 v[10:13], off, off offset:304
	v_add_f64_e32 v[153:154], v[153:154], v[161:162]
	v_add_f64_e32 v[155:156], v[157:158], v[155:156]
	v_fma_f64 v[161:162], v[8:9], v[14:15], v[163:164]
	v_fma_f64 v[163:164], v[6:7], v[14:15], -v[16:17]
	ds_load_b128 v[6:9], v1 offset:992
	scratch_load_b128 v[14:17], off, off offset:320
	s_wait_loadcnt_dscnt 0x901
	v_mul_f64_e32 v[157:158], v[2:3], v[20:21]
	v_mul_f64_e32 v[20:21], v[4:5], v[20:21]
	v_add_f64_e32 v[153:154], v[153:154], v[165:166]
	v_add_f64_e32 v[155:156], v[155:156], v[159:160]
	s_wait_loadcnt_dscnt 0x800
	v_mul_f64_e32 v[159:160], v[6:7], v[24:25]
	v_mul_f64_e32 v[24:25], v[8:9], v[24:25]
	v_fma_f64 v[157:158], v[4:5], v[18:19], v[157:158]
	v_fma_f64 v[165:166], v[2:3], v[18:19], -v[20:21]
	ds_load_b128 v[2:5], v1 offset:1008
	scratch_load_b128 v[18:21], off, off offset:336
	v_add_f64_e32 v[153:154], v[153:154], v[163:164]
	v_add_f64_e32 v[155:156], v[155:156], v[161:162]
	v_fma_f64 v[159:160], v[8:9], v[22:23], v[159:160]
	v_fma_f64 v[163:164], v[6:7], v[22:23], -v[24:25]
	ds_load_b128 v[6:9], v1 offset:1024
	s_wait_loadcnt_dscnt 0x801
	v_mul_f64_e32 v[161:162], v[2:3], v[28:29]
	v_mul_f64_e32 v[28:29], v[4:5], v[28:29]
	scratch_load_b128 v[22:25], off, off offset:352
	v_add_f64_e32 v[153:154], v[153:154], v[165:166]
	v_add_f64_e32 v[155:156], v[155:156], v[157:158]
	s_wait_loadcnt_dscnt 0x800
	v_mul_f64_e32 v[157:158], v[6:7], v[32:33]
	v_mul_f64_e32 v[32:33], v[8:9], v[32:33]
	v_fma_f64 v[161:162], v[4:5], v[26:27], v[161:162]
	v_fma_f64 v[165:166], v[2:3], v[26:27], -v[28:29]
	ds_load_b128 v[2:5], v1 offset:1040
	scratch_load_b128 v[26:29], off, off offset:368
	v_add_f64_e32 v[153:154], v[153:154], v[163:164]
	v_add_f64_e32 v[155:156], v[155:156], v[159:160]
	v_fma_f64 v[157:158], v[8:9], v[30:31], v[157:158]
	v_fma_f64 v[163:164], v[6:7], v[30:31], -v[32:33]
	ds_load_b128 v[6:9], v1 offset:1056
	s_wait_loadcnt_dscnt 0x801
	v_mul_f64_e32 v[159:160], v[2:3], v[36:37]
	v_mul_f64_e32 v[36:37], v[4:5], v[36:37]
	scratch_load_b128 v[30:33], off, off offset:384
	v_add_f64_e32 v[153:154], v[153:154], v[165:166]
	v_add_f64_e32 v[155:156], v[155:156], v[161:162]
	s_wait_loadcnt_dscnt 0x800
	v_mul_f64_e32 v[161:162], v[6:7], v[151:152]
	v_mul_f64_e32 v[151:152], v[8:9], v[151:152]
	v_fma_f64 v[159:160], v[4:5], v[34:35], v[159:160]
	v_fma_f64 v[165:166], v[2:3], v[34:35], -v[36:37]
	ds_load_b128 v[2:5], v1 offset:1072
	scratch_load_b128 v[34:37], off, off offset:400
	v_add_f64_e32 v[153:154], v[153:154], v[163:164]
	v_add_f64_e32 v[155:156], v[155:156], v[157:158]
	v_fma_f64 v[161:162], v[8:9], v[149:150], v[161:162]
	v_fma_f64 v[163:164], v[6:7], v[149:150], -v[151:152]
	ds_load_b128 v[6:9], v1 offset:1088
	scratch_load_b128 v[149:152], off, off offset:416
	s_wait_loadcnt_dscnt 0x901
	v_mul_f64_e32 v[157:158], v[2:3], v[40:41]
	v_mul_f64_e32 v[40:41], v[4:5], v[40:41]
	v_add_f64_e32 v[153:154], v[153:154], v[165:166]
	v_add_f64_e32 v[155:156], v[155:156], v[159:160]
	s_wait_loadcnt_dscnt 0x800
	v_mul_f64_e32 v[159:160], v[6:7], v[147:148]
	v_mul_f64_e32 v[147:148], v[8:9], v[147:148]
	v_fma_f64 v[157:158], v[4:5], v[38:39], v[157:158]
	v_fma_f64 v[165:166], v[2:3], v[38:39], -v[40:41]
	ds_load_b128 v[2:5], v1 offset:1104
	scratch_load_b128 v[38:41], off, off offset:432
	v_add_f64_e32 v[153:154], v[153:154], v[163:164]
	v_add_f64_e32 v[155:156], v[155:156], v[161:162]
	v_fma_f64 v[159:160], v[8:9], v[145:146], v[159:160]
	v_fma_f64 v[163:164], v[6:7], v[145:146], -v[147:148]
	ds_load_b128 v[6:9], v1 offset:1120
	s_wait_loadcnt_dscnt 0x801
	v_mul_f64_e32 v[161:162], v[2:3], v[12:13]
	v_mul_f64_e32 v[12:13], v[4:5], v[12:13]
	scratch_load_b128 v[145:148], off, off offset:448
	v_add_f64_e32 v[153:154], v[153:154], v[165:166]
	v_add_f64_e32 v[155:156], v[155:156], v[157:158]
	s_wait_loadcnt_dscnt 0x800
	v_mul_f64_e32 v[157:158], v[6:7], v[16:17]
	v_mul_f64_e32 v[16:17], v[8:9], v[16:17]
	v_fma_f64 v[161:162], v[4:5], v[10:11], v[161:162]
	v_fma_f64 v[165:166], v[2:3], v[10:11], -v[12:13]
	ds_load_b128 v[2:5], v1 offset:1136
	scratch_load_b128 v[10:13], off, off offset:464
	v_add_f64_e32 v[153:154], v[153:154], v[163:164]
	v_add_f64_e32 v[155:156], v[155:156], v[159:160]
	v_fma_f64 v[157:158], v[8:9], v[14:15], v[157:158]
	v_fma_f64 v[163:164], v[6:7], v[14:15], -v[16:17]
	ds_load_b128 v[6:9], v1 offset:1152
	s_wait_loadcnt_dscnt 0x801
	v_mul_f64_e32 v[159:160], v[2:3], v[20:21]
	v_mul_f64_e32 v[20:21], v[4:5], v[20:21]
	scratch_load_b128 v[14:17], off, off offset:480
	v_add_f64_e32 v[153:154], v[153:154], v[165:166]
	v_add_f64_e32 v[155:156], v[155:156], v[161:162]
	s_wait_loadcnt_dscnt 0x800
	v_mul_f64_e32 v[161:162], v[6:7], v[24:25]
	v_mul_f64_e32 v[24:25], v[8:9], v[24:25]
	v_fma_f64 v[159:160], v[4:5], v[18:19], v[159:160]
	v_fma_f64 v[165:166], v[2:3], v[18:19], -v[20:21]
	ds_load_b128 v[2:5], v1 offset:1168
	scratch_load_b128 v[18:21], off, off offset:496
	v_add_f64_e32 v[153:154], v[153:154], v[163:164]
	v_add_f64_e32 v[155:156], v[155:156], v[157:158]
	v_fma_f64 v[161:162], v[8:9], v[22:23], v[161:162]
	v_fma_f64 v[163:164], v[6:7], v[22:23], -v[24:25]
	ds_load_b128 v[6:9], v1 offset:1184
	s_wait_loadcnt_dscnt 0x801
	v_mul_f64_e32 v[157:158], v[2:3], v[28:29]
	v_mul_f64_e32 v[28:29], v[4:5], v[28:29]
	scratch_load_b128 v[22:25], off, off offset:512
	v_add_f64_e32 v[153:154], v[153:154], v[165:166]
	v_add_f64_e32 v[155:156], v[155:156], v[159:160]
	s_wait_loadcnt_dscnt 0x800
	v_mul_f64_e32 v[159:160], v[6:7], v[32:33]
	v_mul_f64_e32 v[32:33], v[8:9], v[32:33]
	v_fma_f64 v[157:158], v[4:5], v[26:27], v[157:158]
	v_fma_f64 v[165:166], v[2:3], v[26:27], -v[28:29]
	ds_load_b128 v[2:5], v1 offset:1200
	scratch_load_b128 v[26:29], off, off offset:528
	v_add_f64_e32 v[153:154], v[153:154], v[163:164]
	v_add_f64_e32 v[155:156], v[155:156], v[161:162]
	v_fma_f64 v[159:160], v[8:9], v[30:31], v[159:160]
	v_fma_f64 v[163:164], v[6:7], v[30:31], -v[32:33]
	ds_load_b128 v[6:9], v1 offset:1216
	s_wait_loadcnt_dscnt 0x801
	v_mul_f64_e32 v[161:162], v[2:3], v[36:37]
	v_mul_f64_e32 v[36:37], v[4:5], v[36:37]
	scratch_load_b128 v[30:33], off, off offset:544
	v_add_f64_e32 v[153:154], v[153:154], v[165:166]
	v_add_f64_e32 v[155:156], v[155:156], v[157:158]
	s_wait_loadcnt_dscnt 0x800
	v_mul_f64_e32 v[157:158], v[6:7], v[151:152]
	v_mul_f64_e32 v[151:152], v[8:9], v[151:152]
	v_fma_f64 v[161:162], v[4:5], v[34:35], v[161:162]
	v_fma_f64 v[165:166], v[2:3], v[34:35], -v[36:37]
	ds_load_b128 v[2:5], v1 offset:1232
	scratch_load_b128 v[34:37], off, off offset:560
	v_add_f64_e32 v[153:154], v[153:154], v[163:164]
	v_add_f64_e32 v[155:156], v[155:156], v[159:160]
	v_fma_f64 v[157:158], v[8:9], v[149:150], v[157:158]
	v_fma_f64 v[163:164], v[6:7], v[149:150], -v[151:152]
	ds_load_b128 v[6:9], v1 offset:1248
	s_wait_loadcnt_dscnt 0x801
	v_mul_f64_e32 v[159:160], v[2:3], v[40:41]
	v_mul_f64_e32 v[40:41], v[4:5], v[40:41]
	scratch_load_b128 v[149:152], off, off offset:576
	v_add_f64_e32 v[153:154], v[153:154], v[165:166]
	v_add_f64_e32 v[155:156], v[155:156], v[161:162]
	s_wait_loadcnt_dscnt 0x800
	v_mul_f64_e32 v[161:162], v[6:7], v[147:148]
	v_mul_f64_e32 v[147:148], v[8:9], v[147:148]
	v_fma_f64 v[159:160], v[4:5], v[38:39], v[159:160]
	v_fma_f64 v[165:166], v[2:3], v[38:39], -v[40:41]
	ds_load_b128 v[2:5], v1 offset:1264
	scratch_load_b128 v[38:41], off, off offset:592
	v_add_f64_e32 v[153:154], v[153:154], v[163:164]
	v_add_f64_e32 v[155:156], v[155:156], v[157:158]
	v_fma_f64 v[161:162], v[8:9], v[145:146], v[161:162]
	v_fma_f64 v[163:164], v[6:7], v[145:146], -v[147:148]
	ds_load_b128 v[6:9], v1 offset:1280
	s_wait_loadcnt_dscnt 0x801
	v_mul_f64_e32 v[157:158], v[2:3], v[12:13]
	v_mul_f64_e32 v[12:13], v[4:5], v[12:13]
	scratch_load_b128 v[145:148], off, off offset:608
	v_add_f64_e32 v[153:154], v[153:154], v[165:166]
	v_add_f64_e32 v[155:156], v[155:156], v[159:160]
	s_wait_loadcnt_dscnt 0x800
	v_mul_f64_e32 v[159:160], v[6:7], v[16:17]
	v_mul_f64_e32 v[16:17], v[8:9], v[16:17]
	v_fma_f64 v[157:158], v[4:5], v[10:11], v[157:158]
	v_fma_f64 v[165:166], v[2:3], v[10:11], -v[12:13]
	ds_load_b128 v[2:5], v1 offset:1296
	scratch_load_b128 v[10:13], off, off offset:624
	v_add_f64_e32 v[153:154], v[153:154], v[163:164]
	v_add_f64_e32 v[155:156], v[155:156], v[161:162]
	v_fma_f64 v[159:160], v[8:9], v[14:15], v[159:160]
	v_fma_f64 v[163:164], v[6:7], v[14:15], -v[16:17]
	ds_load_b128 v[6:9], v1 offset:1312
	s_wait_loadcnt_dscnt 0x801
	v_mul_f64_e32 v[161:162], v[2:3], v[20:21]
	v_mul_f64_e32 v[20:21], v[4:5], v[20:21]
	scratch_load_b128 v[14:17], off, off offset:640
	v_add_f64_e32 v[153:154], v[153:154], v[165:166]
	v_add_f64_e32 v[155:156], v[155:156], v[157:158]
	s_wait_loadcnt_dscnt 0x800
	v_mul_f64_e32 v[157:158], v[6:7], v[24:25]
	v_mul_f64_e32 v[24:25], v[8:9], v[24:25]
	v_fma_f64 v[161:162], v[4:5], v[18:19], v[161:162]
	v_fma_f64 v[165:166], v[2:3], v[18:19], -v[20:21]
	ds_load_b128 v[2:5], v1 offset:1328
	scratch_load_b128 v[18:21], off, off offset:656
	v_add_f64_e32 v[153:154], v[153:154], v[163:164]
	v_add_f64_e32 v[155:156], v[155:156], v[159:160]
	v_fma_f64 v[157:158], v[8:9], v[22:23], v[157:158]
	v_fma_f64 v[163:164], v[6:7], v[22:23], -v[24:25]
	ds_load_b128 v[6:9], v1 offset:1344
	s_wait_loadcnt_dscnt 0x801
	v_mul_f64_e32 v[159:160], v[2:3], v[28:29]
	v_mul_f64_e32 v[28:29], v[4:5], v[28:29]
	scratch_load_b128 v[22:25], off, off offset:672
	v_add_f64_e32 v[153:154], v[153:154], v[165:166]
	v_add_f64_e32 v[155:156], v[155:156], v[161:162]
	s_wait_loadcnt_dscnt 0x800
	v_mul_f64_e32 v[161:162], v[6:7], v[32:33]
	v_mul_f64_e32 v[32:33], v[8:9], v[32:33]
	v_fma_f64 v[159:160], v[4:5], v[26:27], v[159:160]
	v_fma_f64 v[165:166], v[2:3], v[26:27], -v[28:29]
	ds_load_b128 v[2:5], v1 offset:1360
	scratch_load_b128 v[26:29], off, off offset:688
	v_add_f64_e32 v[153:154], v[153:154], v[163:164]
	v_add_f64_e32 v[155:156], v[155:156], v[157:158]
	v_fma_f64 v[161:162], v[8:9], v[30:31], v[161:162]
	v_fma_f64 v[163:164], v[6:7], v[30:31], -v[32:33]
	ds_load_b128 v[6:9], v1 offset:1376
	s_wait_loadcnt_dscnt 0x801
	v_mul_f64_e32 v[157:158], v[2:3], v[36:37]
	v_mul_f64_e32 v[36:37], v[4:5], v[36:37]
	scratch_load_b128 v[30:33], off, off offset:704
	v_add_f64_e32 v[153:154], v[153:154], v[165:166]
	v_add_f64_e32 v[155:156], v[155:156], v[159:160]
	s_wait_loadcnt_dscnt 0x800
	v_mul_f64_e32 v[159:160], v[6:7], v[151:152]
	v_mul_f64_e32 v[151:152], v[8:9], v[151:152]
	v_fma_f64 v[157:158], v[4:5], v[34:35], v[157:158]
	v_fma_f64 v[165:166], v[2:3], v[34:35], -v[36:37]
	ds_load_b128 v[2:5], v1 offset:1392
	scratch_load_b128 v[34:37], off, off offset:720
	v_add_f64_e32 v[153:154], v[153:154], v[163:164]
	v_add_f64_e32 v[155:156], v[155:156], v[161:162]
	v_fma_f64 v[159:160], v[8:9], v[149:150], v[159:160]
	v_fma_f64 v[163:164], v[6:7], v[149:150], -v[151:152]
	ds_load_b128 v[6:9], v1 offset:1408
	s_wait_loadcnt_dscnt 0x801
	v_mul_f64_e32 v[161:162], v[2:3], v[40:41]
	v_mul_f64_e32 v[40:41], v[4:5], v[40:41]
	scratch_load_b128 v[149:152], off, off offset:736
	v_add_f64_e32 v[153:154], v[153:154], v[165:166]
	v_add_f64_e32 v[155:156], v[155:156], v[157:158]
	s_wait_loadcnt_dscnt 0x800
	v_mul_f64_e32 v[157:158], v[6:7], v[147:148]
	v_mul_f64_e32 v[147:148], v[8:9], v[147:148]
	v_fma_f64 v[161:162], v[4:5], v[38:39], v[161:162]
	v_fma_f64 v[165:166], v[2:3], v[38:39], -v[40:41]
	ds_load_b128 v[2:5], v1 offset:1424
	scratch_load_b128 v[38:41], off, off offset:752
	v_add_f64_e32 v[153:154], v[153:154], v[163:164]
	v_add_f64_e32 v[155:156], v[155:156], v[159:160]
	v_fma_f64 v[157:158], v[8:9], v[145:146], v[157:158]
	v_fma_f64 v[163:164], v[6:7], v[145:146], -v[147:148]
	ds_load_b128 v[6:9], v1 offset:1440
	s_wait_loadcnt_dscnt 0x801
	v_mul_f64_e32 v[159:160], v[2:3], v[12:13]
	v_mul_f64_e32 v[12:13], v[4:5], v[12:13]
	scratch_load_b128 v[145:148], off, off offset:768
	v_add_f64_e32 v[153:154], v[153:154], v[165:166]
	v_add_f64_e32 v[155:156], v[155:156], v[161:162]
	s_wait_loadcnt_dscnt 0x800
	v_mul_f64_e32 v[161:162], v[6:7], v[16:17]
	v_mul_f64_e32 v[16:17], v[8:9], v[16:17]
	v_fma_f64 v[159:160], v[4:5], v[10:11], v[159:160]
	v_fma_f64 v[165:166], v[2:3], v[10:11], -v[12:13]
	ds_load_b128 v[2:5], v1 offset:1456
	scratch_load_b128 v[10:13], off, off offset:784
	v_add_f64_e32 v[153:154], v[153:154], v[163:164]
	v_add_f64_e32 v[155:156], v[155:156], v[157:158]
	v_fma_f64 v[161:162], v[8:9], v[14:15], v[161:162]
	v_fma_f64 v[163:164], v[6:7], v[14:15], -v[16:17]
	ds_load_b128 v[6:9], v1 offset:1472
	s_wait_loadcnt_dscnt 0x801
	v_mul_f64_e32 v[157:158], v[2:3], v[20:21]
	v_mul_f64_e32 v[20:21], v[4:5], v[20:21]
	scratch_load_b128 v[14:17], off, off offset:800
	v_add_f64_e32 v[153:154], v[153:154], v[165:166]
	v_add_f64_e32 v[155:156], v[155:156], v[159:160]
	s_wait_loadcnt_dscnt 0x800
	v_mul_f64_e32 v[159:160], v[6:7], v[24:25]
	v_mul_f64_e32 v[24:25], v[8:9], v[24:25]
	v_fma_f64 v[157:158], v[4:5], v[18:19], v[157:158]
	v_fma_f64 v[165:166], v[2:3], v[18:19], -v[20:21]
	ds_load_b128 v[2:5], v1 offset:1488
	scratch_load_b128 v[18:21], off, off offset:816
	v_add_f64_e32 v[153:154], v[153:154], v[163:164]
	v_add_f64_e32 v[155:156], v[155:156], v[161:162]
	v_fma_f64 v[159:160], v[8:9], v[22:23], v[159:160]
	v_fma_f64 v[22:23], v[6:7], v[22:23], -v[24:25]
	ds_load_b128 v[6:9], v1 offset:1504
	s_wait_loadcnt_dscnt 0x801
	v_mul_f64_e32 v[161:162], v[2:3], v[28:29]
	v_mul_f64_e32 v[28:29], v[4:5], v[28:29]
	v_add_f64_e32 v[24:25], v[153:154], v[165:166]
	v_add_f64_e32 v[153:154], v[155:156], v[157:158]
	s_wait_loadcnt_dscnt 0x700
	v_mul_f64_e32 v[155:156], v[6:7], v[32:33]
	v_mul_f64_e32 v[32:33], v[8:9], v[32:33]
	v_fma_f64 v[157:158], v[4:5], v[26:27], v[161:162]
	v_fma_f64 v[26:27], v[2:3], v[26:27], -v[28:29]
	ds_load_b128 v[2:5], v1 offset:1520
	v_add_f64_e32 v[22:23], v[24:25], v[22:23]
	v_add_f64_e32 v[24:25], v[153:154], v[159:160]
	v_fma_f64 v[153:154], v[8:9], v[30:31], v[155:156]
	v_fma_f64 v[30:31], v[6:7], v[30:31], -v[32:33]
	ds_load_b128 v[6:9], v1 offset:1536
	s_wait_loadcnt_dscnt 0x500
	v_mul_f64_e32 v[155:156], v[6:7], v[151:152]
	v_mul_f64_e32 v[151:152], v[8:9], v[151:152]
	v_add_f64_e32 v[26:27], v[22:23], v[26:27]
	v_add_f64_e32 v[32:33], v[24:25], v[157:158]
	scratch_load_b128 v[22:25], off, off offset:96
	v_mul_f64_e32 v[28:29], v[2:3], v[36:37]
	v_mul_f64_e32 v[36:37], v[4:5], v[36:37]
	v_add_f64_e32 v[26:27], v[26:27], v[30:31]
	v_add_f64_e32 v[30:31], v[32:33], v[153:154]
	s_delay_alu instid0(VALU_DEP_4) | instskip(NEXT) | instid1(VALU_DEP_4)
	v_fma_f64 v[28:29], v[4:5], v[34:35], v[28:29]
	v_fma_f64 v[34:35], v[2:3], v[34:35], -v[36:37]
	ds_load_b128 v[2:5], v1 offset:1552
	s_wait_loadcnt_dscnt 0x500
	v_mul_f64_e32 v[32:33], v[2:3], v[40:41]
	v_mul_f64_e32 v[36:37], v[4:5], v[40:41]
	v_fma_f64 v[40:41], v[8:9], v[149:150], v[155:156]
	v_fma_f64 v[149:150], v[6:7], v[149:150], -v[151:152]
	ds_load_b128 v[6:9], v1 offset:1568
	v_add_f64_e32 v[28:29], v[30:31], v[28:29]
	v_add_f64_e32 v[26:27], v[26:27], v[34:35]
	v_fma_f64 v[32:33], v[4:5], v[38:39], v[32:33]
	v_fma_f64 v[36:37], v[2:3], v[38:39], -v[36:37]
	ds_load_b128 v[2:5], v1 offset:1584
	s_wait_loadcnt_dscnt 0x401
	v_mul_f64_e32 v[30:31], v[6:7], v[147:148]
	v_mul_f64_e32 v[34:35], v[8:9], v[147:148]
	v_add_f64_e32 v[28:29], v[28:29], v[40:41]
	v_add_f64_e32 v[26:27], v[26:27], v[149:150]
	s_wait_loadcnt_dscnt 0x300
	v_mul_f64_e32 v[38:39], v[2:3], v[12:13]
	v_mul_f64_e32 v[12:13], v[4:5], v[12:13]
	v_fma_f64 v[30:31], v[8:9], v[145:146], v[30:31]
	v_fma_f64 v[34:35], v[6:7], v[145:146], -v[34:35]
	ds_load_b128 v[6:9], v1 offset:1600
	v_add_f64_e32 v[28:29], v[28:29], v[32:33]
	v_add_f64_e32 v[26:27], v[26:27], v[36:37]
	v_fma_f64 v[36:37], v[4:5], v[10:11], v[38:39]
	v_fma_f64 v[10:11], v[2:3], v[10:11], -v[12:13]
	ds_load_b128 v[2:5], v1 offset:1616
	s_wait_loadcnt_dscnt 0x201
	v_mul_f64_e32 v[32:33], v[6:7], v[16:17]
	v_mul_f64_e32 v[16:17], v[8:9], v[16:17]
	v_add_f64_e32 v[12:13], v[26:27], v[34:35]
	v_add_f64_e32 v[26:27], v[28:29], v[30:31]
	s_wait_loadcnt_dscnt 0x100
	v_mul_f64_e32 v[28:29], v[2:3], v[20:21]
	v_mul_f64_e32 v[20:21], v[4:5], v[20:21]
	v_fma_f64 v[8:9], v[8:9], v[14:15], v[32:33]
	v_fma_f64 v[6:7], v[6:7], v[14:15], -v[16:17]
	v_add_f64_e32 v[10:11], v[12:13], v[10:11]
	v_add_f64_e32 v[12:13], v[26:27], v[36:37]
	v_fma_f64 v[4:5], v[4:5], v[18:19], v[28:29]
	v_fma_f64 v[2:3], v[2:3], v[18:19], -v[20:21]
	s_delay_alu instid0(VALU_DEP_4) | instskip(NEXT) | instid1(VALU_DEP_4)
	v_add_f64_e32 v[6:7], v[10:11], v[6:7]
	v_add_f64_e32 v[8:9], v[12:13], v[8:9]
	s_delay_alu instid0(VALU_DEP_2) | instskip(NEXT) | instid1(VALU_DEP_2)
	v_add_f64_e32 v[2:3], v[6:7], v[2:3]
	v_add_f64_e32 v[4:5], v[8:9], v[4:5]
	s_wait_loadcnt 0x0
	s_delay_alu instid0(VALU_DEP_2) | instskip(NEXT) | instid1(VALU_DEP_2)
	v_add_f64_e64 v[2:3], v[22:23], -v[2:3]
	v_add_f64_e64 v[4:5], v[24:25], -v[4:5]
	scratch_store_b128 off, v[2:5], off offset:96
	v_cmpx_lt_u32_e32 4, v0
	s_cbranch_execz .LBB114_311
; %bb.310:
	scratch_load_b128 v[5:8], off, s4
	v_dual_mov_b32 v2, v1 :: v_dual_mov_b32 v3, v1
	v_mov_b32_e32 v4, v1
	scratch_store_b128 off, v[1:4], off offset:80
	s_wait_loadcnt 0x0
	ds_store_b128 v144, v[5:8]
.LBB114_311:
	s_wait_alu 0xfffe
	s_or_b32 exec_lo, exec_lo, s0
	s_wait_storecnt_dscnt 0x0
	s_barrier_signal -1
	s_barrier_wait -1
	global_inv scope:SCOPE_SE
	s_clause 0x7
	scratch_load_b128 v[2:5], off, off offset:96
	scratch_load_b128 v[6:9], off, off offset:112
	;; [unrolled: 1-line block ×8, first 2 shown]
	ds_load_b128 v[38:41], v1 offset:896
	ds_load_b128 v[145:148], v1 offset:912
	s_clause 0x1
	scratch_load_b128 v[34:37], off, off offset:224
	scratch_load_b128 v[149:152], off, off offset:240
	s_mov_b32 s0, exec_lo
	s_wait_loadcnt_dscnt 0x901
	v_mul_f64_e32 v[153:154], v[40:41], v[4:5]
	v_mul_f64_e32 v[4:5], v[38:39], v[4:5]
	s_wait_loadcnt_dscnt 0x800
	v_mul_f64_e32 v[155:156], v[145:146], v[8:9]
	v_mul_f64_e32 v[8:9], v[147:148], v[8:9]
	s_delay_alu instid0(VALU_DEP_4) | instskip(NEXT) | instid1(VALU_DEP_4)
	v_fma_f64 v[153:154], v[38:39], v[2:3], -v[153:154]
	v_fma_f64 v[157:158], v[40:41], v[2:3], v[4:5]
	ds_load_b128 v[2:5], v1 offset:928
	scratch_load_b128 v[38:41], off, off offset:256
	v_fma_f64 v[155:156], v[147:148], v[6:7], v[155:156]
	v_fma_f64 v[161:162], v[145:146], v[6:7], -v[8:9]
	ds_load_b128 v[6:9], v1 offset:944
	scratch_load_b128 v[145:148], off, off offset:272
	s_wait_loadcnt_dscnt 0x901
	v_mul_f64_e32 v[159:160], v[2:3], v[12:13]
	v_mul_f64_e32 v[12:13], v[4:5], v[12:13]
	s_wait_loadcnt_dscnt 0x800
	v_mul_f64_e32 v[163:164], v[6:7], v[16:17]
	v_mul_f64_e32 v[16:17], v[8:9], v[16:17]
	v_add_f64_e32 v[153:154], 0, v[153:154]
	v_add_f64_e32 v[157:158], 0, v[157:158]
	v_fma_f64 v[159:160], v[4:5], v[10:11], v[159:160]
	v_fma_f64 v[165:166], v[2:3], v[10:11], -v[12:13]
	ds_load_b128 v[2:5], v1 offset:960
	scratch_load_b128 v[10:13], off, off offset:288
	v_add_f64_e32 v[153:154], v[153:154], v[161:162]
	v_add_f64_e32 v[155:156], v[157:158], v[155:156]
	v_fma_f64 v[161:162], v[8:9], v[14:15], v[163:164]
	v_fma_f64 v[163:164], v[6:7], v[14:15], -v[16:17]
	ds_load_b128 v[6:9], v1 offset:976
	scratch_load_b128 v[14:17], off, off offset:304
	s_wait_loadcnt_dscnt 0x901
	v_mul_f64_e32 v[157:158], v[2:3], v[20:21]
	v_mul_f64_e32 v[20:21], v[4:5], v[20:21]
	v_add_f64_e32 v[153:154], v[153:154], v[165:166]
	v_add_f64_e32 v[155:156], v[155:156], v[159:160]
	s_wait_loadcnt_dscnt 0x800
	v_mul_f64_e32 v[159:160], v[6:7], v[24:25]
	v_mul_f64_e32 v[24:25], v[8:9], v[24:25]
	v_fma_f64 v[157:158], v[4:5], v[18:19], v[157:158]
	v_fma_f64 v[165:166], v[2:3], v[18:19], -v[20:21]
	ds_load_b128 v[2:5], v1 offset:992
	scratch_load_b128 v[18:21], off, off offset:320
	v_add_f64_e32 v[153:154], v[153:154], v[163:164]
	v_add_f64_e32 v[155:156], v[155:156], v[161:162]
	v_fma_f64 v[159:160], v[8:9], v[22:23], v[159:160]
	v_fma_f64 v[163:164], v[6:7], v[22:23], -v[24:25]
	ds_load_b128 v[6:9], v1 offset:1008
	s_wait_loadcnt_dscnt 0x801
	v_mul_f64_e32 v[161:162], v[2:3], v[28:29]
	v_mul_f64_e32 v[28:29], v[4:5], v[28:29]
	scratch_load_b128 v[22:25], off, off offset:336
	v_add_f64_e32 v[153:154], v[153:154], v[165:166]
	v_add_f64_e32 v[155:156], v[155:156], v[157:158]
	s_wait_loadcnt_dscnt 0x800
	v_mul_f64_e32 v[157:158], v[6:7], v[32:33]
	v_mul_f64_e32 v[32:33], v[8:9], v[32:33]
	v_fma_f64 v[161:162], v[4:5], v[26:27], v[161:162]
	v_fma_f64 v[165:166], v[2:3], v[26:27], -v[28:29]
	ds_load_b128 v[2:5], v1 offset:1024
	scratch_load_b128 v[26:29], off, off offset:352
	v_add_f64_e32 v[153:154], v[153:154], v[163:164]
	v_add_f64_e32 v[155:156], v[155:156], v[159:160]
	v_fma_f64 v[157:158], v[8:9], v[30:31], v[157:158]
	v_fma_f64 v[163:164], v[6:7], v[30:31], -v[32:33]
	ds_load_b128 v[6:9], v1 offset:1040
	s_wait_loadcnt_dscnt 0x801
	v_mul_f64_e32 v[159:160], v[2:3], v[36:37]
	v_mul_f64_e32 v[36:37], v[4:5], v[36:37]
	scratch_load_b128 v[30:33], off, off offset:368
	v_add_f64_e32 v[153:154], v[153:154], v[165:166]
	v_add_f64_e32 v[155:156], v[155:156], v[161:162]
	s_wait_loadcnt_dscnt 0x800
	v_mul_f64_e32 v[161:162], v[6:7], v[151:152]
	v_mul_f64_e32 v[151:152], v[8:9], v[151:152]
	v_fma_f64 v[159:160], v[4:5], v[34:35], v[159:160]
	v_fma_f64 v[165:166], v[2:3], v[34:35], -v[36:37]
	ds_load_b128 v[2:5], v1 offset:1056
	scratch_load_b128 v[34:37], off, off offset:384
	v_add_f64_e32 v[153:154], v[153:154], v[163:164]
	v_add_f64_e32 v[155:156], v[155:156], v[157:158]
	v_fma_f64 v[161:162], v[8:9], v[149:150], v[161:162]
	v_fma_f64 v[163:164], v[6:7], v[149:150], -v[151:152]
	ds_load_b128 v[6:9], v1 offset:1072
	scratch_load_b128 v[149:152], off, off offset:400
	s_wait_loadcnt_dscnt 0x901
	v_mul_f64_e32 v[157:158], v[2:3], v[40:41]
	v_mul_f64_e32 v[40:41], v[4:5], v[40:41]
	v_add_f64_e32 v[153:154], v[153:154], v[165:166]
	v_add_f64_e32 v[155:156], v[155:156], v[159:160]
	s_wait_loadcnt_dscnt 0x800
	v_mul_f64_e32 v[159:160], v[6:7], v[147:148]
	v_mul_f64_e32 v[147:148], v[8:9], v[147:148]
	v_fma_f64 v[157:158], v[4:5], v[38:39], v[157:158]
	v_fma_f64 v[165:166], v[2:3], v[38:39], -v[40:41]
	ds_load_b128 v[2:5], v1 offset:1088
	scratch_load_b128 v[38:41], off, off offset:416
	v_add_f64_e32 v[153:154], v[153:154], v[163:164]
	v_add_f64_e32 v[155:156], v[155:156], v[161:162]
	v_fma_f64 v[159:160], v[8:9], v[145:146], v[159:160]
	v_fma_f64 v[163:164], v[6:7], v[145:146], -v[147:148]
	ds_load_b128 v[6:9], v1 offset:1104
	s_wait_loadcnt_dscnt 0x801
	v_mul_f64_e32 v[161:162], v[2:3], v[12:13]
	v_mul_f64_e32 v[12:13], v[4:5], v[12:13]
	scratch_load_b128 v[145:148], off, off offset:432
	v_add_f64_e32 v[153:154], v[153:154], v[165:166]
	v_add_f64_e32 v[155:156], v[155:156], v[157:158]
	s_wait_loadcnt_dscnt 0x800
	v_mul_f64_e32 v[157:158], v[6:7], v[16:17]
	v_mul_f64_e32 v[16:17], v[8:9], v[16:17]
	v_fma_f64 v[161:162], v[4:5], v[10:11], v[161:162]
	v_fma_f64 v[165:166], v[2:3], v[10:11], -v[12:13]
	ds_load_b128 v[2:5], v1 offset:1120
	scratch_load_b128 v[10:13], off, off offset:448
	v_add_f64_e32 v[153:154], v[153:154], v[163:164]
	v_add_f64_e32 v[155:156], v[155:156], v[159:160]
	v_fma_f64 v[157:158], v[8:9], v[14:15], v[157:158]
	v_fma_f64 v[163:164], v[6:7], v[14:15], -v[16:17]
	ds_load_b128 v[6:9], v1 offset:1136
	s_wait_loadcnt_dscnt 0x801
	v_mul_f64_e32 v[159:160], v[2:3], v[20:21]
	v_mul_f64_e32 v[20:21], v[4:5], v[20:21]
	scratch_load_b128 v[14:17], off, off offset:464
	;; [unrolled: 18-line block ×13, first 2 shown]
	v_add_f64_e32 v[153:154], v[153:154], v[165:166]
	v_add_f64_e32 v[155:156], v[155:156], v[157:158]
	s_wait_loadcnt_dscnt 0x800
	v_mul_f64_e32 v[157:158], v[6:7], v[32:33]
	v_mul_f64_e32 v[32:33], v[8:9], v[32:33]
	v_fma_f64 v[161:162], v[4:5], v[26:27], v[161:162]
	v_fma_f64 v[26:27], v[2:3], v[26:27], -v[28:29]
	ds_load_b128 v[2:5], v1 offset:1504
	v_add_f64_e32 v[28:29], v[153:154], v[163:164]
	v_add_f64_e32 v[153:154], v[155:156], v[159:160]
	v_fma_f64 v[157:158], v[8:9], v[30:31], v[157:158]
	v_fma_f64 v[30:31], v[6:7], v[30:31], -v[32:33]
	ds_load_b128 v[6:9], v1 offset:1520
	s_wait_loadcnt_dscnt 0x701
	v_mul_f64_e32 v[155:156], v[2:3], v[36:37]
	v_mul_f64_e32 v[36:37], v[4:5], v[36:37]
	v_add_f64_e32 v[26:27], v[28:29], v[26:27]
	v_add_f64_e32 v[28:29], v[153:154], v[161:162]
	s_delay_alu instid0(VALU_DEP_4) | instskip(NEXT) | instid1(VALU_DEP_4)
	v_fma_f64 v[153:154], v[4:5], v[34:35], v[155:156]
	v_fma_f64 v[34:35], v[2:3], v[34:35], -v[36:37]
	ds_load_b128 v[2:5], v1 offset:1536
	v_add_f64_e32 v[30:31], v[26:27], v[30:31]
	v_add_f64_e32 v[36:37], v[28:29], v[157:158]
	scratch_load_b128 v[26:29], off, off offset:80
	s_wait_loadcnt_dscnt 0x701
	v_mul_f64_e32 v[32:33], v[6:7], v[151:152]
	v_mul_f64_e32 v[151:152], v[8:9], v[151:152]
	v_add_f64_e32 v[30:31], v[30:31], v[34:35]
	v_add_f64_e32 v[34:35], v[36:37], v[153:154]
	s_delay_alu instid0(VALU_DEP_4) | instskip(NEXT) | instid1(VALU_DEP_4)
	v_fma_f64 v[32:33], v[8:9], v[149:150], v[32:33]
	v_fma_f64 v[149:150], v[6:7], v[149:150], -v[151:152]
	ds_load_b128 v[6:9], v1 offset:1552
	s_wait_loadcnt_dscnt 0x601
	v_mul_f64_e32 v[155:156], v[2:3], v[40:41]
	v_mul_f64_e32 v[40:41], v[4:5], v[40:41]
	s_wait_loadcnt_dscnt 0x500
	v_mul_f64_e32 v[36:37], v[6:7], v[147:148]
	v_mul_f64_e32 v[147:148], v[8:9], v[147:148]
	v_add_f64_e32 v[32:33], v[34:35], v[32:33]
	v_add_f64_e32 v[30:31], v[30:31], v[149:150]
	v_fma_f64 v[151:152], v[4:5], v[38:39], v[155:156]
	v_fma_f64 v[38:39], v[2:3], v[38:39], -v[40:41]
	ds_load_b128 v[2:5], v1 offset:1568
	v_fma_f64 v[36:37], v[8:9], v[145:146], v[36:37]
	v_fma_f64 v[40:41], v[6:7], v[145:146], -v[147:148]
	ds_load_b128 v[6:9], v1 offset:1584
	s_wait_loadcnt_dscnt 0x401
	v_mul_f64_e32 v[34:35], v[2:3], v[12:13]
	v_mul_f64_e32 v[12:13], v[4:5], v[12:13]
	v_add_f64_e32 v[32:33], v[32:33], v[151:152]
	v_add_f64_e32 v[30:31], v[30:31], v[38:39]
	s_wait_loadcnt_dscnt 0x300
	v_mul_f64_e32 v[38:39], v[6:7], v[16:17]
	v_mul_f64_e32 v[16:17], v[8:9], v[16:17]
	v_fma_f64 v[34:35], v[4:5], v[10:11], v[34:35]
	v_fma_f64 v[10:11], v[2:3], v[10:11], -v[12:13]
	ds_load_b128 v[2:5], v1 offset:1600
	v_add_f64_e32 v[12:13], v[30:31], v[40:41]
	v_add_f64_e32 v[30:31], v[32:33], v[36:37]
	v_fma_f64 v[36:37], v[8:9], v[14:15], v[38:39]
	v_fma_f64 v[14:15], v[6:7], v[14:15], -v[16:17]
	ds_load_b128 v[6:9], v1 offset:1616
	s_wait_loadcnt_dscnt 0x201
	v_mul_f64_e32 v[32:33], v[2:3], v[20:21]
	v_mul_f64_e32 v[20:21], v[4:5], v[20:21]
	s_wait_loadcnt_dscnt 0x100
	v_mul_f64_e32 v[16:17], v[6:7], v[24:25]
	v_mul_f64_e32 v[24:25], v[8:9], v[24:25]
	v_add_f64_e32 v[10:11], v[12:13], v[10:11]
	v_add_f64_e32 v[12:13], v[30:31], v[34:35]
	v_fma_f64 v[4:5], v[4:5], v[18:19], v[32:33]
	v_fma_f64 v[1:2], v[2:3], v[18:19], -v[20:21]
	v_fma_f64 v[8:9], v[8:9], v[22:23], v[16:17]
	v_fma_f64 v[6:7], v[6:7], v[22:23], -v[24:25]
	v_add_f64_e32 v[10:11], v[10:11], v[14:15]
	v_add_f64_e32 v[12:13], v[12:13], v[36:37]
	s_delay_alu instid0(VALU_DEP_2) | instskip(NEXT) | instid1(VALU_DEP_2)
	v_add_f64_e32 v[1:2], v[10:11], v[1:2]
	v_add_f64_e32 v[3:4], v[12:13], v[4:5]
	s_delay_alu instid0(VALU_DEP_2) | instskip(NEXT) | instid1(VALU_DEP_2)
	v_add_f64_e32 v[1:2], v[1:2], v[6:7]
	v_add_f64_e32 v[3:4], v[3:4], v[8:9]
	s_wait_loadcnt 0x0
	s_delay_alu instid0(VALU_DEP_2) | instskip(NEXT) | instid1(VALU_DEP_2)
	v_add_f64_e64 v[1:2], v[26:27], -v[1:2]
	v_add_f64_e64 v[3:4], v[28:29], -v[3:4]
	scratch_store_b128 off, v[1:4], off offset:80
	v_cmpx_lt_u32_e32 3, v0
	s_cbranch_execz .LBB114_313
; %bb.312:
	scratch_load_b128 v[1:4], off, s10
	v_mov_b32_e32 v5, 0
	s_delay_alu instid0(VALU_DEP_1)
	v_dual_mov_b32 v6, v5 :: v_dual_mov_b32 v7, v5
	v_mov_b32_e32 v8, v5
	scratch_store_b128 off, v[5:8], off offset:64
	s_wait_loadcnt 0x0
	ds_store_b128 v144, v[1:4]
.LBB114_313:
	s_wait_alu 0xfffe
	s_or_b32 exec_lo, exec_lo, s0
	s_wait_storecnt_dscnt 0x0
	s_barrier_signal -1
	s_barrier_wait -1
	global_inv scope:SCOPE_SE
	s_clause 0x7
	scratch_load_b128 v[2:5], off, off offset:80
	scratch_load_b128 v[6:9], off, off offset:96
	;; [unrolled: 1-line block ×8, first 2 shown]
	v_mov_b32_e32 v1, 0
	s_clause 0x1
	scratch_load_b128 v[34:37], off, off offset:208
	scratch_load_b128 v[149:152], off, off offset:224
	s_mov_b32 s0, exec_lo
	ds_load_b128 v[38:41], v1 offset:880
	ds_load_b128 v[145:148], v1 offset:896
	s_wait_loadcnt_dscnt 0x901
	v_mul_f64_e32 v[153:154], v[40:41], v[4:5]
	v_mul_f64_e32 v[4:5], v[38:39], v[4:5]
	s_wait_loadcnt_dscnt 0x800
	v_mul_f64_e32 v[155:156], v[145:146], v[8:9]
	v_mul_f64_e32 v[8:9], v[147:148], v[8:9]
	s_delay_alu instid0(VALU_DEP_4) | instskip(NEXT) | instid1(VALU_DEP_4)
	v_fma_f64 v[153:154], v[38:39], v[2:3], -v[153:154]
	v_fma_f64 v[157:158], v[40:41], v[2:3], v[4:5]
	ds_load_b128 v[2:5], v1 offset:912
	scratch_load_b128 v[38:41], off, off offset:240
	v_fma_f64 v[155:156], v[147:148], v[6:7], v[155:156]
	v_fma_f64 v[161:162], v[145:146], v[6:7], -v[8:9]
	ds_load_b128 v[6:9], v1 offset:928
	scratch_load_b128 v[145:148], off, off offset:256
	s_wait_loadcnt_dscnt 0x901
	v_mul_f64_e32 v[159:160], v[2:3], v[12:13]
	v_mul_f64_e32 v[12:13], v[4:5], v[12:13]
	s_wait_loadcnt_dscnt 0x800
	v_mul_f64_e32 v[163:164], v[6:7], v[16:17]
	v_mul_f64_e32 v[16:17], v[8:9], v[16:17]
	v_add_f64_e32 v[153:154], 0, v[153:154]
	v_add_f64_e32 v[157:158], 0, v[157:158]
	v_fma_f64 v[159:160], v[4:5], v[10:11], v[159:160]
	v_fma_f64 v[165:166], v[2:3], v[10:11], -v[12:13]
	ds_load_b128 v[2:5], v1 offset:944
	scratch_load_b128 v[10:13], off, off offset:272
	v_add_f64_e32 v[153:154], v[153:154], v[161:162]
	v_add_f64_e32 v[155:156], v[157:158], v[155:156]
	v_fma_f64 v[161:162], v[8:9], v[14:15], v[163:164]
	v_fma_f64 v[163:164], v[6:7], v[14:15], -v[16:17]
	ds_load_b128 v[6:9], v1 offset:960
	scratch_load_b128 v[14:17], off, off offset:288
	s_wait_loadcnt_dscnt 0x901
	v_mul_f64_e32 v[157:158], v[2:3], v[20:21]
	v_mul_f64_e32 v[20:21], v[4:5], v[20:21]
	v_add_f64_e32 v[153:154], v[153:154], v[165:166]
	v_add_f64_e32 v[155:156], v[155:156], v[159:160]
	s_wait_loadcnt_dscnt 0x800
	v_mul_f64_e32 v[159:160], v[6:7], v[24:25]
	v_mul_f64_e32 v[24:25], v[8:9], v[24:25]
	v_fma_f64 v[157:158], v[4:5], v[18:19], v[157:158]
	v_fma_f64 v[165:166], v[2:3], v[18:19], -v[20:21]
	ds_load_b128 v[2:5], v1 offset:976
	scratch_load_b128 v[18:21], off, off offset:304
	v_add_f64_e32 v[153:154], v[153:154], v[163:164]
	v_add_f64_e32 v[155:156], v[155:156], v[161:162]
	v_fma_f64 v[159:160], v[8:9], v[22:23], v[159:160]
	v_fma_f64 v[163:164], v[6:7], v[22:23], -v[24:25]
	ds_load_b128 v[6:9], v1 offset:992
	s_wait_loadcnt_dscnt 0x801
	v_mul_f64_e32 v[161:162], v[2:3], v[28:29]
	v_mul_f64_e32 v[28:29], v[4:5], v[28:29]
	scratch_load_b128 v[22:25], off, off offset:320
	v_add_f64_e32 v[153:154], v[153:154], v[165:166]
	v_add_f64_e32 v[155:156], v[155:156], v[157:158]
	s_wait_loadcnt_dscnt 0x800
	v_mul_f64_e32 v[157:158], v[6:7], v[32:33]
	v_mul_f64_e32 v[32:33], v[8:9], v[32:33]
	v_fma_f64 v[161:162], v[4:5], v[26:27], v[161:162]
	v_fma_f64 v[165:166], v[2:3], v[26:27], -v[28:29]
	ds_load_b128 v[2:5], v1 offset:1008
	scratch_load_b128 v[26:29], off, off offset:336
	v_add_f64_e32 v[153:154], v[153:154], v[163:164]
	v_add_f64_e32 v[155:156], v[155:156], v[159:160]
	v_fma_f64 v[157:158], v[8:9], v[30:31], v[157:158]
	v_fma_f64 v[163:164], v[6:7], v[30:31], -v[32:33]
	ds_load_b128 v[6:9], v1 offset:1024
	s_wait_loadcnt_dscnt 0x801
	v_mul_f64_e32 v[159:160], v[2:3], v[36:37]
	v_mul_f64_e32 v[36:37], v[4:5], v[36:37]
	scratch_load_b128 v[30:33], off, off offset:352
	v_add_f64_e32 v[153:154], v[153:154], v[165:166]
	v_add_f64_e32 v[155:156], v[155:156], v[161:162]
	s_wait_loadcnt_dscnt 0x800
	v_mul_f64_e32 v[161:162], v[6:7], v[151:152]
	v_mul_f64_e32 v[151:152], v[8:9], v[151:152]
	v_fma_f64 v[159:160], v[4:5], v[34:35], v[159:160]
	v_fma_f64 v[165:166], v[2:3], v[34:35], -v[36:37]
	ds_load_b128 v[2:5], v1 offset:1040
	scratch_load_b128 v[34:37], off, off offset:368
	v_add_f64_e32 v[153:154], v[153:154], v[163:164]
	v_add_f64_e32 v[155:156], v[155:156], v[157:158]
	v_fma_f64 v[161:162], v[8:9], v[149:150], v[161:162]
	v_fma_f64 v[163:164], v[6:7], v[149:150], -v[151:152]
	ds_load_b128 v[6:9], v1 offset:1056
	scratch_load_b128 v[149:152], off, off offset:384
	s_wait_loadcnt_dscnt 0x901
	v_mul_f64_e32 v[157:158], v[2:3], v[40:41]
	v_mul_f64_e32 v[40:41], v[4:5], v[40:41]
	v_add_f64_e32 v[153:154], v[153:154], v[165:166]
	v_add_f64_e32 v[155:156], v[155:156], v[159:160]
	s_wait_loadcnt_dscnt 0x800
	v_mul_f64_e32 v[159:160], v[6:7], v[147:148]
	v_mul_f64_e32 v[147:148], v[8:9], v[147:148]
	v_fma_f64 v[157:158], v[4:5], v[38:39], v[157:158]
	v_fma_f64 v[165:166], v[2:3], v[38:39], -v[40:41]
	ds_load_b128 v[2:5], v1 offset:1072
	scratch_load_b128 v[38:41], off, off offset:400
	v_add_f64_e32 v[153:154], v[153:154], v[163:164]
	v_add_f64_e32 v[155:156], v[155:156], v[161:162]
	v_fma_f64 v[159:160], v[8:9], v[145:146], v[159:160]
	v_fma_f64 v[163:164], v[6:7], v[145:146], -v[147:148]
	ds_load_b128 v[6:9], v1 offset:1088
	s_wait_loadcnt_dscnt 0x801
	v_mul_f64_e32 v[161:162], v[2:3], v[12:13]
	v_mul_f64_e32 v[12:13], v[4:5], v[12:13]
	scratch_load_b128 v[145:148], off, off offset:416
	v_add_f64_e32 v[153:154], v[153:154], v[165:166]
	v_add_f64_e32 v[155:156], v[155:156], v[157:158]
	s_wait_loadcnt_dscnt 0x800
	v_mul_f64_e32 v[157:158], v[6:7], v[16:17]
	v_mul_f64_e32 v[16:17], v[8:9], v[16:17]
	v_fma_f64 v[161:162], v[4:5], v[10:11], v[161:162]
	v_fma_f64 v[165:166], v[2:3], v[10:11], -v[12:13]
	ds_load_b128 v[2:5], v1 offset:1104
	scratch_load_b128 v[10:13], off, off offset:432
	v_add_f64_e32 v[153:154], v[153:154], v[163:164]
	v_add_f64_e32 v[155:156], v[155:156], v[159:160]
	v_fma_f64 v[157:158], v[8:9], v[14:15], v[157:158]
	v_fma_f64 v[163:164], v[6:7], v[14:15], -v[16:17]
	ds_load_b128 v[6:9], v1 offset:1120
	s_wait_loadcnt_dscnt 0x801
	v_mul_f64_e32 v[159:160], v[2:3], v[20:21]
	v_mul_f64_e32 v[20:21], v[4:5], v[20:21]
	scratch_load_b128 v[14:17], off, off offset:448
	v_add_f64_e32 v[153:154], v[153:154], v[165:166]
	v_add_f64_e32 v[155:156], v[155:156], v[161:162]
	s_wait_loadcnt_dscnt 0x800
	v_mul_f64_e32 v[161:162], v[6:7], v[24:25]
	v_mul_f64_e32 v[24:25], v[8:9], v[24:25]
	v_fma_f64 v[159:160], v[4:5], v[18:19], v[159:160]
	v_fma_f64 v[165:166], v[2:3], v[18:19], -v[20:21]
	ds_load_b128 v[2:5], v1 offset:1136
	scratch_load_b128 v[18:21], off, off offset:464
	v_add_f64_e32 v[153:154], v[153:154], v[163:164]
	v_add_f64_e32 v[155:156], v[155:156], v[157:158]
	v_fma_f64 v[161:162], v[8:9], v[22:23], v[161:162]
	v_fma_f64 v[163:164], v[6:7], v[22:23], -v[24:25]
	ds_load_b128 v[6:9], v1 offset:1152
	s_wait_loadcnt_dscnt 0x801
	v_mul_f64_e32 v[157:158], v[2:3], v[28:29]
	v_mul_f64_e32 v[28:29], v[4:5], v[28:29]
	scratch_load_b128 v[22:25], off, off offset:480
	v_add_f64_e32 v[153:154], v[153:154], v[165:166]
	v_add_f64_e32 v[155:156], v[155:156], v[159:160]
	s_wait_loadcnt_dscnt 0x800
	v_mul_f64_e32 v[159:160], v[6:7], v[32:33]
	v_mul_f64_e32 v[32:33], v[8:9], v[32:33]
	v_fma_f64 v[157:158], v[4:5], v[26:27], v[157:158]
	v_fma_f64 v[165:166], v[2:3], v[26:27], -v[28:29]
	ds_load_b128 v[2:5], v1 offset:1168
	scratch_load_b128 v[26:29], off, off offset:496
	v_add_f64_e32 v[153:154], v[153:154], v[163:164]
	v_add_f64_e32 v[155:156], v[155:156], v[161:162]
	v_fma_f64 v[159:160], v[8:9], v[30:31], v[159:160]
	v_fma_f64 v[163:164], v[6:7], v[30:31], -v[32:33]
	ds_load_b128 v[6:9], v1 offset:1184
	s_wait_loadcnt_dscnt 0x801
	v_mul_f64_e32 v[161:162], v[2:3], v[36:37]
	v_mul_f64_e32 v[36:37], v[4:5], v[36:37]
	scratch_load_b128 v[30:33], off, off offset:512
	v_add_f64_e32 v[153:154], v[153:154], v[165:166]
	v_add_f64_e32 v[155:156], v[155:156], v[157:158]
	s_wait_loadcnt_dscnt 0x800
	v_mul_f64_e32 v[157:158], v[6:7], v[151:152]
	v_mul_f64_e32 v[151:152], v[8:9], v[151:152]
	v_fma_f64 v[161:162], v[4:5], v[34:35], v[161:162]
	v_fma_f64 v[165:166], v[2:3], v[34:35], -v[36:37]
	ds_load_b128 v[2:5], v1 offset:1200
	scratch_load_b128 v[34:37], off, off offset:528
	v_add_f64_e32 v[153:154], v[153:154], v[163:164]
	v_add_f64_e32 v[155:156], v[155:156], v[159:160]
	v_fma_f64 v[157:158], v[8:9], v[149:150], v[157:158]
	v_fma_f64 v[163:164], v[6:7], v[149:150], -v[151:152]
	ds_load_b128 v[6:9], v1 offset:1216
	s_wait_loadcnt_dscnt 0x801
	v_mul_f64_e32 v[159:160], v[2:3], v[40:41]
	v_mul_f64_e32 v[40:41], v[4:5], v[40:41]
	scratch_load_b128 v[149:152], off, off offset:544
	v_add_f64_e32 v[153:154], v[153:154], v[165:166]
	v_add_f64_e32 v[155:156], v[155:156], v[161:162]
	s_wait_loadcnt_dscnt 0x800
	v_mul_f64_e32 v[161:162], v[6:7], v[147:148]
	v_mul_f64_e32 v[147:148], v[8:9], v[147:148]
	v_fma_f64 v[159:160], v[4:5], v[38:39], v[159:160]
	v_fma_f64 v[165:166], v[2:3], v[38:39], -v[40:41]
	ds_load_b128 v[2:5], v1 offset:1232
	scratch_load_b128 v[38:41], off, off offset:560
	v_add_f64_e32 v[153:154], v[153:154], v[163:164]
	v_add_f64_e32 v[155:156], v[155:156], v[157:158]
	v_fma_f64 v[161:162], v[8:9], v[145:146], v[161:162]
	v_fma_f64 v[163:164], v[6:7], v[145:146], -v[147:148]
	ds_load_b128 v[6:9], v1 offset:1248
	s_wait_loadcnt_dscnt 0x801
	v_mul_f64_e32 v[157:158], v[2:3], v[12:13]
	v_mul_f64_e32 v[12:13], v[4:5], v[12:13]
	scratch_load_b128 v[145:148], off, off offset:576
	v_add_f64_e32 v[153:154], v[153:154], v[165:166]
	v_add_f64_e32 v[155:156], v[155:156], v[159:160]
	s_wait_loadcnt_dscnt 0x800
	v_mul_f64_e32 v[159:160], v[6:7], v[16:17]
	v_mul_f64_e32 v[16:17], v[8:9], v[16:17]
	v_fma_f64 v[157:158], v[4:5], v[10:11], v[157:158]
	v_fma_f64 v[165:166], v[2:3], v[10:11], -v[12:13]
	ds_load_b128 v[2:5], v1 offset:1264
	scratch_load_b128 v[10:13], off, off offset:592
	v_add_f64_e32 v[153:154], v[153:154], v[163:164]
	v_add_f64_e32 v[155:156], v[155:156], v[161:162]
	v_fma_f64 v[159:160], v[8:9], v[14:15], v[159:160]
	v_fma_f64 v[163:164], v[6:7], v[14:15], -v[16:17]
	ds_load_b128 v[6:9], v1 offset:1280
	s_wait_loadcnt_dscnt 0x801
	v_mul_f64_e32 v[161:162], v[2:3], v[20:21]
	v_mul_f64_e32 v[20:21], v[4:5], v[20:21]
	scratch_load_b128 v[14:17], off, off offset:608
	v_add_f64_e32 v[153:154], v[153:154], v[165:166]
	v_add_f64_e32 v[155:156], v[155:156], v[157:158]
	s_wait_loadcnt_dscnt 0x800
	v_mul_f64_e32 v[157:158], v[6:7], v[24:25]
	v_mul_f64_e32 v[24:25], v[8:9], v[24:25]
	v_fma_f64 v[161:162], v[4:5], v[18:19], v[161:162]
	v_fma_f64 v[165:166], v[2:3], v[18:19], -v[20:21]
	ds_load_b128 v[2:5], v1 offset:1296
	scratch_load_b128 v[18:21], off, off offset:624
	v_add_f64_e32 v[153:154], v[153:154], v[163:164]
	v_add_f64_e32 v[155:156], v[155:156], v[159:160]
	v_fma_f64 v[157:158], v[8:9], v[22:23], v[157:158]
	v_fma_f64 v[163:164], v[6:7], v[22:23], -v[24:25]
	ds_load_b128 v[6:9], v1 offset:1312
	s_wait_loadcnt_dscnt 0x801
	v_mul_f64_e32 v[159:160], v[2:3], v[28:29]
	v_mul_f64_e32 v[28:29], v[4:5], v[28:29]
	scratch_load_b128 v[22:25], off, off offset:640
	v_add_f64_e32 v[153:154], v[153:154], v[165:166]
	v_add_f64_e32 v[155:156], v[155:156], v[161:162]
	s_wait_loadcnt_dscnt 0x800
	v_mul_f64_e32 v[161:162], v[6:7], v[32:33]
	v_mul_f64_e32 v[32:33], v[8:9], v[32:33]
	v_fma_f64 v[159:160], v[4:5], v[26:27], v[159:160]
	v_fma_f64 v[165:166], v[2:3], v[26:27], -v[28:29]
	ds_load_b128 v[2:5], v1 offset:1328
	scratch_load_b128 v[26:29], off, off offset:656
	v_add_f64_e32 v[153:154], v[153:154], v[163:164]
	v_add_f64_e32 v[155:156], v[155:156], v[157:158]
	v_fma_f64 v[161:162], v[8:9], v[30:31], v[161:162]
	v_fma_f64 v[163:164], v[6:7], v[30:31], -v[32:33]
	ds_load_b128 v[6:9], v1 offset:1344
	s_wait_loadcnt_dscnt 0x801
	v_mul_f64_e32 v[157:158], v[2:3], v[36:37]
	v_mul_f64_e32 v[36:37], v[4:5], v[36:37]
	scratch_load_b128 v[30:33], off, off offset:672
	v_add_f64_e32 v[153:154], v[153:154], v[165:166]
	v_add_f64_e32 v[155:156], v[155:156], v[159:160]
	s_wait_loadcnt_dscnt 0x800
	v_mul_f64_e32 v[159:160], v[6:7], v[151:152]
	v_mul_f64_e32 v[151:152], v[8:9], v[151:152]
	v_fma_f64 v[157:158], v[4:5], v[34:35], v[157:158]
	v_fma_f64 v[165:166], v[2:3], v[34:35], -v[36:37]
	ds_load_b128 v[2:5], v1 offset:1360
	scratch_load_b128 v[34:37], off, off offset:688
	v_add_f64_e32 v[153:154], v[153:154], v[163:164]
	v_add_f64_e32 v[155:156], v[155:156], v[161:162]
	v_fma_f64 v[159:160], v[8:9], v[149:150], v[159:160]
	v_fma_f64 v[163:164], v[6:7], v[149:150], -v[151:152]
	ds_load_b128 v[6:9], v1 offset:1376
	s_wait_loadcnt_dscnt 0x801
	v_mul_f64_e32 v[161:162], v[2:3], v[40:41]
	v_mul_f64_e32 v[40:41], v[4:5], v[40:41]
	scratch_load_b128 v[149:152], off, off offset:704
	v_add_f64_e32 v[153:154], v[153:154], v[165:166]
	v_add_f64_e32 v[155:156], v[155:156], v[157:158]
	s_wait_loadcnt_dscnt 0x800
	v_mul_f64_e32 v[157:158], v[6:7], v[147:148]
	v_mul_f64_e32 v[147:148], v[8:9], v[147:148]
	v_fma_f64 v[161:162], v[4:5], v[38:39], v[161:162]
	v_fma_f64 v[165:166], v[2:3], v[38:39], -v[40:41]
	ds_load_b128 v[2:5], v1 offset:1392
	scratch_load_b128 v[38:41], off, off offset:720
	v_add_f64_e32 v[153:154], v[153:154], v[163:164]
	v_add_f64_e32 v[155:156], v[155:156], v[159:160]
	v_fma_f64 v[157:158], v[8:9], v[145:146], v[157:158]
	v_fma_f64 v[163:164], v[6:7], v[145:146], -v[147:148]
	ds_load_b128 v[6:9], v1 offset:1408
	s_wait_loadcnt_dscnt 0x801
	v_mul_f64_e32 v[159:160], v[2:3], v[12:13]
	v_mul_f64_e32 v[12:13], v[4:5], v[12:13]
	scratch_load_b128 v[145:148], off, off offset:736
	v_add_f64_e32 v[153:154], v[153:154], v[165:166]
	v_add_f64_e32 v[155:156], v[155:156], v[161:162]
	s_wait_loadcnt_dscnt 0x800
	v_mul_f64_e32 v[161:162], v[6:7], v[16:17]
	v_mul_f64_e32 v[16:17], v[8:9], v[16:17]
	v_fma_f64 v[159:160], v[4:5], v[10:11], v[159:160]
	v_fma_f64 v[165:166], v[2:3], v[10:11], -v[12:13]
	ds_load_b128 v[2:5], v1 offset:1424
	scratch_load_b128 v[10:13], off, off offset:752
	v_add_f64_e32 v[153:154], v[153:154], v[163:164]
	v_add_f64_e32 v[155:156], v[155:156], v[157:158]
	v_fma_f64 v[161:162], v[8:9], v[14:15], v[161:162]
	v_fma_f64 v[163:164], v[6:7], v[14:15], -v[16:17]
	ds_load_b128 v[6:9], v1 offset:1440
	s_wait_loadcnt_dscnt 0x801
	v_mul_f64_e32 v[157:158], v[2:3], v[20:21]
	v_mul_f64_e32 v[20:21], v[4:5], v[20:21]
	scratch_load_b128 v[14:17], off, off offset:768
	v_add_f64_e32 v[153:154], v[153:154], v[165:166]
	v_add_f64_e32 v[155:156], v[155:156], v[159:160]
	s_wait_loadcnt_dscnt 0x800
	v_mul_f64_e32 v[159:160], v[6:7], v[24:25]
	v_mul_f64_e32 v[24:25], v[8:9], v[24:25]
	v_fma_f64 v[157:158], v[4:5], v[18:19], v[157:158]
	v_fma_f64 v[165:166], v[2:3], v[18:19], -v[20:21]
	ds_load_b128 v[2:5], v1 offset:1456
	scratch_load_b128 v[18:21], off, off offset:784
	v_add_f64_e32 v[153:154], v[153:154], v[163:164]
	v_add_f64_e32 v[155:156], v[155:156], v[161:162]
	v_fma_f64 v[159:160], v[8:9], v[22:23], v[159:160]
	v_fma_f64 v[163:164], v[6:7], v[22:23], -v[24:25]
	ds_load_b128 v[6:9], v1 offset:1472
	s_wait_loadcnt_dscnt 0x801
	v_mul_f64_e32 v[161:162], v[2:3], v[28:29]
	v_mul_f64_e32 v[28:29], v[4:5], v[28:29]
	scratch_load_b128 v[22:25], off, off offset:800
	v_add_f64_e32 v[153:154], v[153:154], v[165:166]
	v_add_f64_e32 v[155:156], v[155:156], v[157:158]
	s_wait_loadcnt_dscnt 0x800
	v_mul_f64_e32 v[157:158], v[6:7], v[32:33]
	v_mul_f64_e32 v[32:33], v[8:9], v[32:33]
	v_fma_f64 v[161:162], v[4:5], v[26:27], v[161:162]
	v_fma_f64 v[165:166], v[2:3], v[26:27], -v[28:29]
	ds_load_b128 v[2:5], v1 offset:1488
	scratch_load_b128 v[26:29], off, off offset:816
	v_add_f64_e32 v[153:154], v[153:154], v[163:164]
	v_add_f64_e32 v[155:156], v[155:156], v[159:160]
	v_fma_f64 v[157:158], v[8:9], v[30:31], v[157:158]
	v_fma_f64 v[30:31], v[6:7], v[30:31], -v[32:33]
	ds_load_b128 v[6:9], v1 offset:1504
	s_wait_loadcnt_dscnt 0x801
	v_mul_f64_e32 v[159:160], v[2:3], v[36:37]
	v_mul_f64_e32 v[36:37], v[4:5], v[36:37]
	v_add_f64_e32 v[32:33], v[153:154], v[165:166]
	v_add_f64_e32 v[153:154], v[155:156], v[161:162]
	s_wait_loadcnt_dscnt 0x700
	v_mul_f64_e32 v[155:156], v[6:7], v[151:152]
	v_mul_f64_e32 v[151:152], v[8:9], v[151:152]
	v_fma_f64 v[159:160], v[4:5], v[34:35], v[159:160]
	v_fma_f64 v[34:35], v[2:3], v[34:35], -v[36:37]
	ds_load_b128 v[2:5], v1 offset:1520
	v_add_f64_e32 v[30:31], v[32:33], v[30:31]
	v_add_f64_e32 v[32:33], v[153:154], v[157:158]
	v_fma_f64 v[153:154], v[8:9], v[149:150], v[155:156]
	v_fma_f64 v[149:150], v[6:7], v[149:150], -v[151:152]
	ds_load_b128 v[6:9], v1 offset:1536
	s_wait_loadcnt_dscnt 0x500
	v_mul_f64_e32 v[155:156], v[6:7], v[147:148]
	v_mul_f64_e32 v[147:148], v[8:9], v[147:148]
	v_add_f64_e32 v[34:35], v[30:31], v[34:35]
	v_add_f64_e32 v[151:152], v[32:33], v[159:160]
	scratch_load_b128 v[30:33], off, off offset:64
	v_mul_f64_e32 v[36:37], v[2:3], v[40:41]
	v_mul_f64_e32 v[40:41], v[4:5], v[40:41]
	v_add_f64_e32 v[34:35], v[34:35], v[149:150]
	s_delay_alu instid0(VALU_DEP_3) | instskip(NEXT) | instid1(VALU_DEP_3)
	v_fma_f64 v[36:37], v[4:5], v[38:39], v[36:37]
	v_fma_f64 v[38:39], v[2:3], v[38:39], -v[40:41]
	v_add_f64_e32 v[40:41], v[151:152], v[153:154]
	ds_load_b128 v[2:5], v1 offset:1552
	v_fma_f64 v[151:152], v[8:9], v[145:146], v[155:156]
	v_fma_f64 v[145:146], v[6:7], v[145:146], -v[147:148]
	ds_load_b128 v[6:9], v1 offset:1568
	s_wait_loadcnt_dscnt 0x501
	v_mul_f64_e32 v[149:150], v[2:3], v[12:13]
	v_mul_f64_e32 v[12:13], v[4:5], v[12:13]
	v_add_f64_e32 v[34:35], v[34:35], v[38:39]
	v_add_f64_e32 v[36:37], v[40:41], v[36:37]
	s_wait_loadcnt_dscnt 0x400
	v_mul_f64_e32 v[38:39], v[6:7], v[16:17]
	v_mul_f64_e32 v[16:17], v[8:9], v[16:17]
	v_fma_f64 v[40:41], v[4:5], v[10:11], v[149:150]
	v_fma_f64 v[10:11], v[2:3], v[10:11], -v[12:13]
	ds_load_b128 v[2:5], v1 offset:1584
	v_add_f64_e32 v[12:13], v[34:35], v[145:146]
	v_add_f64_e32 v[34:35], v[36:37], v[151:152]
	v_fma_f64 v[38:39], v[8:9], v[14:15], v[38:39]
	v_fma_f64 v[14:15], v[6:7], v[14:15], -v[16:17]
	ds_load_b128 v[6:9], v1 offset:1600
	s_wait_loadcnt_dscnt 0x301
	v_mul_f64_e32 v[36:37], v[2:3], v[20:21]
	v_mul_f64_e32 v[20:21], v[4:5], v[20:21]
	s_wait_loadcnt_dscnt 0x200
	v_mul_f64_e32 v[16:17], v[6:7], v[24:25]
	v_mul_f64_e32 v[24:25], v[8:9], v[24:25]
	v_add_f64_e32 v[10:11], v[12:13], v[10:11]
	v_add_f64_e32 v[12:13], v[34:35], v[40:41]
	v_fma_f64 v[34:35], v[4:5], v[18:19], v[36:37]
	v_fma_f64 v[18:19], v[2:3], v[18:19], -v[20:21]
	ds_load_b128 v[2:5], v1 offset:1616
	v_fma_f64 v[8:9], v[8:9], v[22:23], v[16:17]
	v_fma_f64 v[6:7], v[6:7], v[22:23], -v[24:25]
	s_wait_loadcnt_dscnt 0x100
	v_mul_f64_e32 v[20:21], v[4:5], v[28:29]
	v_add_f64_e32 v[10:11], v[10:11], v[14:15]
	v_add_f64_e32 v[12:13], v[12:13], v[38:39]
	v_mul_f64_e32 v[14:15], v[2:3], v[28:29]
	s_delay_alu instid0(VALU_DEP_4) | instskip(NEXT) | instid1(VALU_DEP_4)
	v_fma_f64 v[2:3], v[2:3], v[26:27], -v[20:21]
	v_add_f64_e32 v[10:11], v[10:11], v[18:19]
	s_delay_alu instid0(VALU_DEP_4) | instskip(NEXT) | instid1(VALU_DEP_4)
	v_add_f64_e32 v[12:13], v[12:13], v[34:35]
	v_fma_f64 v[4:5], v[4:5], v[26:27], v[14:15]
	s_delay_alu instid0(VALU_DEP_3) | instskip(NEXT) | instid1(VALU_DEP_3)
	v_add_f64_e32 v[6:7], v[10:11], v[6:7]
	v_add_f64_e32 v[8:9], v[12:13], v[8:9]
	s_delay_alu instid0(VALU_DEP_2) | instskip(NEXT) | instid1(VALU_DEP_2)
	v_add_f64_e32 v[2:3], v[6:7], v[2:3]
	v_add_f64_e32 v[4:5], v[8:9], v[4:5]
	s_wait_loadcnt 0x0
	s_delay_alu instid0(VALU_DEP_2) | instskip(NEXT) | instid1(VALU_DEP_2)
	v_add_f64_e64 v[2:3], v[30:31], -v[2:3]
	v_add_f64_e64 v[4:5], v[32:33], -v[4:5]
	scratch_store_b128 off, v[2:5], off offset:64
	v_cmpx_lt_u32_e32 2, v0
	s_cbranch_execz .LBB114_315
; %bb.314:
	scratch_load_b128 v[5:8], off, s13
	v_dual_mov_b32 v2, v1 :: v_dual_mov_b32 v3, v1
	v_mov_b32_e32 v4, v1
	scratch_store_b128 off, v[1:4], off offset:48
	s_wait_loadcnt 0x0
	ds_store_b128 v144, v[5:8]
.LBB114_315:
	s_wait_alu 0xfffe
	s_or_b32 exec_lo, exec_lo, s0
	s_wait_storecnt_dscnt 0x0
	s_barrier_signal -1
	s_barrier_wait -1
	global_inv scope:SCOPE_SE
	s_clause 0x7
	scratch_load_b128 v[2:5], off, off offset:64
	scratch_load_b128 v[6:9], off, off offset:80
	;; [unrolled: 1-line block ×8, first 2 shown]
	ds_load_b128 v[38:41], v1 offset:864
	ds_load_b128 v[145:148], v1 offset:880
	s_clause 0x1
	scratch_load_b128 v[34:37], off, off offset:192
	scratch_load_b128 v[149:152], off, off offset:208
	s_mov_b32 s0, exec_lo
	s_wait_loadcnt_dscnt 0x901
	v_mul_f64_e32 v[153:154], v[40:41], v[4:5]
	v_mul_f64_e32 v[4:5], v[38:39], v[4:5]
	s_wait_loadcnt_dscnt 0x800
	v_mul_f64_e32 v[155:156], v[145:146], v[8:9]
	v_mul_f64_e32 v[8:9], v[147:148], v[8:9]
	s_delay_alu instid0(VALU_DEP_4) | instskip(NEXT) | instid1(VALU_DEP_4)
	v_fma_f64 v[153:154], v[38:39], v[2:3], -v[153:154]
	v_fma_f64 v[157:158], v[40:41], v[2:3], v[4:5]
	ds_load_b128 v[2:5], v1 offset:896
	scratch_load_b128 v[38:41], off, off offset:224
	v_fma_f64 v[155:156], v[147:148], v[6:7], v[155:156]
	v_fma_f64 v[161:162], v[145:146], v[6:7], -v[8:9]
	ds_load_b128 v[6:9], v1 offset:912
	scratch_load_b128 v[145:148], off, off offset:240
	s_wait_loadcnt_dscnt 0x901
	v_mul_f64_e32 v[159:160], v[2:3], v[12:13]
	v_mul_f64_e32 v[12:13], v[4:5], v[12:13]
	s_wait_loadcnt_dscnt 0x800
	v_mul_f64_e32 v[163:164], v[6:7], v[16:17]
	v_mul_f64_e32 v[16:17], v[8:9], v[16:17]
	v_add_f64_e32 v[153:154], 0, v[153:154]
	v_add_f64_e32 v[157:158], 0, v[157:158]
	v_fma_f64 v[159:160], v[4:5], v[10:11], v[159:160]
	v_fma_f64 v[165:166], v[2:3], v[10:11], -v[12:13]
	ds_load_b128 v[2:5], v1 offset:928
	scratch_load_b128 v[10:13], off, off offset:256
	v_add_f64_e32 v[153:154], v[153:154], v[161:162]
	v_add_f64_e32 v[155:156], v[157:158], v[155:156]
	v_fma_f64 v[161:162], v[8:9], v[14:15], v[163:164]
	v_fma_f64 v[163:164], v[6:7], v[14:15], -v[16:17]
	ds_load_b128 v[6:9], v1 offset:944
	scratch_load_b128 v[14:17], off, off offset:272
	s_wait_loadcnt_dscnt 0x901
	v_mul_f64_e32 v[157:158], v[2:3], v[20:21]
	v_mul_f64_e32 v[20:21], v[4:5], v[20:21]
	v_add_f64_e32 v[153:154], v[153:154], v[165:166]
	v_add_f64_e32 v[155:156], v[155:156], v[159:160]
	s_wait_loadcnt_dscnt 0x800
	v_mul_f64_e32 v[159:160], v[6:7], v[24:25]
	v_mul_f64_e32 v[24:25], v[8:9], v[24:25]
	v_fma_f64 v[157:158], v[4:5], v[18:19], v[157:158]
	v_fma_f64 v[165:166], v[2:3], v[18:19], -v[20:21]
	ds_load_b128 v[2:5], v1 offset:960
	scratch_load_b128 v[18:21], off, off offset:288
	v_add_f64_e32 v[153:154], v[153:154], v[163:164]
	v_add_f64_e32 v[155:156], v[155:156], v[161:162]
	v_fma_f64 v[159:160], v[8:9], v[22:23], v[159:160]
	v_fma_f64 v[163:164], v[6:7], v[22:23], -v[24:25]
	ds_load_b128 v[6:9], v1 offset:976
	s_wait_loadcnt_dscnt 0x801
	v_mul_f64_e32 v[161:162], v[2:3], v[28:29]
	v_mul_f64_e32 v[28:29], v[4:5], v[28:29]
	scratch_load_b128 v[22:25], off, off offset:304
	v_add_f64_e32 v[153:154], v[153:154], v[165:166]
	v_add_f64_e32 v[155:156], v[155:156], v[157:158]
	s_wait_loadcnt_dscnt 0x800
	v_mul_f64_e32 v[157:158], v[6:7], v[32:33]
	v_mul_f64_e32 v[32:33], v[8:9], v[32:33]
	v_fma_f64 v[161:162], v[4:5], v[26:27], v[161:162]
	v_fma_f64 v[165:166], v[2:3], v[26:27], -v[28:29]
	ds_load_b128 v[2:5], v1 offset:992
	scratch_load_b128 v[26:29], off, off offset:320
	v_add_f64_e32 v[153:154], v[153:154], v[163:164]
	v_add_f64_e32 v[155:156], v[155:156], v[159:160]
	v_fma_f64 v[157:158], v[8:9], v[30:31], v[157:158]
	v_fma_f64 v[163:164], v[6:7], v[30:31], -v[32:33]
	ds_load_b128 v[6:9], v1 offset:1008
	s_wait_loadcnt_dscnt 0x801
	v_mul_f64_e32 v[159:160], v[2:3], v[36:37]
	v_mul_f64_e32 v[36:37], v[4:5], v[36:37]
	scratch_load_b128 v[30:33], off, off offset:336
	v_add_f64_e32 v[153:154], v[153:154], v[165:166]
	v_add_f64_e32 v[155:156], v[155:156], v[161:162]
	s_wait_loadcnt_dscnt 0x800
	v_mul_f64_e32 v[161:162], v[6:7], v[151:152]
	v_mul_f64_e32 v[151:152], v[8:9], v[151:152]
	v_fma_f64 v[159:160], v[4:5], v[34:35], v[159:160]
	v_fma_f64 v[165:166], v[2:3], v[34:35], -v[36:37]
	ds_load_b128 v[2:5], v1 offset:1024
	scratch_load_b128 v[34:37], off, off offset:352
	v_add_f64_e32 v[153:154], v[153:154], v[163:164]
	v_add_f64_e32 v[155:156], v[155:156], v[157:158]
	v_fma_f64 v[161:162], v[8:9], v[149:150], v[161:162]
	v_fma_f64 v[163:164], v[6:7], v[149:150], -v[151:152]
	ds_load_b128 v[6:9], v1 offset:1040
	scratch_load_b128 v[149:152], off, off offset:368
	s_wait_loadcnt_dscnt 0x901
	v_mul_f64_e32 v[157:158], v[2:3], v[40:41]
	v_mul_f64_e32 v[40:41], v[4:5], v[40:41]
	v_add_f64_e32 v[153:154], v[153:154], v[165:166]
	v_add_f64_e32 v[155:156], v[155:156], v[159:160]
	s_wait_loadcnt_dscnt 0x800
	v_mul_f64_e32 v[159:160], v[6:7], v[147:148]
	v_mul_f64_e32 v[147:148], v[8:9], v[147:148]
	v_fma_f64 v[157:158], v[4:5], v[38:39], v[157:158]
	v_fma_f64 v[165:166], v[2:3], v[38:39], -v[40:41]
	ds_load_b128 v[2:5], v1 offset:1056
	scratch_load_b128 v[38:41], off, off offset:384
	v_add_f64_e32 v[153:154], v[153:154], v[163:164]
	v_add_f64_e32 v[155:156], v[155:156], v[161:162]
	v_fma_f64 v[159:160], v[8:9], v[145:146], v[159:160]
	v_fma_f64 v[163:164], v[6:7], v[145:146], -v[147:148]
	ds_load_b128 v[6:9], v1 offset:1072
	s_wait_loadcnt_dscnt 0x801
	v_mul_f64_e32 v[161:162], v[2:3], v[12:13]
	v_mul_f64_e32 v[12:13], v[4:5], v[12:13]
	scratch_load_b128 v[145:148], off, off offset:400
	v_add_f64_e32 v[153:154], v[153:154], v[165:166]
	v_add_f64_e32 v[155:156], v[155:156], v[157:158]
	s_wait_loadcnt_dscnt 0x800
	v_mul_f64_e32 v[157:158], v[6:7], v[16:17]
	v_mul_f64_e32 v[16:17], v[8:9], v[16:17]
	v_fma_f64 v[161:162], v[4:5], v[10:11], v[161:162]
	v_fma_f64 v[165:166], v[2:3], v[10:11], -v[12:13]
	ds_load_b128 v[2:5], v1 offset:1088
	scratch_load_b128 v[10:13], off, off offset:416
	v_add_f64_e32 v[153:154], v[153:154], v[163:164]
	v_add_f64_e32 v[155:156], v[155:156], v[159:160]
	v_fma_f64 v[157:158], v[8:9], v[14:15], v[157:158]
	v_fma_f64 v[163:164], v[6:7], v[14:15], -v[16:17]
	ds_load_b128 v[6:9], v1 offset:1104
	s_wait_loadcnt_dscnt 0x801
	v_mul_f64_e32 v[159:160], v[2:3], v[20:21]
	v_mul_f64_e32 v[20:21], v[4:5], v[20:21]
	scratch_load_b128 v[14:17], off, off offset:432
	;; [unrolled: 18-line block ×14, first 2 shown]
	v_add_f64_e32 v[153:154], v[153:154], v[165:166]
	v_add_f64_e32 v[155:156], v[155:156], v[161:162]
	s_wait_loadcnt_dscnt 0x800
	v_mul_f64_e32 v[161:162], v[6:7], v[151:152]
	v_mul_f64_e32 v[151:152], v[8:9], v[151:152]
	v_fma_f64 v[159:160], v[4:5], v[34:35], v[159:160]
	v_fma_f64 v[34:35], v[2:3], v[34:35], -v[36:37]
	ds_load_b128 v[2:5], v1 offset:1504
	v_add_f64_e32 v[36:37], v[153:154], v[163:164]
	v_add_f64_e32 v[153:154], v[155:156], v[157:158]
	v_fma_f64 v[157:158], v[8:9], v[149:150], v[161:162]
	v_fma_f64 v[149:150], v[6:7], v[149:150], -v[151:152]
	ds_load_b128 v[6:9], v1 offset:1520
	s_wait_loadcnt_dscnt 0x701
	v_mul_f64_e32 v[155:156], v[2:3], v[40:41]
	v_mul_f64_e32 v[40:41], v[4:5], v[40:41]
	v_add_f64_e32 v[34:35], v[36:37], v[34:35]
	v_add_f64_e32 v[36:37], v[153:154], v[159:160]
	s_delay_alu instid0(VALU_DEP_4) | instskip(NEXT) | instid1(VALU_DEP_4)
	v_fma_f64 v[153:154], v[4:5], v[38:39], v[155:156]
	v_fma_f64 v[38:39], v[2:3], v[38:39], -v[40:41]
	ds_load_b128 v[2:5], v1 offset:1536
	v_add_f64_e32 v[40:41], v[34:35], v[149:150]
	v_add_f64_e32 v[149:150], v[36:37], v[157:158]
	scratch_load_b128 v[34:37], off, off offset:48
	s_wait_loadcnt_dscnt 0x701
	v_mul_f64_e32 v[151:152], v[6:7], v[147:148]
	v_mul_f64_e32 v[147:148], v[8:9], v[147:148]
	v_add_f64_e32 v[38:39], v[40:41], v[38:39]
	v_add_f64_e32 v[40:41], v[149:150], v[153:154]
	s_delay_alu instid0(VALU_DEP_4) | instskip(NEXT) | instid1(VALU_DEP_4)
	v_fma_f64 v[151:152], v[8:9], v[145:146], v[151:152]
	v_fma_f64 v[145:146], v[6:7], v[145:146], -v[147:148]
	ds_load_b128 v[6:9], v1 offset:1552
	s_wait_loadcnt_dscnt 0x601
	v_mul_f64_e32 v[155:156], v[2:3], v[12:13]
	v_mul_f64_e32 v[12:13], v[4:5], v[12:13]
	s_wait_loadcnt_dscnt 0x500
	v_mul_f64_e32 v[147:148], v[6:7], v[16:17]
	v_mul_f64_e32 v[16:17], v[8:9], v[16:17]
	s_delay_alu instid0(VALU_DEP_4) | instskip(NEXT) | instid1(VALU_DEP_4)
	v_fma_f64 v[149:150], v[4:5], v[10:11], v[155:156]
	v_fma_f64 v[10:11], v[2:3], v[10:11], -v[12:13]
	v_add_f64_e32 v[12:13], v[38:39], v[145:146]
	v_add_f64_e32 v[38:39], v[40:41], v[151:152]
	ds_load_b128 v[2:5], v1 offset:1568
	v_fma_f64 v[145:146], v[8:9], v[14:15], v[147:148]
	v_fma_f64 v[14:15], v[6:7], v[14:15], -v[16:17]
	ds_load_b128 v[6:9], v1 offset:1584
	s_wait_loadcnt_dscnt 0x401
	v_mul_f64_e32 v[40:41], v[2:3], v[20:21]
	v_mul_f64_e32 v[20:21], v[4:5], v[20:21]
	v_add_f64_e32 v[10:11], v[12:13], v[10:11]
	v_add_f64_e32 v[12:13], v[38:39], v[149:150]
	s_wait_loadcnt_dscnt 0x300
	v_mul_f64_e32 v[16:17], v[6:7], v[24:25]
	v_mul_f64_e32 v[24:25], v[8:9], v[24:25]
	v_fma_f64 v[38:39], v[4:5], v[18:19], v[40:41]
	v_fma_f64 v[18:19], v[2:3], v[18:19], -v[20:21]
	ds_load_b128 v[2:5], v1 offset:1600
	v_add_f64_e32 v[10:11], v[10:11], v[14:15]
	v_add_f64_e32 v[12:13], v[12:13], v[145:146]
	v_fma_f64 v[16:17], v[8:9], v[22:23], v[16:17]
	v_fma_f64 v[22:23], v[6:7], v[22:23], -v[24:25]
	ds_load_b128 v[6:9], v1 offset:1616
	s_wait_loadcnt_dscnt 0x201
	v_mul_f64_e32 v[14:15], v[2:3], v[28:29]
	v_mul_f64_e32 v[20:21], v[4:5], v[28:29]
	s_wait_loadcnt_dscnt 0x100
	v_mul_f64_e32 v[24:25], v[8:9], v[32:33]
	v_add_f64_e32 v[10:11], v[10:11], v[18:19]
	v_add_f64_e32 v[12:13], v[12:13], v[38:39]
	v_mul_f64_e32 v[18:19], v[6:7], v[32:33]
	v_fma_f64 v[4:5], v[4:5], v[26:27], v[14:15]
	v_fma_f64 v[1:2], v[2:3], v[26:27], -v[20:21]
	v_fma_f64 v[6:7], v[6:7], v[30:31], -v[24:25]
	v_add_f64_e32 v[10:11], v[10:11], v[22:23]
	v_add_f64_e32 v[12:13], v[12:13], v[16:17]
	v_fma_f64 v[8:9], v[8:9], v[30:31], v[18:19]
	s_delay_alu instid0(VALU_DEP_3) | instskip(NEXT) | instid1(VALU_DEP_3)
	v_add_f64_e32 v[1:2], v[10:11], v[1:2]
	v_add_f64_e32 v[3:4], v[12:13], v[4:5]
	s_delay_alu instid0(VALU_DEP_2) | instskip(NEXT) | instid1(VALU_DEP_2)
	v_add_f64_e32 v[1:2], v[1:2], v[6:7]
	v_add_f64_e32 v[3:4], v[3:4], v[8:9]
	s_wait_loadcnt 0x0
	s_delay_alu instid0(VALU_DEP_2) | instskip(NEXT) | instid1(VALU_DEP_2)
	v_add_f64_e64 v[1:2], v[34:35], -v[1:2]
	v_add_f64_e64 v[3:4], v[36:37], -v[3:4]
	scratch_store_b128 off, v[1:4], off offset:48
	v_cmpx_lt_u32_e32 1, v0
	s_cbranch_execz .LBB114_317
; %bb.316:
	scratch_load_b128 v[1:4], off, s15
	v_mov_b32_e32 v5, 0
	s_delay_alu instid0(VALU_DEP_1)
	v_dual_mov_b32 v6, v5 :: v_dual_mov_b32 v7, v5
	v_mov_b32_e32 v8, v5
	scratch_store_b128 off, v[5:8], off offset:32
	s_wait_loadcnt 0x0
	ds_store_b128 v144, v[1:4]
.LBB114_317:
	s_wait_alu 0xfffe
	s_or_b32 exec_lo, exec_lo, s0
	s_wait_storecnt_dscnt 0x0
	s_barrier_signal -1
	s_barrier_wait -1
	global_inv scope:SCOPE_SE
	s_clause 0x7
	scratch_load_b128 v[2:5], off, off offset:48
	scratch_load_b128 v[6:9], off, off offset:64
	;; [unrolled: 1-line block ×8, first 2 shown]
	v_mov_b32_e32 v1, 0
	s_clause 0x1
	scratch_load_b128 v[34:37], off, off offset:176
	scratch_load_b128 v[149:152], off, off offset:192
	s_mov_b32 s0, exec_lo
	ds_load_b128 v[38:41], v1 offset:848
	ds_load_b128 v[145:148], v1 offset:864
	s_wait_loadcnt_dscnt 0x901
	v_mul_f64_e32 v[153:154], v[40:41], v[4:5]
	v_mul_f64_e32 v[4:5], v[38:39], v[4:5]
	s_wait_loadcnt_dscnt 0x800
	v_mul_f64_e32 v[155:156], v[145:146], v[8:9]
	v_mul_f64_e32 v[8:9], v[147:148], v[8:9]
	s_delay_alu instid0(VALU_DEP_4) | instskip(NEXT) | instid1(VALU_DEP_4)
	v_fma_f64 v[153:154], v[38:39], v[2:3], -v[153:154]
	v_fma_f64 v[157:158], v[40:41], v[2:3], v[4:5]
	ds_load_b128 v[2:5], v1 offset:880
	scratch_load_b128 v[38:41], off, off offset:208
	v_fma_f64 v[155:156], v[147:148], v[6:7], v[155:156]
	v_fma_f64 v[161:162], v[145:146], v[6:7], -v[8:9]
	ds_load_b128 v[6:9], v1 offset:896
	scratch_load_b128 v[145:148], off, off offset:224
	s_wait_loadcnt_dscnt 0x901
	v_mul_f64_e32 v[159:160], v[2:3], v[12:13]
	v_mul_f64_e32 v[12:13], v[4:5], v[12:13]
	s_wait_loadcnt_dscnt 0x800
	v_mul_f64_e32 v[163:164], v[6:7], v[16:17]
	v_mul_f64_e32 v[16:17], v[8:9], v[16:17]
	v_add_f64_e32 v[153:154], 0, v[153:154]
	v_add_f64_e32 v[157:158], 0, v[157:158]
	v_fma_f64 v[159:160], v[4:5], v[10:11], v[159:160]
	v_fma_f64 v[165:166], v[2:3], v[10:11], -v[12:13]
	ds_load_b128 v[2:5], v1 offset:912
	scratch_load_b128 v[10:13], off, off offset:240
	v_add_f64_e32 v[153:154], v[153:154], v[161:162]
	v_add_f64_e32 v[155:156], v[157:158], v[155:156]
	v_fma_f64 v[161:162], v[8:9], v[14:15], v[163:164]
	v_fma_f64 v[163:164], v[6:7], v[14:15], -v[16:17]
	ds_load_b128 v[6:9], v1 offset:928
	scratch_load_b128 v[14:17], off, off offset:256
	s_wait_loadcnt_dscnt 0x901
	v_mul_f64_e32 v[157:158], v[2:3], v[20:21]
	v_mul_f64_e32 v[20:21], v[4:5], v[20:21]
	v_add_f64_e32 v[153:154], v[153:154], v[165:166]
	v_add_f64_e32 v[155:156], v[155:156], v[159:160]
	s_wait_loadcnt_dscnt 0x800
	v_mul_f64_e32 v[159:160], v[6:7], v[24:25]
	v_mul_f64_e32 v[24:25], v[8:9], v[24:25]
	v_fma_f64 v[157:158], v[4:5], v[18:19], v[157:158]
	v_fma_f64 v[165:166], v[2:3], v[18:19], -v[20:21]
	ds_load_b128 v[2:5], v1 offset:944
	scratch_load_b128 v[18:21], off, off offset:272
	v_add_f64_e32 v[153:154], v[153:154], v[163:164]
	v_add_f64_e32 v[155:156], v[155:156], v[161:162]
	v_fma_f64 v[159:160], v[8:9], v[22:23], v[159:160]
	v_fma_f64 v[163:164], v[6:7], v[22:23], -v[24:25]
	ds_load_b128 v[6:9], v1 offset:960
	s_wait_loadcnt_dscnt 0x801
	v_mul_f64_e32 v[161:162], v[2:3], v[28:29]
	v_mul_f64_e32 v[28:29], v[4:5], v[28:29]
	scratch_load_b128 v[22:25], off, off offset:288
	v_add_f64_e32 v[153:154], v[153:154], v[165:166]
	v_add_f64_e32 v[155:156], v[155:156], v[157:158]
	s_wait_loadcnt_dscnt 0x800
	v_mul_f64_e32 v[157:158], v[6:7], v[32:33]
	v_mul_f64_e32 v[32:33], v[8:9], v[32:33]
	v_fma_f64 v[161:162], v[4:5], v[26:27], v[161:162]
	v_fma_f64 v[165:166], v[2:3], v[26:27], -v[28:29]
	ds_load_b128 v[2:5], v1 offset:976
	scratch_load_b128 v[26:29], off, off offset:304
	v_add_f64_e32 v[153:154], v[153:154], v[163:164]
	v_add_f64_e32 v[155:156], v[155:156], v[159:160]
	v_fma_f64 v[157:158], v[8:9], v[30:31], v[157:158]
	v_fma_f64 v[163:164], v[6:7], v[30:31], -v[32:33]
	ds_load_b128 v[6:9], v1 offset:992
	s_wait_loadcnt_dscnt 0x801
	v_mul_f64_e32 v[159:160], v[2:3], v[36:37]
	v_mul_f64_e32 v[36:37], v[4:5], v[36:37]
	scratch_load_b128 v[30:33], off, off offset:320
	v_add_f64_e32 v[153:154], v[153:154], v[165:166]
	v_add_f64_e32 v[155:156], v[155:156], v[161:162]
	s_wait_loadcnt_dscnt 0x800
	v_mul_f64_e32 v[161:162], v[6:7], v[151:152]
	v_mul_f64_e32 v[151:152], v[8:9], v[151:152]
	v_fma_f64 v[159:160], v[4:5], v[34:35], v[159:160]
	v_fma_f64 v[165:166], v[2:3], v[34:35], -v[36:37]
	ds_load_b128 v[2:5], v1 offset:1008
	scratch_load_b128 v[34:37], off, off offset:336
	v_add_f64_e32 v[153:154], v[153:154], v[163:164]
	v_add_f64_e32 v[155:156], v[155:156], v[157:158]
	v_fma_f64 v[161:162], v[8:9], v[149:150], v[161:162]
	v_fma_f64 v[163:164], v[6:7], v[149:150], -v[151:152]
	ds_load_b128 v[6:9], v1 offset:1024
	scratch_load_b128 v[149:152], off, off offset:352
	s_wait_loadcnt_dscnt 0x901
	v_mul_f64_e32 v[157:158], v[2:3], v[40:41]
	v_mul_f64_e32 v[40:41], v[4:5], v[40:41]
	v_add_f64_e32 v[153:154], v[153:154], v[165:166]
	v_add_f64_e32 v[155:156], v[155:156], v[159:160]
	s_wait_loadcnt_dscnt 0x800
	v_mul_f64_e32 v[159:160], v[6:7], v[147:148]
	v_mul_f64_e32 v[147:148], v[8:9], v[147:148]
	v_fma_f64 v[157:158], v[4:5], v[38:39], v[157:158]
	v_fma_f64 v[165:166], v[2:3], v[38:39], -v[40:41]
	ds_load_b128 v[2:5], v1 offset:1040
	scratch_load_b128 v[38:41], off, off offset:368
	v_add_f64_e32 v[153:154], v[153:154], v[163:164]
	v_add_f64_e32 v[155:156], v[155:156], v[161:162]
	v_fma_f64 v[159:160], v[8:9], v[145:146], v[159:160]
	v_fma_f64 v[163:164], v[6:7], v[145:146], -v[147:148]
	ds_load_b128 v[6:9], v1 offset:1056
	s_wait_loadcnt_dscnt 0x801
	v_mul_f64_e32 v[161:162], v[2:3], v[12:13]
	v_mul_f64_e32 v[12:13], v[4:5], v[12:13]
	scratch_load_b128 v[145:148], off, off offset:384
	v_add_f64_e32 v[153:154], v[153:154], v[165:166]
	v_add_f64_e32 v[155:156], v[155:156], v[157:158]
	s_wait_loadcnt_dscnt 0x800
	v_mul_f64_e32 v[157:158], v[6:7], v[16:17]
	v_mul_f64_e32 v[16:17], v[8:9], v[16:17]
	v_fma_f64 v[161:162], v[4:5], v[10:11], v[161:162]
	v_fma_f64 v[165:166], v[2:3], v[10:11], -v[12:13]
	ds_load_b128 v[2:5], v1 offset:1072
	scratch_load_b128 v[10:13], off, off offset:400
	v_add_f64_e32 v[153:154], v[153:154], v[163:164]
	v_add_f64_e32 v[155:156], v[155:156], v[159:160]
	v_fma_f64 v[157:158], v[8:9], v[14:15], v[157:158]
	v_fma_f64 v[163:164], v[6:7], v[14:15], -v[16:17]
	ds_load_b128 v[6:9], v1 offset:1088
	s_wait_loadcnt_dscnt 0x801
	v_mul_f64_e32 v[159:160], v[2:3], v[20:21]
	v_mul_f64_e32 v[20:21], v[4:5], v[20:21]
	scratch_load_b128 v[14:17], off, off offset:416
	;; [unrolled: 18-line block ×14, first 2 shown]
	v_add_f64_e32 v[153:154], v[153:154], v[165:166]
	v_add_f64_e32 v[155:156], v[155:156], v[161:162]
	s_wait_loadcnt_dscnt 0x800
	v_mul_f64_e32 v[161:162], v[6:7], v[151:152]
	v_mul_f64_e32 v[151:152], v[8:9], v[151:152]
	v_fma_f64 v[159:160], v[4:5], v[34:35], v[159:160]
	v_fma_f64 v[165:166], v[2:3], v[34:35], -v[36:37]
	ds_load_b128 v[2:5], v1 offset:1488
	scratch_load_b128 v[34:37], off, off offset:816
	v_add_f64_e32 v[153:154], v[153:154], v[163:164]
	v_add_f64_e32 v[155:156], v[155:156], v[157:158]
	v_fma_f64 v[161:162], v[8:9], v[149:150], v[161:162]
	v_fma_f64 v[149:150], v[6:7], v[149:150], -v[151:152]
	ds_load_b128 v[6:9], v1 offset:1504
	s_wait_loadcnt_dscnt 0x801
	v_mul_f64_e32 v[157:158], v[2:3], v[40:41]
	v_mul_f64_e32 v[40:41], v[4:5], v[40:41]
	v_add_f64_e32 v[151:152], v[153:154], v[165:166]
	v_add_f64_e32 v[153:154], v[155:156], v[159:160]
	s_wait_loadcnt_dscnt 0x700
	v_mul_f64_e32 v[155:156], v[6:7], v[147:148]
	v_mul_f64_e32 v[147:148], v[8:9], v[147:148]
	v_fma_f64 v[157:158], v[4:5], v[38:39], v[157:158]
	v_fma_f64 v[38:39], v[2:3], v[38:39], -v[40:41]
	ds_load_b128 v[2:5], v1 offset:1520
	v_add_f64_e32 v[40:41], v[151:152], v[149:150]
	v_add_f64_e32 v[149:150], v[153:154], v[161:162]
	v_fma_f64 v[153:154], v[8:9], v[145:146], v[155:156]
	v_fma_f64 v[145:146], v[6:7], v[145:146], -v[147:148]
	ds_load_b128 v[6:9], v1 offset:1536
	s_wait_loadcnt_dscnt 0x500
	v_mul_f64_e32 v[155:156], v[6:7], v[16:17]
	v_mul_f64_e32 v[16:17], v[8:9], v[16:17]
	v_add_f64_e32 v[147:148], v[40:41], v[38:39]
	v_add_f64_e32 v[149:150], v[149:150], v[157:158]
	scratch_load_b128 v[38:41], off, off offset:32
	v_mul_f64_e32 v[151:152], v[2:3], v[12:13]
	v_mul_f64_e32 v[12:13], v[4:5], v[12:13]
	s_delay_alu instid0(VALU_DEP_2) | instskip(NEXT) | instid1(VALU_DEP_2)
	v_fma_f64 v[151:152], v[4:5], v[10:11], v[151:152]
	v_fma_f64 v[10:11], v[2:3], v[10:11], -v[12:13]
	v_add_f64_e32 v[12:13], v[147:148], v[145:146]
	v_add_f64_e32 v[145:146], v[149:150], v[153:154]
	ds_load_b128 v[2:5], v1 offset:1552
	v_fma_f64 v[149:150], v[8:9], v[14:15], v[155:156]
	v_fma_f64 v[14:15], v[6:7], v[14:15], -v[16:17]
	ds_load_b128 v[6:9], v1 offset:1568
	s_wait_loadcnt_dscnt 0x501
	v_mul_f64_e32 v[147:148], v[2:3], v[20:21]
	v_mul_f64_e32 v[20:21], v[4:5], v[20:21]
	s_wait_loadcnt_dscnt 0x400
	v_mul_f64_e32 v[16:17], v[6:7], v[24:25]
	v_mul_f64_e32 v[24:25], v[8:9], v[24:25]
	v_add_f64_e32 v[10:11], v[12:13], v[10:11]
	v_add_f64_e32 v[12:13], v[145:146], v[151:152]
	v_fma_f64 v[145:146], v[4:5], v[18:19], v[147:148]
	v_fma_f64 v[18:19], v[2:3], v[18:19], -v[20:21]
	ds_load_b128 v[2:5], v1 offset:1584
	v_fma_f64 v[16:17], v[8:9], v[22:23], v[16:17]
	v_fma_f64 v[22:23], v[6:7], v[22:23], -v[24:25]
	ds_load_b128 v[6:9], v1 offset:1600
	v_add_f64_e32 v[10:11], v[10:11], v[14:15]
	v_add_f64_e32 v[12:13], v[12:13], v[149:150]
	s_wait_loadcnt_dscnt 0x301
	v_mul_f64_e32 v[14:15], v[2:3], v[28:29]
	v_mul_f64_e32 v[20:21], v[4:5], v[28:29]
	s_wait_loadcnt_dscnt 0x200
	v_mul_f64_e32 v[24:25], v[8:9], v[32:33]
	v_add_f64_e32 v[10:11], v[10:11], v[18:19]
	v_add_f64_e32 v[12:13], v[12:13], v[145:146]
	v_mul_f64_e32 v[18:19], v[6:7], v[32:33]
	v_fma_f64 v[14:15], v[4:5], v[26:27], v[14:15]
	v_fma_f64 v[20:21], v[2:3], v[26:27], -v[20:21]
	ds_load_b128 v[2:5], v1 offset:1616
	v_fma_f64 v[6:7], v[6:7], v[30:31], -v[24:25]
	v_add_f64_e32 v[10:11], v[10:11], v[22:23]
	v_add_f64_e32 v[12:13], v[12:13], v[16:17]
	s_wait_loadcnt_dscnt 0x100
	v_mul_f64_e32 v[16:17], v[2:3], v[36:37]
	v_mul_f64_e32 v[22:23], v[4:5], v[36:37]
	v_fma_f64 v[8:9], v[8:9], v[30:31], v[18:19]
	v_add_f64_e32 v[10:11], v[10:11], v[20:21]
	v_add_f64_e32 v[12:13], v[12:13], v[14:15]
	v_fma_f64 v[4:5], v[4:5], v[34:35], v[16:17]
	v_fma_f64 v[2:3], v[2:3], v[34:35], -v[22:23]
	s_delay_alu instid0(VALU_DEP_4) | instskip(NEXT) | instid1(VALU_DEP_4)
	v_add_f64_e32 v[6:7], v[10:11], v[6:7]
	v_add_f64_e32 v[8:9], v[12:13], v[8:9]
	s_delay_alu instid0(VALU_DEP_2) | instskip(NEXT) | instid1(VALU_DEP_2)
	v_add_f64_e32 v[2:3], v[6:7], v[2:3]
	v_add_f64_e32 v[4:5], v[8:9], v[4:5]
	s_wait_loadcnt 0x0
	s_delay_alu instid0(VALU_DEP_2) | instskip(NEXT) | instid1(VALU_DEP_2)
	v_add_f64_e64 v[2:3], v[38:39], -v[2:3]
	v_add_f64_e64 v[4:5], v[40:41], -v[4:5]
	scratch_store_b128 off, v[2:5], off offset:32
	v_cmpx_ne_u32_e32 0, v0
	s_cbranch_execz .LBB114_319
; %bb.318:
	scratch_load_b128 v[5:8], off, off offset:16
	v_dual_mov_b32 v2, v1 :: v_dual_mov_b32 v3, v1
	v_mov_b32_e32 v4, v1
	scratch_store_b128 off, v[1:4], off offset:16
	s_wait_loadcnt 0x0
	ds_store_b128 v144, v[5:8]
.LBB114_319:
	s_wait_alu 0xfffe
	s_or_b32 exec_lo, exec_lo, s0
	s_wait_storecnt_dscnt 0x0
	s_barrier_signal -1
	s_barrier_wait -1
	global_inv scope:SCOPE_SE
	s_clause 0x7
	scratch_load_b128 v[2:5], off, off offset:32
	scratch_load_b128 v[6:9], off, off offset:48
	;; [unrolled: 1-line block ×8, first 2 shown]
	ds_load_b128 v[38:41], v1 offset:832
	ds_load_b128 v[144:147], v1 offset:848
	s_clause 0x1
	scratch_load_b128 v[34:37], off, off offset:160
	scratch_load_b128 v[148:151], off, off offset:176
	s_and_b32 vcc_lo, exec_lo, s12
	s_wait_loadcnt_dscnt 0x901
	v_mul_f64_e32 v[152:153], v[40:41], v[4:5]
	v_mul_f64_e32 v[4:5], v[38:39], v[4:5]
	s_wait_loadcnt_dscnt 0x800
	v_mul_f64_e32 v[154:155], v[144:145], v[8:9]
	v_mul_f64_e32 v[8:9], v[146:147], v[8:9]
	s_delay_alu instid0(VALU_DEP_4) | instskip(NEXT) | instid1(VALU_DEP_4)
	v_fma_f64 v[152:153], v[38:39], v[2:3], -v[152:153]
	v_fma_f64 v[156:157], v[40:41], v[2:3], v[4:5]
	ds_load_b128 v[2:5], v1 offset:864
	scratch_load_b128 v[38:41], off, off offset:192
	v_fma_f64 v[154:155], v[146:147], v[6:7], v[154:155]
	v_fma_f64 v[160:161], v[144:145], v[6:7], -v[8:9]
	ds_load_b128 v[6:9], v1 offset:880
	scratch_load_b128 v[144:147], off, off offset:208
	s_wait_loadcnt_dscnt 0x901
	v_mul_f64_e32 v[158:159], v[2:3], v[12:13]
	v_mul_f64_e32 v[12:13], v[4:5], v[12:13]
	s_wait_loadcnt_dscnt 0x800
	v_mul_f64_e32 v[162:163], v[6:7], v[16:17]
	v_mul_f64_e32 v[16:17], v[8:9], v[16:17]
	v_add_f64_e32 v[152:153], 0, v[152:153]
	v_add_f64_e32 v[156:157], 0, v[156:157]
	v_fma_f64 v[158:159], v[4:5], v[10:11], v[158:159]
	v_fma_f64 v[164:165], v[2:3], v[10:11], -v[12:13]
	ds_load_b128 v[2:5], v1 offset:896
	scratch_load_b128 v[10:13], off, off offset:224
	v_add_f64_e32 v[152:153], v[152:153], v[160:161]
	v_add_f64_e32 v[154:155], v[156:157], v[154:155]
	v_fma_f64 v[160:161], v[8:9], v[14:15], v[162:163]
	v_fma_f64 v[162:163], v[6:7], v[14:15], -v[16:17]
	ds_load_b128 v[6:9], v1 offset:912
	scratch_load_b128 v[14:17], off, off offset:240
	s_wait_loadcnt_dscnt 0x901
	v_mul_f64_e32 v[156:157], v[2:3], v[20:21]
	v_mul_f64_e32 v[20:21], v[4:5], v[20:21]
	v_add_f64_e32 v[152:153], v[152:153], v[164:165]
	v_add_f64_e32 v[154:155], v[154:155], v[158:159]
	s_wait_loadcnt_dscnt 0x800
	v_mul_f64_e32 v[158:159], v[6:7], v[24:25]
	v_mul_f64_e32 v[24:25], v[8:9], v[24:25]
	v_fma_f64 v[156:157], v[4:5], v[18:19], v[156:157]
	v_fma_f64 v[164:165], v[2:3], v[18:19], -v[20:21]
	ds_load_b128 v[2:5], v1 offset:928
	scratch_load_b128 v[18:21], off, off offset:256
	v_add_f64_e32 v[152:153], v[152:153], v[162:163]
	v_add_f64_e32 v[154:155], v[154:155], v[160:161]
	v_fma_f64 v[158:159], v[8:9], v[22:23], v[158:159]
	v_fma_f64 v[162:163], v[6:7], v[22:23], -v[24:25]
	ds_load_b128 v[6:9], v1 offset:944
	s_wait_loadcnt_dscnt 0x801
	v_mul_f64_e32 v[160:161], v[2:3], v[28:29]
	v_mul_f64_e32 v[28:29], v[4:5], v[28:29]
	scratch_load_b128 v[22:25], off, off offset:272
	v_add_f64_e32 v[152:153], v[152:153], v[164:165]
	v_add_f64_e32 v[154:155], v[154:155], v[156:157]
	s_wait_loadcnt_dscnt 0x800
	v_mul_f64_e32 v[156:157], v[6:7], v[32:33]
	v_mul_f64_e32 v[32:33], v[8:9], v[32:33]
	v_fma_f64 v[160:161], v[4:5], v[26:27], v[160:161]
	v_fma_f64 v[164:165], v[2:3], v[26:27], -v[28:29]
	ds_load_b128 v[2:5], v1 offset:960
	scratch_load_b128 v[26:29], off, off offset:288
	v_add_f64_e32 v[152:153], v[152:153], v[162:163]
	v_add_f64_e32 v[154:155], v[154:155], v[158:159]
	v_fma_f64 v[156:157], v[8:9], v[30:31], v[156:157]
	v_fma_f64 v[162:163], v[6:7], v[30:31], -v[32:33]
	ds_load_b128 v[6:9], v1 offset:976
	s_wait_loadcnt_dscnt 0x801
	v_mul_f64_e32 v[158:159], v[2:3], v[36:37]
	v_mul_f64_e32 v[36:37], v[4:5], v[36:37]
	scratch_load_b128 v[30:33], off, off offset:304
	v_add_f64_e32 v[152:153], v[152:153], v[164:165]
	v_add_f64_e32 v[154:155], v[154:155], v[160:161]
	s_wait_loadcnt_dscnt 0x800
	v_mul_f64_e32 v[160:161], v[6:7], v[150:151]
	v_mul_f64_e32 v[150:151], v[8:9], v[150:151]
	v_fma_f64 v[158:159], v[4:5], v[34:35], v[158:159]
	v_fma_f64 v[164:165], v[2:3], v[34:35], -v[36:37]
	ds_load_b128 v[2:5], v1 offset:992
	scratch_load_b128 v[34:37], off, off offset:320
	v_add_f64_e32 v[152:153], v[152:153], v[162:163]
	v_add_f64_e32 v[154:155], v[154:155], v[156:157]
	v_fma_f64 v[160:161], v[8:9], v[148:149], v[160:161]
	v_fma_f64 v[162:163], v[6:7], v[148:149], -v[150:151]
	ds_load_b128 v[6:9], v1 offset:1008
	scratch_load_b128 v[148:151], off, off offset:336
	s_wait_loadcnt_dscnt 0x901
	v_mul_f64_e32 v[156:157], v[2:3], v[40:41]
	v_mul_f64_e32 v[40:41], v[4:5], v[40:41]
	v_add_f64_e32 v[152:153], v[152:153], v[164:165]
	v_add_f64_e32 v[154:155], v[154:155], v[158:159]
	s_wait_loadcnt_dscnt 0x800
	v_mul_f64_e32 v[158:159], v[6:7], v[146:147]
	v_mul_f64_e32 v[146:147], v[8:9], v[146:147]
	v_fma_f64 v[156:157], v[4:5], v[38:39], v[156:157]
	v_fma_f64 v[164:165], v[2:3], v[38:39], -v[40:41]
	ds_load_b128 v[2:5], v1 offset:1024
	scratch_load_b128 v[38:41], off, off offset:352
	v_add_f64_e32 v[152:153], v[152:153], v[162:163]
	v_add_f64_e32 v[154:155], v[154:155], v[160:161]
	v_fma_f64 v[158:159], v[8:9], v[144:145], v[158:159]
	v_fma_f64 v[162:163], v[6:7], v[144:145], -v[146:147]
	ds_load_b128 v[6:9], v1 offset:1040
	s_wait_loadcnt_dscnt 0x801
	v_mul_f64_e32 v[160:161], v[2:3], v[12:13]
	v_mul_f64_e32 v[12:13], v[4:5], v[12:13]
	scratch_load_b128 v[144:147], off, off offset:368
	v_add_f64_e32 v[152:153], v[152:153], v[164:165]
	v_add_f64_e32 v[154:155], v[154:155], v[156:157]
	s_wait_loadcnt_dscnt 0x800
	v_mul_f64_e32 v[156:157], v[6:7], v[16:17]
	v_mul_f64_e32 v[16:17], v[8:9], v[16:17]
	v_fma_f64 v[160:161], v[4:5], v[10:11], v[160:161]
	v_fma_f64 v[164:165], v[2:3], v[10:11], -v[12:13]
	ds_load_b128 v[2:5], v1 offset:1056
	scratch_load_b128 v[10:13], off, off offset:384
	v_add_f64_e32 v[152:153], v[152:153], v[162:163]
	v_add_f64_e32 v[154:155], v[154:155], v[158:159]
	v_fma_f64 v[156:157], v[8:9], v[14:15], v[156:157]
	v_fma_f64 v[162:163], v[6:7], v[14:15], -v[16:17]
	ds_load_b128 v[6:9], v1 offset:1072
	s_wait_loadcnt_dscnt 0x801
	v_mul_f64_e32 v[158:159], v[2:3], v[20:21]
	v_mul_f64_e32 v[20:21], v[4:5], v[20:21]
	scratch_load_b128 v[14:17], off, off offset:400
	;; [unrolled: 18-line block ×6, first 2 shown]
	v_add_f64_e32 v[152:153], v[152:153], v[164:165]
	v_add_f64_e32 v[154:155], v[154:155], v[158:159]
	s_wait_loadcnt_dscnt 0x800
	v_mul_f64_e32 v[158:159], v[6:7], v[16:17]
	v_mul_f64_e32 v[16:17], v[8:9], v[16:17]
	v_fma_f64 v[156:157], v[4:5], v[10:11], v[156:157]
	v_fma_f64 v[164:165], v[2:3], v[10:11], -v[12:13]
	scratch_load_b128 v[10:13], off, off offset:544
	ds_load_b128 v[2:5], v1 offset:1216
	v_add_f64_e32 v[152:153], v[152:153], v[162:163]
	v_add_f64_e32 v[154:155], v[154:155], v[160:161]
	v_fma_f64 v[158:159], v[8:9], v[14:15], v[158:159]
	v_fma_f64 v[162:163], v[6:7], v[14:15], -v[16:17]
	ds_load_b128 v[6:9], v1 offset:1232
	s_wait_loadcnt_dscnt 0x801
	v_mul_f64_e32 v[160:161], v[2:3], v[20:21]
	v_mul_f64_e32 v[20:21], v[4:5], v[20:21]
	scratch_load_b128 v[14:17], off, off offset:560
	v_add_f64_e32 v[152:153], v[152:153], v[164:165]
	v_add_f64_e32 v[154:155], v[154:155], v[156:157]
	s_wait_loadcnt_dscnt 0x800
	v_mul_f64_e32 v[156:157], v[6:7], v[24:25]
	v_mul_f64_e32 v[24:25], v[8:9], v[24:25]
	v_fma_f64 v[160:161], v[4:5], v[18:19], v[160:161]
	v_fma_f64 v[164:165], v[2:3], v[18:19], -v[20:21]
	ds_load_b128 v[2:5], v1 offset:1248
	scratch_load_b128 v[18:21], off, off offset:576
	v_add_f64_e32 v[152:153], v[152:153], v[162:163]
	v_add_f64_e32 v[154:155], v[154:155], v[158:159]
	v_fma_f64 v[156:157], v[8:9], v[22:23], v[156:157]
	v_fma_f64 v[162:163], v[6:7], v[22:23], -v[24:25]
	ds_load_b128 v[6:9], v1 offset:1264
	s_wait_loadcnt_dscnt 0x801
	v_mul_f64_e32 v[158:159], v[2:3], v[28:29]
	v_mul_f64_e32 v[28:29], v[4:5], v[28:29]
	scratch_load_b128 v[22:25], off, off offset:592
	v_add_f64_e32 v[152:153], v[152:153], v[164:165]
	v_add_f64_e32 v[154:155], v[154:155], v[160:161]
	s_wait_loadcnt_dscnt 0x800
	v_mul_f64_e32 v[160:161], v[6:7], v[32:33]
	v_mul_f64_e32 v[32:33], v[8:9], v[32:33]
	v_fma_f64 v[158:159], v[4:5], v[26:27], v[158:159]
	v_fma_f64 v[164:165], v[2:3], v[26:27], -v[28:29]
	ds_load_b128 v[2:5], v1 offset:1280
	scratch_load_b128 v[26:29], off, off offset:608
	v_add_f64_e32 v[152:153], v[152:153], v[162:163]
	v_add_f64_e32 v[154:155], v[154:155], v[156:157]
	v_fma_f64 v[160:161], v[8:9], v[30:31], v[160:161]
	v_fma_f64 v[162:163], v[6:7], v[30:31], -v[32:33]
	ds_load_b128 v[6:9], v1 offset:1296
	s_wait_loadcnt_dscnt 0x801
	v_mul_f64_e32 v[156:157], v[2:3], v[36:37]
	v_mul_f64_e32 v[36:37], v[4:5], v[36:37]
	scratch_load_b128 v[30:33], off, off offset:624
	v_add_f64_e32 v[152:153], v[152:153], v[164:165]
	v_add_f64_e32 v[154:155], v[154:155], v[158:159]
	s_wait_loadcnt_dscnt 0x800
	v_mul_f64_e32 v[158:159], v[6:7], v[150:151]
	v_mul_f64_e32 v[150:151], v[8:9], v[150:151]
	v_fma_f64 v[156:157], v[4:5], v[34:35], v[156:157]
	v_fma_f64 v[164:165], v[2:3], v[34:35], -v[36:37]
	ds_load_b128 v[2:5], v1 offset:1312
	scratch_load_b128 v[34:37], off, off offset:640
	v_add_f64_e32 v[152:153], v[152:153], v[162:163]
	v_add_f64_e32 v[154:155], v[154:155], v[160:161]
	v_fma_f64 v[158:159], v[8:9], v[148:149], v[158:159]
	v_fma_f64 v[162:163], v[6:7], v[148:149], -v[150:151]
	ds_load_b128 v[6:9], v1 offset:1328
	s_wait_loadcnt_dscnt 0x801
	v_mul_f64_e32 v[160:161], v[2:3], v[40:41]
	v_mul_f64_e32 v[40:41], v[4:5], v[40:41]
	scratch_load_b128 v[148:151], off, off offset:656
	v_add_f64_e32 v[152:153], v[152:153], v[164:165]
	v_add_f64_e32 v[154:155], v[154:155], v[156:157]
	s_wait_loadcnt_dscnt 0x800
	v_mul_f64_e32 v[156:157], v[6:7], v[146:147]
	v_mul_f64_e32 v[146:147], v[8:9], v[146:147]
	v_fma_f64 v[160:161], v[4:5], v[38:39], v[160:161]
	v_fma_f64 v[164:165], v[2:3], v[38:39], -v[40:41]
	ds_load_b128 v[2:5], v1 offset:1344
	scratch_load_b128 v[38:41], off, off offset:672
	v_add_f64_e32 v[152:153], v[152:153], v[162:163]
	v_add_f64_e32 v[154:155], v[154:155], v[158:159]
	v_fma_f64 v[156:157], v[8:9], v[144:145], v[156:157]
	v_fma_f64 v[162:163], v[6:7], v[144:145], -v[146:147]
	ds_load_b128 v[6:9], v1 offset:1360
	s_wait_loadcnt_dscnt 0x801
	v_mul_f64_e32 v[158:159], v[2:3], v[12:13]
	v_mul_f64_e32 v[12:13], v[4:5], v[12:13]
	scratch_load_b128 v[144:147], off, off offset:688
	v_add_f64_e32 v[152:153], v[152:153], v[164:165]
	v_add_f64_e32 v[154:155], v[154:155], v[160:161]
	s_wait_loadcnt_dscnt 0x800
	v_mul_f64_e32 v[160:161], v[6:7], v[16:17]
	v_mul_f64_e32 v[16:17], v[8:9], v[16:17]
	v_fma_f64 v[158:159], v[4:5], v[10:11], v[158:159]
	v_fma_f64 v[164:165], v[2:3], v[10:11], -v[12:13]
	scratch_load_b128 v[10:13], off, off offset:704
	ds_load_b128 v[2:5], v1 offset:1376
	v_add_f64_e32 v[152:153], v[152:153], v[162:163]
	v_add_f64_e32 v[154:155], v[154:155], v[156:157]
	v_fma_f64 v[160:161], v[8:9], v[14:15], v[160:161]
	v_fma_f64 v[162:163], v[6:7], v[14:15], -v[16:17]
	ds_load_b128 v[6:9], v1 offset:1392
	s_wait_loadcnt_dscnt 0x801
	v_mul_f64_e32 v[156:157], v[2:3], v[20:21]
	v_mul_f64_e32 v[20:21], v[4:5], v[20:21]
	scratch_load_b128 v[14:17], off, off offset:720
	v_add_f64_e32 v[152:153], v[152:153], v[164:165]
	v_add_f64_e32 v[154:155], v[154:155], v[158:159]
	s_wait_loadcnt_dscnt 0x800
	v_mul_f64_e32 v[158:159], v[6:7], v[24:25]
	v_mul_f64_e32 v[24:25], v[8:9], v[24:25]
	v_fma_f64 v[156:157], v[4:5], v[18:19], v[156:157]
	v_fma_f64 v[164:165], v[2:3], v[18:19], -v[20:21]
	ds_load_b128 v[2:5], v1 offset:1408
	scratch_load_b128 v[18:21], off, off offset:736
	v_add_f64_e32 v[152:153], v[152:153], v[162:163]
	v_add_f64_e32 v[154:155], v[154:155], v[160:161]
	v_fma_f64 v[158:159], v[8:9], v[22:23], v[158:159]
	v_fma_f64 v[162:163], v[6:7], v[22:23], -v[24:25]
	ds_load_b128 v[6:9], v1 offset:1424
	s_wait_loadcnt_dscnt 0x801
	v_mul_f64_e32 v[160:161], v[2:3], v[28:29]
	v_mul_f64_e32 v[28:29], v[4:5], v[28:29]
	scratch_load_b128 v[22:25], off, off offset:752
	v_add_f64_e32 v[152:153], v[152:153], v[164:165]
	v_add_f64_e32 v[154:155], v[154:155], v[156:157]
	s_wait_loadcnt_dscnt 0x800
	v_mul_f64_e32 v[156:157], v[6:7], v[32:33]
	v_mul_f64_e32 v[32:33], v[8:9], v[32:33]
	v_fma_f64 v[160:161], v[4:5], v[26:27], v[160:161]
	v_fma_f64 v[164:165], v[2:3], v[26:27], -v[28:29]
	ds_load_b128 v[2:5], v1 offset:1440
	scratch_load_b128 v[26:29], off, off offset:768
	v_add_f64_e32 v[152:153], v[152:153], v[162:163]
	v_add_f64_e32 v[154:155], v[154:155], v[158:159]
	v_fma_f64 v[156:157], v[8:9], v[30:31], v[156:157]
	v_fma_f64 v[162:163], v[6:7], v[30:31], -v[32:33]
	ds_load_b128 v[6:9], v1 offset:1456
	s_wait_loadcnt_dscnt 0x801
	v_mul_f64_e32 v[158:159], v[2:3], v[36:37]
	v_mul_f64_e32 v[36:37], v[4:5], v[36:37]
	scratch_load_b128 v[30:33], off, off offset:784
	v_add_f64_e32 v[152:153], v[152:153], v[164:165]
	v_add_f64_e32 v[154:155], v[154:155], v[160:161]
	s_wait_loadcnt_dscnt 0x800
	v_mul_f64_e32 v[160:161], v[6:7], v[150:151]
	v_mul_f64_e32 v[150:151], v[8:9], v[150:151]
	v_fma_f64 v[158:159], v[4:5], v[34:35], v[158:159]
	v_fma_f64 v[164:165], v[2:3], v[34:35], -v[36:37]
	ds_load_b128 v[2:5], v1 offset:1472
	scratch_load_b128 v[34:37], off, off offset:800
	v_add_f64_e32 v[152:153], v[152:153], v[162:163]
	v_add_f64_e32 v[154:155], v[154:155], v[156:157]
	v_fma_f64 v[160:161], v[8:9], v[148:149], v[160:161]
	v_fma_f64 v[162:163], v[6:7], v[148:149], -v[150:151]
	ds_load_b128 v[6:9], v1 offset:1488
	s_wait_loadcnt_dscnt 0x801
	v_mul_f64_e32 v[156:157], v[2:3], v[40:41]
	v_mul_f64_e32 v[40:41], v[4:5], v[40:41]
	scratch_load_b128 v[148:151], off, off offset:816
	v_add_f64_e32 v[152:153], v[152:153], v[164:165]
	v_add_f64_e32 v[154:155], v[154:155], v[158:159]
	v_fma_f64 v[156:157], v[4:5], v[38:39], v[156:157]
	v_fma_f64 v[38:39], v[2:3], v[38:39], -v[40:41]
	ds_load_b128 v[2:5], v1 offset:1504
	v_add_f64_e32 v[40:41], v[152:153], v[162:163]
	v_add_f64_e32 v[152:153], v[154:155], v[160:161]
	s_wait_loadcnt_dscnt 0x700
	v_mul_f64_e32 v[154:155], v[2:3], v[12:13]
	v_mul_f64_e32 v[12:13], v[4:5], v[12:13]
	s_delay_alu instid0(VALU_DEP_4) | instskip(NEXT) | instid1(VALU_DEP_4)
	v_add_f64_e32 v[38:39], v[40:41], v[38:39]
	v_add_f64_e32 v[40:41], v[152:153], v[156:157]
	s_delay_alu instid0(VALU_DEP_4) | instskip(NEXT) | instid1(VALU_DEP_4)
	v_fma_f64 v[152:153], v[4:5], v[10:11], v[154:155]
	v_fma_f64 v[154:155], v[2:3], v[10:11], -v[12:13]
	scratch_load_b128 v[10:13], off, off offset:16
	v_mul_f64_e32 v[158:159], v[6:7], v[146:147]
	v_mul_f64_e32 v[146:147], v[8:9], v[146:147]
	ds_load_b128 v[2:5], v1 offset:1536
	v_fma_f64 v[158:159], v[8:9], v[144:145], v[158:159]
	v_fma_f64 v[144:145], v[6:7], v[144:145], -v[146:147]
	ds_load_b128 v[6:9], v1 offset:1520
	s_wait_loadcnt_dscnt 0x700
	v_mul_f64_e32 v[146:147], v[6:7], v[16:17]
	v_mul_f64_e32 v[16:17], v[8:9], v[16:17]
	v_add_f64_e32 v[40:41], v[40:41], v[158:159]
	v_add_f64_e32 v[38:39], v[38:39], v[144:145]
	s_wait_loadcnt 0x6
	v_mul_f64_e32 v[144:145], v[2:3], v[20:21]
	v_mul_f64_e32 v[20:21], v[4:5], v[20:21]
	v_fma_f64 v[146:147], v[8:9], v[14:15], v[146:147]
	v_fma_f64 v[14:15], v[6:7], v[14:15], -v[16:17]
	ds_load_b128 v[6:9], v1 offset:1552
	v_add_f64_e32 v[16:17], v[38:39], v[154:155]
	v_add_f64_e32 v[38:39], v[40:41], v[152:153]
	v_fma_f64 v[144:145], v[4:5], v[18:19], v[144:145]
	v_fma_f64 v[18:19], v[2:3], v[18:19], -v[20:21]
	ds_load_b128 v[2:5], v1 offset:1568
	s_wait_loadcnt_dscnt 0x501
	v_mul_f64_e32 v[40:41], v[6:7], v[24:25]
	v_mul_f64_e32 v[24:25], v[8:9], v[24:25]
	s_wait_loadcnt_dscnt 0x400
	v_mul_f64_e32 v[20:21], v[2:3], v[28:29]
	v_mul_f64_e32 v[28:29], v[4:5], v[28:29]
	v_add_f64_e32 v[14:15], v[16:17], v[14:15]
	v_add_f64_e32 v[16:17], v[38:39], v[146:147]
	v_fma_f64 v[38:39], v[8:9], v[22:23], v[40:41]
	v_fma_f64 v[22:23], v[6:7], v[22:23], -v[24:25]
	ds_load_b128 v[6:9], v1 offset:1584
	v_fma_f64 v[20:21], v[4:5], v[26:27], v[20:21]
	v_fma_f64 v[26:27], v[2:3], v[26:27], -v[28:29]
	ds_load_b128 v[2:5], v1 offset:1600
	s_wait_loadcnt_dscnt 0x301
	v_mul_f64_e32 v[24:25], v[8:9], v[32:33]
	v_add_f64_e32 v[14:15], v[14:15], v[18:19]
	v_add_f64_e32 v[16:17], v[16:17], v[144:145]
	v_mul_f64_e32 v[18:19], v[6:7], v[32:33]
	s_wait_loadcnt_dscnt 0x200
	v_mul_f64_e32 v[28:29], v[4:5], v[36:37]
	v_fma_f64 v[24:25], v[6:7], v[30:31], -v[24:25]
	v_add_f64_e32 v[14:15], v[14:15], v[22:23]
	v_add_f64_e32 v[16:17], v[16:17], v[38:39]
	v_mul_f64_e32 v[22:23], v[2:3], v[36:37]
	v_fma_f64 v[18:19], v[8:9], v[30:31], v[18:19]
	ds_load_b128 v[6:9], v1 offset:1616
	v_fma_f64 v[2:3], v[2:3], v[34:35], -v[28:29]
	s_wait_loadcnt_dscnt 0x100
	v_mul_f64_e32 v[0:1], v[6:7], v[150:151]
	v_add_f64_e32 v[14:15], v[14:15], v[26:27]
	v_add_f64_e32 v[16:17], v[16:17], v[20:21]
	v_mul_f64_e32 v[20:21], v[8:9], v[150:151]
	v_fma_f64 v[4:5], v[4:5], v[34:35], v[22:23]
	v_fma_f64 v[0:1], v[8:9], v[148:149], v[0:1]
	v_add_f64_e32 v[14:15], v[14:15], v[24:25]
	v_add_f64_e32 v[16:17], v[16:17], v[18:19]
	v_fma_f64 v[6:7], v[6:7], v[148:149], -v[20:21]
	s_delay_alu instid0(VALU_DEP_3) | instskip(NEXT) | instid1(VALU_DEP_3)
	v_add_f64_e32 v[2:3], v[14:15], v[2:3]
	v_add_f64_e32 v[4:5], v[16:17], v[4:5]
	s_delay_alu instid0(VALU_DEP_2) | instskip(NEXT) | instid1(VALU_DEP_2)
	v_add_f64_e32 v[2:3], v[2:3], v[6:7]
	v_add_f64_e32 v[4:5], v[4:5], v[0:1]
	s_wait_loadcnt 0x0
	s_delay_alu instid0(VALU_DEP_2) | instskip(NEXT) | instid1(VALU_DEP_2)
	v_add_f64_e64 v[0:1], v[10:11], -v[2:3]
	v_add_f64_e64 v[2:3], v[12:13], -v[4:5]
	scratch_store_b128 off, v[0:3], off offset:16
	s_wait_alu 0xfffe
	s_cbranch_vccz .LBB114_420
; %bb.320:
	v_mov_b32_e32 v0, 0
	global_load_b32 v1, v0, s[2:3] offset:196
	s_wait_loadcnt 0x0
	v_cmp_ne_u32_e32 vcc_lo, 50, v1
	s_cbranch_vccz .LBB114_322
; %bb.321:
	v_lshlrev_b32_e32 v1, 4, v1
	s_delay_alu instid0(VALU_DEP_1)
	v_add_nc_u32_e32 v9, 16, v1
	s_clause 0x1
	scratch_load_b128 v[1:4], v9, off offset:-16
	scratch_load_b128 v[5:8], off, s11
	s_wait_loadcnt 0x1
	scratch_store_b128 off, v[1:4], s11
	s_wait_loadcnt 0x0
	scratch_store_b128 v9, v[5:8], off offset:-16
.LBB114_322:
	global_load_b32 v0, v0, s[2:3] offset:192
	s_wait_loadcnt 0x0
	v_cmp_eq_u32_e32 vcc_lo, 49, v0
	s_cbranch_vccnz .LBB114_324
; %bb.323:
	v_lshlrev_b32_e32 v0, 4, v0
	s_delay_alu instid0(VALU_DEP_1)
	v_add_nc_u32_e32 v8, 16, v0
	s_clause 0x1
	scratch_load_b128 v[0:3], v8, off offset:-16
	scratch_load_b128 v[4:7], off, s14
	s_wait_loadcnt 0x1
	scratch_store_b128 off, v[0:3], s14
	s_wait_loadcnt 0x0
	scratch_store_b128 v8, v[4:7], off offset:-16
.LBB114_324:
	v_mov_b32_e32 v0, 0
	global_load_b32 v1, v0, s[2:3] offset:188
	s_wait_loadcnt 0x0
	v_cmp_eq_u32_e32 vcc_lo, 48, v1
	s_cbranch_vccnz .LBB114_326
; %bb.325:
	v_lshlrev_b32_e32 v1, 4, v1
	s_delay_alu instid0(VALU_DEP_1)
	v_add_nc_u32_e32 v9, 16, v1
	s_clause 0x1
	scratch_load_b128 v[1:4], v9, off offset:-16
	scratch_load_b128 v[5:8], off, s16
	s_wait_loadcnt 0x1
	scratch_store_b128 off, v[1:4], s16
	s_wait_loadcnt 0x0
	scratch_store_b128 v9, v[5:8], off offset:-16
.LBB114_326:
	global_load_b32 v0, v0, s[2:3] offset:184
	s_wait_loadcnt 0x0
	v_cmp_eq_u32_e32 vcc_lo, 47, v0
	s_cbranch_vccnz .LBB114_328
; %bb.327:
	v_lshlrev_b32_e32 v0, 4, v0
	s_delay_alu instid0(VALU_DEP_1)
	v_add_nc_u32_e32 v8, 16, v0
	s_clause 0x1
	scratch_load_b128 v[0:3], v8, off offset:-16
	scratch_load_b128 v[4:7], off, s17
	s_wait_loadcnt 0x1
	scratch_store_b128 off, v[0:3], s17
	s_wait_loadcnt 0x0
	scratch_store_b128 v8, v[4:7], off offset:-16
.LBB114_328:
	v_mov_b32_e32 v0, 0
	global_load_b32 v1, v0, s[2:3] offset:180
	s_wait_loadcnt 0x0
	v_cmp_eq_u32_e32 vcc_lo, 46, v1
	s_cbranch_vccnz .LBB114_330
; %bb.329:
	v_lshlrev_b32_e32 v1, 4, v1
	s_delay_alu instid0(VALU_DEP_1)
	v_add_nc_u32_e32 v9, 16, v1
	s_clause 0x1
	scratch_load_b128 v[1:4], v9, off offset:-16
	scratch_load_b128 v[5:8], off, s18
	s_wait_loadcnt 0x1
	scratch_store_b128 off, v[1:4], s18
	s_wait_loadcnt 0x0
	scratch_store_b128 v9, v[5:8], off offset:-16
.LBB114_330:
	;; [unrolled: 33-line block ×24, first 2 shown]
	global_load_b32 v0, v0, s[2:3]
	s_wait_loadcnt 0x0
	v_cmp_eq_u32_e32 vcc_lo, 1, v0
	s_cbranch_vccnz .LBB114_420
; %bb.419:
	v_lshlrev_b32_e32 v0, 4, v0
	s_delay_alu instid0(VALU_DEP_1)
	v_add_nc_u32_e32 v8, 16, v0
	scratch_load_b128 v[0:3], v8, off offset:-16
	scratch_load_b128 v[4:7], off, off offset:16
	s_wait_loadcnt 0x1
	scratch_store_b128 off, v[0:3], off offset:16
	s_wait_loadcnt 0x0
	scratch_store_b128 v8, v[4:7], off offset:-16
.LBB114_420:
	scratch_load_b128 v[0:3], off, off offset:16
	s_wait_loadcnt 0x0
	flat_store_b128 v[42:43], v[0:3]
	scratch_load_b128 v[0:3], off, s15
	s_wait_loadcnt 0x0
	flat_store_b128 v[44:45], v[0:3]
	scratch_load_b128 v[0:3], off, s13
	;; [unrolled: 3-line block ×50, first 2 shown]
	s_wait_loadcnt 0x0
	flat_store_b128 v[142:143], v[0:3]
	s_nop 0
	s_sendmsg sendmsg(MSG_DEALLOC_VGPRS)
	s_endpgm
	.section	.rodata,"a",@progbits
	.p2align	6, 0x0
	.amdhsa_kernel _ZN9rocsolver6v33100L18getri_kernel_smallILi51E19rocblas_complex_numIdEPKPS3_EEvT1_iilPiilS8_bb
		.amdhsa_group_segment_fixed_size 1640
		.amdhsa_private_segment_fixed_size 848
		.amdhsa_kernarg_size 60
		.amdhsa_user_sgpr_count 2
		.amdhsa_user_sgpr_dispatch_ptr 0
		.amdhsa_user_sgpr_queue_ptr 0
		.amdhsa_user_sgpr_kernarg_segment_ptr 1
		.amdhsa_user_sgpr_dispatch_id 0
		.amdhsa_user_sgpr_private_segment_size 0
		.amdhsa_wavefront_size32 1
		.amdhsa_uses_dynamic_stack 0
		.amdhsa_enable_private_segment 1
		.amdhsa_system_sgpr_workgroup_id_x 1
		.amdhsa_system_sgpr_workgroup_id_y 0
		.amdhsa_system_sgpr_workgroup_id_z 0
		.amdhsa_system_sgpr_workgroup_info 0
		.amdhsa_system_vgpr_workitem_id 0
		.amdhsa_next_free_vgpr 167
		.amdhsa_next_free_sgpr 83
		.amdhsa_reserve_vcc 1
		.amdhsa_float_round_mode_32 0
		.amdhsa_float_round_mode_16_64 0
		.amdhsa_float_denorm_mode_32 3
		.amdhsa_float_denorm_mode_16_64 3
		.amdhsa_fp16_overflow 0
		.amdhsa_workgroup_processor_mode 1
		.amdhsa_memory_ordered 1
		.amdhsa_forward_progress 1
		.amdhsa_inst_pref_size 255
		.amdhsa_round_robin_scheduling 0
		.amdhsa_exception_fp_ieee_invalid_op 0
		.amdhsa_exception_fp_denorm_src 0
		.amdhsa_exception_fp_ieee_div_zero 0
		.amdhsa_exception_fp_ieee_overflow 0
		.amdhsa_exception_fp_ieee_underflow 0
		.amdhsa_exception_fp_ieee_inexact 0
		.amdhsa_exception_int_div_zero 0
	.end_amdhsa_kernel
	.section	.text._ZN9rocsolver6v33100L18getri_kernel_smallILi51E19rocblas_complex_numIdEPKPS3_EEvT1_iilPiilS8_bb,"axG",@progbits,_ZN9rocsolver6v33100L18getri_kernel_smallILi51E19rocblas_complex_numIdEPKPS3_EEvT1_iilPiilS8_bb,comdat
.Lfunc_end114:
	.size	_ZN9rocsolver6v33100L18getri_kernel_smallILi51E19rocblas_complex_numIdEPKPS3_EEvT1_iilPiilS8_bb, .Lfunc_end114-_ZN9rocsolver6v33100L18getri_kernel_smallILi51E19rocblas_complex_numIdEPKPS3_EEvT1_iilPiilS8_bb
                                        ; -- End function
	.set _ZN9rocsolver6v33100L18getri_kernel_smallILi51E19rocblas_complex_numIdEPKPS3_EEvT1_iilPiilS8_bb.num_vgpr, 167
	.set _ZN9rocsolver6v33100L18getri_kernel_smallILi51E19rocblas_complex_numIdEPKPS3_EEvT1_iilPiilS8_bb.num_agpr, 0
	.set _ZN9rocsolver6v33100L18getri_kernel_smallILi51E19rocblas_complex_numIdEPKPS3_EEvT1_iilPiilS8_bb.numbered_sgpr, 83
	.set _ZN9rocsolver6v33100L18getri_kernel_smallILi51E19rocblas_complex_numIdEPKPS3_EEvT1_iilPiilS8_bb.num_named_barrier, 0
	.set _ZN9rocsolver6v33100L18getri_kernel_smallILi51E19rocblas_complex_numIdEPKPS3_EEvT1_iilPiilS8_bb.private_seg_size, 848
	.set _ZN9rocsolver6v33100L18getri_kernel_smallILi51E19rocblas_complex_numIdEPKPS3_EEvT1_iilPiilS8_bb.uses_vcc, 1
	.set _ZN9rocsolver6v33100L18getri_kernel_smallILi51E19rocblas_complex_numIdEPKPS3_EEvT1_iilPiilS8_bb.uses_flat_scratch, 1
	.set _ZN9rocsolver6v33100L18getri_kernel_smallILi51E19rocblas_complex_numIdEPKPS3_EEvT1_iilPiilS8_bb.has_dyn_sized_stack, 0
	.set _ZN9rocsolver6v33100L18getri_kernel_smallILi51E19rocblas_complex_numIdEPKPS3_EEvT1_iilPiilS8_bb.has_recursion, 0
	.set _ZN9rocsolver6v33100L18getri_kernel_smallILi51E19rocblas_complex_numIdEPKPS3_EEvT1_iilPiilS8_bb.has_indirect_call, 0
	.section	.AMDGPU.csdata,"",@progbits
; Kernel info:
; codeLenInByte = 105868
; TotalNumSgprs: 85
; NumVgprs: 167
; ScratchSize: 848
; MemoryBound: 0
; FloatMode: 240
; IeeeMode: 1
; LDSByteSize: 1640 bytes/workgroup (compile time only)
; SGPRBlocks: 0
; VGPRBlocks: 20
; NumSGPRsForWavesPerEU: 85
; NumVGPRsForWavesPerEU: 167
; Occupancy: 9
; WaveLimiterHint : 1
; COMPUTE_PGM_RSRC2:SCRATCH_EN: 1
; COMPUTE_PGM_RSRC2:USER_SGPR: 2
; COMPUTE_PGM_RSRC2:TRAP_HANDLER: 0
; COMPUTE_PGM_RSRC2:TGID_X_EN: 1
; COMPUTE_PGM_RSRC2:TGID_Y_EN: 0
; COMPUTE_PGM_RSRC2:TGID_Z_EN: 0
; COMPUTE_PGM_RSRC2:TIDIG_COMP_CNT: 0
	.section	.text._ZN9rocsolver6v33100L18getri_kernel_smallILi52E19rocblas_complex_numIdEPKPS3_EEvT1_iilPiilS8_bb,"axG",@progbits,_ZN9rocsolver6v33100L18getri_kernel_smallILi52E19rocblas_complex_numIdEPKPS3_EEvT1_iilPiilS8_bb,comdat
	.globl	_ZN9rocsolver6v33100L18getri_kernel_smallILi52E19rocblas_complex_numIdEPKPS3_EEvT1_iilPiilS8_bb ; -- Begin function _ZN9rocsolver6v33100L18getri_kernel_smallILi52E19rocblas_complex_numIdEPKPS3_EEvT1_iilPiilS8_bb
	.p2align	8
	.type	_ZN9rocsolver6v33100L18getri_kernel_smallILi52E19rocblas_complex_numIdEPKPS3_EEvT1_iilPiilS8_bb,@function
_ZN9rocsolver6v33100L18getri_kernel_smallILi52E19rocblas_complex_numIdEPKPS3_EEvT1_iilPiilS8_bb: ; @_ZN9rocsolver6v33100L18getri_kernel_smallILi52E19rocblas_complex_numIdEPKPS3_EEvT1_iilPiilS8_bb
; %bb.0:
	s_mov_b32 s2, exec_lo
	v_cmpx_gt_u32_e32 52, v0
	s_cbranch_execz .LBB115_222
; %bb.1:
	s_clause 0x1
	s_load_b32 s13, s[0:1], 0x38
	s_load_b64 s[2:3], s[0:1], 0x0
	s_mov_b32 s8, ttmp9
	s_load_b128 s[4:7], s[0:1], 0x28
	s_wait_kmcnt 0x0
	s_bitcmp1_b32 s13, 8
	s_cselect_b32 s12, -1, 0
	s_ashr_i32 s9, ttmp9, 31
	s_delay_alu instid0(SALU_CYCLE_1) | instskip(NEXT) | instid1(SALU_CYCLE_1)
	s_lshl_b64 s[10:11], s[8:9], 3
	s_add_nc_u64 s[2:3], s[2:3], s[10:11]
	s_load_b64 s[10:11], s[2:3], 0x0
	s_bfe_u32 s2, s13, 0x10008
	s_delay_alu instid0(SALU_CYCLE_1)
	s_cmp_eq_u32 s2, 0
                                        ; implicit-def: $sgpr2_sgpr3
	s_cbranch_scc1 .LBB115_3
; %bb.2:
	s_load_b96 s[16:18], s[0:1], 0x18
	s_mul_u64 s[2:3], s[4:5], s[8:9]
	s_delay_alu instid0(SALU_CYCLE_1)
	s_lshl_b64 s[2:3], s[2:3], 2
	s_wait_kmcnt 0x0
	s_ashr_i32 s5, s18, 31
	s_mov_b32 s4, s18
	s_add_nc_u64 s[2:3], s[16:17], s[2:3]
	s_lshl_b64 s[4:5], s[4:5], 2
	s_delay_alu instid0(SALU_CYCLE_1)
	s_add_nc_u64 s[2:3], s[2:3], s[4:5]
.LBB115_3:
	s_clause 0x1
	s_load_b64 s[4:5], s[0:1], 0x8
	s_load_b32 s61, s[0:1], 0x38
	v_lshlrev_b32_e32 v13, 4, v0
	s_movk_i32 s14, 0x90
	s_movk_i32 s16, 0xa0
	;; [unrolled: 1-line block ×17, first 2 shown]
	s_wait_kmcnt 0x0
	s_ashr_i32 s1, s4, 31
	s_mov_b32 s0, s4
	v_add3_u32 v5, s5, s5, v0
	s_lshl_b64 s[0:1], s[0:1], 4
	s_movk_i32 s33, 0x1a0
	s_add_nc_u64 s[0:1], s[10:11], s[0:1]
	s_ashr_i32 s11, s5, 31
	v_add_co_u32 v46, s4, s0, v13
	s_wait_alu 0xf1ff
	v_add_co_ci_u32_e64 v47, null, s1, 0, s4
	s_mov_b32 s10, s5
	v_ashrrev_i32_e32 v6, 31, v5
	s_lshl_b64 s[10:11], s[10:11], 4
	flat_load_b128 v[1:4], v[46:47]
	v_add_co_u32 v48, vcc_lo, v46, s10
	s_delay_alu instid0(VALU_DEP_1)
	v_add_co_ci_u32_e64 v49, null, s11, v47, vcc_lo
	v_lshlrev_b64_e32 v[6:7], 4, v[5:6]
	v_add_nc_u32_e32 v5, s5, v5
	s_movk_i32 s11, 0x80
	s_movk_i32 s34, 0x1b0
	s_movk_i32 s35, 0x1c0
	s_movk_i32 s36, 0x1d0
	v_add_co_u32 v50, vcc_lo, s0, v6
	s_wait_alu 0xfffd
	v_add_co_ci_u32_e64 v51, null, s1, v7, vcc_lo
	v_ashrrev_i32_e32 v6, 31, v5
	s_movk_i32 s62, 0x1e0
	s_movk_i32 s63, 0x1f0
	s_movk_i32 s64, 0x200
	s_movk_i32 s65, 0x210
	v_lshlrev_b64_e32 v[6:7], 4, v[5:6]
	v_add_nc_u32_e32 v5, s5, v5
	s_movk_i32 s66, 0x220
	s_movk_i32 s67, 0x230
	s_movk_i32 s68, 0x240
	s_movk_i32 s69, 0x250
	v_add_co_u32 v52, vcc_lo, s0, v6
	s_wait_alu 0xfffd
	v_add_co_ci_u32_e64 v53, null, s1, v7, vcc_lo
	v_ashrrev_i32_e32 v6, 31, v5
	s_movk_i32 s70, 0x260
	s_movk_i32 s71, 0x270
	s_movk_i32 s72, 0x280
	s_movk_i32 s73, 0x290
	;; [unrolled: 14-line block ×3, first 2 shown]
	v_lshlrev_b64_e32 v[6:7], 4, v[5:6]
	v_add_nc_u32_e32 v5, s5, v5
	s_movk_i32 s82, 0x320
	s_movk_i32 s83, 0x330
	s_wait_alu 0xfffe
	s_add_co_i32 s57, s11, 16
	s_add_co_i32 s56, s14, 16
	v_add_co_u32 v56, vcc_lo, s0, v6
	s_wait_alu 0xfffd
	v_add_co_ci_u32_e64 v57, null, s1, v7, vcc_lo
	v_ashrrev_i32_e32 v6, 31, v5
	s_add_co_i32 s55, s16, 16
	s_add_co_i32 s54, s17, 16
	s_add_co_i32 s53, s18, 16
	s_add_co_i32 s52, s19, 16
	v_lshlrev_b64_e32 v[6:7], 4, v[5:6]
	v_add_nc_u32_e32 v5, s5, v5
	s_add_co_i32 s51, s20, 16
	s_add_co_i32 s50, s21, 16
	s_add_co_i32 s49, s22, 16
	s_add_co_i32 s48, s23, 16
	v_add_co_u32 v58, vcc_lo, s0, v6
	s_wait_alu 0xfffd
	v_add_co_ci_u32_e64 v59, null, s1, v7, vcc_lo
	v_ashrrev_i32_e32 v6, 31, v5
	s_add_co_i32 s47, s24, 16
	s_add_co_i32 s46, s25, 16
	s_add_co_i32 s45, s26, 16
	s_add_co_i32 s44, s27, 16
	v_lshlrev_b64_e32 v[6:7], 4, v[5:6]
	v_add_nc_u32_e32 v5, s5, v5
	s_add_co_i32 s43, s28, 16
	s_add_co_i32 s42, s29, 16
	s_add_co_i32 s41, s30, 16
	s_add_co_i32 s40, s31, 16
	v_add_co_u32 v60, vcc_lo, s0, v6
	s_wait_alu 0xfffd
	v_add_co_ci_u32_e64 v61, null, s1, v7, vcc_lo
	v_ashrrev_i32_e32 v6, 31, v5
	s_add_co_i32 s39, s33, 16
	s_add_co_i32 s38, s34, 16
	s_add_co_i32 s37, s35, 16
	s_add_co_i32 s36, s36, 16
	v_lshlrev_b64_e32 v[6:7], 4, v[5:6]
	v_add_nc_u32_e32 v5, s5, v5
	s_add_co_i32 s35, s62, 16
	s_add_co_i32 s34, s63, 16
	s_add_co_i32 s33, s64, 16
	s_add_co_i32 s31, s65, 16
	v_add_co_u32 v62, vcc_lo, s0, v6
	s_wait_alu 0xfffd
	v_add_co_ci_u32_e64 v63, null, s1, v7, vcc_lo
	v_ashrrev_i32_e32 v6, 31, v5
	s_add_co_i32 s30, s66, 16
	s_add_co_i32 s29, s67, 16
	s_add_co_i32 s28, s68, 16
	s_add_co_i32 s27, s69, 16
	v_lshlrev_b64_e32 v[6:7], 4, v[5:6]
	v_add_nc_u32_e32 v5, s5, v5
	s_add_co_i32 s26, s70, 16
	s_add_co_i32 s25, s71, 16
	s_add_co_i32 s24, s72, 16
	s_add_co_i32 s23, s73, 16
	v_add_co_u32 v64, vcc_lo, s0, v6
	s_wait_alu 0xfffd
	v_add_co_ci_u32_e64 v65, null, s1, v7, vcc_lo
	v_ashrrev_i32_e32 v6, 31, v5
	s_add_co_i32 s22, s74, 16
	s_add_co_i32 s21, s75, 16
	s_add_co_i32 s20, s76, 16
	s_add_co_i32 s19, s77, 16
	v_lshlrev_b64_e32 v[6:7], 4, v[5:6]
	v_add_nc_u32_e32 v5, s5, v5
	s_add_co_i32 s18, s78, 16
	s_add_co_i32 s17, s79, 16
	s_add_co_i32 s16, s80, 16
	s_add_co_i32 s14, s81, 16
	v_add_co_u32 v66, vcc_lo, s0, v6
	s_wait_alu 0xfffd
	v_add_co_ci_u32_e64 v67, null, s1, v7, vcc_lo
	v_ashrrev_i32_e32 v6, 31, v5
	s_add_co_i32 s11, s82, 16
	s_mov_b32 s15, 32
	s_mov_b32 s13, 48
	;; [unrolled: 1-line block ×3, first 2 shown]
	v_lshlrev_b64_e32 v[6:7], 4, v[5:6]
	v_add_nc_u32_e32 v5, s5, v5
	s_movk_i32 s4, 0x50
	s_delay_alu instid0(VALU_DEP_2) | instskip(SKIP_1) | instid1(VALU_DEP_3)
	v_add_co_u32 v68, vcc_lo, s0, v6
	s_wait_alu 0xfffd
	v_add_co_ci_u32_e64 v69, null, s1, v7, vcc_lo
	v_ashrrev_i32_e32 v6, 31, v5
	s_delay_alu instid0(VALU_DEP_1) | instskip(SKIP_1) | instid1(VALU_DEP_2)
	v_lshlrev_b64_e32 v[6:7], 4, v[5:6]
	v_add_nc_u32_e32 v5, s5, v5
	v_add_co_u32 v70, vcc_lo, s0, v6
	s_wait_alu 0xfffd
	s_delay_alu instid0(VALU_DEP_3) | instskip(NEXT) | instid1(VALU_DEP_3)
	v_add_co_ci_u32_e64 v71, null, s1, v7, vcc_lo
	v_ashrrev_i32_e32 v6, 31, v5
	s_delay_alu instid0(VALU_DEP_1) | instskip(SKIP_1) | instid1(VALU_DEP_2)
	v_lshlrev_b64_e32 v[6:7], 4, v[5:6]
	v_add_nc_u32_e32 v5, s5, v5
	v_add_co_u32 v72, vcc_lo, s0, v6
	s_wait_alu 0xfffd
	s_delay_alu instid0(VALU_DEP_3) | instskip(NEXT) | instid1(VALU_DEP_3)
	;; [unrolled: 8-line block ×11, first 2 shown]
	v_add_co_ci_u32_e64 v91, null, s1, v7, vcc_lo
	v_ashrrev_i32_e32 v6, 31, v5
	s_delay_alu instid0(VALU_DEP_1)
	v_lshlrev_b64_e32 v[6:7], 4, v[5:6]
	s_wait_loadcnt_dscnt 0x0
	scratch_store_b128 off, v[1:4], off offset:16
	flat_load_b128 v[1:4], v[48:49]
	v_add_nc_u32_e32 v5, s5, v5
	v_add_co_u32 v92, vcc_lo, s0, v6
	s_wait_alu 0xfffd
	v_add_co_ci_u32_e64 v93, null, s1, v7, vcc_lo
	s_delay_alu instid0(VALU_DEP_3) | instskip(NEXT) | instid1(VALU_DEP_1)
	v_ashrrev_i32_e32 v6, 31, v5
	v_lshlrev_b64_e32 v[6:7], 4, v[5:6]
	v_add_nc_u32_e32 v5, s5, v5
	s_delay_alu instid0(VALU_DEP_2) | instskip(SKIP_1) | instid1(VALU_DEP_3)
	v_add_co_u32 v94, vcc_lo, s0, v6
	s_wait_alu 0xfffd
	v_add_co_ci_u32_e64 v95, null, s1, v7, vcc_lo
	s_delay_alu instid0(VALU_DEP_3) | instskip(NEXT) | instid1(VALU_DEP_1)
	v_ashrrev_i32_e32 v6, 31, v5
	v_lshlrev_b64_e32 v[6:7], 4, v[5:6]
	v_add_nc_u32_e32 v5, s5, v5
	s_delay_alu instid0(VALU_DEP_2) | instskip(SKIP_1) | instid1(VALU_DEP_3)
	;; [unrolled: 8-line block ×20, first 2 shown]
	v_add_co_u32 v132, vcc_lo, s0, v6
	s_wait_alu 0xfffd
	v_add_co_ci_u32_e64 v133, null, s1, v7, vcc_lo
	s_delay_alu instid0(VALU_DEP_3) | instskip(NEXT) | instid1(VALU_DEP_1)
	v_ashrrev_i32_e32 v6, 31, v5
	v_lshlrev_b64_e32 v[6:7], 4, v[5:6]
	v_add_nc_u32_e32 v5, s5, v5
	s_delay_alu instid0(VALU_DEP_2)
	v_add_co_u32 v134, vcc_lo, s0, v6
	s_wait_loadcnt_dscnt 0x0
	scratch_store_b128 off, v[1:4], off offset:32
	flat_load_b128 v[1:4], v[50:51]
	s_wait_alu 0xfffd
	v_add_co_ci_u32_e64 v135, null, s1, v7, vcc_lo
	v_ashrrev_i32_e32 v6, 31, v5
	s_delay_alu instid0(VALU_DEP_1) | instskip(SKIP_1) | instid1(VALU_DEP_2)
	v_lshlrev_b64_e32 v[6:7], 4, v[5:6]
	v_add_nc_u32_e32 v5, s5, v5
	v_add_co_u32 v136, vcc_lo, s0, v6
	s_wait_alu 0xfffd
	s_delay_alu instid0(VALU_DEP_3) | instskip(NEXT) | instid1(VALU_DEP_3)
	v_add_co_ci_u32_e64 v137, null, s1, v7, vcc_lo
	v_ashrrev_i32_e32 v6, 31, v5
	s_delay_alu instid0(VALU_DEP_1) | instskip(SKIP_1) | instid1(VALU_DEP_2)
	v_lshlrev_b64_e32 v[6:7], 4, v[5:6]
	v_add_nc_u32_e32 v5, s5, v5
	v_add_co_u32 v138, vcc_lo, s0, v6
	s_wait_alu 0xfffd
	s_delay_alu instid0(VALU_DEP_3) | instskip(NEXT) | instid1(VALU_DEP_3)
	;; [unrolled: 8-line block ×5, first 2 shown]
	v_add_co_ci_u32_e64 v145, null, s1, v7, vcc_lo
	v_ashrrev_i32_e32 v6, 31, v5
	s_delay_alu instid0(VALU_DEP_1)
	v_lshlrev_b64_e32 v[6:7], 4, v[5:6]
	v_add_nc_u32_e32 v5, s5, v5
	s_movk_i32 s5, 0x70
	s_wait_alu 0xfffe
	s_add_co_i32 s58, s5, 16
	s_add_co_i32 s5, s83, 16
	v_add_co_u32 v146, vcc_lo, s0, v6
	s_wait_alu 0xfffd
	v_add_co_ci_u32_e64 v147, null, s1, v7, vcc_lo
	v_ashrrev_i32_e32 v6, 31, v5
	s_delay_alu instid0(VALU_DEP_1) | instskip(NEXT) | instid1(VALU_DEP_1)
	v_lshlrev_b64_e32 v[5:6], 4, v[5:6]
	v_add_co_u32 v148, vcc_lo, s0, v5
	s_wait_alu 0xfffd
	s_delay_alu instid0(VALU_DEP_2)
	v_add_co_ci_u32_e64 v149, null, s1, v6, vcc_lo
	s_movk_i32 s0, 0x50
	s_movk_i32 s1, 0x60
	s_wait_alu 0xfffe
	s_add_co_i32 s60, s0, 16
	s_add_co_i32 s59, s1, 16
	s_bitcmp0_b32 s61, 0
	s_mov_b32 s1, -1
	s_wait_loadcnt_dscnt 0x0
	scratch_store_b128 off, v[1:4], off offset:48
	flat_load_b128 v[1:4], v[52:53]
	s_wait_loadcnt_dscnt 0x0
	scratch_store_b128 off, v[1:4], off offset:64
	flat_load_b128 v[1:4], v[54:55]
	s_wait_loadcnt_dscnt 0x0
	scratch_store_b128 off, v[1:4], off offset:80
	flat_load_b128 v[1:4], v[56:57]
	s_wait_loadcnt_dscnt 0x0
	scratch_store_b128 off, v[1:4], off offset:96
	flat_load_b128 v[1:4], v[58:59]
	s_wait_loadcnt_dscnt 0x0
	scratch_store_b128 off, v[1:4], off offset:112
	flat_load_b128 v[1:4], v[60:61]
	s_wait_loadcnt_dscnt 0x0
	scratch_store_b128 off, v[1:4], off offset:128
	flat_load_b128 v[1:4], v[62:63]
	s_wait_loadcnt_dscnt 0x0
	scratch_store_b128 off, v[1:4], off offset:144
	flat_load_b128 v[1:4], v[64:65]
	s_wait_loadcnt_dscnt 0x0
	scratch_store_b128 off, v[1:4], off offset:160
	flat_load_b128 v[1:4], v[66:67]
	s_wait_loadcnt_dscnt 0x0
	scratch_store_b128 off, v[1:4], off offset:176
	flat_load_b128 v[1:4], v[68:69]
	s_wait_loadcnt_dscnt 0x0
	scratch_store_b128 off, v[1:4], off offset:192
	flat_load_b128 v[1:4], v[70:71]
	s_wait_loadcnt_dscnt 0x0
	scratch_store_b128 off, v[1:4], off offset:208
	flat_load_b128 v[1:4], v[72:73]
	s_wait_loadcnt_dscnt 0x0
	scratch_store_b128 off, v[1:4], off offset:224
	flat_load_b128 v[1:4], v[74:75]
	s_wait_loadcnt_dscnt 0x0
	scratch_store_b128 off, v[1:4], off offset:240
	flat_load_b128 v[1:4], v[76:77]
	s_wait_loadcnt_dscnt 0x0
	scratch_store_b128 off, v[1:4], off offset:256
	flat_load_b128 v[1:4], v[78:79]
	s_wait_loadcnt_dscnt 0x0
	scratch_store_b128 off, v[1:4], off offset:272
	flat_load_b128 v[1:4], v[80:81]
	s_wait_loadcnt_dscnt 0x0
	scratch_store_b128 off, v[1:4], off offset:288
	flat_load_b128 v[1:4], v[82:83]
	s_wait_loadcnt_dscnt 0x0
	scratch_store_b128 off, v[1:4], off offset:304
	flat_load_b128 v[1:4], v[84:85]
	s_wait_loadcnt_dscnt 0x0
	scratch_store_b128 off, v[1:4], off offset:320
	flat_load_b128 v[1:4], v[86:87]
	s_wait_loadcnt_dscnt 0x0
	scratch_store_b128 off, v[1:4], off offset:336
	flat_load_b128 v[1:4], v[88:89]
	s_wait_loadcnt_dscnt 0x0
	scratch_store_b128 off, v[1:4], off offset:352
	flat_load_b128 v[1:4], v[90:91]
	s_wait_loadcnt_dscnt 0x0
	scratch_store_b128 off, v[1:4], off offset:368
	flat_load_b128 v[1:4], v[92:93]
	s_wait_loadcnt_dscnt 0x0
	scratch_store_b128 off, v[1:4], off offset:384
	flat_load_b128 v[1:4], v[94:95]
	s_wait_loadcnt_dscnt 0x0
	scratch_store_b128 off, v[1:4], off offset:400
	flat_load_b128 v[1:4], v[96:97]
	s_wait_loadcnt_dscnt 0x0
	scratch_store_b128 off, v[1:4], off offset:416
	flat_load_b128 v[1:4], v[98:99]
	s_wait_loadcnt_dscnt 0x0
	scratch_store_b128 off, v[1:4], off offset:432
	flat_load_b128 v[1:4], v[100:101]
	s_wait_loadcnt_dscnt 0x0
	scratch_store_b128 off, v[1:4], off offset:448
	flat_load_b128 v[1:4], v[102:103]
	s_wait_loadcnt_dscnt 0x0
	scratch_store_b128 off, v[1:4], off offset:464
	flat_load_b128 v[1:4], v[104:105]
	s_wait_loadcnt_dscnt 0x0
	scratch_store_b128 off, v[1:4], off offset:480
	flat_load_b128 v[1:4], v[106:107]
	s_wait_loadcnt_dscnt 0x0
	scratch_store_b128 off, v[1:4], off offset:496
	flat_load_b128 v[1:4], v[108:109]
	s_wait_loadcnt_dscnt 0x0
	scratch_store_b128 off, v[1:4], off offset:512
	flat_load_b128 v[1:4], v[110:111]
	s_wait_loadcnt_dscnt 0x0
	scratch_store_b128 off, v[1:4], off offset:528
	flat_load_b128 v[1:4], v[112:113]
	s_wait_loadcnt_dscnt 0x0
	scratch_store_b128 off, v[1:4], off offset:544
	flat_load_b128 v[1:4], v[114:115]
	s_wait_loadcnt_dscnt 0x0
	scratch_store_b128 off, v[1:4], off offset:560
	flat_load_b128 v[1:4], v[116:117]
	s_wait_loadcnt_dscnt 0x0
	scratch_store_b128 off, v[1:4], off offset:576
	flat_load_b128 v[1:4], v[118:119]
	s_wait_loadcnt_dscnt 0x0
	scratch_store_b128 off, v[1:4], off offset:592
	flat_load_b128 v[1:4], v[120:121]
	s_wait_loadcnt_dscnt 0x0
	scratch_store_b128 off, v[1:4], off offset:608
	flat_load_b128 v[1:4], v[122:123]
	s_wait_loadcnt_dscnt 0x0
	scratch_store_b128 off, v[1:4], off offset:624
	flat_load_b128 v[1:4], v[124:125]
	s_wait_loadcnt_dscnt 0x0
	scratch_store_b128 off, v[1:4], off offset:640
	flat_load_b128 v[1:4], v[126:127]
	s_wait_loadcnt_dscnt 0x0
	scratch_store_b128 off, v[1:4], off offset:656
	flat_load_b128 v[1:4], v[128:129]
	s_wait_loadcnt_dscnt 0x0
	scratch_store_b128 off, v[1:4], off offset:672
	flat_load_b128 v[1:4], v[130:131]
	s_wait_loadcnt_dscnt 0x0
	scratch_store_b128 off, v[1:4], off offset:688
	flat_load_b128 v[1:4], v[132:133]
	s_wait_loadcnt_dscnt 0x0
	scratch_store_b128 off, v[1:4], off offset:704
	flat_load_b128 v[1:4], v[134:135]
	s_wait_loadcnt_dscnt 0x0
	scratch_store_b128 off, v[1:4], off offset:720
	flat_load_b128 v[1:4], v[136:137]
	s_wait_loadcnt_dscnt 0x0
	scratch_store_b128 off, v[1:4], off offset:736
	flat_load_b128 v[1:4], v[138:139]
	s_wait_loadcnt_dscnt 0x0
	scratch_store_b128 off, v[1:4], off offset:752
	flat_load_b128 v[1:4], v[140:141]
	s_wait_loadcnt_dscnt 0x0
	scratch_store_b128 off, v[1:4], off offset:768
	flat_load_b128 v[1:4], v[142:143]
	s_wait_loadcnt_dscnt 0x0
	scratch_store_b128 off, v[1:4], off offset:784
	flat_load_b128 v[1:4], v[144:145]
	s_wait_loadcnt_dscnt 0x0
	scratch_store_b128 off, v[1:4], off offset:800
	flat_load_b128 v[1:4], v[146:147]
	s_wait_loadcnt_dscnt 0x0
	scratch_store_b128 off, v[1:4], off offset:816
	flat_load_b128 v[1:4], v[148:149]
	s_wait_loadcnt_dscnt 0x0
	scratch_store_b128 off, v[1:4], off offset:832
	s_cbranch_scc1 .LBB115_220
; %bb.4:
	v_cmp_eq_u32_e64 s0, 0, v0
	s_and_saveexec_b32 s1, s0
; %bb.5:
	v_mov_b32_e32 v1, 0
	ds_store_b32 v1, v1 offset:1664
; %bb.6:
	s_wait_alu 0xfffe
	s_or_b32 exec_lo, exec_lo, s1
	s_wait_storecnt_dscnt 0x0
	s_barrier_signal -1
	s_barrier_wait -1
	global_inv scope:SCOPE_SE
	scratch_load_b128 v[1:4], v13, off offset:16
	s_wait_loadcnt 0x0
	v_cmp_eq_f64_e32 vcc_lo, 0, v[1:2]
	v_cmp_eq_f64_e64 s1, 0, v[3:4]
	s_and_b32 s1, vcc_lo, s1
	s_wait_alu 0xfffe
	s_and_saveexec_b32 s61, s1
	s_cbranch_execz .LBB115_10
; %bb.7:
	v_mov_b32_e32 v1, 0
	s_mov_b32 s62, 0
	ds_load_b32 v2, v1 offset:1664
	s_wait_dscnt 0x0
	v_readfirstlane_b32 s1, v2
	v_add_nc_u32_e32 v2, 1, v0
	s_cmp_eq_u32 s1, 0
	s_delay_alu instid0(VALU_DEP_1) | instskip(SKIP_1) | instid1(SALU_CYCLE_1)
	v_cmp_gt_i32_e32 vcc_lo, s1, v2
	s_cselect_b32 s63, -1, 0
	s_or_b32 s63, s63, vcc_lo
	s_delay_alu instid0(SALU_CYCLE_1)
	s_and_b32 exec_lo, exec_lo, s63
	s_cbranch_execz .LBB115_10
; %bb.8:
	v_mov_b32_e32 v3, s1
.LBB115_9:                              ; =>This Inner Loop Header: Depth=1
	ds_cmpstore_rtn_b32 v3, v1, v2, v3 offset:1664
	s_wait_dscnt 0x0
	v_cmp_ne_u32_e32 vcc_lo, 0, v3
	v_cmp_le_i32_e64 s1, v3, v2
	s_and_b32 s1, vcc_lo, s1
	s_wait_alu 0xfffe
	s_and_b32 s1, exec_lo, s1
	s_wait_alu 0xfffe
	s_or_b32 s62, s1, s62
	s_delay_alu instid0(SALU_CYCLE_1)
	s_and_not1_b32 exec_lo, exec_lo, s62
	s_cbranch_execnz .LBB115_9
.LBB115_10:
	s_or_b32 exec_lo, exec_lo, s61
	v_mov_b32_e32 v1, 0
	s_barrier_signal -1
	s_barrier_wait -1
	global_inv scope:SCOPE_SE
	ds_load_b32 v2, v1 offset:1664
	s_and_saveexec_b32 s1, s0
	s_cbranch_execz .LBB115_12
; %bb.11:
	s_lshl_b64 s[62:63], s[8:9], 2
	s_delay_alu instid0(SALU_CYCLE_1)
	s_add_nc_u64 s[62:63], s[6:7], s[62:63]
	s_wait_dscnt 0x0
	global_store_b32 v1, v2, s[62:63]
.LBB115_12:
	s_wait_alu 0xfffe
	s_or_b32 exec_lo, exec_lo, s1
	s_wait_dscnt 0x0
	v_cmp_ne_u32_e32 vcc_lo, 0, v2
	s_mov_b32 s1, 0
	s_cbranch_vccnz .LBB115_220
; %bb.13:
	v_add_nc_u32_e32 v14, 16, v13
                                        ; implicit-def: $vgpr1_vgpr2
                                        ; implicit-def: $vgpr9_vgpr10
	scratch_load_b128 v[5:8], v14, off
	s_wait_loadcnt 0x0
	v_cmp_ngt_f64_e64 s1, |v[5:6]|, |v[7:8]|
	s_wait_alu 0xfffe
	s_and_saveexec_b32 s61, s1
	s_delay_alu instid0(SALU_CYCLE_1)
	s_xor_b32 s1, exec_lo, s61
	s_cbranch_execz .LBB115_15
; %bb.14:
	v_div_scale_f64 v[1:2], null, v[7:8], v[7:8], v[5:6]
	v_div_scale_f64 v[11:12], vcc_lo, v[5:6], v[7:8], v[5:6]
	s_delay_alu instid0(VALU_DEP_2) | instskip(NEXT) | instid1(TRANS32_DEP_1)
	v_rcp_f64_e32 v[3:4], v[1:2]
	v_fma_f64 v[9:10], -v[1:2], v[3:4], 1.0
	s_delay_alu instid0(VALU_DEP_1) | instskip(NEXT) | instid1(VALU_DEP_1)
	v_fma_f64 v[3:4], v[3:4], v[9:10], v[3:4]
	v_fma_f64 v[9:10], -v[1:2], v[3:4], 1.0
	s_delay_alu instid0(VALU_DEP_1) | instskip(NEXT) | instid1(VALU_DEP_1)
	v_fma_f64 v[3:4], v[3:4], v[9:10], v[3:4]
	v_mul_f64_e32 v[9:10], v[11:12], v[3:4]
	s_delay_alu instid0(VALU_DEP_1) | instskip(SKIP_1) | instid1(VALU_DEP_1)
	v_fma_f64 v[1:2], -v[1:2], v[9:10], v[11:12]
	s_wait_alu 0xfffd
	v_div_fmas_f64 v[1:2], v[1:2], v[3:4], v[9:10]
	s_delay_alu instid0(VALU_DEP_1) | instskip(NEXT) | instid1(VALU_DEP_1)
	v_div_fixup_f64 v[1:2], v[1:2], v[7:8], v[5:6]
	v_fma_f64 v[3:4], v[5:6], v[1:2], v[7:8]
	s_delay_alu instid0(VALU_DEP_1) | instskip(SKIP_1) | instid1(VALU_DEP_2)
	v_div_scale_f64 v[5:6], null, v[3:4], v[3:4], 1.0
	v_div_scale_f64 v[11:12], vcc_lo, 1.0, v[3:4], 1.0
	v_rcp_f64_e32 v[7:8], v[5:6]
	s_delay_alu instid0(TRANS32_DEP_1) | instskip(NEXT) | instid1(VALU_DEP_1)
	v_fma_f64 v[9:10], -v[5:6], v[7:8], 1.0
	v_fma_f64 v[7:8], v[7:8], v[9:10], v[7:8]
	s_delay_alu instid0(VALU_DEP_1) | instskip(NEXT) | instid1(VALU_DEP_1)
	v_fma_f64 v[9:10], -v[5:6], v[7:8], 1.0
	v_fma_f64 v[7:8], v[7:8], v[9:10], v[7:8]
	s_delay_alu instid0(VALU_DEP_1) | instskip(NEXT) | instid1(VALU_DEP_1)
	v_mul_f64_e32 v[9:10], v[11:12], v[7:8]
	v_fma_f64 v[5:6], -v[5:6], v[9:10], v[11:12]
	s_wait_alu 0xfffd
	s_delay_alu instid0(VALU_DEP_1) | instskip(NEXT) | instid1(VALU_DEP_1)
	v_div_fmas_f64 v[5:6], v[5:6], v[7:8], v[9:10]
	v_div_fixup_f64 v[3:4], v[5:6], v[3:4], 1.0
                                        ; implicit-def: $vgpr5_vgpr6
	s_delay_alu instid0(VALU_DEP_1) | instskip(SKIP_1) | instid1(VALU_DEP_2)
	v_mul_f64_e32 v[1:2], v[1:2], v[3:4]
	v_xor_b32_e32 v4, 0x80000000, v4
	v_xor_b32_e32 v10, 0x80000000, v2
	s_delay_alu instid0(VALU_DEP_3)
	v_mov_b32_e32 v9, v1
.LBB115_15:
	s_wait_alu 0xfffe
	s_and_not1_saveexec_b32 s1, s1
	s_cbranch_execz .LBB115_17
; %bb.16:
	v_div_scale_f64 v[1:2], null, v[5:6], v[5:6], v[7:8]
	v_div_scale_f64 v[11:12], vcc_lo, v[7:8], v[5:6], v[7:8]
	s_delay_alu instid0(VALU_DEP_2) | instskip(NEXT) | instid1(TRANS32_DEP_1)
	v_rcp_f64_e32 v[3:4], v[1:2]
	v_fma_f64 v[9:10], -v[1:2], v[3:4], 1.0
	s_delay_alu instid0(VALU_DEP_1) | instskip(NEXT) | instid1(VALU_DEP_1)
	v_fma_f64 v[3:4], v[3:4], v[9:10], v[3:4]
	v_fma_f64 v[9:10], -v[1:2], v[3:4], 1.0
	s_delay_alu instid0(VALU_DEP_1) | instskip(NEXT) | instid1(VALU_DEP_1)
	v_fma_f64 v[3:4], v[3:4], v[9:10], v[3:4]
	v_mul_f64_e32 v[9:10], v[11:12], v[3:4]
	s_delay_alu instid0(VALU_DEP_1) | instskip(SKIP_1) | instid1(VALU_DEP_1)
	v_fma_f64 v[1:2], -v[1:2], v[9:10], v[11:12]
	s_wait_alu 0xfffd
	v_div_fmas_f64 v[1:2], v[1:2], v[3:4], v[9:10]
	s_delay_alu instid0(VALU_DEP_1) | instskip(NEXT) | instid1(VALU_DEP_1)
	v_div_fixup_f64 v[3:4], v[1:2], v[5:6], v[7:8]
	v_fma_f64 v[1:2], v[7:8], v[3:4], v[5:6]
	s_delay_alu instid0(VALU_DEP_1) | instskip(NEXT) | instid1(VALU_DEP_1)
	v_div_scale_f64 v[5:6], null, v[1:2], v[1:2], 1.0
	v_rcp_f64_e32 v[7:8], v[5:6]
	s_delay_alu instid0(TRANS32_DEP_1) | instskip(NEXT) | instid1(VALU_DEP_1)
	v_fma_f64 v[9:10], -v[5:6], v[7:8], 1.0
	v_fma_f64 v[7:8], v[7:8], v[9:10], v[7:8]
	s_delay_alu instid0(VALU_DEP_1) | instskip(NEXT) | instid1(VALU_DEP_1)
	v_fma_f64 v[9:10], -v[5:6], v[7:8], 1.0
	v_fma_f64 v[7:8], v[7:8], v[9:10], v[7:8]
	v_div_scale_f64 v[9:10], vcc_lo, 1.0, v[1:2], 1.0
	s_delay_alu instid0(VALU_DEP_1) | instskip(NEXT) | instid1(VALU_DEP_1)
	v_mul_f64_e32 v[11:12], v[9:10], v[7:8]
	v_fma_f64 v[5:6], -v[5:6], v[11:12], v[9:10]
	s_wait_alu 0xfffd
	s_delay_alu instid0(VALU_DEP_1) | instskip(NEXT) | instid1(VALU_DEP_1)
	v_div_fmas_f64 v[5:6], v[5:6], v[7:8], v[11:12]
	v_div_fixup_f64 v[1:2], v[5:6], v[1:2], 1.0
	s_delay_alu instid0(VALU_DEP_1)
	v_mul_f64_e64 v[3:4], v[3:4], -v[1:2]
	v_xor_b32_e32 v10, 0x80000000, v2
	v_mov_b32_e32 v9, v1
.LBB115_17:
	s_wait_alu 0xfffe
	s_or_b32 exec_lo, exec_lo, s1
	scratch_store_b128 v14, v[1:4], off
	scratch_load_b128 v[15:18], off, s15
	v_xor_b32_e32 v12, 0x80000000, v4
	v_mov_b32_e32 v11, v3
	v_add_nc_u32_e32 v5, 0x340, v13
	ds_store_b128 v13, v[9:12]
	s_wait_loadcnt 0x0
	ds_store_b128 v13, v[15:18] offset:832
	s_wait_storecnt_dscnt 0x0
	s_barrier_signal -1
	s_barrier_wait -1
	global_inv scope:SCOPE_SE
	s_and_saveexec_b32 s1, s0
	s_cbranch_execz .LBB115_19
; %bb.18:
	scratch_load_b128 v[1:4], v14, off
	ds_load_b128 v[6:9], v5
	v_mov_b32_e32 v10, 0
	ds_load_b128 v[15:18], v10 offset:16
	s_wait_loadcnt_dscnt 0x1
	v_mul_f64_e32 v[10:11], v[6:7], v[3:4]
	v_mul_f64_e32 v[3:4], v[8:9], v[3:4]
	s_delay_alu instid0(VALU_DEP_2) | instskip(NEXT) | instid1(VALU_DEP_2)
	v_fma_f64 v[8:9], v[8:9], v[1:2], v[10:11]
	v_fma_f64 v[1:2], v[6:7], v[1:2], -v[3:4]
	s_delay_alu instid0(VALU_DEP_2) | instskip(NEXT) | instid1(VALU_DEP_2)
	v_add_f64_e32 v[3:4], 0, v[8:9]
	v_add_f64_e32 v[1:2], 0, v[1:2]
	s_wait_dscnt 0x0
	s_delay_alu instid0(VALU_DEP_2) | instskip(NEXT) | instid1(VALU_DEP_2)
	v_mul_f64_e32 v[6:7], v[3:4], v[17:18]
	v_mul_f64_e32 v[8:9], v[1:2], v[17:18]
	s_delay_alu instid0(VALU_DEP_2) | instskip(NEXT) | instid1(VALU_DEP_2)
	v_fma_f64 v[1:2], v[1:2], v[15:16], -v[6:7]
	v_fma_f64 v[3:4], v[3:4], v[15:16], v[8:9]
	scratch_store_b128 off, v[1:4], off offset:32
.LBB115_19:
	s_wait_alu 0xfffe
	s_or_b32 exec_lo, exec_lo, s1
	s_wait_loadcnt 0x0
	s_wait_storecnt 0x0
	s_barrier_signal -1
	s_barrier_wait -1
	global_inv scope:SCOPE_SE
	scratch_load_b128 v[1:4], off, s13
	s_mov_b32 s1, exec_lo
	s_wait_loadcnt 0x0
	ds_store_b128 v5, v[1:4]
	s_wait_dscnt 0x0
	s_barrier_signal -1
	s_barrier_wait -1
	global_inv scope:SCOPE_SE
	v_cmpx_gt_u32_e32 2, v0
	s_cbranch_execz .LBB115_23
; %bb.20:
	scratch_load_b128 v[1:4], v14, off
	ds_load_b128 v[6:9], v5
	s_wait_loadcnt_dscnt 0x0
	v_mul_f64_e32 v[10:11], v[8:9], v[3:4]
	v_mul_f64_e32 v[3:4], v[6:7], v[3:4]
	s_delay_alu instid0(VALU_DEP_2) | instskip(NEXT) | instid1(VALU_DEP_2)
	v_fma_f64 v[6:7], v[6:7], v[1:2], -v[10:11]
	v_fma_f64 v[3:4], v[8:9], v[1:2], v[3:4]
	s_delay_alu instid0(VALU_DEP_2) | instskip(NEXT) | instid1(VALU_DEP_2)
	v_add_f64_e32 v[1:2], 0, v[6:7]
	v_add_f64_e32 v[3:4], 0, v[3:4]
	s_and_saveexec_b32 s61, s0
	s_cbranch_execz .LBB115_22
; %bb.21:
	scratch_load_b128 v[6:9], off, off offset:32
	v_mov_b32_e32 v10, 0
	ds_load_b128 v[15:18], v10 offset:848
	s_wait_loadcnt_dscnt 0x0
	v_mul_f64_e32 v[10:11], v[15:16], v[8:9]
	v_mul_f64_e32 v[8:9], v[17:18], v[8:9]
	s_delay_alu instid0(VALU_DEP_2) | instskip(NEXT) | instid1(VALU_DEP_2)
	v_fma_f64 v[10:11], v[17:18], v[6:7], v[10:11]
	v_fma_f64 v[6:7], v[15:16], v[6:7], -v[8:9]
	s_delay_alu instid0(VALU_DEP_2) | instskip(NEXT) | instid1(VALU_DEP_2)
	v_add_f64_e32 v[3:4], v[3:4], v[10:11]
	v_add_f64_e32 v[1:2], v[1:2], v[6:7]
.LBB115_22:
	s_or_b32 exec_lo, exec_lo, s61
	v_mov_b32_e32 v6, 0
	ds_load_b128 v[6:9], v6 offset:32
	s_wait_dscnt 0x0
	v_mul_f64_e32 v[10:11], v[3:4], v[8:9]
	v_mul_f64_e32 v[8:9], v[1:2], v[8:9]
	s_delay_alu instid0(VALU_DEP_2) | instskip(NEXT) | instid1(VALU_DEP_2)
	v_fma_f64 v[1:2], v[1:2], v[6:7], -v[10:11]
	v_fma_f64 v[3:4], v[3:4], v[6:7], v[8:9]
	scratch_store_b128 off, v[1:4], off offset:48
.LBB115_23:
	s_wait_alu 0xfffe
	s_or_b32 exec_lo, exec_lo, s1
	s_wait_loadcnt 0x0
	s_wait_storecnt 0x0
	s_barrier_signal -1
	s_barrier_wait -1
	global_inv scope:SCOPE_SE
	scratch_load_b128 v[1:4], off, s10
	v_add_nc_u32_e32 v6, -1, v0
	s_mov_b32 s0, exec_lo
	s_wait_loadcnt 0x0
	ds_store_b128 v5, v[1:4]
	s_wait_dscnt 0x0
	s_barrier_signal -1
	s_barrier_wait -1
	global_inv scope:SCOPE_SE
	v_cmpx_gt_u32_e32 3, v0
	s_cbranch_execz .LBB115_27
; %bb.24:
	v_dual_mov_b32 v1, 0 :: v_dual_add_nc_u32 v8, 0x340, v13
	v_mov_b32_e32 v3, 0
	v_dual_mov_b32 v2, 0 :: v_dual_add_nc_u32 v7, -1, v0
	v_mov_b32_e32 v4, 0
	v_or_b32_e32 v9, 8, v14
	s_mov_b32 s1, 0
.LBB115_25:                             ; =>This Inner Loop Header: Depth=1
	scratch_load_b128 v[15:18], v9, off offset:-8
	ds_load_b128 v[19:22], v8
	v_add_nc_u32_e32 v7, 1, v7
	v_add_nc_u32_e32 v8, 16, v8
	v_add_nc_u32_e32 v9, 16, v9
	s_delay_alu instid0(VALU_DEP_3)
	v_cmp_lt_u32_e32 vcc_lo, 1, v7
	s_wait_alu 0xfffe
	s_or_b32 s1, vcc_lo, s1
	s_wait_loadcnt_dscnt 0x0
	v_mul_f64_e32 v[10:11], v[21:22], v[17:18]
	v_mul_f64_e32 v[17:18], v[19:20], v[17:18]
	s_delay_alu instid0(VALU_DEP_2) | instskip(NEXT) | instid1(VALU_DEP_2)
	v_fma_f64 v[10:11], v[19:20], v[15:16], -v[10:11]
	v_fma_f64 v[15:16], v[21:22], v[15:16], v[17:18]
	s_delay_alu instid0(VALU_DEP_2) | instskip(NEXT) | instid1(VALU_DEP_2)
	v_add_f64_e32 v[3:4], v[3:4], v[10:11]
	v_add_f64_e32 v[1:2], v[1:2], v[15:16]
	s_wait_alu 0xfffe
	s_and_not1_b32 exec_lo, exec_lo, s1
	s_cbranch_execnz .LBB115_25
; %bb.26:
	s_or_b32 exec_lo, exec_lo, s1
	v_mov_b32_e32 v7, 0
	ds_load_b128 v[7:10], v7 offset:48
	s_wait_dscnt 0x0
	v_mul_f64_e32 v[11:12], v[1:2], v[9:10]
	v_mul_f64_e32 v[15:16], v[3:4], v[9:10]
	s_delay_alu instid0(VALU_DEP_2) | instskip(NEXT) | instid1(VALU_DEP_2)
	v_fma_f64 v[9:10], v[3:4], v[7:8], -v[11:12]
	v_fma_f64 v[11:12], v[1:2], v[7:8], v[15:16]
	scratch_store_b128 off, v[9:12], off offset:64
.LBB115_27:
	s_wait_alu 0xfffe
	s_or_b32 exec_lo, exec_lo, s0
	s_wait_loadcnt 0x0
	s_wait_storecnt 0x0
	s_barrier_signal -1
	s_barrier_wait -1
	global_inv scope:SCOPE_SE
	scratch_load_b128 v[1:4], off, s4
	s_mov_b32 s0, exec_lo
	s_wait_loadcnt 0x0
	ds_store_b128 v5, v[1:4]
	s_wait_dscnt 0x0
	s_barrier_signal -1
	s_barrier_wait -1
	global_inv scope:SCOPE_SE
	v_cmpx_gt_u32_e32 4, v0
	s_cbranch_execz .LBB115_31
; %bb.28:
	v_dual_mov_b32 v1, 0 :: v_dual_add_nc_u32 v8, 0x340, v13
	v_mov_b32_e32 v3, 0
	v_dual_mov_b32 v2, 0 :: v_dual_add_nc_u32 v7, -1, v0
	v_mov_b32_e32 v4, 0
	v_or_b32_e32 v9, 8, v14
	s_mov_b32 s1, 0
.LBB115_29:                             ; =>This Inner Loop Header: Depth=1
	scratch_load_b128 v[15:18], v9, off offset:-8
	ds_load_b128 v[19:22], v8
	v_add_nc_u32_e32 v7, 1, v7
	v_add_nc_u32_e32 v8, 16, v8
	v_add_nc_u32_e32 v9, 16, v9
	s_delay_alu instid0(VALU_DEP_3)
	v_cmp_lt_u32_e32 vcc_lo, 2, v7
	s_wait_alu 0xfffe
	s_or_b32 s1, vcc_lo, s1
	s_wait_loadcnt_dscnt 0x0
	v_mul_f64_e32 v[10:11], v[21:22], v[17:18]
	v_mul_f64_e32 v[17:18], v[19:20], v[17:18]
	s_delay_alu instid0(VALU_DEP_2) | instskip(NEXT) | instid1(VALU_DEP_2)
	v_fma_f64 v[10:11], v[19:20], v[15:16], -v[10:11]
	v_fma_f64 v[15:16], v[21:22], v[15:16], v[17:18]
	s_delay_alu instid0(VALU_DEP_2) | instskip(NEXT) | instid1(VALU_DEP_2)
	v_add_f64_e32 v[3:4], v[3:4], v[10:11]
	v_add_f64_e32 v[1:2], v[1:2], v[15:16]
	s_wait_alu 0xfffe
	s_and_not1_b32 exec_lo, exec_lo, s1
	s_cbranch_execnz .LBB115_29
; %bb.30:
	s_or_b32 exec_lo, exec_lo, s1
	v_mov_b32_e32 v7, 0
	ds_load_b128 v[7:10], v7 offset:64
	s_wait_dscnt 0x0
	v_mul_f64_e32 v[11:12], v[1:2], v[9:10]
	v_mul_f64_e32 v[15:16], v[3:4], v[9:10]
	s_delay_alu instid0(VALU_DEP_2) | instskip(NEXT) | instid1(VALU_DEP_2)
	v_fma_f64 v[9:10], v[3:4], v[7:8], -v[11:12]
	v_fma_f64 v[11:12], v[1:2], v[7:8], v[15:16]
	scratch_store_b128 off, v[9:12], off offset:80
.LBB115_31:
	s_wait_alu 0xfffe
	s_or_b32 exec_lo, exec_lo, s0
	s_wait_loadcnt 0x0
	s_wait_storecnt 0x0
	s_barrier_signal -1
	s_barrier_wait -1
	global_inv scope:SCOPE_SE
	scratch_load_b128 v[1:4], off, s60
	;; [unrolled: 58-line block ×19, first 2 shown]
	s_mov_b32 s0, exec_lo
	s_wait_loadcnt 0x0
	ds_store_b128 v5, v[1:4]
	s_wait_dscnt 0x0
	s_barrier_signal -1
	s_barrier_wait -1
	global_inv scope:SCOPE_SE
	v_cmpx_gt_u32_e32 22, v0
	s_cbranch_execz .LBB115_103
; %bb.100:
	v_dual_mov_b32 v1, 0 :: v_dual_add_nc_u32 v8, 0x340, v13
	v_mov_b32_e32 v3, 0
	v_dual_mov_b32 v2, 0 :: v_dual_add_nc_u32 v7, -1, v0
	v_mov_b32_e32 v4, 0
	v_or_b32_e32 v9, 8, v14
	s_mov_b32 s1, 0
.LBB115_101:                            ; =>This Inner Loop Header: Depth=1
	scratch_load_b128 v[15:18], v9, off offset:-8
	ds_load_b128 v[19:22], v8
	v_add_nc_u32_e32 v7, 1, v7
	v_add_nc_u32_e32 v8, 16, v8
	v_add_nc_u32_e32 v9, 16, v9
	s_delay_alu instid0(VALU_DEP_3)
	v_cmp_lt_u32_e32 vcc_lo, 20, v7
	s_wait_alu 0xfffe
	s_or_b32 s1, vcc_lo, s1
	s_wait_loadcnt_dscnt 0x0
	v_mul_f64_e32 v[10:11], v[21:22], v[17:18]
	v_mul_f64_e32 v[17:18], v[19:20], v[17:18]
	s_delay_alu instid0(VALU_DEP_2) | instskip(NEXT) | instid1(VALU_DEP_2)
	v_fma_f64 v[10:11], v[19:20], v[15:16], -v[10:11]
	v_fma_f64 v[15:16], v[21:22], v[15:16], v[17:18]
	s_delay_alu instid0(VALU_DEP_2) | instskip(NEXT) | instid1(VALU_DEP_2)
	v_add_f64_e32 v[3:4], v[3:4], v[10:11]
	v_add_f64_e32 v[1:2], v[1:2], v[15:16]
	s_wait_alu 0xfffe
	s_and_not1_b32 exec_lo, exec_lo, s1
	s_cbranch_execnz .LBB115_101
; %bb.102:
	s_or_b32 exec_lo, exec_lo, s1
	v_mov_b32_e32 v7, 0
	ds_load_b128 v[7:10], v7 offset:352
	s_wait_dscnt 0x0
	v_mul_f64_e32 v[11:12], v[1:2], v[9:10]
	v_mul_f64_e32 v[15:16], v[3:4], v[9:10]
	s_delay_alu instid0(VALU_DEP_2) | instskip(NEXT) | instid1(VALU_DEP_2)
	v_fma_f64 v[9:10], v[3:4], v[7:8], -v[11:12]
	v_fma_f64 v[11:12], v[1:2], v[7:8], v[15:16]
	scratch_store_b128 off, v[9:12], off offset:368
.LBB115_103:
	s_wait_alu 0xfffe
	s_or_b32 exec_lo, exec_lo, s0
	s_wait_loadcnt 0x0
	s_wait_storecnt 0x0
	s_barrier_signal -1
	s_barrier_wait -1
	global_inv scope:SCOPE_SE
	scratch_load_b128 v[1:4], off, s42
	s_mov_b32 s0, exec_lo
	s_wait_loadcnt 0x0
	ds_store_b128 v5, v[1:4]
	s_wait_dscnt 0x0
	s_barrier_signal -1
	s_barrier_wait -1
	global_inv scope:SCOPE_SE
	v_cmpx_gt_u32_e32 23, v0
	s_cbranch_execz .LBB115_107
; %bb.104:
	v_dual_mov_b32 v1, 0 :: v_dual_add_nc_u32 v8, 0x340, v13
	v_mov_b32_e32 v3, 0
	v_dual_mov_b32 v2, 0 :: v_dual_add_nc_u32 v7, -1, v0
	v_mov_b32_e32 v4, 0
	v_or_b32_e32 v9, 8, v14
	s_mov_b32 s1, 0
.LBB115_105:                            ; =>This Inner Loop Header: Depth=1
	scratch_load_b128 v[15:18], v9, off offset:-8
	ds_load_b128 v[19:22], v8
	v_add_nc_u32_e32 v7, 1, v7
	v_add_nc_u32_e32 v8, 16, v8
	v_add_nc_u32_e32 v9, 16, v9
	s_delay_alu instid0(VALU_DEP_3)
	v_cmp_lt_u32_e32 vcc_lo, 21, v7
	s_wait_alu 0xfffe
	s_or_b32 s1, vcc_lo, s1
	s_wait_loadcnt_dscnt 0x0
	v_mul_f64_e32 v[10:11], v[21:22], v[17:18]
	v_mul_f64_e32 v[17:18], v[19:20], v[17:18]
	s_delay_alu instid0(VALU_DEP_2) | instskip(NEXT) | instid1(VALU_DEP_2)
	v_fma_f64 v[10:11], v[19:20], v[15:16], -v[10:11]
	v_fma_f64 v[15:16], v[21:22], v[15:16], v[17:18]
	s_delay_alu instid0(VALU_DEP_2) | instskip(NEXT) | instid1(VALU_DEP_2)
	v_add_f64_e32 v[3:4], v[3:4], v[10:11]
	v_add_f64_e32 v[1:2], v[1:2], v[15:16]
	s_wait_alu 0xfffe
	s_and_not1_b32 exec_lo, exec_lo, s1
	s_cbranch_execnz .LBB115_105
; %bb.106:
	s_or_b32 exec_lo, exec_lo, s1
	v_mov_b32_e32 v7, 0
	ds_load_b128 v[7:10], v7 offset:368
	s_wait_dscnt 0x0
	v_mul_f64_e32 v[11:12], v[1:2], v[9:10]
	v_mul_f64_e32 v[15:16], v[3:4], v[9:10]
	s_delay_alu instid0(VALU_DEP_2) | instskip(NEXT) | instid1(VALU_DEP_2)
	v_fma_f64 v[9:10], v[3:4], v[7:8], -v[11:12]
	v_fma_f64 v[11:12], v[1:2], v[7:8], v[15:16]
	scratch_store_b128 off, v[9:12], off offset:384
.LBB115_107:
	s_wait_alu 0xfffe
	s_or_b32 exec_lo, exec_lo, s0
	s_wait_loadcnt 0x0
	s_wait_storecnt 0x0
	s_barrier_signal -1
	s_barrier_wait -1
	global_inv scope:SCOPE_SE
	scratch_load_b128 v[1:4], off, s41
	;; [unrolled: 58-line block ×29, first 2 shown]
	s_mov_b32 s0, exec_lo
	s_wait_loadcnt 0x0
	ds_store_b128 v5, v[1:4]
	s_wait_dscnt 0x0
	s_barrier_signal -1
	s_barrier_wait -1
	global_inv scope:SCOPE_SE
	v_cmpx_ne_u32_e32 51, v0
	s_cbranch_execz .LBB115_219
; %bb.216:
	v_mov_b32_e32 v1, 0
	v_dual_mov_b32 v2, 0 :: v_dual_mov_b32 v3, 0
	v_mov_b32_e32 v4, 0
	v_or_b32_e32 v7, 8, v14
	s_mov_b32 s1, 0
.LBB115_217:                            ; =>This Inner Loop Header: Depth=1
	scratch_load_b128 v[8:11], v7, off offset:-8
	ds_load_b128 v[12:15], v5
	v_add_nc_u32_e32 v6, 1, v6
	v_add_nc_u32_e32 v5, 16, v5
	;; [unrolled: 1-line block ×3, first 2 shown]
	s_delay_alu instid0(VALU_DEP_3)
	v_cmp_lt_u32_e32 vcc_lo, 49, v6
	s_wait_alu 0xfffe
	s_or_b32 s1, vcc_lo, s1
	s_wait_loadcnt_dscnt 0x0
	v_mul_f64_e32 v[16:17], v[14:15], v[10:11]
	v_mul_f64_e32 v[10:11], v[12:13], v[10:11]
	s_delay_alu instid0(VALU_DEP_2) | instskip(NEXT) | instid1(VALU_DEP_2)
	v_fma_f64 v[12:13], v[12:13], v[8:9], -v[16:17]
	v_fma_f64 v[8:9], v[14:15], v[8:9], v[10:11]
	s_delay_alu instid0(VALU_DEP_2) | instskip(NEXT) | instid1(VALU_DEP_2)
	v_add_f64_e32 v[3:4], v[3:4], v[12:13]
	v_add_f64_e32 v[1:2], v[1:2], v[8:9]
	s_wait_alu 0xfffe
	s_and_not1_b32 exec_lo, exec_lo, s1
	s_cbranch_execnz .LBB115_217
; %bb.218:
	s_or_b32 exec_lo, exec_lo, s1
	v_mov_b32_e32 v5, 0
	ds_load_b128 v[5:8], v5 offset:816
	s_wait_dscnt 0x0
	v_mul_f64_e32 v[9:10], v[1:2], v[7:8]
	v_mul_f64_e32 v[7:8], v[3:4], v[7:8]
	s_delay_alu instid0(VALU_DEP_2) | instskip(NEXT) | instid1(VALU_DEP_2)
	v_fma_f64 v[3:4], v[3:4], v[5:6], -v[9:10]
	v_fma_f64 v[5:6], v[1:2], v[5:6], v[7:8]
	scratch_store_b128 off, v[3:6], off offset:832
.LBB115_219:
	s_wait_alu 0xfffe
	s_or_b32 exec_lo, exec_lo, s0
	s_mov_b32 s1, -1
	s_wait_loadcnt 0x0
	s_wait_storecnt 0x0
	s_barrier_signal -1
	s_barrier_wait -1
	global_inv scope:SCOPE_SE
.LBB115_220:
	s_wait_alu 0xfffe
	s_and_b32 vcc_lo, exec_lo, s1
	s_wait_alu 0xfffe
	s_cbranch_vccz .LBB115_222
; %bb.221:
	v_mov_b32_e32 v1, 0
	s_lshl_b64 s[0:1], s[8:9], 2
	s_wait_alu 0xfffe
	s_add_nc_u64 s[0:1], s[6:7], s[0:1]
	global_load_b32 v1, v1, s[0:1]
	s_wait_loadcnt 0x0
	v_cmp_ne_u32_e32 vcc_lo, 0, v1
	s_cbranch_vccz .LBB115_223
.LBB115_222:
	s_nop 0
	s_sendmsg sendmsg(MSG_DEALLOC_VGPRS)
	s_endpgm
.LBB115_223:
	v_lshl_add_u32 v150, v0, 4, 0x340
	s_mov_b32 s0, exec_lo
	v_cmpx_eq_u32_e32 51, v0
	s_cbranch_execz .LBB115_225
; %bb.224:
	scratch_load_b128 v[1:4], off, s11
	v_mov_b32_e32 v5, 0
	s_delay_alu instid0(VALU_DEP_1)
	v_dual_mov_b32 v6, v5 :: v_dual_mov_b32 v7, v5
	v_mov_b32_e32 v8, v5
	scratch_store_b128 off, v[5:8], off offset:816
	s_wait_loadcnt 0x0
	ds_store_b128 v150, v[1:4]
.LBB115_225:
	s_wait_alu 0xfffe
	s_or_b32 exec_lo, exec_lo, s0
	s_wait_storecnt_dscnt 0x0
	s_barrier_signal -1
	s_barrier_wait -1
	global_inv scope:SCOPE_SE
	s_clause 0x1
	scratch_load_b128 v[2:5], off, off offset:832
	scratch_load_b128 v[6:9], off, off offset:816
	v_mov_b32_e32 v1, 0
	s_mov_b32 s0, exec_lo
	ds_load_b128 v[10:13], v1 offset:1648
	s_wait_loadcnt_dscnt 0x100
	v_mul_f64_e32 v[14:15], v[12:13], v[4:5]
	v_mul_f64_e32 v[4:5], v[10:11], v[4:5]
	s_delay_alu instid0(VALU_DEP_2) | instskip(NEXT) | instid1(VALU_DEP_2)
	v_fma_f64 v[10:11], v[10:11], v[2:3], -v[14:15]
	v_fma_f64 v[2:3], v[12:13], v[2:3], v[4:5]
	s_delay_alu instid0(VALU_DEP_2) | instskip(NEXT) | instid1(VALU_DEP_2)
	v_add_f64_e32 v[4:5], 0, v[10:11]
	v_add_f64_e32 v[10:11], 0, v[2:3]
	s_wait_loadcnt 0x0
	s_delay_alu instid0(VALU_DEP_2) | instskip(NEXT) | instid1(VALU_DEP_2)
	v_add_f64_e64 v[2:3], v[6:7], -v[4:5]
	v_add_f64_e64 v[4:5], v[8:9], -v[10:11]
	scratch_store_b128 off, v[2:5], off offset:816
	v_cmpx_lt_u32_e32 49, v0
	s_cbranch_execz .LBB115_227
; %bb.226:
	scratch_load_b128 v[5:8], off, s14
	v_dual_mov_b32 v2, v1 :: v_dual_mov_b32 v3, v1
	v_mov_b32_e32 v4, v1
	scratch_store_b128 off, v[1:4], off offset:800
	s_wait_loadcnt 0x0
	ds_store_b128 v150, v[5:8]
.LBB115_227:
	s_wait_alu 0xfffe
	s_or_b32 exec_lo, exec_lo, s0
	s_wait_storecnt_dscnt 0x0
	s_barrier_signal -1
	s_barrier_wait -1
	global_inv scope:SCOPE_SE
	s_clause 0x2
	scratch_load_b128 v[2:5], off, off offset:816
	scratch_load_b128 v[6:9], off, off offset:832
	;; [unrolled: 1-line block ×3, first 2 shown]
	ds_load_b128 v[14:17], v1 offset:1632
	ds_load_b128 v[18:21], v1 offset:1648
	s_mov_b32 s0, exec_lo
	s_wait_loadcnt_dscnt 0x201
	v_mul_f64_e32 v[22:23], v[16:17], v[4:5]
	v_mul_f64_e32 v[4:5], v[14:15], v[4:5]
	s_wait_loadcnt_dscnt 0x100
	v_mul_f64_e32 v[24:25], v[18:19], v[8:9]
	v_mul_f64_e32 v[8:9], v[20:21], v[8:9]
	s_delay_alu instid0(VALU_DEP_4) | instskip(NEXT) | instid1(VALU_DEP_4)
	v_fma_f64 v[14:15], v[14:15], v[2:3], -v[22:23]
	v_fma_f64 v[1:2], v[16:17], v[2:3], v[4:5]
	s_delay_alu instid0(VALU_DEP_4) | instskip(NEXT) | instid1(VALU_DEP_4)
	v_fma_f64 v[3:4], v[20:21], v[6:7], v[24:25]
	v_fma_f64 v[5:6], v[18:19], v[6:7], -v[8:9]
	s_delay_alu instid0(VALU_DEP_4) | instskip(NEXT) | instid1(VALU_DEP_4)
	v_add_f64_e32 v[7:8], 0, v[14:15]
	v_add_f64_e32 v[1:2], 0, v[1:2]
	s_delay_alu instid0(VALU_DEP_2) | instskip(NEXT) | instid1(VALU_DEP_2)
	v_add_f64_e32 v[5:6], v[7:8], v[5:6]
	v_add_f64_e32 v[3:4], v[1:2], v[3:4]
	s_wait_loadcnt 0x0
	s_delay_alu instid0(VALU_DEP_2) | instskip(NEXT) | instid1(VALU_DEP_2)
	v_add_f64_e64 v[1:2], v[10:11], -v[5:6]
	v_add_f64_e64 v[3:4], v[12:13], -v[3:4]
	scratch_store_b128 off, v[1:4], off offset:800
	v_cmpx_lt_u32_e32 48, v0
	s_cbranch_execz .LBB115_229
; %bb.228:
	scratch_load_b128 v[1:4], off, s16
	v_mov_b32_e32 v5, 0
	s_delay_alu instid0(VALU_DEP_1)
	v_dual_mov_b32 v6, v5 :: v_dual_mov_b32 v7, v5
	v_mov_b32_e32 v8, v5
	scratch_store_b128 off, v[5:8], off offset:784
	s_wait_loadcnt 0x0
	ds_store_b128 v150, v[1:4]
.LBB115_229:
	s_wait_alu 0xfffe
	s_or_b32 exec_lo, exec_lo, s0
	s_wait_storecnt_dscnt 0x0
	s_barrier_signal -1
	s_barrier_wait -1
	global_inv scope:SCOPE_SE
	s_clause 0x3
	scratch_load_b128 v[2:5], off, off offset:800
	scratch_load_b128 v[6:9], off, off offset:816
	;; [unrolled: 1-line block ×4, first 2 shown]
	v_mov_b32_e32 v1, 0
	ds_load_b128 v[18:21], v1 offset:1616
	ds_load_b128 v[22:25], v1 offset:1632
	s_mov_b32 s0, exec_lo
	s_wait_loadcnt_dscnt 0x301
	v_mul_f64_e32 v[26:27], v[20:21], v[4:5]
	v_mul_f64_e32 v[4:5], v[18:19], v[4:5]
	s_wait_loadcnt_dscnt 0x200
	v_mul_f64_e32 v[28:29], v[22:23], v[8:9]
	v_mul_f64_e32 v[8:9], v[24:25], v[8:9]
	s_delay_alu instid0(VALU_DEP_4) | instskip(NEXT) | instid1(VALU_DEP_4)
	v_fma_f64 v[18:19], v[18:19], v[2:3], -v[26:27]
	v_fma_f64 v[20:21], v[20:21], v[2:3], v[4:5]
	ds_load_b128 v[2:5], v1 offset:1648
	v_fma_f64 v[24:25], v[24:25], v[6:7], v[28:29]
	v_fma_f64 v[6:7], v[22:23], v[6:7], -v[8:9]
	s_wait_loadcnt_dscnt 0x100
	v_mul_f64_e32 v[26:27], v[2:3], v[12:13]
	v_mul_f64_e32 v[12:13], v[4:5], v[12:13]
	v_add_f64_e32 v[8:9], 0, v[18:19]
	v_add_f64_e32 v[18:19], 0, v[20:21]
	s_delay_alu instid0(VALU_DEP_4) | instskip(NEXT) | instid1(VALU_DEP_4)
	v_fma_f64 v[4:5], v[4:5], v[10:11], v[26:27]
	v_fma_f64 v[2:3], v[2:3], v[10:11], -v[12:13]
	s_delay_alu instid0(VALU_DEP_4) | instskip(NEXT) | instid1(VALU_DEP_4)
	v_add_f64_e32 v[6:7], v[8:9], v[6:7]
	v_add_f64_e32 v[8:9], v[18:19], v[24:25]
	s_delay_alu instid0(VALU_DEP_2) | instskip(NEXT) | instid1(VALU_DEP_2)
	v_add_f64_e32 v[2:3], v[6:7], v[2:3]
	v_add_f64_e32 v[4:5], v[8:9], v[4:5]
	s_wait_loadcnt 0x0
	s_delay_alu instid0(VALU_DEP_2) | instskip(NEXT) | instid1(VALU_DEP_2)
	v_add_f64_e64 v[2:3], v[14:15], -v[2:3]
	v_add_f64_e64 v[4:5], v[16:17], -v[4:5]
	scratch_store_b128 off, v[2:5], off offset:784
	v_cmpx_lt_u32_e32 47, v0
	s_cbranch_execz .LBB115_231
; %bb.230:
	scratch_load_b128 v[5:8], off, s17
	v_dual_mov_b32 v2, v1 :: v_dual_mov_b32 v3, v1
	v_mov_b32_e32 v4, v1
	scratch_store_b128 off, v[1:4], off offset:768
	s_wait_loadcnt 0x0
	ds_store_b128 v150, v[5:8]
.LBB115_231:
	s_wait_alu 0xfffe
	s_or_b32 exec_lo, exec_lo, s0
	s_wait_storecnt_dscnt 0x0
	s_barrier_signal -1
	s_barrier_wait -1
	global_inv scope:SCOPE_SE
	s_clause 0x4
	scratch_load_b128 v[2:5], off, off offset:784
	scratch_load_b128 v[6:9], off, off offset:800
	;; [unrolled: 1-line block ×5, first 2 shown]
	ds_load_b128 v[22:25], v1 offset:1600
	ds_load_b128 v[26:29], v1 offset:1616
	s_mov_b32 s0, exec_lo
	s_wait_loadcnt_dscnt 0x401
	v_mul_f64_e32 v[30:31], v[24:25], v[4:5]
	v_mul_f64_e32 v[4:5], v[22:23], v[4:5]
	s_wait_loadcnt_dscnt 0x300
	v_mul_f64_e32 v[32:33], v[26:27], v[8:9]
	v_mul_f64_e32 v[8:9], v[28:29], v[8:9]
	s_delay_alu instid0(VALU_DEP_4) | instskip(NEXT) | instid1(VALU_DEP_4)
	v_fma_f64 v[30:31], v[22:23], v[2:3], -v[30:31]
	v_fma_f64 v[34:35], v[24:25], v[2:3], v[4:5]
	ds_load_b128 v[2:5], v1 offset:1632
	ds_load_b128 v[22:25], v1 offset:1648
	v_fma_f64 v[28:29], v[28:29], v[6:7], v[32:33]
	v_fma_f64 v[6:7], v[26:27], v[6:7], -v[8:9]
	s_wait_loadcnt_dscnt 0x201
	v_mul_f64_e32 v[36:37], v[2:3], v[12:13]
	v_mul_f64_e32 v[12:13], v[4:5], v[12:13]
	v_add_f64_e32 v[8:9], 0, v[30:31]
	v_add_f64_e32 v[26:27], 0, v[34:35]
	s_wait_loadcnt_dscnt 0x100
	v_mul_f64_e32 v[30:31], v[22:23], v[16:17]
	v_mul_f64_e32 v[16:17], v[24:25], v[16:17]
	v_fma_f64 v[4:5], v[4:5], v[10:11], v[36:37]
	v_fma_f64 v[1:2], v[2:3], v[10:11], -v[12:13]
	v_add_f64_e32 v[6:7], v[8:9], v[6:7]
	v_add_f64_e32 v[8:9], v[26:27], v[28:29]
	v_fma_f64 v[10:11], v[24:25], v[14:15], v[30:31]
	v_fma_f64 v[12:13], v[22:23], v[14:15], -v[16:17]
	s_delay_alu instid0(VALU_DEP_4) | instskip(NEXT) | instid1(VALU_DEP_4)
	v_add_f64_e32 v[1:2], v[6:7], v[1:2]
	v_add_f64_e32 v[3:4], v[8:9], v[4:5]
	s_delay_alu instid0(VALU_DEP_2) | instskip(NEXT) | instid1(VALU_DEP_2)
	v_add_f64_e32 v[1:2], v[1:2], v[12:13]
	v_add_f64_e32 v[3:4], v[3:4], v[10:11]
	s_wait_loadcnt 0x0
	s_delay_alu instid0(VALU_DEP_2) | instskip(NEXT) | instid1(VALU_DEP_2)
	v_add_f64_e64 v[1:2], v[18:19], -v[1:2]
	v_add_f64_e64 v[3:4], v[20:21], -v[3:4]
	scratch_store_b128 off, v[1:4], off offset:768
	v_cmpx_lt_u32_e32 46, v0
	s_cbranch_execz .LBB115_233
; %bb.232:
	scratch_load_b128 v[1:4], off, s18
	v_mov_b32_e32 v5, 0
	s_delay_alu instid0(VALU_DEP_1)
	v_dual_mov_b32 v6, v5 :: v_dual_mov_b32 v7, v5
	v_mov_b32_e32 v8, v5
	scratch_store_b128 off, v[5:8], off offset:752
	s_wait_loadcnt 0x0
	ds_store_b128 v150, v[1:4]
.LBB115_233:
	s_wait_alu 0xfffe
	s_or_b32 exec_lo, exec_lo, s0
	s_wait_storecnt_dscnt 0x0
	s_barrier_signal -1
	s_barrier_wait -1
	global_inv scope:SCOPE_SE
	s_clause 0x5
	scratch_load_b128 v[2:5], off, off offset:768
	scratch_load_b128 v[6:9], off, off offset:784
	;; [unrolled: 1-line block ×6, first 2 shown]
	v_mov_b32_e32 v1, 0
	ds_load_b128 v[26:29], v1 offset:1584
	ds_load_b128 v[30:33], v1 offset:1600
	s_mov_b32 s0, exec_lo
	s_wait_loadcnt_dscnt 0x501
	v_mul_f64_e32 v[34:35], v[28:29], v[4:5]
	v_mul_f64_e32 v[4:5], v[26:27], v[4:5]
	s_wait_loadcnt_dscnt 0x400
	v_mul_f64_e32 v[36:37], v[30:31], v[8:9]
	v_mul_f64_e32 v[8:9], v[32:33], v[8:9]
	s_delay_alu instid0(VALU_DEP_4) | instskip(NEXT) | instid1(VALU_DEP_4)
	v_fma_f64 v[34:35], v[26:27], v[2:3], -v[34:35]
	v_fma_f64 v[38:39], v[28:29], v[2:3], v[4:5]
	ds_load_b128 v[2:5], v1 offset:1616
	ds_load_b128 v[26:29], v1 offset:1632
	v_fma_f64 v[32:33], v[32:33], v[6:7], v[36:37]
	v_fma_f64 v[6:7], v[30:31], v[6:7], -v[8:9]
	s_wait_loadcnt_dscnt 0x301
	v_mul_f64_e32 v[40:41], v[2:3], v[12:13]
	v_mul_f64_e32 v[12:13], v[4:5], v[12:13]
	v_add_f64_e32 v[8:9], 0, v[34:35]
	v_add_f64_e32 v[30:31], 0, v[38:39]
	s_wait_loadcnt_dscnt 0x200
	v_mul_f64_e32 v[34:35], v[26:27], v[16:17]
	v_mul_f64_e32 v[16:17], v[28:29], v[16:17]
	v_fma_f64 v[36:37], v[4:5], v[10:11], v[40:41]
	v_fma_f64 v[10:11], v[2:3], v[10:11], -v[12:13]
	ds_load_b128 v[2:5], v1 offset:1648
	v_add_f64_e32 v[6:7], v[8:9], v[6:7]
	v_add_f64_e32 v[8:9], v[30:31], v[32:33]
	v_fma_f64 v[28:29], v[28:29], v[14:15], v[34:35]
	v_fma_f64 v[14:15], v[26:27], v[14:15], -v[16:17]
	s_wait_loadcnt_dscnt 0x100
	v_mul_f64_e32 v[12:13], v[2:3], v[20:21]
	v_mul_f64_e32 v[20:21], v[4:5], v[20:21]
	v_add_f64_e32 v[6:7], v[6:7], v[10:11]
	v_add_f64_e32 v[8:9], v[8:9], v[36:37]
	s_delay_alu instid0(VALU_DEP_4) | instskip(NEXT) | instid1(VALU_DEP_4)
	v_fma_f64 v[4:5], v[4:5], v[18:19], v[12:13]
	v_fma_f64 v[2:3], v[2:3], v[18:19], -v[20:21]
	s_delay_alu instid0(VALU_DEP_4) | instskip(NEXT) | instid1(VALU_DEP_4)
	v_add_f64_e32 v[6:7], v[6:7], v[14:15]
	v_add_f64_e32 v[8:9], v[8:9], v[28:29]
	s_delay_alu instid0(VALU_DEP_2) | instskip(NEXT) | instid1(VALU_DEP_2)
	v_add_f64_e32 v[2:3], v[6:7], v[2:3]
	v_add_f64_e32 v[4:5], v[8:9], v[4:5]
	s_wait_loadcnt 0x0
	s_delay_alu instid0(VALU_DEP_2) | instskip(NEXT) | instid1(VALU_DEP_2)
	v_add_f64_e64 v[2:3], v[22:23], -v[2:3]
	v_add_f64_e64 v[4:5], v[24:25], -v[4:5]
	scratch_store_b128 off, v[2:5], off offset:752
	v_cmpx_lt_u32_e32 45, v0
	s_cbranch_execz .LBB115_235
; %bb.234:
	scratch_load_b128 v[5:8], off, s19
	v_dual_mov_b32 v2, v1 :: v_dual_mov_b32 v3, v1
	v_mov_b32_e32 v4, v1
	scratch_store_b128 off, v[1:4], off offset:736
	s_wait_loadcnt 0x0
	ds_store_b128 v150, v[5:8]
.LBB115_235:
	s_wait_alu 0xfffe
	s_or_b32 exec_lo, exec_lo, s0
	s_wait_storecnt_dscnt 0x0
	s_barrier_signal -1
	s_barrier_wait -1
	global_inv scope:SCOPE_SE
	s_clause 0x5
	scratch_load_b128 v[2:5], off, off offset:752
	scratch_load_b128 v[6:9], off, off offset:768
	scratch_load_b128 v[10:13], off, off offset:784
	scratch_load_b128 v[14:17], off, off offset:800
	scratch_load_b128 v[18:21], off, off offset:816
	scratch_load_b128 v[22:25], off, off offset:832
	ds_load_b128 v[26:29], v1 offset:1568
	ds_load_b128 v[34:37], v1 offset:1584
	scratch_load_b128 v[30:33], off, off offset:736
	s_mov_b32 s0, exec_lo
	s_wait_loadcnt_dscnt 0x601
	v_mul_f64_e32 v[38:39], v[28:29], v[4:5]
	v_mul_f64_e32 v[4:5], v[26:27], v[4:5]
	s_wait_loadcnt_dscnt 0x500
	v_mul_f64_e32 v[40:41], v[34:35], v[8:9]
	v_mul_f64_e32 v[8:9], v[36:37], v[8:9]
	s_delay_alu instid0(VALU_DEP_4) | instskip(NEXT) | instid1(VALU_DEP_4)
	v_fma_f64 v[38:39], v[26:27], v[2:3], -v[38:39]
	v_fma_f64 v[42:43], v[28:29], v[2:3], v[4:5]
	ds_load_b128 v[2:5], v1 offset:1600
	ds_load_b128 v[26:29], v1 offset:1616
	v_fma_f64 v[36:37], v[36:37], v[6:7], v[40:41]
	v_fma_f64 v[6:7], v[34:35], v[6:7], -v[8:9]
	s_wait_loadcnt_dscnt 0x401
	v_mul_f64_e32 v[44:45], v[2:3], v[12:13]
	v_mul_f64_e32 v[12:13], v[4:5], v[12:13]
	v_add_f64_e32 v[8:9], 0, v[38:39]
	v_add_f64_e32 v[34:35], 0, v[42:43]
	s_wait_loadcnt_dscnt 0x300
	v_mul_f64_e32 v[38:39], v[26:27], v[16:17]
	v_mul_f64_e32 v[16:17], v[28:29], v[16:17]
	v_fma_f64 v[40:41], v[4:5], v[10:11], v[44:45]
	v_fma_f64 v[10:11], v[2:3], v[10:11], -v[12:13]
	v_add_f64_e32 v[12:13], v[8:9], v[6:7]
	v_add_f64_e32 v[34:35], v[34:35], v[36:37]
	ds_load_b128 v[2:5], v1 offset:1632
	ds_load_b128 v[6:9], v1 offset:1648
	v_fma_f64 v[28:29], v[28:29], v[14:15], v[38:39]
	v_fma_f64 v[14:15], v[26:27], v[14:15], -v[16:17]
	s_wait_loadcnt_dscnt 0x201
	v_mul_f64_e32 v[36:37], v[2:3], v[20:21]
	v_mul_f64_e32 v[20:21], v[4:5], v[20:21]
	s_wait_loadcnt_dscnt 0x100
	v_mul_f64_e32 v[16:17], v[6:7], v[24:25]
	v_mul_f64_e32 v[24:25], v[8:9], v[24:25]
	v_add_f64_e32 v[10:11], v[12:13], v[10:11]
	v_add_f64_e32 v[12:13], v[34:35], v[40:41]
	v_fma_f64 v[4:5], v[4:5], v[18:19], v[36:37]
	v_fma_f64 v[1:2], v[2:3], v[18:19], -v[20:21]
	v_fma_f64 v[8:9], v[8:9], v[22:23], v[16:17]
	v_fma_f64 v[6:7], v[6:7], v[22:23], -v[24:25]
	v_add_f64_e32 v[10:11], v[10:11], v[14:15]
	v_add_f64_e32 v[12:13], v[12:13], v[28:29]
	s_delay_alu instid0(VALU_DEP_2) | instskip(NEXT) | instid1(VALU_DEP_2)
	v_add_f64_e32 v[1:2], v[10:11], v[1:2]
	v_add_f64_e32 v[3:4], v[12:13], v[4:5]
	s_delay_alu instid0(VALU_DEP_2) | instskip(NEXT) | instid1(VALU_DEP_2)
	v_add_f64_e32 v[1:2], v[1:2], v[6:7]
	v_add_f64_e32 v[3:4], v[3:4], v[8:9]
	s_wait_loadcnt 0x0
	s_delay_alu instid0(VALU_DEP_2) | instskip(NEXT) | instid1(VALU_DEP_2)
	v_add_f64_e64 v[1:2], v[30:31], -v[1:2]
	v_add_f64_e64 v[3:4], v[32:33], -v[3:4]
	scratch_store_b128 off, v[1:4], off offset:736
	v_cmpx_lt_u32_e32 44, v0
	s_cbranch_execz .LBB115_237
; %bb.236:
	scratch_load_b128 v[1:4], off, s20
	v_mov_b32_e32 v5, 0
	s_delay_alu instid0(VALU_DEP_1)
	v_dual_mov_b32 v6, v5 :: v_dual_mov_b32 v7, v5
	v_mov_b32_e32 v8, v5
	scratch_store_b128 off, v[5:8], off offset:720
	s_wait_loadcnt 0x0
	ds_store_b128 v150, v[1:4]
.LBB115_237:
	s_wait_alu 0xfffe
	s_or_b32 exec_lo, exec_lo, s0
	s_wait_storecnt_dscnt 0x0
	s_barrier_signal -1
	s_barrier_wait -1
	global_inv scope:SCOPE_SE
	s_clause 0x6
	scratch_load_b128 v[2:5], off, off offset:736
	scratch_load_b128 v[6:9], off, off offset:752
	scratch_load_b128 v[10:13], off, off offset:768
	scratch_load_b128 v[14:17], off, off offset:784
	scratch_load_b128 v[18:21], off, off offset:800
	scratch_load_b128 v[22:25], off, off offset:816
	scratch_load_b128 v[26:29], off, off offset:832
	v_mov_b32_e32 v1, 0
	scratch_load_b128 v[34:37], off, off offset:720
	s_mov_b32 s0, exec_lo
	ds_load_b128 v[30:33], v1 offset:1552
	ds_load_b128 v[38:41], v1 offset:1568
	s_wait_loadcnt_dscnt 0x701
	v_mul_f64_e32 v[42:43], v[32:33], v[4:5]
	v_mul_f64_e32 v[4:5], v[30:31], v[4:5]
	s_wait_loadcnt_dscnt 0x600
	v_mul_f64_e32 v[44:45], v[38:39], v[8:9]
	v_mul_f64_e32 v[8:9], v[40:41], v[8:9]
	s_delay_alu instid0(VALU_DEP_4) | instskip(NEXT) | instid1(VALU_DEP_4)
	v_fma_f64 v[42:43], v[30:31], v[2:3], -v[42:43]
	v_fma_f64 v[151:152], v[32:33], v[2:3], v[4:5]
	ds_load_b128 v[2:5], v1 offset:1584
	ds_load_b128 v[30:33], v1 offset:1600
	v_fma_f64 v[40:41], v[40:41], v[6:7], v[44:45]
	v_fma_f64 v[6:7], v[38:39], v[6:7], -v[8:9]
	s_wait_loadcnt_dscnt 0x501
	v_mul_f64_e32 v[153:154], v[2:3], v[12:13]
	v_mul_f64_e32 v[12:13], v[4:5], v[12:13]
	v_add_f64_e32 v[8:9], 0, v[42:43]
	v_add_f64_e32 v[38:39], 0, v[151:152]
	s_wait_loadcnt_dscnt 0x400
	v_mul_f64_e32 v[42:43], v[30:31], v[16:17]
	v_mul_f64_e32 v[16:17], v[32:33], v[16:17]
	v_fma_f64 v[44:45], v[4:5], v[10:11], v[153:154]
	v_fma_f64 v[10:11], v[2:3], v[10:11], -v[12:13]
	v_add_f64_e32 v[12:13], v[8:9], v[6:7]
	v_add_f64_e32 v[38:39], v[38:39], v[40:41]
	ds_load_b128 v[2:5], v1 offset:1616
	ds_load_b128 v[6:9], v1 offset:1632
	v_fma_f64 v[32:33], v[32:33], v[14:15], v[42:43]
	v_fma_f64 v[14:15], v[30:31], v[14:15], -v[16:17]
	s_wait_loadcnt_dscnt 0x301
	v_mul_f64_e32 v[40:41], v[2:3], v[20:21]
	v_mul_f64_e32 v[20:21], v[4:5], v[20:21]
	s_wait_loadcnt_dscnt 0x200
	v_mul_f64_e32 v[16:17], v[6:7], v[24:25]
	v_mul_f64_e32 v[24:25], v[8:9], v[24:25]
	v_add_f64_e32 v[10:11], v[12:13], v[10:11]
	v_add_f64_e32 v[12:13], v[38:39], v[44:45]
	v_fma_f64 v[30:31], v[4:5], v[18:19], v[40:41]
	v_fma_f64 v[18:19], v[2:3], v[18:19], -v[20:21]
	ds_load_b128 v[2:5], v1 offset:1648
	v_fma_f64 v[8:9], v[8:9], v[22:23], v[16:17]
	v_fma_f64 v[6:7], v[6:7], v[22:23], -v[24:25]
	v_add_f64_e32 v[10:11], v[10:11], v[14:15]
	v_add_f64_e32 v[12:13], v[12:13], v[32:33]
	s_wait_loadcnt_dscnt 0x100
	v_mul_f64_e32 v[14:15], v[2:3], v[28:29]
	v_mul_f64_e32 v[20:21], v[4:5], v[28:29]
	s_delay_alu instid0(VALU_DEP_4) | instskip(NEXT) | instid1(VALU_DEP_4)
	v_add_f64_e32 v[10:11], v[10:11], v[18:19]
	v_add_f64_e32 v[12:13], v[12:13], v[30:31]
	s_delay_alu instid0(VALU_DEP_4) | instskip(NEXT) | instid1(VALU_DEP_4)
	v_fma_f64 v[4:5], v[4:5], v[26:27], v[14:15]
	v_fma_f64 v[2:3], v[2:3], v[26:27], -v[20:21]
	s_delay_alu instid0(VALU_DEP_4) | instskip(NEXT) | instid1(VALU_DEP_4)
	v_add_f64_e32 v[6:7], v[10:11], v[6:7]
	v_add_f64_e32 v[8:9], v[12:13], v[8:9]
	s_delay_alu instid0(VALU_DEP_2) | instskip(NEXT) | instid1(VALU_DEP_2)
	v_add_f64_e32 v[2:3], v[6:7], v[2:3]
	v_add_f64_e32 v[4:5], v[8:9], v[4:5]
	s_wait_loadcnt 0x0
	s_delay_alu instid0(VALU_DEP_2) | instskip(NEXT) | instid1(VALU_DEP_2)
	v_add_f64_e64 v[2:3], v[34:35], -v[2:3]
	v_add_f64_e64 v[4:5], v[36:37], -v[4:5]
	scratch_store_b128 off, v[2:5], off offset:720
	v_cmpx_lt_u32_e32 43, v0
	s_cbranch_execz .LBB115_239
; %bb.238:
	scratch_load_b128 v[5:8], off, s21
	v_dual_mov_b32 v2, v1 :: v_dual_mov_b32 v3, v1
	v_mov_b32_e32 v4, v1
	scratch_store_b128 off, v[1:4], off offset:704
	s_wait_loadcnt 0x0
	ds_store_b128 v150, v[5:8]
.LBB115_239:
	s_wait_alu 0xfffe
	s_or_b32 exec_lo, exec_lo, s0
	s_wait_storecnt_dscnt 0x0
	s_barrier_signal -1
	s_barrier_wait -1
	global_inv scope:SCOPE_SE
	s_clause 0x7
	scratch_load_b128 v[2:5], off, off offset:720
	scratch_load_b128 v[6:9], off, off offset:736
	;; [unrolled: 1-line block ×8, first 2 shown]
	ds_load_b128 v[34:37], v1 offset:1536
	ds_load_b128 v[38:41], v1 offset:1552
	scratch_load_b128 v[42:45], off, off offset:704
	s_mov_b32 s0, exec_lo
	s_wait_loadcnt_dscnt 0x801
	v_mul_f64_e32 v[151:152], v[36:37], v[4:5]
	v_mul_f64_e32 v[4:5], v[34:35], v[4:5]
	s_wait_loadcnt_dscnt 0x700
	v_mul_f64_e32 v[153:154], v[38:39], v[8:9]
	v_mul_f64_e32 v[8:9], v[40:41], v[8:9]
	s_delay_alu instid0(VALU_DEP_4) | instskip(NEXT) | instid1(VALU_DEP_4)
	v_fma_f64 v[151:152], v[34:35], v[2:3], -v[151:152]
	v_fma_f64 v[155:156], v[36:37], v[2:3], v[4:5]
	ds_load_b128 v[2:5], v1 offset:1568
	ds_load_b128 v[34:37], v1 offset:1584
	v_fma_f64 v[40:41], v[40:41], v[6:7], v[153:154]
	v_fma_f64 v[6:7], v[38:39], v[6:7], -v[8:9]
	s_wait_loadcnt_dscnt 0x601
	v_mul_f64_e32 v[157:158], v[2:3], v[12:13]
	v_mul_f64_e32 v[12:13], v[4:5], v[12:13]
	v_add_f64_e32 v[8:9], 0, v[151:152]
	v_add_f64_e32 v[38:39], 0, v[155:156]
	s_wait_loadcnt_dscnt 0x500
	v_mul_f64_e32 v[151:152], v[34:35], v[16:17]
	v_mul_f64_e32 v[16:17], v[36:37], v[16:17]
	v_fma_f64 v[153:154], v[4:5], v[10:11], v[157:158]
	v_fma_f64 v[10:11], v[2:3], v[10:11], -v[12:13]
	v_add_f64_e32 v[12:13], v[8:9], v[6:7]
	v_add_f64_e32 v[38:39], v[38:39], v[40:41]
	ds_load_b128 v[2:5], v1 offset:1600
	ds_load_b128 v[6:9], v1 offset:1616
	v_fma_f64 v[36:37], v[36:37], v[14:15], v[151:152]
	v_fma_f64 v[14:15], v[34:35], v[14:15], -v[16:17]
	s_wait_loadcnt_dscnt 0x401
	v_mul_f64_e32 v[40:41], v[2:3], v[20:21]
	v_mul_f64_e32 v[20:21], v[4:5], v[20:21]
	s_wait_loadcnt_dscnt 0x300
	v_mul_f64_e32 v[16:17], v[6:7], v[24:25]
	v_mul_f64_e32 v[24:25], v[8:9], v[24:25]
	v_add_f64_e32 v[10:11], v[12:13], v[10:11]
	v_add_f64_e32 v[12:13], v[38:39], v[153:154]
	v_fma_f64 v[34:35], v[4:5], v[18:19], v[40:41]
	v_fma_f64 v[18:19], v[2:3], v[18:19], -v[20:21]
	v_fma_f64 v[8:9], v[8:9], v[22:23], v[16:17]
	v_fma_f64 v[6:7], v[6:7], v[22:23], -v[24:25]
	v_add_f64_e32 v[14:15], v[10:11], v[14:15]
	v_add_f64_e32 v[20:21], v[12:13], v[36:37]
	ds_load_b128 v[2:5], v1 offset:1632
	ds_load_b128 v[10:13], v1 offset:1648
	s_wait_loadcnt_dscnt 0x201
	v_mul_f64_e32 v[36:37], v[2:3], v[28:29]
	v_mul_f64_e32 v[28:29], v[4:5], v[28:29]
	v_add_f64_e32 v[14:15], v[14:15], v[18:19]
	v_add_f64_e32 v[16:17], v[20:21], v[34:35]
	s_wait_loadcnt_dscnt 0x100
	v_mul_f64_e32 v[18:19], v[10:11], v[32:33]
	v_mul_f64_e32 v[20:21], v[12:13], v[32:33]
	v_fma_f64 v[4:5], v[4:5], v[26:27], v[36:37]
	v_fma_f64 v[1:2], v[2:3], v[26:27], -v[28:29]
	v_add_f64_e32 v[6:7], v[14:15], v[6:7]
	v_add_f64_e32 v[8:9], v[16:17], v[8:9]
	v_fma_f64 v[12:13], v[12:13], v[30:31], v[18:19]
	v_fma_f64 v[10:11], v[10:11], v[30:31], -v[20:21]
	s_delay_alu instid0(VALU_DEP_4) | instskip(NEXT) | instid1(VALU_DEP_4)
	v_add_f64_e32 v[1:2], v[6:7], v[1:2]
	v_add_f64_e32 v[3:4], v[8:9], v[4:5]
	s_delay_alu instid0(VALU_DEP_2) | instskip(NEXT) | instid1(VALU_DEP_2)
	v_add_f64_e32 v[1:2], v[1:2], v[10:11]
	v_add_f64_e32 v[3:4], v[3:4], v[12:13]
	s_wait_loadcnt 0x0
	s_delay_alu instid0(VALU_DEP_2) | instskip(NEXT) | instid1(VALU_DEP_2)
	v_add_f64_e64 v[1:2], v[42:43], -v[1:2]
	v_add_f64_e64 v[3:4], v[44:45], -v[3:4]
	scratch_store_b128 off, v[1:4], off offset:704
	v_cmpx_lt_u32_e32 42, v0
	s_cbranch_execz .LBB115_241
; %bb.240:
	scratch_load_b128 v[1:4], off, s22
	v_mov_b32_e32 v5, 0
	s_delay_alu instid0(VALU_DEP_1)
	v_dual_mov_b32 v6, v5 :: v_dual_mov_b32 v7, v5
	v_mov_b32_e32 v8, v5
	scratch_store_b128 off, v[5:8], off offset:688
	s_wait_loadcnt 0x0
	ds_store_b128 v150, v[1:4]
.LBB115_241:
	s_wait_alu 0xfffe
	s_or_b32 exec_lo, exec_lo, s0
	s_wait_storecnt_dscnt 0x0
	s_barrier_signal -1
	s_barrier_wait -1
	global_inv scope:SCOPE_SE
	s_clause 0x7
	scratch_load_b128 v[2:5], off, off offset:704
	scratch_load_b128 v[6:9], off, off offset:720
	;; [unrolled: 1-line block ×8, first 2 shown]
	v_mov_b32_e32 v1, 0
	s_mov_b32 s0, exec_lo
	ds_load_b128 v[34:37], v1 offset:1520
	s_clause 0x1
	scratch_load_b128 v[38:41], off, off offset:832
	scratch_load_b128 v[42:45], off, off offset:688
	ds_load_b128 v[151:154], v1 offset:1536
	s_wait_loadcnt_dscnt 0x901
	v_mul_f64_e32 v[155:156], v[36:37], v[4:5]
	v_mul_f64_e32 v[4:5], v[34:35], v[4:5]
	s_wait_loadcnt_dscnt 0x800
	v_mul_f64_e32 v[157:158], v[151:152], v[8:9]
	v_mul_f64_e32 v[8:9], v[153:154], v[8:9]
	s_delay_alu instid0(VALU_DEP_4) | instskip(NEXT) | instid1(VALU_DEP_4)
	v_fma_f64 v[155:156], v[34:35], v[2:3], -v[155:156]
	v_fma_f64 v[159:160], v[36:37], v[2:3], v[4:5]
	ds_load_b128 v[2:5], v1 offset:1552
	ds_load_b128 v[34:37], v1 offset:1568
	v_fma_f64 v[153:154], v[153:154], v[6:7], v[157:158]
	v_fma_f64 v[6:7], v[151:152], v[6:7], -v[8:9]
	s_wait_loadcnt_dscnt 0x701
	v_mul_f64_e32 v[161:162], v[2:3], v[12:13]
	v_mul_f64_e32 v[12:13], v[4:5], v[12:13]
	v_add_f64_e32 v[8:9], 0, v[155:156]
	v_add_f64_e32 v[151:152], 0, v[159:160]
	s_wait_loadcnt_dscnt 0x600
	v_mul_f64_e32 v[155:156], v[34:35], v[16:17]
	v_mul_f64_e32 v[16:17], v[36:37], v[16:17]
	v_fma_f64 v[157:158], v[4:5], v[10:11], v[161:162]
	v_fma_f64 v[10:11], v[2:3], v[10:11], -v[12:13]
	v_add_f64_e32 v[12:13], v[8:9], v[6:7]
	v_add_f64_e32 v[151:152], v[151:152], v[153:154]
	ds_load_b128 v[2:5], v1 offset:1584
	ds_load_b128 v[6:9], v1 offset:1600
	v_fma_f64 v[36:37], v[36:37], v[14:15], v[155:156]
	v_fma_f64 v[14:15], v[34:35], v[14:15], -v[16:17]
	s_wait_loadcnt_dscnt 0x501
	v_mul_f64_e32 v[153:154], v[2:3], v[20:21]
	v_mul_f64_e32 v[20:21], v[4:5], v[20:21]
	s_wait_loadcnt_dscnt 0x400
	v_mul_f64_e32 v[16:17], v[6:7], v[24:25]
	v_mul_f64_e32 v[24:25], v[8:9], v[24:25]
	v_add_f64_e32 v[10:11], v[12:13], v[10:11]
	v_add_f64_e32 v[12:13], v[151:152], v[157:158]
	v_fma_f64 v[34:35], v[4:5], v[18:19], v[153:154]
	v_fma_f64 v[18:19], v[2:3], v[18:19], -v[20:21]
	v_fma_f64 v[8:9], v[8:9], v[22:23], v[16:17]
	v_fma_f64 v[6:7], v[6:7], v[22:23], -v[24:25]
	v_add_f64_e32 v[14:15], v[10:11], v[14:15]
	v_add_f64_e32 v[20:21], v[12:13], v[36:37]
	ds_load_b128 v[2:5], v1 offset:1616
	ds_load_b128 v[10:13], v1 offset:1632
	s_wait_loadcnt_dscnt 0x301
	v_mul_f64_e32 v[36:37], v[2:3], v[28:29]
	v_mul_f64_e32 v[28:29], v[4:5], v[28:29]
	v_add_f64_e32 v[14:15], v[14:15], v[18:19]
	v_add_f64_e32 v[16:17], v[20:21], v[34:35]
	s_wait_loadcnt_dscnt 0x200
	v_mul_f64_e32 v[18:19], v[10:11], v[32:33]
	v_mul_f64_e32 v[20:21], v[12:13], v[32:33]
	v_fma_f64 v[22:23], v[4:5], v[26:27], v[36:37]
	v_fma_f64 v[24:25], v[2:3], v[26:27], -v[28:29]
	ds_load_b128 v[2:5], v1 offset:1648
	v_add_f64_e32 v[6:7], v[14:15], v[6:7]
	v_add_f64_e32 v[8:9], v[16:17], v[8:9]
	v_fma_f64 v[12:13], v[12:13], v[30:31], v[18:19]
	v_fma_f64 v[10:11], v[10:11], v[30:31], -v[20:21]
	s_wait_loadcnt_dscnt 0x100
	v_mul_f64_e32 v[14:15], v[2:3], v[40:41]
	v_mul_f64_e32 v[16:17], v[4:5], v[40:41]
	v_add_f64_e32 v[6:7], v[6:7], v[24:25]
	v_add_f64_e32 v[8:9], v[8:9], v[22:23]
	s_delay_alu instid0(VALU_DEP_4) | instskip(NEXT) | instid1(VALU_DEP_4)
	v_fma_f64 v[4:5], v[4:5], v[38:39], v[14:15]
	v_fma_f64 v[2:3], v[2:3], v[38:39], -v[16:17]
	s_delay_alu instid0(VALU_DEP_4) | instskip(NEXT) | instid1(VALU_DEP_4)
	v_add_f64_e32 v[6:7], v[6:7], v[10:11]
	v_add_f64_e32 v[8:9], v[8:9], v[12:13]
	s_delay_alu instid0(VALU_DEP_2) | instskip(NEXT) | instid1(VALU_DEP_2)
	v_add_f64_e32 v[2:3], v[6:7], v[2:3]
	v_add_f64_e32 v[4:5], v[8:9], v[4:5]
	s_wait_loadcnt 0x0
	s_delay_alu instid0(VALU_DEP_2) | instskip(NEXT) | instid1(VALU_DEP_2)
	v_add_f64_e64 v[2:3], v[42:43], -v[2:3]
	v_add_f64_e64 v[4:5], v[44:45], -v[4:5]
	scratch_store_b128 off, v[2:5], off offset:688
	v_cmpx_lt_u32_e32 41, v0
	s_cbranch_execz .LBB115_243
; %bb.242:
	scratch_load_b128 v[5:8], off, s23
	v_dual_mov_b32 v2, v1 :: v_dual_mov_b32 v3, v1
	v_mov_b32_e32 v4, v1
	scratch_store_b128 off, v[1:4], off offset:672
	s_wait_loadcnt 0x0
	ds_store_b128 v150, v[5:8]
.LBB115_243:
	s_wait_alu 0xfffe
	s_or_b32 exec_lo, exec_lo, s0
	s_wait_storecnt_dscnt 0x0
	s_barrier_signal -1
	s_barrier_wait -1
	global_inv scope:SCOPE_SE
	s_clause 0x7
	scratch_load_b128 v[2:5], off, off offset:688
	scratch_load_b128 v[6:9], off, off offset:704
	;; [unrolled: 1-line block ×8, first 2 shown]
	ds_load_b128 v[34:37], v1 offset:1504
	ds_load_b128 v[42:45], v1 offset:1520
	s_clause 0x1
	scratch_load_b128 v[38:41], off, off offset:816
	scratch_load_b128 v[151:154], off, off offset:832
	s_mov_b32 s0, exec_lo
	s_wait_loadcnt_dscnt 0x901
	v_mul_f64_e32 v[155:156], v[36:37], v[4:5]
	v_mul_f64_e32 v[4:5], v[34:35], v[4:5]
	s_wait_loadcnt_dscnt 0x800
	v_mul_f64_e32 v[157:158], v[42:43], v[8:9]
	v_mul_f64_e32 v[8:9], v[44:45], v[8:9]
	s_delay_alu instid0(VALU_DEP_4) | instskip(NEXT) | instid1(VALU_DEP_4)
	v_fma_f64 v[34:35], v[34:35], v[2:3], -v[155:156]
	v_fma_f64 v[36:37], v[36:37], v[2:3], v[4:5]
	ds_load_b128 v[2:5], v1 offset:1536
	v_fma_f64 v[44:45], v[44:45], v[6:7], v[157:158]
	v_fma_f64 v[42:43], v[42:43], v[6:7], -v[8:9]
	ds_load_b128 v[6:9], v1 offset:1552
	s_wait_loadcnt_dscnt 0x701
	v_mul_f64_e32 v[155:156], v[2:3], v[12:13]
	v_mul_f64_e32 v[12:13], v[4:5], v[12:13]
	s_wait_loadcnt_dscnt 0x600
	v_mul_f64_e32 v[157:158], v[6:7], v[16:17]
	v_mul_f64_e32 v[16:17], v[8:9], v[16:17]
	v_add_f64_e32 v[34:35], 0, v[34:35]
	v_add_f64_e32 v[36:37], 0, v[36:37]
	v_fma_f64 v[155:156], v[4:5], v[10:11], v[155:156]
	v_fma_f64 v[159:160], v[2:3], v[10:11], -v[12:13]
	ds_load_b128 v[2:5], v1 offset:1568
	scratch_load_b128 v[10:13], off, off offset:672
	v_add_f64_e32 v[34:35], v[34:35], v[42:43]
	v_add_f64_e32 v[36:37], v[36:37], v[44:45]
	v_fma_f64 v[44:45], v[8:9], v[14:15], v[157:158]
	v_fma_f64 v[14:15], v[6:7], v[14:15], -v[16:17]
	ds_load_b128 v[6:9], v1 offset:1584
	s_wait_loadcnt_dscnt 0x601
	v_mul_f64_e32 v[42:43], v[2:3], v[20:21]
	v_mul_f64_e32 v[20:21], v[4:5], v[20:21]
	v_add_f64_e32 v[16:17], v[34:35], v[159:160]
	v_add_f64_e32 v[34:35], v[36:37], v[155:156]
	s_wait_loadcnt_dscnt 0x500
	v_mul_f64_e32 v[36:37], v[6:7], v[24:25]
	v_mul_f64_e32 v[24:25], v[8:9], v[24:25]
	v_fma_f64 v[42:43], v[4:5], v[18:19], v[42:43]
	v_fma_f64 v[18:19], v[2:3], v[18:19], -v[20:21]
	ds_load_b128 v[2:5], v1 offset:1600
	v_add_f64_e32 v[14:15], v[16:17], v[14:15]
	v_add_f64_e32 v[16:17], v[34:35], v[44:45]
	v_fma_f64 v[34:35], v[8:9], v[22:23], v[36:37]
	v_fma_f64 v[22:23], v[6:7], v[22:23], -v[24:25]
	ds_load_b128 v[6:9], v1 offset:1616
	s_wait_loadcnt_dscnt 0x401
	v_mul_f64_e32 v[20:21], v[2:3], v[28:29]
	v_mul_f64_e32 v[28:29], v[4:5], v[28:29]
	s_wait_loadcnt_dscnt 0x300
	v_mul_f64_e32 v[24:25], v[8:9], v[32:33]
	v_add_f64_e32 v[14:15], v[14:15], v[18:19]
	v_add_f64_e32 v[16:17], v[16:17], v[42:43]
	v_mul_f64_e32 v[18:19], v[6:7], v[32:33]
	v_fma_f64 v[20:21], v[4:5], v[26:27], v[20:21]
	v_fma_f64 v[26:27], v[2:3], v[26:27], -v[28:29]
	ds_load_b128 v[2:5], v1 offset:1632
	v_fma_f64 v[24:25], v[6:7], v[30:31], -v[24:25]
	v_add_f64_e32 v[14:15], v[14:15], v[22:23]
	v_add_f64_e32 v[16:17], v[16:17], v[34:35]
	v_fma_f64 v[18:19], v[8:9], v[30:31], v[18:19]
	ds_load_b128 v[6:9], v1 offset:1648
	s_wait_loadcnt_dscnt 0x201
	v_mul_f64_e32 v[22:23], v[2:3], v[40:41]
	v_mul_f64_e32 v[28:29], v[4:5], v[40:41]
	v_add_f64_e32 v[14:15], v[14:15], v[26:27]
	v_add_f64_e32 v[16:17], v[16:17], v[20:21]
	s_wait_loadcnt_dscnt 0x100
	v_mul_f64_e32 v[20:21], v[6:7], v[153:154]
	v_mul_f64_e32 v[26:27], v[8:9], v[153:154]
	v_fma_f64 v[4:5], v[4:5], v[38:39], v[22:23]
	v_fma_f64 v[1:2], v[2:3], v[38:39], -v[28:29]
	v_add_f64_e32 v[14:15], v[14:15], v[24:25]
	v_add_f64_e32 v[16:17], v[16:17], v[18:19]
	v_fma_f64 v[8:9], v[8:9], v[151:152], v[20:21]
	v_fma_f64 v[6:7], v[6:7], v[151:152], -v[26:27]
	s_delay_alu instid0(VALU_DEP_4) | instskip(NEXT) | instid1(VALU_DEP_4)
	v_add_f64_e32 v[1:2], v[14:15], v[1:2]
	v_add_f64_e32 v[3:4], v[16:17], v[4:5]
	s_delay_alu instid0(VALU_DEP_2) | instskip(NEXT) | instid1(VALU_DEP_2)
	v_add_f64_e32 v[1:2], v[1:2], v[6:7]
	v_add_f64_e32 v[3:4], v[3:4], v[8:9]
	s_wait_loadcnt 0x0
	s_delay_alu instid0(VALU_DEP_2) | instskip(NEXT) | instid1(VALU_DEP_2)
	v_add_f64_e64 v[1:2], v[10:11], -v[1:2]
	v_add_f64_e64 v[3:4], v[12:13], -v[3:4]
	scratch_store_b128 off, v[1:4], off offset:672
	v_cmpx_lt_u32_e32 40, v0
	s_cbranch_execz .LBB115_245
; %bb.244:
	scratch_load_b128 v[1:4], off, s24
	v_mov_b32_e32 v5, 0
	s_delay_alu instid0(VALU_DEP_1)
	v_dual_mov_b32 v6, v5 :: v_dual_mov_b32 v7, v5
	v_mov_b32_e32 v8, v5
	scratch_store_b128 off, v[5:8], off offset:656
	s_wait_loadcnt 0x0
	ds_store_b128 v150, v[1:4]
.LBB115_245:
	s_wait_alu 0xfffe
	s_or_b32 exec_lo, exec_lo, s0
	s_wait_storecnt_dscnt 0x0
	s_barrier_signal -1
	s_barrier_wait -1
	global_inv scope:SCOPE_SE
	s_clause 0x7
	scratch_load_b128 v[2:5], off, off offset:672
	scratch_load_b128 v[6:9], off, off offset:688
	scratch_load_b128 v[10:13], off, off offset:704
	scratch_load_b128 v[14:17], off, off offset:720
	scratch_load_b128 v[18:21], off, off offset:736
	scratch_load_b128 v[22:25], off, off offset:752
	scratch_load_b128 v[26:29], off, off offset:768
	scratch_load_b128 v[30:33], off, off offset:784
	v_mov_b32_e32 v1, 0
	s_clause 0x1
	scratch_load_b128 v[38:41], off, off offset:800
	scratch_load_b128 v[151:154], off, off offset:816
	s_mov_b32 s0, exec_lo
	ds_load_b128 v[34:37], v1 offset:1488
	ds_load_b128 v[42:45], v1 offset:1504
	s_wait_loadcnt_dscnt 0x901
	v_mul_f64_e32 v[155:156], v[36:37], v[4:5]
	v_mul_f64_e32 v[4:5], v[34:35], v[4:5]
	s_wait_loadcnt_dscnt 0x800
	v_mul_f64_e32 v[157:158], v[42:43], v[8:9]
	v_mul_f64_e32 v[8:9], v[44:45], v[8:9]
	s_delay_alu instid0(VALU_DEP_4) | instskip(NEXT) | instid1(VALU_DEP_4)
	v_fma_f64 v[155:156], v[34:35], v[2:3], -v[155:156]
	v_fma_f64 v[159:160], v[36:37], v[2:3], v[4:5]
	ds_load_b128 v[2:5], v1 offset:1520
	scratch_load_b128 v[34:37], off, off offset:832
	v_fma_f64 v[44:45], v[44:45], v[6:7], v[157:158]
	v_fma_f64 v[42:43], v[42:43], v[6:7], -v[8:9]
	ds_load_b128 v[6:9], v1 offset:1536
	s_wait_loadcnt_dscnt 0x801
	v_mul_f64_e32 v[161:162], v[2:3], v[12:13]
	v_mul_f64_e32 v[12:13], v[4:5], v[12:13]
	v_add_f64_e32 v[155:156], 0, v[155:156]
	v_add_f64_e32 v[157:158], 0, v[159:160]
	s_wait_loadcnt_dscnt 0x700
	v_mul_f64_e32 v[159:160], v[6:7], v[16:17]
	v_mul_f64_e32 v[16:17], v[8:9], v[16:17]
	v_fma_f64 v[161:162], v[4:5], v[10:11], v[161:162]
	v_fma_f64 v[10:11], v[2:3], v[10:11], -v[12:13]
	ds_load_b128 v[2:5], v1 offset:1552
	v_add_f64_e32 v[12:13], v[155:156], v[42:43]
	v_add_f64_e32 v[42:43], v[157:158], v[44:45]
	v_fma_f64 v[155:156], v[8:9], v[14:15], v[159:160]
	v_fma_f64 v[14:15], v[6:7], v[14:15], -v[16:17]
	ds_load_b128 v[6:9], v1 offset:1568
	s_wait_loadcnt_dscnt 0x601
	v_mul_f64_e32 v[44:45], v[2:3], v[20:21]
	v_mul_f64_e32 v[20:21], v[4:5], v[20:21]
	s_wait_loadcnt_dscnt 0x500
	v_mul_f64_e32 v[157:158], v[6:7], v[24:25]
	v_mul_f64_e32 v[24:25], v[8:9], v[24:25]
	v_add_f64_e32 v[16:17], v[12:13], v[10:11]
	v_add_f64_e32 v[42:43], v[42:43], v[161:162]
	scratch_load_b128 v[10:13], off, off offset:656
	v_fma_f64 v[44:45], v[4:5], v[18:19], v[44:45]
	v_fma_f64 v[18:19], v[2:3], v[18:19], -v[20:21]
	ds_load_b128 v[2:5], v1 offset:1584
	v_add_f64_e32 v[14:15], v[16:17], v[14:15]
	v_add_f64_e32 v[16:17], v[42:43], v[155:156]
	v_fma_f64 v[42:43], v[8:9], v[22:23], v[157:158]
	v_fma_f64 v[22:23], v[6:7], v[22:23], -v[24:25]
	ds_load_b128 v[6:9], v1 offset:1600
	s_wait_loadcnt_dscnt 0x501
	v_mul_f64_e32 v[20:21], v[2:3], v[28:29]
	v_mul_f64_e32 v[28:29], v[4:5], v[28:29]
	s_wait_loadcnt_dscnt 0x400
	v_mul_f64_e32 v[24:25], v[8:9], v[32:33]
	v_add_f64_e32 v[14:15], v[14:15], v[18:19]
	v_add_f64_e32 v[16:17], v[16:17], v[44:45]
	v_mul_f64_e32 v[18:19], v[6:7], v[32:33]
	v_fma_f64 v[20:21], v[4:5], v[26:27], v[20:21]
	v_fma_f64 v[26:27], v[2:3], v[26:27], -v[28:29]
	ds_load_b128 v[2:5], v1 offset:1616
	v_fma_f64 v[24:25], v[6:7], v[30:31], -v[24:25]
	v_add_f64_e32 v[14:15], v[14:15], v[22:23]
	v_add_f64_e32 v[16:17], v[16:17], v[42:43]
	v_fma_f64 v[18:19], v[8:9], v[30:31], v[18:19]
	ds_load_b128 v[6:9], v1 offset:1632
	s_wait_loadcnt_dscnt 0x301
	v_mul_f64_e32 v[22:23], v[2:3], v[40:41]
	v_mul_f64_e32 v[28:29], v[4:5], v[40:41]
	v_add_f64_e32 v[14:15], v[14:15], v[26:27]
	v_add_f64_e32 v[16:17], v[16:17], v[20:21]
	s_wait_loadcnt_dscnt 0x200
	v_mul_f64_e32 v[20:21], v[6:7], v[153:154]
	v_mul_f64_e32 v[26:27], v[8:9], v[153:154]
	v_fma_f64 v[22:23], v[4:5], v[38:39], v[22:23]
	v_fma_f64 v[28:29], v[2:3], v[38:39], -v[28:29]
	ds_load_b128 v[2:5], v1 offset:1648
	v_add_f64_e32 v[14:15], v[14:15], v[24:25]
	v_add_f64_e32 v[16:17], v[16:17], v[18:19]
	v_fma_f64 v[8:9], v[8:9], v[151:152], v[20:21]
	v_fma_f64 v[6:7], v[6:7], v[151:152], -v[26:27]
	s_wait_loadcnt_dscnt 0x100
	v_mul_f64_e32 v[18:19], v[2:3], v[36:37]
	v_mul_f64_e32 v[24:25], v[4:5], v[36:37]
	v_add_f64_e32 v[14:15], v[14:15], v[28:29]
	v_add_f64_e32 v[16:17], v[16:17], v[22:23]
	s_delay_alu instid0(VALU_DEP_4) | instskip(NEXT) | instid1(VALU_DEP_4)
	v_fma_f64 v[4:5], v[4:5], v[34:35], v[18:19]
	v_fma_f64 v[2:3], v[2:3], v[34:35], -v[24:25]
	s_delay_alu instid0(VALU_DEP_4) | instskip(NEXT) | instid1(VALU_DEP_4)
	v_add_f64_e32 v[6:7], v[14:15], v[6:7]
	v_add_f64_e32 v[8:9], v[16:17], v[8:9]
	s_delay_alu instid0(VALU_DEP_2) | instskip(NEXT) | instid1(VALU_DEP_2)
	v_add_f64_e32 v[2:3], v[6:7], v[2:3]
	v_add_f64_e32 v[4:5], v[8:9], v[4:5]
	s_wait_loadcnt 0x0
	s_delay_alu instid0(VALU_DEP_2) | instskip(NEXT) | instid1(VALU_DEP_2)
	v_add_f64_e64 v[2:3], v[10:11], -v[2:3]
	v_add_f64_e64 v[4:5], v[12:13], -v[4:5]
	scratch_store_b128 off, v[2:5], off offset:656
	v_cmpx_lt_u32_e32 39, v0
	s_cbranch_execz .LBB115_247
; %bb.246:
	scratch_load_b128 v[5:8], off, s25
	v_dual_mov_b32 v2, v1 :: v_dual_mov_b32 v3, v1
	v_mov_b32_e32 v4, v1
	scratch_store_b128 off, v[1:4], off offset:640
	s_wait_loadcnt 0x0
	ds_store_b128 v150, v[5:8]
.LBB115_247:
	s_wait_alu 0xfffe
	s_or_b32 exec_lo, exec_lo, s0
	s_wait_storecnt_dscnt 0x0
	s_barrier_signal -1
	s_barrier_wait -1
	global_inv scope:SCOPE_SE
	s_clause 0x7
	scratch_load_b128 v[2:5], off, off offset:656
	scratch_load_b128 v[6:9], off, off offset:672
	;; [unrolled: 1-line block ×8, first 2 shown]
	ds_load_b128 v[34:37], v1 offset:1472
	ds_load_b128 v[42:45], v1 offset:1488
	s_clause 0x1
	scratch_load_b128 v[38:41], off, off offset:784
	scratch_load_b128 v[151:154], off, off offset:800
	s_mov_b32 s0, exec_lo
	s_wait_loadcnt_dscnt 0x901
	v_mul_f64_e32 v[155:156], v[36:37], v[4:5]
	v_mul_f64_e32 v[4:5], v[34:35], v[4:5]
	s_wait_loadcnt_dscnt 0x800
	v_mul_f64_e32 v[157:158], v[42:43], v[8:9]
	v_mul_f64_e32 v[8:9], v[44:45], v[8:9]
	s_delay_alu instid0(VALU_DEP_4) | instskip(NEXT) | instid1(VALU_DEP_4)
	v_fma_f64 v[155:156], v[34:35], v[2:3], -v[155:156]
	v_fma_f64 v[159:160], v[36:37], v[2:3], v[4:5]
	ds_load_b128 v[2:5], v1 offset:1504
	scratch_load_b128 v[34:37], off, off offset:816
	v_fma_f64 v[157:158], v[44:45], v[6:7], v[157:158]
	v_fma_f64 v[163:164], v[42:43], v[6:7], -v[8:9]
	ds_load_b128 v[6:9], v1 offset:1520
	scratch_load_b128 v[42:45], off, off offset:832
	s_wait_loadcnt_dscnt 0x901
	v_mul_f64_e32 v[161:162], v[2:3], v[12:13]
	v_mul_f64_e32 v[12:13], v[4:5], v[12:13]
	s_wait_loadcnt_dscnt 0x800
	v_mul_f64_e32 v[165:166], v[6:7], v[16:17]
	v_mul_f64_e32 v[16:17], v[8:9], v[16:17]
	v_add_f64_e32 v[155:156], 0, v[155:156]
	v_add_f64_e32 v[159:160], 0, v[159:160]
	v_fma_f64 v[161:162], v[4:5], v[10:11], v[161:162]
	v_fma_f64 v[10:11], v[2:3], v[10:11], -v[12:13]
	ds_load_b128 v[2:5], v1 offset:1536
	v_add_f64_e32 v[12:13], v[155:156], v[163:164]
	v_add_f64_e32 v[155:156], v[159:160], v[157:158]
	v_fma_f64 v[159:160], v[8:9], v[14:15], v[165:166]
	v_fma_f64 v[14:15], v[6:7], v[14:15], -v[16:17]
	ds_load_b128 v[6:9], v1 offset:1552
	s_wait_loadcnt_dscnt 0x701
	v_mul_f64_e32 v[157:158], v[2:3], v[20:21]
	v_mul_f64_e32 v[20:21], v[4:5], v[20:21]
	s_wait_loadcnt_dscnt 0x600
	v_mul_f64_e32 v[16:17], v[6:7], v[24:25]
	v_mul_f64_e32 v[24:25], v[8:9], v[24:25]
	v_add_f64_e32 v[10:11], v[12:13], v[10:11]
	v_add_f64_e32 v[12:13], v[155:156], v[161:162]
	v_fma_f64 v[155:156], v[4:5], v[18:19], v[157:158]
	v_fma_f64 v[18:19], v[2:3], v[18:19], -v[20:21]
	ds_load_b128 v[2:5], v1 offset:1568
	v_fma_f64 v[16:17], v[8:9], v[22:23], v[16:17]
	v_fma_f64 v[22:23], v[6:7], v[22:23], -v[24:25]
	ds_load_b128 v[6:9], v1 offset:1584
	s_wait_loadcnt_dscnt 0x501
	v_mul_f64_e32 v[157:158], v[2:3], v[28:29]
	v_mul_f64_e32 v[28:29], v[4:5], v[28:29]
	v_add_f64_e32 v[14:15], v[10:11], v[14:15]
	v_add_f64_e32 v[20:21], v[12:13], v[159:160]
	scratch_load_b128 v[10:13], off, off offset:640
	s_wait_loadcnt_dscnt 0x500
	v_mul_f64_e32 v[24:25], v[8:9], v[32:33]
	v_add_f64_e32 v[14:15], v[14:15], v[18:19]
	v_add_f64_e32 v[18:19], v[20:21], v[155:156]
	v_mul_f64_e32 v[20:21], v[6:7], v[32:33]
	v_fma_f64 v[32:33], v[4:5], v[26:27], v[157:158]
	v_fma_f64 v[26:27], v[2:3], v[26:27], -v[28:29]
	ds_load_b128 v[2:5], v1 offset:1600
	v_fma_f64 v[24:25], v[6:7], v[30:31], -v[24:25]
	v_add_f64_e32 v[14:15], v[14:15], v[22:23]
	v_add_f64_e32 v[16:17], v[18:19], v[16:17]
	v_fma_f64 v[20:21], v[8:9], v[30:31], v[20:21]
	ds_load_b128 v[6:9], v1 offset:1616
	s_wait_loadcnt_dscnt 0x401
	v_mul_f64_e32 v[18:19], v[2:3], v[40:41]
	v_mul_f64_e32 v[22:23], v[4:5], v[40:41]
	s_wait_loadcnt_dscnt 0x300
	v_mul_f64_e32 v[28:29], v[8:9], v[153:154]
	v_add_f64_e32 v[14:15], v[14:15], v[26:27]
	v_add_f64_e32 v[16:17], v[16:17], v[32:33]
	v_mul_f64_e32 v[26:27], v[6:7], v[153:154]
	v_fma_f64 v[18:19], v[4:5], v[38:39], v[18:19]
	v_fma_f64 v[22:23], v[2:3], v[38:39], -v[22:23]
	ds_load_b128 v[2:5], v1 offset:1632
	v_fma_f64 v[28:29], v[6:7], v[151:152], -v[28:29]
	v_add_f64_e32 v[14:15], v[14:15], v[24:25]
	v_add_f64_e32 v[16:17], v[16:17], v[20:21]
	v_fma_f64 v[26:27], v[8:9], v[151:152], v[26:27]
	ds_load_b128 v[6:9], v1 offset:1648
	s_wait_loadcnt_dscnt 0x201
	v_mul_f64_e32 v[20:21], v[2:3], v[36:37]
	v_mul_f64_e32 v[24:25], v[4:5], v[36:37]
	v_add_f64_e32 v[14:15], v[14:15], v[22:23]
	v_add_f64_e32 v[16:17], v[16:17], v[18:19]
	s_wait_loadcnt_dscnt 0x100
	v_mul_f64_e32 v[18:19], v[6:7], v[44:45]
	v_mul_f64_e32 v[22:23], v[8:9], v[44:45]
	v_fma_f64 v[4:5], v[4:5], v[34:35], v[20:21]
	v_fma_f64 v[1:2], v[2:3], v[34:35], -v[24:25]
	v_add_f64_e32 v[14:15], v[14:15], v[28:29]
	v_add_f64_e32 v[16:17], v[16:17], v[26:27]
	v_fma_f64 v[8:9], v[8:9], v[42:43], v[18:19]
	v_fma_f64 v[6:7], v[6:7], v[42:43], -v[22:23]
	s_delay_alu instid0(VALU_DEP_4) | instskip(NEXT) | instid1(VALU_DEP_4)
	v_add_f64_e32 v[1:2], v[14:15], v[1:2]
	v_add_f64_e32 v[3:4], v[16:17], v[4:5]
	s_delay_alu instid0(VALU_DEP_2) | instskip(NEXT) | instid1(VALU_DEP_2)
	v_add_f64_e32 v[1:2], v[1:2], v[6:7]
	v_add_f64_e32 v[3:4], v[3:4], v[8:9]
	s_wait_loadcnt 0x0
	s_delay_alu instid0(VALU_DEP_2) | instskip(NEXT) | instid1(VALU_DEP_2)
	v_add_f64_e64 v[1:2], v[10:11], -v[1:2]
	v_add_f64_e64 v[3:4], v[12:13], -v[3:4]
	scratch_store_b128 off, v[1:4], off offset:640
	v_cmpx_lt_u32_e32 38, v0
	s_cbranch_execz .LBB115_249
; %bb.248:
	scratch_load_b128 v[1:4], off, s26
	v_mov_b32_e32 v5, 0
	s_delay_alu instid0(VALU_DEP_1)
	v_dual_mov_b32 v6, v5 :: v_dual_mov_b32 v7, v5
	v_mov_b32_e32 v8, v5
	scratch_store_b128 off, v[5:8], off offset:624
	s_wait_loadcnt 0x0
	ds_store_b128 v150, v[1:4]
.LBB115_249:
	s_wait_alu 0xfffe
	s_or_b32 exec_lo, exec_lo, s0
	s_wait_storecnt_dscnt 0x0
	s_barrier_signal -1
	s_barrier_wait -1
	global_inv scope:SCOPE_SE
	s_clause 0x7
	scratch_load_b128 v[2:5], off, off offset:640
	scratch_load_b128 v[6:9], off, off offset:656
	;; [unrolled: 1-line block ×8, first 2 shown]
	v_mov_b32_e32 v1, 0
	s_mov_b32 s0, exec_lo
	ds_load_b128 v[34:37], v1 offset:1456
	s_clause 0x1
	scratch_load_b128 v[38:41], off, off offset:768
	scratch_load_b128 v[42:45], off, off offset:624
	ds_load_b128 v[151:154], v1 offset:1472
	scratch_load_b128 v[155:158], off, off offset:784
	s_wait_loadcnt_dscnt 0xa01
	v_mul_f64_e32 v[159:160], v[36:37], v[4:5]
	v_mul_f64_e32 v[4:5], v[34:35], v[4:5]
	s_delay_alu instid0(VALU_DEP_2) | instskip(NEXT) | instid1(VALU_DEP_2)
	v_fma_f64 v[165:166], v[34:35], v[2:3], -v[159:160]
	v_fma_f64 v[167:168], v[36:37], v[2:3], v[4:5]
	ds_load_b128 v[2:5], v1 offset:1488
	s_wait_loadcnt_dscnt 0x901
	v_mul_f64_e32 v[163:164], v[151:152], v[8:9]
	v_mul_f64_e32 v[8:9], v[153:154], v[8:9]
	scratch_load_b128 v[34:37], off, off offset:800
	ds_load_b128 v[159:162], v1 offset:1504
	s_wait_loadcnt_dscnt 0x901
	v_mul_f64_e32 v[169:170], v[2:3], v[12:13]
	v_mul_f64_e32 v[12:13], v[4:5], v[12:13]
	v_fma_f64 v[153:154], v[153:154], v[6:7], v[163:164]
	v_fma_f64 v[151:152], v[151:152], v[6:7], -v[8:9]
	v_add_f64_e32 v[163:164], 0, v[165:166]
	v_add_f64_e32 v[165:166], 0, v[167:168]
	scratch_load_b128 v[6:9], off, off offset:816
	v_fma_f64 v[169:170], v[4:5], v[10:11], v[169:170]
	v_fma_f64 v[171:172], v[2:3], v[10:11], -v[12:13]
	ds_load_b128 v[2:5], v1 offset:1520
	s_wait_loadcnt_dscnt 0x901
	v_mul_f64_e32 v[167:168], v[159:160], v[16:17]
	v_mul_f64_e32 v[16:17], v[161:162], v[16:17]
	scratch_load_b128 v[10:13], off, off offset:832
	v_add_f64_e32 v[163:164], v[163:164], v[151:152]
	v_add_f64_e32 v[165:166], v[165:166], v[153:154]
	s_wait_loadcnt_dscnt 0x900
	v_mul_f64_e32 v[173:174], v[2:3], v[20:21]
	v_mul_f64_e32 v[20:21], v[4:5], v[20:21]
	ds_load_b128 v[151:154], v1 offset:1536
	v_fma_f64 v[161:162], v[161:162], v[14:15], v[167:168]
	v_fma_f64 v[14:15], v[159:160], v[14:15], -v[16:17]
	v_add_f64_e32 v[16:17], v[163:164], v[171:172]
	v_add_f64_e32 v[159:160], v[165:166], v[169:170]
	s_wait_loadcnt_dscnt 0x800
	v_mul_f64_e32 v[163:164], v[151:152], v[24:25]
	v_mul_f64_e32 v[24:25], v[153:154], v[24:25]
	v_fma_f64 v[165:166], v[4:5], v[18:19], v[173:174]
	v_fma_f64 v[18:19], v[2:3], v[18:19], -v[20:21]
	v_add_f64_e32 v[20:21], v[16:17], v[14:15]
	v_add_f64_e32 v[159:160], v[159:160], v[161:162]
	ds_load_b128 v[2:5], v1 offset:1552
	ds_load_b128 v[14:17], v1 offset:1568
	v_fma_f64 v[153:154], v[153:154], v[22:23], v[163:164]
	v_fma_f64 v[22:23], v[151:152], v[22:23], -v[24:25]
	s_wait_loadcnt_dscnt 0x701
	v_mul_f64_e32 v[161:162], v[2:3], v[28:29]
	v_mul_f64_e32 v[28:29], v[4:5], v[28:29]
	s_wait_loadcnt_dscnt 0x600
	v_mul_f64_e32 v[24:25], v[14:15], v[32:33]
	v_mul_f64_e32 v[32:33], v[16:17], v[32:33]
	v_add_f64_e32 v[18:19], v[20:21], v[18:19]
	v_add_f64_e32 v[20:21], v[159:160], v[165:166]
	v_fma_f64 v[151:152], v[4:5], v[26:27], v[161:162]
	v_fma_f64 v[26:27], v[2:3], v[26:27], -v[28:29]
	v_fma_f64 v[16:17], v[16:17], v[30:31], v[24:25]
	v_fma_f64 v[14:15], v[14:15], v[30:31], -v[32:33]
	v_add_f64_e32 v[22:23], v[18:19], v[22:23]
	v_add_f64_e32 v[28:29], v[20:21], v[153:154]
	ds_load_b128 v[2:5], v1 offset:1584
	ds_load_b128 v[18:21], v1 offset:1600
	s_wait_loadcnt_dscnt 0x501
	v_mul_f64_e32 v[153:154], v[2:3], v[40:41]
	v_mul_f64_e32 v[40:41], v[4:5], v[40:41]
	v_add_f64_e32 v[22:23], v[22:23], v[26:27]
	v_add_f64_e32 v[24:25], v[28:29], v[151:152]
	s_wait_loadcnt_dscnt 0x300
	v_mul_f64_e32 v[26:27], v[18:19], v[157:158]
	v_mul_f64_e32 v[28:29], v[20:21], v[157:158]
	v_fma_f64 v[30:31], v[4:5], v[38:39], v[153:154]
	v_fma_f64 v[32:33], v[2:3], v[38:39], -v[40:41]
	v_add_f64_e32 v[22:23], v[22:23], v[14:15]
	v_add_f64_e32 v[24:25], v[24:25], v[16:17]
	ds_load_b128 v[2:5], v1 offset:1616
	ds_load_b128 v[14:17], v1 offset:1632
	v_fma_f64 v[20:21], v[20:21], v[155:156], v[26:27]
	v_fma_f64 v[18:19], v[18:19], v[155:156], -v[28:29]
	s_wait_loadcnt_dscnt 0x201
	v_mul_f64_e32 v[38:39], v[2:3], v[36:37]
	v_mul_f64_e32 v[36:37], v[4:5], v[36:37]
	v_add_f64_e32 v[22:23], v[22:23], v[32:33]
	v_add_f64_e32 v[24:25], v[24:25], v[30:31]
	s_wait_loadcnt_dscnt 0x100
	v_mul_f64_e32 v[26:27], v[14:15], v[8:9]
	v_mul_f64_e32 v[8:9], v[16:17], v[8:9]
	v_fma_f64 v[28:29], v[4:5], v[34:35], v[38:39]
	v_fma_f64 v[30:31], v[2:3], v[34:35], -v[36:37]
	ds_load_b128 v[2:5], v1 offset:1648
	v_add_f64_e32 v[18:19], v[22:23], v[18:19]
	v_add_f64_e32 v[20:21], v[24:25], v[20:21]
	s_wait_loadcnt_dscnt 0x0
	v_mul_f64_e32 v[22:23], v[2:3], v[12:13]
	v_mul_f64_e32 v[12:13], v[4:5], v[12:13]
	v_fma_f64 v[16:17], v[16:17], v[6:7], v[26:27]
	v_fma_f64 v[6:7], v[14:15], v[6:7], -v[8:9]
	v_add_f64_e32 v[8:9], v[18:19], v[30:31]
	v_add_f64_e32 v[14:15], v[20:21], v[28:29]
	v_fma_f64 v[4:5], v[4:5], v[10:11], v[22:23]
	v_fma_f64 v[2:3], v[2:3], v[10:11], -v[12:13]
	s_delay_alu instid0(VALU_DEP_4) | instskip(NEXT) | instid1(VALU_DEP_4)
	v_add_f64_e32 v[6:7], v[8:9], v[6:7]
	v_add_f64_e32 v[8:9], v[14:15], v[16:17]
	s_delay_alu instid0(VALU_DEP_2) | instskip(NEXT) | instid1(VALU_DEP_2)
	v_add_f64_e32 v[2:3], v[6:7], v[2:3]
	v_add_f64_e32 v[4:5], v[8:9], v[4:5]
	s_delay_alu instid0(VALU_DEP_2) | instskip(NEXT) | instid1(VALU_DEP_2)
	v_add_f64_e64 v[2:3], v[42:43], -v[2:3]
	v_add_f64_e64 v[4:5], v[44:45], -v[4:5]
	scratch_store_b128 off, v[2:5], off offset:624
	v_cmpx_lt_u32_e32 37, v0
	s_cbranch_execz .LBB115_251
; %bb.250:
	scratch_load_b128 v[5:8], off, s27
	v_dual_mov_b32 v2, v1 :: v_dual_mov_b32 v3, v1
	v_mov_b32_e32 v4, v1
	scratch_store_b128 off, v[1:4], off offset:608
	s_wait_loadcnt 0x0
	ds_store_b128 v150, v[5:8]
.LBB115_251:
	s_wait_alu 0xfffe
	s_or_b32 exec_lo, exec_lo, s0
	s_wait_storecnt_dscnt 0x0
	s_barrier_signal -1
	s_barrier_wait -1
	global_inv scope:SCOPE_SE
	s_clause 0x8
	scratch_load_b128 v[2:5], off, off offset:624
	scratch_load_b128 v[6:9], off, off offset:640
	;; [unrolled: 1-line block ×9, first 2 shown]
	ds_load_b128 v[38:41], v1 offset:1440
	ds_load_b128 v[42:45], v1 offset:1456
	s_clause 0x1
	scratch_load_b128 v[151:154], off, off offset:608
	scratch_load_b128 v[155:158], off, off offset:768
	s_mov_b32 s0, exec_lo
	s_wait_loadcnt_dscnt 0xa01
	v_mul_f64_e32 v[159:160], v[40:41], v[4:5]
	v_mul_f64_e32 v[4:5], v[38:39], v[4:5]
	s_wait_loadcnt_dscnt 0x900
	v_mul_f64_e32 v[163:164], v[42:43], v[8:9]
	v_mul_f64_e32 v[8:9], v[44:45], v[8:9]
	s_delay_alu instid0(VALU_DEP_4) | instskip(NEXT) | instid1(VALU_DEP_4)
	v_fma_f64 v[165:166], v[38:39], v[2:3], -v[159:160]
	v_fma_f64 v[167:168], v[40:41], v[2:3], v[4:5]
	ds_load_b128 v[2:5], v1 offset:1472
	ds_load_b128 v[159:162], v1 offset:1488
	scratch_load_b128 v[38:41], off, off offset:784
	v_fma_f64 v[44:45], v[44:45], v[6:7], v[163:164]
	v_fma_f64 v[42:43], v[42:43], v[6:7], -v[8:9]
	scratch_load_b128 v[6:9], off, off offset:800
	s_wait_loadcnt_dscnt 0xa01
	v_mul_f64_e32 v[169:170], v[2:3], v[12:13]
	v_mul_f64_e32 v[12:13], v[4:5], v[12:13]
	v_add_f64_e32 v[163:164], 0, v[165:166]
	v_add_f64_e32 v[165:166], 0, v[167:168]
	s_wait_loadcnt_dscnt 0x900
	v_mul_f64_e32 v[167:168], v[159:160], v[16:17]
	v_mul_f64_e32 v[16:17], v[161:162], v[16:17]
	v_fma_f64 v[169:170], v[4:5], v[10:11], v[169:170]
	v_fma_f64 v[171:172], v[2:3], v[10:11], -v[12:13]
	ds_load_b128 v[2:5], v1 offset:1504
	scratch_load_b128 v[10:13], off, off offset:816
	v_add_f64_e32 v[163:164], v[163:164], v[42:43]
	v_add_f64_e32 v[165:166], v[165:166], v[44:45]
	ds_load_b128 v[42:45], v1 offset:1520
	v_fma_f64 v[161:162], v[161:162], v[14:15], v[167:168]
	v_fma_f64 v[159:160], v[159:160], v[14:15], -v[16:17]
	scratch_load_b128 v[14:17], off, off offset:832
	s_wait_loadcnt_dscnt 0xa01
	v_mul_f64_e32 v[173:174], v[2:3], v[20:21]
	v_mul_f64_e32 v[20:21], v[4:5], v[20:21]
	s_wait_loadcnt_dscnt 0x900
	v_mul_f64_e32 v[167:168], v[42:43], v[24:25]
	v_mul_f64_e32 v[24:25], v[44:45], v[24:25]
	v_add_f64_e32 v[163:164], v[163:164], v[171:172]
	v_add_f64_e32 v[165:166], v[165:166], v[169:170]
	v_fma_f64 v[169:170], v[4:5], v[18:19], v[173:174]
	v_fma_f64 v[171:172], v[2:3], v[18:19], -v[20:21]
	ds_load_b128 v[2:5], v1 offset:1536
	ds_load_b128 v[18:21], v1 offset:1552
	v_fma_f64 v[44:45], v[44:45], v[22:23], v[167:168]
	v_fma_f64 v[22:23], v[42:43], v[22:23], -v[24:25]
	v_add_f64_e32 v[159:160], v[163:164], v[159:160]
	v_add_f64_e32 v[161:162], v[165:166], v[161:162]
	s_wait_loadcnt_dscnt 0x801
	v_mul_f64_e32 v[163:164], v[2:3], v[28:29]
	v_mul_f64_e32 v[28:29], v[4:5], v[28:29]
	s_delay_alu instid0(VALU_DEP_4) | instskip(NEXT) | instid1(VALU_DEP_4)
	v_add_f64_e32 v[24:25], v[159:160], v[171:172]
	v_add_f64_e32 v[42:43], v[161:162], v[169:170]
	s_wait_loadcnt_dscnt 0x700
	v_mul_f64_e32 v[159:160], v[18:19], v[32:33]
	v_mul_f64_e32 v[32:33], v[20:21], v[32:33]
	v_fma_f64 v[161:162], v[4:5], v[26:27], v[163:164]
	v_fma_f64 v[26:27], v[2:3], v[26:27], -v[28:29]
	v_add_f64_e32 v[28:29], v[24:25], v[22:23]
	v_add_f64_e32 v[42:43], v[42:43], v[44:45]
	ds_load_b128 v[2:5], v1 offset:1568
	ds_load_b128 v[22:25], v1 offset:1584
	v_fma_f64 v[20:21], v[20:21], v[30:31], v[159:160]
	v_fma_f64 v[18:19], v[18:19], v[30:31], -v[32:33]
	s_wait_loadcnt_dscnt 0x601
	v_mul_f64_e32 v[44:45], v[2:3], v[36:37]
	v_mul_f64_e32 v[36:37], v[4:5], v[36:37]
	s_wait_loadcnt_dscnt 0x400
	v_mul_f64_e32 v[30:31], v[22:23], v[157:158]
	v_mul_f64_e32 v[32:33], v[24:25], v[157:158]
	v_add_f64_e32 v[26:27], v[28:29], v[26:27]
	v_add_f64_e32 v[28:29], v[42:43], v[161:162]
	v_fma_f64 v[42:43], v[4:5], v[34:35], v[44:45]
	v_fma_f64 v[34:35], v[2:3], v[34:35], -v[36:37]
	v_fma_f64 v[24:25], v[24:25], v[155:156], v[30:31]
	v_fma_f64 v[22:23], v[22:23], v[155:156], -v[32:33]
	v_add_f64_e32 v[26:27], v[26:27], v[18:19]
	v_add_f64_e32 v[28:29], v[28:29], v[20:21]
	ds_load_b128 v[2:5], v1 offset:1600
	ds_load_b128 v[18:21], v1 offset:1616
	s_wait_loadcnt_dscnt 0x301
	v_mul_f64_e32 v[36:37], v[2:3], v[40:41]
	v_mul_f64_e32 v[40:41], v[4:5], v[40:41]
	s_wait_loadcnt_dscnt 0x200
	v_mul_f64_e32 v[30:31], v[18:19], v[8:9]
	v_mul_f64_e32 v[8:9], v[20:21], v[8:9]
	v_add_f64_e32 v[26:27], v[26:27], v[34:35]
	v_add_f64_e32 v[28:29], v[28:29], v[42:43]
	v_fma_f64 v[32:33], v[4:5], v[38:39], v[36:37]
	v_fma_f64 v[34:35], v[2:3], v[38:39], -v[40:41]
	v_fma_f64 v[20:21], v[20:21], v[6:7], v[30:31]
	v_fma_f64 v[6:7], v[18:19], v[6:7], -v[8:9]
	v_add_f64_e32 v[26:27], v[26:27], v[22:23]
	v_add_f64_e32 v[28:29], v[28:29], v[24:25]
	ds_load_b128 v[2:5], v1 offset:1632
	ds_load_b128 v[22:25], v1 offset:1648
	s_wait_loadcnt_dscnt 0x101
	v_mul_f64_e32 v[36:37], v[2:3], v[12:13]
	v_mul_f64_e32 v[12:13], v[4:5], v[12:13]
	v_add_f64_e32 v[8:9], v[26:27], v[34:35]
	v_add_f64_e32 v[18:19], v[28:29], v[32:33]
	s_wait_loadcnt_dscnt 0x0
	v_mul_f64_e32 v[26:27], v[22:23], v[16:17]
	v_mul_f64_e32 v[16:17], v[24:25], v[16:17]
	v_fma_f64 v[4:5], v[4:5], v[10:11], v[36:37]
	v_fma_f64 v[1:2], v[2:3], v[10:11], -v[12:13]
	v_add_f64_e32 v[6:7], v[8:9], v[6:7]
	v_add_f64_e32 v[8:9], v[18:19], v[20:21]
	v_fma_f64 v[10:11], v[24:25], v[14:15], v[26:27]
	v_fma_f64 v[12:13], v[22:23], v[14:15], -v[16:17]
	s_delay_alu instid0(VALU_DEP_4) | instskip(NEXT) | instid1(VALU_DEP_4)
	v_add_f64_e32 v[1:2], v[6:7], v[1:2]
	v_add_f64_e32 v[3:4], v[8:9], v[4:5]
	s_delay_alu instid0(VALU_DEP_2) | instskip(NEXT) | instid1(VALU_DEP_2)
	v_add_f64_e32 v[1:2], v[1:2], v[12:13]
	v_add_f64_e32 v[3:4], v[3:4], v[10:11]
	s_delay_alu instid0(VALU_DEP_2) | instskip(NEXT) | instid1(VALU_DEP_2)
	v_add_f64_e64 v[1:2], v[151:152], -v[1:2]
	v_add_f64_e64 v[3:4], v[153:154], -v[3:4]
	scratch_store_b128 off, v[1:4], off offset:608
	v_cmpx_lt_u32_e32 36, v0
	s_cbranch_execz .LBB115_253
; %bb.252:
	scratch_load_b128 v[1:4], off, s28
	v_mov_b32_e32 v5, 0
	s_delay_alu instid0(VALU_DEP_1)
	v_dual_mov_b32 v6, v5 :: v_dual_mov_b32 v7, v5
	v_mov_b32_e32 v8, v5
	scratch_store_b128 off, v[5:8], off offset:592
	s_wait_loadcnt 0x0
	ds_store_b128 v150, v[1:4]
.LBB115_253:
	s_wait_alu 0xfffe
	s_or_b32 exec_lo, exec_lo, s0
	s_wait_storecnt_dscnt 0x0
	s_barrier_signal -1
	s_barrier_wait -1
	global_inv scope:SCOPE_SE
	s_clause 0x7
	scratch_load_b128 v[2:5], off, off offset:608
	scratch_load_b128 v[6:9], off, off offset:624
	;; [unrolled: 1-line block ×8, first 2 shown]
	v_mov_b32_e32 v1, 0
	s_mov_b32 s0, exec_lo
	ds_load_b128 v[34:37], v1 offset:1424
	s_clause 0x1
	scratch_load_b128 v[38:41], off, off offset:736
	scratch_load_b128 v[42:45], off, off offset:592
	ds_load_b128 v[151:154], v1 offset:1440
	scratch_load_b128 v[155:158], off, off offset:752
	s_wait_loadcnt_dscnt 0xa01
	v_mul_f64_e32 v[159:160], v[36:37], v[4:5]
	v_mul_f64_e32 v[4:5], v[34:35], v[4:5]
	s_delay_alu instid0(VALU_DEP_2) | instskip(NEXT) | instid1(VALU_DEP_2)
	v_fma_f64 v[165:166], v[34:35], v[2:3], -v[159:160]
	v_fma_f64 v[167:168], v[36:37], v[2:3], v[4:5]
	ds_load_b128 v[2:5], v1 offset:1456
	s_wait_loadcnt_dscnt 0x901
	v_mul_f64_e32 v[163:164], v[151:152], v[8:9]
	v_mul_f64_e32 v[8:9], v[153:154], v[8:9]
	scratch_load_b128 v[34:37], off, off offset:768
	ds_load_b128 v[159:162], v1 offset:1472
	s_wait_loadcnt_dscnt 0x901
	v_mul_f64_e32 v[169:170], v[2:3], v[12:13]
	v_mul_f64_e32 v[12:13], v[4:5], v[12:13]
	v_fma_f64 v[153:154], v[153:154], v[6:7], v[163:164]
	v_fma_f64 v[151:152], v[151:152], v[6:7], -v[8:9]
	v_add_f64_e32 v[163:164], 0, v[165:166]
	v_add_f64_e32 v[165:166], 0, v[167:168]
	scratch_load_b128 v[6:9], off, off offset:784
	v_fma_f64 v[169:170], v[4:5], v[10:11], v[169:170]
	v_fma_f64 v[171:172], v[2:3], v[10:11], -v[12:13]
	ds_load_b128 v[2:5], v1 offset:1488
	s_wait_loadcnt_dscnt 0x901
	v_mul_f64_e32 v[167:168], v[159:160], v[16:17]
	v_mul_f64_e32 v[16:17], v[161:162], v[16:17]
	scratch_load_b128 v[10:13], off, off offset:800
	v_add_f64_e32 v[163:164], v[163:164], v[151:152]
	v_add_f64_e32 v[165:166], v[165:166], v[153:154]
	s_wait_loadcnt_dscnt 0x900
	v_mul_f64_e32 v[173:174], v[2:3], v[20:21]
	v_mul_f64_e32 v[20:21], v[4:5], v[20:21]
	ds_load_b128 v[151:154], v1 offset:1504
	v_fma_f64 v[161:162], v[161:162], v[14:15], v[167:168]
	v_fma_f64 v[159:160], v[159:160], v[14:15], -v[16:17]
	scratch_load_b128 v[14:17], off, off offset:816
	v_add_f64_e32 v[163:164], v[163:164], v[171:172]
	v_add_f64_e32 v[165:166], v[165:166], v[169:170]
	v_fma_f64 v[169:170], v[4:5], v[18:19], v[173:174]
	v_fma_f64 v[171:172], v[2:3], v[18:19], -v[20:21]
	ds_load_b128 v[2:5], v1 offset:1520
	s_wait_loadcnt_dscnt 0x901
	v_mul_f64_e32 v[167:168], v[151:152], v[24:25]
	v_mul_f64_e32 v[24:25], v[153:154], v[24:25]
	scratch_load_b128 v[18:21], off, off offset:832
	s_wait_loadcnt_dscnt 0x900
	v_mul_f64_e32 v[173:174], v[2:3], v[28:29]
	v_mul_f64_e32 v[28:29], v[4:5], v[28:29]
	v_add_f64_e32 v[163:164], v[163:164], v[159:160]
	v_add_f64_e32 v[165:166], v[165:166], v[161:162]
	ds_load_b128 v[159:162], v1 offset:1536
	v_fma_f64 v[153:154], v[153:154], v[22:23], v[167:168]
	v_fma_f64 v[22:23], v[151:152], v[22:23], -v[24:25]
	v_add_f64_e32 v[24:25], v[163:164], v[171:172]
	v_add_f64_e32 v[151:152], v[165:166], v[169:170]
	s_wait_loadcnt_dscnt 0x800
	v_mul_f64_e32 v[163:164], v[159:160], v[32:33]
	v_mul_f64_e32 v[32:33], v[161:162], v[32:33]
	v_fma_f64 v[165:166], v[4:5], v[26:27], v[173:174]
	v_fma_f64 v[26:27], v[2:3], v[26:27], -v[28:29]
	v_add_f64_e32 v[28:29], v[24:25], v[22:23]
	v_add_f64_e32 v[151:152], v[151:152], v[153:154]
	ds_load_b128 v[2:5], v1 offset:1552
	ds_load_b128 v[22:25], v1 offset:1568
	v_fma_f64 v[161:162], v[161:162], v[30:31], v[163:164]
	v_fma_f64 v[30:31], v[159:160], v[30:31], -v[32:33]
	s_wait_loadcnt_dscnt 0x701
	v_mul_f64_e32 v[153:154], v[2:3], v[40:41]
	v_mul_f64_e32 v[40:41], v[4:5], v[40:41]
	s_wait_loadcnt_dscnt 0x500
	v_mul_f64_e32 v[32:33], v[22:23], v[157:158]
	v_add_f64_e32 v[26:27], v[28:29], v[26:27]
	v_add_f64_e32 v[28:29], v[151:152], v[165:166]
	v_mul_f64_e32 v[151:152], v[24:25], v[157:158]
	v_fma_f64 v[153:154], v[4:5], v[38:39], v[153:154]
	v_fma_f64 v[38:39], v[2:3], v[38:39], -v[40:41]
	v_fma_f64 v[24:25], v[24:25], v[155:156], v[32:33]
	v_add_f64_e32 v[30:31], v[26:27], v[30:31]
	v_add_f64_e32 v[40:41], v[28:29], v[161:162]
	ds_load_b128 v[2:5], v1 offset:1584
	ds_load_b128 v[26:29], v1 offset:1600
	v_fma_f64 v[22:23], v[22:23], v[155:156], -v[151:152]
	s_wait_loadcnt_dscnt 0x401
	v_mul_f64_e32 v[157:158], v[2:3], v[36:37]
	v_mul_f64_e32 v[36:37], v[4:5], v[36:37]
	v_add_f64_e32 v[30:31], v[30:31], v[38:39]
	v_add_f64_e32 v[32:33], v[40:41], v[153:154]
	s_wait_loadcnt_dscnt 0x300
	v_mul_f64_e32 v[38:39], v[26:27], v[8:9]
	v_mul_f64_e32 v[8:9], v[28:29], v[8:9]
	v_fma_f64 v[40:41], v[4:5], v[34:35], v[157:158]
	v_fma_f64 v[34:35], v[2:3], v[34:35], -v[36:37]
	v_add_f64_e32 v[30:31], v[30:31], v[22:23]
	v_add_f64_e32 v[32:33], v[32:33], v[24:25]
	ds_load_b128 v[2:5], v1 offset:1616
	ds_load_b128 v[22:25], v1 offset:1632
	v_fma_f64 v[28:29], v[28:29], v[6:7], v[38:39]
	v_fma_f64 v[6:7], v[26:27], v[6:7], -v[8:9]
	s_wait_loadcnt_dscnt 0x201
	v_mul_f64_e32 v[36:37], v[2:3], v[12:13]
	v_mul_f64_e32 v[12:13], v[4:5], v[12:13]
	v_add_f64_e32 v[8:9], v[30:31], v[34:35]
	v_add_f64_e32 v[26:27], v[32:33], v[40:41]
	s_wait_loadcnt_dscnt 0x100
	v_mul_f64_e32 v[30:31], v[22:23], v[16:17]
	v_mul_f64_e32 v[16:17], v[24:25], v[16:17]
	v_fma_f64 v[32:33], v[4:5], v[10:11], v[36:37]
	v_fma_f64 v[10:11], v[2:3], v[10:11], -v[12:13]
	ds_load_b128 v[2:5], v1 offset:1648
	v_add_f64_e32 v[6:7], v[8:9], v[6:7]
	v_add_f64_e32 v[8:9], v[26:27], v[28:29]
	v_fma_f64 v[24:25], v[24:25], v[14:15], v[30:31]
	v_fma_f64 v[14:15], v[22:23], v[14:15], -v[16:17]
	s_wait_loadcnt_dscnt 0x0
	v_mul_f64_e32 v[12:13], v[2:3], v[20:21]
	v_mul_f64_e32 v[20:21], v[4:5], v[20:21]
	v_add_f64_e32 v[6:7], v[6:7], v[10:11]
	v_add_f64_e32 v[8:9], v[8:9], v[32:33]
	s_delay_alu instid0(VALU_DEP_4) | instskip(NEXT) | instid1(VALU_DEP_4)
	v_fma_f64 v[4:5], v[4:5], v[18:19], v[12:13]
	v_fma_f64 v[2:3], v[2:3], v[18:19], -v[20:21]
	s_delay_alu instid0(VALU_DEP_4) | instskip(NEXT) | instid1(VALU_DEP_4)
	v_add_f64_e32 v[6:7], v[6:7], v[14:15]
	v_add_f64_e32 v[8:9], v[8:9], v[24:25]
	s_delay_alu instid0(VALU_DEP_2) | instskip(NEXT) | instid1(VALU_DEP_2)
	v_add_f64_e32 v[2:3], v[6:7], v[2:3]
	v_add_f64_e32 v[4:5], v[8:9], v[4:5]
	s_delay_alu instid0(VALU_DEP_2) | instskip(NEXT) | instid1(VALU_DEP_2)
	v_add_f64_e64 v[2:3], v[42:43], -v[2:3]
	v_add_f64_e64 v[4:5], v[44:45], -v[4:5]
	scratch_store_b128 off, v[2:5], off offset:592
	v_cmpx_lt_u32_e32 35, v0
	s_cbranch_execz .LBB115_255
; %bb.254:
	scratch_load_b128 v[5:8], off, s29
	v_dual_mov_b32 v2, v1 :: v_dual_mov_b32 v3, v1
	v_mov_b32_e32 v4, v1
	scratch_store_b128 off, v[1:4], off offset:576
	s_wait_loadcnt 0x0
	ds_store_b128 v150, v[5:8]
.LBB115_255:
	s_wait_alu 0xfffe
	s_or_b32 exec_lo, exec_lo, s0
	s_wait_storecnt_dscnt 0x0
	s_barrier_signal -1
	s_barrier_wait -1
	global_inv scope:SCOPE_SE
	s_clause 0x8
	scratch_load_b128 v[2:5], off, off offset:592
	scratch_load_b128 v[6:9], off, off offset:608
	scratch_load_b128 v[10:13], off, off offset:624
	scratch_load_b128 v[14:17], off, off offset:640
	scratch_load_b128 v[18:21], off, off offset:656
	scratch_load_b128 v[22:25], off, off offset:672
	scratch_load_b128 v[26:29], off, off offset:688
	scratch_load_b128 v[30:33], off, off offset:704
	scratch_load_b128 v[34:37], off, off offset:720
	ds_load_b128 v[38:41], v1 offset:1408
	ds_load_b128 v[42:45], v1 offset:1424
	s_clause 0x1
	scratch_load_b128 v[151:154], off, off offset:576
	scratch_load_b128 v[155:158], off, off offset:736
	s_mov_b32 s0, exec_lo
	s_wait_loadcnt_dscnt 0xa01
	v_mul_f64_e32 v[159:160], v[40:41], v[4:5]
	v_mul_f64_e32 v[4:5], v[38:39], v[4:5]
	s_wait_loadcnt_dscnt 0x900
	v_mul_f64_e32 v[163:164], v[42:43], v[8:9]
	v_mul_f64_e32 v[8:9], v[44:45], v[8:9]
	s_delay_alu instid0(VALU_DEP_4) | instskip(NEXT) | instid1(VALU_DEP_4)
	v_fma_f64 v[165:166], v[38:39], v[2:3], -v[159:160]
	v_fma_f64 v[167:168], v[40:41], v[2:3], v[4:5]
	ds_load_b128 v[2:5], v1 offset:1440
	ds_load_b128 v[159:162], v1 offset:1456
	scratch_load_b128 v[38:41], off, off offset:752
	v_fma_f64 v[44:45], v[44:45], v[6:7], v[163:164]
	v_fma_f64 v[42:43], v[42:43], v[6:7], -v[8:9]
	scratch_load_b128 v[6:9], off, off offset:768
	s_wait_loadcnt_dscnt 0xa01
	v_mul_f64_e32 v[169:170], v[2:3], v[12:13]
	v_mul_f64_e32 v[12:13], v[4:5], v[12:13]
	v_add_f64_e32 v[163:164], 0, v[165:166]
	v_add_f64_e32 v[165:166], 0, v[167:168]
	s_wait_loadcnt_dscnt 0x900
	v_mul_f64_e32 v[167:168], v[159:160], v[16:17]
	v_mul_f64_e32 v[16:17], v[161:162], v[16:17]
	v_fma_f64 v[169:170], v[4:5], v[10:11], v[169:170]
	v_fma_f64 v[171:172], v[2:3], v[10:11], -v[12:13]
	ds_load_b128 v[2:5], v1 offset:1472
	scratch_load_b128 v[10:13], off, off offset:784
	v_add_f64_e32 v[163:164], v[163:164], v[42:43]
	v_add_f64_e32 v[165:166], v[165:166], v[44:45]
	ds_load_b128 v[42:45], v1 offset:1488
	v_fma_f64 v[161:162], v[161:162], v[14:15], v[167:168]
	v_fma_f64 v[159:160], v[159:160], v[14:15], -v[16:17]
	scratch_load_b128 v[14:17], off, off offset:800
	s_wait_loadcnt_dscnt 0xa01
	v_mul_f64_e32 v[173:174], v[2:3], v[20:21]
	v_mul_f64_e32 v[20:21], v[4:5], v[20:21]
	s_wait_loadcnt_dscnt 0x900
	v_mul_f64_e32 v[167:168], v[42:43], v[24:25]
	v_mul_f64_e32 v[24:25], v[44:45], v[24:25]
	v_add_f64_e32 v[163:164], v[163:164], v[171:172]
	v_add_f64_e32 v[165:166], v[165:166], v[169:170]
	v_fma_f64 v[169:170], v[4:5], v[18:19], v[173:174]
	v_fma_f64 v[171:172], v[2:3], v[18:19], -v[20:21]
	ds_load_b128 v[2:5], v1 offset:1504
	scratch_load_b128 v[18:21], off, off offset:816
	v_fma_f64 v[44:45], v[44:45], v[22:23], v[167:168]
	v_fma_f64 v[42:43], v[42:43], v[22:23], -v[24:25]
	scratch_load_b128 v[22:25], off, off offset:832
	v_add_f64_e32 v[163:164], v[163:164], v[159:160]
	v_add_f64_e32 v[165:166], v[165:166], v[161:162]
	ds_load_b128 v[159:162], v1 offset:1520
	s_wait_loadcnt_dscnt 0xa01
	v_mul_f64_e32 v[173:174], v[2:3], v[28:29]
	v_mul_f64_e32 v[28:29], v[4:5], v[28:29]
	s_wait_loadcnt_dscnt 0x900
	v_mul_f64_e32 v[167:168], v[159:160], v[32:33]
	v_mul_f64_e32 v[32:33], v[161:162], v[32:33]
	v_add_f64_e32 v[163:164], v[163:164], v[171:172]
	v_add_f64_e32 v[165:166], v[165:166], v[169:170]
	v_fma_f64 v[169:170], v[4:5], v[26:27], v[173:174]
	v_fma_f64 v[171:172], v[2:3], v[26:27], -v[28:29]
	ds_load_b128 v[2:5], v1 offset:1536
	ds_load_b128 v[26:29], v1 offset:1552
	v_fma_f64 v[161:162], v[161:162], v[30:31], v[167:168]
	v_fma_f64 v[30:31], v[159:160], v[30:31], -v[32:33]
	v_add_f64_e32 v[42:43], v[163:164], v[42:43]
	v_add_f64_e32 v[44:45], v[165:166], v[44:45]
	s_wait_loadcnt_dscnt 0x801
	v_mul_f64_e32 v[163:164], v[2:3], v[36:37]
	v_mul_f64_e32 v[36:37], v[4:5], v[36:37]
	s_delay_alu instid0(VALU_DEP_4) | instskip(NEXT) | instid1(VALU_DEP_4)
	v_add_f64_e32 v[32:33], v[42:43], v[171:172]
	v_add_f64_e32 v[42:43], v[44:45], v[169:170]
	s_wait_loadcnt_dscnt 0x600
	v_mul_f64_e32 v[44:45], v[26:27], v[157:158]
	v_mul_f64_e32 v[157:158], v[28:29], v[157:158]
	v_fma_f64 v[159:160], v[4:5], v[34:35], v[163:164]
	v_fma_f64 v[34:35], v[2:3], v[34:35], -v[36:37]
	v_add_f64_e32 v[36:37], v[32:33], v[30:31]
	v_add_f64_e32 v[42:43], v[42:43], v[161:162]
	ds_load_b128 v[2:5], v1 offset:1568
	ds_load_b128 v[30:33], v1 offset:1584
	v_fma_f64 v[28:29], v[28:29], v[155:156], v[44:45]
	v_fma_f64 v[26:27], v[26:27], v[155:156], -v[157:158]
	s_wait_loadcnt_dscnt 0x501
	v_mul_f64_e32 v[161:162], v[2:3], v[40:41]
	v_mul_f64_e32 v[40:41], v[4:5], v[40:41]
	v_add_f64_e32 v[34:35], v[36:37], v[34:35]
	v_add_f64_e32 v[36:37], v[42:43], v[159:160]
	s_wait_loadcnt_dscnt 0x400
	v_mul_f64_e32 v[42:43], v[30:31], v[8:9]
	v_mul_f64_e32 v[8:9], v[32:33], v[8:9]
	v_fma_f64 v[44:45], v[4:5], v[38:39], v[161:162]
	v_fma_f64 v[38:39], v[2:3], v[38:39], -v[40:41]
	v_add_f64_e32 v[34:35], v[34:35], v[26:27]
	v_add_f64_e32 v[36:37], v[36:37], v[28:29]
	ds_load_b128 v[2:5], v1 offset:1600
	ds_load_b128 v[26:29], v1 offset:1616
	v_fma_f64 v[32:33], v[32:33], v[6:7], v[42:43]
	v_fma_f64 v[6:7], v[30:31], v[6:7], -v[8:9]
	s_wait_loadcnt_dscnt 0x301
	v_mul_f64_e32 v[40:41], v[2:3], v[12:13]
	v_mul_f64_e32 v[12:13], v[4:5], v[12:13]
	;; [unrolled: 16-line block ×3, first 2 shown]
	s_wait_loadcnt_dscnt 0x0
	v_mul_f64_e32 v[16:17], v[6:7], v[24:25]
	v_mul_f64_e32 v[24:25], v[8:9], v[24:25]
	v_add_f64_e32 v[10:11], v[12:13], v[10:11]
	v_add_f64_e32 v[12:13], v[30:31], v[36:37]
	v_fma_f64 v[4:5], v[4:5], v[18:19], v[32:33]
	v_fma_f64 v[1:2], v[2:3], v[18:19], -v[20:21]
	v_fma_f64 v[8:9], v[8:9], v[22:23], v[16:17]
	v_fma_f64 v[6:7], v[6:7], v[22:23], -v[24:25]
	v_add_f64_e32 v[10:11], v[10:11], v[14:15]
	v_add_f64_e32 v[12:13], v[12:13], v[28:29]
	s_delay_alu instid0(VALU_DEP_2) | instskip(NEXT) | instid1(VALU_DEP_2)
	v_add_f64_e32 v[1:2], v[10:11], v[1:2]
	v_add_f64_e32 v[3:4], v[12:13], v[4:5]
	s_delay_alu instid0(VALU_DEP_2) | instskip(NEXT) | instid1(VALU_DEP_2)
	;; [unrolled: 3-line block ×3, first 2 shown]
	v_add_f64_e64 v[1:2], v[151:152], -v[1:2]
	v_add_f64_e64 v[3:4], v[153:154], -v[3:4]
	scratch_store_b128 off, v[1:4], off offset:576
	v_cmpx_lt_u32_e32 34, v0
	s_cbranch_execz .LBB115_257
; %bb.256:
	scratch_load_b128 v[1:4], off, s30
	v_mov_b32_e32 v5, 0
	s_delay_alu instid0(VALU_DEP_1)
	v_dual_mov_b32 v6, v5 :: v_dual_mov_b32 v7, v5
	v_mov_b32_e32 v8, v5
	scratch_store_b128 off, v[5:8], off offset:560
	s_wait_loadcnt 0x0
	ds_store_b128 v150, v[1:4]
.LBB115_257:
	s_wait_alu 0xfffe
	s_or_b32 exec_lo, exec_lo, s0
	s_wait_storecnt_dscnt 0x0
	s_barrier_signal -1
	s_barrier_wait -1
	global_inv scope:SCOPE_SE
	s_clause 0x7
	scratch_load_b128 v[2:5], off, off offset:576
	scratch_load_b128 v[6:9], off, off offset:592
	;; [unrolled: 1-line block ×8, first 2 shown]
	v_mov_b32_e32 v1, 0
	s_mov_b32 s0, exec_lo
	ds_load_b128 v[34:37], v1 offset:1392
	s_clause 0x1
	scratch_load_b128 v[38:41], off, off offset:704
	scratch_load_b128 v[42:45], off, off offset:560
	ds_load_b128 v[151:154], v1 offset:1408
	scratch_load_b128 v[155:158], off, off offset:720
	s_wait_loadcnt_dscnt 0xa01
	v_mul_f64_e32 v[159:160], v[36:37], v[4:5]
	v_mul_f64_e32 v[4:5], v[34:35], v[4:5]
	s_delay_alu instid0(VALU_DEP_2) | instskip(NEXT) | instid1(VALU_DEP_2)
	v_fma_f64 v[165:166], v[34:35], v[2:3], -v[159:160]
	v_fma_f64 v[167:168], v[36:37], v[2:3], v[4:5]
	ds_load_b128 v[2:5], v1 offset:1424
	s_wait_loadcnt_dscnt 0x901
	v_mul_f64_e32 v[163:164], v[151:152], v[8:9]
	v_mul_f64_e32 v[8:9], v[153:154], v[8:9]
	scratch_load_b128 v[34:37], off, off offset:736
	ds_load_b128 v[159:162], v1 offset:1440
	s_wait_loadcnt_dscnt 0x901
	v_mul_f64_e32 v[169:170], v[2:3], v[12:13]
	v_mul_f64_e32 v[12:13], v[4:5], v[12:13]
	v_fma_f64 v[153:154], v[153:154], v[6:7], v[163:164]
	v_fma_f64 v[151:152], v[151:152], v[6:7], -v[8:9]
	v_add_f64_e32 v[163:164], 0, v[165:166]
	v_add_f64_e32 v[165:166], 0, v[167:168]
	scratch_load_b128 v[6:9], off, off offset:752
	v_fma_f64 v[169:170], v[4:5], v[10:11], v[169:170]
	v_fma_f64 v[171:172], v[2:3], v[10:11], -v[12:13]
	ds_load_b128 v[2:5], v1 offset:1456
	s_wait_loadcnt_dscnt 0x901
	v_mul_f64_e32 v[167:168], v[159:160], v[16:17]
	v_mul_f64_e32 v[16:17], v[161:162], v[16:17]
	scratch_load_b128 v[10:13], off, off offset:768
	v_add_f64_e32 v[163:164], v[163:164], v[151:152]
	v_add_f64_e32 v[165:166], v[165:166], v[153:154]
	s_wait_loadcnt_dscnt 0x900
	v_mul_f64_e32 v[173:174], v[2:3], v[20:21]
	v_mul_f64_e32 v[20:21], v[4:5], v[20:21]
	ds_load_b128 v[151:154], v1 offset:1472
	v_fma_f64 v[161:162], v[161:162], v[14:15], v[167:168]
	v_fma_f64 v[159:160], v[159:160], v[14:15], -v[16:17]
	scratch_load_b128 v[14:17], off, off offset:784
	v_add_f64_e32 v[163:164], v[163:164], v[171:172]
	v_add_f64_e32 v[165:166], v[165:166], v[169:170]
	v_fma_f64 v[169:170], v[4:5], v[18:19], v[173:174]
	v_fma_f64 v[171:172], v[2:3], v[18:19], -v[20:21]
	ds_load_b128 v[2:5], v1 offset:1488
	s_wait_loadcnt_dscnt 0x901
	v_mul_f64_e32 v[167:168], v[151:152], v[24:25]
	v_mul_f64_e32 v[24:25], v[153:154], v[24:25]
	scratch_load_b128 v[18:21], off, off offset:800
	s_wait_loadcnt_dscnt 0x900
	v_mul_f64_e32 v[173:174], v[2:3], v[28:29]
	v_mul_f64_e32 v[28:29], v[4:5], v[28:29]
	v_add_f64_e32 v[163:164], v[163:164], v[159:160]
	v_add_f64_e32 v[165:166], v[165:166], v[161:162]
	ds_load_b128 v[159:162], v1 offset:1504
	v_fma_f64 v[153:154], v[153:154], v[22:23], v[167:168]
	v_fma_f64 v[151:152], v[151:152], v[22:23], -v[24:25]
	scratch_load_b128 v[22:25], off, off offset:816
	v_add_f64_e32 v[163:164], v[163:164], v[171:172]
	v_add_f64_e32 v[165:166], v[165:166], v[169:170]
	v_fma_f64 v[169:170], v[4:5], v[26:27], v[173:174]
	v_fma_f64 v[171:172], v[2:3], v[26:27], -v[28:29]
	ds_load_b128 v[2:5], v1 offset:1520
	s_wait_loadcnt_dscnt 0x901
	v_mul_f64_e32 v[167:168], v[159:160], v[32:33]
	v_mul_f64_e32 v[32:33], v[161:162], v[32:33]
	scratch_load_b128 v[26:29], off, off offset:832
	s_wait_loadcnt_dscnt 0x900
	v_mul_f64_e32 v[173:174], v[2:3], v[40:41]
	v_mul_f64_e32 v[40:41], v[4:5], v[40:41]
	v_add_f64_e32 v[163:164], v[163:164], v[151:152]
	v_add_f64_e32 v[165:166], v[165:166], v[153:154]
	ds_load_b128 v[151:154], v1 offset:1536
	v_fma_f64 v[161:162], v[161:162], v[30:31], v[167:168]
	v_fma_f64 v[30:31], v[159:160], v[30:31], -v[32:33]
	v_add_f64_e32 v[32:33], v[163:164], v[171:172]
	v_add_f64_e32 v[159:160], v[165:166], v[169:170]
	s_wait_loadcnt_dscnt 0x700
	v_mul_f64_e32 v[163:164], v[151:152], v[157:158]
	v_mul_f64_e32 v[157:158], v[153:154], v[157:158]
	v_fma_f64 v[165:166], v[4:5], v[38:39], v[173:174]
	v_fma_f64 v[38:39], v[2:3], v[38:39], -v[40:41]
	v_add_f64_e32 v[40:41], v[32:33], v[30:31]
	v_add_f64_e32 v[159:160], v[159:160], v[161:162]
	ds_load_b128 v[2:5], v1 offset:1552
	ds_load_b128 v[30:33], v1 offset:1568
	v_fma_f64 v[153:154], v[153:154], v[155:156], v[163:164]
	v_fma_f64 v[151:152], v[151:152], v[155:156], -v[157:158]
	s_wait_loadcnt_dscnt 0x601
	v_mul_f64_e32 v[161:162], v[2:3], v[36:37]
	v_mul_f64_e32 v[36:37], v[4:5], v[36:37]
	v_add_f64_e32 v[38:39], v[40:41], v[38:39]
	v_add_f64_e32 v[40:41], v[159:160], v[165:166]
	s_wait_loadcnt_dscnt 0x500
	v_mul_f64_e32 v[155:156], v[30:31], v[8:9]
	v_mul_f64_e32 v[8:9], v[32:33], v[8:9]
	v_fma_f64 v[157:158], v[4:5], v[34:35], v[161:162]
	v_fma_f64 v[159:160], v[2:3], v[34:35], -v[36:37]
	ds_load_b128 v[2:5], v1 offset:1584
	ds_load_b128 v[34:37], v1 offset:1600
	v_add_f64_e32 v[38:39], v[38:39], v[151:152]
	v_add_f64_e32 v[40:41], v[40:41], v[153:154]
	s_wait_loadcnt_dscnt 0x401
	v_mul_f64_e32 v[151:152], v[2:3], v[12:13]
	v_mul_f64_e32 v[12:13], v[4:5], v[12:13]
	v_fma_f64 v[32:33], v[32:33], v[6:7], v[155:156]
	v_fma_f64 v[6:7], v[30:31], v[6:7], -v[8:9]
	v_add_f64_e32 v[8:9], v[38:39], v[159:160]
	v_add_f64_e32 v[30:31], v[40:41], v[157:158]
	s_wait_loadcnt_dscnt 0x300
	v_mul_f64_e32 v[38:39], v[34:35], v[16:17]
	v_mul_f64_e32 v[16:17], v[36:37], v[16:17]
	v_fma_f64 v[40:41], v[4:5], v[10:11], v[151:152]
	v_fma_f64 v[10:11], v[2:3], v[10:11], -v[12:13]
	v_add_f64_e32 v[12:13], v[8:9], v[6:7]
	v_add_f64_e32 v[30:31], v[30:31], v[32:33]
	ds_load_b128 v[2:5], v1 offset:1616
	ds_load_b128 v[6:9], v1 offset:1632
	v_fma_f64 v[36:37], v[36:37], v[14:15], v[38:39]
	v_fma_f64 v[14:15], v[34:35], v[14:15], -v[16:17]
	s_wait_loadcnt_dscnt 0x201
	v_mul_f64_e32 v[32:33], v[2:3], v[20:21]
	v_mul_f64_e32 v[20:21], v[4:5], v[20:21]
	s_wait_loadcnt_dscnt 0x100
	v_mul_f64_e32 v[16:17], v[6:7], v[24:25]
	v_mul_f64_e32 v[24:25], v[8:9], v[24:25]
	v_add_f64_e32 v[10:11], v[12:13], v[10:11]
	v_add_f64_e32 v[12:13], v[30:31], v[40:41]
	v_fma_f64 v[30:31], v[4:5], v[18:19], v[32:33]
	v_fma_f64 v[18:19], v[2:3], v[18:19], -v[20:21]
	ds_load_b128 v[2:5], v1 offset:1648
	v_fma_f64 v[8:9], v[8:9], v[22:23], v[16:17]
	v_fma_f64 v[6:7], v[6:7], v[22:23], -v[24:25]
	v_add_f64_e32 v[10:11], v[10:11], v[14:15]
	v_add_f64_e32 v[12:13], v[12:13], v[36:37]
	s_wait_loadcnt_dscnt 0x0
	v_mul_f64_e32 v[14:15], v[2:3], v[28:29]
	v_mul_f64_e32 v[20:21], v[4:5], v[28:29]
	s_delay_alu instid0(VALU_DEP_4) | instskip(NEXT) | instid1(VALU_DEP_4)
	v_add_f64_e32 v[10:11], v[10:11], v[18:19]
	v_add_f64_e32 v[12:13], v[12:13], v[30:31]
	s_delay_alu instid0(VALU_DEP_4) | instskip(NEXT) | instid1(VALU_DEP_4)
	v_fma_f64 v[4:5], v[4:5], v[26:27], v[14:15]
	v_fma_f64 v[2:3], v[2:3], v[26:27], -v[20:21]
	s_delay_alu instid0(VALU_DEP_4) | instskip(NEXT) | instid1(VALU_DEP_4)
	v_add_f64_e32 v[6:7], v[10:11], v[6:7]
	v_add_f64_e32 v[8:9], v[12:13], v[8:9]
	s_delay_alu instid0(VALU_DEP_2) | instskip(NEXT) | instid1(VALU_DEP_2)
	v_add_f64_e32 v[2:3], v[6:7], v[2:3]
	v_add_f64_e32 v[4:5], v[8:9], v[4:5]
	s_delay_alu instid0(VALU_DEP_2) | instskip(NEXT) | instid1(VALU_DEP_2)
	v_add_f64_e64 v[2:3], v[42:43], -v[2:3]
	v_add_f64_e64 v[4:5], v[44:45], -v[4:5]
	scratch_store_b128 off, v[2:5], off offset:560
	v_cmpx_lt_u32_e32 33, v0
	s_cbranch_execz .LBB115_259
; %bb.258:
	scratch_load_b128 v[5:8], off, s31
	v_dual_mov_b32 v2, v1 :: v_dual_mov_b32 v3, v1
	v_mov_b32_e32 v4, v1
	scratch_store_b128 off, v[1:4], off offset:544
	s_wait_loadcnt 0x0
	ds_store_b128 v150, v[5:8]
.LBB115_259:
	s_wait_alu 0xfffe
	s_or_b32 exec_lo, exec_lo, s0
	s_wait_storecnt_dscnt 0x0
	s_barrier_signal -1
	s_barrier_wait -1
	global_inv scope:SCOPE_SE
	s_clause 0x8
	scratch_load_b128 v[2:5], off, off offset:560
	scratch_load_b128 v[6:9], off, off offset:576
	;; [unrolled: 1-line block ×9, first 2 shown]
	ds_load_b128 v[38:41], v1 offset:1376
	ds_load_b128 v[42:45], v1 offset:1392
	s_clause 0x1
	scratch_load_b128 v[151:154], off, off offset:544
	scratch_load_b128 v[155:158], off, off offset:704
	s_mov_b32 s0, exec_lo
	s_wait_loadcnt_dscnt 0xa01
	v_mul_f64_e32 v[159:160], v[40:41], v[4:5]
	v_mul_f64_e32 v[4:5], v[38:39], v[4:5]
	s_wait_loadcnt_dscnt 0x900
	v_mul_f64_e32 v[163:164], v[42:43], v[8:9]
	v_mul_f64_e32 v[8:9], v[44:45], v[8:9]
	s_delay_alu instid0(VALU_DEP_4) | instskip(NEXT) | instid1(VALU_DEP_4)
	v_fma_f64 v[165:166], v[38:39], v[2:3], -v[159:160]
	v_fma_f64 v[167:168], v[40:41], v[2:3], v[4:5]
	ds_load_b128 v[2:5], v1 offset:1408
	ds_load_b128 v[159:162], v1 offset:1424
	scratch_load_b128 v[38:41], off, off offset:720
	v_fma_f64 v[44:45], v[44:45], v[6:7], v[163:164]
	v_fma_f64 v[42:43], v[42:43], v[6:7], -v[8:9]
	scratch_load_b128 v[6:9], off, off offset:736
	s_wait_loadcnt_dscnt 0xa01
	v_mul_f64_e32 v[169:170], v[2:3], v[12:13]
	v_mul_f64_e32 v[12:13], v[4:5], v[12:13]
	v_add_f64_e32 v[163:164], 0, v[165:166]
	v_add_f64_e32 v[165:166], 0, v[167:168]
	s_wait_loadcnt_dscnt 0x900
	v_mul_f64_e32 v[167:168], v[159:160], v[16:17]
	v_mul_f64_e32 v[16:17], v[161:162], v[16:17]
	v_fma_f64 v[169:170], v[4:5], v[10:11], v[169:170]
	v_fma_f64 v[171:172], v[2:3], v[10:11], -v[12:13]
	ds_load_b128 v[2:5], v1 offset:1440
	scratch_load_b128 v[10:13], off, off offset:752
	v_add_f64_e32 v[163:164], v[163:164], v[42:43]
	v_add_f64_e32 v[165:166], v[165:166], v[44:45]
	ds_load_b128 v[42:45], v1 offset:1456
	v_fma_f64 v[161:162], v[161:162], v[14:15], v[167:168]
	v_fma_f64 v[159:160], v[159:160], v[14:15], -v[16:17]
	scratch_load_b128 v[14:17], off, off offset:768
	s_wait_loadcnt_dscnt 0xa01
	v_mul_f64_e32 v[173:174], v[2:3], v[20:21]
	v_mul_f64_e32 v[20:21], v[4:5], v[20:21]
	s_wait_loadcnt_dscnt 0x900
	v_mul_f64_e32 v[167:168], v[42:43], v[24:25]
	v_mul_f64_e32 v[24:25], v[44:45], v[24:25]
	v_add_f64_e32 v[163:164], v[163:164], v[171:172]
	v_add_f64_e32 v[165:166], v[165:166], v[169:170]
	v_fma_f64 v[169:170], v[4:5], v[18:19], v[173:174]
	v_fma_f64 v[171:172], v[2:3], v[18:19], -v[20:21]
	ds_load_b128 v[2:5], v1 offset:1472
	scratch_load_b128 v[18:21], off, off offset:784
	v_fma_f64 v[44:45], v[44:45], v[22:23], v[167:168]
	v_fma_f64 v[42:43], v[42:43], v[22:23], -v[24:25]
	scratch_load_b128 v[22:25], off, off offset:800
	v_add_f64_e32 v[163:164], v[163:164], v[159:160]
	v_add_f64_e32 v[165:166], v[165:166], v[161:162]
	ds_load_b128 v[159:162], v1 offset:1488
	s_wait_loadcnt_dscnt 0xa01
	v_mul_f64_e32 v[173:174], v[2:3], v[28:29]
	v_mul_f64_e32 v[28:29], v[4:5], v[28:29]
	s_wait_loadcnt_dscnt 0x900
	v_mul_f64_e32 v[167:168], v[159:160], v[32:33]
	v_mul_f64_e32 v[32:33], v[161:162], v[32:33]
	v_add_f64_e32 v[163:164], v[163:164], v[171:172]
	v_add_f64_e32 v[165:166], v[165:166], v[169:170]
	v_fma_f64 v[169:170], v[4:5], v[26:27], v[173:174]
	v_fma_f64 v[171:172], v[2:3], v[26:27], -v[28:29]
	ds_load_b128 v[2:5], v1 offset:1504
	scratch_load_b128 v[26:29], off, off offset:816
	v_fma_f64 v[161:162], v[161:162], v[30:31], v[167:168]
	v_fma_f64 v[159:160], v[159:160], v[30:31], -v[32:33]
	scratch_load_b128 v[30:33], off, off offset:832
	v_add_f64_e32 v[163:164], v[163:164], v[42:43]
	v_add_f64_e32 v[165:166], v[165:166], v[44:45]
	ds_load_b128 v[42:45], v1 offset:1520
	s_wait_loadcnt_dscnt 0xa01
	v_mul_f64_e32 v[173:174], v[2:3], v[36:37]
	v_mul_f64_e32 v[36:37], v[4:5], v[36:37]
	s_wait_loadcnt_dscnt 0x800
	v_mul_f64_e32 v[167:168], v[42:43], v[157:158]
	v_mul_f64_e32 v[157:158], v[44:45], v[157:158]
	v_add_f64_e32 v[163:164], v[163:164], v[171:172]
	v_add_f64_e32 v[165:166], v[165:166], v[169:170]
	v_fma_f64 v[169:170], v[4:5], v[34:35], v[173:174]
	v_fma_f64 v[171:172], v[2:3], v[34:35], -v[36:37]
	ds_load_b128 v[2:5], v1 offset:1536
	ds_load_b128 v[34:37], v1 offset:1552
	v_fma_f64 v[44:45], v[44:45], v[155:156], v[167:168]
	v_fma_f64 v[42:43], v[42:43], v[155:156], -v[157:158]
	v_add_f64_e32 v[159:160], v[163:164], v[159:160]
	v_add_f64_e32 v[161:162], v[165:166], v[161:162]
	s_wait_loadcnt_dscnt 0x701
	v_mul_f64_e32 v[163:164], v[2:3], v[40:41]
	v_mul_f64_e32 v[40:41], v[4:5], v[40:41]
	s_delay_alu instid0(VALU_DEP_4) | instskip(NEXT) | instid1(VALU_DEP_4)
	v_add_f64_e32 v[155:156], v[159:160], v[171:172]
	v_add_f64_e32 v[157:158], v[161:162], v[169:170]
	s_wait_loadcnt_dscnt 0x600
	v_mul_f64_e32 v[159:160], v[34:35], v[8:9]
	v_mul_f64_e32 v[8:9], v[36:37], v[8:9]
	v_fma_f64 v[161:162], v[4:5], v[38:39], v[163:164]
	v_fma_f64 v[163:164], v[2:3], v[38:39], -v[40:41]
	ds_load_b128 v[2:5], v1 offset:1568
	ds_load_b128 v[38:41], v1 offset:1584
	v_add_f64_e32 v[42:43], v[155:156], v[42:43]
	v_add_f64_e32 v[44:45], v[157:158], v[44:45]
	v_fma_f64 v[36:37], v[36:37], v[6:7], v[159:160]
	s_wait_loadcnt_dscnt 0x501
	v_mul_f64_e32 v[155:156], v[2:3], v[12:13]
	v_mul_f64_e32 v[12:13], v[4:5], v[12:13]
	v_fma_f64 v[6:7], v[34:35], v[6:7], -v[8:9]
	v_add_f64_e32 v[8:9], v[42:43], v[163:164]
	v_add_f64_e32 v[34:35], v[44:45], v[161:162]
	s_wait_loadcnt_dscnt 0x400
	v_mul_f64_e32 v[42:43], v[38:39], v[16:17]
	v_mul_f64_e32 v[16:17], v[40:41], v[16:17]
	v_fma_f64 v[44:45], v[4:5], v[10:11], v[155:156]
	v_fma_f64 v[10:11], v[2:3], v[10:11], -v[12:13]
	v_add_f64_e32 v[12:13], v[8:9], v[6:7]
	v_add_f64_e32 v[34:35], v[34:35], v[36:37]
	ds_load_b128 v[2:5], v1 offset:1600
	ds_load_b128 v[6:9], v1 offset:1616
	v_fma_f64 v[40:41], v[40:41], v[14:15], v[42:43]
	v_fma_f64 v[14:15], v[38:39], v[14:15], -v[16:17]
	s_wait_loadcnt_dscnt 0x301
	v_mul_f64_e32 v[36:37], v[2:3], v[20:21]
	v_mul_f64_e32 v[20:21], v[4:5], v[20:21]
	s_wait_loadcnt_dscnt 0x200
	v_mul_f64_e32 v[16:17], v[6:7], v[24:25]
	v_mul_f64_e32 v[24:25], v[8:9], v[24:25]
	v_add_f64_e32 v[10:11], v[12:13], v[10:11]
	v_add_f64_e32 v[12:13], v[34:35], v[44:45]
	v_fma_f64 v[34:35], v[4:5], v[18:19], v[36:37]
	v_fma_f64 v[18:19], v[2:3], v[18:19], -v[20:21]
	v_fma_f64 v[8:9], v[8:9], v[22:23], v[16:17]
	v_fma_f64 v[6:7], v[6:7], v[22:23], -v[24:25]
	v_add_f64_e32 v[14:15], v[10:11], v[14:15]
	v_add_f64_e32 v[20:21], v[12:13], v[40:41]
	ds_load_b128 v[2:5], v1 offset:1632
	ds_load_b128 v[10:13], v1 offset:1648
	s_wait_loadcnt_dscnt 0x101
	v_mul_f64_e32 v[36:37], v[2:3], v[28:29]
	v_mul_f64_e32 v[28:29], v[4:5], v[28:29]
	v_add_f64_e32 v[14:15], v[14:15], v[18:19]
	v_add_f64_e32 v[16:17], v[20:21], v[34:35]
	s_wait_loadcnt_dscnt 0x0
	v_mul_f64_e32 v[18:19], v[10:11], v[32:33]
	v_mul_f64_e32 v[20:21], v[12:13], v[32:33]
	v_fma_f64 v[4:5], v[4:5], v[26:27], v[36:37]
	v_fma_f64 v[1:2], v[2:3], v[26:27], -v[28:29]
	v_add_f64_e32 v[6:7], v[14:15], v[6:7]
	v_add_f64_e32 v[8:9], v[16:17], v[8:9]
	v_fma_f64 v[12:13], v[12:13], v[30:31], v[18:19]
	v_fma_f64 v[10:11], v[10:11], v[30:31], -v[20:21]
	s_delay_alu instid0(VALU_DEP_4) | instskip(NEXT) | instid1(VALU_DEP_4)
	v_add_f64_e32 v[1:2], v[6:7], v[1:2]
	v_add_f64_e32 v[3:4], v[8:9], v[4:5]
	s_delay_alu instid0(VALU_DEP_2) | instskip(NEXT) | instid1(VALU_DEP_2)
	v_add_f64_e32 v[1:2], v[1:2], v[10:11]
	v_add_f64_e32 v[3:4], v[3:4], v[12:13]
	s_delay_alu instid0(VALU_DEP_2) | instskip(NEXT) | instid1(VALU_DEP_2)
	v_add_f64_e64 v[1:2], v[151:152], -v[1:2]
	v_add_f64_e64 v[3:4], v[153:154], -v[3:4]
	scratch_store_b128 off, v[1:4], off offset:544
	v_cmpx_lt_u32_e32 32, v0
	s_cbranch_execz .LBB115_261
; %bb.260:
	scratch_load_b128 v[1:4], off, s33
	v_mov_b32_e32 v5, 0
	s_delay_alu instid0(VALU_DEP_1)
	v_dual_mov_b32 v6, v5 :: v_dual_mov_b32 v7, v5
	v_mov_b32_e32 v8, v5
	scratch_store_b128 off, v[5:8], off offset:528
	s_wait_loadcnt 0x0
	ds_store_b128 v150, v[1:4]
.LBB115_261:
	s_wait_alu 0xfffe
	s_or_b32 exec_lo, exec_lo, s0
	s_wait_storecnt_dscnt 0x0
	s_barrier_signal -1
	s_barrier_wait -1
	global_inv scope:SCOPE_SE
	s_clause 0x7
	scratch_load_b128 v[2:5], off, off offset:544
	scratch_load_b128 v[6:9], off, off offset:560
	;; [unrolled: 1-line block ×8, first 2 shown]
	v_mov_b32_e32 v1, 0
	s_mov_b32 s0, exec_lo
	ds_load_b128 v[34:37], v1 offset:1360
	s_clause 0x1
	scratch_load_b128 v[38:41], off, off offset:672
	scratch_load_b128 v[42:45], off, off offset:528
	ds_load_b128 v[151:154], v1 offset:1376
	scratch_load_b128 v[155:158], off, off offset:688
	s_wait_loadcnt_dscnt 0xa01
	v_mul_f64_e32 v[159:160], v[36:37], v[4:5]
	v_mul_f64_e32 v[4:5], v[34:35], v[4:5]
	s_delay_alu instid0(VALU_DEP_2) | instskip(NEXT) | instid1(VALU_DEP_2)
	v_fma_f64 v[165:166], v[34:35], v[2:3], -v[159:160]
	v_fma_f64 v[167:168], v[36:37], v[2:3], v[4:5]
	ds_load_b128 v[2:5], v1 offset:1392
	s_wait_loadcnt_dscnt 0x901
	v_mul_f64_e32 v[163:164], v[151:152], v[8:9]
	v_mul_f64_e32 v[8:9], v[153:154], v[8:9]
	scratch_load_b128 v[34:37], off, off offset:704
	ds_load_b128 v[159:162], v1 offset:1408
	s_wait_loadcnt_dscnt 0x901
	v_mul_f64_e32 v[169:170], v[2:3], v[12:13]
	v_mul_f64_e32 v[12:13], v[4:5], v[12:13]
	v_fma_f64 v[153:154], v[153:154], v[6:7], v[163:164]
	v_fma_f64 v[151:152], v[151:152], v[6:7], -v[8:9]
	v_add_f64_e32 v[163:164], 0, v[165:166]
	v_add_f64_e32 v[165:166], 0, v[167:168]
	scratch_load_b128 v[6:9], off, off offset:720
	v_fma_f64 v[169:170], v[4:5], v[10:11], v[169:170]
	v_fma_f64 v[171:172], v[2:3], v[10:11], -v[12:13]
	ds_load_b128 v[2:5], v1 offset:1424
	s_wait_loadcnt_dscnt 0x901
	v_mul_f64_e32 v[167:168], v[159:160], v[16:17]
	v_mul_f64_e32 v[16:17], v[161:162], v[16:17]
	scratch_load_b128 v[10:13], off, off offset:736
	v_add_f64_e32 v[163:164], v[163:164], v[151:152]
	v_add_f64_e32 v[165:166], v[165:166], v[153:154]
	s_wait_loadcnt_dscnt 0x900
	v_mul_f64_e32 v[173:174], v[2:3], v[20:21]
	v_mul_f64_e32 v[20:21], v[4:5], v[20:21]
	ds_load_b128 v[151:154], v1 offset:1440
	v_fma_f64 v[161:162], v[161:162], v[14:15], v[167:168]
	v_fma_f64 v[159:160], v[159:160], v[14:15], -v[16:17]
	scratch_load_b128 v[14:17], off, off offset:752
	v_add_f64_e32 v[163:164], v[163:164], v[171:172]
	v_add_f64_e32 v[165:166], v[165:166], v[169:170]
	v_fma_f64 v[169:170], v[4:5], v[18:19], v[173:174]
	v_fma_f64 v[171:172], v[2:3], v[18:19], -v[20:21]
	ds_load_b128 v[2:5], v1 offset:1456
	s_wait_loadcnt_dscnt 0x901
	v_mul_f64_e32 v[167:168], v[151:152], v[24:25]
	v_mul_f64_e32 v[24:25], v[153:154], v[24:25]
	scratch_load_b128 v[18:21], off, off offset:768
	s_wait_loadcnt_dscnt 0x900
	v_mul_f64_e32 v[173:174], v[2:3], v[28:29]
	v_mul_f64_e32 v[28:29], v[4:5], v[28:29]
	v_add_f64_e32 v[163:164], v[163:164], v[159:160]
	v_add_f64_e32 v[165:166], v[165:166], v[161:162]
	ds_load_b128 v[159:162], v1 offset:1472
	v_fma_f64 v[153:154], v[153:154], v[22:23], v[167:168]
	v_fma_f64 v[151:152], v[151:152], v[22:23], -v[24:25]
	scratch_load_b128 v[22:25], off, off offset:784
	v_add_f64_e32 v[163:164], v[163:164], v[171:172]
	v_add_f64_e32 v[165:166], v[165:166], v[169:170]
	v_fma_f64 v[169:170], v[4:5], v[26:27], v[173:174]
	v_fma_f64 v[171:172], v[2:3], v[26:27], -v[28:29]
	ds_load_b128 v[2:5], v1 offset:1488
	s_wait_loadcnt_dscnt 0x901
	v_mul_f64_e32 v[167:168], v[159:160], v[32:33]
	v_mul_f64_e32 v[32:33], v[161:162], v[32:33]
	scratch_load_b128 v[26:29], off, off offset:800
	s_wait_loadcnt_dscnt 0x900
	v_mul_f64_e32 v[173:174], v[2:3], v[40:41]
	v_mul_f64_e32 v[40:41], v[4:5], v[40:41]
	v_add_f64_e32 v[163:164], v[163:164], v[151:152]
	v_add_f64_e32 v[165:166], v[165:166], v[153:154]
	ds_load_b128 v[151:154], v1 offset:1504
	v_fma_f64 v[161:162], v[161:162], v[30:31], v[167:168]
	v_fma_f64 v[159:160], v[159:160], v[30:31], -v[32:33]
	scratch_load_b128 v[30:33], off, off offset:816
	v_add_f64_e32 v[163:164], v[163:164], v[171:172]
	v_add_f64_e32 v[165:166], v[165:166], v[169:170]
	v_fma_f64 v[171:172], v[4:5], v[38:39], v[173:174]
	v_fma_f64 v[173:174], v[2:3], v[38:39], -v[40:41]
	ds_load_b128 v[2:5], v1 offset:1520
	s_wait_loadcnt_dscnt 0x801
	v_mul_f64_e32 v[167:168], v[151:152], v[157:158]
	v_mul_f64_e32 v[169:170], v[153:154], v[157:158]
	scratch_load_b128 v[38:41], off, off offset:832
	v_add_f64_e32 v[163:164], v[163:164], v[159:160]
	v_add_f64_e32 v[161:162], v[165:166], v[161:162]
	ds_load_b128 v[157:160], v1 offset:1536
	v_fma_f64 v[153:154], v[153:154], v[155:156], v[167:168]
	v_fma_f64 v[151:152], v[151:152], v[155:156], -v[169:170]
	s_wait_loadcnt_dscnt 0x801
	v_mul_f64_e32 v[165:166], v[2:3], v[36:37]
	v_mul_f64_e32 v[36:37], v[4:5], v[36:37]
	v_add_f64_e32 v[155:156], v[163:164], v[173:174]
	v_add_f64_e32 v[161:162], v[161:162], v[171:172]
	s_delay_alu instid0(VALU_DEP_4) | instskip(NEXT) | instid1(VALU_DEP_4)
	v_fma_f64 v[165:166], v[4:5], v[34:35], v[165:166]
	v_fma_f64 v[167:168], v[2:3], v[34:35], -v[36:37]
	s_wait_loadcnt_dscnt 0x700
	v_mul_f64_e32 v[163:164], v[157:158], v[8:9]
	v_mul_f64_e32 v[8:9], v[159:160], v[8:9]
	ds_load_b128 v[2:5], v1 offset:1552
	ds_load_b128 v[34:37], v1 offset:1568
	v_add_f64_e32 v[151:152], v[155:156], v[151:152]
	v_add_f64_e32 v[153:154], v[161:162], v[153:154]
	s_wait_loadcnt_dscnt 0x601
	v_mul_f64_e32 v[155:156], v[2:3], v[12:13]
	v_mul_f64_e32 v[12:13], v[4:5], v[12:13]
	v_fma_f64 v[159:160], v[159:160], v[6:7], v[163:164]
	v_fma_f64 v[6:7], v[157:158], v[6:7], -v[8:9]
	v_add_f64_e32 v[8:9], v[151:152], v[167:168]
	v_add_f64_e32 v[151:152], v[153:154], v[165:166]
	s_wait_loadcnt_dscnt 0x500
	v_mul_f64_e32 v[153:154], v[34:35], v[16:17]
	v_mul_f64_e32 v[16:17], v[36:37], v[16:17]
	v_fma_f64 v[155:156], v[4:5], v[10:11], v[155:156]
	v_fma_f64 v[10:11], v[2:3], v[10:11], -v[12:13]
	v_add_f64_e32 v[12:13], v[8:9], v[6:7]
	v_add_f64_e32 v[151:152], v[151:152], v[159:160]
	ds_load_b128 v[2:5], v1 offset:1584
	ds_load_b128 v[6:9], v1 offset:1600
	v_fma_f64 v[36:37], v[36:37], v[14:15], v[153:154]
	v_fma_f64 v[14:15], v[34:35], v[14:15], -v[16:17]
	s_wait_loadcnt_dscnt 0x401
	v_mul_f64_e32 v[157:158], v[2:3], v[20:21]
	v_mul_f64_e32 v[20:21], v[4:5], v[20:21]
	s_wait_loadcnt_dscnt 0x300
	v_mul_f64_e32 v[16:17], v[6:7], v[24:25]
	v_mul_f64_e32 v[24:25], v[8:9], v[24:25]
	v_add_f64_e32 v[10:11], v[12:13], v[10:11]
	v_add_f64_e32 v[12:13], v[151:152], v[155:156]
	v_fma_f64 v[34:35], v[4:5], v[18:19], v[157:158]
	v_fma_f64 v[18:19], v[2:3], v[18:19], -v[20:21]
	v_fma_f64 v[8:9], v[8:9], v[22:23], v[16:17]
	v_fma_f64 v[6:7], v[6:7], v[22:23], -v[24:25]
	v_add_f64_e32 v[14:15], v[10:11], v[14:15]
	v_add_f64_e32 v[20:21], v[12:13], v[36:37]
	ds_load_b128 v[2:5], v1 offset:1616
	ds_load_b128 v[10:13], v1 offset:1632
	s_wait_loadcnt_dscnt 0x201
	v_mul_f64_e32 v[36:37], v[2:3], v[28:29]
	v_mul_f64_e32 v[28:29], v[4:5], v[28:29]
	v_add_f64_e32 v[14:15], v[14:15], v[18:19]
	v_add_f64_e32 v[16:17], v[20:21], v[34:35]
	s_wait_loadcnt_dscnt 0x100
	v_mul_f64_e32 v[18:19], v[10:11], v[32:33]
	v_mul_f64_e32 v[20:21], v[12:13], v[32:33]
	v_fma_f64 v[22:23], v[4:5], v[26:27], v[36:37]
	v_fma_f64 v[24:25], v[2:3], v[26:27], -v[28:29]
	ds_load_b128 v[2:5], v1 offset:1648
	v_add_f64_e32 v[6:7], v[14:15], v[6:7]
	v_add_f64_e32 v[8:9], v[16:17], v[8:9]
	v_fma_f64 v[12:13], v[12:13], v[30:31], v[18:19]
	v_fma_f64 v[10:11], v[10:11], v[30:31], -v[20:21]
	s_wait_loadcnt_dscnt 0x0
	v_mul_f64_e32 v[14:15], v[2:3], v[40:41]
	v_mul_f64_e32 v[16:17], v[4:5], v[40:41]
	v_add_f64_e32 v[6:7], v[6:7], v[24:25]
	v_add_f64_e32 v[8:9], v[8:9], v[22:23]
	s_delay_alu instid0(VALU_DEP_4) | instskip(NEXT) | instid1(VALU_DEP_4)
	v_fma_f64 v[4:5], v[4:5], v[38:39], v[14:15]
	v_fma_f64 v[2:3], v[2:3], v[38:39], -v[16:17]
	s_delay_alu instid0(VALU_DEP_4) | instskip(NEXT) | instid1(VALU_DEP_4)
	v_add_f64_e32 v[6:7], v[6:7], v[10:11]
	v_add_f64_e32 v[8:9], v[8:9], v[12:13]
	s_delay_alu instid0(VALU_DEP_2) | instskip(NEXT) | instid1(VALU_DEP_2)
	v_add_f64_e32 v[2:3], v[6:7], v[2:3]
	v_add_f64_e32 v[4:5], v[8:9], v[4:5]
	s_delay_alu instid0(VALU_DEP_2) | instskip(NEXT) | instid1(VALU_DEP_2)
	v_add_f64_e64 v[2:3], v[42:43], -v[2:3]
	v_add_f64_e64 v[4:5], v[44:45], -v[4:5]
	scratch_store_b128 off, v[2:5], off offset:528
	v_cmpx_lt_u32_e32 31, v0
	s_cbranch_execz .LBB115_263
; %bb.262:
	scratch_load_b128 v[5:8], off, s34
	v_dual_mov_b32 v2, v1 :: v_dual_mov_b32 v3, v1
	v_mov_b32_e32 v4, v1
	scratch_store_b128 off, v[1:4], off offset:512
	s_wait_loadcnt 0x0
	ds_store_b128 v150, v[5:8]
.LBB115_263:
	s_wait_alu 0xfffe
	s_or_b32 exec_lo, exec_lo, s0
	s_wait_storecnt_dscnt 0x0
	s_barrier_signal -1
	s_barrier_wait -1
	global_inv scope:SCOPE_SE
	s_clause 0x8
	scratch_load_b128 v[2:5], off, off offset:528
	scratch_load_b128 v[6:9], off, off offset:544
	;; [unrolled: 1-line block ×9, first 2 shown]
	ds_load_b128 v[38:41], v1 offset:1344
	ds_load_b128 v[42:45], v1 offset:1360
	s_clause 0x1
	scratch_load_b128 v[151:154], off, off offset:512
	scratch_load_b128 v[155:158], off, off offset:672
	s_mov_b32 s0, exec_lo
	s_wait_loadcnt_dscnt 0xa01
	v_mul_f64_e32 v[159:160], v[40:41], v[4:5]
	v_mul_f64_e32 v[4:5], v[38:39], v[4:5]
	s_wait_loadcnt_dscnt 0x900
	v_mul_f64_e32 v[163:164], v[42:43], v[8:9]
	v_mul_f64_e32 v[8:9], v[44:45], v[8:9]
	s_delay_alu instid0(VALU_DEP_4) | instskip(NEXT) | instid1(VALU_DEP_4)
	v_fma_f64 v[165:166], v[38:39], v[2:3], -v[159:160]
	v_fma_f64 v[167:168], v[40:41], v[2:3], v[4:5]
	ds_load_b128 v[2:5], v1 offset:1376
	ds_load_b128 v[159:162], v1 offset:1392
	scratch_load_b128 v[38:41], off, off offset:688
	v_fma_f64 v[44:45], v[44:45], v[6:7], v[163:164]
	v_fma_f64 v[42:43], v[42:43], v[6:7], -v[8:9]
	scratch_load_b128 v[6:9], off, off offset:704
	s_wait_loadcnt_dscnt 0xa01
	v_mul_f64_e32 v[169:170], v[2:3], v[12:13]
	v_mul_f64_e32 v[12:13], v[4:5], v[12:13]
	v_add_f64_e32 v[163:164], 0, v[165:166]
	v_add_f64_e32 v[165:166], 0, v[167:168]
	s_wait_loadcnt_dscnt 0x900
	v_mul_f64_e32 v[167:168], v[159:160], v[16:17]
	v_mul_f64_e32 v[16:17], v[161:162], v[16:17]
	v_fma_f64 v[169:170], v[4:5], v[10:11], v[169:170]
	v_fma_f64 v[171:172], v[2:3], v[10:11], -v[12:13]
	ds_load_b128 v[2:5], v1 offset:1408
	scratch_load_b128 v[10:13], off, off offset:720
	v_add_f64_e32 v[163:164], v[163:164], v[42:43]
	v_add_f64_e32 v[165:166], v[165:166], v[44:45]
	ds_load_b128 v[42:45], v1 offset:1424
	v_fma_f64 v[161:162], v[161:162], v[14:15], v[167:168]
	v_fma_f64 v[159:160], v[159:160], v[14:15], -v[16:17]
	scratch_load_b128 v[14:17], off, off offset:736
	s_wait_loadcnt_dscnt 0xa01
	v_mul_f64_e32 v[173:174], v[2:3], v[20:21]
	v_mul_f64_e32 v[20:21], v[4:5], v[20:21]
	s_wait_loadcnt_dscnt 0x900
	v_mul_f64_e32 v[167:168], v[42:43], v[24:25]
	v_mul_f64_e32 v[24:25], v[44:45], v[24:25]
	v_add_f64_e32 v[163:164], v[163:164], v[171:172]
	v_add_f64_e32 v[165:166], v[165:166], v[169:170]
	v_fma_f64 v[169:170], v[4:5], v[18:19], v[173:174]
	v_fma_f64 v[171:172], v[2:3], v[18:19], -v[20:21]
	ds_load_b128 v[2:5], v1 offset:1440
	scratch_load_b128 v[18:21], off, off offset:752
	v_fma_f64 v[44:45], v[44:45], v[22:23], v[167:168]
	v_fma_f64 v[42:43], v[42:43], v[22:23], -v[24:25]
	scratch_load_b128 v[22:25], off, off offset:768
	v_add_f64_e32 v[163:164], v[163:164], v[159:160]
	v_add_f64_e32 v[165:166], v[165:166], v[161:162]
	ds_load_b128 v[159:162], v1 offset:1456
	s_wait_loadcnt_dscnt 0xa01
	v_mul_f64_e32 v[173:174], v[2:3], v[28:29]
	v_mul_f64_e32 v[28:29], v[4:5], v[28:29]
	s_wait_loadcnt_dscnt 0x900
	v_mul_f64_e32 v[167:168], v[159:160], v[32:33]
	v_mul_f64_e32 v[32:33], v[161:162], v[32:33]
	v_add_f64_e32 v[163:164], v[163:164], v[171:172]
	v_add_f64_e32 v[165:166], v[165:166], v[169:170]
	v_fma_f64 v[169:170], v[4:5], v[26:27], v[173:174]
	v_fma_f64 v[171:172], v[2:3], v[26:27], -v[28:29]
	ds_load_b128 v[2:5], v1 offset:1472
	scratch_load_b128 v[26:29], off, off offset:784
	v_fma_f64 v[161:162], v[161:162], v[30:31], v[167:168]
	v_fma_f64 v[159:160], v[159:160], v[30:31], -v[32:33]
	scratch_load_b128 v[30:33], off, off offset:800
	v_add_f64_e32 v[163:164], v[163:164], v[42:43]
	v_add_f64_e32 v[165:166], v[165:166], v[44:45]
	ds_load_b128 v[42:45], v1 offset:1488
	s_wait_loadcnt_dscnt 0xa01
	v_mul_f64_e32 v[173:174], v[2:3], v[36:37]
	v_mul_f64_e32 v[36:37], v[4:5], v[36:37]
	s_wait_loadcnt_dscnt 0x800
	v_mul_f64_e32 v[167:168], v[42:43], v[157:158]
	v_add_f64_e32 v[163:164], v[163:164], v[171:172]
	v_add_f64_e32 v[165:166], v[165:166], v[169:170]
	v_mul_f64_e32 v[169:170], v[44:45], v[157:158]
	v_fma_f64 v[171:172], v[4:5], v[34:35], v[173:174]
	v_fma_f64 v[173:174], v[2:3], v[34:35], -v[36:37]
	ds_load_b128 v[2:5], v1 offset:1504
	scratch_load_b128 v[34:37], off, off offset:816
	v_fma_f64 v[44:45], v[44:45], v[155:156], v[167:168]
	v_add_f64_e32 v[163:164], v[163:164], v[159:160]
	v_add_f64_e32 v[161:162], v[165:166], v[161:162]
	ds_load_b128 v[157:160], v1 offset:1520
	v_fma_f64 v[155:156], v[42:43], v[155:156], -v[169:170]
	s_wait_loadcnt_dscnt 0x801
	v_mul_f64_e32 v[165:166], v[2:3], v[40:41]
	v_mul_f64_e32 v[175:176], v[4:5], v[40:41]
	scratch_load_b128 v[40:43], off, off offset:832
	s_wait_loadcnt_dscnt 0x800
	v_mul_f64_e32 v[167:168], v[157:158], v[8:9]
	v_mul_f64_e32 v[8:9], v[159:160], v[8:9]
	v_add_f64_e32 v[163:164], v[163:164], v[173:174]
	v_add_f64_e32 v[161:162], v[161:162], v[171:172]
	v_fma_f64 v[165:166], v[4:5], v[38:39], v[165:166]
	v_fma_f64 v[38:39], v[2:3], v[38:39], -v[175:176]
	v_fma_f64 v[159:160], v[159:160], v[6:7], v[167:168]
	v_fma_f64 v[6:7], v[157:158], v[6:7], -v[8:9]
	v_add_f64_e32 v[155:156], v[163:164], v[155:156]
	v_add_f64_e32 v[44:45], v[161:162], v[44:45]
	ds_load_b128 v[2:5], v1 offset:1536
	ds_load_b128 v[161:164], v1 offset:1552
	s_wait_loadcnt_dscnt 0x701
	v_mul_f64_e32 v[169:170], v[2:3], v[12:13]
	v_mul_f64_e32 v[12:13], v[4:5], v[12:13]
	v_add_f64_e32 v[8:9], v[155:156], v[38:39]
	v_add_f64_e32 v[38:39], v[44:45], v[165:166]
	s_wait_loadcnt_dscnt 0x600
	v_mul_f64_e32 v[44:45], v[161:162], v[16:17]
	v_mul_f64_e32 v[16:17], v[163:164], v[16:17]
	v_fma_f64 v[155:156], v[4:5], v[10:11], v[169:170]
	v_fma_f64 v[10:11], v[2:3], v[10:11], -v[12:13]
	v_add_f64_e32 v[12:13], v[8:9], v[6:7]
	v_add_f64_e32 v[38:39], v[38:39], v[159:160]
	ds_load_b128 v[2:5], v1 offset:1568
	ds_load_b128 v[6:9], v1 offset:1584
	v_fma_f64 v[44:45], v[163:164], v[14:15], v[44:45]
	v_fma_f64 v[14:15], v[161:162], v[14:15], -v[16:17]
	s_wait_loadcnt_dscnt 0x501
	v_mul_f64_e32 v[157:158], v[2:3], v[20:21]
	v_mul_f64_e32 v[20:21], v[4:5], v[20:21]
	s_wait_loadcnt_dscnt 0x400
	v_mul_f64_e32 v[16:17], v[6:7], v[24:25]
	v_mul_f64_e32 v[24:25], v[8:9], v[24:25]
	v_add_f64_e32 v[10:11], v[12:13], v[10:11]
	v_add_f64_e32 v[12:13], v[38:39], v[155:156]
	v_fma_f64 v[38:39], v[4:5], v[18:19], v[157:158]
	v_fma_f64 v[18:19], v[2:3], v[18:19], -v[20:21]
	v_fma_f64 v[8:9], v[8:9], v[22:23], v[16:17]
	v_fma_f64 v[6:7], v[6:7], v[22:23], -v[24:25]
	v_add_f64_e32 v[14:15], v[10:11], v[14:15]
	v_add_f64_e32 v[20:21], v[12:13], v[44:45]
	ds_load_b128 v[2:5], v1 offset:1600
	ds_load_b128 v[10:13], v1 offset:1616
	s_wait_loadcnt_dscnt 0x301
	v_mul_f64_e32 v[44:45], v[2:3], v[28:29]
	v_mul_f64_e32 v[28:29], v[4:5], v[28:29]
	v_add_f64_e32 v[14:15], v[14:15], v[18:19]
	v_add_f64_e32 v[16:17], v[20:21], v[38:39]
	s_wait_loadcnt_dscnt 0x200
	v_mul_f64_e32 v[18:19], v[10:11], v[32:33]
	v_mul_f64_e32 v[20:21], v[12:13], v[32:33]
	v_fma_f64 v[22:23], v[4:5], v[26:27], v[44:45]
	v_fma_f64 v[24:25], v[2:3], v[26:27], -v[28:29]
	v_add_f64_e32 v[14:15], v[14:15], v[6:7]
	v_add_f64_e32 v[16:17], v[16:17], v[8:9]
	ds_load_b128 v[2:5], v1 offset:1632
	ds_load_b128 v[6:9], v1 offset:1648
	v_fma_f64 v[12:13], v[12:13], v[30:31], v[18:19]
	v_fma_f64 v[10:11], v[10:11], v[30:31], -v[20:21]
	s_wait_loadcnt_dscnt 0x101
	v_mul_f64_e32 v[26:27], v[2:3], v[36:37]
	v_mul_f64_e32 v[28:29], v[4:5], v[36:37]
	s_wait_loadcnt_dscnt 0x0
	v_mul_f64_e32 v[18:19], v[6:7], v[42:43]
	v_add_f64_e32 v[14:15], v[14:15], v[24:25]
	v_add_f64_e32 v[16:17], v[16:17], v[22:23]
	v_mul_f64_e32 v[20:21], v[8:9], v[42:43]
	v_fma_f64 v[4:5], v[4:5], v[34:35], v[26:27]
	v_fma_f64 v[1:2], v[2:3], v[34:35], -v[28:29]
	v_fma_f64 v[8:9], v[8:9], v[40:41], v[18:19]
	v_add_f64_e32 v[10:11], v[14:15], v[10:11]
	v_add_f64_e32 v[12:13], v[16:17], v[12:13]
	v_fma_f64 v[6:7], v[6:7], v[40:41], -v[20:21]
	s_delay_alu instid0(VALU_DEP_3) | instskip(NEXT) | instid1(VALU_DEP_3)
	v_add_f64_e32 v[1:2], v[10:11], v[1:2]
	v_add_f64_e32 v[3:4], v[12:13], v[4:5]
	s_delay_alu instid0(VALU_DEP_2) | instskip(NEXT) | instid1(VALU_DEP_2)
	v_add_f64_e32 v[1:2], v[1:2], v[6:7]
	v_add_f64_e32 v[3:4], v[3:4], v[8:9]
	s_delay_alu instid0(VALU_DEP_2) | instskip(NEXT) | instid1(VALU_DEP_2)
	v_add_f64_e64 v[1:2], v[151:152], -v[1:2]
	v_add_f64_e64 v[3:4], v[153:154], -v[3:4]
	scratch_store_b128 off, v[1:4], off offset:512
	v_cmpx_lt_u32_e32 30, v0
	s_cbranch_execz .LBB115_265
; %bb.264:
	scratch_load_b128 v[1:4], off, s35
	v_mov_b32_e32 v5, 0
	s_delay_alu instid0(VALU_DEP_1)
	v_dual_mov_b32 v6, v5 :: v_dual_mov_b32 v7, v5
	v_mov_b32_e32 v8, v5
	scratch_store_b128 off, v[5:8], off offset:496
	s_wait_loadcnt 0x0
	ds_store_b128 v150, v[1:4]
.LBB115_265:
	s_wait_alu 0xfffe
	s_or_b32 exec_lo, exec_lo, s0
	s_wait_storecnt_dscnt 0x0
	s_barrier_signal -1
	s_barrier_wait -1
	global_inv scope:SCOPE_SE
	s_clause 0x7
	scratch_load_b128 v[2:5], off, off offset:512
	scratch_load_b128 v[6:9], off, off offset:528
	;; [unrolled: 1-line block ×8, first 2 shown]
	v_mov_b32_e32 v1, 0
	s_mov_b32 s0, exec_lo
	ds_load_b128 v[34:37], v1 offset:1328
	s_clause 0x1
	scratch_load_b128 v[38:41], off, off offset:640
	scratch_load_b128 v[42:45], off, off offset:496
	ds_load_b128 v[151:154], v1 offset:1344
	scratch_load_b128 v[155:158], off, off offset:656
	s_wait_loadcnt_dscnt 0xa01
	v_mul_f64_e32 v[159:160], v[36:37], v[4:5]
	v_mul_f64_e32 v[4:5], v[34:35], v[4:5]
	s_delay_alu instid0(VALU_DEP_2) | instskip(NEXT) | instid1(VALU_DEP_2)
	v_fma_f64 v[165:166], v[34:35], v[2:3], -v[159:160]
	v_fma_f64 v[167:168], v[36:37], v[2:3], v[4:5]
	ds_load_b128 v[2:5], v1 offset:1360
	s_wait_loadcnt_dscnt 0x901
	v_mul_f64_e32 v[163:164], v[151:152], v[8:9]
	v_mul_f64_e32 v[8:9], v[153:154], v[8:9]
	scratch_load_b128 v[34:37], off, off offset:672
	ds_load_b128 v[159:162], v1 offset:1376
	s_wait_loadcnt_dscnt 0x901
	v_mul_f64_e32 v[169:170], v[2:3], v[12:13]
	v_mul_f64_e32 v[12:13], v[4:5], v[12:13]
	v_fma_f64 v[153:154], v[153:154], v[6:7], v[163:164]
	v_fma_f64 v[151:152], v[151:152], v[6:7], -v[8:9]
	v_add_f64_e32 v[163:164], 0, v[165:166]
	v_add_f64_e32 v[165:166], 0, v[167:168]
	scratch_load_b128 v[6:9], off, off offset:688
	v_fma_f64 v[169:170], v[4:5], v[10:11], v[169:170]
	v_fma_f64 v[171:172], v[2:3], v[10:11], -v[12:13]
	ds_load_b128 v[2:5], v1 offset:1392
	s_wait_loadcnt_dscnt 0x901
	v_mul_f64_e32 v[167:168], v[159:160], v[16:17]
	v_mul_f64_e32 v[16:17], v[161:162], v[16:17]
	scratch_load_b128 v[10:13], off, off offset:704
	v_add_f64_e32 v[163:164], v[163:164], v[151:152]
	v_add_f64_e32 v[165:166], v[165:166], v[153:154]
	s_wait_loadcnt_dscnt 0x900
	v_mul_f64_e32 v[173:174], v[2:3], v[20:21]
	v_mul_f64_e32 v[20:21], v[4:5], v[20:21]
	ds_load_b128 v[151:154], v1 offset:1408
	v_fma_f64 v[161:162], v[161:162], v[14:15], v[167:168]
	v_fma_f64 v[159:160], v[159:160], v[14:15], -v[16:17]
	scratch_load_b128 v[14:17], off, off offset:720
	v_add_f64_e32 v[163:164], v[163:164], v[171:172]
	v_add_f64_e32 v[165:166], v[165:166], v[169:170]
	v_fma_f64 v[169:170], v[4:5], v[18:19], v[173:174]
	v_fma_f64 v[171:172], v[2:3], v[18:19], -v[20:21]
	ds_load_b128 v[2:5], v1 offset:1424
	s_wait_loadcnt_dscnt 0x901
	v_mul_f64_e32 v[167:168], v[151:152], v[24:25]
	v_mul_f64_e32 v[24:25], v[153:154], v[24:25]
	scratch_load_b128 v[18:21], off, off offset:736
	s_wait_loadcnt_dscnt 0x900
	v_mul_f64_e32 v[173:174], v[2:3], v[28:29]
	v_mul_f64_e32 v[28:29], v[4:5], v[28:29]
	v_add_f64_e32 v[163:164], v[163:164], v[159:160]
	v_add_f64_e32 v[165:166], v[165:166], v[161:162]
	ds_load_b128 v[159:162], v1 offset:1440
	v_fma_f64 v[153:154], v[153:154], v[22:23], v[167:168]
	v_fma_f64 v[151:152], v[151:152], v[22:23], -v[24:25]
	scratch_load_b128 v[22:25], off, off offset:752
	v_add_f64_e32 v[163:164], v[163:164], v[171:172]
	v_add_f64_e32 v[165:166], v[165:166], v[169:170]
	v_fma_f64 v[169:170], v[4:5], v[26:27], v[173:174]
	v_fma_f64 v[171:172], v[2:3], v[26:27], -v[28:29]
	ds_load_b128 v[2:5], v1 offset:1456
	s_wait_loadcnt_dscnt 0x901
	v_mul_f64_e32 v[167:168], v[159:160], v[32:33]
	v_mul_f64_e32 v[32:33], v[161:162], v[32:33]
	scratch_load_b128 v[26:29], off, off offset:768
	s_wait_loadcnt_dscnt 0x900
	v_mul_f64_e32 v[173:174], v[2:3], v[40:41]
	v_mul_f64_e32 v[40:41], v[4:5], v[40:41]
	v_add_f64_e32 v[163:164], v[163:164], v[151:152]
	v_add_f64_e32 v[165:166], v[165:166], v[153:154]
	ds_load_b128 v[151:154], v1 offset:1472
	v_fma_f64 v[161:162], v[161:162], v[30:31], v[167:168]
	v_fma_f64 v[159:160], v[159:160], v[30:31], -v[32:33]
	scratch_load_b128 v[30:33], off, off offset:784
	v_add_f64_e32 v[163:164], v[163:164], v[171:172]
	v_add_f64_e32 v[165:166], v[165:166], v[169:170]
	v_fma_f64 v[171:172], v[4:5], v[38:39], v[173:174]
	v_fma_f64 v[173:174], v[2:3], v[38:39], -v[40:41]
	ds_load_b128 v[2:5], v1 offset:1488
	s_wait_loadcnt_dscnt 0x801
	v_mul_f64_e32 v[167:168], v[151:152], v[157:158]
	v_mul_f64_e32 v[169:170], v[153:154], v[157:158]
	scratch_load_b128 v[38:41], off, off offset:800
	v_add_f64_e32 v[163:164], v[163:164], v[159:160]
	v_add_f64_e32 v[161:162], v[165:166], v[161:162]
	ds_load_b128 v[157:160], v1 offset:1504
	v_fma_f64 v[167:168], v[153:154], v[155:156], v[167:168]
	v_fma_f64 v[155:156], v[151:152], v[155:156], -v[169:170]
	scratch_load_b128 v[151:154], off, off offset:816
	s_wait_loadcnt_dscnt 0x901
	v_mul_f64_e32 v[165:166], v[2:3], v[36:37]
	v_mul_f64_e32 v[36:37], v[4:5], v[36:37]
	v_add_f64_e32 v[163:164], v[163:164], v[173:174]
	v_add_f64_e32 v[161:162], v[161:162], v[171:172]
	s_delay_alu instid0(VALU_DEP_4) | instskip(NEXT) | instid1(VALU_DEP_4)
	v_fma_f64 v[165:166], v[4:5], v[34:35], v[165:166]
	v_fma_f64 v[171:172], v[2:3], v[34:35], -v[36:37]
	ds_load_b128 v[2:5], v1 offset:1520
	s_wait_loadcnt_dscnt 0x801
	v_mul_f64_e32 v[169:170], v[157:158], v[8:9]
	v_mul_f64_e32 v[8:9], v[159:160], v[8:9]
	scratch_load_b128 v[34:37], off, off offset:832
	s_wait_loadcnt_dscnt 0x800
	v_mul_f64_e32 v[173:174], v[2:3], v[12:13]
	v_add_f64_e32 v[155:156], v[163:164], v[155:156]
	v_add_f64_e32 v[167:168], v[161:162], v[167:168]
	v_mul_f64_e32 v[12:13], v[4:5], v[12:13]
	ds_load_b128 v[161:164], v1 offset:1536
	v_fma_f64 v[159:160], v[159:160], v[6:7], v[169:170]
	v_fma_f64 v[6:7], v[157:158], v[6:7], -v[8:9]
	s_wait_loadcnt_dscnt 0x700
	v_mul_f64_e32 v[157:158], v[161:162], v[16:17]
	v_add_f64_e32 v[8:9], v[155:156], v[171:172]
	v_add_f64_e32 v[155:156], v[167:168], v[165:166]
	v_mul_f64_e32 v[16:17], v[163:164], v[16:17]
	v_fma_f64 v[165:166], v[4:5], v[10:11], v[173:174]
	v_fma_f64 v[10:11], v[2:3], v[10:11], -v[12:13]
	v_fma_f64 v[157:158], v[163:164], v[14:15], v[157:158]
	v_add_f64_e32 v[12:13], v[8:9], v[6:7]
	v_add_f64_e32 v[155:156], v[155:156], v[159:160]
	ds_load_b128 v[2:5], v1 offset:1552
	ds_load_b128 v[6:9], v1 offset:1568
	v_fma_f64 v[14:15], v[161:162], v[14:15], -v[16:17]
	s_wait_loadcnt_dscnt 0x601
	v_mul_f64_e32 v[159:160], v[2:3], v[20:21]
	v_mul_f64_e32 v[20:21], v[4:5], v[20:21]
	s_wait_loadcnt_dscnt 0x500
	v_mul_f64_e32 v[16:17], v[6:7], v[24:25]
	v_mul_f64_e32 v[24:25], v[8:9], v[24:25]
	v_add_f64_e32 v[10:11], v[12:13], v[10:11]
	v_add_f64_e32 v[12:13], v[155:156], v[165:166]
	v_fma_f64 v[155:156], v[4:5], v[18:19], v[159:160]
	v_fma_f64 v[18:19], v[2:3], v[18:19], -v[20:21]
	v_fma_f64 v[8:9], v[8:9], v[22:23], v[16:17]
	v_fma_f64 v[6:7], v[6:7], v[22:23], -v[24:25]
	v_add_f64_e32 v[14:15], v[10:11], v[14:15]
	v_add_f64_e32 v[20:21], v[12:13], v[157:158]
	ds_load_b128 v[2:5], v1 offset:1584
	ds_load_b128 v[10:13], v1 offset:1600
	s_wait_loadcnt_dscnt 0x401
	v_mul_f64_e32 v[157:158], v[2:3], v[28:29]
	v_mul_f64_e32 v[28:29], v[4:5], v[28:29]
	v_add_f64_e32 v[14:15], v[14:15], v[18:19]
	v_add_f64_e32 v[16:17], v[20:21], v[155:156]
	s_wait_loadcnt_dscnt 0x300
	v_mul_f64_e32 v[18:19], v[10:11], v[32:33]
	v_mul_f64_e32 v[20:21], v[12:13], v[32:33]
	v_fma_f64 v[22:23], v[4:5], v[26:27], v[157:158]
	v_fma_f64 v[24:25], v[2:3], v[26:27], -v[28:29]
	v_add_f64_e32 v[14:15], v[14:15], v[6:7]
	v_add_f64_e32 v[16:17], v[16:17], v[8:9]
	ds_load_b128 v[2:5], v1 offset:1616
	ds_load_b128 v[6:9], v1 offset:1632
	v_fma_f64 v[12:13], v[12:13], v[30:31], v[18:19]
	v_fma_f64 v[10:11], v[10:11], v[30:31], -v[20:21]
	s_wait_loadcnt_dscnt 0x201
	v_mul_f64_e32 v[26:27], v[2:3], v[40:41]
	v_mul_f64_e32 v[28:29], v[4:5], v[40:41]
	s_wait_loadcnt_dscnt 0x100
	v_mul_f64_e32 v[18:19], v[6:7], v[153:154]
	v_mul_f64_e32 v[20:21], v[8:9], v[153:154]
	v_add_f64_e32 v[14:15], v[14:15], v[24:25]
	v_add_f64_e32 v[16:17], v[16:17], v[22:23]
	v_fma_f64 v[22:23], v[4:5], v[38:39], v[26:27]
	v_fma_f64 v[24:25], v[2:3], v[38:39], -v[28:29]
	ds_load_b128 v[2:5], v1 offset:1648
	v_fma_f64 v[8:9], v[8:9], v[151:152], v[18:19]
	v_fma_f64 v[6:7], v[6:7], v[151:152], -v[20:21]
	v_add_f64_e32 v[10:11], v[14:15], v[10:11]
	v_add_f64_e32 v[12:13], v[16:17], v[12:13]
	s_wait_loadcnt_dscnt 0x0
	v_mul_f64_e32 v[14:15], v[2:3], v[36:37]
	v_mul_f64_e32 v[16:17], v[4:5], v[36:37]
	s_delay_alu instid0(VALU_DEP_4) | instskip(NEXT) | instid1(VALU_DEP_4)
	v_add_f64_e32 v[10:11], v[10:11], v[24:25]
	v_add_f64_e32 v[12:13], v[12:13], v[22:23]
	s_delay_alu instid0(VALU_DEP_4) | instskip(NEXT) | instid1(VALU_DEP_4)
	v_fma_f64 v[4:5], v[4:5], v[34:35], v[14:15]
	v_fma_f64 v[2:3], v[2:3], v[34:35], -v[16:17]
	s_delay_alu instid0(VALU_DEP_4) | instskip(NEXT) | instid1(VALU_DEP_4)
	v_add_f64_e32 v[6:7], v[10:11], v[6:7]
	v_add_f64_e32 v[8:9], v[12:13], v[8:9]
	s_delay_alu instid0(VALU_DEP_2) | instskip(NEXT) | instid1(VALU_DEP_2)
	v_add_f64_e32 v[2:3], v[6:7], v[2:3]
	v_add_f64_e32 v[4:5], v[8:9], v[4:5]
	s_delay_alu instid0(VALU_DEP_2) | instskip(NEXT) | instid1(VALU_DEP_2)
	v_add_f64_e64 v[2:3], v[42:43], -v[2:3]
	v_add_f64_e64 v[4:5], v[44:45], -v[4:5]
	scratch_store_b128 off, v[2:5], off offset:496
	v_cmpx_lt_u32_e32 29, v0
	s_cbranch_execz .LBB115_267
; %bb.266:
	scratch_load_b128 v[5:8], off, s36
	v_dual_mov_b32 v2, v1 :: v_dual_mov_b32 v3, v1
	v_mov_b32_e32 v4, v1
	scratch_store_b128 off, v[1:4], off offset:480
	s_wait_loadcnt 0x0
	ds_store_b128 v150, v[5:8]
.LBB115_267:
	s_wait_alu 0xfffe
	s_or_b32 exec_lo, exec_lo, s0
	s_wait_storecnt_dscnt 0x0
	s_barrier_signal -1
	s_barrier_wait -1
	global_inv scope:SCOPE_SE
	s_clause 0x8
	scratch_load_b128 v[2:5], off, off offset:496
	scratch_load_b128 v[6:9], off, off offset:512
	;; [unrolled: 1-line block ×9, first 2 shown]
	ds_load_b128 v[38:41], v1 offset:1312
	ds_load_b128 v[42:45], v1 offset:1328
	s_clause 0x1
	scratch_load_b128 v[151:154], off, off offset:480
	scratch_load_b128 v[155:158], off, off offset:640
	s_mov_b32 s0, exec_lo
	s_wait_loadcnt_dscnt 0xa01
	v_mul_f64_e32 v[159:160], v[40:41], v[4:5]
	v_mul_f64_e32 v[4:5], v[38:39], v[4:5]
	s_wait_loadcnt_dscnt 0x900
	v_mul_f64_e32 v[163:164], v[42:43], v[8:9]
	v_mul_f64_e32 v[8:9], v[44:45], v[8:9]
	s_delay_alu instid0(VALU_DEP_4) | instskip(NEXT) | instid1(VALU_DEP_4)
	v_fma_f64 v[165:166], v[38:39], v[2:3], -v[159:160]
	v_fma_f64 v[167:168], v[40:41], v[2:3], v[4:5]
	ds_load_b128 v[2:5], v1 offset:1344
	ds_load_b128 v[159:162], v1 offset:1360
	scratch_load_b128 v[38:41], off, off offset:656
	v_fma_f64 v[44:45], v[44:45], v[6:7], v[163:164]
	v_fma_f64 v[42:43], v[42:43], v[6:7], -v[8:9]
	scratch_load_b128 v[6:9], off, off offset:672
	s_wait_loadcnt_dscnt 0xa01
	v_mul_f64_e32 v[169:170], v[2:3], v[12:13]
	v_mul_f64_e32 v[12:13], v[4:5], v[12:13]
	v_add_f64_e32 v[163:164], 0, v[165:166]
	v_add_f64_e32 v[165:166], 0, v[167:168]
	s_wait_loadcnt_dscnt 0x900
	v_mul_f64_e32 v[167:168], v[159:160], v[16:17]
	v_mul_f64_e32 v[16:17], v[161:162], v[16:17]
	v_fma_f64 v[169:170], v[4:5], v[10:11], v[169:170]
	v_fma_f64 v[171:172], v[2:3], v[10:11], -v[12:13]
	ds_load_b128 v[2:5], v1 offset:1376
	scratch_load_b128 v[10:13], off, off offset:688
	v_add_f64_e32 v[163:164], v[163:164], v[42:43]
	v_add_f64_e32 v[165:166], v[165:166], v[44:45]
	ds_load_b128 v[42:45], v1 offset:1392
	v_fma_f64 v[161:162], v[161:162], v[14:15], v[167:168]
	v_fma_f64 v[159:160], v[159:160], v[14:15], -v[16:17]
	scratch_load_b128 v[14:17], off, off offset:704
	s_wait_loadcnt_dscnt 0xa01
	v_mul_f64_e32 v[173:174], v[2:3], v[20:21]
	v_mul_f64_e32 v[20:21], v[4:5], v[20:21]
	s_wait_loadcnt_dscnt 0x900
	v_mul_f64_e32 v[167:168], v[42:43], v[24:25]
	v_mul_f64_e32 v[24:25], v[44:45], v[24:25]
	v_add_f64_e32 v[163:164], v[163:164], v[171:172]
	v_add_f64_e32 v[165:166], v[165:166], v[169:170]
	v_fma_f64 v[169:170], v[4:5], v[18:19], v[173:174]
	v_fma_f64 v[171:172], v[2:3], v[18:19], -v[20:21]
	ds_load_b128 v[2:5], v1 offset:1408
	scratch_load_b128 v[18:21], off, off offset:720
	v_fma_f64 v[44:45], v[44:45], v[22:23], v[167:168]
	v_fma_f64 v[42:43], v[42:43], v[22:23], -v[24:25]
	scratch_load_b128 v[22:25], off, off offset:736
	v_add_f64_e32 v[163:164], v[163:164], v[159:160]
	v_add_f64_e32 v[165:166], v[165:166], v[161:162]
	ds_load_b128 v[159:162], v1 offset:1424
	s_wait_loadcnt_dscnt 0xa01
	v_mul_f64_e32 v[173:174], v[2:3], v[28:29]
	v_mul_f64_e32 v[28:29], v[4:5], v[28:29]
	s_wait_loadcnt_dscnt 0x900
	v_mul_f64_e32 v[167:168], v[159:160], v[32:33]
	v_mul_f64_e32 v[32:33], v[161:162], v[32:33]
	v_add_f64_e32 v[163:164], v[163:164], v[171:172]
	v_add_f64_e32 v[165:166], v[165:166], v[169:170]
	v_fma_f64 v[169:170], v[4:5], v[26:27], v[173:174]
	v_fma_f64 v[171:172], v[2:3], v[26:27], -v[28:29]
	ds_load_b128 v[2:5], v1 offset:1440
	scratch_load_b128 v[26:29], off, off offset:752
	v_fma_f64 v[161:162], v[161:162], v[30:31], v[167:168]
	v_fma_f64 v[159:160], v[159:160], v[30:31], -v[32:33]
	scratch_load_b128 v[30:33], off, off offset:768
	v_add_f64_e32 v[163:164], v[163:164], v[42:43]
	v_add_f64_e32 v[165:166], v[165:166], v[44:45]
	ds_load_b128 v[42:45], v1 offset:1456
	s_wait_loadcnt_dscnt 0xa01
	v_mul_f64_e32 v[173:174], v[2:3], v[36:37]
	v_mul_f64_e32 v[36:37], v[4:5], v[36:37]
	s_wait_loadcnt_dscnt 0x800
	v_mul_f64_e32 v[167:168], v[42:43], v[157:158]
	v_add_f64_e32 v[163:164], v[163:164], v[171:172]
	v_add_f64_e32 v[165:166], v[165:166], v[169:170]
	v_mul_f64_e32 v[169:170], v[44:45], v[157:158]
	v_fma_f64 v[171:172], v[4:5], v[34:35], v[173:174]
	v_fma_f64 v[173:174], v[2:3], v[34:35], -v[36:37]
	ds_load_b128 v[2:5], v1 offset:1472
	scratch_load_b128 v[34:37], off, off offset:784
	v_fma_f64 v[44:45], v[44:45], v[155:156], v[167:168]
	v_add_f64_e32 v[163:164], v[163:164], v[159:160]
	v_add_f64_e32 v[161:162], v[165:166], v[161:162]
	ds_load_b128 v[157:160], v1 offset:1488
	v_fma_f64 v[155:156], v[42:43], v[155:156], -v[169:170]
	s_wait_loadcnt_dscnt 0x801
	v_mul_f64_e32 v[165:166], v[2:3], v[40:41]
	v_mul_f64_e32 v[175:176], v[4:5], v[40:41]
	scratch_load_b128 v[40:43], off, off offset:800
	s_wait_loadcnt_dscnt 0x800
	v_mul_f64_e32 v[169:170], v[157:158], v[8:9]
	v_mul_f64_e32 v[8:9], v[159:160], v[8:9]
	v_add_f64_e32 v[163:164], v[163:164], v[173:174]
	v_add_f64_e32 v[161:162], v[161:162], v[171:172]
	v_fma_f64 v[171:172], v[4:5], v[38:39], v[165:166]
	v_fma_f64 v[38:39], v[2:3], v[38:39], -v[175:176]
	ds_load_b128 v[2:5], v1 offset:1504
	ds_load_b128 v[165:168], v1 offset:1520
	v_fma_f64 v[159:160], v[159:160], v[6:7], v[169:170]
	v_fma_f64 v[157:158], v[157:158], v[6:7], -v[8:9]
	scratch_load_b128 v[6:9], off, off offset:832
	v_add_f64_e32 v[155:156], v[163:164], v[155:156]
	v_add_f64_e32 v[44:45], v[161:162], v[44:45]
	scratch_load_b128 v[161:164], off, off offset:816
	s_wait_loadcnt_dscnt 0x901
	v_mul_f64_e32 v[173:174], v[2:3], v[12:13]
	v_mul_f64_e32 v[12:13], v[4:5], v[12:13]
	v_add_f64_e32 v[38:39], v[155:156], v[38:39]
	v_add_f64_e32 v[44:45], v[44:45], v[171:172]
	s_wait_loadcnt_dscnt 0x800
	v_mul_f64_e32 v[155:156], v[165:166], v[16:17]
	v_mul_f64_e32 v[16:17], v[167:168], v[16:17]
	v_fma_f64 v[169:170], v[4:5], v[10:11], v[173:174]
	v_fma_f64 v[171:172], v[2:3], v[10:11], -v[12:13]
	ds_load_b128 v[2:5], v1 offset:1536
	ds_load_b128 v[10:13], v1 offset:1552
	v_add_f64_e32 v[38:39], v[38:39], v[157:158]
	v_add_f64_e32 v[44:45], v[44:45], v[159:160]
	s_wait_loadcnt_dscnt 0x701
	v_mul_f64_e32 v[157:158], v[2:3], v[20:21]
	v_mul_f64_e32 v[20:21], v[4:5], v[20:21]
	v_fma_f64 v[155:156], v[167:168], v[14:15], v[155:156]
	v_fma_f64 v[14:15], v[165:166], v[14:15], -v[16:17]
	v_add_f64_e32 v[16:17], v[38:39], v[171:172]
	v_add_f64_e32 v[38:39], v[44:45], v[169:170]
	s_wait_loadcnt_dscnt 0x600
	v_mul_f64_e32 v[44:45], v[10:11], v[24:25]
	v_mul_f64_e32 v[24:25], v[12:13], v[24:25]
	v_fma_f64 v[157:158], v[4:5], v[18:19], v[157:158]
	v_fma_f64 v[18:19], v[2:3], v[18:19], -v[20:21]
	v_add_f64_e32 v[20:21], v[16:17], v[14:15]
	v_add_f64_e32 v[38:39], v[38:39], v[155:156]
	ds_load_b128 v[2:5], v1 offset:1568
	ds_load_b128 v[14:17], v1 offset:1584
	v_fma_f64 v[12:13], v[12:13], v[22:23], v[44:45]
	v_fma_f64 v[10:11], v[10:11], v[22:23], -v[24:25]
	s_wait_loadcnt_dscnt 0x501
	v_mul_f64_e32 v[155:156], v[2:3], v[28:29]
	v_mul_f64_e32 v[28:29], v[4:5], v[28:29]
	s_wait_loadcnt_dscnt 0x400
	v_mul_f64_e32 v[22:23], v[14:15], v[32:33]
	v_mul_f64_e32 v[24:25], v[16:17], v[32:33]
	v_add_f64_e32 v[18:19], v[20:21], v[18:19]
	v_add_f64_e32 v[20:21], v[38:39], v[157:158]
	v_fma_f64 v[32:33], v[4:5], v[26:27], v[155:156]
	v_fma_f64 v[26:27], v[2:3], v[26:27], -v[28:29]
	v_fma_f64 v[16:17], v[16:17], v[30:31], v[22:23]
	v_fma_f64 v[14:15], v[14:15], v[30:31], -v[24:25]
	v_add_f64_e32 v[18:19], v[18:19], v[10:11]
	v_add_f64_e32 v[20:21], v[20:21], v[12:13]
	ds_load_b128 v[2:5], v1 offset:1600
	ds_load_b128 v[10:13], v1 offset:1616
	s_wait_loadcnt_dscnt 0x301
	v_mul_f64_e32 v[28:29], v[2:3], v[36:37]
	v_mul_f64_e32 v[36:37], v[4:5], v[36:37]
	s_wait_loadcnt_dscnt 0x200
	v_mul_f64_e32 v[22:23], v[10:11], v[42:43]
	v_add_f64_e32 v[18:19], v[18:19], v[26:27]
	v_add_f64_e32 v[20:21], v[20:21], v[32:33]
	v_mul_f64_e32 v[24:25], v[12:13], v[42:43]
	v_fma_f64 v[26:27], v[4:5], v[34:35], v[28:29]
	v_fma_f64 v[28:29], v[2:3], v[34:35], -v[36:37]
	v_fma_f64 v[12:13], v[12:13], v[40:41], v[22:23]
	v_add_f64_e32 v[18:19], v[18:19], v[14:15]
	v_add_f64_e32 v[20:21], v[20:21], v[16:17]
	ds_load_b128 v[2:5], v1 offset:1632
	ds_load_b128 v[14:17], v1 offset:1648
	v_fma_f64 v[10:11], v[10:11], v[40:41], -v[24:25]
	s_wait_loadcnt_dscnt 0x1
	v_mul_f64_e32 v[30:31], v[2:3], v[163:164]
	v_mul_f64_e32 v[32:33], v[4:5], v[163:164]
	s_wait_dscnt 0x0
	v_mul_f64_e32 v[22:23], v[14:15], v[8:9]
	v_mul_f64_e32 v[8:9], v[16:17], v[8:9]
	v_add_f64_e32 v[18:19], v[18:19], v[28:29]
	v_add_f64_e32 v[20:21], v[20:21], v[26:27]
	v_fma_f64 v[4:5], v[4:5], v[161:162], v[30:31]
	v_fma_f64 v[1:2], v[2:3], v[161:162], -v[32:33]
	v_fma_f64 v[16:17], v[16:17], v[6:7], v[22:23]
	v_fma_f64 v[6:7], v[14:15], v[6:7], -v[8:9]
	v_add_f64_e32 v[10:11], v[18:19], v[10:11]
	v_add_f64_e32 v[12:13], v[20:21], v[12:13]
	s_delay_alu instid0(VALU_DEP_2) | instskip(NEXT) | instid1(VALU_DEP_2)
	v_add_f64_e32 v[1:2], v[10:11], v[1:2]
	v_add_f64_e32 v[3:4], v[12:13], v[4:5]
	s_delay_alu instid0(VALU_DEP_2) | instskip(NEXT) | instid1(VALU_DEP_2)
	v_add_f64_e32 v[1:2], v[1:2], v[6:7]
	v_add_f64_e32 v[3:4], v[3:4], v[16:17]
	s_delay_alu instid0(VALU_DEP_2) | instskip(NEXT) | instid1(VALU_DEP_2)
	v_add_f64_e64 v[1:2], v[151:152], -v[1:2]
	v_add_f64_e64 v[3:4], v[153:154], -v[3:4]
	scratch_store_b128 off, v[1:4], off offset:480
	v_cmpx_lt_u32_e32 28, v0
	s_cbranch_execz .LBB115_269
; %bb.268:
	scratch_load_b128 v[1:4], off, s37
	v_mov_b32_e32 v5, 0
	s_delay_alu instid0(VALU_DEP_1)
	v_dual_mov_b32 v6, v5 :: v_dual_mov_b32 v7, v5
	v_mov_b32_e32 v8, v5
	scratch_store_b128 off, v[5:8], off offset:464
	s_wait_loadcnt 0x0
	ds_store_b128 v150, v[1:4]
.LBB115_269:
	s_wait_alu 0xfffe
	s_or_b32 exec_lo, exec_lo, s0
	s_wait_storecnt_dscnt 0x0
	s_barrier_signal -1
	s_barrier_wait -1
	global_inv scope:SCOPE_SE
	s_clause 0x7
	scratch_load_b128 v[2:5], off, off offset:480
	scratch_load_b128 v[6:9], off, off offset:496
	;; [unrolled: 1-line block ×8, first 2 shown]
	v_mov_b32_e32 v1, 0
	s_mov_b32 s0, exec_lo
	ds_load_b128 v[34:37], v1 offset:1296
	s_clause 0x1
	scratch_load_b128 v[38:41], off, off offset:608
	scratch_load_b128 v[42:45], off, off offset:464
	ds_load_b128 v[151:154], v1 offset:1312
	scratch_load_b128 v[155:158], off, off offset:624
	s_wait_loadcnt_dscnt 0xa01
	v_mul_f64_e32 v[159:160], v[36:37], v[4:5]
	v_mul_f64_e32 v[4:5], v[34:35], v[4:5]
	s_delay_alu instid0(VALU_DEP_2) | instskip(NEXT) | instid1(VALU_DEP_2)
	v_fma_f64 v[165:166], v[34:35], v[2:3], -v[159:160]
	v_fma_f64 v[167:168], v[36:37], v[2:3], v[4:5]
	ds_load_b128 v[2:5], v1 offset:1328
	s_wait_loadcnt_dscnt 0x901
	v_mul_f64_e32 v[163:164], v[151:152], v[8:9]
	v_mul_f64_e32 v[8:9], v[153:154], v[8:9]
	scratch_load_b128 v[34:37], off, off offset:640
	ds_load_b128 v[159:162], v1 offset:1344
	s_wait_loadcnt_dscnt 0x901
	v_mul_f64_e32 v[169:170], v[2:3], v[12:13]
	v_mul_f64_e32 v[12:13], v[4:5], v[12:13]
	v_fma_f64 v[153:154], v[153:154], v[6:7], v[163:164]
	v_fma_f64 v[151:152], v[151:152], v[6:7], -v[8:9]
	v_add_f64_e32 v[163:164], 0, v[165:166]
	v_add_f64_e32 v[165:166], 0, v[167:168]
	scratch_load_b128 v[6:9], off, off offset:656
	v_fma_f64 v[169:170], v[4:5], v[10:11], v[169:170]
	v_fma_f64 v[171:172], v[2:3], v[10:11], -v[12:13]
	ds_load_b128 v[2:5], v1 offset:1360
	s_wait_loadcnt_dscnt 0x901
	v_mul_f64_e32 v[167:168], v[159:160], v[16:17]
	v_mul_f64_e32 v[16:17], v[161:162], v[16:17]
	scratch_load_b128 v[10:13], off, off offset:672
	v_add_f64_e32 v[163:164], v[163:164], v[151:152]
	v_add_f64_e32 v[165:166], v[165:166], v[153:154]
	s_wait_loadcnt_dscnt 0x900
	v_mul_f64_e32 v[173:174], v[2:3], v[20:21]
	v_mul_f64_e32 v[20:21], v[4:5], v[20:21]
	ds_load_b128 v[151:154], v1 offset:1376
	v_fma_f64 v[161:162], v[161:162], v[14:15], v[167:168]
	v_fma_f64 v[159:160], v[159:160], v[14:15], -v[16:17]
	scratch_load_b128 v[14:17], off, off offset:688
	v_add_f64_e32 v[163:164], v[163:164], v[171:172]
	v_add_f64_e32 v[165:166], v[165:166], v[169:170]
	v_fma_f64 v[169:170], v[4:5], v[18:19], v[173:174]
	v_fma_f64 v[171:172], v[2:3], v[18:19], -v[20:21]
	ds_load_b128 v[2:5], v1 offset:1392
	s_wait_loadcnt_dscnt 0x901
	v_mul_f64_e32 v[167:168], v[151:152], v[24:25]
	v_mul_f64_e32 v[24:25], v[153:154], v[24:25]
	scratch_load_b128 v[18:21], off, off offset:704
	s_wait_loadcnt_dscnt 0x900
	v_mul_f64_e32 v[173:174], v[2:3], v[28:29]
	v_mul_f64_e32 v[28:29], v[4:5], v[28:29]
	v_add_f64_e32 v[163:164], v[163:164], v[159:160]
	v_add_f64_e32 v[165:166], v[165:166], v[161:162]
	ds_load_b128 v[159:162], v1 offset:1408
	v_fma_f64 v[153:154], v[153:154], v[22:23], v[167:168]
	v_fma_f64 v[151:152], v[151:152], v[22:23], -v[24:25]
	scratch_load_b128 v[22:25], off, off offset:720
	v_add_f64_e32 v[163:164], v[163:164], v[171:172]
	v_add_f64_e32 v[165:166], v[165:166], v[169:170]
	v_fma_f64 v[169:170], v[4:5], v[26:27], v[173:174]
	v_fma_f64 v[171:172], v[2:3], v[26:27], -v[28:29]
	ds_load_b128 v[2:5], v1 offset:1424
	s_wait_loadcnt_dscnt 0x901
	v_mul_f64_e32 v[167:168], v[159:160], v[32:33]
	v_mul_f64_e32 v[32:33], v[161:162], v[32:33]
	scratch_load_b128 v[26:29], off, off offset:736
	s_wait_loadcnt_dscnt 0x900
	v_mul_f64_e32 v[173:174], v[2:3], v[40:41]
	v_mul_f64_e32 v[40:41], v[4:5], v[40:41]
	v_add_f64_e32 v[163:164], v[163:164], v[151:152]
	v_add_f64_e32 v[165:166], v[165:166], v[153:154]
	ds_load_b128 v[151:154], v1 offset:1440
	v_fma_f64 v[161:162], v[161:162], v[30:31], v[167:168]
	v_fma_f64 v[159:160], v[159:160], v[30:31], -v[32:33]
	scratch_load_b128 v[30:33], off, off offset:752
	v_add_f64_e32 v[163:164], v[163:164], v[171:172]
	v_add_f64_e32 v[165:166], v[165:166], v[169:170]
	v_fma_f64 v[171:172], v[4:5], v[38:39], v[173:174]
	v_fma_f64 v[173:174], v[2:3], v[38:39], -v[40:41]
	ds_load_b128 v[2:5], v1 offset:1456
	s_wait_loadcnt_dscnt 0x801
	v_mul_f64_e32 v[167:168], v[151:152], v[157:158]
	v_mul_f64_e32 v[169:170], v[153:154], v[157:158]
	scratch_load_b128 v[38:41], off, off offset:768
	v_add_f64_e32 v[163:164], v[163:164], v[159:160]
	v_add_f64_e32 v[161:162], v[165:166], v[161:162]
	ds_load_b128 v[157:160], v1 offset:1472
	v_fma_f64 v[167:168], v[153:154], v[155:156], v[167:168]
	v_fma_f64 v[155:156], v[151:152], v[155:156], -v[169:170]
	scratch_load_b128 v[151:154], off, off offset:784
	s_wait_loadcnt_dscnt 0x901
	v_mul_f64_e32 v[165:166], v[2:3], v[36:37]
	v_mul_f64_e32 v[36:37], v[4:5], v[36:37]
	v_add_f64_e32 v[163:164], v[163:164], v[173:174]
	v_add_f64_e32 v[161:162], v[161:162], v[171:172]
	s_delay_alu instid0(VALU_DEP_4) | instskip(NEXT) | instid1(VALU_DEP_4)
	v_fma_f64 v[165:166], v[4:5], v[34:35], v[165:166]
	v_fma_f64 v[171:172], v[2:3], v[34:35], -v[36:37]
	ds_load_b128 v[2:5], v1 offset:1488
	s_wait_loadcnt_dscnt 0x801
	v_mul_f64_e32 v[169:170], v[157:158], v[8:9]
	v_mul_f64_e32 v[8:9], v[159:160], v[8:9]
	scratch_load_b128 v[34:37], off, off offset:800
	s_wait_loadcnt_dscnt 0x800
	v_mul_f64_e32 v[173:174], v[2:3], v[12:13]
	v_add_f64_e32 v[155:156], v[163:164], v[155:156]
	v_add_f64_e32 v[167:168], v[161:162], v[167:168]
	v_mul_f64_e32 v[12:13], v[4:5], v[12:13]
	ds_load_b128 v[161:164], v1 offset:1504
	v_fma_f64 v[159:160], v[159:160], v[6:7], v[169:170]
	v_fma_f64 v[157:158], v[157:158], v[6:7], -v[8:9]
	scratch_load_b128 v[6:9], off, off offset:816
	v_fma_f64 v[169:170], v[4:5], v[10:11], v[173:174]
	v_add_f64_e32 v[155:156], v[155:156], v[171:172]
	v_add_f64_e32 v[165:166], v[167:168], v[165:166]
	v_fma_f64 v[171:172], v[2:3], v[10:11], -v[12:13]
	ds_load_b128 v[2:5], v1 offset:1520
	s_wait_loadcnt_dscnt 0x801
	v_mul_f64_e32 v[167:168], v[161:162], v[16:17]
	v_mul_f64_e32 v[16:17], v[163:164], v[16:17]
	scratch_load_b128 v[10:13], off, off offset:832
	v_add_f64_e32 v[173:174], v[155:156], v[157:158]
	v_add_f64_e32 v[159:160], v[165:166], v[159:160]
	s_wait_loadcnt_dscnt 0x800
	v_mul_f64_e32 v[165:166], v[2:3], v[20:21]
	v_mul_f64_e32 v[20:21], v[4:5], v[20:21]
	v_fma_f64 v[163:164], v[163:164], v[14:15], v[167:168]
	v_fma_f64 v[14:15], v[161:162], v[14:15], -v[16:17]
	ds_load_b128 v[155:158], v1 offset:1536
	s_wait_loadcnt_dscnt 0x700
	v_mul_f64_e32 v[161:162], v[155:156], v[24:25]
	v_mul_f64_e32 v[24:25], v[157:158], v[24:25]
	v_add_f64_e32 v[16:17], v[173:174], v[171:172]
	v_add_f64_e32 v[159:160], v[159:160], v[169:170]
	v_fma_f64 v[165:166], v[4:5], v[18:19], v[165:166]
	v_fma_f64 v[18:19], v[2:3], v[18:19], -v[20:21]
	v_fma_f64 v[157:158], v[157:158], v[22:23], v[161:162]
	v_fma_f64 v[22:23], v[155:156], v[22:23], -v[24:25]
	v_add_f64_e32 v[20:21], v[16:17], v[14:15]
	v_add_f64_e32 v[159:160], v[159:160], v[163:164]
	ds_load_b128 v[2:5], v1 offset:1552
	ds_load_b128 v[14:17], v1 offset:1568
	s_wait_loadcnt_dscnt 0x601
	v_mul_f64_e32 v[163:164], v[2:3], v[28:29]
	v_mul_f64_e32 v[28:29], v[4:5], v[28:29]
	s_wait_loadcnt_dscnt 0x500
	v_mul_f64_e32 v[24:25], v[14:15], v[32:33]
	v_mul_f64_e32 v[32:33], v[16:17], v[32:33]
	v_add_f64_e32 v[18:19], v[20:21], v[18:19]
	v_add_f64_e32 v[20:21], v[159:160], v[165:166]
	v_fma_f64 v[155:156], v[4:5], v[26:27], v[163:164]
	v_fma_f64 v[26:27], v[2:3], v[26:27], -v[28:29]
	v_fma_f64 v[16:17], v[16:17], v[30:31], v[24:25]
	v_fma_f64 v[14:15], v[14:15], v[30:31], -v[32:33]
	v_add_f64_e32 v[22:23], v[18:19], v[22:23]
	v_add_f64_e32 v[28:29], v[20:21], v[157:158]
	ds_load_b128 v[2:5], v1 offset:1584
	ds_load_b128 v[18:21], v1 offset:1600
	s_wait_loadcnt_dscnt 0x401
	v_mul_f64_e32 v[157:158], v[2:3], v[40:41]
	v_mul_f64_e32 v[40:41], v[4:5], v[40:41]
	v_add_f64_e32 v[22:23], v[22:23], v[26:27]
	v_add_f64_e32 v[24:25], v[28:29], v[155:156]
	s_wait_loadcnt_dscnt 0x300
	v_mul_f64_e32 v[26:27], v[18:19], v[153:154]
	v_mul_f64_e32 v[28:29], v[20:21], v[153:154]
	v_fma_f64 v[30:31], v[4:5], v[38:39], v[157:158]
	v_fma_f64 v[32:33], v[2:3], v[38:39], -v[40:41]
	v_add_f64_e32 v[22:23], v[22:23], v[14:15]
	v_add_f64_e32 v[24:25], v[24:25], v[16:17]
	ds_load_b128 v[2:5], v1 offset:1616
	ds_load_b128 v[14:17], v1 offset:1632
	v_fma_f64 v[20:21], v[20:21], v[151:152], v[26:27]
	v_fma_f64 v[18:19], v[18:19], v[151:152], -v[28:29]
	s_wait_loadcnt_dscnt 0x201
	v_mul_f64_e32 v[38:39], v[2:3], v[36:37]
	v_mul_f64_e32 v[36:37], v[4:5], v[36:37]
	s_wait_loadcnt_dscnt 0x100
	v_mul_f64_e32 v[26:27], v[14:15], v[8:9]
	v_mul_f64_e32 v[8:9], v[16:17], v[8:9]
	v_add_f64_e32 v[22:23], v[22:23], v[32:33]
	v_add_f64_e32 v[24:25], v[24:25], v[30:31]
	v_fma_f64 v[28:29], v[4:5], v[34:35], v[38:39]
	v_fma_f64 v[30:31], v[2:3], v[34:35], -v[36:37]
	ds_load_b128 v[2:5], v1 offset:1648
	v_fma_f64 v[16:17], v[16:17], v[6:7], v[26:27]
	v_fma_f64 v[6:7], v[14:15], v[6:7], -v[8:9]
	v_add_f64_e32 v[18:19], v[22:23], v[18:19]
	v_add_f64_e32 v[20:21], v[24:25], v[20:21]
	s_wait_loadcnt_dscnt 0x0
	v_mul_f64_e32 v[22:23], v[2:3], v[12:13]
	v_mul_f64_e32 v[12:13], v[4:5], v[12:13]
	s_delay_alu instid0(VALU_DEP_4) | instskip(NEXT) | instid1(VALU_DEP_4)
	v_add_f64_e32 v[8:9], v[18:19], v[30:31]
	v_add_f64_e32 v[14:15], v[20:21], v[28:29]
	s_delay_alu instid0(VALU_DEP_4) | instskip(NEXT) | instid1(VALU_DEP_4)
	v_fma_f64 v[4:5], v[4:5], v[10:11], v[22:23]
	v_fma_f64 v[2:3], v[2:3], v[10:11], -v[12:13]
	s_delay_alu instid0(VALU_DEP_4) | instskip(NEXT) | instid1(VALU_DEP_4)
	v_add_f64_e32 v[6:7], v[8:9], v[6:7]
	v_add_f64_e32 v[8:9], v[14:15], v[16:17]
	s_delay_alu instid0(VALU_DEP_2) | instskip(NEXT) | instid1(VALU_DEP_2)
	v_add_f64_e32 v[2:3], v[6:7], v[2:3]
	v_add_f64_e32 v[4:5], v[8:9], v[4:5]
	s_delay_alu instid0(VALU_DEP_2) | instskip(NEXT) | instid1(VALU_DEP_2)
	v_add_f64_e64 v[2:3], v[42:43], -v[2:3]
	v_add_f64_e64 v[4:5], v[44:45], -v[4:5]
	scratch_store_b128 off, v[2:5], off offset:464
	v_cmpx_lt_u32_e32 27, v0
	s_cbranch_execz .LBB115_271
; %bb.270:
	scratch_load_b128 v[5:8], off, s38
	v_dual_mov_b32 v2, v1 :: v_dual_mov_b32 v3, v1
	v_mov_b32_e32 v4, v1
	scratch_store_b128 off, v[1:4], off offset:448
	s_wait_loadcnt 0x0
	ds_store_b128 v150, v[5:8]
.LBB115_271:
	s_wait_alu 0xfffe
	s_or_b32 exec_lo, exec_lo, s0
	s_wait_storecnt_dscnt 0x0
	s_barrier_signal -1
	s_barrier_wait -1
	global_inv scope:SCOPE_SE
	s_clause 0x8
	scratch_load_b128 v[2:5], off, off offset:464
	scratch_load_b128 v[6:9], off, off offset:480
	;; [unrolled: 1-line block ×9, first 2 shown]
	ds_load_b128 v[38:41], v1 offset:1280
	ds_load_b128 v[42:45], v1 offset:1296
	s_clause 0x1
	scratch_load_b128 v[151:154], off, off offset:448
	scratch_load_b128 v[155:158], off, off offset:608
	s_mov_b32 s0, exec_lo
	s_wait_loadcnt_dscnt 0xa01
	v_mul_f64_e32 v[159:160], v[40:41], v[4:5]
	v_mul_f64_e32 v[4:5], v[38:39], v[4:5]
	s_wait_loadcnt_dscnt 0x900
	v_mul_f64_e32 v[163:164], v[42:43], v[8:9]
	v_mul_f64_e32 v[8:9], v[44:45], v[8:9]
	s_delay_alu instid0(VALU_DEP_4) | instskip(NEXT) | instid1(VALU_DEP_4)
	v_fma_f64 v[165:166], v[38:39], v[2:3], -v[159:160]
	v_fma_f64 v[167:168], v[40:41], v[2:3], v[4:5]
	ds_load_b128 v[2:5], v1 offset:1312
	ds_load_b128 v[159:162], v1 offset:1328
	scratch_load_b128 v[38:41], off, off offset:624
	v_fma_f64 v[44:45], v[44:45], v[6:7], v[163:164]
	v_fma_f64 v[42:43], v[42:43], v[6:7], -v[8:9]
	scratch_load_b128 v[6:9], off, off offset:640
	s_wait_loadcnt_dscnt 0xa01
	v_mul_f64_e32 v[169:170], v[2:3], v[12:13]
	v_mul_f64_e32 v[12:13], v[4:5], v[12:13]
	v_add_f64_e32 v[163:164], 0, v[165:166]
	v_add_f64_e32 v[165:166], 0, v[167:168]
	s_wait_loadcnt_dscnt 0x900
	v_mul_f64_e32 v[167:168], v[159:160], v[16:17]
	v_mul_f64_e32 v[16:17], v[161:162], v[16:17]
	v_fma_f64 v[169:170], v[4:5], v[10:11], v[169:170]
	v_fma_f64 v[171:172], v[2:3], v[10:11], -v[12:13]
	ds_load_b128 v[2:5], v1 offset:1344
	scratch_load_b128 v[10:13], off, off offset:656
	v_add_f64_e32 v[163:164], v[163:164], v[42:43]
	v_add_f64_e32 v[165:166], v[165:166], v[44:45]
	ds_load_b128 v[42:45], v1 offset:1360
	v_fma_f64 v[161:162], v[161:162], v[14:15], v[167:168]
	v_fma_f64 v[159:160], v[159:160], v[14:15], -v[16:17]
	scratch_load_b128 v[14:17], off, off offset:672
	s_wait_loadcnt_dscnt 0xa01
	v_mul_f64_e32 v[173:174], v[2:3], v[20:21]
	v_mul_f64_e32 v[20:21], v[4:5], v[20:21]
	s_wait_loadcnt_dscnt 0x900
	v_mul_f64_e32 v[167:168], v[42:43], v[24:25]
	v_mul_f64_e32 v[24:25], v[44:45], v[24:25]
	v_add_f64_e32 v[163:164], v[163:164], v[171:172]
	v_add_f64_e32 v[165:166], v[165:166], v[169:170]
	v_fma_f64 v[169:170], v[4:5], v[18:19], v[173:174]
	v_fma_f64 v[171:172], v[2:3], v[18:19], -v[20:21]
	ds_load_b128 v[2:5], v1 offset:1376
	scratch_load_b128 v[18:21], off, off offset:688
	v_fma_f64 v[44:45], v[44:45], v[22:23], v[167:168]
	v_fma_f64 v[42:43], v[42:43], v[22:23], -v[24:25]
	scratch_load_b128 v[22:25], off, off offset:704
	v_add_f64_e32 v[163:164], v[163:164], v[159:160]
	v_add_f64_e32 v[165:166], v[165:166], v[161:162]
	ds_load_b128 v[159:162], v1 offset:1392
	s_wait_loadcnt_dscnt 0xa01
	v_mul_f64_e32 v[173:174], v[2:3], v[28:29]
	v_mul_f64_e32 v[28:29], v[4:5], v[28:29]
	s_wait_loadcnt_dscnt 0x900
	v_mul_f64_e32 v[167:168], v[159:160], v[32:33]
	v_mul_f64_e32 v[32:33], v[161:162], v[32:33]
	v_add_f64_e32 v[163:164], v[163:164], v[171:172]
	v_add_f64_e32 v[165:166], v[165:166], v[169:170]
	v_fma_f64 v[169:170], v[4:5], v[26:27], v[173:174]
	v_fma_f64 v[171:172], v[2:3], v[26:27], -v[28:29]
	ds_load_b128 v[2:5], v1 offset:1408
	scratch_load_b128 v[26:29], off, off offset:720
	v_fma_f64 v[161:162], v[161:162], v[30:31], v[167:168]
	v_fma_f64 v[159:160], v[159:160], v[30:31], -v[32:33]
	scratch_load_b128 v[30:33], off, off offset:736
	v_add_f64_e32 v[163:164], v[163:164], v[42:43]
	v_add_f64_e32 v[165:166], v[165:166], v[44:45]
	ds_load_b128 v[42:45], v1 offset:1424
	s_wait_loadcnt_dscnt 0xa01
	v_mul_f64_e32 v[173:174], v[2:3], v[36:37]
	v_mul_f64_e32 v[36:37], v[4:5], v[36:37]
	s_wait_loadcnt_dscnt 0x800
	v_mul_f64_e32 v[167:168], v[42:43], v[157:158]
	v_add_f64_e32 v[163:164], v[163:164], v[171:172]
	v_add_f64_e32 v[165:166], v[165:166], v[169:170]
	v_mul_f64_e32 v[169:170], v[44:45], v[157:158]
	v_fma_f64 v[171:172], v[4:5], v[34:35], v[173:174]
	v_fma_f64 v[173:174], v[2:3], v[34:35], -v[36:37]
	ds_load_b128 v[2:5], v1 offset:1440
	scratch_load_b128 v[34:37], off, off offset:752
	v_fma_f64 v[44:45], v[44:45], v[155:156], v[167:168]
	v_add_f64_e32 v[163:164], v[163:164], v[159:160]
	v_add_f64_e32 v[161:162], v[165:166], v[161:162]
	ds_load_b128 v[157:160], v1 offset:1456
	v_fma_f64 v[155:156], v[42:43], v[155:156], -v[169:170]
	s_wait_loadcnt_dscnt 0x801
	v_mul_f64_e32 v[165:166], v[2:3], v[40:41]
	v_mul_f64_e32 v[175:176], v[4:5], v[40:41]
	scratch_load_b128 v[40:43], off, off offset:768
	s_wait_loadcnt_dscnt 0x800
	v_mul_f64_e32 v[169:170], v[157:158], v[8:9]
	v_mul_f64_e32 v[8:9], v[159:160], v[8:9]
	v_add_f64_e32 v[163:164], v[163:164], v[173:174]
	v_add_f64_e32 v[161:162], v[161:162], v[171:172]
	v_fma_f64 v[171:172], v[4:5], v[38:39], v[165:166]
	v_fma_f64 v[38:39], v[2:3], v[38:39], -v[175:176]
	ds_load_b128 v[2:5], v1 offset:1472
	ds_load_b128 v[165:168], v1 offset:1488
	v_fma_f64 v[159:160], v[159:160], v[6:7], v[169:170]
	v_fma_f64 v[157:158], v[157:158], v[6:7], -v[8:9]
	scratch_load_b128 v[6:9], off, off offset:800
	v_add_f64_e32 v[155:156], v[163:164], v[155:156]
	v_add_f64_e32 v[44:45], v[161:162], v[44:45]
	scratch_load_b128 v[161:164], off, off offset:784
	s_wait_loadcnt_dscnt 0x901
	v_mul_f64_e32 v[173:174], v[2:3], v[12:13]
	v_mul_f64_e32 v[12:13], v[4:5], v[12:13]
	s_wait_loadcnt_dscnt 0x800
	v_mul_f64_e32 v[169:170], v[165:166], v[16:17]
	v_mul_f64_e32 v[16:17], v[167:168], v[16:17]
	v_add_f64_e32 v[38:39], v[155:156], v[38:39]
	v_add_f64_e32 v[44:45], v[44:45], v[171:172]
	v_fma_f64 v[171:172], v[4:5], v[10:11], v[173:174]
	v_fma_f64 v[173:174], v[2:3], v[10:11], -v[12:13]
	ds_load_b128 v[2:5], v1 offset:1504
	scratch_load_b128 v[10:13], off, off offset:816
	v_fma_f64 v[167:168], v[167:168], v[14:15], v[169:170]
	v_fma_f64 v[165:166], v[165:166], v[14:15], -v[16:17]
	scratch_load_b128 v[14:17], off, off offset:832
	v_add_f64_e32 v[38:39], v[38:39], v[157:158]
	v_add_f64_e32 v[44:45], v[44:45], v[159:160]
	ds_load_b128 v[155:158], v1 offset:1520
	s_wait_loadcnt_dscnt 0x901
	v_mul_f64_e32 v[159:160], v[2:3], v[20:21]
	v_mul_f64_e32 v[20:21], v[4:5], v[20:21]
	s_wait_loadcnt_dscnt 0x800
	v_mul_f64_e32 v[169:170], v[155:156], v[24:25]
	v_mul_f64_e32 v[24:25], v[157:158], v[24:25]
	v_add_f64_e32 v[38:39], v[38:39], v[173:174]
	v_add_f64_e32 v[44:45], v[44:45], v[171:172]
	v_fma_f64 v[159:160], v[4:5], v[18:19], v[159:160]
	v_fma_f64 v[171:172], v[2:3], v[18:19], -v[20:21]
	ds_load_b128 v[2:5], v1 offset:1536
	ds_load_b128 v[18:21], v1 offset:1552
	v_fma_f64 v[157:158], v[157:158], v[22:23], v[169:170]
	v_fma_f64 v[22:23], v[155:156], v[22:23], -v[24:25]
	v_add_f64_e32 v[38:39], v[38:39], v[165:166]
	v_add_f64_e32 v[44:45], v[44:45], v[167:168]
	s_wait_loadcnt_dscnt 0x701
	v_mul_f64_e32 v[165:166], v[2:3], v[28:29]
	v_mul_f64_e32 v[28:29], v[4:5], v[28:29]
	s_delay_alu instid0(VALU_DEP_4) | instskip(NEXT) | instid1(VALU_DEP_4)
	v_add_f64_e32 v[24:25], v[38:39], v[171:172]
	v_add_f64_e32 v[38:39], v[44:45], v[159:160]
	s_wait_loadcnt_dscnt 0x600
	v_mul_f64_e32 v[44:45], v[18:19], v[32:33]
	v_mul_f64_e32 v[32:33], v[20:21], v[32:33]
	v_fma_f64 v[155:156], v[4:5], v[26:27], v[165:166]
	v_fma_f64 v[26:27], v[2:3], v[26:27], -v[28:29]
	v_add_f64_e32 v[28:29], v[24:25], v[22:23]
	v_add_f64_e32 v[38:39], v[38:39], v[157:158]
	ds_load_b128 v[2:5], v1 offset:1568
	ds_load_b128 v[22:25], v1 offset:1584
	v_fma_f64 v[20:21], v[20:21], v[30:31], v[44:45]
	v_fma_f64 v[18:19], v[18:19], v[30:31], -v[32:33]
	s_wait_loadcnt_dscnt 0x501
	v_mul_f64_e32 v[157:158], v[2:3], v[36:37]
	v_mul_f64_e32 v[36:37], v[4:5], v[36:37]
	s_wait_loadcnt_dscnt 0x400
	v_mul_f64_e32 v[30:31], v[22:23], v[42:43]
	v_add_f64_e32 v[26:27], v[28:29], v[26:27]
	v_add_f64_e32 v[28:29], v[38:39], v[155:156]
	v_mul_f64_e32 v[32:33], v[24:25], v[42:43]
	v_fma_f64 v[38:39], v[4:5], v[34:35], v[157:158]
	v_fma_f64 v[34:35], v[2:3], v[34:35], -v[36:37]
	v_fma_f64 v[24:25], v[24:25], v[40:41], v[30:31]
	v_add_f64_e32 v[26:27], v[26:27], v[18:19]
	v_add_f64_e32 v[28:29], v[28:29], v[20:21]
	ds_load_b128 v[2:5], v1 offset:1600
	ds_load_b128 v[18:21], v1 offset:1616
	v_fma_f64 v[22:23], v[22:23], v[40:41], -v[32:33]
	s_wait_loadcnt_dscnt 0x201
	v_mul_f64_e32 v[36:37], v[2:3], v[163:164]
	v_mul_f64_e32 v[42:43], v[4:5], v[163:164]
	s_wait_dscnt 0x0
	v_mul_f64_e32 v[30:31], v[18:19], v[8:9]
	v_mul_f64_e32 v[8:9], v[20:21], v[8:9]
	v_add_f64_e32 v[26:27], v[26:27], v[34:35]
	v_add_f64_e32 v[28:29], v[28:29], v[38:39]
	v_fma_f64 v[32:33], v[4:5], v[161:162], v[36:37]
	v_fma_f64 v[34:35], v[2:3], v[161:162], -v[42:43]
	v_fma_f64 v[20:21], v[20:21], v[6:7], v[30:31]
	v_fma_f64 v[6:7], v[18:19], v[6:7], -v[8:9]
	v_add_f64_e32 v[26:27], v[26:27], v[22:23]
	v_add_f64_e32 v[28:29], v[28:29], v[24:25]
	ds_load_b128 v[2:5], v1 offset:1632
	ds_load_b128 v[22:25], v1 offset:1648
	s_wait_loadcnt_dscnt 0x101
	v_mul_f64_e32 v[36:37], v[2:3], v[12:13]
	v_mul_f64_e32 v[12:13], v[4:5], v[12:13]
	v_add_f64_e32 v[8:9], v[26:27], v[34:35]
	v_add_f64_e32 v[18:19], v[28:29], v[32:33]
	s_wait_loadcnt_dscnt 0x0
	v_mul_f64_e32 v[26:27], v[22:23], v[16:17]
	v_mul_f64_e32 v[16:17], v[24:25], v[16:17]
	v_fma_f64 v[4:5], v[4:5], v[10:11], v[36:37]
	v_fma_f64 v[1:2], v[2:3], v[10:11], -v[12:13]
	v_add_f64_e32 v[6:7], v[8:9], v[6:7]
	v_add_f64_e32 v[8:9], v[18:19], v[20:21]
	v_fma_f64 v[10:11], v[24:25], v[14:15], v[26:27]
	v_fma_f64 v[12:13], v[22:23], v[14:15], -v[16:17]
	s_delay_alu instid0(VALU_DEP_4) | instskip(NEXT) | instid1(VALU_DEP_4)
	v_add_f64_e32 v[1:2], v[6:7], v[1:2]
	v_add_f64_e32 v[3:4], v[8:9], v[4:5]
	s_delay_alu instid0(VALU_DEP_2) | instskip(NEXT) | instid1(VALU_DEP_2)
	v_add_f64_e32 v[1:2], v[1:2], v[12:13]
	v_add_f64_e32 v[3:4], v[3:4], v[10:11]
	s_delay_alu instid0(VALU_DEP_2) | instskip(NEXT) | instid1(VALU_DEP_2)
	v_add_f64_e64 v[1:2], v[151:152], -v[1:2]
	v_add_f64_e64 v[3:4], v[153:154], -v[3:4]
	scratch_store_b128 off, v[1:4], off offset:448
	v_cmpx_lt_u32_e32 26, v0
	s_cbranch_execz .LBB115_273
; %bb.272:
	scratch_load_b128 v[1:4], off, s39
	v_mov_b32_e32 v5, 0
	s_delay_alu instid0(VALU_DEP_1)
	v_dual_mov_b32 v6, v5 :: v_dual_mov_b32 v7, v5
	v_mov_b32_e32 v8, v5
	scratch_store_b128 off, v[5:8], off offset:432
	s_wait_loadcnt 0x0
	ds_store_b128 v150, v[1:4]
.LBB115_273:
	s_wait_alu 0xfffe
	s_or_b32 exec_lo, exec_lo, s0
	s_wait_storecnt_dscnt 0x0
	s_barrier_signal -1
	s_barrier_wait -1
	global_inv scope:SCOPE_SE
	s_clause 0x7
	scratch_load_b128 v[2:5], off, off offset:448
	scratch_load_b128 v[6:9], off, off offset:464
	;; [unrolled: 1-line block ×8, first 2 shown]
	v_mov_b32_e32 v1, 0
	s_mov_b32 s0, exec_lo
	ds_load_b128 v[34:37], v1 offset:1264
	s_clause 0x1
	scratch_load_b128 v[38:41], off, off offset:576
	scratch_load_b128 v[42:45], off, off offset:432
	ds_load_b128 v[151:154], v1 offset:1280
	scratch_load_b128 v[155:158], off, off offset:592
	s_wait_loadcnt_dscnt 0xa01
	v_mul_f64_e32 v[159:160], v[36:37], v[4:5]
	v_mul_f64_e32 v[4:5], v[34:35], v[4:5]
	s_delay_alu instid0(VALU_DEP_2) | instskip(NEXT) | instid1(VALU_DEP_2)
	v_fma_f64 v[165:166], v[34:35], v[2:3], -v[159:160]
	v_fma_f64 v[167:168], v[36:37], v[2:3], v[4:5]
	ds_load_b128 v[2:5], v1 offset:1296
	s_wait_loadcnt_dscnt 0x901
	v_mul_f64_e32 v[163:164], v[151:152], v[8:9]
	v_mul_f64_e32 v[8:9], v[153:154], v[8:9]
	scratch_load_b128 v[34:37], off, off offset:608
	ds_load_b128 v[159:162], v1 offset:1312
	s_wait_loadcnt_dscnt 0x901
	v_mul_f64_e32 v[169:170], v[2:3], v[12:13]
	v_mul_f64_e32 v[12:13], v[4:5], v[12:13]
	v_fma_f64 v[153:154], v[153:154], v[6:7], v[163:164]
	v_fma_f64 v[151:152], v[151:152], v[6:7], -v[8:9]
	v_add_f64_e32 v[163:164], 0, v[165:166]
	v_add_f64_e32 v[165:166], 0, v[167:168]
	scratch_load_b128 v[6:9], off, off offset:624
	v_fma_f64 v[169:170], v[4:5], v[10:11], v[169:170]
	v_fma_f64 v[171:172], v[2:3], v[10:11], -v[12:13]
	ds_load_b128 v[2:5], v1 offset:1328
	s_wait_loadcnt_dscnt 0x901
	v_mul_f64_e32 v[167:168], v[159:160], v[16:17]
	v_mul_f64_e32 v[16:17], v[161:162], v[16:17]
	scratch_load_b128 v[10:13], off, off offset:640
	v_add_f64_e32 v[163:164], v[163:164], v[151:152]
	v_add_f64_e32 v[165:166], v[165:166], v[153:154]
	s_wait_loadcnt_dscnt 0x900
	v_mul_f64_e32 v[173:174], v[2:3], v[20:21]
	v_mul_f64_e32 v[20:21], v[4:5], v[20:21]
	ds_load_b128 v[151:154], v1 offset:1344
	v_fma_f64 v[161:162], v[161:162], v[14:15], v[167:168]
	v_fma_f64 v[159:160], v[159:160], v[14:15], -v[16:17]
	scratch_load_b128 v[14:17], off, off offset:656
	v_add_f64_e32 v[163:164], v[163:164], v[171:172]
	v_add_f64_e32 v[165:166], v[165:166], v[169:170]
	v_fma_f64 v[169:170], v[4:5], v[18:19], v[173:174]
	v_fma_f64 v[171:172], v[2:3], v[18:19], -v[20:21]
	ds_load_b128 v[2:5], v1 offset:1360
	s_wait_loadcnt_dscnt 0x901
	v_mul_f64_e32 v[167:168], v[151:152], v[24:25]
	v_mul_f64_e32 v[24:25], v[153:154], v[24:25]
	scratch_load_b128 v[18:21], off, off offset:672
	s_wait_loadcnt_dscnt 0x900
	v_mul_f64_e32 v[173:174], v[2:3], v[28:29]
	v_mul_f64_e32 v[28:29], v[4:5], v[28:29]
	v_add_f64_e32 v[163:164], v[163:164], v[159:160]
	v_add_f64_e32 v[165:166], v[165:166], v[161:162]
	ds_load_b128 v[159:162], v1 offset:1376
	v_fma_f64 v[153:154], v[153:154], v[22:23], v[167:168]
	v_fma_f64 v[151:152], v[151:152], v[22:23], -v[24:25]
	scratch_load_b128 v[22:25], off, off offset:688
	v_add_f64_e32 v[163:164], v[163:164], v[171:172]
	v_add_f64_e32 v[165:166], v[165:166], v[169:170]
	v_fma_f64 v[169:170], v[4:5], v[26:27], v[173:174]
	v_fma_f64 v[171:172], v[2:3], v[26:27], -v[28:29]
	ds_load_b128 v[2:5], v1 offset:1392
	s_wait_loadcnt_dscnt 0x901
	v_mul_f64_e32 v[167:168], v[159:160], v[32:33]
	v_mul_f64_e32 v[32:33], v[161:162], v[32:33]
	scratch_load_b128 v[26:29], off, off offset:704
	s_wait_loadcnt_dscnt 0x900
	v_mul_f64_e32 v[173:174], v[2:3], v[40:41]
	v_mul_f64_e32 v[40:41], v[4:5], v[40:41]
	v_add_f64_e32 v[163:164], v[163:164], v[151:152]
	v_add_f64_e32 v[165:166], v[165:166], v[153:154]
	ds_load_b128 v[151:154], v1 offset:1408
	v_fma_f64 v[161:162], v[161:162], v[30:31], v[167:168]
	v_fma_f64 v[159:160], v[159:160], v[30:31], -v[32:33]
	scratch_load_b128 v[30:33], off, off offset:720
	v_add_f64_e32 v[163:164], v[163:164], v[171:172]
	v_add_f64_e32 v[165:166], v[165:166], v[169:170]
	v_fma_f64 v[171:172], v[4:5], v[38:39], v[173:174]
	v_fma_f64 v[173:174], v[2:3], v[38:39], -v[40:41]
	ds_load_b128 v[2:5], v1 offset:1424
	s_wait_loadcnt_dscnt 0x801
	v_mul_f64_e32 v[167:168], v[151:152], v[157:158]
	v_mul_f64_e32 v[169:170], v[153:154], v[157:158]
	scratch_load_b128 v[38:41], off, off offset:736
	v_add_f64_e32 v[163:164], v[163:164], v[159:160]
	v_add_f64_e32 v[161:162], v[165:166], v[161:162]
	ds_load_b128 v[157:160], v1 offset:1440
	v_fma_f64 v[167:168], v[153:154], v[155:156], v[167:168]
	v_fma_f64 v[155:156], v[151:152], v[155:156], -v[169:170]
	scratch_load_b128 v[151:154], off, off offset:752
	s_wait_loadcnt_dscnt 0x901
	v_mul_f64_e32 v[165:166], v[2:3], v[36:37]
	v_mul_f64_e32 v[36:37], v[4:5], v[36:37]
	v_add_f64_e32 v[163:164], v[163:164], v[173:174]
	v_add_f64_e32 v[161:162], v[161:162], v[171:172]
	s_delay_alu instid0(VALU_DEP_4) | instskip(NEXT) | instid1(VALU_DEP_4)
	v_fma_f64 v[165:166], v[4:5], v[34:35], v[165:166]
	v_fma_f64 v[171:172], v[2:3], v[34:35], -v[36:37]
	ds_load_b128 v[2:5], v1 offset:1456
	s_wait_loadcnt_dscnt 0x801
	v_mul_f64_e32 v[169:170], v[157:158], v[8:9]
	v_mul_f64_e32 v[8:9], v[159:160], v[8:9]
	scratch_load_b128 v[34:37], off, off offset:768
	s_wait_loadcnt_dscnt 0x800
	v_mul_f64_e32 v[173:174], v[2:3], v[12:13]
	v_add_f64_e32 v[155:156], v[163:164], v[155:156]
	v_add_f64_e32 v[167:168], v[161:162], v[167:168]
	v_mul_f64_e32 v[12:13], v[4:5], v[12:13]
	ds_load_b128 v[161:164], v1 offset:1472
	v_fma_f64 v[159:160], v[159:160], v[6:7], v[169:170]
	v_fma_f64 v[157:158], v[157:158], v[6:7], -v[8:9]
	scratch_load_b128 v[6:9], off, off offset:784
	v_fma_f64 v[169:170], v[4:5], v[10:11], v[173:174]
	v_add_f64_e32 v[155:156], v[155:156], v[171:172]
	v_add_f64_e32 v[165:166], v[167:168], v[165:166]
	v_fma_f64 v[171:172], v[2:3], v[10:11], -v[12:13]
	ds_load_b128 v[2:5], v1 offset:1488
	s_wait_loadcnt_dscnt 0x801
	v_mul_f64_e32 v[167:168], v[161:162], v[16:17]
	v_mul_f64_e32 v[16:17], v[163:164], v[16:17]
	scratch_load_b128 v[10:13], off, off offset:800
	v_add_f64_e32 v[173:174], v[155:156], v[157:158]
	v_add_f64_e32 v[159:160], v[165:166], v[159:160]
	s_wait_loadcnt_dscnt 0x800
	v_mul_f64_e32 v[165:166], v[2:3], v[20:21]
	v_mul_f64_e32 v[20:21], v[4:5], v[20:21]
	v_fma_f64 v[163:164], v[163:164], v[14:15], v[167:168]
	v_fma_f64 v[161:162], v[161:162], v[14:15], -v[16:17]
	ds_load_b128 v[155:158], v1 offset:1504
	scratch_load_b128 v[14:17], off, off offset:816
	v_add_f64_e32 v[167:168], v[173:174], v[171:172]
	v_add_f64_e32 v[159:160], v[159:160], v[169:170]
	v_fma_f64 v[165:166], v[4:5], v[18:19], v[165:166]
	v_fma_f64 v[171:172], v[2:3], v[18:19], -v[20:21]
	ds_load_b128 v[2:5], v1 offset:1520
	s_wait_loadcnt_dscnt 0x801
	v_mul_f64_e32 v[169:170], v[155:156], v[24:25]
	v_mul_f64_e32 v[24:25], v[157:158], v[24:25]
	scratch_load_b128 v[18:21], off, off offset:832
	s_wait_loadcnt_dscnt 0x800
	v_mul_f64_e32 v[173:174], v[2:3], v[28:29]
	v_mul_f64_e32 v[28:29], v[4:5], v[28:29]
	v_add_f64_e32 v[167:168], v[167:168], v[161:162]
	v_add_f64_e32 v[163:164], v[159:160], v[163:164]
	ds_load_b128 v[159:162], v1 offset:1536
	v_fma_f64 v[157:158], v[157:158], v[22:23], v[169:170]
	v_fma_f64 v[22:23], v[155:156], v[22:23], -v[24:25]
	v_add_f64_e32 v[24:25], v[167:168], v[171:172]
	v_add_f64_e32 v[155:156], v[163:164], v[165:166]
	s_wait_loadcnt_dscnt 0x700
	v_mul_f64_e32 v[163:164], v[159:160], v[32:33]
	v_mul_f64_e32 v[32:33], v[161:162], v[32:33]
	v_fma_f64 v[165:166], v[4:5], v[26:27], v[173:174]
	v_fma_f64 v[26:27], v[2:3], v[26:27], -v[28:29]
	v_add_f64_e32 v[28:29], v[24:25], v[22:23]
	v_add_f64_e32 v[155:156], v[155:156], v[157:158]
	ds_load_b128 v[2:5], v1 offset:1552
	ds_load_b128 v[22:25], v1 offset:1568
	v_fma_f64 v[161:162], v[161:162], v[30:31], v[163:164]
	v_fma_f64 v[30:31], v[159:160], v[30:31], -v[32:33]
	s_wait_loadcnt_dscnt 0x601
	v_mul_f64_e32 v[157:158], v[2:3], v[40:41]
	v_mul_f64_e32 v[40:41], v[4:5], v[40:41]
	s_wait_loadcnt_dscnt 0x500
	v_mul_f64_e32 v[32:33], v[22:23], v[153:154]
	v_mul_f64_e32 v[153:154], v[24:25], v[153:154]
	v_add_f64_e32 v[26:27], v[28:29], v[26:27]
	v_add_f64_e32 v[28:29], v[155:156], v[165:166]
	v_fma_f64 v[155:156], v[4:5], v[38:39], v[157:158]
	v_fma_f64 v[38:39], v[2:3], v[38:39], -v[40:41]
	v_fma_f64 v[24:25], v[24:25], v[151:152], v[32:33]
	v_fma_f64 v[22:23], v[22:23], v[151:152], -v[153:154]
	v_add_f64_e32 v[30:31], v[26:27], v[30:31]
	v_add_f64_e32 v[40:41], v[28:29], v[161:162]
	ds_load_b128 v[2:5], v1 offset:1584
	ds_load_b128 v[26:29], v1 offset:1600
	s_wait_loadcnt_dscnt 0x401
	v_mul_f64_e32 v[157:158], v[2:3], v[36:37]
	v_mul_f64_e32 v[36:37], v[4:5], v[36:37]
	v_add_f64_e32 v[30:31], v[30:31], v[38:39]
	v_add_f64_e32 v[32:33], v[40:41], v[155:156]
	s_wait_loadcnt_dscnt 0x300
	v_mul_f64_e32 v[38:39], v[26:27], v[8:9]
	v_mul_f64_e32 v[8:9], v[28:29], v[8:9]
	v_fma_f64 v[40:41], v[4:5], v[34:35], v[157:158]
	v_fma_f64 v[34:35], v[2:3], v[34:35], -v[36:37]
	v_add_f64_e32 v[30:31], v[30:31], v[22:23]
	v_add_f64_e32 v[32:33], v[32:33], v[24:25]
	ds_load_b128 v[2:5], v1 offset:1616
	ds_load_b128 v[22:25], v1 offset:1632
	v_fma_f64 v[28:29], v[28:29], v[6:7], v[38:39]
	v_fma_f64 v[6:7], v[26:27], v[6:7], -v[8:9]
	s_wait_loadcnt_dscnt 0x201
	v_mul_f64_e32 v[36:37], v[2:3], v[12:13]
	v_mul_f64_e32 v[12:13], v[4:5], v[12:13]
	v_add_f64_e32 v[8:9], v[30:31], v[34:35]
	v_add_f64_e32 v[26:27], v[32:33], v[40:41]
	s_wait_loadcnt_dscnt 0x100
	v_mul_f64_e32 v[30:31], v[22:23], v[16:17]
	v_mul_f64_e32 v[16:17], v[24:25], v[16:17]
	v_fma_f64 v[32:33], v[4:5], v[10:11], v[36:37]
	v_fma_f64 v[10:11], v[2:3], v[10:11], -v[12:13]
	ds_load_b128 v[2:5], v1 offset:1648
	v_add_f64_e32 v[6:7], v[8:9], v[6:7]
	v_add_f64_e32 v[8:9], v[26:27], v[28:29]
	v_fma_f64 v[24:25], v[24:25], v[14:15], v[30:31]
	v_fma_f64 v[14:15], v[22:23], v[14:15], -v[16:17]
	s_wait_loadcnt_dscnt 0x0
	v_mul_f64_e32 v[12:13], v[2:3], v[20:21]
	v_mul_f64_e32 v[20:21], v[4:5], v[20:21]
	v_add_f64_e32 v[6:7], v[6:7], v[10:11]
	v_add_f64_e32 v[8:9], v[8:9], v[32:33]
	s_delay_alu instid0(VALU_DEP_4) | instskip(NEXT) | instid1(VALU_DEP_4)
	v_fma_f64 v[4:5], v[4:5], v[18:19], v[12:13]
	v_fma_f64 v[2:3], v[2:3], v[18:19], -v[20:21]
	s_delay_alu instid0(VALU_DEP_4) | instskip(NEXT) | instid1(VALU_DEP_4)
	v_add_f64_e32 v[6:7], v[6:7], v[14:15]
	v_add_f64_e32 v[8:9], v[8:9], v[24:25]
	s_delay_alu instid0(VALU_DEP_2) | instskip(NEXT) | instid1(VALU_DEP_2)
	v_add_f64_e32 v[2:3], v[6:7], v[2:3]
	v_add_f64_e32 v[4:5], v[8:9], v[4:5]
	s_delay_alu instid0(VALU_DEP_2) | instskip(NEXT) | instid1(VALU_DEP_2)
	v_add_f64_e64 v[2:3], v[42:43], -v[2:3]
	v_add_f64_e64 v[4:5], v[44:45], -v[4:5]
	scratch_store_b128 off, v[2:5], off offset:432
	v_cmpx_lt_u32_e32 25, v0
	s_cbranch_execz .LBB115_275
; %bb.274:
	scratch_load_b128 v[5:8], off, s40
	v_dual_mov_b32 v2, v1 :: v_dual_mov_b32 v3, v1
	v_mov_b32_e32 v4, v1
	scratch_store_b128 off, v[1:4], off offset:416
	s_wait_loadcnt 0x0
	ds_store_b128 v150, v[5:8]
.LBB115_275:
	s_wait_alu 0xfffe
	s_or_b32 exec_lo, exec_lo, s0
	s_wait_storecnt_dscnt 0x0
	s_barrier_signal -1
	s_barrier_wait -1
	global_inv scope:SCOPE_SE
	s_clause 0x8
	scratch_load_b128 v[2:5], off, off offset:432
	scratch_load_b128 v[6:9], off, off offset:448
	;; [unrolled: 1-line block ×9, first 2 shown]
	ds_load_b128 v[38:41], v1 offset:1248
	ds_load_b128 v[42:45], v1 offset:1264
	s_clause 0x1
	scratch_load_b128 v[151:154], off, off offset:416
	scratch_load_b128 v[155:158], off, off offset:576
	s_mov_b32 s0, exec_lo
	s_wait_loadcnt_dscnt 0xa01
	v_mul_f64_e32 v[159:160], v[40:41], v[4:5]
	v_mul_f64_e32 v[4:5], v[38:39], v[4:5]
	s_wait_loadcnt_dscnt 0x900
	v_mul_f64_e32 v[163:164], v[42:43], v[8:9]
	v_mul_f64_e32 v[8:9], v[44:45], v[8:9]
	s_delay_alu instid0(VALU_DEP_4) | instskip(NEXT) | instid1(VALU_DEP_4)
	v_fma_f64 v[165:166], v[38:39], v[2:3], -v[159:160]
	v_fma_f64 v[167:168], v[40:41], v[2:3], v[4:5]
	ds_load_b128 v[2:5], v1 offset:1280
	ds_load_b128 v[159:162], v1 offset:1296
	scratch_load_b128 v[38:41], off, off offset:592
	v_fma_f64 v[44:45], v[44:45], v[6:7], v[163:164]
	v_fma_f64 v[42:43], v[42:43], v[6:7], -v[8:9]
	scratch_load_b128 v[6:9], off, off offset:608
	s_wait_loadcnt_dscnt 0xa01
	v_mul_f64_e32 v[169:170], v[2:3], v[12:13]
	v_mul_f64_e32 v[12:13], v[4:5], v[12:13]
	v_add_f64_e32 v[163:164], 0, v[165:166]
	v_add_f64_e32 v[165:166], 0, v[167:168]
	s_wait_loadcnt_dscnt 0x900
	v_mul_f64_e32 v[167:168], v[159:160], v[16:17]
	v_mul_f64_e32 v[16:17], v[161:162], v[16:17]
	v_fma_f64 v[169:170], v[4:5], v[10:11], v[169:170]
	v_fma_f64 v[171:172], v[2:3], v[10:11], -v[12:13]
	ds_load_b128 v[2:5], v1 offset:1312
	scratch_load_b128 v[10:13], off, off offset:624
	v_add_f64_e32 v[163:164], v[163:164], v[42:43]
	v_add_f64_e32 v[165:166], v[165:166], v[44:45]
	ds_load_b128 v[42:45], v1 offset:1328
	v_fma_f64 v[161:162], v[161:162], v[14:15], v[167:168]
	v_fma_f64 v[159:160], v[159:160], v[14:15], -v[16:17]
	scratch_load_b128 v[14:17], off, off offset:640
	s_wait_loadcnt_dscnt 0xa01
	v_mul_f64_e32 v[173:174], v[2:3], v[20:21]
	v_mul_f64_e32 v[20:21], v[4:5], v[20:21]
	s_wait_loadcnt_dscnt 0x900
	v_mul_f64_e32 v[167:168], v[42:43], v[24:25]
	v_mul_f64_e32 v[24:25], v[44:45], v[24:25]
	v_add_f64_e32 v[163:164], v[163:164], v[171:172]
	v_add_f64_e32 v[165:166], v[165:166], v[169:170]
	v_fma_f64 v[169:170], v[4:5], v[18:19], v[173:174]
	v_fma_f64 v[171:172], v[2:3], v[18:19], -v[20:21]
	ds_load_b128 v[2:5], v1 offset:1344
	scratch_load_b128 v[18:21], off, off offset:656
	v_fma_f64 v[44:45], v[44:45], v[22:23], v[167:168]
	v_fma_f64 v[42:43], v[42:43], v[22:23], -v[24:25]
	scratch_load_b128 v[22:25], off, off offset:672
	v_add_f64_e32 v[163:164], v[163:164], v[159:160]
	v_add_f64_e32 v[165:166], v[165:166], v[161:162]
	ds_load_b128 v[159:162], v1 offset:1360
	s_wait_loadcnt_dscnt 0xa01
	v_mul_f64_e32 v[173:174], v[2:3], v[28:29]
	v_mul_f64_e32 v[28:29], v[4:5], v[28:29]
	s_wait_loadcnt_dscnt 0x900
	v_mul_f64_e32 v[167:168], v[159:160], v[32:33]
	v_mul_f64_e32 v[32:33], v[161:162], v[32:33]
	v_add_f64_e32 v[163:164], v[163:164], v[171:172]
	v_add_f64_e32 v[165:166], v[165:166], v[169:170]
	v_fma_f64 v[169:170], v[4:5], v[26:27], v[173:174]
	v_fma_f64 v[171:172], v[2:3], v[26:27], -v[28:29]
	ds_load_b128 v[2:5], v1 offset:1376
	scratch_load_b128 v[26:29], off, off offset:688
	v_fma_f64 v[161:162], v[161:162], v[30:31], v[167:168]
	v_fma_f64 v[159:160], v[159:160], v[30:31], -v[32:33]
	scratch_load_b128 v[30:33], off, off offset:704
	v_add_f64_e32 v[163:164], v[163:164], v[42:43]
	v_add_f64_e32 v[165:166], v[165:166], v[44:45]
	ds_load_b128 v[42:45], v1 offset:1392
	s_wait_loadcnt_dscnt 0xa01
	v_mul_f64_e32 v[173:174], v[2:3], v[36:37]
	v_mul_f64_e32 v[36:37], v[4:5], v[36:37]
	s_wait_loadcnt_dscnt 0x800
	v_mul_f64_e32 v[167:168], v[42:43], v[157:158]
	v_add_f64_e32 v[163:164], v[163:164], v[171:172]
	v_add_f64_e32 v[165:166], v[165:166], v[169:170]
	v_mul_f64_e32 v[169:170], v[44:45], v[157:158]
	v_fma_f64 v[171:172], v[4:5], v[34:35], v[173:174]
	v_fma_f64 v[173:174], v[2:3], v[34:35], -v[36:37]
	ds_load_b128 v[2:5], v1 offset:1408
	scratch_load_b128 v[34:37], off, off offset:720
	v_fma_f64 v[44:45], v[44:45], v[155:156], v[167:168]
	v_add_f64_e32 v[163:164], v[163:164], v[159:160]
	v_add_f64_e32 v[161:162], v[165:166], v[161:162]
	ds_load_b128 v[157:160], v1 offset:1424
	v_fma_f64 v[155:156], v[42:43], v[155:156], -v[169:170]
	s_wait_loadcnt_dscnt 0x801
	v_mul_f64_e32 v[165:166], v[2:3], v[40:41]
	v_mul_f64_e32 v[175:176], v[4:5], v[40:41]
	scratch_load_b128 v[40:43], off, off offset:736
	s_wait_loadcnt_dscnt 0x800
	v_mul_f64_e32 v[169:170], v[157:158], v[8:9]
	v_mul_f64_e32 v[8:9], v[159:160], v[8:9]
	v_add_f64_e32 v[163:164], v[163:164], v[173:174]
	v_add_f64_e32 v[161:162], v[161:162], v[171:172]
	v_fma_f64 v[171:172], v[4:5], v[38:39], v[165:166]
	v_fma_f64 v[38:39], v[2:3], v[38:39], -v[175:176]
	ds_load_b128 v[2:5], v1 offset:1440
	ds_load_b128 v[165:168], v1 offset:1456
	v_fma_f64 v[159:160], v[159:160], v[6:7], v[169:170]
	v_fma_f64 v[157:158], v[157:158], v[6:7], -v[8:9]
	scratch_load_b128 v[6:9], off, off offset:768
	v_add_f64_e32 v[155:156], v[163:164], v[155:156]
	v_add_f64_e32 v[44:45], v[161:162], v[44:45]
	scratch_load_b128 v[161:164], off, off offset:752
	s_wait_loadcnt_dscnt 0x901
	v_mul_f64_e32 v[173:174], v[2:3], v[12:13]
	v_mul_f64_e32 v[12:13], v[4:5], v[12:13]
	s_wait_loadcnt_dscnt 0x800
	v_mul_f64_e32 v[169:170], v[165:166], v[16:17]
	v_mul_f64_e32 v[16:17], v[167:168], v[16:17]
	v_add_f64_e32 v[38:39], v[155:156], v[38:39]
	v_add_f64_e32 v[44:45], v[44:45], v[171:172]
	v_fma_f64 v[171:172], v[4:5], v[10:11], v[173:174]
	v_fma_f64 v[173:174], v[2:3], v[10:11], -v[12:13]
	ds_load_b128 v[2:5], v1 offset:1472
	scratch_load_b128 v[10:13], off, off offset:784
	v_fma_f64 v[167:168], v[167:168], v[14:15], v[169:170]
	v_fma_f64 v[165:166], v[165:166], v[14:15], -v[16:17]
	scratch_load_b128 v[14:17], off, off offset:800
	v_add_f64_e32 v[38:39], v[38:39], v[157:158]
	v_add_f64_e32 v[44:45], v[44:45], v[159:160]
	ds_load_b128 v[155:158], v1 offset:1488
	s_wait_loadcnt_dscnt 0x901
	v_mul_f64_e32 v[159:160], v[2:3], v[20:21]
	v_mul_f64_e32 v[20:21], v[4:5], v[20:21]
	s_wait_loadcnt_dscnt 0x800
	v_mul_f64_e32 v[169:170], v[155:156], v[24:25]
	v_mul_f64_e32 v[24:25], v[157:158], v[24:25]
	v_add_f64_e32 v[38:39], v[38:39], v[173:174]
	v_add_f64_e32 v[44:45], v[44:45], v[171:172]
	v_fma_f64 v[159:160], v[4:5], v[18:19], v[159:160]
	v_fma_f64 v[171:172], v[2:3], v[18:19], -v[20:21]
	ds_load_b128 v[2:5], v1 offset:1504
	scratch_load_b128 v[18:21], off, off offset:816
	v_fma_f64 v[157:158], v[157:158], v[22:23], v[169:170]
	v_fma_f64 v[155:156], v[155:156], v[22:23], -v[24:25]
	scratch_load_b128 v[22:25], off, off offset:832
	v_add_f64_e32 v[38:39], v[38:39], v[165:166]
	v_add_f64_e32 v[44:45], v[44:45], v[167:168]
	ds_load_b128 v[165:168], v1 offset:1520
	s_wait_loadcnt_dscnt 0x901
	v_mul_f64_e32 v[173:174], v[2:3], v[28:29]
	v_mul_f64_e32 v[28:29], v[4:5], v[28:29]
	v_add_f64_e32 v[38:39], v[38:39], v[171:172]
	v_add_f64_e32 v[44:45], v[44:45], v[159:160]
	s_wait_loadcnt_dscnt 0x800
	v_mul_f64_e32 v[159:160], v[165:166], v[32:33]
	v_mul_f64_e32 v[32:33], v[167:168], v[32:33]
	v_fma_f64 v[169:170], v[4:5], v[26:27], v[173:174]
	v_fma_f64 v[171:172], v[2:3], v[26:27], -v[28:29]
	ds_load_b128 v[2:5], v1 offset:1536
	ds_load_b128 v[26:29], v1 offset:1552
	v_add_f64_e32 v[38:39], v[38:39], v[155:156]
	v_add_f64_e32 v[44:45], v[44:45], v[157:158]
	s_wait_loadcnt_dscnt 0x701
	v_mul_f64_e32 v[155:156], v[2:3], v[36:37]
	v_mul_f64_e32 v[36:37], v[4:5], v[36:37]
	v_fma_f64 v[157:158], v[167:168], v[30:31], v[159:160]
	v_fma_f64 v[30:31], v[165:166], v[30:31], -v[32:33]
	v_add_f64_e32 v[32:33], v[38:39], v[171:172]
	v_add_f64_e32 v[38:39], v[44:45], v[169:170]
	s_wait_loadcnt_dscnt 0x600
	v_mul_f64_e32 v[44:45], v[26:27], v[42:43]
	v_mul_f64_e32 v[42:43], v[28:29], v[42:43]
	v_fma_f64 v[155:156], v[4:5], v[34:35], v[155:156]
	v_fma_f64 v[34:35], v[2:3], v[34:35], -v[36:37]
	v_add_f64_e32 v[36:37], v[32:33], v[30:31]
	v_add_f64_e32 v[38:39], v[38:39], v[157:158]
	ds_load_b128 v[2:5], v1 offset:1568
	ds_load_b128 v[30:33], v1 offset:1584
	v_fma_f64 v[28:29], v[28:29], v[40:41], v[44:45]
	v_fma_f64 v[26:27], v[26:27], v[40:41], -v[42:43]
	s_wait_loadcnt_dscnt 0x401
	v_mul_f64_e32 v[157:158], v[2:3], v[163:164]
	v_mul_f64_e32 v[159:160], v[4:5], v[163:164]
	v_add_f64_e32 v[34:35], v[36:37], v[34:35]
	v_add_f64_e32 v[36:37], v[38:39], v[155:156]
	s_wait_dscnt 0x0
	v_mul_f64_e32 v[38:39], v[30:31], v[8:9]
	v_mul_f64_e32 v[8:9], v[32:33], v[8:9]
	v_fma_f64 v[40:41], v[4:5], v[161:162], v[157:158]
	v_fma_f64 v[42:43], v[2:3], v[161:162], -v[159:160]
	v_add_f64_e32 v[34:35], v[34:35], v[26:27]
	v_add_f64_e32 v[36:37], v[36:37], v[28:29]
	ds_load_b128 v[2:5], v1 offset:1600
	ds_load_b128 v[26:29], v1 offset:1616
	v_fma_f64 v[32:33], v[32:33], v[6:7], v[38:39]
	v_fma_f64 v[6:7], v[30:31], v[6:7], -v[8:9]
	s_wait_loadcnt_dscnt 0x301
	v_mul_f64_e32 v[44:45], v[2:3], v[12:13]
	v_mul_f64_e32 v[12:13], v[4:5], v[12:13]
	v_add_f64_e32 v[8:9], v[34:35], v[42:43]
	v_add_f64_e32 v[30:31], v[36:37], v[40:41]
	s_wait_loadcnt_dscnt 0x200
	v_mul_f64_e32 v[34:35], v[26:27], v[16:17]
	v_mul_f64_e32 v[16:17], v[28:29], v[16:17]
	v_fma_f64 v[36:37], v[4:5], v[10:11], v[44:45]
	v_fma_f64 v[10:11], v[2:3], v[10:11], -v[12:13]
	v_add_f64_e32 v[12:13], v[8:9], v[6:7]
	v_add_f64_e32 v[30:31], v[30:31], v[32:33]
	ds_load_b128 v[2:5], v1 offset:1632
	ds_load_b128 v[6:9], v1 offset:1648
	v_fma_f64 v[28:29], v[28:29], v[14:15], v[34:35]
	v_fma_f64 v[14:15], v[26:27], v[14:15], -v[16:17]
	s_wait_loadcnt_dscnt 0x101
	v_mul_f64_e32 v[32:33], v[2:3], v[20:21]
	v_mul_f64_e32 v[20:21], v[4:5], v[20:21]
	s_wait_loadcnt_dscnt 0x0
	v_mul_f64_e32 v[16:17], v[6:7], v[24:25]
	v_mul_f64_e32 v[24:25], v[8:9], v[24:25]
	v_add_f64_e32 v[10:11], v[12:13], v[10:11]
	v_add_f64_e32 v[12:13], v[30:31], v[36:37]
	v_fma_f64 v[4:5], v[4:5], v[18:19], v[32:33]
	v_fma_f64 v[1:2], v[2:3], v[18:19], -v[20:21]
	v_fma_f64 v[8:9], v[8:9], v[22:23], v[16:17]
	v_fma_f64 v[6:7], v[6:7], v[22:23], -v[24:25]
	v_add_f64_e32 v[10:11], v[10:11], v[14:15]
	v_add_f64_e32 v[12:13], v[12:13], v[28:29]
	s_delay_alu instid0(VALU_DEP_2) | instskip(NEXT) | instid1(VALU_DEP_2)
	v_add_f64_e32 v[1:2], v[10:11], v[1:2]
	v_add_f64_e32 v[3:4], v[12:13], v[4:5]
	s_delay_alu instid0(VALU_DEP_2) | instskip(NEXT) | instid1(VALU_DEP_2)
	;; [unrolled: 3-line block ×3, first 2 shown]
	v_add_f64_e64 v[1:2], v[151:152], -v[1:2]
	v_add_f64_e64 v[3:4], v[153:154], -v[3:4]
	scratch_store_b128 off, v[1:4], off offset:416
	v_cmpx_lt_u32_e32 24, v0
	s_cbranch_execz .LBB115_277
; %bb.276:
	scratch_load_b128 v[1:4], off, s41
	v_mov_b32_e32 v5, 0
	s_delay_alu instid0(VALU_DEP_1)
	v_dual_mov_b32 v6, v5 :: v_dual_mov_b32 v7, v5
	v_mov_b32_e32 v8, v5
	scratch_store_b128 off, v[5:8], off offset:400
	s_wait_loadcnt 0x0
	ds_store_b128 v150, v[1:4]
.LBB115_277:
	s_wait_alu 0xfffe
	s_or_b32 exec_lo, exec_lo, s0
	s_wait_storecnt_dscnt 0x0
	s_barrier_signal -1
	s_barrier_wait -1
	global_inv scope:SCOPE_SE
	s_clause 0x7
	scratch_load_b128 v[2:5], off, off offset:416
	scratch_load_b128 v[6:9], off, off offset:432
	;; [unrolled: 1-line block ×8, first 2 shown]
	v_mov_b32_e32 v1, 0
	s_mov_b32 s0, exec_lo
	ds_load_b128 v[34:37], v1 offset:1232
	s_clause 0x1
	scratch_load_b128 v[38:41], off, off offset:544
	scratch_load_b128 v[42:45], off, off offset:400
	ds_load_b128 v[151:154], v1 offset:1248
	scratch_load_b128 v[155:158], off, off offset:560
	s_wait_loadcnt_dscnt 0xa01
	v_mul_f64_e32 v[159:160], v[36:37], v[4:5]
	v_mul_f64_e32 v[4:5], v[34:35], v[4:5]
	s_delay_alu instid0(VALU_DEP_2) | instskip(NEXT) | instid1(VALU_DEP_2)
	v_fma_f64 v[165:166], v[34:35], v[2:3], -v[159:160]
	v_fma_f64 v[167:168], v[36:37], v[2:3], v[4:5]
	ds_load_b128 v[2:5], v1 offset:1264
	s_wait_loadcnt_dscnt 0x901
	v_mul_f64_e32 v[163:164], v[151:152], v[8:9]
	v_mul_f64_e32 v[8:9], v[153:154], v[8:9]
	scratch_load_b128 v[34:37], off, off offset:576
	ds_load_b128 v[159:162], v1 offset:1280
	s_wait_loadcnt_dscnt 0x901
	v_mul_f64_e32 v[169:170], v[2:3], v[12:13]
	v_mul_f64_e32 v[12:13], v[4:5], v[12:13]
	v_fma_f64 v[153:154], v[153:154], v[6:7], v[163:164]
	v_fma_f64 v[151:152], v[151:152], v[6:7], -v[8:9]
	v_add_f64_e32 v[163:164], 0, v[165:166]
	v_add_f64_e32 v[165:166], 0, v[167:168]
	scratch_load_b128 v[6:9], off, off offset:592
	v_fma_f64 v[169:170], v[4:5], v[10:11], v[169:170]
	v_fma_f64 v[171:172], v[2:3], v[10:11], -v[12:13]
	ds_load_b128 v[2:5], v1 offset:1296
	s_wait_loadcnt_dscnt 0x901
	v_mul_f64_e32 v[167:168], v[159:160], v[16:17]
	v_mul_f64_e32 v[16:17], v[161:162], v[16:17]
	scratch_load_b128 v[10:13], off, off offset:608
	v_add_f64_e32 v[163:164], v[163:164], v[151:152]
	v_add_f64_e32 v[165:166], v[165:166], v[153:154]
	s_wait_loadcnt_dscnt 0x900
	v_mul_f64_e32 v[173:174], v[2:3], v[20:21]
	v_mul_f64_e32 v[20:21], v[4:5], v[20:21]
	ds_load_b128 v[151:154], v1 offset:1312
	v_fma_f64 v[161:162], v[161:162], v[14:15], v[167:168]
	v_fma_f64 v[159:160], v[159:160], v[14:15], -v[16:17]
	scratch_load_b128 v[14:17], off, off offset:624
	v_add_f64_e32 v[163:164], v[163:164], v[171:172]
	v_add_f64_e32 v[165:166], v[165:166], v[169:170]
	v_fma_f64 v[169:170], v[4:5], v[18:19], v[173:174]
	v_fma_f64 v[171:172], v[2:3], v[18:19], -v[20:21]
	ds_load_b128 v[2:5], v1 offset:1328
	s_wait_loadcnt_dscnt 0x901
	v_mul_f64_e32 v[167:168], v[151:152], v[24:25]
	v_mul_f64_e32 v[24:25], v[153:154], v[24:25]
	scratch_load_b128 v[18:21], off, off offset:640
	s_wait_loadcnt_dscnt 0x900
	v_mul_f64_e32 v[173:174], v[2:3], v[28:29]
	v_mul_f64_e32 v[28:29], v[4:5], v[28:29]
	v_add_f64_e32 v[163:164], v[163:164], v[159:160]
	v_add_f64_e32 v[165:166], v[165:166], v[161:162]
	ds_load_b128 v[159:162], v1 offset:1344
	v_fma_f64 v[153:154], v[153:154], v[22:23], v[167:168]
	v_fma_f64 v[151:152], v[151:152], v[22:23], -v[24:25]
	scratch_load_b128 v[22:25], off, off offset:656
	v_add_f64_e32 v[163:164], v[163:164], v[171:172]
	v_add_f64_e32 v[165:166], v[165:166], v[169:170]
	v_fma_f64 v[169:170], v[4:5], v[26:27], v[173:174]
	v_fma_f64 v[171:172], v[2:3], v[26:27], -v[28:29]
	ds_load_b128 v[2:5], v1 offset:1360
	s_wait_loadcnt_dscnt 0x901
	v_mul_f64_e32 v[167:168], v[159:160], v[32:33]
	v_mul_f64_e32 v[32:33], v[161:162], v[32:33]
	scratch_load_b128 v[26:29], off, off offset:672
	s_wait_loadcnt_dscnt 0x900
	v_mul_f64_e32 v[173:174], v[2:3], v[40:41]
	v_mul_f64_e32 v[40:41], v[4:5], v[40:41]
	v_add_f64_e32 v[163:164], v[163:164], v[151:152]
	v_add_f64_e32 v[165:166], v[165:166], v[153:154]
	ds_load_b128 v[151:154], v1 offset:1376
	v_fma_f64 v[161:162], v[161:162], v[30:31], v[167:168]
	v_fma_f64 v[159:160], v[159:160], v[30:31], -v[32:33]
	scratch_load_b128 v[30:33], off, off offset:688
	v_add_f64_e32 v[163:164], v[163:164], v[171:172]
	v_add_f64_e32 v[165:166], v[165:166], v[169:170]
	v_fma_f64 v[171:172], v[4:5], v[38:39], v[173:174]
	v_fma_f64 v[173:174], v[2:3], v[38:39], -v[40:41]
	ds_load_b128 v[2:5], v1 offset:1392
	s_wait_loadcnt_dscnt 0x801
	v_mul_f64_e32 v[167:168], v[151:152], v[157:158]
	v_mul_f64_e32 v[169:170], v[153:154], v[157:158]
	scratch_load_b128 v[38:41], off, off offset:704
	v_add_f64_e32 v[163:164], v[163:164], v[159:160]
	v_add_f64_e32 v[161:162], v[165:166], v[161:162]
	ds_load_b128 v[157:160], v1 offset:1408
	v_fma_f64 v[167:168], v[153:154], v[155:156], v[167:168]
	v_fma_f64 v[155:156], v[151:152], v[155:156], -v[169:170]
	scratch_load_b128 v[151:154], off, off offset:720
	s_wait_loadcnt_dscnt 0x901
	v_mul_f64_e32 v[165:166], v[2:3], v[36:37]
	v_mul_f64_e32 v[36:37], v[4:5], v[36:37]
	v_add_f64_e32 v[163:164], v[163:164], v[173:174]
	v_add_f64_e32 v[161:162], v[161:162], v[171:172]
	s_delay_alu instid0(VALU_DEP_4) | instskip(NEXT) | instid1(VALU_DEP_4)
	v_fma_f64 v[165:166], v[4:5], v[34:35], v[165:166]
	v_fma_f64 v[171:172], v[2:3], v[34:35], -v[36:37]
	ds_load_b128 v[2:5], v1 offset:1424
	s_wait_loadcnt_dscnt 0x801
	v_mul_f64_e32 v[169:170], v[157:158], v[8:9]
	v_mul_f64_e32 v[8:9], v[159:160], v[8:9]
	scratch_load_b128 v[34:37], off, off offset:736
	s_wait_loadcnt_dscnt 0x800
	v_mul_f64_e32 v[173:174], v[2:3], v[12:13]
	v_add_f64_e32 v[155:156], v[163:164], v[155:156]
	v_add_f64_e32 v[167:168], v[161:162], v[167:168]
	v_mul_f64_e32 v[12:13], v[4:5], v[12:13]
	ds_load_b128 v[161:164], v1 offset:1440
	v_fma_f64 v[159:160], v[159:160], v[6:7], v[169:170]
	v_fma_f64 v[157:158], v[157:158], v[6:7], -v[8:9]
	scratch_load_b128 v[6:9], off, off offset:752
	v_fma_f64 v[169:170], v[4:5], v[10:11], v[173:174]
	v_add_f64_e32 v[155:156], v[155:156], v[171:172]
	v_add_f64_e32 v[165:166], v[167:168], v[165:166]
	v_fma_f64 v[171:172], v[2:3], v[10:11], -v[12:13]
	ds_load_b128 v[2:5], v1 offset:1456
	s_wait_loadcnt_dscnt 0x801
	v_mul_f64_e32 v[167:168], v[161:162], v[16:17]
	v_mul_f64_e32 v[16:17], v[163:164], v[16:17]
	scratch_load_b128 v[10:13], off, off offset:768
	v_add_f64_e32 v[173:174], v[155:156], v[157:158]
	v_add_f64_e32 v[159:160], v[165:166], v[159:160]
	s_wait_loadcnt_dscnt 0x800
	v_mul_f64_e32 v[165:166], v[2:3], v[20:21]
	v_mul_f64_e32 v[20:21], v[4:5], v[20:21]
	v_fma_f64 v[163:164], v[163:164], v[14:15], v[167:168]
	v_fma_f64 v[161:162], v[161:162], v[14:15], -v[16:17]
	ds_load_b128 v[155:158], v1 offset:1472
	scratch_load_b128 v[14:17], off, off offset:784
	v_add_f64_e32 v[167:168], v[173:174], v[171:172]
	v_add_f64_e32 v[159:160], v[159:160], v[169:170]
	v_fma_f64 v[165:166], v[4:5], v[18:19], v[165:166]
	v_fma_f64 v[171:172], v[2:3], v[18:19], -v[20:21]
	ds_load_b128 v[2:5], v1 offset:1488
	s_wait_loadcnt_dscnt 0x801
	v_mul_f64_e32 v[169:170], v[155:156], v[24:25]
	v_mul_f64_e32 v[24:25], v[157:158], v[24:25]
	scratch_load_b128 v[18:21], off, off offset:800
	s_wait_loadcnt_dscnt 0x800
	v_mul_f64_e32 v[173:174], v[2:3], v[28:29]
	v_mul_f64_e32 v[28:29], v[4:5], v[28:29]
	v_add_f64_e32 v[167:168], v[167:168], v[161:162]
	v_add_f64_e32 v[163:164], v[159:160], v[163:164]
	ds_load_b128 v[159:162], v1 offset:1504
	v_fma_f64 v[157:158], v[157:158], v[22:23], v[169:170]
	v_fma_f64 v[155:156], v[155:156], v[22:23], -v[24:25]
	scratch_load_b128 v[22:25], off, off offset:816
	v_fma_f64 v[169:170], v[4:5], v[26:27], v[173:174]
	v_add_f64_e32 v[167:168], v[167:168], v[171:172]
	v_add_f64_e32 v[163:164], v[163:164], v[165:166]
	v_fma_f64 v[171:172], v[2:3], v[26:27], -v[28:29]
	ds_load_b128 v[2:5], v1 offset:1520
	s_wait_loadcnt_dscnt 0x801
	v_mul_f64_e32 v[165:166], v[159:160], v[32:33]
	v_mul_f64_e32 v[32:33], v[161:162], v[32:33]
	scratch_load_b128 v[26:29], off, off offset:832
	s_wait_loadcnt_dscnt 0x800
	v_mul_f64_e32 v[173:174], v[2:3], v[40:41]
	v_mul_f64_e32 v[40:41], v[4:5], v[40:41]
	v_add_f64_e32 v[167:168], v[167:168], v[155:156]
	v_add_f64_e32 v[163:164], v[163:164], v[157:158]
	ds_load_b128 v[155:158], v1 offset:1536
	v_fma_f64 v[161:162], v[161:162], v[30:31], v[165:166]
	v_fma_f64 v[30:31], v[159:160], v[30:31], -v[32:33]
	v_fma_f64 v[165:166], v[4:5], v[38:39], v[173:174]
	v_fma_f64 v[38:39], v[2:3], v[38:39], -v[40:41]
	v_add_f64_e32 v[32:33], v[167:168], v[171:172]
	v_add_f64_e32 v[159:160], v[163:164], v[169:170]
	s_wait_loadcnt_dscnt 0x700
	v_mul_f64_e32 v[163:164], v[155:156], v[153:154]
	v_mul_f64_e32 v[153:154], v[157:158], v[153:154]
	s_delay_alu instid0(VALU_DEP_4) | instskip(NEXT) | instid1(VALU_DEP_4)
	v_add_f64_e32 v[40:41], v[32:33], v[30:31]
	v_add_f64_e32 v[159:160], v[159:160], v[161:162]
	ds_load_b128 v[2:5], v1 offset:1552
	ds_load_b128 v[30:33], v1 offset:1568
	v_fma_f64 v[157:158], v[157:158], v[151:152], v[163:164]
	v_fma_f64 v[151:152], v[155:156], v[151:152], -v[153:154]
	s_wait_loadcnt_dscnt 0x601
	v_mul_f64_e32 v[161:162], v[2:3], v[36:37]
	v_mul_f64_e32 v[36:37], v[4:5], v[36:37]
	s_wait_loadcnt_dscnt 0x500
	v_mul_f64_e32 v[153:154], v[30:31], v[8:9]
	v_mul_f64_e32 v[8:9], v[32:33], v[8:9]
	v_add_f64_e32 v[38:39], v[40:41], v[38:39]
	v_add_f64_e32 v[40:41], v[159:160], v[165:166]
	v_fma_f64 v[155:156], v[4:5], v[34:35], v[161:162]
	v_fma_f64 v[159:160], v[2:3], v[34:35], -v[36:37]
	ds_load_b128 v[2:5], v1 offset:1584
	ds_load_b128 v[34:37], v1 offset:1600
	v_fma_f64 v[32:33], v[32:33], v[6:7], v[153:154]
	v_fma_f64 v[6:7], v[30:31], v[6:7], -v[8:9]
	v_add_f64_e32 v[38:39], v[38:39], v[151:152]
	v_add_f64_e32 v[40:41], v[40:41], v[157:158]
	s_wait_loadcnt_dscnt 0x401
	v_mul_f64_e32 v[151:152], v[2:3], v[12:13]
	v_mul_f64_e32 v[12:13], v[4:5], v[12:13]
	s_delay_alu instid0(VALU_DEP_4) | instskip(NEXT) | instid1(VALU_DEP_4)
	v_add_f64_e32 v[8:9], v[38:39], v[159:160]
	v_add_f64_e32 v[30:31], v[40:41], v[155:156]
	s_wait_loadcnt_dscnt 0x300
	v_mul_f64_e32 v[38:39], v[34:35], v[16:17]
	v_mul_f64_e32 v[16:17], v[36:37], v[16:17]
	v_fma_f64 v[40:41], v[4:5], v[10:11], v[151:152]
	v_fma_f64 v[10:11], v[2:3], v[10:11], -v[12:13]
	v_add_f64_e32 v[12:13], v[8:9], v[6:7]
	v_add_f64_e32 v[30:31], v[30:31], v[32:33]
	ds_load_b128 v[2:5], v1 offset:1616
	ds_load_b128 v[6:9], v1 offset:1632
	v_fma_f64 v[36:37], v[36:37], v[14:15], v[38:39]
	v_fma_f64 v[14:15], v[34:35], v[14:15], -v[16:17]
	s_wait_loadcnt_dscnt 0x201
	v_mul_f64_e32 v[32:33], v[2:3], v[20:21]
	v_mul_f64_e32 v[20:21], v[4:5], v[20:21]
	s_wait_loadcnt_dscnt 0x100
	v_mul_f64_e32 v[16:17], v[6:7], v[24:25]
	v_mul_f64_e32 v[24:25], v[8:9], v[24:25]
	v_add_f64_e32 v[10:11], v[12:13], v[10:11]
	v_add_f64_e32 v[12:13], v[30:31], v[40:41]
	v_fma_f64 v[30:31], v[4:5], v[18:19], v[32:33]
	v_fma_f64 v[18:19], v[2:3], v[18:19], -v[20:21]
	ds_load_b128 v[2:5], v1 offset:1648
	v_fma_f64 v[8:9], v[8:9], v[22:23], v[16:17]
	v_fma_f64 v[6:7], v[6:7], v[22:23], -v[24:25]
	v_add_f64_e32 v[10:11], v[10:11], v[14:15]
	v_add_f64_e32 v[12:13], v[12:13], v[36:37]
	s_wait_loadcnt_dscnt 0x0
	v_mul_f64_e32 v[14:15], v[2:3], v[28:29]
	v_mul_f64_e32 v[20:21], v[4:5], v[28:29]
	s_delay_alu instid0(VALU_DEP_4) | instskip(NEXT) | instid1(VALU_DEP_4)
	v_add_f64_e32 v[10:11], v[10:11], v[18:19]
	v_add_f64_e32 v[12:13], v[12:13], v[30:31]
	s_delay_alu instid0(VALU_DEP_4) | instskip(NEXT) | instid1(VALU_DEP_4)
	v_fma_f64 v[4:5], v[4:5], v[26:27], v[14:15]
	v_fma_f64 v[2:3], v[2:3], v[26:27], -v[20:21]
	s_delay_alu instid0(VALU_DEP_4) | instskip(NEXT) | instid1(VALU_DEP_4)
	v_add_f64_e32 v[6:7], v[10:11], v[6:7]
	v_add_f64_e32 v[8:9], v[12:13], v[8:9]
	s_delay_alu instid0(VALU_DEP_2) | instskip(NEXT) | instid1(VALU_DEP_2)
	v_add_f64_e32 v[2:3], v[6:7], v[2:3]
	v_add_f64_e32 v[4:5], v[8:9], v[4:5]
	s_delay_alu instid0(VALU_DEP_2) | instskip(NEXT) | instid1(VALU_DEP_2)
	v_add_f64_e64 v[2:3], v[42:43], -v[2:3]
	v_add_f64_e64 v[4:5], v[44:45], -v[4:5]
	scratch_store_b128 off, v[2:5], off offset:400
	v_cmpx_lt_u32_e32 23, v0
	s_cbranch_execz .LBB115_279
; %bb.278:
	scratch_load_b128 v[5:8], off, s42
	v_dual_mov_b32 v2, v1 :: v_dual_mov_b32 v3, v1
	v_mov_b32_e32 v4, v1
	scratch_store_b128 off, v[1:4], off offset:384
	s_wait_loadcnt 0x0
	ds_store_b128 v150, v[5:8]
.LBB115_279:
	s_wait_alu 0xfffe
	s_or_b32 exec_lo, exec_lo, s0
	s_wait_storecnt_dscnt 0x0
	s_barrier_signal -1
	s_barrier_wait -1
	global_inv scope:SCOPE_SE
	s_clause 0x8
	scratch_load_b128 v[2:5], off, off offset:400
	scratch_load_b128 v[6:9], off, off offset:416
	scratch_load_b128 v[10:13], off, off offset:432
	scratch_load_b128 v[14:17], off, off offset:448
	scratch_load_b128 v[18:21], off, off offset:464
	scratch_load_b128 v[22:25], off, off offset:480
	scratch_load_b128 v[26:29], off, off offset:496
	scratch_load_b128 v[30:33], off, off offset:512
	scratch_load_b128 v[34:37], off, off offset:528
	ds_load_b128 v[38:41], v1 offset:1216
	ds_load_b128 v[42:45], v1 offset:1232
	s_clause 0x1
	scratch_load_b128 v[151:154], off, off offset:384
	scratch_load_b128 v[155:158], off, off offset:544
	s_mov_b32 s0, exec_lo
	s_wait_loadcnt_dscnt 0xa01
	v_mul_f64_e32 v[159:160], v[40:41], v[4:5]
	v_mul_f64_e32 v[4:5], v[38:39], v[4:5]
	s_wait_loadcnt_dscnt 0x900
	v_mul_f64_e32 v[163:164], v[42:43], v[8:9]
	v_mul_f64_e32 v[8:9], v[44:45], v[8:9]
	s_delay_alu instid0(VALU_DEP_4) | instskip(NEXT) | instid1(VALU_DEP_4)
	v_fma_f64 v[165:166], v[38:39], v[2:3], -v[159:160]
	v_fma_f64 v[167:168], v[40:41], v[2:3], v[4:5]
	ds_load_b128 v[2:5], v1 offset:1248
	ds_load_b128 v[159:162], v1 offset:1264
	scratch_load_b128 v[38:41], off, off offset:560
	v_fma_f64 v[44:45], v[44:45], v[6:7], v[163:164]
	v_fma_f64 v[42:43], v[42:43], v[6:7], -v[8:9]
	scratch_load_b128 v[6:9], off, off offset:576
	s_wait_loadcnt_dscnt 0xa01
	v_mul_f64_e32 v[169:170], v[2:3], v[12:13]
	v_mul_f64_e32 v[12:13], v[4:5], v[12:13]
	v_add_f64_e32 v[163:164], 0, v[165:166]
	v_add_f64_e32 v[165:166], 0, v[167:168]
	s_wait_loadcnt_dscnt 0x900
	v_mul_f64_e32 v[167:168], v[159:160], v[16:17]
	v_mul_f64_e32 v[16:17], v[161:162], v[16:17]
	v_fma_f64 v[169:170], v[4:5], v[10:11], v[169:170]
	v_fma_f64 v[171:172], v[2:3], v[10:11], -v[12:13]
	ds_load_b128 v[2:5], v1 offset:1280
	scratch_load_b128 v[10:13], off, off offset:592
	v_add_f64_e32 v[163:164], v[163:164], v[42:43]
	v_add_f64_e32 v[165:166], v[165:166], v[44:45]
	ds_load_b128 v[42:45], v1 offset:1296
	v_fma_f64 v[161:162], v[161:162], v[14:15], v[167:168]
	v_fma_f64 v[159:160], v[159:160], v[14:15], -v[16:17]
	scratch_load_b128 v[14:17], off, off offset:608
	s_wait_loadcnt_dscnt 0xa01
	v_mul_f64_e32 v[173:174], v[2:3], v[20:21]
	v_mul_f64_e32 v[20:21], v[4:5], v[20:21]
	s_wait_loadcnt_dscnt 0x900
	v_mul_f64_e32 v[167:168], v[42:43], v[24:25]
	v_mul_f64_e32 v[24:25], v[44:45], v[24:25]
	v_add_f64_e32 v[163:164], v[163:164], v[171:172]
	v_add_f64_e32 v[165:166], v[165:166], v[169:170]
	v_fma_f64 v[169:170], v[4:5], v[18:19], v[173:174]
	v_fma_f64 v[171:172], v[2:3], v[18:19], -v[20:21]
	ds_load_b128 v[2:5], v1 offset:1312
	scratch_load_b128 v[18:21], off, off offset:624
	v_fma_f64 v[44:45], v[44:45], v[22:23], v[167:168]
	v_fma_f64 v[42:43], v[42:43], v[22:23], -v[24:25]
	scratch_load_b128 v[22:25], off, off offset:640
	v_add_f64_e32 v[163:164], v[163:164], v[159:160]
	v_add_f64_e32 v[165:166], v[165:166], v[161:162]
	ds_load_b128 v[159:162], v1 offset:1328
	s_wait_loadcnt_dscnt 0xa01
	v_mul_f64_e32 v[173:174], v[2:3], v[28:29]
	v_mul_f64_e32 v[28:29], v[4:5], v[28:29]
	s_wait_loadcnt_dscnt 0x900
	v_mul_f64_e32 v[167:168], v[159:160], v[32:33]
	v_mul_f64_e32 v[32:33], v[161:162], v[32:33]
	v_add_f64_e32 v[163:164], v[163:164], v[171:172]
	v_add_f64_e32 v[165:166], v[165:166], v[169:170]
	v_fma_f64 v[169:170], v[4:5], v[26:27], v[173:174]
	v_fma_f64 v[171:172], v[2:3], v[26:27], -v[28:29]
	ds_load_b128 v[2:5], v1 offset:1344
	scratch_load_b128 v[26:29], off, off offset:656
	v_fma_f64 v[161:162], v[161:162], v[30:31], v[167:168]
	v_fma_f64 v[159:160], v[159:160], v[30:31], -v[32:33]
	scratch_load_b128 v[30:33], off, off offset:672
	v_add_f64_e32 v[163:164], v[163:164], v[42:43]
	v_add_f64_e32 v[165:166], v[165:166], v[44:45]
	ds_load_b128 v[42:45], v1 offset:1360
	s_wait_loadcnt_dscnt 0xa01
	v_mul_f64_e32 v[173:174], v[2:3], v[36:37]
	v_mul_f64_e32 v[36:37], v[4:5], v[36:37]
	s_wait_loadcnt_dscnt 0x800
	v_mul_f64_e32 v[167:168], v[42:43], v[157:158]
	v_add_f64_e32 v[163:164], v[163:164], v[171:172]
	v_add_f64_e32 v[165:166], v[165:166], v[169:170]
	v_mul_f64_e32 v[169:170], v[44:45], v[157:158]
	v_fma_f64 v[171:172], v[4:5], v[34:35], v[173:174]
	v_fma_f64 v[173:174], v[2:3], v[34:35], -v[36:37]
	ds_load_b128 v[2:5], v1 offset:1376
	scratch_load_b128 v[34:37], off, off offset:688
	v_fma_f64 v[44:45], v[44:45], v[155:156], v[167:168]
	v_add_f64_e32 v[163:164], v[163:164], v[159:160]
	v_add_f64_e32 v[161:162], v[165:166], v[161:162]
	ds_load_b128 v[157:160], v1 offset:1392
	v_fma_f64 v[155:156], v[42:43], v[155:156], -v[169:170]
	s_wait_loadcnt_dscnt 0x801
	v_mul_f64_e32 v[165:166], v[2:3], v[40:41]
	v_mul_f64_e32 v[175:176], v[4:5], v[40:41]
	scratch_load_b128 v[40:43], off, off offset:704
	s_wait_loadcnt_dscnt 0x800
	v_mul_f64_e32 v[169:170], v[157:158], v[8:9]
	v_mul_f64_e32 v[8:9], v[159:160], v[8:9]
	v_add_f64_e32 v[163:164], v[163:164], v[173:174]
	v_add_f64_e32 v[161:162], v[161:162], v[171:172]
	v_fma_f64 v[171:172], v[4:5], v[38:39], v[165:166]
	v_fma_f64 v[38:39], v[2:3], v[38:39], -v[175:176]
	ds_load_b128 v[2:5], v1 offset:1408
	ds_load_b128 v[165:168], v1 offset:1424
	v_fma_f64 v[159:160], v[159:160], v[6:7], v[169:170]
	v_fma_f64 v[157:158], v[157:158], v[6:7], -v[8:9]
	scratch_load_b128 v[6:9], off, off offset:736
	v_add_f64_e32 v[155:156], v[163:164], v[155:156]
	v_add_f64_e32 v[44:45], v[161:162], v[44:45]
	scratch_load_b128 v[161:164], off, off offset:720
	s_wait_loadcnt_dscnt 0x901
	v_mul_f64_e32 v[173:174], v[2:3], v[12:13]
	v_mul_f64_e32 v[12:13], v[4:5], v[12:13]
	s_wait_loadcnt_dscnt 0x800
	v_mul_f64_e32 v[169:170], v[165:166], v[16:17]
	v_mul_f64_e32 v[16:17], v[167:168], v[16:17]
	v_add_f64_e32 v[38:39], v[155:156], v[38:39]
	v_add_f64_e32 v[44:45], v[44:45], v[171:172]
	v_fma_f64 v[171:172], v[4:5], v[10:11], v[173:174]
	v_fma_f64 v[173:174], v[2:3], v[10:11], -v[12:13]
	ds_load_b128 v[2:5], v1 offset:1440
	scratch_load_b128 v[10:13], off, off offset:752
	v_fma_f64 v[167:168], v[167:168], v[14:15], v[169:170]
	v_fma_f64 v[165:166], v[165:166], v[14:15], -v[16:17]
	scratch_load_b128 v[14:17], off, off offset:768
	v_add_f64_e32 v[38:39], v[38:39], v[157:158]
	v_add_f64_e32 v[44:45], v[44:45], v[159:160]
	ds_load_b128 v[155:158], v1 offset:1456
	s_wait_loadcnt_dscnt 0x901
	v_mul_f64_e32 v[159:160], v[2:3], v[20:21]
	v_mul_f64_e32 v[20:21], v[4:5], v[20:21]
	s_wait_loadcnt_dscnt 0x800
	v_mul_f64_e32 v[169:170], v[155:156], v[24:25]
	v_mul_f64_e32 v[24:25], v[157:158], v[24:25]
	v_add_f64_e32 v[38:39], v[38:39], v[173:174]
	v_add_f64_e32 v[44:45], v[44:45], v[171:172]
	v_fma_f64 v[159:160], v[4:5], v[18:19], v[159:160]
	v_fma_f64 v[171:172], v[2:3], v[18:19], -v[20:21]
	ds_load_b128 v[2:5], v1 offset:1472
	scratch_load_b128 v[18:21], off, off offset:784
	v_fma_f64 v[157:158], v[157:158], v[22:23], v[169:170]
	v_fma_f64 v[155:156], v[155:156], v[22:23], -v[24:25]
	scratch_load_b128 v[22:25], off, off offset:800
	v_add_f64_e32 v[38:39], v[38:39], v[165:166]
	v_add_f64_e32 v[44:45], v[44:45], v[167:168]
	ds_load_b128 v[165:168], v1 offset:1488
	s_wait_loadcnt_dscnt 0x901
	v_mul_f64_e32 v[173:174], v[2:3], v[28:29]
	v_mul_f64_e32 v[28:29], v[4:5], v[28:29]
	v_add_f64_e32 v[38:39], v[38:39], v[171:172]
	v_add_f64_e32 v[44:45], v[44:45], v[159:160]
	s_wait_loadcnt_dscnt 0x800
	v_mul_f64_e32 v[159:160], v[165:166], v[32:33]
	v_mul_f64_e32 v[32:33], v[167:168], v[32:33]
	v_fma_f64 v[169:170], v[4:5], v[26:27], v[173:174]
	v_fma_f64 v[171:172], v[2:3], v[26:27], -v[28:29]
	ds_load_b128 v[2:5], v1 offset:1504
	scratch_load_b128 v[26:29], off, off offset:816
	v_add_f64_e32 v[38:39], v[38:39], v[155:156]
	v_add_f64_e32 v[44:45], v[44:45], v[157:158]
	ds_load_b128 v[155:158], v1 offset:1520
	s_wait_loadcnt_dscnt 0x801
	v_mul_f64_e32 v[173:174], v[2:3], v[36:37]
	v_mul_f64_e32 v[36:37], v[4:5], v[36:37]
	v_fma_f64 v[159:160], v[167:168], v[30:31], v[159:160]
	v_fma_f64 v[165:166], v[165:166], v[30:31], -v[32:33]
	scratch_load_b128 v[30:33], off, off offset:832
	s_wait_loadcnt_dscnt 0x800
	v_mul_f64_e32 v[167:168], v[155:156], v[42:43]
	v_add_f64_e32 v[38:39], v[38:39], v[171:172]
	v_add_f64_e32 v[44:45], v[44:45], v[169:170]
	v_mul_f64_e32 v[42:43], v[157:158], v[42:43]
	v_fma_f64 v[169:170], v[4:5], v[34:35], v[173:174]
	v_fma_f64 v[171:172], v[2:3], v[34:35], -v[36:37]
	ds_load_b128 v[2:5], v1 offset:1536
	ds_load_b128 v[34:37], v1 offset:1552
	v_fma_f64 v[157:158], v[157:158], v[40:41], v[167:168]
	v_add_f64_e32 v[38:39], v[38:39], v[165:166]
	v_add_f64_e32 v[44:45], v[44:45], v[159:160]
	v_fma_f64 v[40:41], v[155:156], v[40:41], -v[42:43]
	s_wait_loadcnt_dscnt 0x601
	v_mul_f64_e32 v[159:160], v[2:3], v[163:164]
	v_mul_f64_e32 v[163:164], v[4:5], v[163:164]
	v_add_f64_e32 v[38:39], v[38:39], v[171:172]
	v_add_f64_e32 v[42:43], v[44:45], v[169:170]
	s_wait_dscnt 0x0
	v_mul_f64_e32 v[44:45], v[34:35], v[8:9]
	v_mul_f64_e32 v[8:9], v[36:37], v[8:9]
	v_fma_f64 v[155:156], v[4:5], v[161:162], v[159:160]
	v_fma_f64 v[159:160], v[2:3], v[161:162], -v[163:164]
	v_add_f64_e32 v[161:162], v[38:39], v[40:41]
	v_add_f64_e32 v[42:43], v[42:43], v[157:158]
	ds_load_b128 v[2:5], v1 offset:1568
	ds_load_b128 v[38:41], v1 offset:1584
	v_fma_f64 v[36:37], v[36:37], v[6:7], v[44:45]
	v_fma_f64 v[6:7], v[34:35], v[6:7], -v[8:9]
	s_wait_loadcnt_dscnt 0x501
	v_mul_f64_e32 v[157:158], v[2:3], v[12:13]
	v_mul_f64_e32 v[12:13], v[4:5], v[12:13]
	v_add_f64_e32 v[8:9], v[161:162], v[159:160]
	v_add_f64_e32 v[34:35], v[42:43], v[155:156]
	s_wait_loadcnt_dscnt 0x400
	v_mul_f64_e32 v[42:43], v[38:39], v[16:17]
	v_mul_f64_e32 v[16:17], v[40:41], v[16:17]
	v_fma_f64 v[44:45], v[4:5], v[10:11], v[157:158]
	v_fma_f64 v[10:11], v[2:3], v[10:11], -v[12:13]
	v_add_f64_e32 v[12:13], v[8:9], v[6:7]
	v_add_f64_e32 v[34:35], v[34:35], v[36:37]
	ds_load_b128 v[2:5], v1 offset:1600
	ds_load_b128 v[6:9], v1 offset:1616
	v_fma_f64 v[40:41], v[40:41], v[14:15], v[42:43]
	v_fma_f64 v[14:15], v[38:39], v[14:15], -v[16:17]
	s_wait_loadcnt_dscnt 0x301
	v_mul_f64_e32 v[36:37], v[2:3], v[20:21]
	v_mul_f64_e32 v[20:21], v[4:5], v[20:21]
	s_wait_loadcnt_dscnt 0x200
	v_mul_f64_e32 v[16:17], v[6:7], v[24:25]
	v_mul_f64_e32 v[24:25], v[8:9], v[24:25]
	v_add_f64_e32 v[10:11], v[12:13], v[10:11]
	v_add_f64_e32 v[12:13], v[34:35], v[44:45]
	v_fma_f64 v[34:35], v[4:5], v[18:19], v[36:37]
	v_fma_f64 v[18:19], v[2:3], v[18:19], -v[20:21]
	v_fma_f64 v[8:9], v[8:9], v[22:23], v[16:17]
	v_fma_f64 v[6:7], v[6:7], v[22:23], -v[24:25]
	v_add_f64_e32 v[14:15], v[10:11], v[14:15]
	v_add_f64_e32 v[20:21], v[12:13], v[40:41]
	ds_load_b128 v[2:5], v1 offset:1632
	ds_load_b128 v[10:13], v1 offset:1648
	s_wait_loadcnt_dscnt 0x101
	v_mul_f64_e32 v[36:37], v[2:3], v[28:29]
	v_mul_f64_e32 v[28:29], v[4:5], v[28:29]
	v_add_f64_e32 v[14:15], v[14:15], v[18:19]
	v_add_f64_e32 v[16:17], v[20:21], v[34:35]
	s_wait_loadcnt_dscnt 0x0
	v_mul_f64_e32 v[18:19], v[10:11], v[32:33]
	v_mul_f64_e32 v[20:21], v[12:13], v[32:33]
	v_fma_f64 v[4:5], v[4:5], v[26:27], v[36:37]
	v_fma_f64 v[1:2], v[2:3], v[26:27], -v[28:29]
	v_add_f64_e32 v[6:7], v[14:15], v[6:7]
	v_add_f64_e32 v[8:9], v[16:17], v[8:9]
	v_fma_f64 v[12:13], v[12:13], v[30:31], v[18:19]
	v_fma_f64 v[10:11], v[10:11], v[30:31], -v[20:21]
	s_delay_alu instid0(VALU_DEP_4) | instskip(NEXT) | instid1(VALU_DEP_4)
	v_add_f64_e32 v[1:2], v[6:7], v[1:2]
	v_add_f64_e32 v[3:4], v[8:9], v[4:5]
	s_delay_alu instid0(VALU_DEP_2) | instskip(NEXT) | instid1(VALU_DEP_2)
	v_add_f64_e32 v[1:2], v[1:2], v[10:11]
	v_add_f64_e32 v[3:4], v[3:4], v[12:13]
	s_delay_alu instid0(VALU_DEP_2) | instskip(NEXT) | instid1(VALU_DEP_2)
	v_add_f64_e64 v[1:2], v[151:152], -v[1:2]
	v_add_f64_e64 v[3:4], v[153:154], -v[3:4]
	scratch_store_b128 off, v[1:4], off offset:384
	v_cmpx_lt_u32_e32 22, v0
	s_cbranch_execz .LBB115_281
; %bb.280:
	scratch_load_b128 v[1:4], off, s43
	v_mov_b32_e32 v5, 0
	s_delay_alu instid0(VALU_DEP_1)
	v_dual_mov_b32 v6, v5 :: v_dual_mov_b32 v7, v5
	v_mov_b32_e32 v8, v5
	scratch_store_b128 off, v[5:8], off offset:368
	s_wait_loadcnt 0x0
	ds_store_b128 v150, v[1:4]
.LBB115_281:
	s_wait_alu 0xfffe
	s_or_b32 exec_lo, exec_lo, s0
	s_wait_storecnt_dscnt 0x0
	s_barrier_signal -1
	s_barrier_wait -1
	global_inv scope:SCOPE_SE
	s_clause 0x7
	scratch_load_b128 v[2:5], off, off offset:384
	scratch_load_b128 v[6:9], off, off offset:400
	;; [unrolled: 1-line block ×8, first 2 shown]
	v_mov_b32_e32 v1, 0
	s_mov_b32 s0, exec_lo
	ds_load_b128 v[34:37], v1 offset:1200
	s_clause 0x1
	scratch_load_b128 v[38:41], off, off offset:512
	scratch_load_b128 v[42:45], off, off offset:368
	ds_load_b128 v[151:154], v1 offset:1216
	scratch_load_b128 v[155:158], off, off offset:528
	s_wait_loadcnt_dscnt 0xa01
	v_mul_f64_e32 v[159:160], v[36:37], v[4:5]
	v_mul_f64_e32 v[4:5], v[34:35], v[4:5]
	s_delay_alu instid0(VALU_DEP_2) | instskip(NEXT) | instid1(VALU_DEP_2)
	v_fma_f64 v[165:166], v[34:35], v[2:3], -v[159:160]
	v_fma_f64 v[167:168], v[36:37], v[2:3], v[4:5]
	ds_load_b128 v[2:5], v1 offset:1232
	s_wait_loadcnt_dscnt 0x901
	v_mul_f64_e32 v[163:164], v[151:152], v[8:9]
	v_mul_f64_e32 v[8:9], v[153:154], v[8:9]
	scratch_load_b128 v[34:37], off, off offset:544
	ds_load_b128 v[159:162], v1 offset:1248
	s_wait_loadcnt_dscnt 0x901
	v_mul_f64_e32 v[169:170], v[2:3], v[12:13]
	v_mul_f64_e32 v[12:13], v[4:5], v[12:13]
	v_fma_f64 v[153:154], v[153:154], v[6:7], v[163:164]
	v_fma_f64 v[151:152], v[151:152], v[6:7], -v[8:9]
	v_add_f64_e32 v[163:164], 0, v[165:166]
	v_add_f64_e32 v[165:166], 0, v[167:168]
	scratch_load_b128 v[6:9], off, off offset:560
	v_fma_f64 v[169:170], v[4:5], v[10:11], v[169:170]
	v_fma_f64 v[171:172], v[2:3], v[10:11], -v[12:13]
	ds_load_b128 v[2:5], v1 offset:1264
	s_wait_loadcnt_dscnt 0x901
	v_mul_f64_e32 v[167:168], v[159:160], v[16:17]
	v_mul_f64_e32 v[16:17], v[161:162], v[16:17]
	scratch_load_b128 v[10:13], off, off offset:576
	v_add_f64_e32 v[163:164], v[163:164], v[151:152]
	v_add_f64_e32 v[165:166], v[165:166], v[153:154]
	s_wait_loadcnt_dscnt 0x900
	v_mul_f64_e32 v[173:174], v[2:3], v[20:21]
	v_mul_f64_e32 v[20:21], v[4:5], v[20:21]
	ds_load_b128 v[151:154], v1 offset:1280
	v_fma_f64 v[161:162], v[161:162], v[14:15], v[167:168]
	v_fma_f64 v[159:160], v[159:160], v[14:15], -v[16:17]
	scratch_load_b128 v[14:17], off, off offset:592
	v_add_f64_e32 v[163:164], v[163:164], v[171:172]
	v_add_f64_e32 v[165:166], v[165:166], v[169:170]
	v_fma_f64 v[169:170], v[4:5], v[18:19], v[173:174]
	v_fma_f64 v[171:172], v[2:3], v[18:19], -v[20:21]
	ds_load_b128 v[2:5], v1 offset:1296
	s_wait_loadcnt_dscnt 0x901
	v_mul_f64_e32 v[167:168], v[151:152], v[24:25]
	v_mul_f64_e32 v[24:25], v[153:154], v[24:25]
	scratch_load_b128 v[18:21], off, off offset:608
	s_wait_loadcnt_dscnt 0x900
	v_mul_f64_e32 v[173:174], v[2:3], v[28:29]
	v_mul_f64_e32 v[28:29], v[4:5], v[28:29]
	v_add_f64_e32 v[163:164], v[163:164], v[159:160]
	v_add_f64_e32 v[165:166], v[165:166], v[161:162]
	ds_load_b128 v[159:162], v1 offset:1312
	v_fma_f64 v[153:154], v[153:154], v[22:23], v[167:168]
	v_fma_f64 v[151:152], v[151:152], v[22:23], -v[24:25]
	scratch_load_b128 v[22:25], off, off offset:624
	v_add_f64_e32 v[163:164], v[163:164], v[171:172]
	v_add_f64_e32 v[165:166], v[165:166], v[169:170]
	v_fma_f64 v[169:170], v[4:5], v[26:27], v[173:174]
	v_fma_f64 v[171:172], v[2:3], v[26:27], -v[28:29]
	ds_load_b128 v[2:5], v1 offset:1328
	s_wait_loadcnt_dscnt 0x901
	v_mul_f64_e32 v[167:168], v[159:160], v[32:33]
	v_mul_f64_e32 v[32:33], v[161:162], v[32:33]
	scratch_load_b128 v[26:29], off, off offset:640
	s_wait_loadcnt_dscnt 0x900
	v_mul_f64_e32 v[173:174], v[2:3], v[40:41]
	v_mul_f64_e32 v[40:41], v[4:5], v[40:41]
	v_add_f64_e32 v[163:164], v[163:164], v[151:152]
	v_add_f64_e32 v[165:166], v[165:166], v[153:154]
	ds_load_b128 v[151:154], v1 offset:1344
	v_fma_f64 v[161:162], v[161:162], v[30:31], v[167:168]
	v_fma_f64 v[159:160], v[159:160], v[30:31], -v[32:33]
	scratch_load_b128 v[30:33], off, off offset:656
	v_add_f64_e32 v[163:164], v[163:164], v[171:172]
	v_add_f64_e32 v[165:166], v[165:166], v[169:170]
	v_fma_f64 v[171:172], v[4:5], v[38:39], v[173:174]
	v_fma_f64 v[173:174], v[2:3], v[38:39], -v[40:41]
	ds_load_b128 v[2:5], v1 offset:1360
	s_wait_loadcnt_dscnt 0x801
	v_mul_f64_e32 v[167:168], v[151:152], v[157:158]
	v_mul_f64_e32 v[169:170], v[153:154], v[157:158]
	scratch_load_b128 v[38:41], off, off offset:672
	v_add_f64_e32 v[163:164], v[163:164], v[159:160]
	v_add_f64_e32 v[161:162], v[165:166], v[161:162]
	ds_load_b128 v[157:160], v1 offset:1376
	v_fma_f64 v[167:168], v[153:154], v[155:156], v[167:168]
	v_fma_f64 v[155:156], v[151:152], v[155:156], -v[169:170]
	scratch_load_b128 v[151:154], off, off offset:688
	s_wait_loadcnt_dscnt 0x901
	v_mul_f64_e32 v[165:166], v[2:3], v[36:37]
	v_mul_f64_e32 v[36:37], v[4:5], v[36:37]
	v_add_f64_e32 v[163:164], v[163:164], v[173:174]
	v_add_f64_e32 v[161:162], v[161:162], v[171:172]
	s_delay_alu instid0(VALU_DEP_4) | instskip(NEXT) | instid1(VALU_DEP_4)
	v_fma_f64 v[165:166], v[4:5], v[34:35], v[165:166]
	v_fma_f64 v[171:172], v[2:3], v[34:35], -v[36:37]
	ds_load_b128 v[2:5], v1 offset:1392
	s_wait_loadcnt_dscnt 0x801
	v_mul_f64_e32 v[169:170], v[157:158], v[8:9]
	v_mul_f64_e32 v[8:9], v[159:160], v[8:9]
	scratch_load_b128 v[34:37], off, off offset:704
	s_wait_loadcnt_dscnt 0x800
	v_mul_f64_e32 v[173:174], v[2:3], v[12:13]
	v_add_f64_e32 v[155:156], v[163:164], v[155:156]
	v_add_f64_e32 v[167:168], v[161:162], v[167:168]
	v_mul_f64_e32 v[12:13], v[4:5], v[12:13]
	ds_load_b128 v[161:164], v1 offset:1408
	v_fma_f64 v[159:160], v[159:160], v[6:7], v[169:170]
	v_fma_f64 v[157:158], v[157:158], v[6:7], -v[8:9]
	scratch_load_b128 v[6:9], off, off offset:720
	v_fma_f64 v[169:170], v[4:5], v[10:11], v[173:174]
	v_add_f64_e32 v[155:156], v[155:156], v[171:172]
	v_add_f64_e32 v[165:166], v[167:168], v[165:166]
	v_fma_f64 v[171:172], v[2:3], v[10:11], -v[12:13]
	ds_load_b128 v[2:5], v1 offset:1424
	s_wait_loadcnt_dscnt 0x801
	v_mul_f64_e32 v[167:168], v[161:162], v[16:17]
	v_mul_f64_e32 v[16:17], v[163:164], v[16:17]
	scratch_load_b128 v[10:13], off, off offset:736
	v_add_f64_e32 v[173:174], v[155:156], v[157:158]
	v_add_f64_e32 v[159:160], v[165:166], v[159:160]
	s_wait_loadcnt_dscnt 0x800
	v_mul_f64_e32 v[165:166], v[2:3], v[20:21]
	v_mul_f64_e32 v[20:21], v[4:5], v[20:21]
	v_fma_f64 v[163:164], v[163:164], v[14:15], v[167:168]
	v_fma_f64 v[161:162], v[161:162], v[14:15], -v[16:17]
	ds_load_b128 v[155:158], v1 offset:1440
	scratch_load_b128 v[14:17], off, off offset:752
	v_add_f64_e32 v[167:168], v[173:174], v[171:172]
	v_add_f64_e32 v[159:160], v[159:160], v[169:170]
	v_fma_f64 v[165:166], v[4:5], v[18:19], v[165:166]
	v_fma_f64 v[171:172], v[2:3], v[18:19], -v[20:21]
	ds_load_b128 v[2:5], v1 offset:1456
	s_wait_loadcnt_dscnt 0x801
	v_mul_f64_e32 v[169:170], v[155:156], v[24:25]
	v_mul_f64_e32 v[24:25], v[157:158], v[24:25]
	scratch_load_b128 v[18:21], off, off offset:768
	s_wait_loadcnt_dscnt 0x800
	v_mul_f64_e32 v[173:174], v[2:3], v[28:29]
	v_mul_f64_e32 v[28:29], v[4:5], v[28:29]
	v_add_f64_e32 v[167:168], v[167:168], v[161:162]
	v_add_f64_e32 v[163:164], v[159:160], v[163:164]
	ds_load_b128 v[159:162], v1 offset:1472
	v_fma_f64 v[157:158], v[157:158], v[22:23], v[169:170]
	v_fma_f64 v[155:156], v[155:156], v[22:23], -v[24:25]
	scratch_load_b128 v[22:25], off, off offset:784
	v_fma_f64 v[169:170], v[4:5], v[26:27], v[173:174]
	v_add_f64_e32 v[167:168], v[167:168], v[171:172]
	v_add_f64_e32 v[163:164], v[163:164], v[165:166]
	v_fma_f64 v[171:172], v[2:3], v[26:27], -v[28:29]
	ds_load_b128 v[2:5], v1 offset:1488
	s_wait_loadcnt_dscnt 0x801
	v_mul_f64_e32 v[165:166], v[159:160], v[32:33]
	v_mul_f64_e32 v[32:33], v[161:162], v[32:33]
	scratch_load_b128 v[26:29], off, off offset:800
	s_wait_loadcnt_dscnt 0x800
	v_mul_f64_e32 v[173:174], v[2:3], v[40:41]
	v_mul_f64_e32 v[40:41], v[4:5], v[40:41]
	v_add_f64_e32 v[167:168], v[167:168], v[155:156]
	v_add_f64_e32 v[163:164], v[163:164], v[157:158]
	ds_load_b128 v[155:158], v1 offset:1504
	v_fma_f64 v[161:162], v[161:162], v[30:31], v[165:166]
	v_fma_f64 v[159:160], v[159:160], v[30:31], -v[32:33]
	scratch_load_b128 v[30:33], off, off offset:816
	v_add_f64_e32 v[165:166], v[167:168], v[171:172]
	v_add_f64_e32 v[163:164], v[163:164], v[169:170]
	v_fma_f64 v[169:170], v[4:5], v[38:39], v[173:174]
	v_fma_f64 v[171:172], v[2:3], v[38:39], -v[40:41]
	ds_load_b128 v[2:5], v1 offset:1520
	s_wait_loadcnt_dscnt 0x801
	v_mul_f64_e32 v[167:168], v[155:156], v[153:154]
	v_mul_f64_e32 v[153:154], v[157:158], v[153:154]
	scratch_load_b128 v[38:41], off, off offset:832
	s_wait_loadcnt_dscnt 0x800
	v_mul_f64_e32 v[173:174], v[2:3], v[36:37]
	v_mul_f64_e32 v[36:37], v[4:5], v[36:37]
	v_add_f64_e32 v[165:166], v[165:166], v[159:160]
	v_add_f64_e32 v[163:164], v[163:164], v[161:162]
	ds_load_b128 v[159:162], v1 offset:1536
	v_fma_f64 v[157:158], v[157:158], v[151:152], v[167:168]
	v_fma_f64 v[151:152], v[155:156], v[151:152], -v[153:154]
	v_fma_f64 v[167:168], v[2:3], v[34:35], -v[36:37]
	v_add_f64_e32 v[153:154], v[165:166], v[171:172]
	v_add_f64_e32 v[155:156], v[163:164], v[169:170]
	s_wait_loadcnt_dscnt 0x700
	v_mul_f64_e32 v[163:164], v[159:160], v[8:9]
	v_mul_f64_e32 v[8:9], v[161:162], v[8:9]
	v_fma_f64 v[165:166], v[4:5], v[34:35], v[173:174]
	ds_load_b128 v[2:5], v1 offset:1552
	ds_load_b128 v[34:37], v1 offset:1568
	v_add_f64_e32 v[151:152], v[153:154], v[151:152]
	v_add_f64_e32 v[153:154], v[155:156], v[157:158]
	s_wait_loadcnt_dscnt 0x601
	v_mul_f64_e32 v[155:156], v[2:3], v[12:13]
	v_mul_f64_e32 v[12:13], v[4:5], v[12:13]
	v_fma_f64 v[157:158], v[161:162], v[6:7], v[163:164]
	v_fma_f64 v[6:7], v[159:160], v[6:7], -v[8:9]
	v_add_f64_e32 v[8:9], v[151:152], v[167:168]
	v_add_f64_e32 v[151:152], v[153:154], v[165:166]
	s_wait_loadcnt_dscnt 0x500
	v_mul_f64_e32 v[153:154], v[34:35], v[16:17]
	v_mul_f64_e32 v[16:17], v[36:37], v[16:17]
	v_fma_f64 v[155:156], v[4:5], v[10:11], v[155:156]
	v_fma_f64 v[10:11], v[2:3], v[10:11], -v[12:13]
	v_add_f64_e32 v[12:13], v[8:9], v[6:7]
	v_add_f64_e32 v[151:152], v[151:152], v[157:158]
	ds_load_b128 v[2:5], v1 offset:1584
	ds_load_b128 v[6:9], v1 offset:1600
	v_fma_f64 v[36:37], v[36:37], v[14:15], v[153:154]
	v_fma_f64 v[14:15], v[34:35], v[14:15], -v[16:17]
	s_wait_loadcnt_dscnt 0x401
	v_mul_f64_e32 v[157:158], v[2:3], v[20:21]
	v_mul_f64_e32 v[20:21], v[4:5], v[20:21]
	s_wait_loadcnt_dscnt 0x300
	v_mul_f64_e32 v[16:17], v[6:7], v[24:25]
	v_mul_f64_e32 v[24:25], v[8:9], v[24:25]
	v_add_f64_e32 v[10:11], v[12:13], v[10:11]
	v_add_f64_e32 v[12:13], v[151:152], v[155:156]
	v_fma_f64 v[34:35], v[4:5], v[18:19], v[157:158]
	v_fma_f64 v[18:19], v[2:3], v[18:19], -v[20:21]
	v_fma_f64 v[8:9], v[8:9], v[22:23], v[16:17]
	v_fma_f64 v[6:7], v[6:7], v[22:23], -v[24:25]
	v_add_f64_e32 v[14:15], v[10:11], v[14:15]
	v_add_f64_e32 v[20:21], v[12:13], v[36:37]
	ds_load_b128 v[2:5], v1 offset:1616
	ds_load_b128 v[10:13], v1 offset:1632
	s_wait_loadcnt_dscnt 0x201
	v_mul_f64_e32 v[36:37], v[2:3], v[28:29]
	v_mul_f64_e32 v[28:29], v[4:5], v[28:29]
	v_add_f64_e32 v[14:15], v[14:15], v[18:19]
	v_add_f64_e32 v[16:17], v[20:21], v[34:35]
	s_wait_loadcnt_dscnt 0x100
	v_mul_f64_e32 v[18:19], v[10:11], v[32:33]
	v_mul_f64_e32 v[20:21], v[12:13], v[32:33]
	v_fma_f64 v[22:23], v[4:5], v[26:27], v[36:37]
	v_fma_f64 v[24:25], v[2:3], v[26:27], -v[28:29]
	ds_load_b128 v[2:5], v1 offset:1648
	v_add_f64_e32 v[6:7], v[14:15], v[6:7]
	v_add_f64_e32 v[8:9], v[16:17], v[8:9]
	v_fma_f64 v[12:13], v[12:13], v[30:31], v[18:19]
	v_fma_f64 v[10:11], v[10:11], v[30:31], -v[20:21]
	s_wait_loadcnt_dscnt 0x0
	v_mul_f64_e32 v[14:15], v[2:3], v[40:41]
	v_mul_f64_e32 v[16:17], v[4:5], v[40:41]
	v_add_f64_e32 v[6:7], v[6:7], v[24:25]
	v_add_f64_e32 v[8:9], v[8:9], v[22:23]
	s_delay_alu instid0(VALU_DEP_4) | instskip(NEXT) | instid1(VALU_DEP_4)
	v_fma_f64 v[4:5], v[4:5], v[38:39], v[14:15]
	v_fma_f64 v[2:3], v[2:3], v[38:39], -v[16:17]
	s_delay_alu instid0(VALU_DEP_4) | instskip(NEXT) | instid1(VALU_DEP_4)
	v_add_f64_e32 v[6:7], v[6:7], v[10:11]
	v_add_f64_e32 v[8:9], v[8:9], v[12:13]
	s_delay_alu instid0(VALU_DEP_2) | instskip(NEXT) | instid1(VALU_DEP_2)
	v_add_f64_e32 v[2:3], v[6:7], v[2:3]
	v_add_f64_e32 v[4:5], v[8:9], v[4:5]
	s_delay_alu instid0(VALU_DEP_2) | instskip(NEXT) | instid1(VALU_DEP_2)
	v_add_f64_e64 v[2:3], v[42:43], -v[2:3]
	v_add_f64_e64 v[4:5], v[44:45], -v[4:5]
	scratch_store_b128 off, v[2:5], off offset:368
	v_cmpx_lt_u32_e32 21, v0
	s_cbranch_execz .LBB115_283
; %bb.282:
	scratch_load_b128 v[5:8], off, s44
	v_dual_mov_b32 v2, v1 :: v_dual_mov_b32 v3, v1
	v_mov_b32_e32 v4, v1
	scratch_store_b128 off, v[1:4], off offset:352
	s_wait_loadcnt 0x0
	ds_store_b128 v150, v[5:8]
.LBB115_283:
	s_wait_alu 0xfffe
	s_or_b32 exec_lo, exec_lo, s0
	s_wait_storecnt_dscnt 0x0
	s_barrier_signal -1
	s_barrier_wait -1
	global_inv scope:SCOPE_SE
	s_clause 0x8
	scratch_load_b128 v[2:5], off, off offset:368
	scratch_load_b128 v[6:9], off, off offset:384
	;; [unrolled: 1-line block ×9, first 2 shown]
	ds_load_b128 v[38:41], v1 offset:1184
	ds_load_b128 v[42:45], v1 offset:1200
	s_clause 0x1
	scratch_load_b128 v[151:154], off, off offset:352
	scratch_load_b128 v[155:158], off, off offset:512
	s_mov_b32 s0, exec_lo
	s_wait_loadcnt_dscnt 0xa01
	v_mul_f64_e32 v[159:160], v[40:41], v[4:5]
	v_mul_f64_e32 v[4:5], v[38:39], v[4:5]
	s_wait_loadcnt_dscnt 0x900
	v_mul_f64_e32 v[163:164], v[42:43], v[8:9]
	v_mul_f64_e32 v[8:9], v[44:45], v[8:9]
	s_delay_alu instid0(VALU_DEP_4) | instskip(NEXT) | instid1(VALU_DEP_4)
	v_fma_f64 v[165:166], v[38:39], v[2:3], -v[159:160]
	v_fma_f64 v[167:168], v[40:41], v[2:3], v[4:5]
	ds_load_b128 v[2:5], v1 offset:1216
	ds_load_b128 v[159:162], v1 offset:1232
	scratch_load_b128 v[38:41], off, off offset:528
	v_fma_f64 v[44:45], v[44:45], v[6:7], v[163:164]
	v_fma_f64 v[42:43], v[42:43], v[6:7], -v[8:9]
	scratch_load_b128 v[6:9], off, off offset:544
	s_wait_loadcnt_dscnt 0xa01
	v_mul_f64_e32 v[169:170], v[2:3], v[12:13]
	v_mul_f64_e32 v[12:13], v[4:5], v[12:13]
	v_add_f64_e32 v[163:164], 0, v[165:166]
	v_add_f64_e32 v[165:166], 0, v[167:168]
	s_wait_loadcnt_dscnt 0x900
	v_mul_f64_e32 v[167:168], v[159:160], v[16:17]
	v_mul_f64_e32 v[16:17], v[161:162], v[16:17]
	v_fma_f64 v[169:170], v[4:5], v[10:11], v[169:170]
	v_fma_f64 v[171:172], v[2:3], v[10:11], -v[12:13]
	ds_load_b128 v[2:5], v1 offset:1248
	scratch_load_b128 v[10:13], off, off offset:560
	v_add_f64_e32 v[163:164], v[163:164], v[42:43]
	v_add_f64_e32 v[165:166], v[165:166], v[44:45]
	ds_load_b128 v[42:45], v1 offset:1264
	v_fma_f64 v[161:162], v[161:162], v[14:15], v[167:168]
	v_fma_f64 v[159:160], v[159:160], v[14:15], -v[16:17]
	scratch_load_b128 v[14:17], off, off offset:576
	s_wait_loadcnt_dscnt 0xa01
	v_mul_f64_e32 v[173:174], v[2:3], v[20:21]
	v_mul_f64_e32 v[20:21], v[4:5], v[20:21]
	s_wait_loadcnt_dscnt 0x900
	v_mul_f64_e32 v[167:168], v[42:43], v[24:25]
	v_mul_f64_e32 v[24:25], v[44:45], v[24:25]
	v_add_f64_e32 v[163:164], v[163:164], v[171:172]
	v_add_f64_e32 v[165:166], v[165:166], v[169:170]
	v_fma_f64 v[169:170], v[4:5], v[18:19], v[173:174]
	v_fma_f64 v[171:172], v[2:3], v[18:19], -v[20:21]
	ds_load_b128 v[2:5], v1 offset:1280
	scratch_load_b128 v[18:21], off, off offset:592
	v_fma_f64 v[44:45], v[44:45], v[22:23], v[167:168]
	v_fma_f64 v[42:43], v[42:43], v[22:23], -v[24:25]
	scratch_load_b128 v[22:25], off, off offset:608
	v_add_f64_e32 v[163:164], v[163:164], v[159:160]
	v_add_f64_e32 v[165:166], v[165:166], v[161:162]
	ds_load_b128 v[159:162], v1 offset:1296
	s_wait_loadcnt_dscnt 0xa01
	v_mul_f64_e32 v[173:174], v[2:3], v[28:29]
	v_mul_f64_e32 v[28:29], v[4:5], v[28:29]
	s_wait_loadcnt_dscnt 0x900
	v_mul_f64_e32 v[167:168], v[159:160], v[32:33]
	v_mul_f64_e32 v[32:33], v[161:162], v[32:33]
	v_add_f64_e32 v[163:164], v[163:164], v[171:172]
	v_add_f64_e32 v[165:166], v[165:166], v[169:170]
	v_fma_f64 v[169:170], v[4:5], v[26:27], v[173:174]
	v_fma_f64 v[171:172], v[2:3], v[26:27], -v[28:29]
	ds_load_b128 v[2:5], v1 offset:1312
	scratch_load_b128 v[26:29], off, off offset:624
	v_fma_f64 v[161:162], v[161:162], v[30:31], v[167:168]
	v_fma_f64 v[159:160], v[159:160], v[30:31], -v[32:33]
	scratch_load_b128 v[30:33], off, off offset:640
	v_add_f64_e32 v[163:164], v[163:164], v[42:43]
	v_add_f64_e32 v[165:166], v[165:166], v[44:45]
	ds_load_b128 v[42:45], v1 offset:1328
	s_wait_loadcnt_dscnt 0xa01
	v_mul_f64_e32 v[173:174], v[2:3], v[36:37]
	v_mul_f64_e32 v[36:37], v[4:5], v[36:37]
	s_wait_loadcnt_dscnt 0x800
	v_mul_f64_e32 v[167:168], v[42:43], v[157:158]
	v_add_f64_e32 v[163:164], v[163:164], v[171:172]
	v_add_f64_e32 v[165:166], v[165:166], v[169:170]
	v_mul_f64_e32 v[169:170], v[44:45], v[157:158]
	v_fma_f64 v[171:172], v[4:5], v[34:35], v[173:174]
	v_fma_f64 v[173:174], v[2:3], v[34:35], -v[36:37]
	ds_load_b128 v[2:5], v1 offset:1344
	scratch_load_b128 v[34:37], off, off offset:656
	v_fma_f64 v[44:45], v[44:45], v[155:156], v[167:168]
	v_add_f64_e32 v[163:164], v[163:164], v[159:160]
	v_add_f64_e32 v[161:162], v[165:166], v[161:162]
	ds_load_b128 v[157:160], v1 offset:1360
	v_fma_f64 v[155:156], v[42:43], v[155:156], -v[169:170]
	s_wait_loadcnt_dscnt 0x801
	v_mul_f64_e32 v[165:166], v[2:3], v[40:41]
	v_mul_f64_e32 v[175:176], v[4:5], v[40:41]
	scratch_load_b128 v[40:43], off, off offset:672
	s_wait_loadcnt_dscnt 0x800
	v_mul_f64_e32 v[169:170], v[157:158], v[8:9]
	v_mul_f64_e32 v[8:9], v[159:160], v[8:9]
	v_add_f64_e32 v[163:164], v[163:164], v[173:174]
	v_add_f64_e32 v[161:162], v[161:162], v[171:172]
	v_fma_f64 v[171:172], v[4:5], v[38:39], v[165:166]
	v_fma_f64 v[38:39], v[2:3], v[38:39], -v[175:176]
	ds_load_b128 v[2:5], v1 offset:1376
	ds_load_b128 v[165:168], v1 offset:1392
	v_fma_f64 v[159:160], v[159:160], v[6:7], v[169:170]
	v_fma_f64 v[157:158], v[157:158], v[6:7], -v[8:9]
	scratch_load_b128 v[6:9], off, off offset:704
	v_add_f64_e32 v[155:156], v[163:164], v[155:156]
	v_add_f64_e32 v[44:45], v[161:162], v[44:45]
	scratch_load_b128 v[161:164], off, off offset:688
	s_wait_loadcnt_dscnt 0x901
	v_mul_f64_e32 v[173:174], v[2:3], v[12:13]
	v_mul_f64_e32 v[12:13], v[4:5], v[12:13]
	s_wait_loadcnt_dscnt 0x800
	v_mul_f64_e32 v[169:170], v[165:166], v[16:17]
	v_mul_f64_e32 v[16:17], v[167:168], v[16:17]
	v_add_f64_e32 v[38:39], v[155:156], v[38:39]
	v_add_f64_e32 v[44:45], v[44:45], v[171:172]
	v_fma_f64 v[171:172], v[4:5], v[10:11], v[173:174]
	v_fma_f64 v[173:174], v[2:3], v[10:11], -v[12:13]
	ds_load_b128 v[2:5], v1 offset:1408
	scratch_load_b128 v[10:13], off, off offset:720
	v_fma_f64 v[167:168], v[167:168], v[14:15], v[169:170]
	v_fma_f64 v[165:166], v[165:166], v[14:15], -v[16:17]
	scratch_load_b128 v[14:17], off, off offset:736
	v_add_f64_e32 v[38:39], v[38:39], v[157:158]
	v_add_f64_e32 v[44:45], v[44:45], v[159:160]
	ds_load_b128 v[155:158], v1 offset:1424
	s_wait_loadcnt_dscnt 0x901
	v_mul_f64_e32 v[159:160], v[2:3], v[20:21]
	v_mul_f64_e32 v[20:21], v[4:5], v[20:21]
	s_wait_loadcnt_dscnt 0x800
	v_mul_f64_e32 v[169:170], v[155:156], v[24:25]
	v_mul_f64_e32 v[24:25], v[157:158], v[24:25]
	v_add_f64_e32 v[38:39], v[38:39], v[173:174]
	v_add_f64_e32 v[44:45], v[44:45], v[171:172]
	v_fma_f64 v[159:160], v[4:5], v[18:19], v[159:160]
	v_fma_f64 v[171:172], v[2:3], v[18:19], -v[20:21]
	ds_load_b128 v[2:5], v1 offset:1440
	scratch_load_b128 v[18:21], off, off offset:752
	v_fma_f64 v[157:158], v[157:158], v[22:23], v[169:170]
	v_fma_f64 v[155:156], v[155:156], v[22:23], -v[24:25]
	scratch_load_b128 v[22:25], off, off offset:768
	v_add_f64_e32 v[38:39], v[38:39], v[165:166]
	v_add_f64_e32 v[44:45], v[44:45], v[167:168]
	ds_load_b128 v[165:168], v1 offset:1456
	s_wait_loadcnt_dscnt 0x901
	v_mul_f64_e32 v[173:174], v[2:3], v[28:29]
	v_mul_f64_e32 v[28:29], v[4:5], v[28:29]
	v_add_f64_e32 v[38:39], v[38:39], v[171:172]
	v_add_f64_e32 v[44:45], v[44:45], v[159:160]
	s_wait_loadcnt_dscnt 0x800
	v_mul_f64_e32 v[159:160], v[165:166], v[32:33]
	v_mul_f64_e32 v[32:33], v[167:168], v[32:33]
	v_fma_f64 v[169:170], v[4:5], v[26:27], v[173:174]
	v_fma_f64 v[171:172], v[2:3], v[26:27], -v[28:29]
	ds_load_b128 v[2:5], v1 offset:1472
	scratch_load_b128 v[26:29], off, off offset:784
	v_add_f64_e32 v[38:39], v[38:39], v[155:156]
	v_add_f64_e32 v[44:45], v[44:45], v[157:158]
	ds_load_b128 v[155:158], v1 offset:1488
	s_wait_loadcnt_dscnt 0x801
	v_mul_f64_e32 v[173:174], v[2:3], v[36:37]
	v_mul_f64_e32 v[36:37], v[4:5], v[36:37]
	v_fma_f64 v[159:160], v[167:168], v[30:31], v[159:160]
	v_fma_f64 v[165:166], v[165:166], v[30:31], -v[32:33]
	scratch_load_b128 v[30:33], off, off offset:800
	s_wait_loadcnt_dscnt 0x800
	v_mul_f64_e32 v[167:168], v[155:156], v[42:43]
	v_add_f64_e32 v[38:39], v[38:39], v[171:172]
	v_add_f64_e32 v[44:45], v[44:45], v[169:170]
	v_mul_f64_e32 v[169:170], v[157:158], v[42:43]
	v_fma_f64 v[171:172], v[4:5], v[34:35], v[173:174]
	v_fma_f64 v[173:174], v[2:3], v[34:35], -v[36:37]
	ds_load_b128 v[2:5], v1 offset:1504
	scratch_load_b128 v[34:37], off, off offset:816
	v_fma_f64 v[157:158], v[157:158], v[40:41], v[167:168]
	v_add_f64_e32 v[38:39], v[38:39], v[165:166]
	v_add_f64_e32 v[159:160], v[44:45], v[159:160]
	ds_load_b128 v[42:45], v1 offset:1520
	v_fma_f64 v[155:156], v[155:156], v[40:41], -v[169:170]
	s_wait_loadcnt_dscnt 0x701
	v_mul_f64_e32 v[165:166], v[2:3], v[163:164]
	v_mul_f64_e32 v[163:164], v[4:5], v[163:164]
	s_wait_dscnt 0x0
	v_mul_f64_e32 v[169:170], v[42:43], v[8:9]
	v_mul_f64_e32 v[8:9], v[44:45], v[8:9]
	v_add_f64_e32 v[167:168], v[38:39], v[173:174]
	v_add_f64_e32 v[159:160], v[159:160], v[171:172]
	scratch_load_b128 v[38:41], off, off offset:832
	v_fma_f64 v[165:166], v[4:5], v[161:162], v[165:166]
	v_fma_f64 v[161:162], v[2:3], v[161:162], -v[163:164]
	v_fma_f64 v[44:45], v[44:45], v[6:7], v[169:170]
	v_fma_f64 v[6:7], v[42:43], v[6:7], -v[8:9]
	v_add_f64_e32 v[163:164], v[167:168], v[155:156]
	v_add_f64_e32 v[159:160], v[159:160], v[157:158]
	ds_load_b128 v[2:5], v1 offset:1536
	ds_load_b128 v[155:158], v1 offset:1552
	s_wait_loadcnt_dscnt 0x701
	v_mul_f64_e32 v[167:168], v[2:3], v[12:13]
	v_mul_f64_e32 v[12:13], v[4:5], v[12:13]
	v_add_f64_e32 v[8:9], v[163:164], v[161:162]
	v_add_f64_e32 v[42:43], v[159:160], v[165:166]
	s_wait_loadcnt_dscnt 0x600
	v_mul_f64_e32 v[159:160], v[155:156], v[16:17]
	v_mul_f64_e32 v[16:17], v[157:158], v[16:17]
	v_fma_f64 v[161:162], v[4:5], v[10:11], v[167:168]
	v_fma_f64 v[10:11], v[2:3], v[10:11], -v[12:13]
	v_add_f64_e32 v[12:13], v[8:9], v[6:7]
	v_add_f64_e32 v[42:43], v[42:43], v[44:45]
	ds_load_b128 v[2:5], v1 offset:1568
	ds_load_b128 v[6:9], v1 offset:1584
	v_fma_f64 v[157:158], v[157:158], v[14:15], v[159:160]
	v_fma_f64 v[14:15], v[155:156], v[14:15], -v[16:17]
	s_wait_loadcnt_dscnt 0x501
	v_mul_f64_e32 v[44:45], v[2:3], v[20:21]
	v_mul_f64_e32 v[20:21], v[4:5], v[20:21]
	s_wait_loadcnt_dscnt 0x400
	v_mul_f64_e32 v[16:17], v[6:7], v[24:25]
	v_mul_f64_e32 v[24:25], v[8:9], v[24:25]
	v_add_f64_e32 v[10:11], v[12:13], v[10:11]
	v_add_f64_e32 v[12:13], v[42:43], v[161:162]
	v_fma_f64 v[42:43], v[4:5], v[18:19], v[44:45]
	v_fma_f64 v[18:19], v[2:3], v[18:19], -v[20:21]
	v_fma_f64 v[8:9], v[8:9], v[22:23], v[16:17]
	v_fma_f64 v[6:7], v[6:7], v[22:23], -v[24:25]
	v_add_f64_e32 v[14:15], v[10:11], v[14:15]
	v_add_f64_e32 v[20:21], v[12:13], v[157:158]
	ds_load_b128 v[2:5], v1 offset:1600
	ds_load_b128 v[10:13], v1 offset:1616
	s_wait_loadcnt_dscnt 0x301
	v_mul_f64_e32 v[44:45], v[2:3], v[28:29]
	v_mul_f64_e32 v[28:29], v[4:5], v[28:29]
	v_add_f64_e32 v[14:15], v[14:15], v[18:19]
	v_add_f64_e32 v[16:17], v[20:21], v[42:43]
	s_wait_loadcnt_dscnt 0x200
	v_mul_f64_e32 v[18:19], v[10:11], v[32:33]
	v_mul_f64_e32 v[20:21], v[12:13], v[32:33]
	v_fma_f64 v[22:23], v[4:5], v[26:27], v[44:45]
	v_fma_f64 v[24:25], v[2:3], v[26:27], -v[28:29]
	v_add_f64_e32 v[14:15], v[14:15], v[6:7]
	v_add_f64_e32 v[16:17], v[16:17], v[8:9]
	ds_load_b128 v[2:5], v1 offset:1632
	ds_load_b128 v[6:9], v1 offset:1648
	v_fma_f64 v[12:13], v[12:13], v[30:31], v[18:19]
	v_fma_f64 v[10:11], v[10:11], v[30:31], -v[20:21]
	s_wait_loadcnt_dscnt 0x101
	v_mul_f64_e32 v[26:27], v[2:3], v[36:37]
	v_mul_f64_e32 v[28:29], v[4:5], v[36:37]
	v_add_f64_e32 v[14:15], v[14:15], v[24:25]
	v_add_f64_e32 v[16:17], v[16:17], v[22:23]
	s_wait_loadcnt_dscnt 0x0
	v_mul_f64_e32 v[18:19], v[6:7], v[40:41]
	v_mul_f64_e32 v[20:21], v[8:9], v[40:41]
	v_fma_f64 v[4:5], v[4:5], v[34:35], v[26:27]
	v_fma_f64 v[1:2], v[2:3], v[34:35], -v[28:29]
	v_add_f64_e32 v[10:11], v[14:15], v[10:11]
	v_add_f64_e32 v[12:13], v[16:17], v[12:13]
	v_fma_f64 v[8:9], v[8:9], v[38:39], v[18:19]
	v_fma_f64 v[6:7], v[6:7], v[38:39], -v[20:21]
	s_delay_alu instid0(VALU_DEP_4) | instskip(NEXT) | instid1(VALU_DEP_4)
	v_add_f64_e32 v[1:2], v[10:11], v[1:2]
	v_add_f64_e32 v[3:4], v[12:13], v[4:5]
	s_delay_alu instid0(VALU_DEP_2) | instskip(NEXT) | instid1(VALU_DEP_2)
	v_add_f64_e32 v[1:2], v[1:2], v[6:7]
	v_add_f64_e32 v[3:4], v[3:4], v[8:9]
	s_delay_alu instid0(VALU_DEP_2) | instskip(NEXT) | instid1(VALU_DEP_2)
	v_add_f64_e64 v[1:2], v[151:152], -v[1:2]
	v_add_f64_e64 v[3:4], v[153:154], -v[3:4]
	scratch_store_b128 off, v[1:4], off offset:352
	v_cmpx_lt_u32_e32 20, v0
	s_cbranch_execz .LBB115_285
; %bb.284:
	scratch_load_b128 v[1:4], off, s45
	v_mov_b32_e32 v5, 0
	s_delay_alu instid0(VALU_DEP_1)
	v_dual_mov_b32 v6, v5 :: v_dual_mov_b32 v7, v5
	v_mov_b32_e32 v8, v5
	scratch_store_b128 off, v[5:8], off offset:336
	s_wait_loadcnt 0x0
	ds_store_b128 v150, v[1:4]
.LBB115_285:
	s_wait_alu 0xfffe
	s_or_b32 exec_lo, exec_lo, s0
	s_wait_storecnt_dscnt 0x0
	s_barrier_signal -1
	s_barrier_wait -1
	global_inv scope:SCOPE_SE
	s_clause 0x7
	scratch_load_b128 v[2:5], off, off offset:352
	scratch_load_b128 v[6:9], off, off offset:368
	;; [unrolled: 1-line block ×8, first 2 shown]
	v_mov_b32_e32 v1, 0
	s_mov_b32 s0, exec_lo
	ds_load_b128 v[34:37], v1 offset:1168
	s_clause 0x1
	scratch_load_b128 v[38:41], off, off offset:480
	scratch_load_b128 v[42:45], off, off offset:336
	ds_load_b128 v[151:154], v1 offset:1184
	scratch_load_b128 v[155:158], off, off offset:496
	s_wait_loadcnt_dscnt 0xa01
	v_mul_f64_e32 v[159:160], v[36:37], v[4:5]
	v_mul_f64_e32 v[4:5], v[34:35], v[4:5]
	s_delay_alu instid0(VALU_DEP_2) | instskip(NEXT) | instid1(VALU_DEP_2)
	v_fma_f64 v[165:166], v[34:35], v[2:3], -v[159:160]
	v_fma_f64 v[167:168], v[36:37], v[2:3], v[4:5]
	ds_load_b128 v[2:5], v1 offset:1200
	s_wait_loadcnt_dscnt 0x901
	v_mul_f64_e32 v[163:164], v[151:152], v[8:9]
	v_mul_f64_e32 v[8:9], v[153:154], v[8:9]
	scratch_load_b128 v[34:37], off, off offset:512
	ds_load_b128 v[159:162], v1 offset:1216
	s_wait_loadcnt_dscnt 0x901
	v_mul_f64_e32 v[169:170], v[2:3], v[12:13]
	v_mul_f64_e32 v[12:13], v[4:5], v[12:13]
	v_fma_f64 v[153:154], v[153:154], v[6:7], v[163:164]
	v_fma_f64 v[151:152], v[151:152], v[6:7], -v[8:9]
	v_add_f64_e32 v[163:164], 0, v[165:166]
	v_add_f64_e32 v[165:166], 0, v[167:168]
	scratch_load_b128 v[6:9], off, off offset:528
	v_fma_f64 v[169:170], v[4:5], v[10:11], v[169:170]
	v_fma_f64 v[171:172], v[2:3], v[10:11], -v[12:13]
	ds_load_b128 v[2:5], v1 offset:1232
	s_wait_loadcnt_dscnt 0x901
	v_mul_f64_e32 v[167:168], v[159:160], v[16:17]
	v_mul_f64_e32 v[16:17], v[161:162], v[16:17]
	scratch_load_b128 v[10:13], off, off offset:544
	v_add_f64_e32 v[163:164], v[163:164], v[151:152]
	v_add_f64_e32 v[165:166], v[165:166], v[153:154]
	s_wait_loadcnt_dscnt 0x900
	v_mul_f64_e32 v[173:174], v[2:3], v[20:21]
	v_mul_f64_e32 v[20:21], v[4:5], v[20:21]
	ds_load_b128 v[151:154], v1 offset:1248
	v_fma_f64 v[161:162], v[161:162], v[14:15], v[167:168]
	v_fma_f64 v[159:160], v[159:160], v[14:15], -v[16:17]
	scratch_load_b128 v[14:17], off, off offset:560
	v_add_f64_e32 v[163:164], v[163:164], v[171:172]
	v_add_f64_e32 v[165:166], v[165:166], v[169:170]
	v_fma_f64 v[169:170], v[4:5], v[18:19], v[173:174]
	v_fma_f64 v[171:172], v[2:3], v[18:19], -v[20:21]
	ds_load_b128 v[2:5], v1 offset:1264
	s_wait_loadcnt_dscnt 0x901
	v_mul_f64_e32 v[167:168], v[151:152], v[24:25]
	v_mul_f64_e32 v[24:25], v[153:154], v[24:25]
	scratch_load_b128 v[18:21], off, off offset:576
	s_wait_loadcnt_dscnt 0x900
	v_mul_f64_e32 v[173:174], v[2:3], v[28:29]
	v_mul_f64_e32 v[28:29], v[4:5], v[28:29]
	v_add_f64_e32 v[163:164], v[163:164], v[159:160]
	v_add_f64_e32 v[165:166], v[165:166], v[161:162]
	ds_load_b128 v[159:162], v1 offset:1280
	v_fma_f64 v[153:154], v[153:154], v[22:23], v[167:168]
	v_fma_f64 v[151:152], v[151:152], v[22:23], -v[24:25]
	scratch_load_b128 v[22:25], off, off offset:592
	v_add_f64_e32 v[163:164], v[163:164], v[171:172]
	v_add_f64_e32 v[165:166], v[165:166], v[169:170]
	v_fma_f64 v[169:170], v[4:5], v[26:27], v[173:174]
	v_fma_f64 v[171:172], v[2:3], v[26:27], -v[28:29]
	ds_load_b128 v[2:5], v1 offset:1296
	s_wait_loadcnt_dscnt 0x901
	v_mul_f64_e32 v[167:168], v[159:160], v[32:33]
	v_mul_f64_e32 v[32:33], v[161:162], v[32:33]
	scratch_load_b128 v[26:29], off, off offset:608
	s_wait_loadcnt_dscnt 0x900
	v_mul_f64_e32 v[173:174], v[2:3], v[40:41]
	v_mul_f64_e32 v[40:41], v[4:5], v[40:41]
	v_add_f64_e32 v[163:164], v[163:164], v[151:152]
	v_add_f64_e32 v[165:166], v[165:166], v[153:154]
	ds_load_b128 v[151:154], v1 offset:1312
	v_fma_f64 v[161:162], v[161:162], v[30:31], v[167:168]
	v_fma_f64 v[159:160], v[159:160], v[30:31], -v[32:33]
	scratch_load_b128 v[30:33], off, off offset:624
	v_add_f64_e32 v[163:164], v[163:164], v[171:172]
	v_add_f64_e32 v[165:166], v[165:166], v[169:170]
	v_fma_f64 v[171:172], v[4:5], v[38:39], v[173:174]
	v_fma_f64 v[173:174], v[2:3], v[38:39], -v[40:41]
	ds_load_b128 v[2:5], v1 offset:1328
	s_wait_loadcnt_dscnt 0x801
	v_mul_f64_e32 v[167:168], v[151:152], v[157:158]
	v_mul_f64_e32 v[169:170], v[153:154], v[157:158]
	scratch_load_b128 v[38:41], off, off offset:640
	v_add_f64_e32 v[163:164], v[163:164], v[159:160]
	v_add_f64_e32 v[161:162], v[165:166], v[161:162]
	ds_load_b128 v[157:160], v1 offset:1344
	v_fma_f64 v[167:168], v[153:154], v[155:156], v[167:168]
	v_fma_f64 v[155:156], v[151:152], v[155:156], -v[169:170]
	scratch_load_b128 v[151:154], off, off offset:656
	s_wait_loadcnt_dscnt 0x901
	v_mul_f64_e32 v[165:166], v[2:3], v[36:37]
	v_mul_f64_e32 v[36:37], v[4:5], v[36:37]
	v_add_f64_e32 v[163:164], v[163:164], v[173:174]
	v_add_f64_e32 v[161:162], v[161:162], v[171:172]
	s_delay_alu instid0(VALU_DEP_4) | instskip(NEXT) | instid1(VALU_DEP_4)
	v_fma_f64 v[165:166], v[4:5], v[34:35], v[165:166]
	v_fma_f64 v[171:172], v[2:3], v[34:35], -v[36:37]
	ds_load_b128 v[2:5], v1 offset:1360
	s_wait_loadcnt_dscnt 0x801
	v_mul_f64_e32 v[169:170], v[157:158], v[8:9]
	v_mul_f64_e32 v[8:9], v[159:160], v[8:9]
	scratch_load_b128 v[34:37], off, off offset:672
	s_wait_loadcnt_dscnt 0x800
	v_mul_f64_e32 v[173:174], v[2:3], v[12:13]
	v_add_f64_e32 v[155:156], v[163:164], v[155:156]
	v_add_f64_e32 v[167:168], v[161:162], v[167:168]
	v_mul_f64_e32 v[12:13], v[4:5], v[12:13]
	ds_load_b128 v[161:164], v1 offset:1376
	v_fma_f64 v[159:160], v[159:160], v[6:7], v[169:170]
	v_fma_f64 v[157:158], v[157:158], v[6:7], -v[8:9]
	scratch_load_b128 v[6:9], off, off offset:688
	v_fma_f64 v[169:170], v[4:5], v[10:11], v[173:174]
	v_add_f64_e32 v[155:156], v[155:156], v[171:172]
	v_add_f64_e32 v[165:166], v[167:168], v[165:166]
	v_fma_f64 v[171:172], v[2:3], v[10:11], -v[12:13]
	ds_load_b128 v[2:5], v1 offset:1392
	s_wait_loadcnt_dscnt 0x801
	v_mul_f64_e32 v[167:168], v[161:162], v[16:17]
	v_mul_f64_e32 v[16:17], v[163:164], v[16:17]
	scratch_load_b128 v[10:13], off, off offset:704
	v_add_f64_e32 v[173:174], v[155:156], v[157:158]
	v_add_f64_e32 v[159:160], v[165:166], v[159:160]
	s_wait_loadcnt_dscnt 0x800
	v_mul_f64_e32 v[165:166], v[2:3], v[20:21]
	v_mul_f64_e32 v[20:21], v[4:5], v[20:21]
	v_fma_f64 v[163:164], v[163:164], v[14:15], v[167:168]
	v_fma_f64 v[161:162], v[161:162], v[14:15], -v[16:17]
	ds_load_b128 v[155:158], v1 offset:1408
	scratch_load_b128 v[14:17], off, off offset:720
	v_add_f64_e32 v[167:168], v[173:174], v[171:172]
	v_add_f64_e32 v[159:160], v[159:160], v[169:170]
	v_fma_f64 v[165:166], v[4:5], v[18:19], v[165:166]
	v_fma_f64 v[171:172], v[2:3], v[18:19], -v[20:21]
	ds_load_b128 v[2:5], v1 offset:1424
	s_wait_loadcnt_dscnt 0x801
	v_mul_f64_e32 v[169:170], v[155:156], v[24:25]
	v_mul_f64_e32 v[24:25], v[157:158], v[24:25]
	scratch_load_b128 v[18:21], off, off offset:736
	s_wait_loadcnt_dscnt 0x800
	v_mul_f64_e32 v[173:174], v[2:3], v[28:29]
	v_mul_f64_e32 v[28:29], v[4:5], v[28:29]
	v_add_f64_e32 v[167:168], v[167:168], v[161:162]
	v_add_f64_e32 v[163:164], v[159:160], v[163:164]
	ds_load_b128 v[159:162], v1 offset:1440
	v_fma_f64 v[157:158], v[157:158], v[22:23], v[169:170]
	v_fma_f64 v[155:156], v[155:156], v[22:23], -v[24:25]
	scratch_load_b128 v[22:25], off, off offset:752
	v_fma_f64 v[169:170], v[4:5], v[26:27], v[173:174]
	v_add_f64_e32 v[167:168], v[167:168], v[171:172]
	v_add_f64_e32 v[163:164], v[163:164], v[165:166]
	v_fma_f64 v[171:172], v[2:3], v[26:27], -v[28:29]
	ds_load_b128 v[2:5], v1 offset:1456
	s_wait_loadcnt_dscnt 0x801
	v_mul_f64_e32 v[165:166], v[159:160], v[32:33]
	v_mul_f64_e32 v[32:33], v[161:162], v[32:33]
	scratch_load_b128 v[26:29], off, off offset:768
	s_wait_loadcnt_dscnt 0x800
	v_mul_f64_e32 v[173:174], v[2:3], v[40:41]
	v_mul_f64_e32 v[40:41], v[4:5], v[40:41]
	v_add_f64_e32 v[167:168], v[167:168], v[155:156]
	v_add_f64_e32 v[163:164], v[163:164], v[157:158]
	ds_load_b128 v[155:158], v1 offset:1472
	v_fma_f64 v[161:162], v[161:162], v[30:31], v[165:166]
	v_fma_f64 v[159:160], v[159:160], v[30:31], -v[32:33]
	scratch_load_b128 v[30:33], off, off offset:784
	v_add_f64_e32 v[165:166], v[167:168], v[171:172]
	v_add_f64_e32 v[163:164], v[163:164], v[169:170]
	v_fma_f64 v[169:170], v[4:5], v[38:39], v[173:174]
	v_fma_f64 v[171:172], v[2:3], v[38:39], -v[40:41]
	ds_load_b128 v[2:5], v1 offset:1488
	s_wait_loadcnt_dscnt 0x801
	v_mul_f64_e32 v[167:168], v[155:156], v[153:154]
	v_mul_f64_e32 v[153:154], v[157:158], v[153:154]
	scratch_load_b128 v[38:41], off, off offset:800
	s_wait_loadcnt_dscnt 0x800
	v_mul_f64_e32 v[173:174], v[2:3], v[36:37]
	v_mul_f64_e32 v[36:37], v[4:5], v[36:37]
	v_add_f64_e32 v[165:166], v[165:166], v[159:160]
	v_add_f64_e32 v[163:164], v[163:164], v[161:162]
	ds_load_b128 v[159:162], v1 offset:1504
	v_fma_f64 v[157:158], v[157:158], v[151:152], v[167:168]
	v_fma_f64 v[155:156], v[155:156], v[151:152], -v[153:154]
	scratch_load_b128 v[151:154], off, off offset:816
	v_add_f64_e32 v[165:166], v[165:166], v[171:172]
	v_add_f64_e32 v[163:164], v[163:164], v[169:170]
	v_fma_f64 v[169:170], v[4:5], v[34:35], v[173:174]
	v_fma_f64 v[171:172], v[2:3], v[34:35], -v[36:37]
	ds_load_b128 v[2:5], v1 offset:1520
	s_wait_loadcnt_dscnt 0x801
	v_mul_f64_e32 v[167:168], v[159:160], v[8:9]
	v_mul_f64_e32 v[8:9], v[161:162], v[8:9]
	scratch_load_b128 v[34:37], off, off offset:832
	s_wait_loadcnt_dscnt 0x800
	v_mul_f64_e32 v[173:174], v[2:3], v[12:13]
	v_mul_f64_e32 v[12:13], v[4:5], v[12:13]
	v_add_f64_e32 v[165:166], v[165:166], v[155:156]
	v_add_f64_e32 v[163:164], v[163:164], v[157:158]
	ds_load_b128 v[155:158], v1 offset:1536
	v_fma_f64 v[161:162], v[161:162], v[6:7], v[167:168]
	v_fma_f64 v[6:7], v[159:160], v[6:7], -v[8:9]
	v_add_f64_e32 v[8:9], v[165:166], v[171:172]
	v_add_f64_e32 v[159:160], v[163:164], v[169:170]
	s_wait_loadcnt_dscnt 0x700
	v_mul_f64_e32 v[163:164], v[155:156], v[16:17]
	v_mul_f64_e32 v[16:17], v[157:158], v[16:17]
	v_fma_f64 v[165:166], v[4:5], v[10:11], v[173:174]
	v_fma_f64 v[10:11], v[2:3], v[10:11], -v[12:13]
	v_add_f64_e32 v[12:13], v[8:9], v[6:7]
	v_add_f64_e32 v[159:160], v[159:160], v[161:162]
	ds_load_b128 v[2:5], v1 offset:1552
	ds_load_b128 v[6:9], v1 offset:1568
	v_fma_f64 v[157:158], v[157:158], v[14:15], v[163:164]
	v_fma_f64 v[14:15], v[155:156], v[14:15], -v[16:17]
	s_wait_loadcnt_dscnt 0x601
	v_mul_f64_e32 v[161:162], v[2:3], v[20:21]
	v_mul_f64_e32 v[20:21], v[4:5], v[20:21]
	s_wait_loadcnt_dscnt 0x500
	v_mul_f64_e32 v[16:17], v[6:7], v[24:25]
	v_mul_f64_e32 v[24:25], v[8:9], v[24:25]
	v_add_f64_e32 v[10:11], v[12:13], v[10:11]
	v_add_f64_e32 v[12:13], v[159:160], v[165:166]
	v_fma_f64 v[155:156], v[4:5], v[18:19], v[161:162]
	v_fma_f64 v[18:19], v[2:3], v[18:19], -v[20:21]
	v_fma_f64 v[8:9], v[8:9], v[22:23], v[16:17]
	v_fma_f64 v[6:7], v[6:7], v[22:23], -v[24:25]
	v_add_f64_e32 v[14:15], v[10:11], v[14:15]
	v_add_f64_e32 v[20:21], v[12:13], v[157:158]
	ds_load_b128 v[2:5], v1 offset:1584
	ds_load_b128 v[10:13], v1 offset:1600
	s_wait_loadcnt_dscnt 0x401
	v_mul_f64_e32 v[157:158], v[2:3], v[28:29]
	v_mul_f64_e32 v[28:29], v[4:5], v[28:29]
	v_add_f64_e32 v[14:15], v[14:15], v[18:19]
	v_add_f64_e32 v[16:17], v[20:21], v[155:156]
	s_wait_loadcnt_dscnt 0x300
	v_mul_f64_e32 v[18:19], v[10:11], v[32:33]
	v_mul_f64_e32 v[20:21], v[12:13], v[32:33]
	v_fma_f64 v[22:23], v[4:5], v[26:27], v[157:158]
	v_fma_f64 v[24:25], v[2:3], v[26:27], -v[28:29]
	v_add_f64_e32 v[14:15], v[14:15], v[6:7]
	v_add_f64_e32 v[16:17], v[16:17], v[8:9]
	ds_load_b128 v[2:5], v1 offset:1616
	ds_load_b128 v[6:9], v1 offset:1632
	v_fma_f64 v[12:13], v[12:13], v[30:31], v[18:19]
	v_fma_f64 v[10:11], v[10:11], v[30:31], -v[20:21]
	s_wait_loadcnt_dscnt 0x201
	v_mul_f64_e32 v[26:27], v[2:3], v[40:41]
	v_mul_f64_e32 v[28:29], v[4:5], v[40:41]
	s_wait_loadcnt_dscnt 0x100
	v_mul_f64_e32 v[18:19], v[6:7], v[153:154]
	v_mul_f64_e32 v[20:21], v[8:9], v[153:154]
	v_add_f64_e32 v[14:15], v[14:15], v[24:25]
	v_add_f64_e32 v[16:17], v[16:17], v[22:23]
	v_fma_f64 v[22:23], v[4:5], v[38:39], v[26:27]
	v_fma_f64 v[24:25], v[2:3], v[38:39], -v[28:29]
	ds_load_b128 v[2:5], v1 offset:1648
	v_fma_f64 v[8:9], v[8:9], v[151:152], v[18:19]
	v_fma_f64 v[6:7], v[6:7], v[151:152], -v[20:21]
	v_add_f64_e32 v[10:11], v[14:15], v[10:11]
	v_add_f64_e32 v[12:13], v[16:17], v[12:13]
	s_wait_loadcnt_dscnt 0x0
	v_mul_f64_e32 v[14:15], v[2:3], v[36:37]
	v_mul_f64_e32 v[16:17], v[4:5], v[36:37]
	s_delay_alu instid0(VALU_DEP_4) | instskip(NEXT) | instid1(VALU_DEP_4)
	v_add_f64_e32 v[10:11], v[10:11], v[24:25]
	v_add_f64_e32 v[12:13], v[12:13], v[22:23]
	s_delay_alu instid0(VALU_DEP_4) | instskip(NEXT) | instid1(VALU_DEP_4)
	v_fma_f64 v[4:5], v[4:5], v[34:35], v[14:15]
	v_fma_f64 v[2:3], v[2:3], v[34:35], -v[16:17]
	s_delay_alu instid0(VALU_DEP_4) | instskip(NEXT) | instid1(VALU_DEP_4)
	v_add_f64_e32 v[6:7], v[10:11], v[6:7]
	v_add_f64_e32 v[8:9], v[12:13], v[8:9]
	s_delay_alu instid0(VALU_DEP_2) | instskip(NEXT) | instid1(VALU_DEP_2)
	v_add_f64_e32 v[2:3], v[6:7], v[2:3]
	v_add_f64_e32 v[4:5], v[8:9], v[4:5]
	s_delay_alu instid0(VALU_DEP_2) | instskip(NEXT) | instid1(VALU_DEP_2)
	v_add_f64_e64 v[2:3], v[42:43], -v[2:3]
	v_add_f64_e64 v[4:5], v[44:45], -v[4:5]
	scratch_store_b128 off, v[2:5], off offset:336
	v_cmpx_lt_u32_e32 19, v0
	s_cbranch_execz .LBB115_287
; %bb.286:
	scratch_load_b128 v[5:8], off, s46
	v_dual_mov_b32 v2, v1 :: v_dual_mov_b32 v3, v1
	v_mov_b32_e32 v4, v1
	scratch_store_b128 off, v[1:4], off offset:320
	s_wait_loadcnt 0x0
	ds_store_b128 v150, v[5:8]
.LBB115_287:
	s_wait_alu 0xfffe
	s_or_b32 exec_lo, exec_lo, s0
	s_wait_storecnt_dscnt 0x0
	s_barrier_signal -1
	s_barrier_wait -1
	global_inv scope:SCOPE_SE
	s_clause 0x8
	scratch_load_b128 v[2:5], off, off offset:336
	scratch_load_b128 v[6:9], off, off offset:352
	;; [unrolled: 1-line block ×9, first 2 shown]
	ds_load_b128 v[38:41], v1 offset:1152
	ds_load_b128 v[42:45], v1 offset:1168
	s_clause 0x1
	scratch_load_b128 v[151:154], off, off offset:320
	scratch_load_b128 v[155:158], off, off offset:480
	s_mov_b32 s0, exec_lo
	s_wait_loadcnt_dscnt 0xa01
	v_mul_f64_e32 v[159:160], v[40:41], v[4:5]
	v_mul_f64_e32 v[4:5], v[38:39], v[4:5]
	s_wait_loadcnt_dscnt 0x900
	v_mul_f64_e32 v[163:164], v[42:43], v[8:9]
	v_mul_f64_e32 v[8:9], v[44:45], v[8:9]
	s_delay_alu instid0(VALU_DEP_4) | instskip(NEXT) | instid1(VALU_DEP_4)
	v_fma_f64 v[165:166], v[38:39], v[2:3], -v[159:160]
	v_fma_f64 v[167:168], v[40:41], v[2:3], v[4:5]
	ds_load_b128 v[2:5], v1 offset:1184
	ds_load_b128 v[159:162], v1 offset:1200
	scratch_load_b128 v[38:41], off, off offset:496
	v_fma_f64 v[44:45], v[44:45], v[6:7], v[163:164]
	v_fma_f64 v[42:43], v[42:43], v[6:7], -v[8:9]
	scratch_load_b128 v[6:9], off, off offset:512
	s_wait_loadcnt_dscnt 0xa01
	v_mul_f64_e32 v[169:170], v[2:3], v[12:13]
	v_mul_f64_e32 v[12:13], v[4:5], v[12:13]
	v_add_f64_e32 v[163:164], 0, v[165:166]
	v_add_f64_e32 v[165:166], 0, v[167:168]
	s_wait_loadcnt_dscnt 0x900
	v_mul_f64_e32 v[167:168], v[159:160], v[16:17]
	v_mul_f64_e32 v[16:17], v[161:162], v[16:17]
	v_fma_f64 v[169:170], v[4:5], v[10:11], v[169:170]
	v_fma_f64 v[171:172], v[2:3], v[10:11], -v[12:13]
	ds_load_b128 v[2:5], v1 offset:1216
	scratch_load_b128 v[10:13], off, off offset:528
	v_add_f64_e32 v[163:164], v[163:164], v[42:43]
	v_add_f64_e32 v[165:166], v[165:166], v[44:45]
	ds_load_b128 v[42:45], v1 offset:1232
	v_fma_f64 v[161:162], v[161:162], v[14:15], v[167:168]
	v_fma_f64 v[159:160], v[159:160], v[14:15], -v[16:17]
	scratch_load_b128 v[14:17], off, off offset:544
	s_wait_loadcnt_dscnt 0xa01
	v_mul_f64_e32 v[173:174], v[2:3], v[20:21]
	v_mul_f64_e32 v[20:21], v[4:5], v[20:21]
	s_wait_loadcnt_dscnt 0x900
	v_mul_f64_e32 v[167:168], v[42:43], v[24:25]
	v_mul_f64_e32 v[24:25], v[44:45], v[24:25]
	v_add_f64_e32 v[163:164], v[163:164], v[171:172]
	v_add_f64_e32 v[165:166], v[165:166], v[169:170]
	v_fma_f64 v[169:170], v[4:5], v[18:19], v[173:174]
	v_fma_f64 v[171:172], v[2:3], v[18:19], -v[20:21]
	ds_load_b128 v[2:5], v1 offset:1248
	scratch_load_b128 v[18:21], off, off offset:560
	v_fma_f64 v[44:45], v[44:45], v[22:23], v[167:168]
	v_fma_f64 v[42:43], v[42:43], v[22:23], -v[24:25]
	scratch_load_b128 v[22:25], off, off offset:576
	v_add_f64_e32 v[163:164], v[163:164], v[159:160]
	v_add_f64_e32 v[165:166], v[165:166], v[161:162]
	ds_load_b128 v[159:162], v1 offset:1264
	s_wait_loadcnt_dscnt 0xa01
	v_mul_f64_e32 v[173:174], v[2:3], v[28:29]
	v_mul_f64_e32 v[28:29], v[4:5], v[28:29]
	s_wait_loadcnt_dscnt 0x900
	v_mul_f64_e32 v[167:168], v[159:160], v[32:33]
	v_mul_f64_e32 v[32:33], v[161:162], v[32:33]
	v_add_f64_e32 v[163:164], v[163:164], v[171:172]
	v_add_f64_e32 v[165:166], v[165:166], v[169:170]
	v_fma_f64 v[169:170], v[4:5], v[26:27], v[173:174]
	v_fma_f64 v[171:172], v[2:3], v[26:27], -v[28:29]
	ds_load_b128 v[2:5], v1 offset:1280
	scratch_load_b128 v[26:29], off, off offset:592
	v_fma_f64 v[161:162], v[161:162], v[30:31], v[167:168]
	v_fma_f64 v[159:160], v[159:160], v[30:31], -v[32:33]
	scratch_load_b128 v[30:33], off, off offset:608
	v_add_f64_e32 v[163:164], v[163:164], v[42:43]
	v_add_f64_e32 v[165:166], v[165:166], v[44:45]
	ds_load_b128 v[42:45], v1 offset:1296
	s_wait_loadcnt_dscnt 0xa01
	v_mul_f64_e32 v[173:174], v[2:3], v[36:37]
	v_mul_f64_e32 v[36:37], v[4:5], v[36:37]
	s_wait_loadcnt_dscnt 0x800
	v_mul_f64_e32 v[167:168], v[42:43], v[157:158]
	v_add_f64_e32 v[163:164], v[163:164], v[171:172]
	v_add_f64_e32 v[165:166], v[165:166], v[169:170]
	v_mul_f64_e32 v[169:170], v[44:45], v[157:158]
	v_fma_f64 v[171:172], v[4:5], v[34:35], v[173:174]
	v_fma_f64 v[173:174], v[2:3], v[34:35], -v[36:37]
	ds_load_b128 v[2:5], v1 offset:1312
	scratch_load_b128 v[34:37], off, off offset:624
	v_fma_f64 v[44:45], v[44:45], v[155:156], v[167:168]
	v_add_f64_e32 v[163:164], v[163:164], v[159:160]
	v_add_f64_e32 v[161:162], v[165:166], v[161:162]
	ds_load_b128 v[157:160], v1 offset:1328
	v_fma_f64 v[155:156], v[42:43], v[155:156], -v[169:170]
	s_wait_loadcnt_dscnt 0x801
	v_mul_f64_e32 v[165:166], v[2:3], v[40:41]
	v_mul_f64_e32 v[175:176], v[4:5], v[40:41]
	scratch_load_b128 v[40:43], off, off offset:640
	s_wait_loadcnt_dscnt 0x800
	v_mul_f64_e32 v[169:170], v[157:158], v[8:9]
	v_mul_f64_e32 v[8:9], v[159:160], v[8:9]
	v_add_f64_e32 v[163:164], v[163:164], v[173:174]
	v_add_f64_e32 v[161:162], v[161:162], v[171:172]
	v_fma_f64 v[171:172], v[4:5], v[38:39], v[165:166]
	v_fma_f64 v[38:39], v[2:3], v[38:39], -v[175:176]
	ds_load_b128 v[2:5], v1 offset:1344
	ds_load_b128 v[165:168], v1 offset:1360
	v_fma_f64 v[159:160], v[159:160], v[6:7], v[169:170]
	v_fma_f64 v[157:158], v[157:158], v[6:7], -v[8:9]
	scratch_load_b128 v[6:9], off, off offset:672
	v_add_f64_e32 v[155:156], v[163:164], v[155:156]
	v_add_f64_e32 v[44:45], v[161:162], v[44:45]
	scratch_load_b128 v[161:164], off, off offset:656
	s_wait_loadcnt_dscnt 0x901
	v_mul_f64_e32 v[173:174], v[2:3], v[12:13]
	v_mul_f64_e32 v[12:13], v[4:5], v[12:13]
	s_wait_loadcnt_dscnt 0x800
	v_mul_f64_e32 v[169:170], v[165:166], v[16:17]
	v_mul_f64_e32 v[16:17], v[167:168], v[16:17]
	v_add_f64_e32 v[38:39], v[155:156], v[38:39]
	v_add_f64_e32 v[44:45], v[44:45], v[171:172]
	v_fma_f64 v[171:172], v[4:5], v[10:11], v[173:174]
	v_fma_f64 v[173:174], v[2:3], v[10:11], -v[12:13]
	ds_load_b128 v[2:5], v1 offset:1376
	scratch_load_b128 v[10:13], off, off offset:688
	v_fma_f64 v[167:168], v[167:168], v[14:15], v[169:170]
	v_fma_f64 v[165:166], v[165:166], v[14:15], -v[16:17]
	scratch_load_b128 v[14:17], off, off offset:704
	v_add_f64_e32 v[38:39], v[38:39], v[157:158]
	v_add_f64_e32 v[44:45], v[44:45], v[159:160]
	ds_load_b128 v[155:158], v1 offset:1392
	s_wait_loadcnt_dscnt 0x901
	v_mul_f64_e32 v[159:160], v[2:3], v[20:21]
	v_mul_f64_e32 v[20:21], v[4:5], v[20:21]
	s_wait_loadcnt_dscnt 0x800
	v_mul_f64_e32 v[169:170], v[155:156], v[24:25]
	v_mul_f64_e32 v[24:25], v[157:158], v[24:25]
	v_add_f64_e32 v[38:39], v[38:39], v[173:174]
	v_add_f64_e32 v[44:45], v[44:45], v[171:172]
	v_fma_f64 v[159:160], v[4:5], v[18:19], v[159:160]
	v_fma_f64 v[171:172], v[2:3], v[18:19], -v[20:21]
	ds_load_b128 v[2:5], v1 offset:1408
	scratch_load_b128 v[18:21], off, off offset:720
	v_fma_f64 v[157:158], v[157:158], v[22:23], v[169:170]
	v_fma_f64 v[155:156], v[155:156], v[22:23], -v[24:25]
	scratch_load_b128 v[22:25], off, off offset:736
	v_add_f64_e32 v[38:39], v[38:39], v[165:166]
	v_add_f64_e32 v[44:45], v[44:45], v[167:168]
	ds_load_b128 v[165:168], v1 offset:1424
	s_wait_loadcnt_dscnt 0x901
	v_mul_f64_e32 v[173:174], v[2:3], v[28:29]
	v_mul_f64_e32 v[28:29], v[4:5], v[28:29]
	v_add_f64_e32 v[38:39], v[38:39], v[171:172]
	v_add_f64_e32 v[44:45], v[44:45], v[159:160]
	s_wait_loadcnt_dscnt 0x800
	v_mul_f64_e32 v[159:160], v[165:166], v[32:33]
	v_mul_f64_e32 v[32:33], v[167:168], v[32:33]
	v_fma_f64 v[169:170], v[4:5], v[26:27], v[173:174]
	v_fma_f64 v[171:172], v[2:3], v[26:27], -v[28:29]
	ds_load_b128 v[2:5], v1 offset:1440
	scratch_load_b128 v[26:29], off, off offset:752
	v_add_f64_e32 v[38:39], v[38:39], v[155:156]
	v_add_f64_e32 v[44:45], v[44:45], v[157:158]
	ds_load_b128 v[155:158], v1 offset:1456
	s_wait_loadcnt_dscnt 0x801
	v_mul_f64_e32 v[173:174], v[2:3], v[36:37]
	v_mul_f64_e32 v[36:37], v[4:5], v[36:37]
	v_fma_f64 v[159:160], v[167:168], v[30:31], v[159:160]
	v_fma_f64 v[165:166], v[165:166], v[30:31], -v[32:33]
	scratch_load_b128 v[30:33], off, off offset:768
	s_wait_loadcnt_dscnt 0x800
	v_mul_f64_e32 v[167:168], v[155:156], v[42:43]
	v_add_f64_e32 v[38:39], v[38:39], v[171:172]
	v_add_f64_e32 v[44:45], v[44:45], v[169:170]
	v_mul_f64_e32 v[169:170], v[157:158], v[42:43]
	v_fma_f64 v[171:172], v[4:5], v[34:35], v[173:174]
	v_fma_f64 v[173:174], v[2:3], v[34:35], -v[36:37]
	ds_load_b128 v[2:5], v1 offset:1472
	scratch_load_b128 v[34:37], off, off offset:784
	v_fma_f64 v[157:158], v[157:158], v[40:41], v[167:168]
	v_add_f64_e32 v[38:39], v[38:39], v[165:166]
	v_add_f64_e32 v[159:160], v[44:45], v[159:160]
	ds_load_b128 v[42:45], v1 offset:1488
	v_fma_f64 v[155:156], v[155:156], v[40:41], -v[169:170]
	s_wait_loadcnt_dscnt 0x701
	v_mul_f64_e32 v[165:166], v[2:3], v[163:164]
	v_mul_f64_e32 v[163:164], v[4:5], v[163:164]
	s_wait_dscnt 0x0
	v_mul_f64_e32 v[169:170], v[42:43], v[8:9]
	v_mul_f64_e32 v[8:9], v[44:45], v[8:9]
	v_add_f64_e32 v[167:168], v[38:39], v[173:174]
	v_add_f64_e32 v[159:160], v[159:160], v[171:172]
	scratch_load_b128 v[38:41], off, off offset:800
	v_fma_f64 v[165:166], v[4:5], v[161:162], v[165:166]
	v_fma_f64 v[163:164], v[2:3], v[161:162], -v[163:164]
	ds_load_b128 v[2:5], v1 offset:1504
	v_fma_f64 v[44:45], v[44:45], v[6:7], v[169:170]
	v_fma_f64 v[42:43], v[42:43], v[6:7], -v[8:9]
	scratch_load_b128 v[6:9], off, off offset:832
	v_add_f64_e32 v[167:168], v[167:168], v[155:156]
	v_add_f64_e32 v[171:172], v[159:160], v[157:158]
	scratch_load_b128 v[155:158], off, off offset:816
	ds_load_b128 v[159:162], v1 offset:1520
	s_wait_loadcnt_dscnt 0x901
	v_mul_f64_e32 v[173:174], v[2:3], v[12:13]
	v_mul_f64_e32 v[12:13], v[4:5], v[12:13]
	v_add_f64_e32 v[163:164], v[167:168], v[163:164]
	v_add_f64_e32 v[165:166], v[171:172], v[165:166]
	s_wait_loadcnt_dscnt 0x800
	v_mul_f64_e32 v[167:168], v[159:160], v[16:17]
	v_mul_f64_e32 v[16:17], v[161:162], v[16:17]
	v_fma_f64 v[169:170], v[4:5], v[10:11], v[173:174]
	v_fma_f64 v[171:172], v[2:3], v[10:11], -v[12:13]
	ds_load_b128 v[2:5], v1 offset:1536
	ds_load_b128 v[10:13], v1 offset:1552
	v_add_f64_e32 v[42:43], v[163:164], v[42:43]
	v_add_f64_e32 v[44:45], v[165:166], v[44:45]
	s_wait_loadcnt_dscnt 0x701
	v_mul_f64_e32 v[163:164], v[2:3], v[20:21]
	v_mul_f64_e32 v[20:21], v[4:5], v[20:21]
	v_fma_f64 v[161:162], v[161:162], v[14:15], v[167:168]
	v_fma_f64 v[14:15], v[159:160], v[14:15], -v[16:17]
	v_add_f64_e32 v[16:17], v[42:43], v[171:172]
	v_add_f64_e32 v[42:43], v[44:45], v[169:170]
	s_wait_loadcnt_dscnt 0x600
	v_mul_f64_e32 v[44:45], v[10:11], v[24:25]
	v_mul_f64_e32 v[24:25], v[12:13], v[24:25]
	v_fma_f64 v[159:160], v[4:5], v[18:19], v[163:164]
	v_fma_f64 v[18:19], v[2:3], v[18:19], -v[20:21]
	v_add_f64_e32 v[20:21], v[16:17], v[14:15]
	v_add_f64_e32 v[42:43], v[42:43], v[161:162]
	ds_load_b128 v[2:5], v1 offset:1568
	ds_load_b128 v[14:17], v1 offset:1584
	v_fma_f64 v[12:13], v[12:13], v[22:23], v[44:45]
	v_fma_f64 v[10:11], v[10:11], v[22:23], -v[24:25]
	s_wait_loadcnt_dscnt 0x501
	v_mul_f64_e32 v[161:162], v[2:3], v[28:29]
	v_mul_f64_e32 v[28:29], v[4:5], v[28:29]
	s_wait_loadcnt_dscnt 0x400
	v_mul_f64_e32 v[22:23], v[14:15], v[32:33]
	v_mul_f64_e32 v[24:25], v[16:17], v[32:33]
	v_add_f64_e32 v[18:19], v[20:21], v[18:19]
	v_add_f64_e32 v[20:21], v[42:43], v[159:160]
	v_fma_f64 v[32:33], v[4:5], v[26:27], v[161:162]
	v_fma_f64 v[26:27], v[2:3], v[26:27], -v[28:29]
	v_fma_f64 v[16:17], v[16:17], v[30:31], v[22:23]
	v_fma_f64 v[14:15], v[14:15], v[30:31], -v[24:25]
	v_add_f64_e32 v[18:19], v[18:19], v[10:11]
	v_add_f64_e32 v[20:21], v[20:21], v[12:13]
	ds_load_b128 v[2:5], v1 offset:1600
	ds_load_b128 v[10:13], v1 offset:1616
	s_wait_loadcnt_dscnt 0x301
	v_mul_f64_e32 v[28:29], v[2:3], v[36:37]
	v_mul_f64_e32 v[36:37], v[4:5], v[36:37]
	v_add_f64_e32 v[18:19], v[18:19], v[26:27]
	v_add_f64_e32 v[20:21], v[20:21], v[32:33]
	s_wait_loadcnt_dscnt 0x200
	v_mul_f64_e32 v[22:23], v[10:11], v[40:41]
	v_mul_f64_e32 v[24:25], v[12:13], v[40:41]
	v_fma_f64 v[26:27], v[4:5], v[34:35], v[28:29]
	v_fma_f64 v[28:29], v[2:3], v[34:35], -v[36:37]
	v_add_f64_e32 v[18:19], v[18:19], v[14:15]
	v_add_f64_e32 v[20:21], v[20:21], v[16:17]
	ds_load_b128 v[2:5], v1 offset:1632
	ds_load_b128 v[14:17], v1 offset:1648
	v_fma_f64 v[12:13], v[12:13], v[38:39], v[22:23]
	v_fma_f64 v[10:11], v[10:11], v[38:39], -v[24:25]
	s_wait_loadcnt_dscnt 0x1
	v_mul_f64_e32 v[30:31], v[2:3], v[157:158]
	v_mul_f64_e32 v[32:33], v[4:5], v[157:158]
	s_wait_dscnt 0x0
	v_mul_f64_e32 v[22:23], v[14:15], v[8:9]
	v_mul_f64_e32 v[8:9], v[16:17], v[8:9]
	v_add_f64_e32 v[18:19], v[18:19], v[28:29]
	v_add_f64_e32 v[20:21], v[20:21], v[26:27]
	v_fma_f64 v[4:5], v[4:5], v[155:156], v[30:31]
	v_fma_f64 v[1:2], v[2:3], v[155:156], -v[32:33]
	v_fma_f64 v[16:17], v[16:17], v[6:7], v[22:23]
	v_fma_f64 v[6:7], v[14:15], v[6:7], -v[8:9]
	v_add_f64_e32 v[10:11], v[18:19], v[10:11]
	v_add_f64_e32 v[12:13], v[20:21], v[12:13]
	s_delay_alu instid0(VALU_DEP_2) | instskip(NEXT) | instid1(VALU_DEP_2)
	v_add_f64_e32 v[1:2], v[10:11], v[1:2]
	v_add_f64_e32 v[3:4], v[12:13], v[4:5]
	s_delay_alu instid0(VALU_DEP_2) | instskip(NEXT) | instid1(VALU_DEP_2)
	;; [unrolled: 3-line block ×3, first 2 shown]
	v_add_f64_e64 v[1:2], v[151:152], -v[1:2]
	v_add_f64_e64 v[3:4], v[153:154], -v[3:4]
	scratch_store_b128 off, v[1:4], off offset:320
	v_cmpx_lt_u32_e32 18, v0
	s_cbranch_execz .LBB115_289
; %bb.288:
	scratch_load_b128 v[1:4], off, s47
	v_mov_b32_e32 v5, 0
	s_delay_alu instid0(VALU_DEP_1)
	v_dual_mov_b32 v6, v5 :: v_dual_mov_b32 v7, v5
	v_mov_b32_e32 v8, v5
	scratch_store_b128 off, v[5:8], off offset:304
	s_wait_loadcnt 0x0
	ds_store_b128 v150, v[1:4]
.LBB115_289:
	s_wait_alu 0xfffe
	s_or_b32 exec_lo, exec_lo, s0
	s_wait_storecnt_dscnt 0x0
	s_barrier_signal -1
	s_barrier_wait -1
	global_inv scope:SCOPE_SE
	s_clause 0x7
	scratch_load_b128 v[2:5], off, off offset:320
	scratch_load_b128 v[6:9], off, off offset:336
	scratch_load_b128 v[10:13], off, off offset:352
	scratch_load_b128 v[14:17], off, off offset:368
	scratch_load_b128 v[18:21], off, off offset:384
	scratch_load_b128 v[22:25], off, off offset:400
	scratch_load_b128 v[26:29], off, off offset:416
	scratch_load_b128 v[30:33], off, off offset:432
	v_mov_b32_e32 v1, 0
	s_mov_b32 s0, exec_lo
	ds_load_b128 v[34:37], v1 offset:1136
	s_clause 0x1
	scratch_load_b128 v[38:41], off, off offset:448
	scratch_load_b128 v[42:45], off, off offset:304
	ds_load_b128 v[151:154], v1 offset:1152
	scratch_load_b128 v[155:158], off, off offset:464
	s_wait_loadcnt_dscnt 0xa01
	v_mul_f64_e32 v[159:160], v[36:37], v[4:5]
	v_mul_f64_e32 v[4:5], v[34:35], v[4:5]
	s_delay_alu instid0(VALU_DEP_2) | instskip(NEXT) | instid1(VALU_DEP_2)
	v_fma_f64 v[165:166], v[34:35], v[2:3], -v[159:160]
	v_fma_f64 v[167:168], v[36:37], v[2:3], v[4:5]
	ds_load_b128 v[2:5], v1 offset:1168
	s_wait_loadcnt_dscnt 0x901
	v_mul_f64_e32 v[163:164], v[151:152], v[8:9]
	v_mul_f64_e32 v[8:9], v[153:154], v[8:9]
	scratch_load_b128 v[34:37], off, off offset:480
	ds_load_b128 v[159:162], v1 offset:1184
	s_wait_loadcnt_dscnt 0x901
	v_mul_f64_e32 v[169:170], v[2:3], v[12:13]
	v_mul_f64_e32 v[12:13], v[4:5], v[12:13]
	v_fma_f64 v[153:154], v[153:154], v[6:7], v[163:164]
	v_fma_f64 v[151:152], v[151:152], v[6:7], -v[8:9]
	v_add_f64_e32 v[163:164], 0, v[165:166]
	v_add_f64_e32 v[165:166], 0, v[167:168]
	scratch_load_b128 v[6:9], off, off offset:496
	v_fma_f64 v[169:170], v[4:5], v[10:11], v[169:170]
	v_fma_f64 v[171:172], v[2:3], v[10:11], -v[12:13]
	ds_load_b128 v[2:5], v1 offset:1200
	s_wait_loadcnt_dscnt 0x901
	v_mul_f64_e32 v[167:168], v[159:160], v[16:17]
	v_mul_f64_e32 v[16:17], v[161:162], v[16:17]
	scratch_load_b128 v[10:13], off, off offset:512
	v_add_f64_e32 v[163:164], v[163:164], v[151:152]
	v_add_f64_e32 v[165:166], v[165:166], v[153:154]
	s_wait_loadcnt_dscnt 0x900
	v_mul_f64_e32 v[173:174], v[2:3], v[20:21]
	v_mul_f64_e32 v[20:21], v[4:5], v[20:21]
	ds_load_b128 v[151:154], v1 offset:1216
	v_fma_f64 v[161:162], v[161:162], v[14:15], v[167:168]
	v_fma_f64 v[159:160], v[159:160], v[14:15], -v[16:17]
	scratch_load_b128 v[14:17], off, off offset:528
	v_add_f64_e32 v[163:164], v[163:164], v[171:172]
	v_add_f64_e32 v[165:166], v[165:166], v[169:170]
	v_fma_f64 v[169:170], v[4:5], v[18:19], v[173:174]
	v_fma_f64 v[171:172], v[2:3], v[18:19], -v[20:21]
	ds_load_b128 v[2:5], v1 offset:1232
	s_wait_loadcnt_dscnt 0x901
	v_mul_f64_e32 v[167:168], v[151:152], v[24:25]
	v_mul_f64_e32 v[24:25], v[153:154], v[24:25]
	scratch_load_b128 v[18:21], off, off offset:544
	s_wait_loadcnt_dscnt 0x900
	v_mul_f64_e32 v[173:174], v[2:3], v[28:29]
	v_mul_f64_e32 v[28:29], v[4:5], v[28:29]
	v_add_f64_e32 v[163:164], v[163:164], v[159:160]
	v_add_f64_e32 v[165:166], v[165:166], v[161:162]
	ds_load_b128 v[159:162], v1 offset:1248
	v_fma_f64 v[153:154], v[153:154], v[22:23], v[167:168]
	v_fma_f64 v[151:152], v[151:152], v[22:23], -v[24:25]
	scratch_load_b128 v[22:25], off, off offset:560
	v_add_f64_e32 v[163:164], v[163:164], v[171:172]
	v_add_f64_e32 v[165:166], v[165:166], v[169:170]
	v_fma_f64 v[169:170], v[4:5], v[26:27], v[173:174]
	v_fma_f64 v[171:172], v[2:3], v[26:27], -v[28:29]
	ds_load_b128 v[2:5], v1 offset:1264
	s_wait_loadcnt_dscnt 0x901
	v_mul_f64_e32 v[167:168], v[159:160], v[32:33]
	v_mul_f64_e32 v[32:33], v[161:162], v[32:33]
	scratch_load_b128 v[26:29], off, off offset:576
	s_wait_loadcnt_dscnt 0x900
	v_mul_f64_e32 v[173:174], v[2:3], v[40:41]
	v_mul_f64_e32 v[40:41], v[4:5], v[40:41]
	v_add_f64_e32 v[163:164], v[163:164], v[151:152]
	v_add_f64_e32 v[165:166], v[165:166], v[153:154]
	ds_load_b128 v[151:154], v1 offset:1280
	v_fma_f64 v[161:162], v[161:162], v[30:31], v[167:168]
	v_fma_f64 v[159:160], v[159:160], v[30:31], -v[32:33]
	scratch_load_b128 v[30:33], off, off offset:592
	v_add_f64_e32 v[163:164], v[163:164], v[171:172]
	v_add_f64_e32 v[165:166], v[165:166], v[169:170]
	v_fma_f64 v[171:172], v[4:5], v[38:39], v[173:174]
	v_fma_f64 v[173:174], v[2:3], v[38:39], -v[40:41]
	ds_load_b128 v[2:5], v1 offset:1296
	s_wait_loadcnt_dscnt 0x801
	v_mul_f64_e32 v[167:168], v[151:152], v[157:158]
	v_mul_f64_e32 v[169:170], v[153:154], v[157:158]
	scratch_load_b128 v[38:41], off, off offset:608
	v_add_f64_e32 v[163:164], v[163:164], v[159:160]
	v_add_f64_e32 v[161:162], v[165:166], v[161:162]
	ds_load_b128 v[157:160], v1 offset:1312
	v_fma_f64 v[167:168], v[153:154], v[155:156], v[167:168]
	v_fma_f64 v[155:156], v[151:152], v[155:156], -v[169:170]
	scratch_load_b128 v[151:154], off, off offset:624
	s_wait_loadcnt_dscnt 0x901
	v_mul_f64_e32 v[165:166], v[2:3], v[36:37]
	v_mul_f64_e32 v[36:37], v[4:5], v[36:37]
	v_add_f64_e32 v[163:164], v[163:164], v[173:174]
	v_add_f64_e32 v[161:162], v[161:162], v[171:172]
	s_delay_alu instid0(VALU_DEP_4) | instskip(NEXT) | instid1(VALU_DEP_4)
	v_fma_f64 v[165:166], v[4:5], v[34:35], v[165:166]
	v_fma_f64 v[171:172], v[2:3], v[34:35], -v[36:37]
	ds_load_b128 v[2:5], v1 offset:1328
	s_wait_loadcnt_dscnt 0x801
	v_mul_f64_e32 v[169:170], v[157:158], v[8:9]
	v_mul_f64_e32 v[8:9], v[159:160], v[8:9]
	scratch_load_b128 v[34:37], off, off offset:640
	s_wait_loadcnt_dscnt 0x800
	v_mul_f64_e32 v[173:174], v[2:3], v[12:13]
	v_add_f64_e32 v[155:156], v[163:164], v[155:156]
	v_add_f64_e32 v[167:168], v[161:162], v[167:168]
	v_mul_f64_e32 v[12:13], v[4:5], v[12:13]
	ds_load_b128 v[161:164], v1 offset:1344
	v_fma_f64 v[159:160], v[159:160], v[6:7], v[169:170]
	v_fma_f64 v[157:158], v[157:158], v[6:7], -v[8:9]
	scratch_load_b128 v[6:9], off, off offset:656
	v_fma_f64 v[169:170], v[4:5], v[10:11], v[173:174]
	v_add_f64_e32 v[155:156], v[155:156], v[171:172]
	v_add_f64_e32 v[165:166], v[167:168], v[165:166]
	v_fma_f64 v[171:172], v[2:3], v[10:11], -v[12:13]
	ds_load_b128 v[2:5], v1 offset:1360
	s_wait_loadcnt_dscnt 0x801
	v_mul_f64_e32 v[167:168], v[161:162], v[16:17]
	v_mul_f64_e32 v[16:17], v[163:164], v[16:17]
	scratch_load_b128 v[10:13], off, off offset:672
	v_add_f64_e32 v[173:174], v[155:156], v[157:158]
	v_add_f64_e32 v[159:160], v[165:166], v[159:160]
	s_wait_loadcnt_dscnt 0x800
	v_mul_f64_e32 v[165:166], v[2:3], v[20:21]
	v_mul_f64_e32 v[20:21], v[4:5], v[20:21]
	v_fma_f64 v[163:164], v[163:164], v[14:15], v[167:168]
	v_fma_f64 v[161:162], v[161:162], v[14:15], -v[16:17]
	ds_load_b128 v[155:158], v1 offset:1376
	scratch_load_b128 v[14:17], off, off offset:688
	v_add_f64_e32 v[167:168], v[173:174], v[171:172]
	v_add_f64_e32 v[159:160], v[159:160], v[169:170]
	v_fma_f64 v[165:166], v[4:5], v[18:19], v[165:166]
	v_fma_f64 v[171:172], v[2:3], v[18:19], -v[20:21]
	ds_load_b128 v[2:5], v1 offset:1392
	s_wait_loadcnt_dscnt 0x801
	v_mul_f64_e32 v[169:170], v[155:156], v[24:25]
	v_mul_f64_e32 v[24:25], v[157:158], v[24:25]
	scratch_load_b128 v[18:21], off, off offset:704
	s_wait_loadcnt_dscnt 0x800
	v_mul_f64_e32 v[173:174], v[2:3], v[28:29]
	v_mul_f64_e32 v[28:29], v[4:5], v[28:29]
	v_add_f64_e32 v[167:168], v[167:168], v[161:162]
	v_add_f64_e32 v[163:164], v[159:160], v[163:164]
	ds_load_b128 v[159:162], v1 offset:1408
	v_fma_f64 v[157:158], v[157:158], v[22:23], v[169:170]
	v_fma_f64 v[155:156], v[155:156], v[22:23], -v[24:25]
	scratch_load_b128 v[22:25], off, off offset:720
	v_fma_f64 v[169:170], v[4:5], v[26:27], v[173:174]
	v_add_f64_e32 v[167:168], v[167:168], v[171:172]
	v_add_f64_e32 v[163:164], v[163:164], v[165:166]
	v_fma_f64 v[171:172], v[2:3], v[26:27], -v[28:29]
	ds_load_b128 v[2:5], v1 offset:1424
	s_wait_loadcnt_dscnt 0x801
	v_mul_f64_e32 v[165:166], v[159:160], v[32:33]
	v_mul_f64_e32 v[32:33], v[161:162], v[32:33]
	scratch_load_b128 v[26:29], off, off offset:736
	s_wait_loadcnt_dscnt 0x800
	v_mul_f64_e32 v[173:174], v[2:3], v[40:41]
	v_mul_f64_e32 v[40:41], v[4:5], v[40:41]
	v_add_f64_e32 v[167:168], v[167:168], v[155:156]
	v_add_f64_e32 v[163:164], v[163:164], v[157:158]
	ds_load_b128 v[155:158], v1 offset:1440
	v_fma_f64 v[161:162], v[161:162], v[30:31], v[165:166]
	v_fma_f64 v[159:160], v[159:160], v[30:31], -v[32:33]
	scratch_load_b128 v[30:33], off, off offset:752
	v_add_f64_e32 v[165:166], v[167:168], v[171:172]
	v_add_f64_e32 v[163:164], v[163:164], v[169:170]
	v_fma_f64 v[169:170], v[4:5], v[38:39], v[173:174]
	v_fma_f64 v[171:172], v[2:3], v[38:39], -v[40:41]
	ds_load_b128 v[2:5], v1 offset:1456
	s_wait_loadcnt_dscnt 0x801
	v_mul_f64_e32 v[167:168], v[155:156], v[153:154]
	v_mul_f64_e32 v[153:154], v[157:158], v[153:154]
	scratch_load_b128 v[38:41], off, off offset:768
	s_wait_loadcnt_dscnt 0x800
	v_mul_f64_e32 v[173:174], v[2:3], v[36:37]
	v_mul_f64_e32 v[36:37], v[4:5], v[36:37]
	v_add_f64_e32 v[165:166], v[165:166], v[159:160]
	v_add_f64_e32 v[163:164], v[163:164], v[161:162]
	ds_load_b128 v[159:162], v1 offset:1472
	v_fma_f64 v[157:158], v[157:158], v[151:152], v[167:168]
	v_fma_f64 v[155:156], v[155:156], v[151:152], -v[153:154]
	scratch_load_b128 v[151:154], off, off offset:784
	v_add_f64_e32 v[165:166], v[165:166], v[171:172]
	v_add_f64_e32 v[163:164], v[163:164], v[169:170]
	v_fma_f64 v[169:170], v[4:5], v[34:35], v[173:174]
	;; [unrolled: 18-line block ×3, first 2 shown]
	v_fma_f64 v[171:172], v[2:3], v[10:11], -v[12:13]
	ds_load_b128 v[2:5], v1 offset:1520
	s_wait_loadcnt_dscnt 0x801
	v_mul_f64_e32 v[167:168], v[155:156], v[16:17]
	v_mul_f64_e32 v[16:17], v[157:158], v[16:17]
	scratch_load_b128 v[10:13], off, off offset:832
	s_wait_loadcnt_dscnt 0x800
	v_mul_f64_e32 v[173:174], v[2:3], v[20:21]
	v_mul_f64_e32 v[20:21], v[4:5], v[20:21]
	v_add_f64_e32 v[165:166], v[165:166], v[159:160]
	v_add_f64_e32 v[163:164], v[163:164], v[161:162]
	ds_load_b128 v[159:162], v1 offset:1536
	v_fma_f64 v[157:158], v[157:158], v[14:15], v[167:168]
	v_fma_f64 v[14:15], v[155:156], v[14:15], -v[16:17]
	v_add_f64_e32 v[16:17], v[165:166], v[171:172]
	v_add_f64_e32 v[155:156], v[163:164], v[169:170]
	s_wait_loadcnt_dscnt 0x700
	v_mul_f64_e32 v[163:164], v[159:160], v[24:25]
	v_mul_f64_e32 v[24:25], v[161:162], v[24:25]
	v_fma_f64 v[165:166], v[4:5], v[18:19], v[173:174]
	v_fma_f64 v[18:19], v[2:3], v[18:19], -v[20:21]
	v_add_f64_e32 v[20:21], v[16:17], v[14:15]
	v_add_f64_e32 v[155:156], v[155:156], v[157:158]
	ds_load_b128 v[2:5], v1 offset:1552
	ds_load_b128 v[14:17], v1 offset:1568
	v_fma_f64 v[161:162], v[161:162], v[22:23], v[163:164]
	v_fma_f64 v[22:23], v[159:160], v[22:23], -v[24:25]
	s_wait_loadcnt_dscnt 0x601
	v_mul_f64_e32 v[157:158], v[2:3], v[28:29]
	v_mul_f64_e32 v[28:29], v[4:5], v[28:29]
	s_wait_loadcnt_dscnt 0x500
	v_mul_f64_e32 v[24:25], v[14:15], v[32:33]
	v_mul_f64_e32 v[32:33], v[16:17], v[32:33]
	v_add_f64_e32 v[18:19], v[20:21], v[18:19]
	v_add_f64_e32 v[20:21], v[155:156], v[165:166]
	v_fma_f64 v[155:156], v[4:5], v[26:27], v[157:158]
	v_fma_f64 v[26:27], v[2:3], v[26:27], -v[28:29]
	v_fma_f64 v[16:17], v[16:17], v[30:31], v[24:25]
	v_fma_f64 v[14:15], v[14:15], v[30:31], -v[32:33]
	v_add_f64_e32 v[22:23], v[18:19], v[22:23]
	v_add_f64_e32 v[28:29], v[20:21], v[161:162]
	ds_load_b128 v[2:5], v1 offset:1584
	ds_load_b128 v[18:21], v1 offset:1600
	s_wait_loadcnt_dscnt 0x401
	v_mul_f64_e32 v[157:158], v[2:3], v[40:41]
	v_mul_f64_e32 v[40:41], v[4:5], v[40:41]
	v_add_f64_e32 v[22:23], v[22:23], v[26:27]
	v_add_f64_e32 v[24:25], v[28:29], v[155:156]
	s_wait_loadcnt_dscnt 0x300
	v_mul_f64_e32 v[26:27], v[18:19], v[153:154]
	v_mul_f64_e32 v[28:29], v[20:21], v[153:154]
	v_fma_f64 v[30:31], v[4:5], v[38:39], v[157:158]
	v_fma_f64 v[32:33], v[2:3], v[38:39], -v[40:41]
	v_add_f64_e32 v[22:23], v[22:23], v[14:15]
	v_add_f64_e32 v[24:25], v[24:25], v[16:17]
	ds_load_b128 v[2:5], v1 offset:1616
	ds_load_b128 v[14:17], v1 offset:1632
	v_fma_f64 v[20:21], v[20:21], v[151:152], v[26:27]
	v_fma_f64 v[18:19], v[18:19], v[151:152], -v[28:29]
	s_wait_loadcnt_dscnt 0x201
	v_mul_f64_e32 v[38:39], v[2:3], v[36:37]
	v_mul_f64_e32 v[36:37], v[4:5], v[36:37]
	s_wait_loadcnt_dscnt 0x100
	v_mul_f64_e32 v[26:27], v[14:15], v[8:9]
	v_mul_f64_e32 v[8:9], v[16:17], v[8:9]
	v_add_f64_e32 v[22:23], v[22:23], v[32:33]
	v_add_f64_e32 v[24:25], v[24:25], v[30:31]
	v_fma_f64 v[28:29], v[4:5], v[34:35], v[38:39]
	v_fma_f64 v[30:31], v[2:3], v[34:35], -v[36:37]
	ds_load_b128 v[2:5], v1 offset:1648
	v_fma_f64 v[16:17], v[16:17], v[6:7], v[26:27]
	v_fma_f64 v[6:7], v[14:15], v[6:7], -v[8:9]
	v_add_f64_e32 v[18:19], v[22:23], v[18:19]
	v_add_f64_e32 v[20:21], v[24:25], v[20:21]
	s_wait_loadcnt_dscnt 0x0
	v_mul_f64_e32 v[22:23], v[2:3], v[12:13]
	v_mul_f64_e32 v[12:13], v[4:5], v[12:13]
	s_delay_alu instid0(VALU_DEP_4) | instskip(NEXT) | instid1(VALU_DEP_4)
	v_add_f64_e32 v[8:9], v[18:19], v[30:31]
	v_add_f64_e32 v[14:15], v[20:21], v[28:29]
	s_delay_alu instid0(VALU_DEP_4) | instskip(NEXT) | instid1(VALU_DEP_4)
	v_fma_f64 v[4:5], v[4:5], v[10:11], v[22:23]
	v_fma_f64 v[2:3], v[2:3], v[10:11], -v[12:13]
	s_delay_alu instid0(VALU_DEP_4) | instskip(NEXT) | instid1(VALU_DEP_4)
	v_add_f64_e32 v[6:7], v[8:9], v[6:7]
	v_add_f64_e32 v[8:9], v[14:15], v[16:17]
	s_delay_alu instid0(VALU_DEP_2) | instskip(NEXT) | instid1(VALU_DEP_2)
	v_add_f64_e32 v[2:3], v[6:7], v[2:3]
	v_add_f64_e32 v[4:5], v[8:9], v[4:5]
	s_delay_alu instid0(VALU_DEP_2) | instskip(NEXT) | instid1(VALU_DEP_2)
	v_add_f64_e64 v[2:3], v[42:43], -v[2:3]
	v_add_f64_e64 v[4:5], v[44:45], -v[4:5]
	scratch_store_b128 off, v[2:5], off offset:304
	v_cmpx_lt_u32_e32 17, v0
	s_cbranch_execz .LBB115_291
; %bb.290:
	scratch_load_b128 v[5:8], off, s48
	v_dual_mov_b32 v2, v1 :: v_dual_mov_b32 v3, v1
	v_mov_b32_e32 v4, v1
	scratch_store_b128 off, v[1:4], off offset:288
	s_wait_loadcnt 0x0
	ds_store_b128 v150, v[5:8]
.LBB115_291:
	s_wait_alu 0xfffe
	s_or_b32 exec_lo, exec_lo, s0
	s_wait_storecnt_dscnt 0x0
	s_barrier_signal -1
	s_barrier_wait -1
	global_inv scope:SCOPE_SE
	s_clause 0x8
	scratch_load_b128 v[2:5], off, off offset:304
	scratch_load_b128 v[6:9], off, off offset:320
	;; [unrolled: 1-line block ×9, first 2 shown]
	ds_load_b128 v[38:41], v1 offset:1120
	ds_load_b128 v[42:45], v1 offset:1136
	s_clause 0x1
	scratch_load_b128 v[151:154], off, off offset:288
	scratch_load_b128 v[155:158], off, off offset:448
	s_mov_b32 s0, exec_lo
	s_wait_loadcnt_dscnt 0xa01
	v_mul_f64_e32 v[159:160], v[40:41], v[4:5]
	v_mul_f64_e32 v[4:5], v[38:39], v[4:5]
	s_wait_loadcnt_dscnt 0x900
	v_mul_f64_e32 v[163:164], v[42:43], v[8:9]
	v_mul_f64_e32 v[8:9], v[44:45], v[8:9]
	s_delay_alu instid0(VALU_DEP_4) | instskip(NEXT) | instid1(VALU_DEP_4)
	v_fma_f64 v[165:166], v[38:39], v[2:3], -v[159:160]
	v_fma_f64 v[167:168], v[40:41], v[2:3], v[4:5]
	ds_load_b128 v[2:5], v1 offset:1152
	ds_load_b128 v[159:162], v1 offset:1168
	scratch_load_b128 v[38:41], off, off offset:464
	v_fma_f64 v[44:45], v[44:45], v[6:7], v[163:164]
	v_fma_f64 v[42:43], v[42:43], v[6:7], -v[8:9]
	scratch_load_b128 v[6:9], off, off offset:480
	s_wait_loadcnt_dscnt 0xa01
	v_mul_f64_e32 v[169:170], v[2:3], v[12:13]
	v_mul_f64_e32 v[12:13], v[4:5], v[12:13]
	v_add_f64_e32 v[163:164], 0, v[165:166]
	v_add_f64_e32 v[165:166], 0, v[167:168]
	s_wait_loadcnt_dscnt 0x900
	v_mul_f64_e32 v[167:168], v[159:160], v[16:17]
	v_mul_f64_e32 v[16:17], v[161:162], v[16:17]
	v_fma_f64 v[169:170], v[4:5], v[10:11], v[169:170]
	v_fma_f64 v[171:172], v[2:3], v[10:11], -v[12:13]
	ds_load_b128 v[2:5], v1 offset:1184
	scratch_load_b128 v[10:13], off, off offset:496
	v_add_f64_e32 v[163:164], v[163:164], v[42:43]
	v_add_f64_e32 v[165:166], v[165:166], v[44:45]
	ds_load_b128 v[42:45], v1 offset:1200
	v_fma_f64 v[161:162], v[161:162], v[14:15], v[167:168]
	v_fma_f64 v[159:160], v[159:160], v[14:15], -v[16:17]
	scratch_load_b128 v[14:17], off, off offset:512
	s_wait_loadcnt_dscnt 0xa01
	v_mul_f64_e32 v[173:174], v[2:3], v[20:21]
	v_mul_f64_e32 v[20:21], v[4:5], v[20:21]
	s_wait_loadcnt_dscnt 0x900
	v_mul_f64_e32 v[167:168], v[42:43], v[24:25]
	v_mul_f64_e32 v[24:25], v[44:45], v[24:25]
	v_add_f64_e32 v[163:164], v[163:164], v[171:172]
	v_add_f64_e32 v[165:166], v[165:166], v[169:170]
	v_fma_f64 v[169:170], v[4:5], v[18:19], v[173:174]
	v_fma_f64 v[171:172], v[2:3], v[18:19], -v[20:21]
	ds_load_b128 v[2:5], v1 offset:1216
	scratch_load_b128 v[18:21], off, off offset:528
	v_fma_f64 v[44:45], v[44:45], v[22:23], v[167:168]
	v_fma_f64 v[42:43], v[42:43], v[22:23], -v[24:25]
	scratch_load_b128 v[22:25], off, off offset:544
	v_add_f64_e32 v[163:164], v[163:164], v[159:160]
	v_add_f64_e32 v[165:166], v[165:166], v[161:162]
	ds_load_b128 v[159:162], v1 offset:1232
	s_wait_loadcnt_dscnt 0xa01
	v_mul_f64_e32 v[173:174], v[2:3], v[28:29]
	v_mul_f64_e32 v[28:29], v[4:5], v[28:29]
	s_wait_loadcnt_dscnt 0x900
	v_mul_f64_e32 v[167:168], v[159:160], v[32:33]
	v_mul_f64_e32 v[32:33], v[161:162], v[32:33]
	v_add_f64_e32 v[163:164], v[163:164], v[171:172]
	v_add_f64_e32 v[165:166], v[165:166], v[169:170]
	v_fma_f64 v[169:170], v[4:5], v[26:27], v[173:174]
	v_fma_f64 v[171:172], v[2:3], v[26:27], -v[28:29]
	ds_load_b128 v[2:5], v1 offset:1248
	scratch_load_b128 v[26:29], off, off offset:560
	v_fma_f64 v[161:162], v[161:162], v[30:31], v[167:168]
	v_fma_f64 v[159:160], v[159:160], v[30:31], -v[32:33]
	scratch_load_b128 v[30:33], off, off offset:576
	v_add_f64_e32 v[163:164], v[163:164], v[42:43]
	v_add_f64_e32 v[165:166], v[165:166], v[44:45]
	ds_load_b128 v[42:45], v1 offset:1264
	s_wait_loadcnt_dscnt 0xa01
	v_mul_f64_e32 v[173:174], v[2:3], v[36:37]
	v_mul_f64_e32 v[36:37], v[4:5], v[36:37]
	s_wait_loadcnt_dscnt 0x800
	v_mul_f64_e32 v[167:168], v[42:43], v[157:158]
	v_add_f64_e32 v[163:164], v[163:164], v[171:172]
	v_add_f64_e32 v[165:166], v[165:166], v[169:170]
	v_mul_f64_e32 v[169:170], v[44:45], v[157:158]
	v_fma_f64 v[171:172], v[4:5], v[34:35], v[173:174]
	v_fma_f64 v[173:174], v[2:3], v[34:35], -v[36:37]
	ds_load_b128 v[2:5], v1 offset:1280
	scratch_load_b128 v[34:37], off, off offset:592
	v_fma_f64 v[44:45], v[44:45], v[155:156], v[167:168]
	v_add_f64_e32 v[163:164], v[163:164], v[159:160]
	v_add_f64_e32 v[161:162], v[165:166], v[161:162]
	ds_load_b128 v[157:160], v1 offset:1296
	v_fma_f64 v[155:156], v[42:43], v[155:156], -v[169:170]
	s_wait_loadcnt_dscnt 0x801
	v_mul_f64_e32 v[165:166], v[2:3], v[40:41]
	v_mul_f64_e32 v[175:176], v[4:5], v[40:41]
	scratch_load_b128 v[40:43], off, off offset:608
	s_wait_loadcnt_dscnt 0x800
	v_mul_f64_e32 v[169:170], v[157:158], v[8:9]
	v_mul_f64_e32 v[8:9], v[159:160], v[8:9]
	v_add_f64_e32 v[163:164], v[163:164], v[173:174]
	v_add_f64_e32 v[161:162], v[161:162], v[171:172]
	v_fma_f64 v[171:172], v[4:5], v[38:39], v[165:166]
	v_fma_f64 v[38:39], v[2:3], v[38:39], -v[175:176]
	ds_load_b128 v[2:5], v1 offset:1312
	ds_load_b128 v[165:168], v1 offset:1328
	v_fma_f64 v[159:160], v[159:160], v[6:7], v[169:170]
	v_fma_f64 v[157:158], v[157:158], v[6:7], -v[8:9]
	scratch_load_b128 v[6:9], off, off offset:640
	v_add_f64_e32 v[155:156], v[163:164], v[155:156]
	v_add_f64_e32 v[44:45], v[161:162], v[44:45]
	scratch_load_b128 v[161:164], off, off offset:624
	s_wait_loadcnt_dscnt 0x901
	v_mul_f64_e32 v[173:174], v[2:3], v[12:13]
	v_mul_f64_e32 v[12:13], v[4:5], v[12:13]
	s_wait_loadcnt_dscnt 0x800
	v_mul_f64_e32 v[169:170], v[165:166], v[16:17]
	v_mul_f64_e32 v[16:17], v[167:168], v[16:17]
	v_add_f64_e32 v[38:39], v[155:156], v[38:39]
	v_add_f64_e32 v[44:45], v[44:45], v[171:172]
	v_fma_f64 v[171:172], v[4:5], v[10:11], v[173:174]
	v_fma_f64 v[173:174], v[2:3], v[10:11], -v[12:13]
	ds_load_b128 v[2:5], v1 offset:1344
	scratch_load_b128 v[10:13], off, off offset:656
	v_fma_f64 v[167:168], v[167:168], v[14:15], v[169:170]
	v_fma_f64 v[165:166], v[165:166], v[14:15], -v[16:17]
	scratch_load_b128 v[14:17], off, off offset:672
	v_add_f64_e32 v[38:39], v[38:39], v[157:158]
	v_add_f64_e32 v[44:45], v[44:45], v[159:160]
	ds_load_b128 v[155:158], v1 offset:1360
	s_wait_loadcnt_dscnt 0x901
	v_mul_f64_e32 v[159:160], v[2:3], v[20:21]
	v_mul_f64_e32 v[20:21], v[4:5], v[20:21]
	s_wait_loadcnt_dscnt 0x800
	v_mul_f64_e32 v[169:170], v[155:156], v[24:25]
	v_mul_f64_e32 v[24:25], v[157:158], v[24:25]
	v_add_f64_e32 v[38:39], v[38:39], v[173:174]
	v_add_f64_e32 v[44:45], v[44:45], v[171:172]
	v_fma_f64 v[159:160], v[4:5], v[18:19], v[159:160]
	v_fma_f64 v[171:172], v[2:3], v[18:19], -v[20:21]
	ds_load_b128 v[2:5], v1 offset:1376
	scratch_load_b128 v[18:21], off, off offset:688
	v_fma_f64 v[157:158], v[157:158], v[22:23], v[169:170]
	v_fma_f64 v[155:156], v[155:156], v[22:23], -v[24:25]
	scratch_load_b128 v[22:25], off, off offset:704
	v_add_f64_e32 v[38:39], v[38:39], v[165:166]
	v_add_f64_e32 v[44:45], v[44:45], v[167:168]
	ds_load_b128 v[165:168], v1 offset:1392
	s_wait_loadcnt_dscnt 0x901
	v_mul_f64_e32 v[173:174], v[2:3], v[28:29]
	v_mul_f64_e32 v[28:29], v[4:5], v[28:29]
	v_add_f64_e32 v[38:39], v[38:39], v[171:172]
	v_add_f64_e32 v[44:45], v[44:45], v[159:160]
	s_wait_loadcnt_dscnt 0x800
	v_mul_f64_e32 v[159:160], v[165:166], v[32:33]
	v_mul_f64_e32 v[32:33], v[167:168], v[32:33]
	v_fma_f64 v[169:170], v[4:5], v[26:27], v[173:174]
	v_fma_f64 v[171:172], v[2:3], v[26:27], -v[28:29]
	ds_load_b128 v[2:5], v1 offset:1408
	scratch_load_b128 v[26:29], off, off offset:720
	v_add_f64_e32 v[38:39], v[38:39], v[155:156]
	v_add_f64_e32 v[44:45], v[44:45], v[157:158]
	ds_load_b128 v[155:158], v1 offset:1424
	s_wait_loadcnt_dscnt 0x801
	v_mul_f64_e32 v[173:174], v[2:3], v[36:37]
	v_mul_f64_e32 v[36:37], v[4:5], v[36:37]
	v_fma_f64 v[159:160], v[167:168], v[30:31], v[159:160]
	v_fma_f64 v[165:166], v[165:166], v[30:31], -v[32:33]
	scratch_load_b128 v[30:33], off, off offset:736
	s_wait_loadcnt_dscnt 0x800
	v_mul_f64_e32 v[167:168], v[155:156], v[42:43]
	v_add_f64_e32 v[38:39], v[38:39], v[171:172]
	v_add_f64_e32 v[44:45], v[44:45], v[169:170]
	v_mul_f64_e32 v[169:170], v[157:158], v[42:43]
	v_fma_f64 v[171:172], v[4:5], v[34:35], v[173:174]
	v_fma_f64 v[173:174], v[2:3], v[34:35], -v[36:37]
	ds_load_b128 v[2:5], v1 offset:1440
	scratch_load_b128 v[34:37], off, off offset:752
	v_fma_f64 v[157:158], v[157:158], v[40:41], v[167:168]
	v_add_f64_e32 v[38:39], v[38:39], v[165:166]
	v_add_f64_e32 v[159:160], v[44:45], v[159:160]
	ds_load_b128 v[42:45], v1 offset:1456
	v_fma_f64 v[155:156], v[155:156], v[40:41], -v[169:170]
	s_wait_loadcnt_dscnt 0x701
	v_mul_f64_e32 v[165:166], v[2:3], v[163:164]
	v_mul_f64_e32 v[163:164], v[4:5], v[163:164]
	s_wait_dscnt 0x0
	v_mul_f64_e32 v[169:170], v[42:43], v[8:9]
	v_mul_f64_e32 v[8:9], v[44:45], v[8:9]
	v_add_f64_e32 v[167:168], v[38:39], v[173:174]
	v_add_f64_e32 v[159:160], v[159:160], v[171:172]
	scratch_load_b128 v[38:41], off, off offset:768
	v_fma_f64 v[165:166], v[4:5], v[161:162], v[165:166]
	v_fma_f64 v[163:164], v[2:3], v[161:162], -v[163:164]
	ds_load_b128 v[2:5], v1 offset:1472
	v_fma_f64 v[44:45], v[44:45], v[6:7], v[169:170]
	v_fma_f64 v[42:43], v[42:43], v[6:7], -v[8:9]
	scratch_load_b128 v[6:9], off, off offset:800
	v_add_f64_e32 v[167:168], v[167:168], v[155:156]
	v_add_f64_e32 v[171:172], v[159:160], v[157:158]
	scratch_load_b128 v[155:158], off, off offset:784
	ds_load_b128 v[159:162], v1 offset:1488
	s_wait_loadcnt_dscnt 0x901
	v_mul_f64_e32 v[173:174], v[2:3], v[12:13]
	v_mul_f64_e32 v[12:13], v[4:5], v[12:13]
	v_add_f64_e32 v[163:164], v[167:168], v[163:164]
	v_add_f64_e32 v[165:166], v[171:172], v[165:166]
	s_wait_loadcnt_dscnt 0x800
	v_mul_f64_e32 v[167:168], v[159:160], v[16:17]
	v_mul_f64_e32 v[16:17], v[161:162], v[16:17]
	v_fma_f64 v[169:170], v[4:5], v[10:11], v[173:174]
	v_fma_f64 v[171:172], v[2:3], v[10:11], -v[12:13]
	ds_load_b128 v[2:5], v1 offset:1504
	scratch_load_b128 v[10:13], off, off offset:816
	v_add_f64_e32 v[163:164], v[163:164], v[42:43]
	v_add_f64_e32 v[165:166], v[165:166], v[44:45]
	ds_load_b128 v[42:45], v1 offset:1520
	s_wait_loadcnt_dscnt 0x801
	v_mul_f64_e32 v[173:174], v[2:3], v[20:21]
	v_mul_f64_e32 v[20:21], v[4:5], v[20:21]
	v_fma_f64 v[161:162], v[161:162], v[14:15], v[167:168]
	v_fma_f64 v[159:160], v[159:160], v[14:15], -v[16:17]
	scratch_load_b128 v[14:17], off, off offset:832
	s_wait_loadcnt_dscnt 0x800
	v_mul_f64_e32 v[167:168], v[42:43], v[24:25]
	v_mul_f64_e32 v[24:25], v[44:45], v[24:25]
	v_add_f64_e32 v[163:164], v[163:164], v[171:172]
	v_add_f64_e32 v[165:166], v[165:166], v[169:170]
	v_fma_f64 v[169:170], v[4:5], v[18:19], v[173:174]
	v_fma_f64 v[171:172], v[2:3], v[18:19], -v[20:21]
	ds_load_b128 v[2:5], v1 offset:1536
	ds_load_b128 v[18:21], v1 offset:1552
	v_fma_f64 v[44:45], v[44:45], v[22:23], v[167:168]
	v_fma_f64 v[22:23], v[42:43], v[22:23], -v[24:25]
	v_add_f64_e32 v[159:160], v[163:164], v[159:160]
	v_add_f64_e32 v[161:162], v[165:166], v[161:162]
	s_wait_loadcnt_dscnt 0x701
	v_mul_f64_e32 v[163:164], v[2:3], v[28:29]
	v_mul_f64_e32 v[28:29], v[4:5], v[28:29]
	s_delay_alu instid0(VALU_DEP_4) | instskip(NEXT) | instid1(VALU_DEP_4)
	v_add_f64_e32 v[24:25], v[159:160], v[171:172]
	v_add_f64_e32 v[42:43], v[161:162], v[169:170]
	s_wait_loadcnt_dscnt 0x600
	v_mul_f64_e32 v[159:160], v[18:19], v[32:33]
	v_mul_f64_e32 v[32:33], v[20:21], v[32:33]
	v_fma_f64 v[161:162], v[4:5], v[26:27], v[163:164]
	v_fma_f64 v[26:27], v[2:3], v[26:27], -v[28:29]
	v_add_f64_e32 v[28:29], v[24:25], v[22:23]
	v_add_f64_e32 v[42:43], v[42:43], v[44:45]
	ds_load_b128 v[2:5], v1 offset:1568
	ds_load_b128 v[22:25], v1 offset:1584
	v_fma_f64 v[20:21], v[20:21], v[30:31], v[159:160]
	v_fma_f64 v[18:19], v[18:19], v[30:31], -v[32:33]
	s_wait_loadcnt_dscnt 0x501
	v_mul_f64_e32 v[44:45], v[2:3], v[36:37]
	v_mul_f64_e32 v[36:37], v[4:5], v[36:37]
	v_add_f64_e32 v[26:27], v[28:29], v[26:27]
	v_add_f64_e32 v[28:29], v[42:43], v[161:162]
	s_wait_loadcnt_dscnt 0x400
	v_mul_f64_e32 v[30:31], v[22:23], v[40:41]
	v_mul_f64_e32 v[32:33], v[24:25], v[40:41]
	v_fma_f64 v[40:41], v[4:5], v[34:35], v[44:45]
	v_fma_f64 v[34:35], v[2:3], v[34:35], -v[36:37]
	v_add_f64_e32 v[26:27], v[26:27], v[18:19]
	v_add_f64_e32 v[28:29], v[28:29], v[20:21]
	ds_load_b128 v[2:5], v1 offset:1600
	ds_load_b128 v[18:21], v1 offset:1616
	v_fma_f64 v[24:25], v[24:25], v[38:39], v[30:31]
	v_fma_f64 v[22:23], v[22:23], v[38:39], -v[32:33]
	s_wait_loadcnt_dscnt 0x201
	v_mul_f64_e32 v[36:37], v[2:3], v[157:158]
	v_mul_f64_e32 v[42:43], v[4:5], v[157:158]
	s_wait_dscnt 0x0
	v_mul_f64_e32 v[30:31], v[18:19], v[8:9]
	v_mul_f64_e32 v[8:9], v[20:21], v[8:9]
	v_add_f64_e32 v[26:27], v[26:27], v[34:35]
	v_add_f64_e32 v[28:29], v[28:29], v[40:41]
	v_fma_f64 v[32:33], v[4:5], v[155:156], v[36:37]
	v_fma_f64 v[34:35], v[2:3], v[155:156], -v[42:43]
	v_fma_f64 v[20:21], v[20:21], v[6:7], v[30:31]
	v_fma_f64 v[6:7], v[18:19], v[6:7], -v[8:9]
	v_add_f64_e32 v[26:27], v[26:27], v[22:23]
	v_add_f64_e32 v[28:29], v[28:29], v[24:25]
	ds_load_b128 v[2:5], v1 offset:1632
	ds_load_b128 v[22:25], v1 offset:1648
	s_wait_loadcnt_dscnt 0x101
	v_mul_f64_e32 v[36:37], v[2:3], v[12:13]
	v_mul_f64_e32 v[12:13], v[4:5], v[12:13]
	v_add_f64_e32 v[8:9], v[26:27], v[34:35]
	v_add_f64_e32 v[18:19], v[28:29], v[32:33]
	s_wait_loadcnt_dscnt 0x0
	v_mul_f64_e32 v[26:27], v[22:23], v[16:17]
	v_mul_f64_e32 v[16:17], v[24:25], v[16:17]
	v_fma_f64 v[4:5], v[4:5], v[10:11], v[36:37]
	v_fma_f64 v[1:2], v[2:3], v[10:11], -v[12:13]
	v_add_f64_e32 v[6:7], v[8:9], v[6:7]
	v_add_f64_e32 v[8:9], v[18:19], v[20:21]
	v_fma_f64 v[10:11], v[24:25], v[14:15], v[26:27]
	v_fma_f64 v[12:13], v[22:23], v[14:15], -v[16:17]
	s_delay_alu instid0(VALU_DEP_4) | instskip(NEXT) | instid1(VALU_DEP_4)
	v_add_f64_e32 v[1:2], v[6:7], v[1:2]
	v_add_f64_e32 v[3:4], v[8:9], v[4:5]
	s_delay_alu instid0(VALU_DEP_2) | instskip(NEXT) | instid1(VALU_DEP_2)
	v_add_f64_e32 v[1:2], v[1:2], v[12:13]
	v_add_f64_e32 v[3:4], v[3:4], v[10:11]
	s_delay_alu instid0(VALU_DEP_2) | instskip(NEXT) | instid1(VALU_DEP_2)
	v_add_f64_e64 v[1:2], v[151:152], -v[1:2]
	v_add_f64_e64 v[3:4], v[153:154], -v[3:4]
	scratch_store_b128 off, v[1:4], off offset:288
	v_cmpx_lt_u32_e32 16, v0
	s_cbranch_execz .LBB115_293
; %bb.292:
	scratch_load_b128 v[1:4], off, s49
	v_mov_b32_e32 v5, 0
	s_delay_alu instid0(VALU_DEP_1)
	v_dual_mov_b32 v6, v5 :: v_dual_mov_b32 v7, v5
	v_mov_b32_e32 v8, v5
	scratch_store_b128 off, v[5:8], off offset:272
	s_wait_loadcnt 0x0
	ds_store_b128 v150, v[1:4]
.LBB115_293:
	s_wait_alu 0xfffe
	s_or_b32 exec_lo, exec_lo, s0
	s_wait_storecnt_dscnt 0x0
	s_barrier_signal -1
	s_barrier_wait -1
	global_inv scope:SCOPE_SE
	s_clause 0x7
	scratch_load_b128 v[2:5], off, off offset:288
	scratch_load_b128 v[6:9], off, off offset:304
	;; [unrolled: 1-line block ×8, first 2 shown]
	v_mov_b32_e32 v1, 0
	s_mov_b32 s0, exec_lo
	ds_load_b128 v[38:41], v1 offset:1104
	s_clause 0x1
	scratch_load_b128 v[34:37], off, off offset:416
	scratch_load_b128 v[42:45], off, off offset:272
	ds_load_b128 v[151:154], v1 offset:1120
	scratch_load_b128 v[155:158], off, off offset:432
	s_wait_loadcnt_dscnt 0xa01
	v_mul_f64_e32 v[159:160], v[40:41], v[4:5]
	v_mul_f64_e32 v[4:5], v[38:39], v[4:5]
	s_delay_alu instid0(VALU_DEP_2) | instskip(NEXT) | instid1(VALU_DEP_2)
	v_fma_f64 v[165:166], v[38:39], v[2:3], -v[159:160]
	v_fma_f64 v[167:168], v[40:41], v[2:3], v[4:5]
	ds_load_b128 v[2:5], v1 offset:1136
	s_wait_loadcnt_dscnt 0x901
	v_mul_f64_e32 v[163:164], v[151:152], v[8:9]
	v_mul_f64_e32 v[8:9], v[153:154], v[8:9]
	scratch_load_b128 v[38:41], off, off offset:448
	ds_load_b128 v[159:162], v1 offset:1152
	s_wait_loadcnt_dscnt 0x901
	v_mul_f64_e32 v[169:170], v[2:3], v[12:13]
	v_mul_f64_e32 v[12:13], v[4:5], v[12:13]
	v_fma_f64 v[153:154], v[153:154], v[6:7], v[163:164]
	v_fma_f64 v[151:152], v[151:152], v[6:7], -v[8:9]
	v_add_f64_e32 v[163:164], 0, v[165:166]
	v_add_f64_e32 v[165:166], 0, v[167:168]
	scratch_load_b128 v[6:9], off, off offset:464
	v_fma_f64 v[169:170], v[4:5], v[10:11], v[169:170]
	v_fma_f64 v[171:172], v[2:3], v[10:11], -v[12:13]
	ds_load_b128 v[2:5], v1 offset:1168
	s_wait_loadcnt_dscnt 0x901
	v_mul_f64_e32 v[167:168], v[159:160], v[16:17]
	v_mul_f64_e32 v[16:17], v[161:162], v[16:17]
	scratch_load_b128 v[10:13], off, off offset:480
	v_add_f64_e32 v[163:164], v[163:164], v[151:152]
	v_add_f64_e32 v[165:166], v[165:166], v[153:154]
	s_wait_loadcnt_dscnt 0x900
	v_mul_f64_e32 v[173:174], v[2:3], v[20:21]
	v_mul_f64_e32 v[20:21], v[4:5], v[20:21]
	ds_load_b128 v[151:154], v1 offset:1184
	v_fma_f64 v[161:162], v[161:162], v[14:15], v[167:168]
	v_fma_f64 v[159:160], v[159:160], v[14:15], -v[16:17]
	scratch_load_b128 v[14:17], off, off offset:496
	v_add_f64_e32 v[163:164], v[163:164], v[171:172]
	v_add_f64_e32 v[165:166], v[165:166], v[169:170]
	v_fma_f64 v[169:170], v[4:5], v[18:19], v[173:174]
	v_fma_f64 v[171:172], v[2:3], v[18:19], -v[20:21]
	ds_load_b128 v[2:5], v1 offset:1200
	s_wait_loadcnt_dscnt 0x901
	v_mul_f64_e32 v[167:168], v[151:152], v[24:25]
	v_mul_f64_e32 v[24:25], v[153:154], v[24:25]
	scratch_load_b128 v[18:21], off, off offset:512
	s_wait_loadcnt_dscnt 0x900
	v_mul_f64_e32 v[173:174], v[2:3], v[28:29]
	v_mul_f64_e32 v[28:29], v[4:5], v[28:29]
	v_add_f64_e32 v[163:164], v[163:164], v[159:160]
	v_add_f64_e32 v[165:166], v[165:166], v[161:162]
	ds_load_b128 v[159:162], v1 offset:1216
	v_fma_f64 v[153:154], v[153:154], v[22:23], v[167:168]
	v_fma_f64 v[151:152], v[151:152], v[22:23], -v[24:25]
	scratch_load_b128 v[22:25], off, off offset:528
	v_add_f64_e32 v[163:164], v[163:164], v[171:172]
	v_add_f64_e32 v[165:166], v[165:166], v[169:170]
	v_fma_f64 v[169:170], v[4:5], v[26:27], v[173:174]
	v_fma_f64 v[171:172], v[2:3], v[26:27], -v[28:29]
	ds_load_b128 v[2:5], v1 offset:1232
	s_wait_loadcnt_dscnt 0x901
	v_mul_f64_e32 v[167:168], v[159:160], v[32:33]
	v_mul_f64_e32 v[32:33], v[161:162], v[32:33]
	scratch_load_b128 v[26:29], off, off offset:544
	s_wait_loadcnt_dscnt 0x900
	v_mul_f64_e32 v[173:174], v[2:3], v[36:37]
	v_mul_f64_e32 v[36:37], v[4:5], v[36:37]
	v_add_f64_e32 v[163:164], v[163:164], v[151:152]
	v_add_f64_e32 v[165:166], v[165:166], v[153:154]
	ds_load_b128 v[151:154], v1 offset:1248
	v_fma_f64 v[161:162], v[161:162], v[30:31], v[167:168]
	v_fma_f64 v[159:160], v[159:160], v[30:31], -v[32:33]
	scratch_load_b128 v[30:33], off, off offset:560
	v_add_f64_e32 v[163:164], v[163:164], v[171:172]
	v_add_f64_e32 v[165:166], v[165:166], v[169:170]
	v_fma_f64 v[171:172], v[4:5], v[34:35], v[173:174]
	v_fma_f64 v[173:174], v[2:3], v[34:35], -v[36:37]
	ds_load_b128 v[2:5], v1 offset:1264
	s_wait_loadcnt_dscnt 0x801
	v_mul_f64_e32 v[167:168], v[151:152], v[157:158]
	v_mul_f64_e32 v[169:170], v[153:154], v[157:158]
	scratch_load_b128 v[34:37], off, off offset:576
	v_add_f64_e32 v[163:164], v[163:164], v[159:160]
	v_add_f64_e32 v[161:162], v[165:166], v[161:162]
	ds_load_b128 v[157:160], v1 offset:1280
	v_fma_f64 v[167:168], v[153:154], v[155:156], v[167:168]
	v_fma_f64 v[155:156], v[151:152], v[155:156], -v[169:170]
	scratch_load_b128 v[151:154], off, off offset:592
	s_wait_loadcnt_dscnt 0x901
	v_mul_f64_e32 v[165:166], v[2:3], v[40:41]
	v_mul_f64_e32 v[40:41], v[4:5], v[40:41]
	v_add_f64_e32 v[163:164], v[163:164], v[173:174]
	v_add_f64_e32 v[161:162], v[161:162], v[171:172]
	s_delay_alu instid0(VALU_DEP_4) | instskip(NEXT) | instid1(VALU_DEP_4)
	v_fma_f64 v[165:166], v[4:5], v[38:39], v[165:166]
	v_fma_f64 v[171:172], v[2:3], v[38:39], -v[40:41]
	ds_load_b128 v[2:5], v1 offset:1296
	s_wait_loadcnt_dscnt 0x801
	v_mul_f64_e32 v[169:170], v[157:158], v[8:9]
	v_mul_f64_e32 v[8:9], v[159:160], v[8:9]
	scratch_load_b128 v[38:41], off, off offset:608
	s_wait_loadcnt_dscnt 0x800
	v_mul_f64_e32 v[173:174], v[2:3], v[12:13]
	v_add_f64_e32 v[155:156], v[163:164], v[155:156]
	v_add_f64_e32 v[167:168], v[161:162], v[167:168]
	v_mul_f64_e32 v[12:13], v[4:5], v[12:13]
	ds_load_b128 v[161:164], v1 offset:1312
	v_fma_f64 v[159:160], v[159:160], v[6:7], v[169:170]
	v_fma_f64 v[157:158], v[157:158], v[6:7], -v[8:9]
	scratch_load_b128 v[6:9], off, off offset:624
	v_fma_f64 v[169:170], v[4:5], v[10:11], v[173:174]
	v_add_f64_e32 v[155:156], v[155:156], v[171:172]
	v_add_f64_e32 v[165:166], v[167:168], v[165:166]
	v_fma_f64 v[171:172], v[2:3], v[10:11], -v[12:13]
	ds_load_b128 v[2:5], v1 offset:1328
	s_wait_loadcnt_dscnt 0x801
	v_mul_f64_e32 v[167:168], v[161:162], v[16:17]
	v_mul_f64_e32 v[16:17], v[163:164], v[16:17]
	scratch_load_b128 v[10:13], off, off offset:640
	v_add_f64_e32 v[173:174], v[155:156], v[157:158]
	v_add_f64_e32 v[159:160], v[165:166], v[159:160]
	s_wait_loadcnt_dscnt 0x800
	v_mul_f64_e32 v[165:166], v[2:3], v[20:21]
	v_mul_f64_e32 v[20:21], v[4:5], v[20:21]
	v_fma_f64 v[163:164], v[163:164], v[14:15], v[167:168]
	v_fma_f64 v[161:162], v[161:162], v[14:15], -v[16:17]
	ds_load_b128 v[155:158], v1 offset:1344
	scratch_load_b128 v[14:17], off, off offset:656
	v_add_f64_e32 v[167:168], v[173:174], v[171:172]
	v_add_f64_e32 v[159:160], v[159:160], v[169:170]
	v_fma_f64 v[165:166], v[4:5], v[18:19], v[165:166]
	v_fma_f64 v[171:172], v[2:3], v[18:19], -v[20:21]
	ds_load_b128 v[2:5], v1 offset:1360
	s_wait_loadcnt_dscnt 0x801
	v_mul_f64_e32 v[169:170], v[155:156], v[24:25]
	v_mul_f64_e32 v[24:25], v[157:158], v[24:25]
	scratch_load_b128 v[18:21], off, off offset:672
	s_wait_loadcnt_dscnt 0x800
	v_mul_f64_e32 v[173:174], v[2:3], v[28:29]
	v_mul_f64_e32 v[28:29], v[4:5], v[28:29]
	v_add_f64_e32 v[167:168], v[167:168], v[161:162]
	v_add_f64_e32 v[163:164], v[159:160], v[163:164]
	ds_load_b128 v[159:162], v1 offset:1376
	v_fma_f64 v[157:158], v[157:158], v[22:23], v[169:170]
	v_fma_f64 v[155:156], v[155:156], v[22:23], -v[24:25]
	scratch_load_b128 v[22:25], off, off offset:688
	v_fma_f64 v[169:170], v[4:5], v[26:27], v[173:174]
	v_add_f64_e32 v[167:168], v[167:168], v[171:172]
	v_add_f64_e32 v[163:164], v[163:164], v[165:166]
	v_fma_f64 v[171:172], v[2:3], v[26:27], -v[28:29]
	ds_load_b128 v[2:5], v1 offset:1392
	s_wait_loadcnt_dscnt 0x801
	v_mul_f64_e32 v[165:166], v[159:160], v[32:33]
	v_mul_f64_e32 v[32:33], v[161:162], v[32:33]
	scratch_load_b128 v[26:29], off, off offset:704
	s_wait_loadcnt_dscnt 0x800
	v_mul_f64_e32 v[173:174], v[2:3], v[36:37]
	v_mul_f64_e32 v[36:37], v[4:5], v[36:37]
	v_add_f64_e32 v[167:168], v[167:168], v[155:156]
	v_add_f64_e32 v[163:164], v[163:164], v[157:158]
	ds_load_b128 v[155:158], v1 offset:1408
	v_fma_f64 v[161:162], v[161:162], v[30:31], v[165:166]
	v_fma_f64 v[159:160], v[159:160], v[30:31], -v[32:33]
	scratch_load_b128 v[30:33], off, off offset:720
	v_add_f64_e32 v[165:166], v[167:168], v[171:172]
	v_add_f64_e32 v[163:164], v[163:164], v[169:170]
	v_fma_f64 v[169:170], v[4:5], v[34:35], v[173:174]
	v_fma_f64 v[171:172], v[2:3], v[34:35], -v[36:37]
	ds_load_b128 v[2:5], v1 offset:1424
	s_wait_loadcnt_dscnt 0x801
	v_mul_f64_e32 v[167:168], v[155:156], v[153:154]
	v_mul_f64_e32 v[153:154], v[157:158], v[153:154]
	scratch_load_b128 v[34:37], off, off offset:736
	s_wait_loadcnt_dscnt 0x800
	v_mul_f64_e32 v[173:174], v[2:3], v[40:41]
	v_mul_f64_e32 v[40:41], v[4:5], v[40:41]
	v_add_f64_e32 v[165:166], v[165:166], v[159:160]
	v_add_f64_e32 v[163:164], v[163:164], v[161:162]
	ds_load_b128 v[159:162], v1 offset:1440
	v_fma_f64 v[157:158], v[157:158], v[151:152], v[167:168]
	v_fma_f64 v[155:156], v[155:156], v[151:152], -v[153:154]
	scratch_load_b128 v[151:154], off, off offset:752
	v_add_f64_e32 v[165:166], v[165:166], v[171:172]
	v_add_f64_e32 v[163:164], v[163:164], v[169:170]
	v_fma_f64 v[169:170], v[4:5], v[38:39], v[173:174]
	;; [unrolled: 18-line block ×4, first 2 shown]
	v_fma_f64 v[171:172], v[2:3], v[18:19], -v[20:21]
	ds_load_b128 v[2:5], v1 offset:1520
	s_wait_loadcnt_dscnt 0x801
	v_mul_f64_e32 v[167:168], v[159:160], v[24:25]
	v_mul_f64_e32 v[24:25], v[161:162], v[24:25]
	scratch_load_b128 v[18:21], off, off offset:832
	s_wait_loadcnt_dscnt 0x800
	v_mul_f64_e32 v[173:174], v[2:3], v[28:29]
	v_mul_f64_e32 v[28:29], v[4:5], v[28:29]
	v_add_f64_e32 v[165:166], v[165:166], v[155:156]
	v_add_f64_e32 v[163:164], v[163:164], v[157:158]
	ds_load_b128 v[155:158], v1 offset:1536
	v_fma_f64 v[161:162], v[161:162], v[22:23], v[167:168]
	v_fma_f64 v[22:23], v[159:160], v[22:23], -v[24:25]
	v_add_f64_e32 v[24:25], v[165:166], v[171:172]
	v_add_f64_e32 v[159:160], v[163:164], v[169:170]
	s_wait_loadcnt_dscnt 0x700
	v_mul_f64_e32 v[163:164], v[155:156], v[32:33]
	v_mul_f64_e32 v[32:33], v[157:158], v[32:33]
	v_fma_f64 v[165:166], v[4:5], v[26:27], v[173:174]
	v_fma_f64 v[26:27], v[2:3], v[26:27], -v[28:29]
	v_add_f64_e32 v[28:29], v[24:25], v[22:23]
	v_add_f64_e32 v[159:160], v[159:160], v[161:162]
	ds_load_b128 v[2:5], v1 offset:1552
	ds_load_b128 v[22:25], v1 offset:1568
	v_fma_f64 v[157:158], v[157:158], v[30:31], v[163:164]
	v_fma_f64 v[30:31], v[155:156], v[30:31], -v[32:33]
	s_wait_loadcnt_dscnt 0x601
	v_mul_f64_e32 v[161:162], v[2:3], v[36:37]
	v_mul_f64_e32 v[36:37], v[4:5], v[36:37]
	s_wait_loadcnt_dscnt 0x500
	v_mul_f64_e32 v[32:33], v[22:23], v[153:154]
	v_mul_f64_e32 v[153:154], v[24:25], v[153:154]
	v_add_f64_e32 v[26:27], v[28:29], v[26:27]
	v_add_f64_e32 v[28:29], v[159:160], v[165:166]
	v_fma_f64 v[155:156], v[4:5], v[34:35], v[161:162]
	v_fma_f64 v[34:35], v[2:3], v[34:35], -v[36:37]
	v_fma_f64 v[24:25], v[24:25], v[151:152], v[32:33]
	v_fma_f64 v[22:23], v[22:23], v[151:152], -v[153:154]
	v_add_f64_e32 v[30:31], v[26:27], v[30:31]
	v_add_f64_e32 v[36:37], v[28:29], v[157:158]
	ds_load_b128 v[2:5], v1 offset:1584
	ds_load_b128 v[26:29], v1 offset:1600
	s_wait_loadcnt_dscnt 0x401
	v_mul_f64_e32 v[157:158], v[2:3], v[40:41]
	v_mul_f64_e32 v[40:41], v[4:5], v[40:41]
	v_add_f64_e32 v[30:31], v[30:31], v[34:35]
	v_add_f64_e32 v[32:33], v[36:37], v[155:156]
	s_wait_loadcnt_dscnt 0x300
	v_mul_f64_e32 v[34:35], v[26:27], v[8:9]
	v_mul_f64_e32 v[8:9], v[28:29], v[8:9]
	v_fma_f64 v[36:37], v[4:5], v[38:39], v[157:158]
	v_fma_f64 v[38:39], v[2:3], v[38:39], -v[40:41]
	v_add_f64_e32 v[30:31], v[30:31], v[22:23]
	v_add_f64_e32 v[32:33], v[32:33], v[24:25]
	ds_load_b128 v[2:5], v1 offset:1616
	ds_load_b128 v[22:25], v1 offset:1632
	v_fma_f64 v[28:29], v[28:29], v[6:7], v[34:35]
	v_fma_f64 v[6:7], v[26:27], v[6:7], -v[8:9]
	s_wait_loadcnt_dscnt 0x201
	v_mul_f64_e32 v[40:41], v[2:3], v[12:13]
	v_mul_f64_e32 v[12:13], v[4:5], v[12:13]
	v_add_f64_e32 v[8:9], v[30:31], v[38:39]
	v_add_f64_e32 v[26:27], v[32:33], v[36:37]
	s_wait_loadcnt_dscnt 0x100
	v_mul_f64_e32 v[30:31], v[22:23], v[16:17]
	v_mul_f64_e32 v[16:17], v[24:25], v[16:17]
	v_fma_f64 v[32:33], v[4:5], v[10:11], v[40:41]
	v_fma_f64 v[10:11], v[2:3], v[10:11], -v[12:13]
	ds_load_b128 v[2:5], v1 offset:1648
	v_add_f64_e32 v[6:7], v[8:9], v[6:7]
	v_add_f64_e32 v[8:9], v[26:27], v[28:29]
	v_fma_f64 v[24:25], v[24:25], v[14:15], v[30:31]
	v_fma_f64 v[14:15], v[22:23], v[14:15], -v[16:17]
	s_wait_loadcnt_dscnt 0x0
	v_mul_f64_e32 v[12:13], v[2:3], v[20:21]
	v_mul_f64_e32 v[20:21], v[4:5], v[20:21]
	v_add_f64_e32 v[6:7], v[6:7], v[10:11]
	v_add_f64_e32 v[8:9], v[8:9], v[32:33]
	s_delay_alu instid0(VALU_DEP_4) | instskip(NEXT) | instid1(VALU_DEP_4)
	v_fma_f64 v[4:5], v[4:5], v[18:19], v[12:13]
	v_fma_f64 v[2:3], v[2:3], v[18:19], -v[20:21]
	s_delay_alu instid0(VALU_DEP_4) | instskip(NEXT) | instid1(VALU_DEP_4)
	v_add_f64_e32 v[6:7], v[6:7], v[14:15]
	v_add_f64_e32 v[8:9], v[8:9], v[24:25]
	s_delay_alu instid0(VALU_DEP_2) | instskip(NEXT) | instid1(VALU_DEP_2)
	v_add_f64_e32 v[2:3], v[6:7], v[2:3]
	v_add_f64_e32 v[4:5], v[8:9], v[4:5]
	s_delay_alu instid0(VALU_DEP_2) | instskip(NEXT) | instid1(VALU_DEP_2)
	v_add_f64_e64 v[2:3], v[42:43], -v[2:3]
	v_add_f64_e64 v[4:5], v[44:45], -v[4:5]
	scratch_store_b128 off, v[2:5], off offset:272
	v_cmpx_lt_u32_e32 15, v0
	s_cbranch_execz .LBB115_295
; %bb.294:
	scratch_load_b128 v[5:8], off, s50
	v_dual_mov_b32 v2, v1 :: v_dual_mov_b32 v3, v1
	v_mov_b32_e32 v4, v1
	scratch_store_b128 off, v[1:4], off offset:256
	s_wait_loadcnt 0x0
	ds_store_b128 v150, v[5:8]
.LBB115_295:
	s_wait_alu 0xfffe
	s_or_b32 exec_lo, exec_lo, s0
	s_wait_storecnt_dscnt 0x0
	s_barrier_signal -1
	s_barrier_wait -1
	global_inv scope:SCOPE_SE
	s_clause 0x8
	scratch_load_b128 v[2:5], off, off offset:272
	scratch_load_b128 v[6:9], off, off offset:288
	;; [unrolled: 1-line block ×9, first 2 shown]
	ds_load_b128 v[38:41], v1 offset:1088
	ds_load_b128 v[42:45], v1 offset:1104
	s_clause 0x1
	scratch_load_b128 v[151:154], off, off offset:256
	scratch_load_b128 v[155:158], off, off offset:416
	s_mov_b32 s0, exec_lo
	s_wait_loadcnt_dscnt 0xa01
	v_mul_f64_e32 v[159:160], v[40:41], v[4:5]
	v_mul_f64_e32 v[4:5], v[38:39], v[4:5]
	s_wait_loadcnt_dscnt 0x900
	v_mul_f64_e32 v[163:164], v[42:43], v[8:9]
	v_mul_f64_e32 v[8:9], v[44:45], v[8:9]
	s_delay_alu instid0(VALU_DEP_4) | instskip(NEXT) | instid1(VALU_DEP_4)
	v_fma_f64 v[165:166], v[38:39], v[2:3], -v[159:160]
	v_fma_f64 v[167:168], v[40:41], v[2:3], v[4:5]
	ds_load_b128 v[2:5], v1 offset:1120
	ds_load_b128 v[159:162], v1 offset:1136
	scratch_load_b128 v[38:41], off, off offset:432
	v_fma_f64 v[44:45], v[44:45], v[6:7], v[163:164]
	v_fma_f64 v[42:43], v[42:43], v[6:7], -v[8:9]
	scratch_load_b128 v[6:9], off, off offset:448
	s_wait_loadcnt_dscnt 0xa01
	v_mul_f64_e32 v[169:170], v[2:3], v[12:13]
	v_mul_f64_e32 v[12:13], v[4:5], v[12:13]
	v_add_f64_e32 v[163:164], 0, v[165:166]
	v_add_f64_e32 v[165:166], 0, v[167:168]
	s_wait_loadcnt_dscnt 0x900
	v_mul_f64_e32 v[167:168], v[159:160], v[16:17]
	v_mul_f64_e32 v[16:17], v[161:162], v[16:17]
	v_fma_f64 v[169:170], v[4:5], v[10:11], v[169:170]
	v_fma_f64 v[171:172], v[2:3], v[10:11], -v[12:13]
	ds_load_b128 v[2:5], v1 offset:1152
	scratch_load_b128 v[10:13], off, off offset:464
	v_add_f64_e32 v[163:164], v[163:164], v[42:43]
	v_add_f64_e32 v[165:166], v[165:166], v[44:45]
	ds_load_b128 v[42:45], v1 offset:1168
	v_fma_f64 v[161:162], v[161:162], v[14:15], v[167:168]
	v_fma_f64 v[159:160], v[159:160], v[14:15], -v[16:17]
	scratch_load_b128 v[14:17], off, off offset:480
	s_wait_loadcnt_dscnt 0xa01
	v_mul_f64_e32 v[173:174], v[2:3], v[20:21]
	v_mul_f64_e32 v[20:21], v[4:5], v[20:21]
	s_wait_loadcnt_dscnt 0x900
	v_mul_f64_e32 v[167:168], v[42:43], v[24:25]
	v_mul_f64_e32 v[24:25], v[44:45], v[24:25]
	v_add_f64_e32 v[163:164], v[163:164], v[171:172]
	v_add_f64_e32 v[165:166], v[165:166], v[169:170]
	v_fma_f64 v[169:170], v[4:5], v[18:19], v[173:174]
	v_fma_f64 v[171:172], v[2:3], v[18:19], -v[20:21]
	ds_load_b128 v[2:5], v1 offset:1184
	scratch_load_b128 v[18:21], off, off offset:496
	v_fma_f64 v[44:45], v[44:45], v[22:23], v[167:168]
	v_fma_f64 v[42:43], v[42:43], v[22:23], -v[24:25]
	scratch_load_b128 v[22:25], off, off offset:512
	v_add_f64_e32 v[163:164], v[163:164], v[159:160]
	v_add_f64_e32 v[165:166], v[165:166], v[161:162]
	ds_load_b128 v[159:162], v1 offset:1200
	s_wait_loadcnt_dscnt 0xa01
	v_mul_f64_e32 v[173:174], v[2:3], v[28:29]
	v_mul_f64_e32 v[28:29], v[4:5], v[28:29]
	s_wait_loadcnt_dscnt 0x900
	v_mul_f64_e32 v[167:168], v[159:160], v[32:33]
	v_mul_f64_e32 v[32:33], v[161:162], v[32:33]
	v_add_f64_e32 v[163:164], v[163:164], v[171:172]
	v_add_f64_e32 v[165:166], v[165:166], v[169:170]
	v_fma_f64 v[169:170], v[4:5], v[26:27], v[173:174]
	v_fma_f64 v[171:172], v[2:3], v[26:27], -v[28:29]
	ds_load_b128 v[2:5], v1 offset:1216
	scratch_load_b128 v[26:29], off, off offset:528
	v_fma_f64 v[161:162], v[161:162], v[30:31], v[167:168]
	v_fma_f64 v[159:160], v[159:160], v[30:31], -v[32:33]
	scratch_load_b128 v[30:33], off, off offset:544
	v_add_f64_e32 v[163:164], v[163:164], v[42:43]
	v_add_f64_e32 v[165:166], v[165:166], v[44:45]
	ds_load_b128 v[42:45], v1 offset:1232
	s_wait_loadcnt_dscnt 0xa01
	v_mul_f64_e32 v[173:174], v[2:3], v[36:37]
	v_mul_f64_e32 v[36:37], v[4:5], v[36:37]
	s_wait_loadcnt_dscnt 0x800
	v_mul_f64_e32 v[167:168], v[42:43], v[157:158]
	v_add_f64_e32 v[163:164], v[163:164], v[171:172]
	v_add_f64_e32 v[165:166], v[165:166], v[169:170]
	v_mul_f64_e32 v[169:170], v[44:45], v[157:158]
	v_fma_f64 v[171:172], v[4:5], v[34:35], v[173:174]
	v_fma_f64 v[173:174], v[2:3], v[34:35], -v[36:37]
	ds_load_b128 v[2:5], v1 offset:1248
	scratch_load_b128 v[34:37], off, off offset:560
	v_fma_f64 v[44:45], v[44:45], v[155:156], v[167:168]
	v_add_f64_e32 v[163:164], v[163:164], v[159:160]
	v_add_f64_e32 v[161:162], v[165:166], v[161:162]
	ds_load_b128 v[157:160], v1 offset:1264
	v_fma_f64 v[155:156], v[42:43], v[155:156], -v[169:170]
	s_wait_loadcnt_dscnt 0x801
	v_mul_f64_e32 v[165:166], v[2:3], v[40:41]
	v_mul_f64_e32 v[175:176], v[4:5], v[40:41]
	scratch_load_b128 v[40:43], off, off offset:576
	s_wait_loadcnt_dscnt 0x800
	v_mul_f64_e32 v[169:170], v[157:158], v[8:9]
	v_mul_f64_e32 v[8:9], v[159:160], v[8:9]
	v_add_f64_e32 v[163:164], v[163:164], v[173:174]
	v_add_f64_e32 v[161:162], v[161:162], v[171:172]
	v_fma_f64 v[171:172], v[4:5], v[38:39], v[165:166]
	v_fma_f64 v[38:39], v[2:3], v[38:39], -v[175:176]
	ds_load_b128 v[2:5], v1 offset:1280
	ds_load_b128 v[165:168], v1 offset:1296
	v_fma_f64 v[159:160], v[159:160], v[6:7], v[169:170]
	v_fma_f64 v[157:158], v[157:158], v[6:7], -v[8:9]
	scratch_load_b128 v[6:9], off, off offset:608
	v_add_f64_e32 v[155:156], v[163:164], v[155:156]
	v_add_f64_e32 v[44:45], v[161:162], v[44:45]
	scratch_load_b128 v[161:164], off, off offset:592
	s_wait_loadcnt_dscnt 0x901
	v_mul_f64_e32 v[173:174], v[2:3], v[12:13]
	v_mul_f64_e32 v[12:13], v[4:5], v[12:13]
	s_wait_loadcnt_dscnt 0x800
	v_mul_f64_e32 v[169:170], v[165:166], v[16:17]
	v_mul_f64_e32 v[16:17], v[167:168], v[16:17]
	v_add_f64_e32 v[38:39], v[155:156], v[38:39]
	v_add_f64_e32 v[44:45], v[44:45], v[171:172]
	v_fma_f64 v[171:172], v[4:5], v[10:11], v[173:174]
	v_fma_f64 v[173:174], v[2:3], v[10:11], -v[12:13]
	ds_load_b128 v[2:5], v1 offset:1312
	scratch_load_b128 v[10:13], off, off offset:624
	v_fma_f64 v[167:168], v[167:168], v[14:15], v[169:170]
	v_fma_f64 v[165:166], v[165:166], v[14:15], -v[16:17]
	scratch_load_b128 v[14:17], off, off offset:640
	v_add_f64_e32 v[38:39], v[38:39], v[157:158]
	v_add_f64_e32 v[44:45], v[44:45], v[159:160]
	ds_load_b128 v[155:158], v1 offset:1328
	s_wait_loadcnt_dscnt 0x901
	v_mul_f64_e32 v[159:160], v[2:3], v[20:21]
	v_mul_f64_e32 v[20:21], v[4:5], v[20:21]
	s_wait_loadcnt_dscnt 0x800
	v_mul_f64_e32 v[169:170], v[155:156], v[24:25]
	v_mul_f64_e32 v[24:25], v[157:158], v[24:25]
	v_add_f64_e32 v[38:39], v[38:39], v[173:174]
	v_add_f64_e32 v[44:45], v[44:45], v[171:172]
	v_fma_f64 v[159:160], v[4:5], v[18:19], v[159:160]
	v_fma_f64 v[171:172], v[2:3], v[18:19], -v[20:21]
	ds_load_b128 v[2:5], v1 offset:1344
	scratch_load_b128 v[18:21], off, off offset:656
	v_fma_f64 v[157:158], v[157:158], v[22:23], v[169:170]
	v_fma_f64 v[155:156], v[155:156], v[22:23], -v[24:25]
	scratch_load_b128 v[22:25], off, off offset:672
	v_add_f64_e32 v[38:39], v[38:39], v[165:166]
	v_add_f64_e32 v[44:45], v[44:45], v[167:168]
	ds_load_b128 v[165:168], v1 offset:1360
	s_wait_loadcnt_dscnt 0x901
	v_mul_f64_e32 v[173:174], v[2:3], v[28:29]
	v_mul_f64_e32 v[28:29], v[4:5], v[28:29]
	v_add_f64_e32 v[38:39], v[38:39], v[171:172]
	v_add_f64_e32 v[44:45], v[44:45], v[159:160]
	s_wait_loadcnt_dscnt 0x800
	v_mul_f64_e32 v[159:160], v[165:166], v[32:33]
	v_mul_f64_e32 v[32:33], v[167:168], v[32:33]
	v_fma_f64 v[169:170], v[4:5], v[26:27], v[173:174]
	v_fma_f64 v[171:172], v[2:3], v[26:27], -v[28:29]
	ds_load_b128 v[2:5], v1 offset:1376
	scratch_load_b128 v[26:29], off, off offset:688
	v_add_f64_e32 v[38:39], v[38:39], v[155:156]
	v_add_f64_e32 v[44:45], v[44:45], v[157:158]
	ds_load_b128 v[155:158], v1 offset:1392
	s_wait_loadcnt_dscnt 0x801
	v_mul_f64_e32 v[173:174], v[2:3], v[36:37]
	v_mul_f64_e32 v[36:37], v[4:5], v[36:37]
	v_fma_f64 v[159:160], v[167:168], v[30:31], v[159:160]
	v_fma_f64 v[165:166], v[165:166], v[30:31], -v[32:33]
	scratch_load_b128 v[30:33], off, off offset:704
	s_wait_loadcnt_dscnt 0x800
	v_mul_f64_e32 v[167:168], v[155:156], v[42:43]
	v_add_f64_e32 v[38:39], v[38:39], v[171:172]
	v_add_f64_e32 v[44:45], v[44:45], v[169:170]
	v_mul_f64_e32 v[169:170], v[157:158], v[42:43]
	v_fma_f64 v[171:172], v[4:5], v[34:35], v[173:174]
	v_fma_f64 v[173:174], v[2:3], v[34:35], -v[36:37]
	ds_load_b128 v[2:5], v1 offset:1408
	scratch_load_b128 v[34:37], off, off offset:720
	v_fma_f64 v[157:158], v[157:158], v[40:41], v[167:168]
	v_add_f64_e32 v[38:39], v[38:39], v[165:166]
	v_add_f64_e32 v[159:160], v[44:45], v[159:160]
	ds_load_b128 v[42:45], v1 offset:1424
	v_fma_f64 v[155:156], v[155:156], v[40:41], -v[169:170]
	s_wait_loadcnt_dscnt 0x701
	v_mul_f64_e32 v[165:166], v[2:3], v[163:164]
	v_mul_f64_e32 v[163:164], v[4:5], v[163:164]
	s_wait_dscnt 0x0
	v_mul_f64_e32 v[169:170], v[42:43], v[8:9]
	v_mul_f64_e32 v[8:9], v[44:45], v[8:9]
	v_add_f64_e32 v[167:168], v[38:39], v[173:174]
	v_add_f64_e32 v[159:160], v[159:160], v[171:172]
	scratch_load_b128 v[38:41], off, off offset:736
	v_fma_f64 v[165:166], v[4:5], v[161:162], v[165:166]
	v_fma_f64 v[163:164], v[2:3], v[161:162], -v[163:164]
	ds_load_b128 v[2:5], v1 offset:1440
	v_fma_f64 v[44:45], v[44:45], v[6:7], v[169:170]
	v_fma_f64 v[42:43], v[42:43], v[6:7], -v[8:9]
	scratch_load_b128 v[6:9], off, off offset:768
	v_add_f64_e32 v[167:168], v[167:168], v[155:156]
	v_add_f64_e32 v[171:172], v[159:160], v[157:158]
	scratch_load_b128 v[155:158], off, off offset:752
	ds_load_b128 v[159:162], v1 offset:1456
	s_wait_loadcnt_dscnt 0x901
	v_mul_f64_e32 v[173:174], v[2:3], v[12:13]
	v_mul_f64_e32 v[12:13], v[4:5], v[12:13]
	v_add_f64_e32 v[163:164], v[167:168], v[163:164]
	v_add_f64_e32 v[165:166], v[171:172], v[165:166]
	s_wait_loadcnt_dscnt 0x800
	v_mul_f64_e32 v[167:168], v[159:160], v[16:17]
	v_mul_f64_e32 v[16:17], v[161:162], v[16:17]
	v_fma_f64 v[169:170], v[4:5], v[10:11], v[173:174]
	v_fma_f64 v[171:172], v[2:3], v[10:11], -v[12:13]
	ds_load_b128 v[2:5], v1 offset:1472
	scratch_load_b128 v[10:13], off, off offset:784
	v_add_f64_e32 v[163:164], v[163:164], v[42:43]
	v_add_f64_e32 v[165:166], v[165:166], v[44:45]
	ds_load_b128 v[42:45], v1 offset:1488
	s_wait_loadcnt_dscnt 0x801
	v_mul_f64_e32 v[173:174], v[2:3], v[20:21]
	v_mul_f64_e32 v[20:21], v[4:5], v[20:21]
	v_fma_f64 v[161:162], v[161:162], v[14:15], v[167:168]
	v_fma_f64 v[159:160], v[159:160], v[14:15], -v[16:17]
	scratch_load_b128 v[14:17], off, off offset:800
	s_wait_loadcnt_dscnt 0x800
	v_mul_f64_e32 v[167:168], v[42:43], v[24:25]
	v_mul_f64_e32 v[24:25], v[44:45], v[24:25]
	v_add_f64_e32 v[163:164], v[163:164], v[171:172]
	v_add_f64_e32 v[165:166], v[165:166], v[169:170]
	v_fma_f64 v[169:170], v[4:5], v[18:19], v[173:174]
	v_fma_f64 v[171:172], v[2:3], v[18:19], -v[20:21]
	ds_load_b128 v[2:5], v1 offset:1504
	scratch_load_b128 v[18:21], off, off offset:816
	v_fma_f64 v[44:45], v[44:45], v[22:23], v[167:168]
	v_fma_f64 v[42:43], v[42:43], v[22:23], -v[24:25]
	scratch_load_b128 v[22:25], off, off offset:832
	v_add_f64_e32 v[163:164], v[163:164], v[159:160]
	v_add_f64_e32 v[165:166], v[165:166], v[161:162]
	ds_load_b128 v[159:162], v1 offset:1520
	s_wait_loadcnt_dscnt 0x901
	v_mul_f64_e32 v[173:174], v[2:3], v[28:29]
	v_mul_f64_e32 v[28:29], v[4:5], v[28:29]
	s_wait_loadcnt_dscnt 0x800
	v_mul_f64_e32 v[167:168], v[159:160], v[32:33]
	v_mul_f64_e32 v[32:33], v[161:162], v[32:33]
	v_add_f64_e32 v[163:164], v[163:164], v[171:172]
	v_add_f64_e32 v[165:166], v[165:166], v[169:170]
	v_fma_f64 v[169:170], v[4:5], v[26:27], v[173:174]
	v_fma_f64 v[171:172], v[2:3], v[26:27], -v[28:29]
	ds_load_b128 v[2:5], v1 offset:1536
	ds_load_b128 v[26:29], v1 offset:1552
	v_fma_f64 v[161:162], v[161:162], v[30:31], v[167:168]
	v_fma_f64 v[30:31], v[159:160], v[30:31], -v[32:33]
	v_add_f64_e32 v[42:43], v[163:164], v[42:43]
	v_add_f64_e32 v[44:45], v[165:166], v[44:45]
	s_wait_loadcnt_dscnt 0x701
	v_mul_f64_e32 v[163:164], v[2:3], v[36:37]
	v_mul_f64_e32 v[36:37], v[4:5], v[36:37]
	s_delay_alu instid0(VALU_DEP_4) | instskip(NEXT) | instid1(VALU_DEP_4)
	v_add_f64_e32 v[32:33], v[42:43], v[171:172]
	v_add_f64_e32 v[42:43], v[44:45], v[169:170]
	s_delay_alu instid0(VALU_DEP_4) | instskip(NEXT) | instid1(VALU_DEP_4)
	v_fma_f64 v[159:160], v[4:5], v[34:35], v[163:164]
	v_fma_f64 v[34:35], v[2:3], v[34:35], -v[36:37]
	s_wait_loadcnt_dscnt 0x600
	v_mul_f64_e32 v[44:45], v[26:27], v[40:41]
	v_mul_f64_e32 v[40:41], v[28:29], v[40:41]
	v_add_f64_e32 v[36:37], v[32:33], v[30:31]
	v_add_f64_e32 v[42:43], v[42:43], v[161:162]
	ds_load_b128 v[2:5], v1 offset:1568
	ds_load_b128 v[30:33], v1 offset:1584
	v_fma_f64 v[28:29], v[28:29], v[38:39], v[44:45]
	v_fma_f64 v[26:27], v[26:27], v[38:39], -v[40:41]
	s_wait_loadcnt_dscnt 0x401
	v_mul_f64_e32 v[161:162], v[2:3], v[157:158]
	v_mul_f64_e32 v[157:158], v[4:5], v[157:158]
	s_wait_dscnt 0x0
	v_mul_f64_e32 v[38:39], v[30:31], v[8:9]
	v_mul_f64_e32 v[8:9], v[32:33], v[8:9]
	v_add_f64_e32 v[34:35], v[36:37], v[34:35]
	v_add_f64_e32 v[36:37], v[42:43], v[159:160]
	v_fma_f64 v[40:41], v[4:5], v[155:156], v[161:162]
	v_fma_f64 v[42:43], v[2:3], v[155:156], -v[157:158]
	v_fma_f64 v[32:33], v[32:33], v[6:7], v[38:39]
	v_fma_f64 v[6:7], v[30:31], v[6:7], -v[8:9]
	v_add_f64_e32 v[34:35], v[34:35], v[26:27]
	v_add_f64_e32 v[36:37], v[36:37], v[28:29]
	ds_load_b128 v[2:5], v1 offset:1600
	ds_load_b128 v[26:29], v1 offset:1616
	s_wait_loadcnt_dscnt 0x301
	v_mul_f64_e32 v[44:45], v[2:3], v[12:13]
	v_mul_f64_e32 v[12:13], v[4:5], v[12:13]
	v_add_f64_e32 v[8:9], v[34:35], v[42:43]
	v_add_f64_e32 v[30:31], v[36:37], v[40:41]
	s_wait_loadcnt_dscnt 0x200
	v_mul_f64_e32 v[34:35], v[26:27], v[16:17]
	v_mul_f64_e32 v[16:17], v[28:29], v[16:17]
	v_fma_f64 v[36:37], v[4:5], v[10:11], v[44:45]
	v_fma_f64 v[10:11], v[2:3], v[10:11], -v[12:13]
	v_add_f64_e32 v[12:13], v[8:9], v[6:7]
	v_add_f64_e32 v[30:31], v[30:31], v[32:33]
	ds_load_b128 v[2:5], v1 offset:1632
	ds_load_b128 v[6:9], v1 offset:1648
	v_fma_f64 v[28:29], v[28:29], v[14:15], v[34:35]
	v_fma_f64 v[14:15], v[26:27], v[14:15], -v[16:17]
	s_wait_loadcnt_dscnt 0x101
	v_mul_f64_e32 v[32:33], v[2:3], v[20:21]
	v_mul_f64_e32 v[20:21], v[4:5], v[20:21]
	s_wait_loadcnt_dscnt 0x0
	v_mul_f64_e32 v[16:17], v[6:7], v[24:25]
	v_mul_f64_e32 v[24:25], v[8:9], v[24:25]
	v_add_f64_e32 v[10:11], v[12:13], v[10:11]
	v_add_f64_e32 v[12:13], v[30:31], v[36:37]
	v_fma_f64 v[4:5], v[4:5], v[18:19], v[32:33]
	v_fma_f64 v[1:2], v[2:3], v[18:19], -v[20:21]
	v_fma_f64 v[8:9], v[8:9], v[22:23], v[16:17]
	v_fma_f64 v[6:7], v[6:7], v[22:23], -v[24:25]
	v_add_f64_e32 v[10:11], v[10:11], v[14:15]
	v_add_f64_e32 v[12:13], v[12:13], v[28:29]
	s_delay_alu instid0(VALU_DEP_2) | instskip(NEXT) | instid1(VALU_DEP_2)
	v_add_f64_e32 v[1:2], v[10:11], v[1:2]
	v_add_f64_e32 v[3:4], v[12:13], v[4:5]
	s_delay_alu instid0(VALU_DEP_2) | instskip(NEXT) | instid1(VALU_DEP_2)
	v_add_f64_e32 v[1:2], v[1:2], v[6:7]
	v_add_f64_e32 v[3:4], v[3:4], v[8:9]
	s_delay_alu instid0(VALU_DEP_2) | instskip(NEXT) | instid1(VALU_DEP_2)
	v_add_f64_e64 v[1:2], v[151:152], -v[1:2]
	v_add_f64_e64 v[3:4], v[153:154], -v[3:4]
	scratch_store_b128 off, v[1:4], off offset:256
	v_cmpx_lt_u32_e32 14, v0
	s_cbranch_execz .LBB115_297
; %bb.296:
	scratch_load_b128 v[1:4], off, s51
	v_mov_b32_e32 v5, 0
	s_delay_alu instid0(VALU_DEP_1)
	v_dual_mov_b32 v6, v5 :: v_dual_mov_b32 v7, v5
	v_mov_b32_e32 v8, v5
	scratch_store_b128 off, v[5:8], off offset:240
	s_wait_loadcnt 0x0
	ds_store_b128 v150, v[1:4]
.LBB115_297:
	s_wait_alu 0xfffe
	s_or_b32 exec_lo, exec_lo, s0
	s_wait_storecnt_dscnt 0x0
	s_barrier_signal -1
	s_barrier_wait -1
	global_inv scope:SCOPE_SE
	s_clause 0x7
	scratch_load_b128 v[2:5], off, off offset:256
	scratch_load_b128 v[6:9], off, off offset:272
	;; [unrolled: 1-line block ×8, first 2 shown]
	v_mov_b32_e32 v1, 0
	s_mov_b32 s0, exec_lo
	ds_load_b128 v[38:41], v1 offset:1072
	s_clause 0x1
	scratch_load_b128 v[34:37], off, off offset:384
	scratch_load_b128 v[42:45], off, off offset:240
	ds_load_b128 v[151:154], v1 offset:1088
	scratch_load_b128 v[155:158], off, off offset:400
	s_wait_loadcnt_dscnt 0xa01
	v_mul_f64_e32 v[159:160], v[40:41], v[4:5]
	v_mul_f64_e32 v[4:5], v[38:39], v[4:5]
	s_delay_alu instid0(VALU_DEP_2) | instskip(NEXT) | instid1(VALU_DEP_2)
	v_fma_f64 v[165:166], v[38:39], v[2:3], -v[159:160]
	v_fma_f64 v[167:168], v[40:41], v[2:3], v[4:5]
	ds_load_b128 v[2:5], v1 offset:1104
	s_wait_loadcnt_dscnt 0x901
	v_mul_f64_e32 v[163:164], v[151:152], v[8:9]
	v_mul_f64_e32 v[8:9], v[153:154], v[8:9]
	scratch_load_b128 v[38:41], off, off offset:416
	ds_load_b128 v[159:162], v1 offset:1120
	s_wait_loadcnt_dscnt 0x901
	v_mul_f64_e32 v[169:170], v[2:3], v[12:13]
	v_mul_f64_e32 v[12:13], v[4:5], v[12:13]
	v_fma_f64 v[153:154], v[153:154], v[6:7], v[163:164]
	v_fma_f64 v[151:152], v[151:152], v[6:7], -v[8:9]
	v_add_f64_e32 v[163:164], 0, v[165:166]
	v_add_f64_e32 v[165:166], 0, v[167:168]
	scratch_load_b128 v[6:9], off, off offset:432
	v_fma_f64 v[169:170], v[4:5], v[10:11], v[169:170]
	v_fma_f64 v[171:172], v[2:3], v[10:11], -v[12:13]
	ds_load_b128 v[2:5], v1 offset:1136
	s_wait_loadcnt_dscnt 0x901
	v_mul_f64_e32 v[167:168], v[159:160], v[16:17]
	v_mul_f64_e32 v[16:17], v[161:162], v[16:17]
	scratch_load_b128 v[10:13], off, off offset:448
	v_add_f64_e32 v[163:164], v[163:164], v[151:152]
	v_add_f64_e32 v[165:166], v[165:166], v[153:154]
	s_wait_loadcnt_dscnt 0x900
	v_mul_f64_e32 v[173:174], v[2:3], v[20:21]
	v_mul_f64_e32 v[20:21], v[4:5], v[20:21]
	ds_load_b128 v[151:154], v1 offset:1152
	v_fma_f64 v[161:162], v[161:162], v[14:15], v[167:168]
	v_fma_f64 v[159:160], v[159:160], v[14:15], -v[16:17]
	scratch_load_b128 v[14:17], off, off offset:464
	v_add_f64_e32 v[163:164], v[163:164], v[171:172]
	v_add_f64_e32 v[165:166], v[165:166], v[169:170]
	v_fma_f64 v[169:170], v[4:5], v[18:19], v[173:174]
	v_fma_f64 v[171:172], v[2:3], v[18:19], -v[20:21]
	ds_load_b128 v[2:5], v1 offset:1168
	s_wait_loadcnt_dscnt 0x901
	v_mul_f64_e32 v[167:168], v[151:152], v[24:25]
	v_mul_f64_e32 v[24:25], v[153:154], v[24:25]
	scratch_load_b128 v[18:21], off, off offset:480
	s_wait_loadcnt_dscnt 0x900
	v_mul_f64_e32 v[173:174], v[2:3], v[28:29]
	v_mul_f64_e32 v[28:29], v[4:5], v[28:29]
	v_add_f64_e32 v[163:164], v[163:164], v[159:160]
	v_add_f64_e32 v[165:166], v[165:166], v[161:162]
	ds_load_b128 v[159:162], v1 offset:1184
	v_fma_f64 v[153:154], v[153:154], v[22:23], v[167:168]
	v_fma_f64 v[151:152], v[151:152], v[22:23], -v[24:25]
	scratch_load_b128 v[22:25], off, off offset:496
	v_add_f64_e32 v[163:164], v[163:164], v[171:172]
	v_add_f64_e32 v[165:166], v[165:166], v[169:170]
	v_fma_f64 v[169:170], v[4:5], v[26:27], v[173:174]
	v_fma_f64 v[171:172], v[2:3], v[26:27], -v[28:29]
	ds_load_b128 v[2:5], v1 offset:1200
	s_wait_loadcnt_dscnt 0x901
	v_mul_f64_e32 v[167:168], v[159:160], v[32:33]
	v_mul_f64_e32 v[32:33], v[161:162], v[32:33]
	scratch_load_b128 v[26:29], off, off offset:512
	s_wait_loadcnt_dscnt 0x900
	v_mul_f64_e32 v[173:174], v[2:3], v[36:37]
	v_mul_f64_e32 v[36:37], v[4:5], v[36:37]
	v_add_f64_e32 v[163:164], v[163:164], v[151:152]
	v_add_f64_e32 v[165:166], v[165:166], v[153:154]
	ds_load_b128 v[151:154], v1 offset:1216
	v_fma_f64 v[161:162], v[161:162], v[30:31], v[167:168]
	v_fma_f64 v[159:160], v[159:160], v[30:31], -v[32:33]
	scratch_load_b128 v[30:33], off, off offset:528
	v_add_f64_e32 v[163:164], v[163:164], v[171:172]
	v_add_f64_e32 v[165:166], v[165:166], v[169:170]
	v_fma_f64 v[171:172], v[4:5], v[34:35], v[173:174]
	v_fma_f64 v[173:174], v[2:3], v[34:35], -v[36:37]
	ds_load_b128 v[2:5], v1 offset:1232
	s_wait_loadcnt_dscnt 0x801
	v_mul_f64_e32 v[167:168], v[151:152], v[157:158]
	v_mul_f64_e32 v[169:170], v[153:154], v[157:158]
	scratch_load_b128 v[34:37], off, off offset:544
	v_add_f64_e32 v[163:164], v[163:164], v[159:160]
	v_add_f64_e32 v[161:162], v[165:166], v[161:162]
	ds_load_b128 v[157:160], v1 offset:1248
	v_fma_f64 v[167:168], v[153:154], v[155:156], v[167:168]
	v_fma_f64 v[155:156], v[151:152], v[155:156], -v[169:170]
	scratch_load_b128 v[151:154], off, off offset:560
	s_wait_loadcnt_dscnt 0x901
	v_mul_f64_e32 v[165:166], v[2:3], v[40:41]
	v_mul_f64_e32 v[40:41], v[4:5], v[40:41]
	v_add_f64_e32 v[163:164], v[163:164], v[173:174]
	v_add_f64_e32 v[161:162], v[161:162], v[171:172]
	s_delay_alu instid0(VALU_DEP_4) | instskip(NEXT) | instid1(VALU_DEP_4)
	v_fma_f64 v[165:166], v[4:5], v[38:39], v[165:166]
	v_fma_f64 v[171:172], v[2:3], v[38:39], -v[40:41]
	ds_load_b128 v[2:5], v1 offset:1264
	s_wait_loadcnt_dscnt 0x801
	v_mul_f64_e32 v[169:170], v[157:158], v[8:9]
	v_mul_f64_e32 v[8:9], v[159:160], v[8:9]
	scratch_load_b128 v[38:41], off, off offset:576
	s_wait_loadcnt_dscnt 0x800
	v_mul_f64_e32 v[173:174], v[2:3], v[12:13]
	v_add_f64_e32 v[155:156], v[163:164], v[155:156]
	v_add_f64_e32 v[167:168], v[161:162], v[167:168]
	v_mul_f64_e32 v[12:13], v[4:5], v[12:13]
	ds_load_b128 v[161:164], v1 offset:1280
	v_fma_f64 v[159:160], v[159:160], v[6:7], v[169:170]
	v_fma_f64 v[157:158], v[157:158], v[6:7], -v[8:9]
	scratch_load_b128 v[6:9], off, off offset:592
	v_fma_f64 v[169:170], v[4:5], v[10:11], v[173:174]
	v_add_f64_e32 v[155:156], v[155:156], v[171:172]
	v_add_f64_e32 v[165:166], v[167:168], v[165:166]
	v_fma_f64 v[171:172], v[2:3], v[10:11], -v[12:13]
	ds_load_b128 v[2:5], v1 offset:1296
	s_wait_loadcnt_dscnt 0x801
	v_mul_f64_e32 v[167:168], v[161:162], v[16:17]
	v_mul_f64_e32 v[16:17], v[163:164], v[16:17]
	scratch_load_b128 v[10:13], off, off offset:608
	v_add_f64_e32 v[173:174], v[155:156], v[157:158]
	v_add_f64_e32 v[159:160], v[165:166], v[159:160]
	s_wait_loadcnt_dscnt 0x800
	v_mul_f64_e32 v[165:166], v[2:3], v[20:21]
	v_mul_f64_e32 v[20:21], v[4:5], v[20:21]
	v_fma_f64 v[163:164], v[163:164], v[14:15], v[167:168]
	v_fma_f64 v[161:162], v[161:162], v[14:15], -v[16:17]
	ds_load_b128 v[155:158], v1 offset:1312
	scratch_load_b128 v[14:17], off, off offset:624
	v_add_f64_e32 v[167:168], v[173:174], v[171:172]
	v_add_f64_e32 v[159:160], v[159:160], v[169:170]
	v_fma_f64 v[165:166], v[4:5], v[18:19], v[165:166]
	v_fma_f64 v[171:172], v[2:3], v[18:19], -v[20:21]
	ds_load_b128 v[2:5], v1 offset:1328
	s_wait_loadcnt_dscnt 0x801
	v_mul_f64_e32 v[169:170], v[155:156], v[24:25]
	v_mul_f64_e32 v[24:25], v[157:158], v[24:25]
	scratch_load_b128 v[18:21], off, off offset:640
	s_wait_loadcnt_dscnt 0x800
	v_mul_f64_e32 v[173:174], v[2:3], v[28:29]
	v_mul_f64_e32 v[28:29], v[4:5], v[28:29]
	v_add_f64_e32 v[167:168], v[167:168], v[161:162]
	v_add_f64_e32 v[163:164], v[159:160], v[163:164]
	ds_load_b128 v[159:162], v1 offset:1344
	v_fma_f64 v[157:158], v[157:158], v[22:23], v[169:170]
	v_fma_f64 v[155:156], v[155:156], v[22:23], -v[24:25]
	scratch_load_b128 v[22:25], off, off offset:656
	v_fma_f64 v[169:170], v[4:5], v[26:27], v[173:174]
	v_add_f64_e32 v[167:168], v[167:168], v[171:172]
	v_add_f64_e32 v[163:164], v[163:164], v[165:166]
	v_fma_f64 v[171:172], v[2:3], v[26:27], -v[28:29]
	ds_load_b128 v[2:5], v1 offset:1360
	s_wait_loadcnt_dscnt 0x801
	v_mul_f64_e32 v[165:166], v[159:160], v[32:33]
	v_mul_f64_e32 v[32:33], v[161:162], v[32:33]
	scratch_load_b128 v[26:29], off, off offset:672
	s_wait_loadcnt_dscnt 0x800
	v_mul_f64_e32 v[173:174], v[2:3], v[36:37]
	v_mul_f64_e32 v[36:37], v[4:5], v[36:37]
	v_add_f64_e32 v[167:168], v[167:168], v[155:156]
	v_add_f64_e32 v[163:164], v[163:164], v[157:158]
	ds_load_b128 v[155:158], v1 offset:1376
	v_fma_f64 v[161:162], v[161:162], v[30:31], v[165:166]
	v_fma_f64 v[159:160], v[159:160], v[30:31], -v[32:33]
	scratch_load_b128 v[30:33], off, off offset:688
	v_add_f64_e32 v[165:166], v[167:168], v[171:172]
	v_add_f64_e32 v[163:164], v[163:164], v[169:170]
	v_fma_f64 v[169:170], v[4:5], v[34:35], v[173:174]
	v_fma_f64 v[171:172], v[2:3], v[34:35], -v[36:37]
	ds_load_b128 v[2:5], v1 offset:1392
	s_wait_loadcnt_dscnt 0x801
	v_mul_f64_e32 v[167:168], v[155:156], v[153:154]
	v_mul_f64_e32 v[153:154], v[157:158], v[153:154]
	scratch_load_b128 v[34:37], off, off offset:704
	s_wait_loadcnt_dscnt 0x800
	v_mul_f64_e32 v[173:174], v[2:3], v[40:41]
	v_mul_f64_e32 v[40:41], v[4:5], v[40:41]
	v_add_f64_e32 v[165:166], v[165:166], v[159:160]
	v_add_f64_e32 v[163:164], v[163:164], v[161:162]
	ds_load_b128 v[159:162], v1 offset:1408
	v_fma_f64 v[157:158], v[157:158], v[151:152], v[167:168]
	v_fma_f64 v[155:156], v[155:156], v[151:152], -v[153:154]
	scratch_load_b128 v[151:154], off, off offset:720
	v_add_f64_e32 v[165:166], v[165:166], v[171:172]
	v_add_f64_e32 v[163:164], v[163:164], v[169:170]
	v_fma_f64 v[169:170], v[4:5], v[38:39], v[173:174]
	;; [unrolled: 18-line block ×5, first 2 shown]
	v_fma_f64 v[171:172], v[2:3], v[26:27], -v[28:29]
	ds_load_b128 v[2:5], v1 offset:1520
	s_wait_loadcnt_dscnt 0x801
	v_mul_f64_e32 v[167:168], v[155:156], v[32:33]
	v_mul_f64_e32 v[32:33], v[157:158], v[32:33]
	scratch_load_b128 v[26:29], off, off offset:832
	s_wait_loadcnt_dscnt 0x800
	v_mul_f64_e32 v[173:174], v[2:3], v[36:37]
	v_mul_f64_e32 v[36:37], v[4:5], v[36:37]
	v_add_f64_e32 v[165:166], v[165:166], v[159:160]
	v_add_f64_e32 v[163:164], v[163:164], v[161:162]
	ds_load_b128 v[159:162], v1 offset:1536
	v_fma_f64 v[157:158], v[157:158], v[30:31], v[167:168]
	v_fma_f64 v[30:31], v[155:156], v[30:31], -v[32:33]
	v_add_f64_e32 v[32:33], v[165:166], v[171:172]
	v_add_f64_e32 v[155:156], v[163:164], v[169:170]
	s_wait_loadcnt_dscnt 0x700
	v_mul_f64_e32 v[163:164], v[159:160], v[153:154]
	v_mul_f64_e32 v[153:154], v[161:162], v[153:154]
	v_fma_f64 v[165:166], v[4:5], v[34:35], v[173:174]
	v_fma_f64 v[34:35], v[2:3], v[34:35], -v[36:37]
	v_add_f64_e32 v[36:37], v[32:33], v[30:31]
	v_add_f64_e32 v[155:156], v[155:156], v[157:158]
	ds_load_b128 v[2:5], v1 offset:1552
	ds_load_b128 v[30:33], v1 offset:1568
	v_fma_f64 v[161:162], v[161:162], v[151:152], v[163:164]
	v_fma_f64 v[151:152], v[159:160], v[151:152], -v[153:154]
	s_wait_loadcnt_dscnt 0x601
	v_mul_f64_e32 v[157:158], v[2:3], v[40:41]
	v_mul_f64_e32 v[40:41], v[4:5], v[40:41]
	s_wait_loadcnt_dscnt 0x500
	v_mul_f64_e32 v[153:154], v[30:31], v[8:9]
	v_mul_f64_e32 v[8:9], v[32:33], v[8:9]
	v_add_f64_e32 v[34:35], v[36:37], v[34:35]
	v_add_f64_e32 v[36:37], v[155:156], v[165:166]
	v_fma_f64 v[155:156], v[4:5], v[38:39], v[157:158]
	v_fma_f64 v[38:39], v[2:3], v[38:39], -v[40:41]
	v_fma_f64 v[32:33], v[32:33], v[6:7], v[153:154]
	v_fma_f64 v[6:7], v[30:31], v[6:7], -v[8:9]
	v_add_f64_e32 v[40:41], v[34:35], v[151:152]
	v_add_f64_e32 v[151:152], v[36:37], v[161:162]
	ds_load_b128 v[2:5], v1 offset:1584
	ds_load_b128 v[34:37], v1 offset:1600
	s_wait_loadcnt_dscnt 0x401
	v_mul_f64_e32 v[157:158], v[2:3], v[12:13]
	v_mul_f64_e32 v[12:13], v[4:5], v[12:13]
	v_add_f64_e32 v[8:9], v[40:41], v[38:39]
	v_add_f64_e32 v[30:31], v[151:152], v[155:156]
	s_wait_loadcnt_dscnt 0x300
	v_mul_f64_e32 v[38:39], v[34:35], v[16:17]
	v_mul_f64_e32 v[16:17], v[36:37], v[16:17]
	v_fma_f64 v[40:41], v[4:5], v[10:11], v[157:158]
	v_fma_f64 v[10:11], v[2:3], v[10:11], -v[12:13]
	v_add_f64_e32 v[12:13], v[8:9], v[6:7]
	v_add_f64_e32 v[30:31], v[30:31], v[32:33]
	ds_load_b128 v[2:5], v1 offset:1616
	ds_load_b128 v[6:9], v1 offset:1632
	v_fma_f64 v[36:37], v[36:37], v[14:15], v[38:39]
	v_fma_f64 v[14:15], v[34:35], v[14:15], -v[16:17]
	s_wait_loadcnt_dscnt 0x201
	v_mul_f64_e32 v[32:33], v[2:3], v[20:21]
	v_mul_f64_e32 v[20:21], v[4:5], v[20:21]
	s_wait_loadcnt_dscnt 0x100
	v_mul_f64_e32 v[16:17], v[6:7], v[24:25]
	v_mul_f64_e32 v[24:25], v[8:9], v[24:25]
	v_add_f64_e32 v[10:11], v[12:13], v[10:11]
	v_add_f64_e32 v[12:13], v[30:31], v[40:41]
	v_fma_f64 v[30:31], v[4:5], v[18:19], v[32:33]
	v_fma_f64 v[18:19], v[2:3], v[18:19], -v[20:21]
	ds_load_b128 v[2:5], v1 offset:1648
	v_fma_f64 v[8:9], v[8:9], v[22:23], v[16:17]
	v_fma_f64 v[6:7], v[6:7], v[22:23], -v[24:25]
	v_add_f64_e32 v[10:11], v[10:11], v[14:15]
	v_add_f64_e32 v[12:13], v[12:13], v[36:37]
	s_wait_loadcnt_dscnt 0x0
	v_mul_f64_e32 v[14:15], v[2:3], v[28:29]
	v_mul_f64_e32 v[20:21], v[4:5], v[28:29]
	s_delay_alu instid0(VALU_DEP_4) | instskip(NEXT) | instid1(VALU_DEP_4)
	v_add_f64_e32 v[10:11], v[10:11], v[18:19]
	v_add_f64_e32 v[12:13], v[12:13], v[30:31]
	s_delay_alu instid0(VALU_DEP_4) | instskip(NEXT) | instid1(VALU_DEP_4)
	v_fma_f64 v[4:5], v[4:5], v[26:27], v[14:15]
	v_fma_f64 v[2:3], v[2:3], v[26:27], -v[20:21]
	s_delay_alu instid0(VALU_DEP_4) | instskip(NEXT) | instid1(VALU_DEP_4)
	v_add_f64_e32 v[6:7], v[10:11], v[6:7]
	v_add_f64_e32 v[8:9], v[12:13], v[8:9]
	s_delay_alu instid0(VALU_DEP_2) | instskip(NEXT) | instid1(VALU_DEP_2)
	v_add_f64_e32 v[2:3], v[6:7], v[2:3]
	v_add_f64_e32 v[4:5], v[8:9], v[4:5]
	s_delay_alu instid0(VALU_DEP_2) | instskip(NEXT) | instid1(VALU_DEP_2)
	v_add_f64_e64 v[2:3], v[42:43], -v[2:3]
	v_add_f64_e64 v[4:5], v[44:45], -v[4:5]
	scratch_store_b128 off, v[2:5], off offset:240
	v_cmpx_lt_u32_e32 13, v0
	s_cbranch_execz .LBB115_299
; %bb.298:
	scratch_load_b128 v[5:8], off, s52
	v_dual_mov_b32 v2, v1 :: v_dual_mov_b32 v3, v1
	v_mov_b32_e32 v4, v1
	scratch_store_b128 off, v[1:4], off offset:224
	s_wait_loadcnt 0x0
	ds_store_b128 v150, v[5:8]
.LBB115_299:
	s_wait_alu 0xfffe
	s_or_b32 exec_lo, exec_lo, s0
	s_wait_storecnt_dscnt 0x0
	s_barrier_signal -1
	s_barrier_wait -1
	global_inv scope:SCOPE_SE
	s_clause 0x8
	scratch_load_b128 v[2:5], off, off offset:240
	scratch_load_b128 v[6:9], off, off offset:256
	;; [unrolled: 1-line block ×9, first 2 shown]
	ds_load_b128 v[42:45], v1 offset:1056
	ds_load_b128 v[38:41], v1 offset:1072
	s_clause 0x1
	scratch_load_b128 v[151:154], off, off offset:224
	scratch_load_b128 v[155:158], off, off offset:384
	s_mov_b32 s0, exec_lo
	s_wait_loadcnt_dscnt 0xa01
	v_mul_f64_e32 v[159:160], v[44:45], v[4:5]
	v_mul_f64_e32 v[4:5], v[42:43], v[4:5]
	s_wait_loadcnt_dscnt 0x900
	v_mul_f64_e32 v[163:164], v[38:39], v[8:9]
	v_mul_f64_e32 v[8:9], v[40:41], v[8:9]
	s_delay_alu instid0(VALU_DEP_4) | instskip(NEXT) | instid1(VALU_DEP_4)
	v_fma_f64 v[165:166], v[42:43], v[2:3], -v[159:160]
	v_fma_f64 v[167:168], v[44:45], v[2:3], v[4:5]
	ds_load_b128 v[2:5], v1 offset:1088
	ds_load_b128 v[159:162], v1 offset:1104
	scratch_load_b128 v[42:45], off, off offset:400
	v_fma_f64 v[40:41], v[40:41], v[6:7], v[163:164]
	v_fma_f64 v[38:39], v[38:39], v[6:7], -v[8:9]
	scratch_load_b128 v[6:9], off, off offset:416
	s_wait_loadcnt_dscnt 0xa01
	v_mul_f64_e32 v[169:170], v[2:3], v[12:13]
	v_mul_f64_e32 v[12:13], v[4:5], v[12:13]
	v_add_f64_e32 v[163:164], 0, v[165:166]
	v_add_f64_e32 v[165:166], 0, v[167:168]
	s_wait_loadcnt_dscnt 0x900
	v_mul_f64_e32 v[167:168], v[159:160], v[16:17]
	v_mul_f64_e32 v[16:17], v[161:162], v[16:17]
	v_fma_f64 v[169:170], v[4:5], v[10:11], v[169:170]
	v_fma_f64 v[171:172], v[2:3], v[10:11], -v[12:13]
	ds_load_b128 v[2:5], v1 offset:1120
	scratch_load_b128 v[10:13], off, off offset:432
	v_add_f64_e32 v[163:164], v[163:164], v[38:39]
	v_add_f64_e32 v[165:166], v[165:166], v[40:41]
	ds_load_b128 v[38:41], v1 offset:1136
	v_fma_f64 v[161:162], v[161:162], v[14:15], v[167:168]
	v_fma_f64 v[159:160], v[159:160], v[14:15], -v[16:17]
	scratch_load_b128 v[14:17], off, off offset:448
	s_wait_loadcnt_dscnt 0xa01
	v_mul_f64_e32 v[173:174], v[2:3], v[20:21]
	v_mul_f64_e32 v[20:21], v[4:5], v[20:21]
	s_wait_loadcnt_dscnt 0x900
	v_mul_f64_e32 v[167:168], v[38:39], v[24:25]
	v_mul_f64_e32 v[24:25], v[40:41], v[24:25]
	v_add_f64_e32 v[163:164], v[163:164], v[171:172]
	v_add_f64_e32 v[165:166], v[165:166], v[169:170]
	v_fma_f64 v[169:170], v[4:5], v[18:19], v[173:174]
	v_fma_f64 v[171:172], v[2:3], v[18:19], -v[20:21]
	ds_load_b128 v[2:5], v1 offset:1152
	scratch_load_b128 v[18:21], off, off offset:464
	v_fma_f64 v[40:41], v[40:41], v[22:23], v[167:168]
	v_fma_f64 v[38:39], v[38:39], v[22:23], -v[24:25]
	scratch_load_b128 v[22:25], off, off offset:480
	v_add_f64_e32 v[163:164], v[163:164], v[159:160]
	v_add_f64_e32 v[165:166], v[165:166], v[161:162]
	ds_load_b128 v[159:162], v1 offset:1168
	s_wait_loadcnt_dscnt 0xa01
	v_mul_f64_e32 v[173:174], v[2:3], v[28:29]
	v_mul_f64_e32 v[28:29], v[4:5], v[28:29]
	s_wait_loadcnt_dscnt 0x900
	v_mul_f64_e32 v[167:168], v[159:160], v[32:33]
	v_mul_f64_e32 v[32:33], v[161:162], v[32:33]
	v_add_f64_e32 v[163:164], v[163:164], v[171:172]
	v_add_f64_e32 v[165:166], v[165:166], v[169:170]
	v_fma_f64 v[169:170], v[4:5], v[26:27], v[173:174]
	v_fma_f64 v[171:172], v[2:3], v[26:27], -v[28:29]
	ds_load_b128 v[2:5], v1 offset:1184
	scratch_load_b128 v[26:29], off, off offset:496
	v_fma_f64 v[161:162], v[161:162], v[30:31], v[167:168]
	v_fma_f64 v[159:160], v[159:160], v[30:31], -v[32:33]
	scratch_load_b128 v[30:33], off, off offset:512
	v_add_f64_e32 v[163:164], v[163:164], v[38:39]
	v_add_f64_e32 v[165:166], v[165:166], v[40:41]
	ds_load_b128 v[38:41], v1 offset:1200
	s_wait_loadcnt_dscnt 0xa01
	v_mul_f64_e32 v[173:174], v[2:3], v[36:37]
	v_mul_f64_e32 v[36:37], v[4:5], v[36:37]
	s_wait_loadcnt_dscnt 0x800
	v_mul_f64_e32 v[167:168], v[38:39], v[157:158]
	v_add_f64_e32 v[163:164], v[163:164], v[171:172]
	v_add_f64_e32 v[165:166], v[165:166], v[169:170]
	v_mul_f64_e32 v[169:170], v[40:41], v[157:158]
	v_fma_f64 v[171:172], v[4:5], v[34:35], v[173:174]
	v_fma_f64 v[173:174], v[2:3], v[34:35], -v[36:37]
	ds_load_b128 v[2:5], v1 offset:1216
	scratch_load_b128 v[34:37], off, off offset:528
	v_fma_f64 v[167:168], v[40:41], v[155:156], v[167:168]
	v_add_f64_e32 v[163:164], v[163:164], v[159:160]
	v_add_f64_e32 v[161:162], v[165:166], v[161:162]
	ds_load_b128 v[157:160], v1 offset:1232
	v_fma_f64 v[155:156], v[38:39], v[155:156], -v[169:170]
	scratch_load_b128 v[38:41], off, off offset:544
	s_wait_loadcnt_dscnt 0x901
	v_mul_f64_e32 v[165:166], v[2:3], v[44:45]
	v_mul_f64_e32 v[44:45], v[4:5], v[44:45]
	s_wait_loadcnt_dscnt 0x800
	v_mul_f64_e32 v[169:170], v[157:158], v[8:9]
	v_mul_f64_e32 v[8:9], v[159:160], v[8:9]
	v_add_f64_e32 v[163:164], v[163:164], v[173:174]
	v_add_f64_e32 v[161:162], v[161:162], v[171:172]
	v_fma_f64 v[165:166], v[4:5], v[42:43], v[165:166]
	v_fma_f64 v[171:172], v[2:3], v[42:43], -v[44:45]
	ds_load_b128 v[2:5], v1 offset:1248
	scratch_load_b128 v[42:45], off, off offset:560
	v_fma_f64 v[159:160], v[159:160], v[6:7], v[169:170]
	v_fma_f64 v[157:158], v[157:158], v[6:7], -v[8:9]
	scratch_load_b128 v[6:9], off, off offset:576
	v_add_f64_e32 v[155:156], v[163:164], v[155:156]
	v_add_f64_e32 v[167:168], v[161:162], v[167:168]
	ds_load_b128 v[161:164], v1 offset:1264
	s_wait_loadcnt_dscnt 0x901
	v_mul_f64_e32 v[173:174], v[2:3], v[12:13]
	v_mul_f64_e32 v[12:13], v[4:5], v[12:13]
	v_add_f64_e32 v[155:156], v[155:156], v[171:172]
	v_add_f64_e32 v[165:166], v[167:168], v[165:166]
	s_wait_loadcnt_dscnt 0x800
	v_mul_f64_e32 v[167:168], v[161:162], v[16:17]
	v_mul_f64_e32 v[16:17], v[163:164], v[16:17]
	v_fma_f64 v[169:170], v[4:5], v[10:11], v[173:174]
	v_fma_f64 v[171:172], v[2:3], v[10:11], -v[12:13]
	ds_load_b128 v[2:5], v1 offset:1280
	scratch_load_b128 v[10:13], off, off offset:592
	v_add_f64_e32 v[173:174], v[155:156], v[157:158]
	v_add_f64_e32 v[159:160], v[165:166], v[159:160]
	ds_load_b128 v[155:158], v1 offset:1296
	s_wait_loadcnt_dscnt 0x801
	v_mul_f64_e32 v[165:166], v[2:3], v[20:21]
	v_mul_f64_e32 v[20:21], v[4:5], v[20:21]
	v_fma_f64 v[163:164], v[163:164], v[14:15], v[167:168]
	v_fma_f64 v[161:162], v[161:162], v[14:15], -v[16:17]
	scratch_load_b128 v[14:17], off, off offset:608
	v_add_f64_e32 v[167:168], v[173:174], v[171:172]
	v_add_f64_e32 v[159:160], v[159:160], v[169:170]
	s_wait_loadcnt_dscnt 0x800
	v_mul_f64_e32 v[169:170], v[155:156], v[24:25]
	v_mul_f64_e32 v[24:25], v[157:158], v[24:25]
	v_fma_f64 v[165:166], v[4:5], v[18:19], v[165:166]
	v_fma_f64 v[171:172], v[2:3], v[18:19], -v[20:21]
	ds_load_b128 v[2:5], v1 offset:1312
	scratch_load_b128 v[18:21], off, off offset:624
	v_add_f64_e32 v[167:168], v[167:168], v[161:162]
	v_add_f64_e32 v[163:164], v[159:160], v[163:164]
	ds_load_b128 v[159:162], v1 offset:1328
	s_wait_loadcnt_dscnt 0x801
	v_mul_f64_e32 v[173:174], v[2:3], v[28:29]
	v_mul_f64_e32 v[28:29], v[4:5], v[28:29]
	v_fma_f64 v[157:158], v[157:158], v[22:23], v[169:170]
	v_fma_f64 v[155:156], v[155:156], v[22:23], -v[24:25]
	scratch_load_b128 v[22:25], off, off offset:640
	;; [unrolled: 18-line block ×4, first 2 shown]
	s_wait_loadcnt_dscnt 0x800
	v_mul_f64_e32 v[167:168], v[159:160], v[8:9]
	v_mul_f64_e32 v[8:9], v[161:162], v[8:9]
	v_add_f64_e32 v[165:166], v[165:166], v[171:172]
	v_add_f64_e32 v[163:164], v[163:164], v[169:170]
	v_fma_f64 v[169:170], v[4:5], v[42:43], v[173:174]
	v_fma_f64 v[171:172], v[2:3], v[42:43], -v[44:45]
	ds_load_b128 v[2:5], v1 offset:1408
	scratch_load_b128 v[42:45], off, off offset:720
	v_fma_f64 v[161:162], v[161:162], v[6:7], v[167:168]
	v_fma_f64 v[159:160], v[159:160], v[6:7], -v[8:9]
	scratch_load_b128 v[6:9], off, off offset:736
	v_add_f64_e32 v[165:166], v[165:166], v[155:156]
	v_add_f64_e32 v[163:164], v[163:164], v[157:158]
	ds_load_b128 v[155:158], v1 offset:1424
	s_wait_loadcnt_dscnt 0x901
	v_mul_f64_e32 v[173:174], v[2:3], v[12:13]
	v_mul_f64_e32 v[12:13], v[4:5], v[12:13]
	s_wait_loadcnt_dscnt 0x800
	v_mul_f64_e32 v[167:168], v[155:156], v[16:17]
	v_mul_f64_e32 v[16:17], v[157:158], v[16:17]
	v_add_f64_e32 v[165:166], v[165:166], v[171:172]
	v_add_f64_e32 v[163:164], v[163:164], v[169:170]
	v_fma_f64 v[169:170], v[4:5], v[10:11], v[173:174]
	v_fma_f64 v[171:172], v[2:3], v[10:11], -v[12:13]
	ds_load_b128 v[2:5], v1 offset:1440
	scratch_load_b128 v[10:13], off, off offset:752
	v_fma_f64 v[157:158], v[157:158], v[14:15], v[167:168]
	v_fma_f64 v[155:156], v[155:156], v[14:15], -v[16:17]
	scratch_load_b128 v[14:17], off, off offset:768
	v_add_f64_e32 v[165:166], v[165:166], v[159:160]
	v_add_f64_e32 v[163:164], v[163:164], v[161:162]
	ds_load_b128 v[159:162], v1 offset:1456
	s_wait_loadcnt_dscnt 0x901
	v_mul_f64_e32 v[173:174], v[2:3], v[20:21]
	v_mul_f64_e32 v[20:21], v[4:5], v[20:21]
	;; [unrolled: 18-line block ×4, first 2 shown]
	s_wait_loadcnt_dscnt 0x800
	v_mul_f64_e32 v[167:168], v[159:160], v[40:41]
	v_mul_f64_e32 v[40:41], v[161:162], v[40:41]
	v_add_f64_e32 v[165:166], v[165:166], v[171:172]
	v_add_f64_e32 v[163:164], v[163:164], v[169:170]
	v_fma_f64 v[169:170], v[4:5], v[34:35], v[173:174]
	v_fma_f64 v[171:172], v[2:3], v[34:35], -v[36:37]
	ds_load_b128 v[2:5], v1 offset:1536
	ds_load_b128 v[34:37], v1 offset:1552
	v_fma_f64 v[161:162], v[161:162], v[38:39], v[167:168]
	v_fma_f64 v[38:39], v[159:160], v[38:39], -v[40:41]
	v_add_f64_e32 v[155:156], v[165:166], v[155:156]
	v_add_f64_e32 v[157:158], v[163:164], v[157:158]
	s_wait_loadcnt_dscnt 0x701
	v_mul_f64_e32 v[163:164], v[2:3], v[44:45]
	v_mul_f64_e32 v[44:45], v[4:5], v[44:45]
	s_delay_alu instid0(VALU_DEP_4) | instskip(NEXT) | instid1(VALU_DEP_4)
	v_add_f64_e32 v[40:41], v[155:156], v[171:172]
	v_add_f64_e32 v[155:156], v[157:158], v[169:170]
	s_wait_loadcnt_dscnt 0x600
	v_mul_f64_e32 v[157:158], v[34:35], v[8:9]
	v_mul_f64_e32 v[8:9], v[36:37], v[8:9]
	v_fma_f64 v[159:160], v[4:5], v[42:43], v[163:164]
	v_fma_f64 v[42:43], v[2:3], v[42:43], -v[44:45]
	v_add_f64_e32 v[44:45], v[40:41], v[38:39]
	v_add_f64_e32 v[155:156], v[155:156], v[161:162]
	ds_load_b128 v[2:5], v1 offset:1568
	ds_load_b128 v[38:41], v1 offset:1584
	v_fma_f64 v[36:37], v[36:37], v[6:7], v[157:158]
	v_fma_f64 v[6:7], v[34:35], v[6:7], -v[8:9]
	s_wait_loadcnt_dscnt 0x501
	v_mul_f64_e32 v[161:162], v[2:3], v[12:13]
	v_mul_f64_e32 v[12:13], v[4:5], v[12:13]
	v_add_f64_e32 v[8:9], v[44:45], v[42:43]
	v_add_f64_e32 v[34:35], v[155:156], v[159:160]
	s_wait_loadcnt_dscnt 0x400
	v_mul_f64_e32 v[42:43], v[38:39], v[16:17]
	v_mul_f64_e32 v[16:17], v[40:41], v[16:17]
	v_fma_f64 v[44:45], v[4:5], v[10:11], v[161:162]
	v_fma_f64 v[10:11], v[2:3], v[10:11], -v[12:13]
	v_add_f64_e32 v[12:13], v[8:9], v[6:7]
	v_add_f64_e32 v[34:35], v[34:35], v[36:37]
	ds_load_b128 v[2:5], v1 offset:1600
	ds_load_b128 v[6:9], v1 offset:1616
	v_fma_f64 v[40:41], v[40:41], v[14:15], v[42:43]
	v_fma_f64 v[14:15], v[38:39], v[14:15], -v[16:17]
	s_wait_loadcnt_dscnt 0x301
	v_mul_f64_e32 v[36:37], v[2:3], v[20:21]
	v_mul_f64_e32 v[20:21], v[4:5], v[20:21]
	s_wait_loadcnt_dscnt 0x200
	v_mul_f64_e32 v[16:17], v[6:7], v[24:25]
	v_mul_f64_e32 v[24:25], v[8:9], v[24:25]
	v_add_f64_e32 v[10:11], v[12:13], v[10:11]
	v_add_f64_e32 v[12:13], v[34:35], v[44:45]
	v_fma_f64 v[34:35], v[4:5], v[18:19], v[36:37]
	v_fma_f64 v[18:19], v[2:3], v[18:19], -v[20:21]
	v_fma_f64 v[8:9], v[8:9], v[22:23], v[16:17]
	v_fma_f64 v[6:7], v[6:7], v[22:23], -v[24:25]
	v_add_f64_e32 v[14:15], v[10:11], v[14:15]
	v_add_f64_e32 v[20:21], v[12:13], v[40:41]
	ds_load_b128 v[2:5], v1 offset:1632
	ds_load_b128 v[10:13], v1 offset:1648
	s_wait_loadcnt_dscnt 0x101
	v_mul_f64_e32 v[36:37], v[2:3], v[28:29]
	v_mul_f64_e32 v[28:29], v[4:5], v[28:29]
	v_add_f64_e32 v[14:15], v[14:15], v[18:19]
	v_add_f64_e32 v[16:17], v[20:21], v[34:35]
	s_wait_loadcnt_dscnt 0x0
	v_mul_f64_e32 v[18:19], v[10:11], v[32:33]
	v_mul_f64_e32 v[20:21], v[12:13], v[32:33]
	v_fma_f64 v[4:5], v[4:5], v[26:27], v[36:37]
	v_fma_f64 v[1:2], v[2:3], v[26:27], -v[28:29]
	v_add_f64_e32 v[6:7], v[14:15], v[6:7]
	v_add_f64_e32 v[8:9], v[16:17], v[8:9]
	v_fma_f64 v[12:13], v[12:13], v[30:31], v[18:19]
	v_fma_f64 v[10:11], v[10:11], v[30:31], -v[20:21]
	s_delay_alu instid0(VALU_DEP_4) | instskip(NEXT) | instid1(VALU_DEP_4)
	v_add_f64_e32 v[1:2], v[6:7], v[1:2]
	v_add_f64_e32 v[3:4], v[8:9], v[4:5]
	s_delay_alu instid0(VALU_DEP_2) | instskip(NEXT) | instid1(VALU_DEP_2)
	v_add_f64_e32 v[1:2], v[1:2], v[10:11]
	v_add_f64_e32 v[3:4], v[3:4], v[12:13]
	s_delay_alu instid0(VALU_DEP_2) | instskip(NEXT) | instid1(VALU_DEP_2)
	v_add_f64_e64 v[1:2], v[151:152], -v[1:2]
	v_add_f64_e64 v[3:4], v[153:154], -v[3:4]
	scratch_store_b128 off, v[1:4], off offset:224
	v_cmpx_lt_u32_e32 12, v0
	s_cbranch_execz .LBB115_301
; %bb.300:
	scratch_load_b128 v[1:4], off, s53
	v_mov_b32_e32 v5, 0
	s_delay_alu instid0(VALU_DEP_1)
	v_dual_mov_b32 v6, v5 :: v_dual_mov_b32 v7, v5
	v_mov_b32_e32 v8, v5
	scratch_store_b128 off, v[5:8], off offset:208
	s_wait_loadcnt 0x0
	ds_store_b128 v150, v[1:4]
.LBB115_301:
	s_wait_alu 0xfffe
	s_or_b32 exec_lo, exec_lo, s0
	s_wait_storecnt_dscnt 0x0
	s_barrier_signal -1
	s_barrier_wait -1
	global_inv scope:SCOPE_SE
	s_clause 0x7
	scratch_load_b128 v[2:5], off, off offset:224
	scratch_load_b128 v[6:9], off, off offset:240
	;; [unrolled: 1-line block ×8, first 2 shown]
	v_mov_b32_e32 v1, 0
	s_mov_b32 s0, exec_lo
	ds_load_b128 v[38:41], v1 offset:1040
	s_clause 0x1
	scratch_load_b128 v[34:37], off, off offset:352
	scratch_load_b128 v[42:45], off, off offset:208
	ds_load_b128 v[151:154], v1 offset:1056
	scratch_load_b128 v[155:158], off, off offset:368
	s_wait_loadcnt_dscnt 0xa01
	v_mul_f64_e32 v[159:160], v[40:41], v[4:5]
	v_mul_f64_e32 v[4:5], v[38:39], v[4:5]
	s_delay_alu instid0(VALU_DEP_2) | instskip(NEXT) | instid1(VALU_DEP_2)
	v_fma_f64 v[165:166], v[38:39], v[2:3], -v[159:160]
	v_fma_f64 v[167:168], v[40:41], v[2:3], v[4:5]
	ds_load_b128 v[2:5], v1 offset:1072
	s_wait_loadcnt_dscnt 0x901
	v_mul_f64_e32 v[163:164], v[151:152], v[8:9]
	v_mul_f64_e32 v[8:9], v[153:154], v[8:9]
	scratch_load_b128 v[38:41], off, off offset:384
	ds_load_b128 v[159:162], v1 offset:1088
	s_wait_loadcnt_dscnt 0x901
	v_mul_f64_e32 v[169:170], v[2:3], v[12:13]
	v_mul_f64_e32 v[12:13], v[4:5], v[12:13]
	v_fma_f64 v[153:154], v[153:154], v[6:7], v[163:164]
	v_fma_f64 v[151:152], v[151:152], v[6:7], -v[8:9]
	v_add_f64_e32 v[163:164], 0, v[165:166]
	v_add_f64_e32 v[165:166], 0, v[167:168]
	scratch_load_b128 v[6:9], off, off offset:400
	v_fma_f64 v[169:170], v[4:5], v[10:11], v[169:170]
	v_fma_f64 v[171:172], v[2:3], v[10:11], -v[12:13]
	ds_load_b128 v[2:5], v1 offset:1104
	s_wait_loadcnt_dscnt 0x901
	v_mul_f64_e32 v[167:168], v[159:160], v[16:17]
	v_mul_f64_e32 v[16:17], v[161:162], v[16:17]
	scratch_load_b128 v[10:13], off, off offset:416
	v_add_f64_e32 v[163:164], v[163:164], v[151:152]
	v_add_f64_e32 v[165:166], v[165:166], v[153:154]
	s_wait_loadcnt_dscnt 0x900
	v_mul_f64_e32 v[173:174], v[2:3], v[20:21]
	v_mul_f64_e32 v[20:21], v[4:5], v[20:21]
	ds_load_b128 v[151:154], v1 offset:1120
	v_fma_f64 v[161:162], v[161:162], v[14:15], v[167:168]
	v_fma_f64 v[159:160], v[159:160], v[14:15], -v[16:17]
	scratch_load_b128 v[14:17], off, off offset:432
	v_add_f64_e32 v[163:164], v[163:164], v[171:172]
	v_add_f64_e32 v[165:166], v[165:166], v[169:170]
	v_fma_f64 v[169:170], v[4:5], v[18:19], v[173:174]
	v_fma_f64 v[171:172], v[2:3], v[18:19], -v[20:21]
	ds_load_b128 v[2:5], v1 offset:1136
	s_wait_loadcnt_dscnt 0x901
	v_mul_f64_e32 v[167:168], v[151:152], v[24:25]
	v_mul_f64_e32 v[24:25], v[153:154], v[24:25]
	scratch_load_b128 v[18:21], off, off offset:448
	s_wait_loadcnt_dscnt 0x900
	v_mul_f64_e32 v[173:174], v[2:3], v[28:29]
	v_mul_f64_e32 v[28:29], v[4:5], v[28:29]
	v_add_f64_e32 v[163:164], v[163:164], v[159:160]
	v_add_f64_e32 v[165:166], v[165:166], v[161:162]
	ds_load_b128 v[159:162], v1 offset:1152
	v_fma_f64 v[153:154], v[153:154], v[22:23], v[167:168]
	v_fma_f64 v[151:152], v[151:152], v[22:23], -v[24:25]
	scratch_load_b128 v[22:25], off, off offset:464
	v_add_f64_e32 v[163:164], v[163:164], v[171:172]
	v_add_f64_e32 v[165:166], v[165:166], v[169:170]
	v_fma_f64 v[169:170], v[4:5], v[26:27], v[173:174]
	v_fma_f64 v[171:172], v[2:3], v[26:27], -v[28:29]
	ds_load_b128 v[2:5], v1 offset:1168
	s_wait_loadcnt_dscnt 0x901
	v_mul_f64_e32 v[167:168], v[159:160], v[32:33]
	v_mul_f64_e32 v[32:33], v[161:162], v[32:33]
	scratch_load_b128 v[26:29], off, off offset:480
	s_wait_loadcnt_dscnt 0x900
	v_mul_f64_e32 v[173:174], v[2:3], v[36:37]
	v_mul_f64_e32 v[36:37], v[4:5], v[36:37]
	v_add_f64_e32 v[163:164], v[163:164], v[151:152]
	v_add_f64_e32 v[165:166], v[165:166], v[153:154]
	ds_load_b128 v[151:154], v1 offset:1184
	v_fma_f64 v[161:162], v[161:162], v[30:31], v[167:168]
	v_fma_f64 v[159:160], v[159:160], v[30:31], -v[32:33]
	scratch_load_b128 v[30:33], off, off offset:496
	v_add_f64_e32 v[163:164], v[163:164], v[171:172]
	v_add_f64_e32 v[165:166], v[165:166], v[169:170]
	v_fma_f64 v[171:172], v[4:5], v[34:35], v[173:174]
	v_fma_f64 v[173:174], v[2:3], v[34:35], -v[36:37]
	ds_load_b128 v[2:5], v1 offset:1200
	s_wait_loadcnt_dscnt 0x801
	v_mul_f64_e32 v[167:168], v[151:152], v[157:158]
	v_mul_f64_e32 v[169:170], v[153:154], v[157:158]
	scratch_load_b128 v[34:37], off, off offset:512
	v_add_f64_e32 v[163:164], v[163:164], v[159:160]
	v_add_f64_e32 v[161:162], v[165:166], v[161:162]
	ds_load_b128 v[157:160], v1 offset:1216
	v_fma_f64 v[167:168], v[153:154], v[155:156], v[167:168]
	v_fma_f64 v[155:156], v[151:152], v[155:156], -v[169:170]
	scratch_load_b128 v[151:154], off, off offset:528
	s_wait_loadcnt_dscnt 0x901
	v_mul_f64_e32 v[165:166], v[2:3], v[40:41]
	v_mul_f64_e32 v[40:41], v[4:5], v[40:41]
	v_add_f64_e32 v[163:164], v[163:164], v[173:174]
	v_add_f64_e32 v[161:162], v[161:162], v[171:172]
	s_delay_alu instid0(VALU_DEP_4) | instskip(NEXT) | instid1(VALU_DEP_4)
	v_fma_f64 v[165:166], v[4:5], v[38:39], v[165:166]
	v_fma_f64 v[171:172], v[2:3], v[38:39], -v[40:41]
	ds_load_b128 v[2:5], v1 offset:1232
	s_wait_loadcnt_dscnt 0x801
	v_mul_f64_e32 v[169:170], v[157:158], v[8:9]
	v_mul_f64_e32 v[8:9], v[159:160], v[8:9]
	scratch_load_b128 v[38:41], off, off offset:544
	s_wait_loadcnt_dscnt 0x800
	v_mul_f64_e32 v[173:174], v[2:3], v[12:13]
	v_add_f64_e32 v[155:156], v[163:164], v[155:156]
	v_add_f64_e32 v[167:168], v[161:162], v[167:168]
	v_mul_f64_e32 v[12:13], v[4:5], v[12:13]
	ds_load_b128 v[161:164], v1 offset:1248
	v_fma_f64 v[159:160], v[159:160], v[6:7], v[169:170]
	v_fma_f64 v[157:158], v[157:158], v[6:7], -v[8:9]
	scratch_load_b128 v[6:9], off, off offset:560
	v_fma_f64 v[169:170], v[4:5], v[10:11], v[173:174]
	v_add_f64_e32 v[155:156], v[155:156], v[171:172]
	v_add_f64_e32 v[165:166], v[167:168], v[165:166]
	v_fma_f64 v[171:172], v[2:3], v[10:11], -v[12:13]
	ds_load_b128 v[2:5], v1 offset:1264
	s_wait_loadcnt_dscnt 0x801
	v_mul_f64_e32 v[167:168], v[161:162], v[16:17]
	v_mul_f64_e32 v[16:17], v[163:164], v[16:17]
	scratch_load_b128 v[10:13], off, off offset:576
	v_add_f64_e32 v[173:174], v[155:156], v[157:158]
	v_add_f64_e32 v[159:160], v[165:166], v[159:160]
	s_wait_loadcnt_dscnt 0x800
	v_mul_f64_e32 v[165:166], v[2:3], v[20:21]
	v_mul_f64_e32 v[20:21], v[4:5], v[20:21]
	v_fma_f64 v[163:164], v[163:164], v[14:15], v[167:168]
	v_fma_f64 v[161:162], v[161:162], v[14:15], -v[16:17]
	ds_load_b128 v[155:158], v1 offset:1280
	scratch_load_b128 v[14:17], off, off offset:592
	v_add_f64_e32 v[167:168], v[173:174], v[171:172]
	v_add_f64_e32 v[159:160], v[159:160], v[169:170]
	v_fma_f64 v[165:166], v[4:5], v[18:19], v[165:166]
	v_fma_f64 v[171:172], v[2:3], v[18:19], -v[20:21]
	ds_load_b128 v[2:5], v1 offset:1296
	s_wait_loadcnt_dscnt 0x801
	v_mul_f64_e32 v[169:170], v[155:156], v[24:25]
	v_mul_f64_e32 v[24:25], v[157:158], v[24:25]
	scratch_load_b128 v[18:21], off, off offset:608
	s_wait_loadcnt_dscnt 0x800
	v_mul_f64_e32 v[173:174], v[2:3], v[28:29]
	v_mul_f64_e32 v[28:29], v[4:5], v[28:29]
	v_add_f64_e32 v[167:168], v[167:168], v[161:162]
	v_add_f64_e32 v[163:164], v[159:160], v[163:164]
	ds_load_b128 v[159:162], v1 offset:1312
	v_fma_f64 v[157:158], v[157:158], v[22:23], v[169:170]
	v_fma_f64 v[155:156], v[155:156], v[22:23], -v[24:25]
	scratch_load_b128 v[22:25], off, off offset:624
	v_fma_f64 v[169:170], v[4:5], v[26:27], v[173:174]
	v_add_f64_e32 v[167:168], v[167:168], v[171:172]
	v_add_f64_e32 v[163:164], v[163:164], v[165:166]
	v_fma_f64 v[171:172], v[2:3], v[26:27], -v[28:29]
	ds_load_b128 v[2:5], v1 offset:1328
	s_wait_loadcnt_dscnt 0x801
	v_mul_f64_e32 v[165:166], v[159:160], v[32:33]
	v_mul_f64_e32 v[32:33], v[161:162], v[32:33]
	scratch_load_b128 v[26:29], off, off offset:640
	s_wait_loadcnt_dscnt 0x800
	v_mul_f64_e32 v[173:174], v[2:3], v[36:37]
	v_mul_f64_e32 v[36:37], v[4:5], v[36:37]
	v_add_f64_e32 v[167:168], v[167:168], v[155:156]
	v_add_f64_e32 v[163:164], v[163:164], v[157:158]
	ds_load_b128 v[155:158], v1 offset:1344
	v_fma_f64 v[161:162], v[161:162], v[30:31], v[165:166]
	v_fma_f64 v[159:160], v[159:160], v[30:31], -v[32:33]
	scratch_load_b128 v[30:33], off, off offset:656
	v_add_f64_e32 v[165:166], v[167:168], v[171:172]
	v_add_f64_e32 v[163:164], v[163:164], v[169:170]
	v_fma_f64 v[169:170], v[4:5], v[34:35], v[173:174]
	v_fma_f64 v[171:172], v[2:3], v[34:35], -v[36:37]
	ds_load_b128 v[2:5], v1 offset:1360
	s_wait_loadcnt_dscnt 0x801
	v_mul_f64_e32 v[167:168], v[155:156], v[153:154]
	v_mul_f64_e32 v[153:154], v[157:158], v[153:154]
	scratch_load_b128 v[34:37], off, off offset:672
	s_wait_loadcnt_dscnt 0x800
	v_mul_f64_e32 v[173:174], v[2:3], v[40:41]
	v_mul_f64_e32 v[40:41], v[4:5], v[40:41]
	v_add_f64_e32 v[165:166], v[165:166], v[159:160]
	v_add_f64_e32 v[163:164], v[163:164], v[161:162]
	ds_load_b128 v[159:162], v1 offset:1376
	v_fma_f64 v[157:158], v[157:158], v[151:152], v[167:168]
	v_fma_f64 v[155:156], v[155:156], v[151:152], -v[153:154]
	scratch_load_b128 v[151:154], off, off offset:688
	v_add_f64_e32 v[165:166], v[165:166], v[171:172]
	v_add_f64_e32 v[163:164], v[163:164], v[169:170]
	v_fma_f64 v[169:170], v[4:5], v[38:39], v[173:174]
	;; [unrolled: 18-line block ×6, first 2 shown]
	v_fma_f64 v[173:174], v[2:3], v[34:35], -v[36:37]
	ds_load_b128 v[2:5], v1 offset:1520
	s_wait_loadcnt_dscnt 0x801
	v_mul_f64_e32 v[167:168], v[159:160], v[153:154]
	v_mul_f64_e32 v[169:170], v[161:162], v[153:154]
	scratch_load_b128 v[34:37], off, off offset:832
	v_add_f64_e32 v[165:166], v[165:166], v[155:156]
	v_add_f64_e32 v[157:158], v[163:164], v[157:158]
	s_wait_loadcnt_dscnt 0x800
	v_mul_f64_e32 v[163:164], v[2:3], v[40:41]
	v_mul_f64_e32 v[40:41], v[4:5], v[40:41]
	ds_load_b128 v[153:156], v1 offset:1536
	v_fma_f64 v[161:162], v[161:162], v[151:152], v[167:168]
	v_fma_f64 v[151:152], v[159:160], v[151:152], -v[169:170]
	v_add_f64_e32 v[159:160], v[165:166], v[173:174]
	v_add_f64_e32 v[157:158], v[157:158], v[171:172]
	s_wait_loadcnt_dscnt 0x700
	v_mul_f64_e32 v[165:166], v[153:154], v[8:9]
	v_mul_f64_e32 v[8:9], v[155:156], v[8:9]
	v_fma_f64 v[163:164], v[4:5], v[38:39], v[163:164]
	v_fma_f64 v[167:168], v[2:3], v[38:39], -v[40:41]
	ds_load_b128 v[2:5], v1 offset:1552
	ds_load_b128 v[38:41], v1 offset:1568
	v_add_f64_e32 v[151:152], v[159:160], v[151:152]
	v_add_f64_e32 v[157:158], v[157:158], v[161:162]
	s_wait_loadcnt_dscnt 0x601
	v_mul_f64_e32 v[159:160], v[2:3], v[12:13]
	v_mul_f64_e32 v[12:13], v[4:5], v[12:13]
	v_fma_f64 v[155:156], v[155:156], v[6:7], v[165:166]
	v_fma_f64 v[6:7], v[153:154], v[6:7], -v[8:9]
	s_wait_loadcnt_dscnt 0x500
	v_mul_f64_e32 v[153:154], v[38:39], v[16:17]
	v_mul_f64_e32 v[16:17], v[40:41], v[16:17]
	v_add_f64_e32 v[8:9], v[151:152], v[167:168]
	v_add_f64_e32 v[151:152], v[157:158], v[163:164]
	v_fma_f64 v[157:158], v[4:5], v[10:11], v[159:160]
	v_fma_f64 v[10:11], v[2:3], v[10:11], -v[12:13]
	v_fma_f64 v[40:41], v[40:41], v[14:15], v[153:154]
	v_fma_f64 v[14:15], v[38:39], v[14:15], -v[16:17]
	v_add_f64_e32 v[12:13], v[8:9], v[6:7]
	v_add_f64_e32 v[151:152], v[151:152], v[155:156]
	ds_load_b128 v[2:5], v1 offset:1584
	ds_load_b128 v[6:9], v1 offset:1600
	s_wait_loadcnt_dscnt 0x401
	v_mul_f64_e32 v[155:156], v[2:3], v[20:21]
	v_mul_f64_e32 v[20:21], v[4:5], v[20:21]
	s_wait_loadcnt_dscnt 0x300
	v_mul_f64_e32 v[16:17], v[6:7], v[24:25]
	v_mul_f64_e32 v[24:25], v[8:9], v[24:25]
	v_add_f64_e32 v[10:11], v[12:13], v[10:11]
	v_add_f64_e32 v[12:13], v[151:152], v[157:158]
	v_fma_f64 v[38:39], v[4:5], v[18:19], v[155:156]
	v_fma_f64 v[18:19], v[2:3], v[18:19], -v[20:21]
	v_fma_f64 v[8:9], v[8:9], v[22:23], v[16:17]
	v_fma_f64 v[6:7], v[6:7], v[22:23], -v[24:25]
	v_add_f64_e32 v[14:15], v[10:11], v[14:15]
	v_add_f64_e32 v[20:21], v[12:13], v[40:41]
	ds_load_b128 v[2:5], v1 offset:1616
	ds_load_b128 v[10:13], v1 offset:1632
	s_wait_loadcnt_dscnt 0x201
	v_mul_f64_e32 v[40:41], v[2:3], v[28:29]
	v_mul_f64_e32 v[28:29], v[4:5], v[28:29]
	v_add_f64_e32 v[14:15], v[14:15], v[18:19]
	v_add_f64_e32 v[16:17], v[20:21], v[38:39]
	s_wait_loadcnt_dscnt 0x100
	v_mul_f64_e32 v[18:19], v[10:11], v[32:33]
	v_mul_f64_e32 v[20:21], v[12:13], v[32:33]
	v_fma_f64 v[22:23], v[4:5], v[26:27], v[40:41]
	v_fma_f64 v[24:25], v[2:3], v[26:27], -v[28:29]
	ds_load_b128 v[2:5], v1 offset:1648
	v_add_f64_e32 v[6:7], v[14:15], v[6:7]
	v_add_f64_e32 v[8:9], v[16:17], v[8:9]
	v_fma_f64 v[12:13], v[12:13], v[30:31], v[18:19]
	v_fma_f64 v[10:11], v[10:11], v[30:31], -v[20:21]
	s_wait_loadcnt_dscnt 0x0
	v_mul_f64_e32 v[14:15], v[2:3], v[36:37]
	v_mul_f64_e32 v[16:17], v[4:5], v[36:37]
	v_add_f64_e32 v[6:7], v[6:7], v[24:25]
	v_add_f64_e32 v[8:9], v[8:9], v[22:23]
	s_delay_alu instid0(VALU_DEP_4) | instskip(NEXT) | instid1(VALU_DEP_4)
	v_fma_f64 v[4:5], v[4:5], v[34:35], v[14:15]
	v_fma_f64 v[2:3], v[2:3], v[34:35], -v[16:17]
	s_delay_alu instid0(VALU_DEP_4) | instskip(NEXT) | instid1(VALU_DEP_4)
	v_add_f64_e32 v[6:7], v[6:7], v[10:11]
	v_add_f64_e32 v[8:9], v[8:9], v[12:13]
	s_delay_alu instid0(VALU_DEP_2) | instskip(NEXT) | instid1(VALU_DEP_2)
	v_add_f64_e32 v[2:3], v[6:7], v[2:3]
	v_add_f64_e32 v[4:5], v[8:9], v[4:5]
	s_delay_alu instid0(VALU_DEP_2) | instskip(NEXT) | instid1(VALU_DEP_2)
	v_add_f64_e64 v[2:3], v[42:43], -v[2:3]
	v_add_f64_e64 v[4:5], v[44:45], -v[4:5]
	scratch_store_b128 off, v[2:5], off offset:208
	v_cmpx_lt_u32_e32 11, v0
	s_cbranch_execz .LBB115_303
; %bb.302:
	scratch_load_b128 v[5:8], off, s54
	v_dual_mov_b32 v2, v1 :: v_dual_mov_b32 v3, v1
	v_mov_b32_e32 v4, v1
	scratch_store_b128 off, v[1:4], off offset:192
	s_wait_loadcnt 0x0
	ds_store_b128 v150, v[5:8]
.LBB115_303:
	s_wait_alu 0xfffe
	s_or_b32 exec_lo, exec_lo, s0
	s_wait_storecnt_dscnt 0x0
	s_barrier_signal -1
	s_barrier_wait -1
	global_inv scope:SCOPE_SE
	s_clause 0x8
	scratch_load_b128 v[2:5], off, off offset:208
	scratch_load_b128 v[6:9], off, off offset:224
	;; [unrolled: 1-line block ×9, first 2 shown]
	ds_load_b128 v[42:45], v1 offset:1024
	ds_load_b128 v[38:41], v1 offset:1040
	s_clause 0x1
	scratch_load_b128 v[151:154], off, off offset:192
	scratch_load_b128 v[155:158], off, off offset:352
	s_mov_b32 s0, exec_lo
	s_wait_loadcnt_dscnt 0xa01
	v_mul_f64_e32 v[159:160], v[44:45], v[4:5]
	v_mul_f64_e32 v[4:5], v[42:43], v[4:5]
	s_wait_loadcnt_dscnt 0x900
	v_mul_f64_e32 v[163:164], v[38:39], v[8:9]
	v_mul_f64_e32 v[8:9], v[40:41], v[8:9]
	s_delay_alu instid0(VALU_DEP_4) | instskip(NEXT) | instid1(VALU_DEP_4)
	v_fma_f64 v[165:166], v[42:43], v[2:3], -v[159:160]
	v_fma_f64 v[167:168], v[44:45], v[2:3], v[4:5]
	ds_load_b128 v[2:5], v1 offset:1056
	ds_load_b128 v[159:162], v1 offset:1072
	scratch_load_b128 v[42:45], off, off offset:368
	v_fma_f64 v[40:41], v[40:41], v[6:7], v[163:164]
	v_fma_f64 v[38:39], v[38:39], v[6:7], -v[8:9]
	scratch_load_b128 v[6:9], off, off offset:384
	s_wait_loadcnt_dscnt 0xa01
	v_mul_f64_e32 v[169:170], v[2:3], v[12:13]
	v_mul_f64_e32 v[12:13], v[4:5], v[12:13]
	v_add_f64_e32 v[163:164], 0, v[165:166]
	v_add_f64_e32 v[165:166], 0, v[167:168]
	s_wait_loadcnt_dscnt 0x900
	v_mul_f64_e32 v[167:168], v[159:160], v[16:17]
	v_mul_f64_e32 v[16:17], v[161:162], v[16:17]
	v_fma_f64 v[169:170], v[4:5], v[10:11], v[169:170]
	v_fma_f64 v[171:172], v[2:3], v[10:11], -v[12:13]
	ds_load_b128 v[2:5], v1 offset:1088
	scratch_load_b128 v[10:13], off, off offset:400
	v_add_f64_e32 v[163:164], v[163:164], v[38:39]
	v_add_f64_e32 v[165:166], v[165:166], v[40:41]
	ds_load_b128 v[38:41], v1 offset:1104
	v_fma_f64 v[161:162], v[161:162], v[14:15], v[167:168]
	v_fma_f64 v[159:160], v[159:160], v[14:15], -v[16:17]
	scratch_load_b128 v[14:17], off, off offset:416
	s_wait_loadcnt_dscnt 0xa01
	v_mul_f64_e32 v[173:174], v[2:3], v[20:21]
	v_mul_f64_e32 v[20:21], v[4:5], v[20:21]
	s_wait_loadcnt_dscnt 0x900
	v_mul_f64_e32 v[167:168], v[38:39], v[24:25]
	v_mul_f64_e32 v[24:25], v[40:41], v[24:25]
	v_add_f64_e32 v[163:164], v[163:164], v[171:172]
	v_add_f64_e32 v[165:166], v[165:166], v[169:170]
	v_fma_f64 v[169:170], v[4:5], v[18:19], v[173:174]
	v_fma_f64 v[171:172], v[2:3], v[18:19], -v[20:21]
	ds_load_b128 v[2:5], v1 offset:1120
	scratch_load_b128 v[18:21], off, off offset:432
	v_fma_f64 v[40:41], v[40:41], v[22:23], v[167:168]
	v_fma_f64 v[38:39], v[38:39], v[22:23], -v[24:25]
	scratch_load_b128 v[22:25], off, off offset:448
	v_add_f64_e32 v[163:164], v[163:164], v[159:160]
	v_add_f64_e32 v[165:166], v[165:166], v[161:162]
	ds_load_b128 v[159:162], v1 offset:1136
	s_wait_loadcnt_dscnt 0xa01
	v_mul_f64_e32 v[173:174], v[2:3], v[28:29]
	v_mul_f64_e32 v[28:29], v[4:5], v[28:29]
	s_wait_loadcnt_dscnt 0x900
	v_mul_f64_e32 v[167:168], v[159:160], v[32:33]
	v_mul_f64_e32 v[32:33], v[161:162], v[32:33]
	v_add_f64_e32 v[163:164], v[163:164], v[171:172]
	v_add_f64_e32 v[165:166], v[165:166], v[169:170]
	v_fma_f64 v[169:170], v[4:5], v[26:27], v[173:174]
	v_fma_f64 v[171:172], v[2:3], v[26:27], -v[28:29]
	ds_load_b128 v[2:5], v1 offset:1152
	scratch_load_b128 v[26:29], off, off offset:464
	v_fma_f64 v[161:162], v[161:162], v[30:31], v[167:168]
	v_fma_f64 v[159:160], v[159:160], v[30:31], -v[32:33]
	scratch_load_b128 v[30:33], off, off offset:480
	v_add_f64_e32 v[163:164], v[163:164], v[38:39]
	v_add_f64_e32 v[165:166], v[165:166], v[40:41]
	ds_load_b128 v[38:41], v1 offset:1168
	s_wait_loadcnt_dscnt 0xa01
	v_mul_f64_e32 v[173:174], v[2:3], v[36:37]
	v_mul_f64_e32 v[36:37], v[4:5], v[36:37]
	s_wait_loadcnt_dscnt 0x800
	v_mul_f64_e32 v[167:168], v[38:39], v[157:158]
	v_add_f64_e32 v[163:164], v[163:164], v[171:172]
	v_add_f64_e32 v[165:166], v[165:166], v[169:170]
	v_mul_f64_e32 v[169:170], v[40:41], v[157:158]
	v_fma_f64 v[171:172], v[4:5], v[34:35], v[173:174]
	v_fma_f64 v[173:174], v[2:3], v[34:35], -v[36:37]
	ds_load_b128 v[2:5], v1 offset:1184
	scratch_load_b128 v[34:37], off, off offset:496
	v_fma_f64 v[167:168], v[40:41], v[155:156], v[167:168]
	v_add_f64_e32 v[163:164], v[163:164], v[159:160]
	v_add_f64_e32 v[161:162], v[165:166], v[161:162]
	ds_load_b128 v[157:160], v1 offset:1200
	v_fma_f64 v[155:156], v[38:39], v[155:156], -v[169:170]
	scratch_load_b128 v[38:41], off, off offset:512
	s_wait_loadcnt_dscnt 0x901
	v_mul_f64_e32 v[165:166], v[2:3], v[44:45]
	v_mul_f64_e32 v[44:45], v[4:5], v[44:45]
	s_wait_loadcnt_dscnt 0x800
	v_mul_f64_e32 v[169:170], v[157:158], v[8:9]
	v_mul_f64_e32 v[8:9], v[159:160], v[8:9]
	v_add_f64_e32 v[163:164], v[163:164], v[173:174]
	v_add_f64_e32 v[161:162], v[161:162], v[171:172]
	v_fma_f64 v[165:166], v[4:5], v[42:43], v[165:166]
	v_fma_f64 v[171:172], v[2:3], v[42:43], -v[44:45]
	ds_load_b128 v[2:5], v1 offset:1216
	scratch_load_b128 v[42:45], off, off offset:528
	v_fma_f64 v[159:160], v[159:160], v[6:7], v[169:170]
	v_fma_f64 v[157:158], v[157:158], v[6:7], -v[8:9]
	scratch_load_b128 v[6:9], off, off offset:544
	v_add_f64_e32 v[155:156], v[163:164], v[155:156]
	v_add_f64_e32 v[167:168], v[161:162], v[167:168]
	ds_load_b128 v[161:164], v1 offset:1232
	s_wait_loadcnt_dscnt 0x901
	v_mul_f64_e32 v[173:174], v[2:3], v[12:13]
	v_mul_f64_e32 v[12:13], v[4:5], v[12:13]
	v_add_f64_e32 v[155:156], v[155:156], v[171:172]
	v_add_f64_e32 v[165:166], v[167:168], v[165:166]
	s_wait_loadcnt_dscnt 0x800
	v_mul_f64_e32 v[167:168], v[161:162], v[16:17]
	v_mul_f64_e32 v[16:17], v[163:164], v[16:17]
	v_fma_f64 v[169:170], v[4:5], v[10:11], v[173:174]
	v_fma_f64 v[171:172], v[2:3], v[10:11], -v[12:13]
	ds_load_b128 v[2:5], v1 offset:1248
	scratch_load_b128 v[10:13], off, off offset:560
	v_add_f64_e32 v[173:174], v[155:156], v[157:158]
	v_add_f64_e32 v[159:160], v[165:166], v[159:160]
	ds_load_b128 v[155:158], v1 offset:1264
	s_wait_loadcnt_dscnt 0x801
	v_mul_f64_e32 v[165:166], v[2:3], v[20:21]
	v_mul_f64_e32 v[20:21], v[4:5], v[20:21]
	v_fma_f64 v[163:164], v[163:164], v[14:15], v[167:168]
	v_fma_f64 v[161:162], v[161:162], v[14:15], -v[16:17]
	scratch_load_b128 v[14:17], off, off offset:576
	v_add_f64_e32 v[167:168], v[173:174], v[171:172]
	v_add_f64_e32 v[159:160], v[159:160], v[169:170]
	s_wait_loadcnt_dscnt 0x800
	v_mul_f64_e32 v[169:170], v[155:156], v[24:25]
	v_mul_f64_e32 v[24:25], v[157:158], v[24:25]
	v_fma_f64 v[165:166], v[4:5], v[18:19], v[165:166]
	v_fma_f64 v[171:172], v[2:3], v[18:19], -v[20:21]
	ds_load_b128 v[2:5], v1 offset:1280
	scratch_load_b128 v[18:21], off, off offset:592
	v_add_f64_e32 v[167:168], v[167:168], v[161:162]
	v_add_f64_e32 v[163:164], v[159:160], v[163:164]
	ds_load_b128 v[159:162], v1 offset:1296
	s_wait_loadcnt_dscnt 0x801
	v_mul_f64_e32 v[173:174], v[2:3], v[28:29]
	v_mul_f64_e32 v[28:29], v[4:5], v[28:29]
	v_fma_f64 v[157:158], v[157:158], v[22:23], v[169:170]
	v_fma_f64 v[155:156], v[155:156], v[22:23], -v[24:25]
	scratch_load_b128 v[22:25], off, off offset:608
	;; [unrolled: 18-line block ×4, first 2 shown]
	s_wait_loadcnt_dscnt 0x800
	v_mul_f64_e32 v[167:168], v[159:160], v[8:9]
	v_mul_f64_e32 v[8:9], v[161:162], v[8:9]
	v_add_f64_e32 v[165:166], v[165:166], v[171:172]
	v_add_f64_e32 v[163:164], v[163:164], v[169:170]
	v_fma_f64 v[169:170], v[4:5], v[42:43], v[173:174]
	v_fma_f64 v[171:172], v[2:3], v[42:43], -v[44:45]
	ds_load_b128 v[2:5], v1 offset:1376
	scratch_load_b128 v[42:45], off, off offset:688
	v_fma_f64 v[161:162], v[161:162], v[6:7], v[167:168]
	v_fma_f64 v[159:160], v[159:160], v[6:7], -v[8:9]
	scratch_load_b128 v[6:9], off, off offset:704
	v_add_f64_e32 v[165:166], v[165:166], v[155:156]
	v_add_f64_e32 v[163:164], v[163:164], v[157:158]
	ds_load_b128 v[155:158], v1 offset:1392
	s_wait_loadcnt_dscnt 0x901
	v_mul_f64_e32 v[173:174], v[2:3], v[12:13]
	v_mul_f64_e32 v[12:13], v[4:5], v[12:13]
	s_wait_loadcnt_dscnt 0x800
	v_mul_f64_e32 v[167:168], v[155:156], v[16:17]
	v_mul_f64_e32 v[16:17], v[157:158], v[16:17]
	v_add_f64_e32 v[165:166], v[165:166], v[171:172]
	v_add_f64_e32 v[163:164], v[163:164], v[169:170]
	v_fma_f64 v[169:170], v[4:5], v[10:11], v[173:174]
	v_fma_f64 v[171:172], v[2:3], v[10:11], -v[12:13]
	ds_load_b128 v[2:5], v1 offset:1408
	scratch_load_b128 v[10:13], off, off offset:720
	v_fma_f64 v[157:158], v[157:158], v[14:15], v[167:168]
	v_fma_f64 v[155:156], v[155:156], v[14:15], -v[16:17]
	scratch_load_b128 v[14:17], off, off offset:736
	v_add_f64_e32 v[165:166], v[165:166], v[159:160]
	v_add_f64_e32 v[163:164], v[163:164], v[161:162]
	ds_load_b128 v[159:162], v1 offset:1424
	s_wait_loadcnt_dscnt 0x901
	v_mul_f64_e32 v[173:174], v[2:3], v[20:21]
	v_mul_f64_e32 v[20:21], v[4:5], v[20:21]
	;; [unrolled: 18-line block ×5, first 2 shown]
	s_wait_loadcnt_dscnt 0x800
	v_mul_f64_e32 v[167:168], v[155:156], v[8:9]
	v_mul_f64_e32 v[8:9], v[157:158], v[8:9]
	v_add_f64_e32 v[165:166], v[165:166], v[171:172]
	v_add_f64_e32 v[163:164], v[163:164], v[169:170]
	v_fma_f64 v[169:170], v[4:5], v[42:43], v[173:174]
	v_fma_f64 v[171:172], v[2:3], v[42:43], -v[44:45]
	ds_load_b128 v[2:5], v1 offset:1536
	ds_load_b128 v[42:45], v1 offset:1552
	v_fma_f64 v[157:158], v[157:158], v[6:7], v[167:168]
	v_fma_f64 v[6:7], v[155:156], v[6:7], -v[8:9]
	v_add_f64_e32 v[159:160], v[165:166], v[159:160]
	v_add_f64_e32 v[161:162], v[163:164], v[161:162]
	s_wait_loadcnt_dscnt 0x701
	v_mul_f64_e32 v[163:164], v[2:3], v[12:13]
	v_mul_f64_e32 v[12:13], v[4:5], v[12:13]
	s_delay_alu instid0(VALU_DEP_4) | instskip(NEXT) | instid1(VALU_DEP_4)
	v_add_f64_e32 v[8:9], v[159:160], v[171:172]
	v_add_f64_e32 v[155:156], v[161:162], v[169:170]
	s_wait_loadcnt_dscnt 0x600
	v_mul_f64_e32 v[159:160], v[42:43], v[16:17]
	v_mul_f64_e32 v[16:17], v[44:45], v[16:17]
	v_fma_f64 v[161:162], v[4:5], v[10:11], v[163:164]
	v_fma_f64 v[10:11], v[2:3], v[10:11], -v[12:13]
	v_add_f64_e32 v[12:13], v[8:9], v[6:7]
	v_add_f64_e32 v[155:156], v[155:156], v[157:158]
	ds_load_b128 v[2:5], v1 offset:1568
	ds_load_b128 v[6:9], v1 offset:1584
	v_fma_f64 v[44:45], v[44:45], v[14:15], v[159:160]
	v_fma_f64 v[14:15], v[42:43], v[14:15], -v[16:17]
	s_wait_loadcnt_dscnt 0x501
	v_mul_f64_e32 v[157:158], v[2:3], v[20:21]
	v_mul_f64_e32 v[20:21], v[4:5], v[20:21]
	s_wait_loadcnt_dscnt 0x400
	v_mul_f64_e32 v[16:17], v[6:7], v[24:25]
	v_mul_f64_e32 v[24:25], v[8:9], v[24:25]
	v_add_f64_e32 v[10:11], v[12:13], v[10:11]
	v_add_f64_e32 v[12:13], v[155:156], v[161:162]
	v_fma_f64 v[42:43], v[4:5], v[18:19], v[157:158]
	v_fma_f64 v[18:19], v[2:3], v[18:19], -v[20:21]
	v_fma_f64 v[8:9], v[8:9], v[22:23], v[16:17]
	v_fma_f64 v[6:7], v[6:7], v[22:23], -v[24:25]
	v_add_f64_e32 v[14:15], v[10:11], v[14:15]
	v_add_f64_e32 v[20:21], v[12:13], v[44:45]
	ds_load_b128 v[2:5], v1 offset:1600
	ds_load_b128 v[10:13], v1 offset:1616
	s_wait_loadcnt_dscnt 0x301
	v_mul_f64_e32 v[44:45], v[2:3], v[28:29]
	v_mul_f64_e32 v[28:29], v[4:5], v[28:29]
	v_add_f64_e32 v[14:15], v[14:15], v[18:19]
	v_add_f64_e32 v[16:17], v[20:21], v[42:43]
	s_wait_loadcnt_dscnt 0x200
	v_mul_f64_e32 v[18:19], v[10:11], v[32:33]
	v_mul_f64_e32 v[20:21], v[12:13], v[32:33]
	v_fma_f64 v[22:23], v[4:5], v[26:27], v[44:45]
	v_fma_f64 v[24:25], v[2:3], v[26:27], -v[28:29]
	v_add_f64_e32 v[14:15], v[14:15], v[6:7]
	v_add_f64_e32 v[16:17], v[16:17], v[8:9]
	ds_load_b128 v[2:5], v1 offset:1632
	ds_load_b128 v[6:9], v1 offset:1648
	v_fma_f64 v[12:13], v[12:13], v[30:31], v[18:19]
	v_fma_f64 v[10:11], v[10:11], v[30:31], -v[20:21]
	s_wait_loadcnt_dscnt 0x101
	v_mul_f64_e32 v[26:27], v[2:3], v[36:37]
	v_mul_f64_e32 v[28:29], v[4:5], v[36:37]
	s_wait_loadcnt_dscnt 0x0
	v_mul_f64_e32 v[18:19], v[6:7], v[40:41]
	v_mul_f64_e32 v[20:21], v[8:9], v[40:41]
	v_add_f64_e32 v[14:15], v[14:15], v[24:25]
	v_add_f64_e32 v[16:17], v[16:17], v[22:23]
	v_fma_f64 v[4:5], v[4:5], v[34:35], v[26:27]
	v_fma_f64 v[1:2], v[2:3], v[34:35], -v[28:29]
	v_fma_f64 v[8:9], v[8:9], v[38:39], v[18:19]
	v_fma_f64 v[6:7], v[6:7], v[38:39], -v[20:21]
	v_add_f64_e32 v[10:11], v[14:15], v[10:11]
	v_add_f64_e32 v[12:13], v[16:17], v[12:13]
	s_delay_alu instid0(VALU_DEP_2) | instskip(NEXT) | instid1(VALU_DEP_2)
	v_add_f64_e32 v[1:2], v[10:11], v[1:2]
	v_add_f64_e32 v[3:4], v[12:13], v[4:5]
	s_delay_alu instid0(VALU_DEP_2) | instskip(NEXT) | instid1(VALU_DEP_2)
	;; [unrolled: 3-line block ×3, first 2 shown]
	v_add_f64_e64 v[1:2], v[151:152], -v[1:2]
	v_add_f64_e64 v[3:4], v[153:154], -v[3:4]
	scratch_store_b128 off, v[1:4], off offset:192
	v_cmpx_lt_u32_e32 10, v0
	s_cbranch_execz .LBB115_305
; %bb.304:
	scratch_load_b128 v[1:4], off, s55
	v_mov_b32_e32 v5, 0
	s_delay_alu instid0(VALU_DEP_1)
	v_dual_mov_b32 v6, v5 :: v_dual_mov_b32 v7, v5
	v_mov_b32_e32 v8, v5
	scratch_store_b128 off, v[5:8], off offset:176
	s_wait_loadcnt 0x0
	ds_store_b128 v150, v[1:4]
.LBB115_305:
	s_wait_alu 0xfffe
	s_or_b32 exec_lo, exec_lo, s0
	s_wait_storecnt_dscnt 0x0
	s_barrier_signal -1
	s_barrier_wait -1
	global_inv scope:SCOPE_SE
	s_clause 0x7
	scratch_load_b128 v[2:5], off, off offset:192
	scratch_load_b128 v[6:9], off, off offset:208
	scratch_load_b128 v[10:13], off, off offset:224
	scratch_load_b128 v[14:17], off, off offset:240
	scratch_load_b128 v[18:21], off, off offset:256
	scratch_load_b128 v[22:25], off, off offset:272
	scratch_load_b128 v[26:29], off, off offset:288
	scratch_load_b128 v[30:33], off, off offset:304
	v_mov_b32_e32 v1, 0
	s_mov_b32 s0, exec_lo
	ds_load_b128 v[38:41], v1 offset:1008
	s_clause 0x1
	scratch_load_b128 v[34:37], off, off offset:320
	scratch_load_b128 v[42:45], off, off offset:176
	ds_load_b128 v[151:154], v1 offset:1024
	scratch_load_b128 v[155:158], off, off offset:336
	s_wait_loadcnt_dscnt 0xa01
	v_mul_f64_e32 v[159:160], v[40:41], v[4:5]
	v_mul_f64_e32 v[4:5], v[38:39], v[4:5]
	s_delay_alu instid0(VALU_DEP_2) | instskip(NEXT) | instid1(VALU_DEP_2)
	v_fma_f64 v[165:166], v[38:39], v[2:3], -v[159:160]
	v_fma_f64 v[167:168], v[40:41], v[2:3], v[4:5]
	ds_load_b128 v[2:5], v1 offset:1040
	s_wait_loadcnt_dscnt 0x901
	v_mul_f64_e32 v[163:164], v[151:152], v[8:9]
	v_mul_f64_e32 v[8:9], v[153:154], v[8:9]
	scratch_load_b128 v[38:41], off, off offset:352
	ds_load_b128 v[159:162], v1 offset:1056
	s_wait_loadcnt_dscnt 0x901
	v_mul_f64_e32 v[169:170], v[2:3], v[12:13]
	v_mul_f64_e32 v[12:13], v[4:5], v[12:13]
	v_fma_f64 v[153:154], v[153:154], v[6:7], v[163:164]
	v_fma_f64 v[151:152], v[151:152], v[6:7], -v[8:9]
	v_add_f64_e32 v[163:164], 0, v[165:166]
	v_add_f64_e32 v[165:166], 0, v[167:168]
	scratch_load_b128 v[6:9], off, off offset:368
	v_fma_f64 v[169:170], v[4:5], v[10:11], v[169:170]
	v_fma_f64 v[171:172], v[2:3], v[10:11], -v[12:13]
	ds_load_b128 v[2:5], v1 offset:1072
	s_wait_loadcnt_dscnt 0x901
	v_mul_f64_e32 v[167:168], v[159:160], v[16:17]
	v_mul_f64_e32 v[16:17], v[161:162], v[16:17]
	scratch_load_b128 v[10:13], off, off offset:384
	v_add_f64_e32 v[163:164], v[163:164], v[151:152]
	v_add_f64_e32 v[165:166], v[165:166], v[153:154]
	s_wait_loadcnt_dscnt 0x900
	v_mul_f64_e32 v[173:174], v[2:3], v[20:21]
	v_mul_f64_e32 v[20:21], v[4:5], v[20:21]
	ds_load_b128 v[151:154], v1 offset:1088
	v_fma_f64 v[161:162], v[161:162], v[14:15], v[167:168]
	v_fma_f64 v[159:160], v[159:160], v[14:15], -v[16:17]
	scratch_load_b128 v[14:17], off, off offset:400
	v_add_f64_e32 v[163:164], v[163:164], v[171:172]
	v_add_f64_e32 v[165:166], v[165:166], v[169:170]
	v_fma_f64 v[169:170], v[4:5], v[18:19], v[173:174]
	v_fma_f64 v[171:172], v[2:3], v[18:19], -v[20:21]
	ds_load_b128 v[2:5], v1 offset:1104
	s_wait_loadcnt_dscnt 0x901
	v_mul_f64_e32 v[167:168], v[151:152], v[24:25]
	v_mul_f64_e32 v[24:25], v[153:154], v[24:25]
	scratch_load_b128 v[18:21], off, off offset:416
	s_wait_loadcnt_dscnt 0x900
	v_mul_f64_e32 v[173:174], v[2:3], v[28:29]
	v_mul_f64_e32 v[28:29], v[4:5], v[28:29]
	v_add_f64_e32 v[163:164], v[163:164], v[159:160]
	v_add_f64_e32 v[165:166], v[165:166], v[161:162]
	ds_load_b128 v[159:162], v1 offset:1120
	v_fma_f64 v[153:154], v[153:154], v[22:23], v[167:168]
	v_fma_f64 v[151:152], v[151:152], v[22:23], -v[24:25]
	scratch_load_b128 v[22:25], off, off offset:432
	v_add_f64_e32 v[163:164], v[163:164], v[171:172]
	v_add_f64_e32 v[165:166], v[165:166], v[169:170]
	v_fma_f64 v[169:170], v[4:5], v[26:27], v[173:174]
	v_fma_f64 v[171:172], v[2:3], v[26:27], -v[28:29]
	ds_load_b128 v[2:5], v1 offset:1136
	s_wait_loadcnt_dscnt 0x901
	v_mul_f64_e32 v[167:168], v[159:160], v[32:33]
	v_mul_f64_e32 v[32:33], v[161:162], v[32:33]
	scratch_load_b128 v[26:29], off, off offset:448
	s_wait_loadcnt_dscnt 0x900
	v_mul_f64_e32 v[173:174], v[2:3], v[36:37]
	v_mul_f64_e32 v[36:37], v[4:5], v[36:37]
	v_add_f64_e32 v[163:164], v[163:164], v[151:152]
	v_add_f64_e32 v[165:166], v[165:166], v[153:154]
	ds_load_b128 v[151:154], v1 offset:1152
	v_fma_f64 v[161:162], v[161:162], v[30:31], v[167:168]
	v_fma_f64 v[159:160], v[159:160], v[30:31], -v[32:33]
	scratch_load_b128 v[30:33], off, off offset:464
	v_add_f64_e32 v[163:164], v[163:164], v[171:172]
	v_add_f64_e32 v[165:166], v[165:166], v[169:170]
	v_fma_f64 v[171:172], v[4:5], v[34:35], v[173:174]
	v_fma_f64 v[173:174], v[2:3], v[34:35], -v[36:37]
	ds_load_b128 v[2:5], v1 offset:1168
	s_wait_loadcnt_dscnt 0x801
	v_mul_f64_e32 v[167:168], v[151:152], v[157:158]
	v_mul_f64_e32 v[169:170], v[153:154], v[157:158]
	scratch_load_b128 v[34:37], off, off offset:480
	v_add_f64_e32 v[163:164], v[163:164], v[159:160]
	v_add_f64_e32 v[161:162], v[165:166], v[161:162]
	ds_load_b128 v[157:160], v1 offset:1184
	v_fma_f64 v[167:168], v[153:154], v[155:156], v[167:168]
	v_fma_f64 v[155:156], v[151:152], v[155:156], -v[169:170]
	scratch_load_b128 v[151:154], off, off offset:496
	s_wait_loadcnt_dscnt 0x901
	v_mul_f64_e32 v[165:166], v[2:3], v[40:41]
	v_mul_f64_e32 v[40:41], v[4:5], v[40:41]
	v_add_f64_e32 v[163:164], v[163:164], v[173:174]
	v_add_f64_e32 v[161:162], v[161:162], v[171:172]
	s_delay_alu instid0(VALU_DEP_4) | instskip(NEXT) | instid1(VALU_DEP_4)
	v_fma_f64 v[165:166], v[4:5], v[38:39], v[165:166]
	v_fma_f64 v[171:172], v[2:3], v[38:39], -v[40:41]
	ds_load_b128 v[2:5], v1 offset:1200
	s_wait_loadcnt_dscnt 0x801
	v_mul_f64_e32 v[169:170], v[157:158], v[8:9]
	v_mul_f64_e32 v[8:9], v[159:160], v[8:9]
	scratch_load_b128 v[38:41], off, off offset:512
	s_wait_loadcnt_dscnt 0x800
	v_mul_f64_e32 v[173:174], v[2:3], v[12:13]
	v_add_f64_e32 v[155:156], v[163:164], v[155:156]
	v_add_f64_e32 v[167:168], v[161:162], v[167:168]
	v_mul_f64_e32 v[12:13], v[4:5], v[12:13]
	ds_load_b128 v[161:164], v1 offset:1216
	v_fma_f64 v[159:160], v[159:160], v[6:7], v[169:170]
	v_fma_f64 v[157:158], v[157:158], v[6:7], -v[8:9]
	scratch_load_b128 v[6:9], off, off offset:528
	v_fma_f64 v[169:170], v[4:5], v[10:11], v[173:174]
	v_add_f64_e32 v[155:156], v[155:156], v[171:172]
	v_add_f64_e32 v[165:166], v[167:168], v[165:166]
	v_fma_f64 v[171:172], v[2:3], v[10:11], -v[12:13]
	ds_load_b128 v[2:5], v1 offset:1232
	s_wait_loadcnt_dscnt 0x801
	v_mul_f64_e32 v[167:168], v[161:162], v[16:17]
	v_mul_f64_e32 v[16:17], v[163:164], v[16:17]
	scratch_load_b128 v[10:13], off, off offset:544
	v_add_f64_e32 v[173:174], v[155:156], v[157:158]
	v_add_f64_e32 v[159:160], v[165:166], v[159:160]
	s_wait_loadcnt_dscnt 0x800
	v_mul_f64_e32 v[165:166], v[2:3], v[20:21]
	v_mul_f64_e32 v[20:21], v[4:5], v[20:21]
	v_fma_f64 v[163:164], v[163:164], v[14:15], v[167:168]
	v_fma_f64 v[161:162], v[161:162], v[14:15], -v[16:17]
	ds_load_b128 v[155:158], v1 offset:1248
	scratch_load_b128 v[14:17], off, off offset:560
	v_add_f64_e32 v[167:168], v[173:174], v[171:172]
	v_add_f64_e32 v[159:160], v[159:160], v[169:170]
	v_fma_f64 v[165:166], v[4:5], v[18:19], v[165:166]
	v_fma_f64 v[171:172], v[2:3], v[18:19], -v[20:21]
	ds_load_b128 v[2:5], v1 offset:1264
	s_wait_loadcnt_dscnt 0x801
	v_mul_f64_e32 v[169:170], v[155:156], v[24:25]
	v_mul_f64_e32 v[24:25], v[157:158], v[24:25]
	scratch_load_b128 v[18:21], off, off offset:576
	s_wait_loadcnt_dscnt 0x800
	v_mul_f64_e32 v[173:174], v[2:3], v[28:29]
	v_mul_f64_e32 v[28:29], v[4:5], v[28:29]
	v_add_f64_e32 v[167:168], v[167:168], v[161:162]
	v_add_f64_e32 v[163:164], v[159:160], v[163:164]
	ds_load_b128 v[159:162], v1 offset:1280
	v_fma_f64 v[157:158], v[157:158], v[22:23], v[169:170]
	v_fma_f64 v[155:156], v[155:156], v[22:23], -v[24:25]
	scratch_load_b128 v[22:25], off, off offset:592
	v_fma_f64 v[169:170], v[4:5], v[26:27], v[173:174]
	v_add_f64_e32 v[167:168], v[167:168], v[171:172]
	v_add_f64_e32 v[163:164], v[163:164], v[165:166]
	v_fma_f64 v[171:172], v[2:3], v[26:27], -v[28:29]
	ds_load_b128 v[2:5], v1 offset:1296
	s_wait_loadcnt_dscnt 0x801
	v_mul_f64_e32 v[165:166], v[159:160], v[32:33]
	v_mul_f64_e32 v[32:33], v[161:162], v[32:33]
	scratch_load_b128 v[26:29], off, off offset:608
	s_wait_loadcnt_dscnt 0x800
	v_mul_f64_e32 v[173:174], v[2:3], v[36:37]
	v_mul_f64_e32 v[36:37], v[4:5], v[36:37]
	v_add_f64_e32 v[167:168], v[167:168], v[155:156]
	v_add_f64_e32 v[163:164], v[163:164], v[157:158]
	ds_load_b128 v[155:158], v1 offset:1312
	v_fma_f64 v[161:162], v[161:162], v[30:31], v[165:166]
	v_fma_f64 v[159:160], v[159:160], v[30:31], -v[32:33]
	scratch_load_b128 v[30:33], off, off offset:624
	v_add_f64_e32 v[165:166], v[167:168], v[171:172]
	v_add_f64_e32 v[163:164], v[163:164], v[169:170]
	v_fma_f64 v[169:170], v[4:5], v[34:35], v[173:174]
	v_fma_f64 v[171:172], v[2:3], v[34:35], -v[36:37]
	ds_load_b128 v[2:5], v1 offset:1328
	s_wait_loadcnt_dscnt 0x801
	v_mul_f64_e32 v[167:168], v[155:156], v[153:154]
	v_mul_f64_e32 v[153:154], v[157:158], v[153:154]
	scratch_load_b128 v[34:37], off, off offset:640
	s_wait_loadcnt_dscnt 0x800
	v_mul_f64_e32 v[173:174], v[2:3], v[40:41]
	v_mul_f64_e32 v[40:41], v[4:5], v[40:41]
	v_add_f64_e32 v[165:166], v[165:166], v[159:160]
	v_add_f64_e32 v[163:164], v[163:164], v[161:162]
	ds_load_b128 v[159:162], v1 offset:1344
	v_fma_f64 v[157:158], v[157:158], v[151:152], v[167:168]
	v_fma_f64 v[155:156], v[155:156], v[151:152], -v[153:154]
	scratch_load_b128 v[151:154], off, off offset:656
	v_add_f64_e32 v[165:166], v[165:166], v[171:172]
	v_add_f64_e32 v[163:164], v[163:164], v[169:170]
	v_fma_f64 v[169:170], v[4:5], v[38:39], v[173:174]
	;; [unrolled: 18-line block ×6, first 2 shown]
	v_fma_f64 v[173:174], v[2:3], v[34:35], -v[36:37]
	ds_load_b128 v[2:5], v1 offset:1488
	s_wait_loadcnt_dscnt 0x801
	v_mul_f64_e32 v[167:168], v[159:160], v[153:154]
	v_mul_f64_e32 v[169:170], v[161:162], v[153:154]
	scratch_load_b128 v[34:37], off, off offset:800
	v_add_f64_e32 v[165:166], v[165:166], v[155:156]
	v_add_f64_e32 v[157:158], v[163:164], v[157:158]
	s_wait_loadcnt_dscnt 0x800
	v_mul_f64_e32 v[163:164], v[2:3], v[40:41]
	v_mul_f64_e32 v[40:41], v[4:5], v[40:41]
	ds_load_b128 v[153:156], v1 offset:1504
	v_fma_f64 v[161:162], v[161:162], v[151:152], v[167:168]
	v_fma_f64 v[151:152], v[159:160], v[151:152], -v[169:170]
	v_add_f64_e32 v[165:166], v[165:166], v[173:174]
	v_add_f64_e32 v[167:168], v[157:158], v[171:172]
	scratch_load_b128 v[157:160], off, off offset:816
	v_fma_f64 v[171:172], v[4:5], v[38:39], v[163:164]
	v_fma_f64 v[173:174], v[2:3], v[38:39], -v[40:41]
	ds_load_b128 v[2:5], v1 offset:1520
	s_wait_loadcnt_dscnt 0x801
	v_mul_f64_e32 v[169:170], v[153:154], v[8:9]
	v_mul_f64_e32 v[8:9], v[155:156], v[8:9]
	scratch_load_b128 v[38:41], off, off offset:832
	v_add_f64_e32 v[151:152], v[165:166], v[151:152]
	v_add_f64_e32 v[165:166], v[167:168], v[161:162]
	s_wait_loadcnt_dscnt 0x800
	v_mul_f64_e32 v[167:168], v[2:3], v[12:13]
	v_mul_f64_e32 v[12:13], v[4:5], v[12:13]
	ds_load_b128 v[161:164], v1 offset:1536
	v_fma_f64 v[155:156], v[155:156], v[6:7], v[169:170]
	v_fma_f64 v[6:7], v[153:154], v[6:7], -v[8:9]
	s_wait_loadcnt_dscnt 0x700
	v_mul_f64_e32 v[153:154], v[161:162], v[16:17]
	v_mul_f64_e32 v[16:17], v[163:164], v[16:17]
	v_add_f64_e32 v[8:9], v[151:152], v[173:174]
	v_add_f64_e32 v[151:152], v[165:166], v[171:172]
	v_fma_f64 v[165:166], v[4:5], v[10:11], v[167:168]
	v_fma_f64 v[10:11], v[2:3], v[10:11], -v[12:13]
	v_fma_f64 v[153:154], v[163:164], v[14:15], v[153:154]
	v_fma_f64 v[14:15], v[161:162], v[14:15], -v[16:17]
	v_add_f64_e32 v[12:13], v[8:9], v[6:7]
	v_add_f64_e32 v[151:152], v[151:152], v[155:156]
	ds_load_b128 v[2:5], v1 offset:1552
	ds_load_b128 v[6:9], v1 offset:1568
	s_wait_loadcnt_dscnt 0x601
	v_mul_f64_e32 v[155:156], v[2:3], v[20:21]
	v_mul_f64_e32 v[20:21], v[4:5], v[20:21]
	s_wait_loadcnt_dscnt 0x500
	v_mul_f64_e32 v[16:17], v[6:7], v[24:25]
	v_mul_f64_e32 v[24:25], v[8:9], v[24:25]
	v_add_f64_e32 v[10:11], v[12:13], v[10:11]
	v_add_f64_e32 v[12:13], v[151:152], v[165:166]
	v_fma_f64 v[151:152], v[4:5], v[18:19], v[155:156]
	v_fma_f64 v[18:19], v[2:3], v[18:19], -v[20:21]
	v_fma_f64 v[8:9], v[8:9], v[22:23], v[16:17]
	v_fma_f64 v[6:7], v[6:7], v[22:23], -v[24:25]
	v_add_f64_e32 v[14:15], v[10:11], v[14:15]
	v_add_f64_e32 v[20:21], v[12:13], v[153:154]
	ds_load_b128 v[2:5], v1 offset:1584
	ds_load_b128 v[10:13], v1 offset:1600
	s_wait_loadcnt_dscnt 0x401
	v_mul_f64_e32 v[153:154], v[2:3], v[28:29]
	v_mul_f64_e32 v[28:29], v[4:5], v[28:29]
	v_add_f64_e32 v[14:15], v[14:15], v[18:19]
	v_add_f64_e32 v[16:17], v[20:21], v[151:152]
	s_wait_loadcnt_dscnt 0x300
	v_mul_f64_e32 v[18:19], v[10:11], v[32:33]
	v_mul_f64_e32 v[20:21], v[12:13], v[32:33]
	v_fma_f64 v[22:23], v[4:5], v[26:27], v[153:154]
	v_fma_f64 v[24:25], v[2:3], v[26:27], -v[28:29]
	v_add_f64_e32 v[14:15], v[14:15], v[6:7]
	v_add_f64_e32 v[16:17], v[16:17], v[8:9]
	ds_load_b128 v[2:5], v1 offset:1616
	ds_load_b128 v[6:9], v1 offset:1632
	v_fma_f64 v[12:13], v[12:13], v[30:31], v[18:19]
	v_fma_f64 v[10:11], v[10:11], v[30:31], -v[20:21]
	s_wait_loadcnt_dscnt 0x201
	v_mul_f64_e32 v[26:27], v[2:3], v[36:37]
	v_mul_f64_e32 v[28:29], v[4:5], v[36:37]
	v_add_f64_e32 v[14:15], v[14:15], v[24:25]
	v_add_f64_e32 v[16:17], v[16:17], v[22:23]
	s_wait_loadcnt_dscnt 0x100
	v_mul_f64_e32 v[18:19], v[6:7], v[159:160]
	v_mul_f64_e32 v[20:21], v[8:9], v[159:160]
	v_fma_f64 v[22:23], v[4:5], v[34:35], v[26:27]
	v_fma_f64 v[24:25], v[2:3], v[34:35], -v[28:29]
	ds_load_b128 v[2:5], v1 offset:1648
	v_add_f64_e32 v[10:11], v[14:15], v[10:11]
	v_add_f64_e32 v[12:13], v[16:17], v[12:13]
	s_wait_loadcnt_dscnt 0x0
	v_mul_f64_e32 v[14:15], v[2:3], v[40:41]
	v_mul_f64_e32 v[16:17], v[4:5], v[40:41]
	v_fma_f64 v[8:9], v[8:9], v[157:158], v[18:19]
	v_fma_f64 v[6:7], v[6:7], v[157:158], -v[20:21]
	v_add_f64_e32 v[10:11], v[10:11], v[24:25]
	v_add_f64_e32 v[12:13], v[12:13], v[22:23]
	v_fma_f64 v[4:5], v[4:5], v[38:39], v[14:15]
	v_fma_f64 v[2:3], v[2:3], v[38:39], -v[16:17]
	s_delay_alu instid0(VALU_DEP_4) | instskip(NEXT) | instid1(VALU_DEP_4)
	v_add_f64_e32 v[6:7], v[10:11], v[6:7]
	v_add_f64_e32 v[8:9], v[12:13], v[8:9]
	s_delay_alu instid0(VALU_DEP_2) | instskip(NEXT) | instid1(VALU_DEP_2)
	v_add_f64_e32 v[2:3], v[6:7], v[2:3]
	v_add_f64_e32 v[4:5], v[8:9], v[4:5]
	s_delay_alu instid0(VALU_DEP_2) | instskip(NEXT) | instid1(VALU_DEP_2)
	v_add_f64_e64 v[2:3], v[42:43], -v[2:3]
	v_add_f64_e64 v[4:5], v[44:45], -v[4:5]
	scratch_store_b128 off, v[2:5], off offset:176
	v_cmpx_lt_u32_e32 9, v0
	s_cbranch_execz .LBB115_307
; %bb.306:
	scratch_load_b128 v[5:8], off, s56
	v_dual_mov_b32 v2, v1 :: v_dual_mov_b32 v3, v1
	v_mov_b32_e32 v4, v1
	scratch_store_b128 off, v[1:4], off offset:160
	s_wait_loadcnt 0x0
	ds_store_b128 v150, v[5:8]
.LBB115_307:
	s_wait_alu 0xfffe
	s_or_b32 exec_lo, exec_lo, s0
	s_wait_storecnt_dscnt 0x0
	s_barrier_signal -1
	s_barrier_wait -1
	global_inv scope:SCOPE_SE
	s_clause 0x8
	scratch_load_b128 v[2:5], off, off offset:176
	scratch_load_b128 v[6:9], off, off offset:192
	;; [unrolled: 1-line block ×9, first 2 shown]
	ds_load_b128 v[42:45], v1 offset:992
	ds_load_b128 v[38:41], v1 offset:1008
	s_clause 0x1
	scratch_load_b128 v[151:154], off, off offset:160
	scratch_load_b128 v[155:158], off, off offset:320
	s_mov_b32 s0, exec_lo
	s_wait_loadcnt_dscnt 0xa01
	v_mul_f64_e32 v[159:160], v[44:45], v[4:5]
	v_mul_f64_e32 v[4:5], v[42:43], v[4:5]
	s_wait_loadcnt_dscnt 0x900
	v_mul_f64_e32 v[163:164], v[38:39], v[8:9]
	v_mul_f64_e32 v[8:9], v[40:41], v[8:9]
	s_delay_alu instid0(VALU_DEP_4) | instskip(NEXT) | instid1(VALU_DEP_4)
	v_fma_f64 v[165:166], v[42:43], v[2:3], -v[159:160]
	v_fma_f64 v[167:168], v[44:45], v[2:3], v[4:5]
	ds_load_b128 v[2:5], v1 offset:1024
	ds_load_b128 v[159:162], v1 offset:1040
	scratch_load_b128 v[42:45], off, off offset:336
	v_fma_f64 v[40:41], v[40:41], v[6:7], v[163:164]
	v_fma_f64 v[38:39], v[38:39], v[6:7], -v[8:9]
	scratch_load_b128 v[6:9], off, off offset:352
	s_wait_loadcnt_dscnt 0xa01
	v_mul_f64_e32 v[169:170], v[2:3], v[12:13]
	v_mul_f64_e32 v[12:13], v[4:5], v[12:13]
	v_add_f64_e32 v[163:164], 0, v[165:166]
	v_add_f64_e32 v[165:166], 0, v[167:168]
	s_wait_loadcnt_dscnt 0x900
	v_mul_f64_e32 v[167:168], v[159:160], v[16:17]
	v_mul_f64_e32 v[16:17], v[161:162], v[16:17]
	v_fma_f64 v[169:170], v[4:5], v[10:11], v[169:170]
	v_fma_f64 v[171:172], v[2:3], v[10:11], -v[12:13]
	ds_load_b128 v[2:5], v1 offset:1056
	scratch_load_b128 v[10:13], off, off offset:368
	v_add_f64_e32 v[163:164], v[163:164], v[38:39]
	v_add_f64_e32 v[165:166], v[165:166], v[40:41]
	ds_load_b128 v[38:41], v1 offset:1072
	v_fma_f64 v[161:162], v[161:162], v[14:15], v[167:168]
	v_fma_f64 v[159:160], v[159:160], v[14:15], -v[16:17]
	scratch_load_b128 v[14:17], off, off offset:384
	s_wait_loadcnt_dscnt 0xa01
	v_mul_f64_e32 v[173:174], v[2:3], v[20:21]
	v_mul_f64_e32 v[20:21], v[4:5], v[20:21]
	s_wait_loadcnt_dscnt 0x900
	v_mul_f64_e32 v[167:168], v[38:39], v[24:25]
	v_mul_f64_e32 v[24:25], v[40:41], v[24:25]
	v_add_f64_e32 v[163:164], v[163:164], v[171:172]
	v_add_f64_e32 v[165:166], v[165:166], v[169:170]
	v_fma_f64 v[169:170], v[4:5], v[18:19], v[173:174]
	v_fma_f64 v[171:172], v[2:3], v[18:19], -v[20:21]
	ds_load_b128 v[2:5], v1 offset:1088
	scratch_load_b128 v[18:21], off, off offset:400
	v_fma_f64 v[40:41], v[40:41], v[22:23], v[167:168]
	v_fma_f64 v[38:39], v[38:39], v[22:23], -v[24:25]
	scratch_load_b128 v[22:25], off, off offset:416
	v_add_f64_e32 v[163:164], v[163:164], v[159:160]
	v_add_f64_e32 v[165:166], v[165:166], v[161:162]
	ds_load_b128 v[159:162], v1 offset:1104
	s_wait_loadcnt_dscnt 0xa01
	v_mul_f64_e32 v[173:174], v[2:3], v[28:29]
	v_mul_f64_e32 v[28:29], v[4:5], v[28:29]
	s_wait_loadcnt_dscnt 0x900
	v_mul_f64_e32 v[167:168], v[159:160], v[32:33]
	v_mul_f64_e32 v[32:33], v[161:162], v[32:33]
	v_add_f64_e32 v[163:164], v[163:164], v[171:172]
	v_add_f64_e32 v[165:166], v[165:166], v[169:170]
	v_fma_f64 v[169:170], v[4:5], v[26:27], v[173:174]
	v_fma_f64 v[171:172], v[2:3], v[26:27], -v[28:29]
	ds_load_b128 v[2:5], v1 offset:1120
	scratch_load_b128 v[26:29], off, off offset:432
	v_fma_f64 v[161:162], v[161:162], v[30:31], v[167:168]
	v_fma_f64 v[159:160], v[159:160], v[30:31], -v[32:33]
	scratch_load_b128 v[30:33], off, off offset:448
	v_add_f64_e32 v[163:164], v[163:164], v[38:39]
	v_add_f64_e32 v[165:166], v[165:166], v[40:41]
	ds_load_b128 v[38:41], v1 offset:1136
	s_wait_loadcnt_dscnt 0xa01
	v_mul_f64_e32 v[173:174], v[2:3], v[36:37]
	v_mul_f64_e32 v[36:37], v[4:5], v[36:37]
	s_wait_loadcnt_dscnt 0x800
	v_mul_f64_e32 v[167:168], v[38:39], v[157:158]
	v_add_f64_e32 v[163:164], v[163:164], v[171:172]
	v_add_f64_e32 v[165:166], v[165:166], v[169:170]
	v_mul_f64_e32 v[169:170], v[40:41], v[157:158]
	v_fma_f64 v[171:172], v[4:5], v[34:35], v[173:174]
	v_fma_f64 v[173:174], v[2:3], v[34:35], -v[36:37]
	ds_load_b128 v[2:5], v1 offset:1152
	scratch_load_b128 v[34:37], off, off offset:464
	v_fma_f64 v[167:168], v[40:41], v[155:156], v[167:168]
	v_add_f64_e32 v[163:164], v[163:164], v[159:160]
	v_add_f64_e32 v[161:162], v[165:166], v[161:162]
	ds_load_b128 v[157:160], v1 offset:1168
	v_fma_f64 v[155:156], v[38:39], v[155:156], -v[169:170]
	scratch_load_b128 v[38:41], off, off offset:480
	s_wait_loadcnt_dscnt 0x901
	v_mul_f64_e32 v[165:166], v[2:3], v[44:45]
	v_mul_f64_e32 v[44:45], v[4:5], v[44:45]
	s_wait_loadcnt_dscnt 0x800
	v_mul_f64_e32 v[169:170], v[157:158], v[8:9]
	v_mul_f64_e32 v[8:9], v[159:160], v[8:9]
	v_add_f64_e32 v[163:164], v[163:164], v[173:174]
	v_add_f64_e32 v[161:162], v[161:162], v[171:172]
	v_fma_f64 v[165:166], v[4:5], v[42:43], v[165:166]
	v_fma_f64 v[171:172], v[2:3], v[42:43], -v[44:45]
	ds_load_b128 v[2:5], v1 offset:1184
	scratch_load_b128 v[42:45], off, off offset:496
	v_fma_f64 v[159:160], v[159:160], v[6:7], v[169:170]
	v_fma_f64 v[157:158], v[157:158], v[6:7], -v[8:9]
	scratch_load_b128 v[6:9], off, off offset:512
	v_add_f64_e32 v[155:156], v[163:164], v[155:156]
	v_add_f64_e32 v[167:168], v[161:162], v[167:168]
	ds_load_b128 v[161:164], v1 offset:1200
	s_wait_loadcnt_dscnt 0x901
	v_mul_f64_e32 v[173:174], v[2:3], v[12:13]
	v_mul_f64_e32 v[12:13], v[4:5], v[12:13]
	v_add_f64_e32 v[155:156], v[155:156], v[171:172]
	v_add_f64_e32 v[165:166], v[167:168], v[165:166]
	s_wait_loadcnt_dscnt 0x800
	v_mul_f64_e32 v[167:168], v[161:162], v[16:17]
	v_mul_f64_e32 v[16:17], v[163:164], v[16:17]
	v_fma_f64 v[169:170], v[4:5], v[10:11], v[173:174]
	v_fma_f64 v[171:172], v[2:3], v[10:11], -v[12:13]
	ds_load_b128 v[2:5], v1 offset:1216
	scratch_load_b128 v[10:13], off, off offset:528
	v_add_f64_e32 v[173:174], v[155:156], v[157:158]
	v_add_f64_e32 v[159:160], v[165:166], v[159:160]
	ds_load_b128 v[155:158], v1 offset:1232
	s_wait_loadcnt_dscnt 0x801
	v_mul_f64_e32 v[165:166], v[2:3], v[20:21]
	v_mul_f64_e32 v[20:21], v[4:5], v[20:21]
	v_fma_f64 v[163:164], v[163:164], v[14:15], v[167:168]
	v_fma_f64 v[161:162], v[161:162], v[14:15], -v[16:17]
	scratch_load_b128 v[14:17], off, off offset:544
	v_add_f64_e32 v[167:168], v[173:174], v[171:172]
	v_add_f64_e32 v[159:160], v[159:160], v[169:170]
	s_wait_loadcnt_dscnt 0x800
	v_mul_f64_e32 v[169:170], v[155:156], v[24:25]
	v_mul_f64_e32 v[24:25], v[157:158], v[24:25]
	v_fma_f64 v[165:166], v[4:5], v[18:19], v[165:166]
	v_fma_f64 v[171:172], v[2:3], v[18:19], -v[20:21]
	ds_load_b128 v[2:5], v1 offset:1248
	scratch_load_b128 v[18:21], off, off offset:560
	v_add_f64_e32 v[167:168], v[167:168], v[161:162]
	v_add_f64_e32 v[163:164], v[159:160], v[163:164]
	ds_load_b128 v[159:162], v1 offset:1264
	s_wait_loadcnt_dscnt 0x801
	v_mul_f64_e32 v[173:174], v[2:3], v[28:29]
	v_mul_f64_e32 v[28:29], v[4:5], v[28:29]
	v_fma_f64 v[157:158], v[157:158], v[22:23], v[169:170]
	v_fma_f64 v[155:156], v[155:156], v[22:23], -v[24:25]
	scratch_load_b128 v[22:25], off, off offset:576
	;; [unrolled: 18-line block ×4, first 2 shown]
	s_wait_loadcnt_dscnt 0x800
	v_mul_f64_e32 v[167:168], v[159:160], v[8:9]
	v_mul_f64_e32 v[8:9], v[161:162], v[8:9]
	v_add_f64_e32 v[165:166], v[165:166], v[171:172]
	v_add_f64_e32 v[163:164], v[163:164], v[169:170]
	v_fma_f64 v[169:170], v[4:5], v[42:43], v[173:174]
	v_fma_f64 v[171:172], v[2:3], v[42:43], -v[44:45]
	ds_load_b128 v[2:5], v1 offset:1344
	scratch_load_b128 v[42:45], off, off offset:656
	v_fma_f64 v[161:162], v[161:162], v[6:7], v[167:168]
	v_fma_f64 v[159:160], v[159:160], v[6:7], -v[8:9]
	scratch_load_b128 v[6:9], off, off offset:672
	v_add_f64_e32 v[165:166], v[165:166], v[155:156]
	v_add_f64_e32 v[163:164], v[163:164], v[157:158]
	ds_load_b128 v[155:158], v1 offset:1360
	s_wait_loadcnt_dscnt 0x901
	v_mul_f64_e32 v[173:174], v[2:3], v[12:13]
	v_mul_f64_e32 v[12:13], v[4:5], v[12:13]
	s_wait_loadcnt_dscnt 0x800
	v_mul_f64_e32 v[167:168], v[155:156], v[16:17]
	v_mul_f64_e32 v[16:17], v[157:158], v[16:17]
	v_add_f64_e32 v[165:166], v[165:166], v[171:172]
	v_add_f64_e32 v[163:164], v[163:164], v[169:170]
	v_fma_f64 v[169:170], v[4:5], v[10:11], v[173:174]
	v_fma_f64 v[171:172], v[2:3], v[10:11], -v[12:13]
	ds_load_b128 v[2:5], v1 offset:1376
	scratch_load_b128 v[10:13], off, off offset:688
	v_fma_f64 v[157:158], v[157:158], v[14:15], v[167:168]
	v_fma_f64 v[155:156], v[155:156], v[14:15], -v[16:17]
	scratch_load_b128 v[14:17], off, off offset:704
	v_add_f64_e32 v[165:166], v[165:166], v[159:160]
	v_add_f64_e32 v[163:164], v[163:164], v[161:162]
	ds_load_b128 v[159:162], v1 offset:1392
	s_wait_loadcnt_dscnt 0x901
	v_mul_f64_e32 v[173:174], v[2:3], v[20:21]
	v_mul_f64_e32 v[20:21], v[4:5], v[20:21]
	;; [unrolled: 18-line block ×6, first 2 shown]
	s_wait_loadcnt_dscnt 0x800
	v_mul_f64_e32 v[167:168], v[159:160], v[16:17]
	v_mul_f64_e32 v[16:17], v[161:162], v[16:17]
	v_add_f64_e32 v[165:166], v[165:166], v[171:172]
	v_add_f64_e32 v[163:164], v[163:164], v[169:170]
	v_fma_f64 v[169:170], v[4:5], v[10:11], v[173:174]
	v_fma_f64 v[171:172], v[2:3], v[10:11], -v[12:13]
	ds_load_b128 v[2:5], v1 offset:1536
	ds_load_b128 v[10:13], v1 offset:1552
	v_fma_f64 v[161:162], v[161:162], v[14:15], v[167:168]
	v_fma_f64 v[14:15], v[159:160], v[14:15], -v[16:17]
	v_add_f64_e32 v[155:156], v[165:166], v[155:156]
	v_add_f64_e32 v[157:158], v[163:164], v[157:158]
	s_wait_loadcnt_dscnt 0x701
	v_mul_f64_e32 v[163:164], v[2:3], v[20:21]
	v_mul_f64_e32 v[20:21], v[4:5], v[20:21]
	s_delay_alu instid0(VALU_DEP_4) | instskip(NEXT) | instid1(VALU_DEP_4)
	v_add_f64_e32 v[16:17], v[155:156], v[171:172]
	v_add_f64_e32 v[155:156], v[157:158], v[169:170]
	s_wait_loadcnt_dscnt 0x600
	v_mul_f64_e32 v[157:158], v[10:11], v[24:25]
	v_mul_f64_e32 v[24:25], v[12:13], v[24:25]
	v_fma_f64 v[159:160], v[4:5], v[18:19], v[163:164]
	v_fma_f64 v[18:19], v[2:3], v[18:19], -v[20:21]
	v_add_f64_e32 v[20:21], v[16:17], v[14:15]
	v_add_f64_e32 v[155:156], v[155:156], v[161:162]
	ds_load_b128 v[2:5], v1 offset:1568
	ds_load_b128 v[14:17], v1 offset:1584
	v_fma_f64 v[12:13], v[12:13], v[22:23], v[157:158]
	v_fma_f64 v[10:11], v[10:11], v[22:23], -v[24:25]
	s_wait_loadcnt_dscnt 0x501
	v_mul_f64_e32 v[161:162], v[2:3], v[28:29]
	v_mul_f64_e32 v[28:29], v[4:5], v[28:29]
	s_wait_loadcnt_dscnt 0x400
	v_mul_f64_e32 v[22:23], v[14:15], v[32:33]
	v_mul_f64_e32 v[24:25], v[16:17], v[32:33]
	v_add_f64_e32 v[18:19], v[20:21], v[18:19]
	v_add_f64_e32 v[20:21], v[155:156], v[159:160]
	v_fma_f64 v[32:33], v[4:5], v[26:27], v[161:162]
	v_fma_f64 v[26:27], v[2:3], v[26:27], -v[28:29]
	v_fma_f64 v[16:17], v[16:17], v[30:31], v[22:23]
	v_fma_f64 v[14:15], v[14:15], v[30:31], -v[24:25]
	v_add_f64_e32 v[18:19], v[18:19], v[10:11]
	v_add_f64_e32 v[20:21], v[20:21], v[12:13]
	ds_load_b128 v[2:5], v1 offset:1600
	ds_load_b128 v[10:13], v1 offset:1616
	s_wait_loadcnt_dscnt 0x301
	v_mul_f64_e32 v[28:29], v[2:3], v[36:37]
	v_mul_f64_e32 v[36:37], v[4:5], v[36:37]
	s_wait_loadcnt_dscnt 0x200
	v_mul_f64_e32 v[22:23], v[10:11], v[40:41]
	v_mul_f64_e32 v[24:25], v[12:13], v[40:41]
	v_add_f64_e32 v[18:19], v[18:19], v[26:27]
	v_add_f64_e32 v[20:21], v[20:21], v[32:33]
	v_fma_f64 v[26:27], v[4:5], v[34:35], v[28:29]
	v_fma_f64 v[28:29], v[2:3], v[34:35], -v[36:37]
	v_fma_f64 v[12:13], v[12:13], v[38:39], v[22:23]
	v_fma_f64 v[10:11], v[10:11], v[38:39], -v[24:25]
	v_add_f64_e32 v[18:19], v[18:19], v[14:15]
	v_add_f64_e32 v[20:21], v[20:21], v[16:17]
	ds_load_b128 v[2:5], v1 offset:1632
	ds_load_b128 v[14:17], v1 offset:1648
	s_wait_loadcnt_dscnt 0x101
	v_mul_f64_e32 v[30:31], v[2:3], v[44:45]
	v_mul_f64_e32 v[32:33], v[4:5], v[44:45]
	s_wait_loadcnt_dscnt 0x0
	v_mul_f64_e32 v[22:23], v[14:15], v[8:9]
	v_mul_f64_e32 v[8:9], v[16:17], v[8:9]
	v_add_f64_e32 v[18:19], v[18:19], v[28:29]
	v_add_f64_e32 v[20:21], v[20:21], v[26:27]
	v_fma_f64 v[4:5], v[4:5], v[42:43], v[30:31]
	v_fma_f64 v[1:2], v[2:3], v[42:43], -v[32:33]
	v_fma_f64 v[16:17], v[16:17], v[6:7], v[22:23]
	v_fma_f64 v[6:7], v[14:15], v[6:7], -v[8:9]
	v_add_f64_e32 v[10:11], v[18:19], v[10:11]
	v_add_f64_e32 v[12:13], v[20:21], v[12:13]
	s_delay_alu instid0(VALU_DEP_2) | instskip(NEXT) | instid1(VALU_DEP_2)
	v_add_f64_e32 v[1:2], v[10:11], v[1:2]
	v_add_f64_e32 v[3:4], v[12:13], v[4:5]
	s_delay_alu instid0(VALU_DEP_2) | instskip(NEXT) | instid1(VALU_DEP_2)
	;; [unrolled: 3-line block ×3, first 2 shown]
	v_add_f64_e64 v[1:2], v[151:152], -v[1:2]
	v_add_f64_e64 v[3:4], v[153:154], -v[3:4]
	scratch_store_b128 off, v[1:4], off offset:160
	v_cmpx_lt_u32_e32 8, v0
	s_cbranch_execz .LBB115_309
; %bb.308:
	scratch_load_b128 v[1:4], off, s57
	v_mov_b32_e32 v5, 0
	s_delay_alu instid0(VALU_DEP_1)
	v_dual_mov_b32 v6, v5 :: v_dual_mov_b32 v7, v5
	v_mov_b32_e32 v8, v5
	scratch_store_b128 off, v[5:8], off offset:144
	s_wait_loadcnt 0x0
	ds_store_b128 v150, v[1:4]
.LBB115_309:
	s_wait_alu 0xfffe
	s_or_b32 exec_lo, exec_lo, s0
	s_wait_storecnt_dscnt 0x0
	s_barrier_signal -1
	s_barrier_wait -1
	global_inv scope:SCOPE_SE
	s_clause 0x7
	scratch_load_b128 v[2:5], off, off offset:160
	scratch_load_b128 v[6:9], off, off offset:176
	;; [unrolled: 1-line block ×8, first 2 shown]
	v_mov_b32_e32 v1, 0
	s_mov_b32 s0, exec_lo
	ds_load_b128 v[38:41], v1 offset:976
	s_clause 0x1
	scratch_load_b128 v[34:37], off, off offset:288
	scratch_load_b128 v[42:45], off, off offset:144
	ds_load_b128 v[151:154], v1 offset:992
	scratch_load_b128 v[155:158], off, off offset:304
	s_wait_loadcnt_dscnt 0xa01
	v_mul_f64_e32 v[159:160], v[40:41], v[4:5]
	v_mul_f64_e32 v[4:5], v[38:39], v[4:5]
	s_delay_alu instid0(VALU_DEP_2) | instskip(NEXT) | instid1(VALU_DEP_2)
	v_fma_f64 v[165:166], v[38:39], v[2:3], -v[159:160]
	v_fma_f64 v[167:168], v[40:41], v[2:3], v[4:5]
	ds_load_b128 v[2:5], v1 offset:1008
	s_wait_loadcnt_dscnt 0x901
	v_mul_f64_e32 v[163:164], v[151:152], v[8:9]
	v_mul_f64_e32 v[8:9], v[153:154], v[8:9]
	scratch_load_b128 v[38:41], off, off offset:320
	ds_load_b128 v[159:162], v1 offset:1024
	s_wait_loadcnt_dscnt 0x901
	v_mul_f64_e32 v[169:170], v[2:3], v[12:13]
	v_mul_f64_e32 v[12:13], v[4:5], v[12:13]
	v_fma_f64 v[153:154], v[153:154], v[6:7], v[163:164]
	v_fma_f64 v[151:152], v[151:152], v[6:7], -v[8:9]
	v_add_f64_e32 v[163:164], 0, v[165:166]
	v_add_f64_e32 v[165:166], 0, v[167:168]
	scratch_load_b128 v[6:9], off, off offset:336
	v_fma_f64 v[169:170], v[4:5], v[10:11], v[169:170]
	v_fma_f64 v[171:172], v[2:3], v[10:11], -v[12:13]
	ds_load_b128 v[2:5], v1 offset:1040
	s_wait_loadcnt_dscnt 0x901
	v_mul_f64_e32 v[167:168], v[159:160], v[16:17]
	v_mul_f64_e32 v[16:17], v[161:162], v[16:17]
	scratch_load_b128 v[10:13], off, off offset:352
	v_add_f64_e32 v[163:164], v[163:164], v[151:152]
	v_add_f64_e32 v[165:166], v[165:166], v[153:154]
	s_wait_loadcnt_dscnt 0x900
	v_mul_f64_e32 v[173:174], v[2:3], v[20:21]
	v_mul_f64_e32 v[20:21], v[4:5], v[20:21]
	ds_load_b128 v[151:154], v1 offset:1056
	v_fma_f64 v[161:162], v[161:162], v[14:15], v[167:168]
	v_fma_f64 v[159:160], v[159:160], v[14:15], -v[16:17]
	scratch_load_b128 v[14:17], off, off offset:368
	v_add_f64_e32 v[163:164], v[163:164], v[171:172]
	v_add_f64_e32 v[165:166], v[165:166], v[169:170]
	v_fma_f64 v[169:170], v[4:5], v[18:19], v[173:174]
	v_fma_f64 v[171:172], v[2:3], v[18:19], -v[20:21]
	ds_load_b128 v[2:5], v1 offset:1072
	s_wait_loadcnt_dscnt 0x901
	v_mul_f64_e32 v[167:168], v[151:152], v[24:25]
	v_mul_f64_e32 v[24:25], v[153:154], v[24:25]
	scratch_load_b128 v[18:21], off, off offset:384
	s_wait_loadcnt_dscnt 0x900
	v_mul_f64_e32 v[173:174], v[2:3], v[28:29]
	v_mul_f64_e32 v[28:29], v[4:5], v[28:29]
	v_add_f64_e32 v[163:164], v[163:164], v[159:160]
	v_add_f64_e32 v[165:166], v[165:166], v[161:162]
	ds_load_b128 v[159:162], v1 offset:1088
	v_fma_f64 v[153:154], v[153:154], v[22:23], v[167:168]
	v_fma_f64 v[151:152], v[151:152], v[22:23], -v[24:25]
	scratch_load_b128 v[22:25], off, off offset:400
	v_add_f64_e32 v[163:164], v[163:164], v[171:172]
	v_add_f64_e32 v[165:166], v[165:166], v[169:170]
	v_fma_f64 v[169:170], v[4:5], v[26:27], v[173:174]
	v_fma_f64 v[171:172], v[2:3], v[26:27], -v[28:29]
	ds_load_b128 v[2:5], v1 offset:1104
	s_wait_loadcnt_dscnt 0x901
	v_mul_f64_e32 v[167:168], v[159:160], v[32:33]
	v_mul_f64_e32 v[32:33], v[161:162], v[32:33]
	scratch_load_b128 v[26:29], off, off offset:416
	s_wait_loadcnt_dscnt 0x900
	v_mul_f64_e32 v[173:174], v[2:3], v[36:37]
	v_mul_f64_e32 v[36:37], v[4:5], v[36:37]
	v_add_f64_e32 v[163:164], v[163:164], v[151:152]
	v_add_f64_e32 v[165:166], v[165:166], v[153:154]
	ds_load_b128 v[151:154], v1 offset:1120
	v_fma_f64 v[161:162], v[161:162], v[30:31], v[167:168]
	v_fma_f64 v[159:160], v[159:160], v[30:31], -v[32:33]
	scratch_load_b128 v[30:33], off, off offset:432
	v_add_f64_e32 v[163:164], v[163:164], v[171:172]
	v_add_f64_e32 v[165:166], v[165:166], v[169:170]
	v_fma_f64 v[171:172], v[4:5], v[34:35], v[173:174]
	v_fma_f64 v[173:174], v[2:3], v[34:35], -v[36:37]
	ds_load_b128 v[2:5], v1 offset:1136
	s_wait_loadcnt_dscnt 0x801
	v_mul_f64_e32 v[167:168], v[151:152], v[157:158]
	v_mul_f64_e32 v[169:170], v[153:154], v[157:158]
	scratch_load_b128 v[34:37], off, off offset:448
	v_add_f64_e32 v[163:164], v[163:164], v[159:160]
	v_add_f64_e32 v[161:162], v[165:166], v[161:162]
	ds_load_b128 v[157:160], v1 offset:1152
	v_fma_f64 v[167:168], v[153:154], v[155:156], v[167:168]
	v_fma_f64 v[155:156], v[151:152], v[155:156], -v[169:170]
	scratch_load_b128 v[151:154], off, off offset:464
	s_wait_loadcnt_dscnt 0x901
	v_mul_f64_e32 v[165:166], v[2:3], v[40:41]
	v_mul_f64_e32 v[40:41], v[4:5], v[40:41]
	v_add_f64_e32 v[163:164], v[163:164], v[173:174]
	v_add_f64_e32 v[161:162], v[161:162], v[171:172]
	s_delay_alu instid0(VALU_DEP_4) | instskip(NEXT) | instid1(VALU_DEP_4)
	v_fma_f64 v[165:166], v[4:5], v[38:39], v[165:166]
	v_fma_f64 v[171:172], v[2:3], v[38:39], -v[40:41]
	ds_load_b128 v[2:5], v1 offset:1168
	s_wait_loadcnt_dscnt 0x801
	v_mul_f64_e32 v[169:170], v[157:158], v[8:9]
	v_mul_f64_e32 v[8:9], v[159:160], v[8:9]
	scratch_load_b128 v[38:41], off, off offset:480
	s_wait_loadcnt_dscnt 0x800
	v_mul_f64_e32 v[173:174], v[2:3], v[12:13]
	v_add_f64_e32 v[155:156], v[163:164], v[155:156]
	v_add_f64_e32 v[167:168], v[161:162], v[167:168]
	v_mul_f64_e32 v[12:13], v[4:5], v[12:13]
	ds_load_b128 v[161:164], v1 offset:1184
	v_fma_f64 v[159:160], v[159:160], v[6:7], v[169:170]
	v_fma_f64 v[157:158], v[157:158], v[6:7], -v[8:9]
	scratch_load_b128 v[6:9], off, off offset:496
	v_fma_f64 v[169:170], v[4:5], v[10:11], v[173:174]
	v_add_f64_e32 v[155:156], v[155:156], v[171:172]
	v_add_f64_e32 v[165:166], v[167:168], v[165:166]
	v_fma_f64 v[171:172], v[2:3], v[10:11], -v[12:13]
	ds_load_b128 v[2:5], v1 offset:1200
	s_wait_loadcnt_dscnt 0x801
	v_mul_f64_e32 v[167:168], v[161:162], v[16:17]
	v_mul_f64_e32 v[16:17], v[163:164], v[16:17]
	scratch_load_b128 v[10:13], off, off offset:512
	v_add_f64_e32 v[173:174], v[155:156], v[157:158]
	v_add_f64_e32 v[159:160], v[165:166], v[159:160]
	s_wait_loadcnt_dscnt 0x800
	v_mul_f64_e32 v[165:166], v[2:3], v[20:21]
	v_mul_f64_e32 v[20:21], v[4:5], v[20:21]
	v_fma_f64 v[163:164], v[163:164], v[14:15], v[167:168]
	v_fma_f64 v[161:162], v[161:162], v[14:15], -v[16:17]
	ds_load_b128 v[155:158], v1 offset:1216
	scratch_load_b128 v[14:17], off, off offset:528
	v_add_f64_e32 v[167:168], v[173:174], v[171:172]
	v_add_f64_e32 v[159:160], v[159:160], v[169:170]
	v_fma_f64 v[165:166], v[4:5], v[18:19], v[165:166]
	v_fma_f64 v[171:172], v[2:3], v[18:19], -v[20:21]
	ds_load_b128 v[2:5], v1 offset:1232
	s_wait_loadcnt_dscnt 0x801
	v_mul_f64_e32 v[169:170], v[155:156], v[24:25]
	v_mul_f64_e32 v[24:25], v[157:158], v[24:25]
	scratch_load_b128 v[18:21], off, off offset:544
	s_wait_loadcnt_dscnt 0x800
	v_mul_f64_e32 v[173:174], v[2:3], v[28:29]
	v_mul_f64_e32 v[28:29], v[4:5], v[28:29]
	v_add_f64_e32 v[167:168], v[167:168], v[161:162]
	v_add_f64_e32 v[163:164], v[159:160], v[163:164]
	ds_load_b128 v[159:162], v1 offset:1248
	v_fma_f64 v[157:158], v[157:158], v[22:23], v[169:170]
	v_fma_f64 v[155:156], v[155:156], v[22:23], -v[24:25]
	scratch_load_b128 v[22:25], off, off offset:560
	v_fma_f64 v[169:170], v[4:5], v[26:27], v[173:174]
	v_add_f64_e32 v[167:168], v[167:168], v[171:172]
	v_add_f64_e32 v[163:164], v[163:164], v[165:166]
	v_fma_f64 v[171:172], v[2:3], v[26:27], -v[28:29]
	ds_load_b128 v[2:5], v1 offset:1264
	s_wait_loadcnt_dscnt 0x801
	v_mul_f64_e32 v[165:166], v[159:160], v[32:33]
	v_mul_f64_e32 v[32:33], v[161:162], v[32:33]
	scratch_load_b128 v[26:29], off, off offset:576
	s_wait_loadcnt_dscnt 0x800
	v_mul_f64_e32 v[173:174], v[2:3], v[36:37]
	v_mul_f64_e32 v[36:37], v[4:5], v[36:37]
	v_add_f64_e32 v[167:168], v[167:168], v[155:156]
	v_add_f64_e32 v[163:164], v[163:164], v[157:158]
	ds_load_b128 v[155:158], v1 offset:1280
	v_fma_f64 v[161:162], v[161:162], v[30:31], v[165:166]
	v_fma_f64 v[159:160], v[159:160], v[30:31], -v[32:33]
	scratch_load_b128 v[30:33], off, off offset:592
	v_add_f64_e32 v[165:166], v[167:168], v[171:172]
	v_add_f64_e32 v[163:164], v[163:164], v[169:170]
	v_fma_f64 v[169:170], v[4:5], v[34:35], v[173:174]
	v_fma_f64 v[171:172], v[2:3], v[34:35], -v[36:37]
	ds_load_b128 v[2:5], v1 offset:1296
	s_wait_loadcnt_dscnt 0x801
	v_mul_f64_e32 v[167:168], v[155:156], v[153:154]
	v_mul_f64_e32 v[153:154], v[157:158], v[153:154]
	scratch_load_b128 v[34:37], off, off offset:608
	s_wait_loadcnt_dscnt 0x800
	v_mul_f64_e32 v[173:174], v[2:3], v[40:41]
	v_mul_f64_e32 v[40:41], v[4:5], v[40:41]
	v_add_f64_e32 v[165:166], v[165:166], v[159:160]
	v_add_f64_e32 v[163:164], v[163:164], v[161:162]
	ds_load_b128 v[159:162], v1 offset:1312
	v_fma_f64 v[157:158], v[157:158], v[151:152], v[167:168]
	v_fma_f64 v[155:156], v[155:156], v[151:152], -v[153:154]
	scratch_load_b128 v[151:154], off, off offset:624
	v_add_f64_e32 v[165:166], v[165:166], v[171:172]
	v_add_f64_e32 v[163:164], v[163:164], v[169:170]
	v_fma_f64 v[169:170], v[4:5], v[38:39], v[173:174]
	;; [unrolled: 18-line block ×6, first 2 shown]
	v_fma_f64 v[173:174], v[2:3], v[34:35], -v[36:37]
	ds_load_b128 v[2:5], v1 offset:1456
	s_wait_loadcnt_dscnt 0x801
	v_mul_f64_e32 v[167:168], v[159:160], v[153:154]
	v_mul_f64_e32 v[169:170], v[161:162], v[153:154]
	scratch_load_b128 v[34:37], off, off offset:768
	v_add_f64_e32 v[165:166], v[165:166], v[155:156]
	v_add_f64_e32 v[157:158], v[163:164], v[157:158]
	s_wait_loadcnt_dscnt 0x800
	v_mul_f64_e32 v[163:164], v[2:3], v[40:41]
	v_mul_f64_e32 v[40:41], v[4:5], v[40:41]
	ds_load_b128 v[153:156], v1 offset:1472
	v_fma_f64 v[161:162], v[161:162], v[151:152], v[167:168]
	v_fma_f64 v[151:152], v[159:160], v[151:152], -v[169:170]
	v_add_f64_e32 v[165:166], v[165:166], v[173:174]
	v_add_f64_e32 v[167:168], v[157:158], v[171:172]
	scratch_load_b128 v[157:160], off, off offset:784
	v_fma_f64 v[171:172], v[4:5], v[38:39], v[163:164]
	v_fma_f64 v[173:174], v[2:3], v[38:39], -v[40:41]
	ds_load_b128 v[2:5], v1 offset:1488
	s_wait_loadcnt_dscnt 0x801
	v_mul_f64_e32 v[169:170], v[153:154], v[8:9]
	v_mul_f64_e32 v[8:9], v[155:156], v[8:9]
	scratch_load_b128 v[38:41], off, off offset:800
	v_add_f64_e32 v[151:152], v[165:166], v[151:152]
	v_add_f64_e32 v[165:166], v[167:168], v[161:162]
	s_wait_loadcnt_dscnt 0x800
	v_mul_f64_e32 v[167:168], v[2:3], v[12:13]
	v_mul_f64_e32 v[12:13], v[4:5], v[12:13]
	ds_load_b128 v[161:164], v1 offset:1504
	v_fma_f64 v[155:156], v[155:156], v[6:7], v[169:170]
	v_fma_f64 v[153:154], v[153:154], v[6:7], -v[8:9]
	scratch_load_b128 v[6:9], off, off offset:816
	v_add_f64_e32 v[151:152], v[151:152], v[173:174]
	v_add_f64_e32 v[165:166], v[165:166], v[171:172]
	v_fma_f64 v[167:168], v[4:5], v[10:11], v[167:168]
	v_fma_f64 v[171:172], v[2:3], v[10:11], -v[12:13]
	ds_load_b128 v[2:5], v1 offset:1520
	s_wait_loadcnt_dscnt 0x801
	v_mul_f64_e32 v[169:170], v[161:162], v[16:17]
	v_mul_f64_e32 v[16:17], v[163:164], v[16:17]
	scratch_load_b128 v[10:13], off, off offset:832
	v_add_f64_e32 v[173:174], v[151:152], v[153:154]
	v_add_f64_e32 v[155:156], v[165:166], v[155:156]
	s_wait_loadcnt_dscnt 0x800
	v_mul_f64_e32 v[165:166], v[2:3], v[20:21]
	v_mul_f64_e32 v[20:21], v[4:5], v[20:21]
	ds_load_b128 v[151:154], v1 offset:1536
	v_fma_f64 v[163:164], v[163:164], v[14:15], v[169:170]
	v_fma_f64 v[14:15], v[161:162], v[14:15], -v[16:17]
	s_wait_loadcnt_dscnt 0x700
	v_mul_f64_e32 v[161:162], v[151:152], v[24:25]
	v_mul_f64_e32 v[24:25], v[153:154], v[24:25]
	v_add_f64_e32 v[16:17], v[173:174], v[171:172]
	v_add_f64_e32 v[155:156], v[155:156], v[167:168]
	v_fma_f64 v[165:166], v[4:5], v[18:19], v[165:166]
	v_fma_f64 v[18:19], v[2:3], v[18:19], -v[20:21]
	v_fma_f64 v[153:154], v[153:154], v[22:23], v[161:162]
	v_fma_f64 v[22:23], v[151:152], v[22:23], -v[24:25]
	v_add_f64_e32 v[20:21], v[16:17], v[14:15]
	v_add_f64_e32 v[155:156], v[155:156], v[163:164]
	ds_load_b128 v[2:5], v1 offset:1552
	ds_load_b128 v[14:17], v1 offset:1568
	s_wait_loadcnt_dscnt 0x601
	v_mul_f64_e32 v[163:164], v[2:3], v[28:29]
	v_mul_f64_e32 v[28:29], v[4:5], v[28:29]
	s_wait_loadcnt_dscnt 0x500
	v_mul_f64_e32 v[24:25], v[14:15], v[32:33]
	v_mul_f64_e32 v[32:33], v[16:17], v[32:33]
	v_add_f64_e32 v[18:19], v[20:21], v[18:19]
	v_add_f64_e32 v[20:21], v[155:156], v[165:166]
	v_fma_f64 v[151:152], v[4:5], v[26:27], v[163:164]
	v_fma_f64 v[26:27], v[2:3], v[26:27], -v[28:29]
	v_fma_f64 v[16:17], v[16:17], v[30:31], v[24:25]
	v_fma_f64 v[14:15], v[14:15], v[30:31], -v[32:33]
	v_add_f64_e32 v[22:23], v[18:19], v[22:23]
	v_add_f64_e32 v[28:29], v[20:21], v[153:154]
	ds_load_b128 v[2:5], v1 offset:1584
	ds_load_b128 v[18:21], v1 offset:1600
	s_wait_loadcnt_dscnt 0x401
	v_mul_f64_e32 v[153:154], v[2:3], v[36:37]
	v_mul_f64_e32 v[36:37], v[4:5], v[36:37]
	v_add_f64_e32 v[22:23], v[22:23], v[26:27]
	v_add_f64_e32 v[24:25], v[28:29], v[151:152]
	s_wait_loadcnt_dscnt 0x300
	v_mul_f64_e32 v[26:27], v[18:19], v[159:160]
	v_mul_f64_e32 v[28:29], v[20:21], v[159:160]
	v_fma_f64 v[30:31], v[4:5], v[34:35], v[153:154]
	v_fma_f64 v[32:33], v[2:3], v[34:35], -v[36:37]
	v_add_f64_e32 v[22:23], v[22:23], v[14:15]
	v_add_f64_e32 v[24:25], v[24:25], v[16:17]
	ds_load_b128 v[2:5], v1 offset:1616
	ds_load_b128 v[14:17], v1 offset:1632
	v_fma_f64 v[20:21], v[20:21], v[157:158], v[26:27]
	v_fma_f64 v[18:19], v[18:19], v[157:158], -v[28:29]
	s_wait_loadcnt_dscnt 0x201
	v_mul_f64_e32 v[34:35], v[2:3], v[40:41]
	v_mul_f64_e32 v[36:37], v[4:5], v[40:41]
	s_wait_loadcnt_dscnt 0x100
	v_mul_f64_e32 v[26:27], v[14:15], v[8:9]
	v_mul_f64_e32 v[8:9], v[16:17], v[8:9]
	v_add_f64_e32 v[22:23], v[22:23], v[32:33]
	v_add_f64_e32 v[24:25], v[24:25], v[30:31]
	v_fma_f64 v[28:29], v[4:5], v[38:39], v[34:35]
	v_fma_f64 v[30:31], v[2:3], v[38:39], -v[36:37]
	ds_load_b128 v[2:5], v1 offset:1648
	v_fma_f64 v[16:17], v[16:17], v[6:7], v[26:27]
	v_fma_f64 v[6:7], v[14:15], v[6:7], -v[8:9]
	v_add_f64_e32 v[18:19], v[22:23], v[18:19]
	v_add_f64_e32 v[20:21], v[24:25], v[20:21]
	s_wait_loadcnt_dscnt 0x0
	v_mul_f64_e32 v[22:23], v[2:3], v[12:13]
	v_mul_f64_e32 v[12:13], v[4:5], v[12:13]
	s_delay_alu instid0(VALU_DEP_4) | instskip(NEXT) | instid1(VALU_DEP_4)
	v_add_f64_e32 v[8:9], v[18:19], v[30:31]
	v_add_f64_e32 v[14:15], v[20:21], v[28:29]
	s_delay_alu instid0(VALU_DEP_4) | instskip(NEXT) | instid1(VALU_DEP_4)
	v_fma_f64 v[4:5], v[4:5], v[10:11], v[22:23]
	v_fma_f64 v[2:3], v[2:3], v[10:11], -v[12:13]
	s_delay_alu instid0(VALU_DEP_4) | instskip(NEXT) | instid1(VALU_DEP_4)
	v_add_f64_e32 v[6:7], v[8:9], v[6:7]
	v_add_f64_e32 v[8:9], v[14:15], v[16:17]
	s_delay_alu instid0(VALU_DEP_2) | instskip(NEXT) | instid1(VALU_DEP_2)
	v_add_f64_e32 v[2:3], v[6:7], v[2:3]
	v_add_f64_e32 v[4:5], v[8:9], v[4:5]
	s_delay_alu instid0(VALU_DEP_2) | instskip(NEXT) | instid1(VALU_DEP_2)
	v_add_f64_e64 v[2:3], v[42:43], -v[2:3]
	v_add_f64_e64 v[4:5], v[44:45], -v[4:5]
	scratch_store_b128 off, v[2:5], off offset:144
	v_cmpx_lt_u32_e32 7, v0
	s_cbranch_execz .LBB115_311
; %bb.310:
	scratch_load_b128 v[5:8], off, s58
	v_dual_mov_b32 v2, v1 :: v_dual_mov_b32 v3, v1
	v_mov_b32_e32 v4, v1
	scratch_store_b128 off, v[1:4], off offset:128
	s_wait_loadcnt 0x0
	ds_store_b128 v150, v[5:8]
.LBB115_311:
	s_wait_alu 0xfffe
	s_or_b32 exec_lo, exec_lo, s0
	s_wait_storecnt_dscnt 0x0
	s_barrier_signal -1
	s_barrier_wait -1
	global_inv scope:SCOPE_SE
	s_clause 0x8
	scratch_load_b128 v[2:5], off, off offset:144
	scratch_load_b128 v[6:9], off, off offset:160
	;; [unrolled: 1-line block ×9, first 2 shown]
	ds_load_b128 v[42:45], v1 offset:960
	ds_load_b128 v[38:41], v1 offset:976
	s_clause 0x1
	scratch_load_b128 v[151:154], off, off offset:128
	scratch_load_b128 v[155:158], off, off offset:288
	s_mov_b32 s0, exec_lo
	s_wait_loadcnt_dscnt 0xa01
	v_mul_f64_e32 v[159:160], v[44:45], v[4:5]
	v_mul_f64_e32 v[4:5], v[42:43], v[4:5]
	s_wait_loadcnt_dscnt 0x900
	v_mul_f64_e32 v[163:164], v[38:39], v[8:9]
	v_mul_f64_e32 v[8:9], v[40:41], v[8:9]
	s_delay_alu instid0(VALU_DEP_4) | instskip(NEXT) | instid1(VALU_DEP_4)
	v_fma_f64 v[165:166], v[42:43], v[2:3], -v[159:160]
	v_fma_f64 v[167:168], v[44:45], v[2:3], v[4:5]
	ds_load_b128 v[2:5], v1 offset:992
	ds_load_b128 v[159:162], v1 offset:1008
	scratch_load_b128 v[42:45], off, off offset:304
	v_fma_f64 v[40:41], v[40:41], v[6:7], v[163:164]
	v_fma_f64 v[38:39], v[38:39], v[6:7], -v[8:9]
	scratch_load_b128 v[6:9], off, off offset:320
	s_wait_loadcnt_dscnt 0xa01
	v_mul_f64_e32 v[169:170], v[2:3], v[12:13]
	v_mul_f64_e32 v[12:13], v[4:5], v[12:13]
	v_add_f64_e32 v[163:164], 0, v[165:166]
	v_add_f64_e32 v[165:166], 0, v[167:168]
	s_wait_loadcnt_dscnt 0x900
	v_mul_f64_e32 v[167:168], v[159:160], v[16:17]
	v_mul_f64_e32 v[16:17], v[161:162], v[16:17]
	v_fma_f64 v[169:170], v[4:5], v[10:11], v[169:170]
	v_fma_f64 v[171:172], v[2:3], v[10:11], -v[12:13]
	ds_load_b128 v[2:5], v1 offset:1024
	scratch_load_b128 v[10:13], off, off offset:336
	v_add_f64_e32 v[163:164], v[163:164], v[38:39]
	v_add_f64_e32 v[165:166], v[165:166], v[40:41]
	ds_load_b128 v[38:41], v1 offset:1040
	v_fma_f64 v[161:162], v[161:162], v[14:15], v[167:168]
	v_fma_f64 v[159:160], v[159:160], v[14:15], -v[16:17]
	scratch_load_b128 v[14:17], off, off offset:352
	s_wait_loadcnt_dscnt 0xa01
	v_mul_f64_e32 v[173:174], v[2:3], v[20:21]
	v_mul_f64_e32 v[20:21], v[4:5], v[20:21]
	s_wait_loadcnt_dscnt 0x900
	v_mul_f64_e32 v[167:168], v[38:39], v[24:25]
	v_mul_f64_e32 v[24:25], v[40:41], v[24:25]
	v_add_f64_e32 v[163:164], v[163:164], v[171:172]
	v_add_f64_e32 v[165:166], v[165:166], v[169:170]
	v_fma_f64 v[169:170], v[4:5], v[18:19], v[173:174]
	v_fma_f64 v[171:172], v[2:3], v[18:19], -v[20:21]
	ds_load_b128 v[2:5], v1 offset:1056
	scratch_load_b128 v[18:21], off, off offset:368
	v_fma_f64 v[40:41], v[40:41], v[22:23], v[167:168]
	v_fma_f64 v[38:39], v[38:39], v[22:23], -v[24:25]
	scratch_load_b128 v[22:25], off, off offset:384
	v_add_f64_e32 v[163:164], v[163:164], v[159:160]
	v_add_f64_e32 v[165:166], v[165:166], v[161:162]
	ds_load_b128 v[159:162], v1 offset:1072
	s_wait_loadcnt_dscnt 0xa01
	v_mul_f64_e32 v[173:174], v[2:3], v[28:29]
	v_mul_f64_e32 v[28:29], v[4:5], v[28:29]
	s_wait_loadcnt_dscnt 0x900
	v_mul_f64_e32 v[167:168], v[159:160], v[32:33]
	v_mul_f64_e32 v[32:33], v[161:162], v[32:33]
	v_add_f64_e32 v[163:164], v[163:164], v[171:172]
	v_add_f64_e32 v[165:166], v[165:166], v[169:170]
	v_fma_f64 v[169:170], v[4:5], v[26:27], v[173:174]
	v_fma_f64 v[171:172], v[2:3], v[26:27], -v[28:29]
	ds_load_b128 v[2:5], v1 offset:1088
	scratch_load_b128 v[26:29], off, off offset:400
	v_fma_f64 v[161:162], v[161:162], v[30:31], v[167:168]
	v_fma_f64 v[159:160], v[159:160], v[30:31], -v[32:33]
	scratch_load_b128 v[30:33], off, off offset:416
	v_add_f64_e32 v[163:164], v[163:164], v[38:39]
	v_add_f64_e32 v[165:166], v[165:166], v[40:41]
	ds_load_b128 v[38:41], v1 offset:1104
	s_wait_loadcnt_dscnt 0xa01
	v_mul_f64_e32 v[173:174], v[2:3], v[36:37]
	v_mul_f64_e32 v[36:37], v[4:5], v[36:37]
	s_wait_loadcnt_dscnt 0x800
	v_mul_f64_e32 v[167:168], v[38:39], v[157:158]
	v_add_f64_e32 v[163:164], v[163:164], v[171:172]
	v_add_f64_e32 v[165:166], v[165:166], v[169:170]
	v_mul_f64_e32 v[169:170], v[40:41], v[157:158]
	v_fma_f64 v[171:172], v[4:5], v[34:35], v[173:174]
	v_fma_f64 v[173:174], v[2:3], v[34:35], -v[36:37]
	ds_load_b128 v[2:5], v1 offset:1120
	scratch_load_b128 v[34:37], off, off offset:432
	v_fma_f64 v[167:168], v[40:41], v[155:156], v[167:168]
	v_add_f64_e32 v[163:164], v[163:164], v[159:160]
	v_add_f64_e32 v[161:162], v[165:166], v[161:162]
	ds_load_b128 v[157:160], v1 offset:1136
	v_fma_f64 v[155:156], v[38:39], v[155:156], -v[169:170]
	scratch_load_b128 v[38:41], off, off offset:448
	s_wait_loadcnt_dscnt 0x901
	v_mul_f64_e32 v[165:166], v[2:3], v[44:45]
	v_mul_f64_e32 v[44:45], v[4:5], v[44:45]
	s_wait_loadcnt_dscnt 0x800
	v_mul_f64_e32 v[169:170], v[157:158], v[8:9]
	v_mul_f64_e32 v[8:9], v[159:160], v[8:9]
	v_add_f64_e32 v[163:164], v[163:164], v[173:174]
	v_add_f64_e32 v[161:162], v[161:162], v[171:172]
	v_fma_f64 v[165:166], v[4:5], v[42:43], v[165:166]
	v_fma_f64 v[171:172], v[2:3], v[42:43], -v[44:45]
	ds_load_b128 v[2:5], v1 offset:1152
	scratch_load_b128 v[42:45], off, off offset:464
	v_fma_f64 v[159:160], v[159:160], v[6:7], v[169:170]
	v_fma_f64 v[157:158], v[157:158], v[6:7], -v[8:9]
	scratch_load_b128 v[6:9], off, off offset:480
	v_add_f64_e32 v[155:156], v[163:164], v[155:156]
	v_add_f64_e32 v[167:168], v[161:162], v[167:168]
	ds_load_b128 v[161:164], v1 offset:1168
	s_wait_loadcnt_dscnt 0x901
	v_mul_f64_e32 v[173:174], v[2:3], v[12:13]
	v_mul_f64_e32 v[12:13], v[4:5], v[12:13]
	v_add_f64_e32 v[155:156], v[155:156], v[171:172]
	v_add_f64_e32 v[165:166], v[167:168], v[165:166]
	s_wait_loadcnt_dscnt 0x800
	v_mul_f64_e32 v[167:168], v[161:162], v[16:17]
	v_mul_f64_e32 v[16:17], v[163:164], v[16:17]
	v_fma_f64 v[169:170], v[4:5], v[10:11], v[173:174]
	v_fma_f64 v[171:172], v[2:3], v[10:11], -v[12:13]
	ds_load_b128 v[2:5], v1 offset:1184
	scratch_load_b128 v[10:13], off, off offset:496
	v_add_f64_e32 v[173:174], v[155:156], v[157:158]
	v_add_f64_e32 v[159:160], v[165:166], v[159:160]
	ds_load_b128 v[155:158], v1 offset:1200
	s_wait_loadcnt_dscnt 0x801
	v_mul_f64_e32 v[165:166], v[2:3], v[20:21]
	v_mul_f64_e32 v[20:21], v[4:5], v[20:21]
	v_fma_f64 v[163:164], v[163:164], v[14:15], v[167:168]
	v_fma_f64 v[161:162], v[161:162], v[14:15], -v[16:17]
	scratch_load_b128 v[14:17], off, off offset:512
	v_add_f64_e32 v[167:168], v[173:174], v[171:172]
	v_add_f64_e32 v[159:160], v[159:160], v[169:170]
	s_wait_loadcnt_dscnt 0x800
	v_mul_f64_e32 v[169:170], v[155:156], v[24:25]
	v_mul_f64_e32 v[24:25], v[157:158], v[24:25]
	v_fma_f64 v[165:166], v[4:5], v[18:19], v[165:166]
	v_fma_f64 v[171:172], v[2:3], v[18:19], -v[20:21]
	ds_load_b128 v[2:5], v1 offset:1216
	scratch_load_b128 v[18:21], off, off offset:528
	v_add_f64_e32 v[167:168], v[167:168], v[161:162]
	v_add_f64_e32 v[163:164], v[159:160], v[163:164]
	ds_load_b128 v[159:162], v1 offset:1232
	s_wait_loadcnt_dscnt 0x801
	v_mul_f64_e32 v[173:174], v[2:3], v[28:29]
	v_mul_f64_e32 v[28:29], v[4:5], v[28:29]
	v_fma_f64 v[157:158], v[157:158], v[22:23], v[169:170]
	v_fma_f64 v[155:156], v[155:156], v[22:23], -v[24:25]
	scratch_load_b128 v[22:25], off, off offset:544
	;; [unrolled: 18-line block ×4, first 2 shown]
	s_wait_loadcnt_dscnt 0x800
	v_mul_f64_e32 v[167:168], v[159:160], v[8:9]
	v_mul_f64_e32 v[8:9], v[161:162], v[8:9]
	v_add_f64_e32 v[165:166], v[165:166], v[171:172]
	v_add_f64_e32 v[163:164], v[163:164], v[169:170]
	v_fma_f64 v[169:170], v[4:5], v[42:43], v[173:174]
	v_fma_f64 v[171:172], v[2:3], v[42:43], -v[44:45]
	ds_load_b128 v[2:5], v1 offset:1312
	scratch_load_b128 v[42:45], off, off offset:624
	v_fma_f64 v[161:162], v[161:162], v[6:7], v[167:168]
	v_fma_f64 v[159:160], v[159:160], v[6:7], -v[8:9]
	scratch_load_b128 v[6:9], off, off offset:640
	v_add_f64_e32 v[165:166], v[165:166], v[155:156]
	v_add_f64_e32 v[163:164], v[163:164], v[157:158]
	ds_load_b128 v[155:158], v1 offset:1328
	s_wait_loadcnt_dscnt 0x901
	v_mul_f64_e32 v[173:174], v[2:3], v[12:13]
	v_mul_f64_e32 v[12:13], v[4:5], v[12:13]
	s_wait_loadcnt_dscnt 0x800
	v_mul_f64_e32 v[167:168], v[155:156], v[16:17]
	v_mul_f64_e32 v[16:17], v[157:158], v[16:17]
	v_add_f64_e32 v[165:166], v[165:166], v[171:172]
	v_add_f64_e32 v[163:164], v[163:164], v[169:170]
	v_fma_f64 v[169:170], v[4:5], v[10:11], v[173:174]
	v_fma_f64 v[171:172], v[2:3], v[10:11], -v[12:13]
	ds_load_b128 v[2:5], v1 offset:1344
	scratch_load_b128 v[10:13], off, off offset:656
	v_fma_f64 v[157:158], v[157:158], v[14:15], v[167:168]
	v_fma_f64 v[155:156], v[155:156], v[14:15], -v[16:17]
	scratch_load_b128 v[14:17], off, off offset:672
	v_add_f64_e32 v[165:166], v[165:166], v[159:160]
	v_add_f64_e32 v[163:164], v[163:164], v[161:162]
	ds_load_b128 v[159:162], v1 offset:1360
	s_wait_loadcnt_dscnt 0x901
	v_mul_f64_e32 v[173:174], v[2:3], v[20:21]
	v_mul_f64_e32 v[20:21], v[4:5], v[20:21]
	;; [unrolled: 18-line block ×7, first 2 shown]
	s_wait_loadcnt_dscnt 0x800
	v_mul_f64_e32 v[167:168], v[155:156], v[24:25]
	v_mul_f64_e32 v[24:25], v[157:158], v[24:25]
	v_add_f64_e32 v[165:166], v[165:166], v[171:172]
	v_add_f64_e32 v[163:164], v[163:164], v[169:170]
	v_fma_f64 v[169:170], v[4:5], v[18:19], v[173:174]
	v_fma_f64 v[171:172], v[2:3], v[18:19], -v[20:21]
	ds_load_b128 v[2:5], v1 offset:1536
	ds_load_b128 v[18:21], v1 offset:1552
	v_fma_f64 v[157:158], v[157:158], v[22:23], v[167:168]
	v_fma_f64 v[22:23], v[155:156], v[22:23], -v[24:25]
	v_add_f64_e32 v[159:160], v[165:166], v[159:160]
	v_add_f64_e32 v[161:162], v[163:164], v[161:162]
	s_wait_loadcnt_dscnt 0x701
	v_mul_f64_e32 v[163:164], v[2:3], v[28:29]
	v_mul_f64_e32 v[28:29], v[4:5], v[28:29]
	s_delay_alu instid0(VALU_DEP_4) | instskip(NEXT) | instid1(VALU_DEP_4)
	v_add_f64_e32 v[24:25], v[159:160], v[171:172]
	v_add_f64_e32 v[155:156], v[161:162], v[169:170]
	s_wait_loadcnt_dscnt 0x600
	v_mul_f64_e32 v[159:160], v[18:19], v[32:33]
	v_mul_f64_e32 v[32:33], v[20:21], v[32:33]
	v_fma_f64 v[161:162], v[4:5], v[26:27], v[163:164]
	v_fma_f64 v[26:27], v[2:3], v[26:27], -v[28:29]
	v_add_f64_e32 v[28:29], v[24:25], v[22:23]
	v_add_f64_e32 v[155:156], v[155:156], v[157:158]
	ds_load_b128 v[2:5], v1 offset:1568
	ds_load_b128 v[22:25], v1 offset:1584
	v_fma_f64 v[20:21], v[20:21], v[30:31], v[159:160]
	v_fma_f64 v[18:19], v[18:19], v[30:31], -v[32:33]
	s_wait_loadcnt_dscnt 0x501
	v_mul_f64_e32 v[157:158], v[2:3], v[36:37]
	v_mul_f64_e32 v[36:37], v[4:5], v[36:37]
	s_wait_loadcnt_dscnt 0x400
	v_mul_f64_e32 v[30:31], v[22:23], v[40:41]
	v_mul_f64_e32 v[32:33], v[24:25], v[40:41]
	v_add_f64_e32 v[26:27], v[28:29], v[26:27]
	v_add_f64_e32 v[28:29], v[155:156], v[161:162]
	v_fma_f64 v[40:41], v[4:5], v[34:35], v[157:158]
	v_fma_f64 v[34:35], v[2:3], v[34:35], -v[36:37]
	v_fma_f64 v[24:25], v[24:25], v[38:39], v[30:31]
	v_fma_f64 v[22:23], v[22:23], v[38:39], -v[32:33]
	v_add_f64_e32 v[26:27], v[26:27], v[18:19]
	v_add_f64_e32 v[28:29], v[28:29], v[20:21]
	ds_load_b128 v[2:5], v1 offset:1600
	ds_load_b128 v[18:21], v1 offset:1616
	s_wait_loadcnt_dscnt 0x301
	v_mul_f64_e32 v[36:37], v[2:3], v[44:45]
	v_mul_f64_e32 v[44:45], v[4:5], v[44:45]
	s_wait_loadcnt_dscnt 0x200
	v_mul_f64_e32 v[30:31], v[18:19], v[8:9]
	v_mul_f64_e32 v[8:9], v[20:21], v[8:9]
	v_add_f64_e32 v[26:27], v[26:27], v[34:35]
	v_add_f64_e32 v[28:29], v[28:29], v[40:41]
	v_fma_f64 v[32:33], v[4:5], v[42:43], v[36:37]
	v_fma_f64 v[34:35], v[2:3], v[42:43], -v[44:45]
	v_fma_f64 v[20:21], v[20:21], v[6:7], v[30:31]
	v_fma_f64 v[6:7], v[18:19], v[6:7], -v[8:9]
	v_add_f64_e32 v[26:27], v[26:27], v[22:23]
	v_add_f64_e32 v[28:29], v[28:29], v[24:25]
	ds_load_b128 v[2:5], v1 offset:1632
	ds_load_b128 v[22:25], v1 offset:1648
	s_wait_loadcnt_dscnt 0x101
	v_mul_f64_e32 v[36:37], v[2:3], v[12:13]
	v_mul_f64_e32 v[12:13], v[4:5], v[12:13]
	v_add_f64_e32 v[8:9], v[26:27], v[34:35]
	v_add_f64_e32 v[18:19], v[28:29], v[32:33]
	s_wait_loadcnt_dscnt 0x0
	v_mul_f64_e32 v[26:27], v[22:23], v[16:17]
	v_mul_f64_e32 v[16:17], v[24:25], v[16:17]
	v_fma_f64 v[4:5], v[4:5], v[10:11], v[36:37]
	v_fma_f64 v[1:2], v[2:3], v[10:11], -v[12:13]
	v_add_f64_e32 v[6:7], v[8:9], v[6:7]
	v_add_f64_e32 v[8:9], v[18:19], v[20:21]
	v_fma_f64 v[10:11], v[24:25], v[14:15], v[26:27]
	v_fma_f64 v[12:13], v[22:23], v[14:15], -v[16:17]
	s_delay_alu instid0(VALU_DEP_4) | instskip(NEXT) | instid1(VALU_DEP_4)
	v_add_f64_e32 v[1:2], v[6:7], v[1:2]
	v_add_f64_e32 v[3:4], v[8:9], v[4:5]
	s_delay_alu instid0(VALU_DEP_2) | instskip(NEXT) | instid1(VALU_DEP_2)
	v_add_f64_e32 v[1:2], v[1:2], v[12:13]
	v_add_f64_e32 v[3:4], v[3:4], v[10:11]
	s_delay_alu instid0(VALU_DEP_2) | instskip(NEXT) | instid1(VALU_DEP_2)
	v_add_f64_e64 v[1:2], v[151:152], -v[1:2]
	v_add_f64_e64 v[3:4], v[153:154], -v[3:4]
	scratch_store_b128 off, v[1:4], off offset:128
	v_cmpx_lt_u32_e32 6, v0
	s_cbranch_execz .LBB115_313
; %bb.312:
	scratch_load_b128 v[1:4], off, s59
	v_mov_b32_e32 v5, 0
	s_delay_alu instid0(VALU_DEP_1)
	v_dual_mov_b32 v6, v5 :: v_dual_mov_b32 v7, v5
	v_mov_b32_e32 v8, v5
	scratch_store_b128 off, v[5:8], off offset:112
	s_wait_loadcnt 0x0
	ds_store_b128 v150, v[1:4]
.LBB115_313:
	s_wait_alu 0xfffe
	s_or_b32 exec_lo, exec_lo, s0
	s_wait_storecnt_dscnt 0x0
	s_barrier_signal -1
	s_barrier_wait -1
	global_inv scope:SCOPE_SE
	s_clause 0x7
	scratch_load_b128 v[2:5], off, off offset:128
	scratch_load_b128 v[6:9], off, off offset:144
	;; [unrolled: 1-line block ×8, first 2 shown]
	v_mov_b32_e32 v1, 0
	s_mov_b32 s0, exec_lo
	ds_load_b128 v[38:41], v1 offset:944
	s_clause 0x1
	scratch_load_b128 v[34:37], off, off offset:256
	scratch_load_b128 v[42:45], off, off offset:112
	ds_load_b128 v[151:154], v1 offset:960
	scratch_load_b128 v[155:158], off, off offset:272
	s_wait_loadcnt_dscnt 0xa01
	v_mul_f64_e32 v[159:160], v[40:41], v[4:5]
	v_mul_f64_e32 v[4:5], v[38:39], v[4:5]
	s_delay_alu instid0(VALU_DEP_2) | instskip(NEXT) | instid1(VALU_DEP_2)
	v_fma_f64 v[165:166], v[38:39], v[2:3], -v[159:160]
	v_fma_f64 v[167:168], v[40:41], v[2:3], v[4:5]
	ds_load_b128 v[2:5], v1 offset:976
	s_wait_loadcnt_dscnt 0x901
	v_mul_f64_e32 v[163:164], v[151:152], v[8:9]
	v_mul_f64_e32 v[8:9], v[153:154], v[8:9]
	scratch_load_b128 v[38:41], off, off offset:288
	ds_load_b128 v[159:162], v1 offset:992
	s_wait_loadcnt_dscnt 0x901
	v_mul_f64_e32 v[169:170], v[2:3], v[12:13]
	v_mul_f64_e32 v[12:13], v[4:5], v[12:13]
	v_fma_f64 v[153:154], v[153:154], v[6:7], v[163:164]
	v_fma_f64 v[151:152], v[151:152], v[6:7], -v[8:9]
	v_add_f64_e32 v[163:164], 0, v[165:166]
	v_add_f64_e32 v[165:166], 0, v[167:168]
	scratch_load_b128 v[6:9], off, off offset:304
	v_fma_f64 v[169:170], v[4:5], v[10:11], v[169:170]
	v_fma_f64 v[171:172], v[2:3], v[10:11], -v[12:13]
	ds_load_b128 v[2:5], v1 offset:1008
	s_wait_loadcnt_dscnt 0x901
	v_mul_f64_e32 v[167:168], v[159:160], v[16:17]
	v_mul_f64_e32 v[16:17], v[161:162], v[16:17]
	scratch_load_b128 v[10:13], off, off offset:320
	v_add_f64_e32 v[163:164], v[163:164], v[151:152]
	v_add_f64_e32 v[165:166], v[165:166], v[153:154]
	s_wait_loadcnt_dscnt 0x900
	v_mul_f64_e32 v[173:174], v[2:3], v[20:21]
	v_mul_f64_e32 v[20:21], v[4:5], v[20:21]
	ds_load_b128 v[151:154], v1 offset:1024
	v_fma_f64 v[161:162], v[161:162], v[14:15], v[167:168]
	v_fma_f64 v[159:160], v[159:160], v[14:15], -v[16:17]
	scratch_load_b128 v[14:17], off, off offset:336
	v_add_f64_e32 v[163:164], v[163:164], v[171:172]
	v_add_f64_e32 v[165:166], v[165:166], v[169:170]
	v_fma_f64 v[169:170], v[4:5], v[18:19], v[173:174]
	v_fma_f64 v[171:172], v[2:3], v[18:19], -v[20:21]
	ds_load_b128 v[2:5], v1 offset:1040
	s_wait_loadcnt_dscnt 0x901
	v_mul_f64_e32 v[167:168], v[151:152], v[24:25]
	v_mul_f64_e32 v[24:25], v[153:154], v[24:25]
	scratch_load_b128 v[18:21], off, off offset:352
	s_wait_loadcnt_dscnt 0x900
	v_mul_f64_e32 v[173:174], v[2:3], v[28:29]
	v_mul_f64_e32 v[28:29], v[4:5], v[28:29]
	v_add_f64_e32 v[163:164], v[163:164], v[159:160]
	v_add_f64_e32 v[165:166], v[165:166], v[161:162]
	ds_load_b128 v[159:162], v1 offset:1056
	v_fma_f64 v[153:154], v[153:154], v[22:23], v[167:168]
	v_fma_f64 v[151:152], v[151:152], v[22:23], -v[24:25]
	scratch_load_b128 v[22:25], off, off offset:368
	v_add_f64_e32 v[163:164], v[163:164], v[171:172]
	v_add_f64_e32 v[165:166], v[165:166], v[169:170]
	v_fma_f64 v[169:170], v[4:5], v[26:27], v[173:174]
	v_fma_f64 v[171:172], v[2:3], v[26:27], -v[28:29]
	ds_load_b128 v[2:5], v1 offset:1072
	s_wait_loadcnt_dscnt 0x901
	v_mul_f64_e32 v[167:168], v[159:160], v[32:33]
	v_mul_f64_e32 v[32:33], v[161:162], v[32:33]
	scratch_load_b128 v[26:29], off, off offset:384
	s_wait_loadcnt_dscnt 0x900
	v_mul_f64_e32 v[173:174], v[2:3], v[36:37]
	v_mul_f64_e32 v[36:37], v[4:5], v[36:37]
	v_add_f64_e32 v[163:164], v[163:164], v[151:152]
	v_add_f64_e32 v[165:166], v[165:166], v[153:154]
	ds_load_b128 v[151:154], v1 offset:1088
	v_fma_f64 v[161:162], v[161:162], v[30:31], v[167:168]
	v_fma_f64 v[159:160], v[159:160], v[30:31], -v[32:33]
	scratch_load_b128 v[30:33], off, off offset:400
	v_add_f64_e32 v[163:164], v[163:164], v[171:172]
	v_add_f64_e32 v[165:166], v[165:166], v[169:170]
	v_fma_f64 v[171:172], v[4:5], v[34:35], v[173:174]
	v_fma_f64 v[173:174], v[2:3], v[34:35], -v[36:37]
	ds_load_b128 v[2:5], v1 offset:1104
	s_wait_loadcnt_dscnt 0x801
	v_mul_f64_e32 v[167:168], v[151:152], v[157:158]
	v_mul_f64_e32 v[169:170], v[153:154], v[157:158]
	scratch_load_b128 v[34:37], off, off offset:416
	v_add_f64_e32 v[163:164], v[163:164], v[159:160]
	v_add_f64_e32 v[161:162], v[165:166], v[161:162]
	ds_load_b128 v[157:160], v1 offset:1120
	v_fma_f64 v[167:168], v[153:154], v[155:156], v[167:168]
	v_fma_f64 v[155:156], v[151:152], v[155:156], -v[169:170]
	scratch_load_b128 v[151:154], off, off offset:432
	s_wait_loadcnt_dscnt 0x901
	v_mul_f64_e32 v[165:166], v[2:3], v[40:41]
	v_mul_f64_e32 v[40:41], v[4:5], v[40:41]
	v_add_f64_e32 v[163:164], v[163:164], v[173:174]
	v_add_f64_e32 v[161:162], v[161:162], v[171:172]
	s_delay_alu instid0(VALU_DEP_4) | instskip(NEXT) | instid1(VALU_DEP_4)
	v_fma_f64 v[165:166], v[4:5], v[38:39], v[165:166]
	v_fma_f64 v[171:172], v[2:3], v[38:39], -v[40:41]
	ds_load_b128 v[2:5], v1 offset:1136
	s_wait_loadcnt_dscnt 0x801
	v_mul_f64_e32 v[169:170], v[157:158], v[8:9]
	v_mul_f64_e32 v[8:9], v[159:160], v[8:9]
	scratch_load_b128 v[38:41], off, off offset:448
	s_wait_loadcnt_dscnt 0x800
	v_mul_f64_e32 v[173:174], v[2:3], v[12:13]
	v_add_f64_e32 v[155:156], v[163:164], v[155:156]
	v_add_f64_e32 v[167:168], v[161:162], v[167:168]
	v_mul_f64_e32 v[12:13], v[4:5], v[12:13]
	ds_load_b128 v[161:164], v1 offset:1152
	v_fma_f64 v[159:160], v[159:160], v[6:7], v[169:170]
	v_fma_f64 v[157:158], v[157:158], v[6:7], -v[8:9]
	scratch_load_b128 v[6:9], off, off offset:464
	v_fma_f64 v[169:170], v[4:5], v[10:11], v[173:174]
	v_add_f64_e32 v[155:156], v[155:156], v[171:172]
	v_add_f64_e32 v[165:166], v[167:168], v[165:166]
	v_fma_f64 v[171:172], v[2:3], v[10:11], -v[12:13]
	ds_load_b128 v[2:5], v1 offset:1168
	s_wait_loadcnt_dscnt 0x801
	v_mul_f64_e32 v[167:168], v[161:162], v[16:17]
	v_mul_f64_e32 v[16:17], v[163:164], v[16:17]
	scratch_load_b128 v[10:13], off, off offset:480
	v_add_f64_e32 v[173:174], v[155:156], v[157:158]
	v_add_f64_e32 v[159:160], v[165:166], v[159:160]
	s_wait_loadcnt_dscnt 0x800
	v_mul_f64_e32 v[165:166], v[2:3], v[20:21]
	v_mul_f64_e32 v[20:21], v[4:5], v[20:21]
	v_fma_f64 v[163:164], v[163:164], v[14:15], v[167:168]
	v_fma_f64 v[161:162], v[161:162], v[14:15], -v[16:17]
	ds_load_b128 v[155:158], v1 offset:1184
	scratch_load_b128 v[14:17], off, off offset:496
	v_add_f64_e32 v[167:168], v[173:174], v[171:172]
	v_add_f64_e32 v[159:160], v[159:160], v[169:170]
	v_fma_f64 v[165:166], v[4:5], v[18:19], v[165:166]
	v_fma_f64 v[171:172], v[2:3], v[18:19], -v[20:21]
	ds_load_b128 v[2:5], v1 offset:1200
	s_wait_loadcnt_dscnt 0x801
	v_mul_f64_e32 v[169:170], v[155:156], v[24:25]
	v_mul_f64_e32 v[24:25], v[157:158], v[24:25]
	scratch_load_b128 v[18:21], off, off offset:512
	s_wait_loadcnt_dscnt 0x800
	v_mul_f64_e32 v[173:174], v[2:3], v[28:29]
	v_mul_f64_e32 v[28:29], v[4:5], v[28:29]
	v_add_f64_e32 v[167:168], v[167:168], v[161:162]
	v_add_f64_e32 v[163:164], v[159:160], v[163:164]
	ds_load_b128 v[159:162], v1 offset:1216
	v_fma_f64 v[157:158], v[157:158], v[22:23], v[169:170]
	v_fma_f64 v[155:156], v[155:156], v[22:23], -v[24:25]
	scratch_load_b128 v[22:25], off, off offset:528
	v_fma_f64 v[169:170], v[4:5], v[26:27], v[173:174]
	v_add_f64_e32 v[167:168], v[167:168], v[171:172]
	v_add_f64_e32 v[163:164], v[163:164], v[165:166]
	v_fma_f64 v[171:172], v[2:3], v[26:27], -v[28:29]
	ds_load_b128 v[2:5], v1 offset:1232
	s_wait_loadcnt_dscnt 0x801
	v_mul_f64_e32 v[165:166], v[159:160], v[32:33]
	v_mul_f64_e32 v[32:33], v[161:162], v[32:33]
	scratch_load_b128 v[26:29], off, off offset:544
	s_wait_loadcnt_dscnt 0x800
	v_mul_f64_e32 v[173:174], v[2:3], v[36:37]
	v_mul_f64_e32 v[36:37], v[4:5], v[36:37]
	v_add_f64_e32 v[167:168], v[167:168], v[155:156]
	v_add_f64_e32 v[163:164], v[163:164], v[157:158]
	ds_load_b128 v[155:158], v1 offset:1248
	v_fma_f64 v[161:162], v[161:162], v[30:31], v[165:166]
	v_fma_f64 v[159:160], v[159:160], v[30:31], -v[32:33]
	scratch_load_b128 v[30:33], off, off offset:560
	v_add_f64_e32 v[165:166], v[167:168], v[171:172]
	v_add_f64_e32 v[163:164], v[163:164], v[169:170]
	v_fma_f64 v[169:170], v[4:5], v[34:35], v[173:174]
	v_fma_f64 v[171:172], v[2:3], v[34:35], -v[36:37]
	ds_load_b128 v[2:5], v1 offset:1264
	s_wait_loadcnt_dscnt 0x801
	v_mul_f64_e32 v[167:168], v[155:156], v[153:154]
	v_mul_f64_e32 v[153:154], v[157:158], v[153:154]
	scratch_load_b128 v[34:37], off, off offset:576
	s_wait_loadcnt_dscnt 0x800
	v_mul_f64_e32 v[173:174], v[2:3], v[40:41]
	v_mul_f64_e32 v[40:41], v[4:5], v[40:41]
	v_add_f64_e32 v[165:166], v[165:166], v[159:160]
	v_add_f64_e32 v[163:164], v[163:164], v[161:162]
	ds_load_b128 v[159:162], v1 offset:1280
	v_fma_f64 v[157:158], v[157:158], v[151:152], v[167:168]
	v_fma_f64 v[155:156], v[155:156], v[151:152], -v[153:154]
	scratch_load_b128 v[151:154], off, off offset:592
	v_add_f64_e32 v[165:166], v[165:166], v[171:172]
	v_add_f64_e32 v[163:164], v[163:164], v[169:170]
	v_fma_f64 v[169:170], v[4:5], v[38:39], v[173:174]
	;; [unrolled: 18-line block ×6, first 2 shown]
	v_fma_f64 v[173:174], v[2:3], v[34:35], -v[36:37]
	ds_load_b128 v[2:5], v1 offset:1424
	s_wait_loadcnt_dscnt 0x801
	v_mul_f64_e32 v[167:168], v[159:160], v[153:154]
	v_mul_f64_e32 v[169:170], v[161:162], v[153:154]
	scratch_load_b128 v[34:37], off, off offset:736
	v_add_f64_e32 v[165:166], v[165:166], v[155:156]
	v_add_f64_e32 v[157:158], v[163:164], v[157:158]
	s_wait_loadcnt_dscnt 0x800
	v_mul_f64_e32 v[163:164], v[2:3], v[40:41]
	v_mul_f64_e32 v[40:41], v[4:5], v[40:41]
	ds_load_b128 v[153:156], v1 offset:1440
	v_fma_f64 v[161:162], v[161:162], v[151:152], v[167:168]
	v_fma_f64 v[151:152], v[159:160], v[151:152], -v[169:170]
	v_add_f64_e32 v[165:166], v[165:166], v[173:174]
	v_add_f64_e32 v[167:168], v[157:158], v[171:172]
	scratch_load_b128 v[157:160], off, off offset:752
	v_fma_f64 v[171:172], v[4:5], v[38:39], v[163:164]
	v_fma_f64 v[173:174], v[2:3], v[38:39], -v[40:41]
	ds_load_b128 v[2:5], v1 offset:1456
	s_wait_loadcnt_dscnt 0x801
	v_mul_f64_e32 v[169:170], v[153:154], v[8:9]
	v_mul_f64_e32 v[8:9], v[155:156], v[8:9]
	scratch_load_b128 v[38:41], off, off offset:768
	v_add_f64_e32 v[151:152], v[165:166], v[151:152]
	v_add_f64_e32 v[165:166], v[167:168], v[161:162]
	s_wait_loadcnt_dscnt 0x800
	v_mul_f64_e32 v[167:168], v[2:3], v[12:13]
	v_mul_f64_e32 v[12:13], v[4:5], v[12:13]
	ds_load_b128 v[161:164], v1 offset:1472
	v_fma_f64 v[155:156], v[155:156], v[6:7], v[169:170]
	v_fma_f64 v[153:154], v[153:154], v[6:7], -v[8:9]
	scratch_load_b128 v[6:9], off, off offset:784
	v_add_f64_e32 v[151:152], v[151:152], v[173:174]
	v_add_f64_e32 v[165:166], v[165:166], v[171:172]
	v_fma_f64 v[167:168], v[4:5], v[10:11], v[167:168]
	v_fma_f64 v[171:172], v[2:3], v[10:11], -v[12:13]
	ds_load_b128 v[2:5], v1 offset:1488
	s_wait_loadcnt_dscnt 0x801
	v_mul_f64_e32 v[169:170], v[161:162], v[16:17]
	v_mul_f64_e32 v[16:17], v[163:164], v[16:17]
	scratch_load_b128 v[10:13], off, off offset:800
	v_add_f64_e32 v[173:174], v[151:152], v[153:154]
	v_add_f64_e32 v[155:156], v[165:166], v[155:156]
	s_wait_loadcnt_dscnt 0x800
	v_mul_f64_e32 v[165:166], v[2:3], v[20:21]
	v_mul_f64_e32 v[20:21], v[4:5], v[20:21]
	ds_load_b128 v[151:154], v1 offset:1504
	v_fma_f64 v[163:164], v[163:164], v[14:15], v[169:170]
	v_fma_f64 v[161:162], v[161:162], v[14:15], -v[16:17]
	scratch_load_b128 v[14:17], off, off offset:816
	v_add_f64_e32 v[169:170], v[173:174], v[171:172]
	v_add_f64_e32 v[155:156], v[155:156], v[167:168]
	v_fma_f64 v[165:166], v[4:5], v[18:19], v[165:166]
	v_fma_f64 v[171:172], v[2:3], v[18:19], -v[20:21]
	ds_load_b128 v[2:5], v1 offset:1520
	s_wait_loadcnt_dscnt 0x801
	v_mul_f64_e32 v[167:168], v[151:152], v[24:25]
	v_mul_f64_e32 v[24:25], v[153:154], v[24:25]
	scratch_load_b128 v[18:21], off, off offset:832
	s_wait_loadcnt_dscnt 0x800
	v_mul_f64_e32 v[173:174], v[2:3], v[28:29]
	v_mul_f64_e32 v[28:29], v[4:5], v[28:29]
	v_add_f64_e32 v[169:170], v[169:170], v[161:162]
	v_add_f64_e32 v[155:156], v[155:156], v[163:164]
	ds_load_b128 v[161:164], v1 offset:1536
	v_fma_f64 v[153:154], v[153:154], v[22:23], v[167:168]
	v_fma_f64 v[22:23], v[151:152], v[22:23], -v[24:25]
	v_add_f64_e32 v[24:25], v[169:170], v[171:172]
	v_add_f64_e32 v[151:152], v[155:156], v[165:166]
	s_wait_loadcnt_dscnt 0x700
	v_mul_f64_e32 v[155:156], v[161:162], v[32:33]
	v_mul_f64_e32 v[32:33], v[163:164], v[32:33]
	v_fma_f64 v[165:166], v[4:5], v[26:27], v[173:174]
	v_fma_f64 v[26:27], v[2:3], v[26:27], -v[28:29]
	v_add_f64_e32 v[28:29], v[24:25], v[22:23]
	v_add_f64_e32 v[151:152], v[151:152], v[153:154]
	ds_load_b128 v[2:5], v1 offset:1552
	ds_load_b128 v[22:25], v1 offset:1568
	v_fma_f64 v[155:156], v[163:164], v[30:31], v[155:156]
	v_fma_f64 v[30:31], v[161:162], v[30:31], -v[32:33]
	s_wait_loadcnt_dscnt 0x601
	v_mul_f64_e32 v[153:154], v[2:3], v[36:37]
	v_mul_f64_e32 v[36:37], v[4:5], v[36:37]
	v_add_f64_e32 v[26:27], v[28:29], v[26:27]
	v_add_f64_e32 v[28:29], v[151:152], v[165:166]
	s_wait_loadcnt_dscnt 0x500
	v_mul_f64_e32 v[32:33], v[22:23], v[159:160]
	v_mul_f64_e32 v[151:152], v[24:25], v[159:160]
	v_fma_f64 v[153:154], v[4:5], v[34:35], v[153:154]
	v_fma_f64 v[34:35], v[2:3], v[34:35], -v[36:37]
	v_add_f64_e32 v[30:31], v[26:27], v[30:31]
	v_add_f64_e32 v[36:37], v[28:29], v[155:156]
	ds_load_b128 v[2:5], v1 offset:1584
	ds_load_b128 v[26:29], v1 offset:1600
	v_fma_f64 v[24:25], v[24:25], v[157:158], v[32:33]
	v_fma_f64 v[22:23], v[22:23], v[157:158], -v[151:152]
	s_wait_loadcnt_dscnt 0x401
	v_mul_f64_e32 v[155:156], v[2:3], v[40:41]
	v_mul_f64_e32 v[40:41], v[4:5], v[40:41]
	;; [unrolled: 16-line block ×3, first 2 shown]
	v_add_f64_e32 v[8:9], v[30:31], v[38:39]
	v_add_f64_e32 v[26:27], v[32:33], v[36:37]
	s_wait_loadcnt_dscnt 0x100
	v_mul_f64_e32 v[30:31], v[22:23], v[16:17]
	v_mul_f64_e32 v[16:17], v[24:25], v[16:17]
	v_fma_f64 v[32:33], v[4:5], v[10:11], v[40:41]
	v_fma_f64 v[10:11], v[2:3], v[10:11], -v[12:13]
	ds_load_b128 v[2:5], v1 offset:1648
	v_add_f64_e32 v[6:7], v[8:9], v[6:7]
	v_add_f64_e32 v[8:9], v[26:27], v[28:29]
	v_fma_f64 v[24:25], v[24:25], v[14:15], v[30:31]
	v_fma_f64 v[14:15], v[22:23], v[14:15], -v[16:17]
	s_wait_loadcnt_dscnt 0x0
	v_mul_f64_e32 v[12:13], v[2:3], v[20:21]
	v_mul_f64_e32 v[20:21], v[4:5], v[20:21]
	v_add_f64_e32 v[6:7], v[6:7], v[10:11]
	v_add_f64_e32 v[8:9], v[8:9], v[32:33]
	s_delay_alu instid0(VALU_DEP_4) | instskip(NEXT) | instid1(VALU_DEP_4)
	v_fma_f64 v[4:5], v[4:5], v[18:19], v[12:13]
	v_fma_f64 v[2:3], v[2:3], v[18:19], -v[20:21]
	s_delay_alu instid0(VALU_DEP_4) | instskip(NEXT) | instid1(VALU_DEP_4)
	v_add_f64_e32 v[6:7], v[6:7], v[14:15]
	v_add_f64_e32 v[8:9], v[8:9], v[24:25]
	s_delay_alu instid0(VALU_DEP_2) | instskip(NEXT) | instid1(VALU_DEP_2)
	v_add_f64_e32 v[2:3], v[6:7], v[2:3]
	v_add_f64_e32 v[4:5], v[8:9], v[4:5]
	s_delay_alu instid0(VALU_DEP_2) | instskip(NEXT) | instid1(VALU_DEP_2)
	v_add_f64_e64 v[2:3], v[42:43], -v[2:3]
	v_add_f64_e64 v[4:5], v[44:45], -v[4:5]
	scratch_store_b128 off, v[2:5], off offset:112
	v_cmpx_lt_u32_e32 5, v0
	s_cbranch_execz .LBB115_315
; %bb.314:
	scratch_load_b128 v[5:8], off, s60
	v_dual_mov_b32 v2, v1 :: v_dual_mov_b32 v3, v1
	v_mov_b32_e32 v4, v1
	scratch_store_b128 off, v[1:4], off offset:96
	s_wait_loadcnt 0x0
	ds_store_b128 v150, v[5:8]
.LBB115_315:
	s_wait_alu 0xfffe
	s_or_b32 exec_lo, exec_lo, s0
	s_wait_storecnt_dscnt 0x0
	s_barrier_signal -1
	s_barrier_wait -1
	global_inv scope:SCOPE_SE
	s_clause 0x8
	scratch_load_b128 v[2:5], off, off offset:112
	scratch_load_b128 v[6:9], off, off offset:128
	;; [unrolled: 1-line block ×9, first 2 shown]
	ds_load_b128 v[42:45], v1 offset:928
	ds_load_b128 v[38:41], v1 offset:944
	s_clause 0x1
	scratch_load_b128 v[151:154], off, off offset:96
	scratch_load_b128 v[155:158], off, off offset:256
	s_mov_b32 s0, exec_lo
	s_wait_loadcnt_dscnt 0xa01
	v_mul_f64_e32 v[159:160], v[44:45], v[4:5]
	v_mul_f64_e32 v[4:5], v[42:43], v[4:5]
	s_wait_loadcnt_dscnt 0x900
	v_mul_f64_e32 v[163:164], v[38:39], v[8:9]
	v_mul_f64_e32 v[8:9], v[40:41], v[8:9]
	s_delay_alu instid0(VALU_DEP_4) | instskip(NEXT) | instid1(VALU_DEP_4)
	v_fma_f64 v[165:166], v[42:43], v[2:3], -v[159:160]
	v_fma_f64 v[167:168], v[44:45], v[2:3], v[4:5]
	ds_load_b128 v[2:5], v1 offset:960
	ds_load_b128 v[159:162], v1 offset:976
	scratch_load_b128 v[42:45], off, off offset:272
	v_fma_f64 v[40:41], v[40:41], v[6:7], v[163:164]
	v_fma_f64 v[38:39], v[38:39], v[6:7], -v[8:9]
	scratch_load_b128 v[6:9], off, off offset:288
	s_wait_loadcnt_dscnt 0xa01
	v_mul_f64_e32 v[169:170], v[2:3], v[12:13]
	v_mul_f64_e32 v[12:13], v[4:5], v[12:13]
	v_add_f64_e32 v[163:164], 0, v[165:166]
	v_add_f64_e32 v[165:166], 0, v[167:168]
	s_wait_loadcnt_dscnt 0x900
	v_mul_f64_e32 v[167:168], v[159:160], v[16:17]
	v_mul_f64_e32 v[16:17], v[161:162], v[16:17]
	v_fma_f64 v[169:170], v[4:5], v[10:11], v[169:170]
	v_fma_f64 v[171:172], v[2:3], v[10:11], -v[12:13]
	ds_load_b128 v[2:5], v1 offset:992
	scratch_load_b128 v[10:13], off, off offset:304
	v_add_f64_e32 v[163:164], v[163:164], v[38:39]
	v_add_f64_e32 v[165:166], v[165:166], v[40:41]
	ds_load_b128 v[38:41], v1 offset:1008
	v_fma_f64 v[161:162], v[161:162], v[14:15], v[167:168]
	v_fma_f64 v[159:160], v[159:160], v[14:15], -v[16:17]
	scratch_load_b128 v[14:17], off, off offset:320
	s_wait_loadcnt_dscnt 0xa01
	v_mul_f64_e32 v[173:174], v[2:3], v[20:21]
	v_mul_f64_e32 v[20:21], v[4:5], v[20:21]
	s_wait_loadcnt_dscnt 0x900
	v_mul_f64_e32 v[167:168], v[38:39], v[24:25]
	v_mul_f64_e32 v[24:25], v[40:41], v[24:25]
	v_add_f64_e32 v[163:164], v[163:164], v[171:172]
	v_add_f64_e32 v[165:166], v[165:166], v[169:170]
	v_fma_f64 v[169:170], v[4:5], v[18:19], v[173:174]
	v_fma_f64 v[171:172], v[2:3], v[18:19], -v[20:21]
	ds_load_b128 v[2:5], v1 offset:1024
	scratch_load_b128 v[18:21], off, off offset:336
	v_fma_f64 v[40:41], v[40:41], v[22:23], v[167:168]
	v_fma_f64 v[38:39], v[38:39], v[22:23], -v[24:25]
	scratch_load_b128 v[22:25], off, off offset:352
	v_add_f64_e32 v[163:164], v[163:164], v[159:160]
	v_add_f64_e32 v[165:166], v[165:166], v[161:162]
	ds_load_b128 v[159:162], v1 offset:1040
	s_wait_loadcnt_dscnt 0xa01
	v_mul_f64_e32 v[173:174], v[2:3], v[28:29]
	v_mul_f64_e32 v[28:29], v[4:5], v[28:29]
	s_wait_loadcnt_dscnt 0x900
	v_mul_f64_e32 v[167:168], v[159:160], v[32:33]
	v_mul_f64_e32 v[32:33], v[161:162], v[32:33]
	v_add_f64_e32 v[163:164], v[163:164], v[171:172]
	v_add_f64_e32 v[165:166], v[165:166], v[169:170]
	v_fma_f64 v[169:170], v[4:5], v[26:27], v[173:174]
	v_fma_f64 v[171:172], v[2:3], v[26:27], -v[28:29]
	ds_load_b128 v[2:5], v1 offset:1056
	scratch_load_b128 v[26:29], off, off offset:368
	v_fma_f64 v[161:162], v[161:162], v[30:31], v[167:168]
	v_fma_f64 v[159:160], v[159:160], v[30:31], -v[32:33]
	scratch_load_b128 v[30:33], off, off offset:384
	v_add_f64_e32 v[163:164], v[163:164], v[38:39]
	v_add_f64_e32 v[165:166], v[165:166], v[40:41]
	ds_load_b128 v[38:41], v1 offset:1072
	s_wait_loadcnt_dscnt 0xa01
	v_mul_f64_e32 v[173:174], v[2:3], v[36:37]
	v_mul_f64_e32 v[36:37], v[4:5], v[36:37]
	s_wait_loadcnt_dscnt 0x800
	v_mul_f64_e32 v[167:168], v[38:39], v[157:158]
	v_add_f64_e32 v[163:164], v[163:164], v[171:172]
	v_add_f64_e32 v[165:166], v[165:166], v[169:170]
	v_mul_f64_e32 v[169:170], v[40:41], v[157:158]
	v_fma_f64 v[171:172], v[4:5], v[34:35], v[173:174]
	v_fma_f64 v[173:174], v[2:3], v[34:35], -v[36:37]
	ds_load_b128 v[2:5], v1 offset:1088
	scratch_load_b128 v[34:37], off, off offset:400
	v_fma_f64 v[167:168], v[40:41], v[155:156], v[167:168]
	v_add_f64_e32 v[163:164], v[163:164], v[159:160]
	v_add_f64_e32 v[161:162], v[165:166], v[161:162]
	ds_load_b128 v[157:160], v1 offset:1104
	v_fma_f64 v[155:156], v[38:39], v[155:156], -v[169:170]
	scratch_load_b128 v[38:41], off, off offset:416
	s_wait_loadcnt_dscnt 0x901
	v_mul_f64_e32 v[165:166], v[2:3], v[44:45]
	v_mul_f64_e32 v[44:45], v[4:5], v[44:45]
	s_wait_loadcnt_dscnt 0x800
	v_mul_f64_e32 v[169:170], v[157:158], v[8:9]
	v_mul_f64_e32 v[8:9], v[159:160], v[8:9]
	v_add_f64_e32 v[163:164], v[163:164], v[173:174]
	v_add_f64_e32 v[161:162], v[161:162], v[171:172]
	v_fma_f64 v[165:166], v[4:5], v[42:43], v[165:166]
	v_fma_f64 v[171:172], v[2:3], v[42:43], -v[44:45]
	ds_load_b128 v[2:5], v1 offset:1120
	scratch_load_b128 v[42:45], off, off offset:432
	v_fma_f64 v[159:160], v[159:160], v[6:7], v[169:170]
	v_fma_f64 v[157:158], v[157:158], v[6:7], -v[8:9]
	scratch_load_b128 v[6:9], off, off offset:448
	v_add_f64_e32 v[155:156], v[163:164], v[155:156]
	v_add_f64_e32 v[167:168], v[161:162], v[167:168]
	ds_load_b128 v[161:164], v1 offset:1136
	s_wait_loadcnt_dscnt 0x901
	v_mul_f64_e32 v[173:174], v[2:3], v[12:13]
	v_mul_f64_e32 v[12:13], v[4:5], v[12:13]
	v_add_f64_e32 v[155:156], v[155:156], v[171:172]
	v_add_f64_e32 v[165:166], v[167:168], v[165:166]
	s_wait_loadcnt_dscnt 0x800
	v_mul_f64_e32 v[167:168], v[161:162], v[16:17]
	v_mul_f64_e32 v[16:17], v[163:164], v[16:17]
	v_fma_f64 v[169:170], v[4:5], v[10:11], v[173:174]
	v_fma_f64 v[171:172], v[2:3], v[10:11], -v[12:13]
	ds_load_b128 v[2:5], v1 offset:1152
	scratch_load_b128 v[10:13], off, off offset:464
	v_add_f64_e32 v[173:174], v[155:156], v[157:158]
	v_add_f64_e32 v[159:160], v[165:166], v[159:160]
	ds_load_b128 v[155:158], v1 offset:1168
	s_wait_loadcnt_dscnt 0x801
	v_mul_f64_e32 v[165:166], v[2:3], v[20:21]
	v_mul_f64_e32 v[20:21], v[4:5], v[20:21]
	v_fma_f64 v[163:164], v[163:164], v[14:15], v[167:168]
	v_fma_f64 v[161:162], v[161:162], v[14:15], -v[16:17]
	scratch_load_b128 v[14:17], off, off offset:480
	v_add_f64_e32 v[167:168], v[173:174], v[171:172]
	v_add_f64_e32 v[159:160], v[159:160], v[169:170]
	s_wait_loadcnt_dscnt 0x800
	v_mul_f64_e32 v[169:170], v[155:156], v[24:25]
	v_mul_f64_e32 v[24:25], v[157:158], v[24:25]
	v_fma_f64 v[165:166], v[4:5], v[18:19], v[165:166]
	v_fma_f64 v[171:172], v[2:3], v[18:19], -v[20:21]
	ds_load_b128 v[2:5], v1 offset:1184
	scratch_load_b128 v[18:21], off, off offset:496
	v_add_f64_e32 v[167:168], v[167:168], v[161:162]
	v_add_f64_e32 v[163:164], v[159:160], v[163:164]
	ds_load_b128 v[159:162], v1 offset:1200
	s_wait_loadcnt_dscnt 0x801
	v_mul_f64_e32 v[173:174], v[2:3], v[28:29]
	v_mul_f64_e32 v[28:29], v[4:5], v[28:29]
	v_fma_f64 v[157:158], v[157:158], v[22:23], v[169:170]
	v_fma_f64 v[155:156], v[155:156], v[22:23], -v[24:25]
	scratch_load_b128 v[22:25], off, off offset:512
	;; [unrolled: 18-line block ×4, first 2 shown]
	s_wait_loadcnt_dscnt 0x800
	v_mul_f64_e32 v[167:168], v[159:160], v[8:9]
	v_mul_f64_e32 v[8:9], v[161:162], v[8:9]
	v_add_f64_e32 v[165:166], v[165:166], v[171:172]
	v_add_f64_e32 v[163:164], v[163:164], v[169:170]
	v_fma_f64 v[169:170], v[4:5], v[42:43], v[173:174]
	v_fma_f64 v[171:172], v[2:3], v[42:43], -v[44:45]
	ds_load_b128 v[2:5], v1 offset:1280
	scratch_load_b128 v[42:45], off, off offset:592
	v_fma_f64 v[161:162], v[161:162], v[6:7], v[167:168]
	v_fma_f64 v[159:160], v[159:160], v[6:7], -v[8:9]
	scratch_load_b128 v[6:9], off, off offset:608
	v_add_f64_e32 v[165:166], v[165:166], v[155:156]
	v_add_f64_e32 v[163:164], v[163:164], v[157:158]
	ds_load_b128 v[155:158], v1 offset:1296
	s_wait_loadcnt_dscnt 0x901
	v_mul_f64_e32 v[173:174], v[2:3], v[12:13]
	v_mul_f64_e32 v[12:13], v[4:5], v[12:13]
	s_wait_loadcnt_dscnt 0x800
	v_mul_f64_e32 v[167:168], v[155:156], v[16:17]
	v_mul_f64_e32 v[16:17], v[157:158], v[16:17]
	v_add_f64_e32 v[165:166], v[165:166], v[171:172]
	v_add_f64_e32 v[163:164], v[163:164], v[169:170]
	v_fma_f64 v[169:170], v[4:5], v[10:11], v[173:174]
	v_fma_f64 v[171:172], v[2:3], v[10:11], -v[12:13]
	ds_load_b128 v[2:5], v1 offset:1312
	scratch_load_b128 v[10:13], off, off offset:624
	v_fma_f64 v[157:158], v[157:158], v[14:15], v[167:168]
	v_fma_f64 v[155:156], v[155:156], v[14:15], -v[16:17]
	scratch_load_b128 v[14:17], off, off offset:640
	v_add_f64_e32 v[165:166], v[165:166], v[159:160]
	v_add_f64_e32 v[163:164], v[163:164], v[161:162]
	ds_load_b128 v[159:162], v1 offset:1328
	s_wait_loadcnt_dscnt 0x901
	v_mul_f64_e32 v[173:174], v[2:3], v[20:21]
	v_mul_f64_e32 v[20:21], v[4:5], v[20:21]
	;; [unrolled: 18-line block ×8, first 2 shown]
	s_wait_loadcnt_dscnt 0x800
	v_mul_f64_e32 v[167:168], v[159:160], v[32:33]
	v_mul_f64_e32 v[32:33], v[161:162], v[32:33]
	v_add_f64_e32 v[165:166], v[165:166], v[171:172]
	v_add_f64_e32 v[163:164], v[163:164], v[169:170]
	v_fma_f64 v[169:170], v[4:5], v[26:27], v[173:174]
	v_fma_f64 v[171:172], v[2:3], v[26:27], -v[28:29]
	ds_load_b128 v[2:5], v1 offset:1536
	ds_load_b128 v[26:29], v1 offset:1552
	v_fma_f64 v[161:162], v[161:162], v[30:31], v[167:168]
	v_fma_f64 v[30:31], v[159:160], v[30:31], -v[32:33]
	v_add_f64_e32 v[155:156], v[165:166], v[155:156]
	v_add_f64_e32 v[157:158], v[163:164], v[157:158]
	s_wait_loadcnt_dscnt 0x701
	v_mul_f64_e32 v[163:164], v[2:3], v[36:37]
	v_mul_f64_e32 v[36:37], v[4:5], v[36:37]
	s_delay_alu instid0(VALU_DEP_4) | instskip(NEXT) | instid1(VALU_DEP_4)
	v_add_f64_e32 v[32:33], v[155:156], v[171:172]
	v_add_f64_e32 v[155:156], v[157:158], v[169:170]
	s_wait_loadcnt_dscnt 0x600
	v_mul_f64_e32 v[157:158], v[26:27], v[40:41]
	v_mul_f64_e32 v[40:41], v[28:29], v[40:41]
	v_fma_f64 v[159:160], v[4:5], v[34:35], v[163:164]
	v_fma_f64 v[34:35], v[2:3], v[34:35], -v[36:37]
	v_add_f64_e32 v[36:37], v[32:33], v[30:31]
	v_add_f64_e32 v[155:156], v[155:156], v[161:162]
	ds_load_b128 v[2:5], v1 offset:1568
	ds_load_b128 v[30:33], v1 offset:1584
	v_fma_f64 v[28:29], v[28:29], v[38:39], v[157:158]
	v_fma_f64 v[26:27], v[26:27], v[38:39], -v[40:41]
	s_wait_loadcnt_dscnt 0x501
	v_mul_f64_e32 v[161:162], v[2:3], v[44:45]
	v_mul_f64_e32 v[44:45], v[4:5], v[44:45]
	s_wait_loadcnt_dscnt 0x400
	v_mul_f64_e32 v[38:39], v[30:31], v[8:9]
	v_mul_f64_e32 v[8:9], v[32:33], v[8:9]
	v_add_f64_e32 v[34:35], v[36:37], v[34:35]
	v_add_f64_e32 v[36:37], v[155:156], v[159:160]
	v_fma_f64 v[40:41], v[4:5], v[42:43], v[161:162]
	v_fma_f64 v[42:43], v[2:3], v[42:43], -v[44:45]
	v_fma_f64 v[32:33], v[32:33], v[6:7], v[38:39]
	v_fma_f64 v[6:7], v[30:31], v[6:7], -v[8:9]
	v_add_f64_e32 v[34:35], v[34:35], v[26:27]
	v_add_f64_e32 v[36:37], v[36:37], v[28:29]
	ds_load_b128 v[2:5], v1 offset:1600
	ds_load_b128 v[26:29], v1 offset:1616
	s_wait_loadcnt_dscnt 0x301
	v_mul_f64_e32 v[44:45], v[2:3], v[12:13]
	v_mul_f64_e32 v[12:13], v[4:5], v[12:13]
	v_add_f64_e32 v[8:9], v[34:35], v[42:43]
	v_add_f64_e32 v[30:31], v[36:37], v[40:41]
	s_wait_loadcnt_dscnt 0x200
	v_mul_f64_e32 v[34:35], v[26:27], v[16:17]
	v_mul_f64_e32 v[16:17], v[28:29], v[16:17]
	v_fma_f64 v[36:37], v[4:5], v[10:11], v[44:45]
	v_fma_f64 v[10:11], v[2:3], v[10:11], -v[12:13]
	v_add_f64_e32 v[12:13], v[8:9], v[6:7]
	v_add_f64_e32 v[30:31], v[30:31], v[32:33]
	ds_load_b128 v[2:5], v1 offset:1632
	ds_load_b128 v[6:9], v1 offset:1648
	v_fma_f64 v[28:29], v[28:29], v[14:15], v[34:35]
	v_fma_f64 v[14:15], v[26:27], v[14:15], -v[16:17]
	s_wait_loadcnt_dscnt 0x101
	v_mul_f64_e32 v[32:33], v[2:3], v[20:21]
	v_mul_f64_e32 v[20:21], v[4:5], v[20:21]
	s_wait_loadcnt_dscnt 0x0
	v_mul_f64_e32 v[16:17], v[6:7], v[24:25]
	v_mul_f64_e32 v[24:25], v[8:9], v[24:25]
	v_add_f64_e32 v[10:11], v[12:13], v[10:11]
	v_add_f64_e32 v[12:13], v[30:31], v[36:37]
	v_fma_f64 v[4:5], v[4:5], v[18:19], v[32:33]
	v_fma_f64 v[1:2], v[2:3], v[18:19], -v[20:21]
	v_fma_f64 v[8:9], v[8:9], v[22:23], v[16:17]
	v_fma_f64 v[6:7], v[6:7], v[22:23], -v[24:25]
	v_add_f64_e32 v[10:11], v[10:11], v[14:15]
	v_add_f64_e32 v[12:13], v[12:13], v[28:29]
	s_delay_alu instid0(VALU_DEP_2) | instskip(NEXT) | instid1(VALU_DEP_2)
	v_add_f64_e32 v[1:2], v[10:11], v[1:2]
	v_add_f64_e32 v[3:4], v[12:13], v[4:5]
	s_delay_alu instid0(VALU_DEP_2) | instskip(NEXT) | instid1(VALU_DEP_2)
	;; [unrolled: 3-line block ×3, first 2 shown]
	v_add_f64_e64 v[1:2], v[151:152], -v[1:2]
	v_add_f64_e64 v[3:4], v[153:154], -v[3:4]
	scratch_store_b128 off, v[1:4], off offset:96
	v_cmpx_lt_u32_e32 4, v0
	s_cbranch_execz .LBB115_317
; %bb.316:
	scratch_load_b128 v[1:4], off, s4
	v_mov_b32_e32 v5, 0
	s_delay_alu instid0(VALU_DEP_1)
	v_dual_mov_b32 v6, v5 :: v_dual_mov_b32 v7, v5
	v_mov_b32_e32 v8, v5
	scratch_store_b128 off, v[5:8], off offset:80
	s_wait_loadcnt 0x0
	ds_store_b128 v150, v[1:4]
.LBB115_317:
	s_wait_alu 0xfffe
	s_or_b32 exec_lo, exec_lo, s0
	s_wait_storecnt_dscnt 0x0
	s_barrier_signal -1
	s_barrier_wait -1
	global_inv scope:SCOPE_SE
	s_clause 0x7
	scratch_load_b128 v[2:5], off, off offset:96
	scratch_load_b128 v[6:9], off, off offset:112
	;; [unrolled: 1-line block ×8, first 2 shown]
	v_mov_b32_e32 v1, 0
	s_mov_b32 s0, exec_lo
	ds_load_b128 v[38:41], v1 offset:912
	s_clause 0x1
	scratch_load_b128 v[34:37], off, off offset:224
	scratch_load_b128 v[42:45], off, off offset:80
	ds_load_b128 v[151:154], v1 offset:928
	scratch_load_b128 v[155:158], off, off offset:240
	s_wait_loadcnt_dscnt 0xa01
	v_mul_f64_e32 v[159:160], v[40:41], v[4:5]
	v_mul_f64_e32 v[4:5], v[38:39], v[4:5]
	s_delay_alu instid0(VALU_DEP_2) | instskip(NEXT) | instid1(VALU_DEP_2)
	v_fma_f64 v[165:166], v[38:39], v[2:3], -v[159:160]
	v_fma_f64 v[167:168], v[40:41], v[2:3], v[4:5]
	ds_load_b128 v[2:5], v1 offset:944
	s_wait_loadcnt_dscnt 0x901
	v_mul_f64_e32 v[163:164], v[151:152], v[8:9]
	v_mul_f64_e32 v[8:9], v[153:154], v[8:9]
	scratch_load_b128 v[38:41], off, off offset:256
	ds_load_b128 v[159:162], v1 offset:960
	s_wait_loadcnt_dscnt 0x901
	v_mul_f64_e32 v[169:170], v[2:3], v[12:13]
	v_mul_f64_e32 v[12:13], v[4:5], v[12:13]
	v_fma_f64 v[153:154], v[153:154], v[6:7], v[163:164]
	v_fma_f64 v[151:152], v[151:152], v[6:7], -v[8:9]
	v_add_f64_e32 v[163:164], 0, v[165:166]
	v_add_f64_e32 v[165:166], 0, v[167:168]
	scratch_load_b128 v[6:9], off, off offset:272
	v_fma_f64 v[169:170], v[4:5], v[10:11], v[169:170]
	v_fma_f64 v[171:172], v[2:3], v[10:11], -v[12:13]
	ds_load_b128 v[2:5], v1 offset:976
	s_wait_loadcnt_dscnt 0x901
	v_mul_f64_e32 v[167:168], v[159:160], v[16:17]
	v_mul_f64_e32 v[16:17], v[161:162], v[16:17]
	scratch_load_b128 v[10:13], off, off offset:288
	v_add_f64_e32 v[163:164], v[163:164], v[151:152]
	v_add_f64_e32 v[165:166], v[165:166], v[153:154]
	s_wait_loadcnt_dscnt 0x900
	v_mul_f64_e32 v[173:174], v[2:3], v[20:21]
	v_mul_f64_e32 v[20:21], v[4:5], v[20:21]
	ds_load_b128 v[151:154], v1 offset:992
	v_fma_f64 v[161:162], v[161:162], v[14:15], v[167:168]
	v_fma_f64 v[159:160], v[159:160], v[14:15], -v[16:17]
	scratch_load_b128 v[14:17], off, off offset:304
	v_add_f64_e32 v[163:164], v[163:164], v[171:172]
	v_add_f64_e32 v[165:166], v[165:166], v[169:170]
	v_fma_f64 v[169:170], v[4:5], v[18:19], v[173:174]
	v_fma_f64 v[171:172], v[2:3], v[18:19], -v[20:21]
	ds_load_b128 v[2:5], v1 offset:1008
	s_wait_loadcnt_dscnt 0x901
	v_mul_f64_e32 v[167:168], v[151:152], v[24:25]
	v_mul_f64_e32 v[24:25], v[153:154], v[24:25]
	scratch_load_b128 v[18:21], off, off offset:320
	s_wait_loadcnt_dscnt 0x900
	v_mul_f64_e32 v[173:174], v[2:3], v[28:29]
	v_mul_f64_e32 v[28:29], v[4:5], v[28:29]
	v_add_f64_e32 v[163:164], v[163:164], v[159:160]
	v_add_f64_e32 v[165:166], v[165:166], v[161:162]
	ds_load_b128 v[159:162], v1 offset:1024
	v_fma_f64 v[153:154], v[153:154], v[22:23], v[167:168]
	v_fma_f64 v[151:152], v[151:152], v[22:23], -v[24:25]
	scratch_load_b128 v[22:25], off, off offset:336
	v_add_f64_e32 v[163:164], v[163:164], v[171:172]
	v_add_f64_e32 v[165:166], v[165:166], v[169:170]
	v_fma_f64 v[169:170], v[4:5], v[26:27], v[173:174]
	v_fma_f64 v[171:172], v[2:3], v[26:27], -v[28:29]
	ds_load_b128 v[2:5], v1 offset:1040
	s_wait_loadcnt_dscnt 0x901
	v_mul_f64_e32 v[167:168], v[159:160], v[32:33]
	v_mul_f64_e32 v[32:33], v[161:162], v[32:33]
	scratch_load_b128 v[26:29], off, off offset:352
	s_wait_loadcnt_dscnt 0x900
	v_mul_f64_e32 v[173:174], v[2:3], v[36:37]
	v_mul_f64_e32 v[36:37], v[4:5], v[36:37]
	v_add_f64_e32 v[163:164], v[163:164], v[151:152]
	v_add_f64_e32 v[165:166], v[165:166], v[153:154]
	ds_load_b128 v[151:154], v1 offset:1056
	v_fma_f64 v[161:162], v[161:162], v[30:31], v[167:168]
	v_fma_f64 v[159:160], v[159:160], v[30:31], -v[32:33]
	scratch_load_b128 v[30:33], off, off offset:368
	v_add_f64_e32 v[163:164], v[163:164], v[171:172]
	v_add_f64_e32 v[165:166], v[165:166], v[169:170]
	v_fma_f64 v[171:172], v[4:5], v[34:35], v[173:174]
	v_fma_f64 v[173:174], v[2:3], v[34:35], -v[36:37]
	ds_load_b128 v[2:5], v1 offset:1072
	s_wait_loadcnt_dscnt 0x801
	v_mul_f64_e32 v[167:168], v[151:152], v[157:158]
	v_mul_f64_e32 v[169:170], v[153:154], v[157:158]
	scratch_load_b128 v[34:37], off, off offset:384
	v_add_f64_e32 v[163:164], v[163:164], v[159:160]
	v_add_f64_e32 v[161:162], v[165:166], v[161:162]
	ds_load_b128 v[157:160], v1 offset:1088
	v_fma_f64 v[167:168], v[153:154], v[155:156], v[167:168]
	v_fma_f64 v[155:156], v[151:152], v[155:156], -v[169:170]
	scratch_load_b128 v[151:154], off, off offset:400
	s_wait_loadcnt_dscnt 0x901
	v_mul_f64_e32 v[165:166], v[2:3], v[40:41]
	v_mul_f64_e32 v[40:41], v[4:5], v[40:41]
	v_add_f64_e32 v[163:164], v[163:164], v[173:174]
	v_add_f64_e32 v[161:162], v[161:162], v[171:172]
	s_delay_alu instid0(VALU_DEP_4) | instskip(NEXT) | instid1(VALU_DEP_4)
	v_fma_f64 v[165:166], v[4:5], v[38:39], v[165:166]
	v_fma_f64 v[171:172], v[2:3], v[38:39], -v[40:41]
	ds_load_b128 v[2:5], v1 offset:1104
	s_wait_loadcnt_dscnt 0x801
	v_mul_f64_e32 v[169:170], v[157:158], v[8:9]
	v_mul_f64_e32 v[8:9], v[159:160], v[8:9]
	scratch_load_b128 v[38:41], off, off offset:416
	s_wait_loadcnt_dscnt 0x800
	v_mul_f64_e32 v[173:174], v[2:3], v[12:13]
	v_add_f64_e32 v[155:156], v[163:164], v[155:156]
	v_add_f64_e32 v[167:168], v[161:162], v[167:168]
	v_mul_f64_e32 v[12:13], v[4:5], v[12:13]
	ds_load_b128 v[161:164], v1 offset:1120
	v_fma_f64 v[159:160], v[159:160], v[6:7], v[169:170]
	v_fma_f64 v[157:158], v[157:158], v[6:7], -v[8:9]
	scratch_load_b128 v[6:9], off, off offset:432
	v_fma_f64 v[169:170], v[4:5], v[10:11], v[173:174]
	v_add_f64_e32 v[155:156], v[155:156], v[171:172]
	v_add_f64_e32 v[165:166], v[167:168], v[165:166]
	v_fma_f64 v[171:172], v[2:3], v[10:11], -v[12:13]
	ds_load_b128 v[2:5], v1 offset:1136
	s_wait_loadcnt_dscnt 0x801
	v_mul_f64_e32 v[167:168], v[161:162], v[16:17]
	v_mul_f64_e32 v[16:17], v[163:164], v[16:17]
	scratch_load_b128 v[10:13], off, off offset:448
	v_add_f64_e32 v[173:174], v[155:156], v[157:158]
	v_add_f64_e32 v[159:160], v[165:166], v[159:160]
	s_wait_loadcnt_dscnt 0x800
	v_mul_f64_e32 v[165:166], v[2:3], v[20:21]
	v_mul_f64_e32 v[20:21], v[4:5], v[20:21]
	v_fma_f64 v[163:164], v[163:164], v[14:15], v[167:168]
	v_fma_f64 v[161:162], v[161:162], v[14:15], -v[16:17]
	ds_load_b128 v[155:158], v1 offset:1152
	scratch_load_b128 v[14:17], off, off offset:464
	v_add_f64_e32 v[167:168], v[173:174], v[171:172]
	v_add_f64_e32 v[159:160], v[159:160], v[169:170]
	v_fma_f64 v[165:166], v[4:5], v[18:19], v[165:166]
	v_fma_f64 v[171:172], v[2:3], v[18:19], -v[20:21]
	ds_load_b128 v[2:5], v1 offset:1168
	s_wait_loadcnt_dscnt 0x801
	v_mul_f64_e32 v[169:170], v[155:156], v[24:25]
	v_mul_f64_e32 v[24:25], v[157:158], v[24:25]
	scratch_load_b128 v[18:21], off, off offset:480
	s_wait_loadcnt_dscnt 0x800
	v_mul_f64_e32 v[173:174], v[2:3], v[28:29]
	v_mul_f64_e32 v[28:29], v[4:5], v[28:29]
	v_add_f64_e32 v[167:168], v[167:168], v[161:162]
	v_add_f64_e32 v[163:164], v[159:160], v[163:164]
	ds_load_b128 v[159:162], v1 offset:1184
	v_fma_f64 v[157:158], v[157:158], v[22:23], v[169:170]
	v_fma_f64 v[155:156], v[155:156], v[22:23], -v[24:25]
	scratch_load_b128 v[22:25], off, off offset:496
	v_fma_f64 v[169:170], v[4:5], v[26:27], v[173:174]
	v_add_f64_e32 v[167:168], v[167:168], v[171:172]
	v_add_f64_e32 v[163:164], v[163:164], v[165:166]
	v_fma_f64 v[171:172], v[2:3], v[26:27], -v[28:29]
	ds_load_b128 v[2:5], v1 offset:1200
	s_wait_loadcnt_dscnt 0x801
	v_mul_f64_e32 v[165:166], v[159:160], v[32:33]
	v_mul_f64_e32 v[32:33], v[161:162], v[32:33]
	scratch_load_b128 v[26:29], off, off offset:512
	s_wait_loadcnt_dscnt 0x800
	v_mul_f64_e32 v[173:174], v[2:3], v[36:37]
	v_mul_f64_e32 v[36:37], v[4:5], v[36:37]
	v_add_f64_e32 v[167:168], v[167:168], v[155:156]
	v_add_f64_e32 v[163:164], v[163:164], v[157:158]
	ds_load_b128 v[155:158], v1 offset:1216
	v_fma_f64 v[161:162], v[161:162], v[30:31], v[165:166]
	v_fma_f64 v[159:160], v[159:160], v[30:31], -v[32:33]
	scratch_load_b128 v[30:33], off, off offset:528
	v_add_f64_e32 v[165:166], v[167:168], v[171:172]
	v_add_f64_e32 v[163:164], v[163:164], v[169:170]
	v_fma_f64 v[169:170], v[4:5], v[34:35], v[173:174]
	v_fma_f64 v[171:172], v[2:3], v[34:35], -v[36:37]
	ds_load_b128 v[2:5], v1 offset:1232
	s_wait_loadcnt_dscnt 0x801
	v_mul_f64_e32 v[167:168], v[155:156], v[153:154]
	v_mul_f64_e32 v[153:154], v[157:158], v[153:154]
	scratch_load_b128 v[34:37], off, off offset:544
	s_wait_loadcnt_dscnt 0x800
	v_mul_f64_e32 v[173:174], v[2:3], v[40:41]
	v_mul_f64_e32 v[40:41], v[4:5], v[40:41]
	v_add_f64_e32 v[165:166], v[165:166], v[159:160]
	v_add_f64_e32 v[163:164], v[163:164], v[161:162]
	ds_load_b128 v[159:162], v1 offset:1248
	v_fma_f64 v[157:158], v[157:158], v[151:152], v[167:168]
	v_fma_f64 v[155:156], v[155:156], v[151:152], -v[153:154]
	scratch_load_b128 v[151:154], off, off offset:560
	v_add_f64_e32 v[165:166], v[165:166], v[171:172]
	v_add_f64_e32 v[163:164], v[163:164], v[169:170]
	v_fma_f64 v[169:170], v[4:5], v[38:39], v[173:174]
	;; [unrolled: 18-line block ×6, first 2 shown]
	v_fma_f64 v[173:174], v[2:3], v[34:35], -v[36:37]
	ds_load_b128 v[2:5], v1 offset:1392
	s_wait_loadcnt_dscnt 0x801
	v_mul_f64_e32 v[167:168], v[159:160], v[153:154]
	v_mul_f64_e32 v[169:170], v[161:162], v[153:154]
	scratch_load_b128 v[34:37], off, off offset:704
	v_add_f64_e32 v[165:166], v[165:166], v[155:156]
	v_add_f64_e32 v[157:158], v[163:164], v[157:158]
	s_wait_loadcnt_dscnt 0x800
	v_mul_f64_e32 v[163:164], v[2:3], v[40:41]
	v_mul_f64_e32 v[40:41], v[4:5], v[40:41]
	ds_load_b128 v[153:156], v1 offset:1408
	v_fma_f64 v[161:162], v[161:162], v[151:152], v[167:168]
	v_fma_f64 v[151:152], v[159:160], v[151:152], -v[169:170]
	v_add_f64_e32 v[165:166], v[165:166], v[173:174]
	v_add_f64_e32 v[167:168], v[157:158], v[171:172]
	scratch_load_b128 v[157:160], off, off offset:720
	v_fma_f64 v[171:172], v[4:5], v[38:39], v[163:164]
	v_fma_f64 v[173:174], v[2:3], v[38:39], -v[40:41]
	ds_load_b128 v[2:5], v1 offset:1424
	s_wait_loadcnt_dscnt 0x801
	v_mul_f64_e32 v[169:170], v[153:154], v[8:9]
	v_mul_f64_e32 v[8:9], v[155:156], v[8:9]
	scratch_load_b128 v[38:41], off, off offset:736
	v_add_f64_e32 v[151:152], v[165:166], v[151:152]
	v_add_f64_e32 v[165:166], v[167:168], v[161:162]
	s_wait_loadcnt_dscnt 0x800
	v_mul_f64_e32 v[167:168], v[2:3], v[12:13]
	v_mul_f64_e32 v[12:13], v[4:5], v[12:13]
	ds_load_b128 v[161:164], v1 offset:1440
	v_fma_f64 v[155:156], v[155:156], v[6:7], v[169:170]
	v_fma_f64 v[153:154], v[153:154], v[6:7], -v[8:9]
	scratch_load_b128 v[6:9], off, off offset:752
	v_add_f64_e32 v[151:152], v[151:152], v[173:174]
	v_add_f64_e32 v[165:166], v[165:166], v[171:172]
	v_fma_f64 v[167:168], v[4:5], v[10:11], v[167:168]
	v_fma_f64 v[171:172], v[2:3], v[10:11], -v[12:13]
	ds_load_b128 v[2:5], v1 offset:1456
	s_wait_loadcnt_dscnt 0x801
	v_mul_f64_e32 v[169:170], v[161:162], v[16:17]
	v_mul_f64_e32 v[16:17], v[163:164], v[16:17]
	scratch_load_b128 v[10:13], off, off offset:768
	v_add_f64_e32 v[173:174], v[151:152], v[153:154]
	v_add_f64_e32 v[155:156], v[165:166], v[155:156]
	s_wait_loadcnt_dscnt 0x800
	v_mul_f64_e32 v[165:166], v[2:3], v[20:21]
	v_mul_f64_e32 v[20:21], v[4:5], v[20:21]
	ds_load_b128 v[151:154], v1 offset:1472
	v_fma_f64 v[163:164], v[163:164], v[14:15], v[169:170]
	v_fma_f64 v[161:162], v[161:162], v[14:15], -v[16:17]
	scratch_load_b128 v[14:17], off, off offset:784
	v_add_f64_e32 v[169:170], v[173:174], v[171:172]
	v_add_f64_e32 v[155:156], v[155:156], v[167:168]
	v_fma_f64 v[165:166], v[4:5], v[18:19], v[165:166]
	v_fma_f64 v[171:172], v[2:3], v[18:19], -v[20:21]
	ds_load_b128 v[2:5], v1 offset:1488
	s_wait_loadcnt_dscnt 0x801
	v_mul_f64_e32 v[167:168], v[151:152], v[24:25]
	v_mul_f64_e32 v[24:25], v[153:154], v[24:25]
	scratch_load_b128 v[18:21], off, off offset:800
	s_wait_loadcnt_dscnt 0x800
	v_mul_f64_e32 v[173:174], v[2:3], v[28:29]
	v_mul_f64_e32 v[28:29], v[4:5], v[28:29]
	v_add_f64_e32 v[169:170], v[169:170], v[161:162]
	v_add_f64_e32 v[155:156], v[155:156], v[163:164]
	ds_load_b128 v[161:164], v1 offset:1504
	v_fma_f64 v[153:154], v[153:154], v[22:23], v[167:168]
	v_fma_f64 v[151:152], v[151:152], v[22:23], -v[24:25]
	scratch_load_b128 v[22:25], off, off offset:816
	v_add_f64_e32 v[167:168], v[169:170], v[171:172]
	v_add_f64_e32 v[155:156], v[155:156], v[165:166]
	v_fma_f64 v[169:170], v[4:5], v[26:27], v[173:174]
	v_fma_f64 v[171:172], v[2:3], v[26:27], -v[28:29]
	ds_load_b128 v[2:5], v1 offset:1520
	s_wait_loadcnt_dscnt 0x801
	v_mul_f64_e32 v[165:166], v[161:162], v[32:33]
	v_mul_f64_e32 v[32:33], v[163:164], v[32:33]
	scratch_load_b128 v[26:29], off, off offset:832
	s_wait_loadcnt_dscnt 0x800
	v_mul_f64_e32 v[173:174], v[2:3], v[36:37]
	v_mul_f64_e32 v[36:37], v[4:5], v[36:37]
	v_add_f64_e32 v[167:168], v[167:168], v[151:152]
	v_add_f64_e32 v[155:156], v[155:156], v[153:154]
	ds_load_b128 v[151:154], v1 offset:1536
	v_fma_f64 v[163:164], v[163:164], v[30:31], v[165:166]
	v_fma_f64 v[30:31], v[161:162], v[30:31], -v[32:33]
	v_fma_f64 v[165:166], v[4:5], v[34:35], v[173:174]
	v_fma_f64 v[34:35], v[2:3], v[34:35], -v[36:37]
	v_add_f64_e32 v[32:33], v[167:168], v[171:172]
	v_add_f64_e32 v[155:156], v[155:156], v[169:170]
	s_wait_loadcnt_dscnt 0x700
	v_mul_f64_e32 v[161:162], v[151:152], v[159:160]
	v_mul_f64_e32 v[159:160], v[153:154], v[159:160]
	s_delay_alu instid0(VALU_DEP_4) | instskip(NEXT) | instid1(VALU_DEP_4)
	v_add_f64_e32 v[36:37], v[32:33], v[30:31]
	v_add_f64_e32 v[155:156], v[155:156], v[163:164]
	ds_load_b128 v[2:5], v1 offset:1552
	ds_load_b128 v[30:33], v1 offset:1568
	v_fma_f64 v[153:154], v[153:154], v[157:158], v[161:162]
	v_fma_f64 v[151:152], v[151:152], v[157:158], -v[159:160]
	s_wait_loadcnt_dscnt 0x601
	v_mul_f64_e32 v[163:164], v[2:3], v[40:41]
	v_mul_f64_e32 v[40:41], v[4:5], v[40:41]
	v_add_f64_e32 v[34:35], v[36:37], v[34:35]
	v_add_f64_e32 v[36:37], v[155:156], v[165:166]
	s_wait_loadcnt_dscnt 0x500
	v_mul_f64_e32 v[155:156], v[30:31], v[8:9]
	v_mul_f64_e32 v[8:9], v[32:33], v[8:9]
	v_fma_f64 v[157:158], v[4:5], v[38:39], v[163:164]
	v_fma_f64 v[38:39], v[2:3], v[38:39], -v[40:41]
	v_add_f64_e32 v[40:41], v[34:35], v[151:152]
	v_add_f64_e32 v[151:152], v[36:37], v[153:154]
	ds_load_b128 v[2:5], v1 offset:1584
	ds_load_b128 v[34:37], v1 offset:1600
	v_fma_f64 v[32:33], v[32:33], v[6:7], v[155:156]
	v_fma_f64 v[6:7], v[30:31], v[6:7], -v[8:9]
	s_wait_loadcnt_dscnt 0x401
	v_mul_f64_e32 v[153:154], v[2:3], v[12:13]
	v_mul_f64_e32 v[12:13], v[4:5], v[12:13]
	v_add_f64_e32 v[8:9], v[40:41], v[38:39]
	v_add_f64_e32 v[30:31], v[151:152], v[157:158]
	s_wait_loadcnt_dscnt 0x300
	v_mul_f64_e32 v[38:39], v[34:35], v[16:17]
	v_mul_f64_e32 v[16:17], v[36:37], v[16:17]
	v_fma_f64 v[40:41], v[4:5], v[10:11], v[153:154]
	v_fma_f64 v[10:11], v[2:3], v[10:11], -v[12:13]
	v_add_f64_e32 v[12:13], v[8:9], v[6:7]
	v_add_f64_e32 v[30:31], v[30:31], v[32:33]
	ds_load_b128 v[2:5], v1 offset:1616
	ds_load_b128 v[6:9], v1 offset:1632
	v_fma_f64 v[36:37], v[36:37], v[14:15], v[38:39]
	v_fma_f64 v[14:15], v[34:35], v[14:15], -v[16:17]
	s_wait_loadcnt_dscnt 0x201
	v_mul_f64_e32 v[32:33], v[2:3], v[20:21]
	v_mul_f64_e32 v[20:21], v[4:5], v[20:21]
	s_wait_loadcnt_dscnt 0x100
	v_mul_f64_e32 v[16:17], v[6:7], v[24:25]
	v_mul_f64_e32 v[24:25], v[8:9], v[24:25]
	v_add_f64_e32 v[10:11], v[12:13], v[10:11]
	v_add_f64_e32 v[12:13], v[30:31], v[40:41]
	v_fma_f64 v[30:31], v[4:5], v[18:19], v[32:33]
	v_fma_f64 v[18:19], v[2:3], v[18:19], -v[20:21]
	ds_load_b128 v[2:5], v1 offset:1648
	v_fma_f64 v[8:9], v[8:9], v[22:23], v[16:17]
	v_fma_f64 v[6:7], v[6:7], v[22:23], -v[24:25]
	v_add_f64_e32 v[10:11], v[10:11], v[14:15]
	v_add_f64_e32 v[12:13], v[12:13], v[36:37]
	s_wait_loadcnt_dscnt 0x0
	v_mul_f64_e32 v[14:15], v[2:3], v[28:29]
	v_mul_f64_e32 v[20:21], v[4:5], v[28:29]
	s_delay_alu instid0(VALU_DEP_4) | instskip(NEXT) | instid1(VALU_DEP_4)
	v_add_f64_e32 v[10:11], v[10:11], v[18:19]
	v_add_f64_e32 v[12:13], v[12:13], v[30:31]
	s_delay_alu instid0(VALU_DEP_4) | instskip(NEXT) | instid1(VALU_DEP_4)
	v_fma_f64 v[4:5], v[4:5], v[26:27], v[14:15]
	v_fma_f64 v[2:3], v[2:3], v[26:27], -v[20:21]
	s_delay_alu instid0(VALU_DEP_4) | instskip(NEXT) | instid1(VALU_DEP_4)
	v_add_f64_e32 v[6:7], v[10:11], v[6:7]
	v_add_f64_e32 v[8:9], v[12:13], v[8:9]
	s_delay_alu instid0(VALU_DEP_2) | instskip(NEXT) | instid1(VALU_DEP_2)
	v_add_f64_e32 v[2:3], v[6:7], v[2:3]
	v_add_f64_e32 v[4:5], v[8:9], v[4:5]
	s_delay_alu instid0(VALU_DEP_2) | instskip(NEXT) | instid1(VALU_DEP_2)
	v_add_f64_e64 v[2:3], v[42:43], -v[2:3]
	v_add_f64_e64 v[4:5], v[44:45], -v[4:5]
	scratch_store_b128 off, v[2:5], off offset:80
	v_cmpx_lt_u32_e32 3, v0
	s_cbranch_execz .LBB115_319
; %bb.318:
	scratch_load_b128 v[5:8], off, s10
	v_dual_mov_b32 v2, v1 :: v_dual_mov_b32 v3, v1
	v_mov_b32_e32 v4, v1
	scratch_store_b128 off, v[1:4], off offset:64
	s_wait_loadcnt 0x0
	ds_store_b128 v150, v[5:8]
.LBB115_319:
	s_wait_alu 0xfffe
	s_or_b32 exec_lo, exec_lo, s0
	s_wait_storecnt_dscnt 0x0
	s_barrier_signal -1
	s_barrier_wait -1
	global_inv scope:SCOPE_SE
	s_clause 0x8
	scratch_load_b128 v[2:5], off, off offset:80
	scratch_load_b128 v[6:9], off, off offset:96
	;; [unrolled: 1-line block ×9, first 2 shown]
	ds_load_b128 v[42:45], v1 offset:896
	ds_load_b128 v[38:41], v1 offset:912
	s_clause 0x1
	scratch_load_b128 v[151:154], off, off offset:64
	scratch_load_b128 v[155:158], off, off offset:224
	s_mov_b32 s0, exec_lo
	s_wait_loadcnt_dscnt 0xa01
	v_mul_f64_e32 v[159:160], v[44:45], v[4:5]
	v_mul_f64_e32 v[4:5], v[42:43], v[4:5]
	s_wait_loadcnt_dscnt 0x900
	v_mul_f64_e32 v[163:164], v[38:39], v[8:9]
	v_mul_f64_e32 v[8:9], v[40:41], v[8:9]
	s_delay_alu instid0(VALU_DEP_4) | instskip(NEXT) | instid1(VALU_DEP_4)
	v_fma_f64 v[165:166], v[42:43], v[2:3], -v[159:160]
	v_fma_f64 v[167:168], v[44:45], v[2:3], v[4:5]
	ds_load_b128 v[2:5], v1 offset:928
	ds_load_b128 v[159:162], v1 offset:944
	scratch_load_b128 v[42:45], off, off offset:240
	v_fma_f64 v[40:41], v[40:41], v[6:7], v[163:164]
	v_fma_f64 v[38:39], v[38:39], v[6:7], -v[8:9]
	scratch_load_b128 v[6:9], off, off offset:256
	s_wait_loadcnt_dscnt 0xa01
	v_mul_f64_e32 v[169:170], v[2:3], v[12:13]
	v_mul_f64_e32 v[12:13], v[4:5], v[12:13]
	v_add_f64_e32 v[163:164], 0, v[165:166]
	v_add_f64_e32 v[165:166], 0, v[167:168]
	s_wait_loadcnt_dscnt 0x900
	v_mul_f64_e32 v[167:168], v[159:160], v[16:17]
	v_mul_f64_e32 v[16:17], v[161:162], v[16:17]
	v_fma_f64 v[169:170], v[4:5], v[10:11], v[169:170]
	v_fma_f64 v[171:172], v[2:3], v[10:11], -v[12:13]
	ds_load_b128 v[2:5], v1 offset:960
	scratch_load_b128 v[10:13], off, off offset:272
	v_add_f64_e32 v[163:164], v[163:164], v[38:39]
	v_add_f64_e32 v[165:166], v[165:166], v[40:41]
	ds_load_b128 v[38:41], v1 offset:976
	v_fma_f64 v[161:162], v[161:162], v[14:15], v[167:168]
	v_fma_f64 v[159:160], v[159:160], v[14:15], -v[16:17]
	scratch_load_b128 v[14:17], off, off offset:288
	s_wait_loadcnt_dscnt 0xa01
	v_mul_f64_e32 v[173:174], v[2:3], v[20:21]
	v_mul_f64_e32 v[20:21], v[4:5], v[20:21]
	s_wait_loadcnt_dscnt 0x900
	v_mul_f64_e32 v[167:168], v[38:39], v[24:25]
	v_mul_f64_e32 v[24:25], v[40:41], v[24:25]
	v_add_f64_e32 v[163:164], v[163:164], v[171:172]
	v_add_f64_e32 v[165:166], v[165:166], v[169:170]
	v_fma_f64 v[169:170], v[4:5], v[18:19], v[173:174]
	v_fma_f64 v[171:172], v[2:3], v[18:19], -v[20:21]
	ds_load_b128 v[2:5], v1 offset:992
	scratch_load_b128 v[18:21], off, off offset:304
	v_fma_f64 v[40:41], v[40:41], v[22:23], v[167:168]
	v_fma_f64 v[38:39], v[38:39], v[22:23], -v[24:25]
	scratch_load_b128 v[22:25], off, off offset:320
	v_add_f64_e32 v[163:164], v[163:164], v[159:160]
	v_add_f64_e32 v[165:166], v[165:166], v[161:162]
	ds_load_b128 v[159:162], v1 offset:1008
	s_wait_loadcnt_dscnt 0xa01
	v_mul_f64_e32 v[173:174], v[2:3], v[28:29]
	v_mul_f64_e32 v[28:29], v[4:5], v[28:29]
	s_wait_loadcnt_dscnt 0x900
	v_mul_f64_e32 v[167:168], v[159:160], v[32:33]
	v_mul_f64_e32 v[32:33], v[161:162], v[32:33]
	v_add_f64_e32 v[163:164], v[163:164], v[171:172]
	v_add_f64_e32 v[165:166], v[165:166], v[169:170]
	v_fma_f64 v[169:170], v[4:5], v[26:27], v[173:174]
	v_fma_f64 v[171:172], v[2:3], v[26:27], -v[28:29]
	ds_load_b128 v[2:5], v1 offset:1024
	scratch_load_b128 v[26:29], off, off offset:336
	v_fma_f64 v[161:162], v[161:162], v[30:31], v[167:168]
	v_fma_f64 v[159:160], v[159:160], v[30:31], -v[32:33]
	scratch_load_b128 v[30:33], off, off offset:352
	v_add_f64_e32 v[163:164], v[163:164], v[38:39]
	v_add_f64_e32 v[165:166], v[165:166], v[40:41]
	ds_load_b128 v[38:41], v1 offset:1040
	s_wait_loadcnt_dscnt 0xa01
	v_mul_f64_e32 v[173:174], v[2:3], v[36:37]
	v_mul_f64_e32 v[36:37], v[4:5], v[36:37]
	s_wait_loadcnt_dscnt 0x800
	v_mul_f64_e32 v[167:168], v[38:39], v[157:158]
	v_add_f64_e32 v[163:164], v[163:164], v[171:172]
	v_add_f64_e32 v[165:166], v[165:166], v[169:170]
	v_mul_f64_e32 v[169:170], v[40:41], v[157:158]
	v_fma_f64 v[171:172], v[4:5], v[34:35], v[173:174]
	v_fma_f64 v[173:174], v[2:3], v[34:35], -v[36:37]
	ds_load_b128 v[2:5], v1 offset:1056
	scratch_load_b128 v[34:37], off, off offset:368
	v_fma_f64 v[167:168], v[40:41], v[155:156], v[167:168]
	v_add_f64_e32 v[163:164], v[163:164], v[159:160]
	v_add_f64_e32 v[161:162], v[165:166], v[161:162]
	ds_load_b128 v[157:160], v1 offset:1072
	v_fma_f64 v[155:156], v[38:39], v[155:156], -v[169:170]
	scratch_load_b128 v[38:41], off, off offset:384
	s_wait_loadcnt_dscnt 0x901
	v_mul_f64_e32 v[165:166], v[2:3], v[44:45]
	v_mul_f64_e32 v[44:45], v[4:5], v[44:45]
	s_wait_loadcnt_dscnt 0x800
	v_mul_f64_e32 v[169:170], v[157:158], v[8:9]
	v_mul_f64_e32 v[8:9], v[159:160], v[8:9]
	v_add_f64_e32 v[163:164], v[163:164], v[173:174]
	v_add_f64_e32 v[161:162], v[161:162], v[171:172]
	v_fma_f64 v[165:166], v[4:5], v[42:43], v[165:166]
	v_fma_f64 v[171:172], v[2:3], v[42:43], -v[44:45]
	ds_load_b128 v[2:5], v1 offset:1088
	scratch_load_b128 v[42:45], off, off offset:400
	v_fma_f64 v[159:160], v[159:160], v[6:7], v[169:170]
	v_fma_f64 v[157:158], v[157:158], v[6:7], -v[8:9]
	scratch_load_b128 v[6:9], off, off offset:416
	v_add_f64_e32 v[155:156], v[163:164], v[155:156]
	v_add_f64_e32 v[167:168], v[161:162], v[167:168]
	ds_load_b128 v[161:164], v1 offset:1104
	s_wait_loadcnt_dscnt 0x901
	v_mul_f64_e32 v[173:174], v[2:3], v[12:13]
	v_mul_f64_e32 v[12:13], v[4:5], v[12:13]
	v_add_f64_e32 v[155:156], v[155:156], v[171:172]
	v_add_f64_e32 v[165:166], v[167:168], v[165:166]
	s_wait_loadcnt_dscnt 0x800
	v_mul_f64_e32 v[167:168], v[161:162], v[16:17]
	v_mul_f64_e32 v[16:17], v[163:164], v[16:17]
	v_fma_f64 v[169:170], v[4:5], v[10:11], v[173:174]
	v_fma_f64 v[171:172], v[2:3], v[10:11], -v[12:13]
	ds_load_b128 v[2:5], v1 offset:1120
	scratch_load_b128 v[10:13], off, off offset:432
	v_add_f64_e32 v[173:174], v[155:156], v[157:158]
	v_add_f64_e32 v[159:160], v[165:166], v[159:160]
	ds_load_b128 v[155:158], v1 offset:1136
	s_wait_loadcnt_dscnt 0x801
	v_mul_f64_e32 v[165:166], v[2:3], v[20:21]
	v_mul_f64_e32 v[20:21], v[4:5], v[20:21]
	v_fma_f64 v[163:164], v[163:164], v[14:15], v[167:168]
	v_fma_f64 v[161:162], v[161:162], v[14:15], -v[16:17]
	scratch_load_b128 v[14:17], off, off offset:448
	v_add_f64_e32 v[167:168], v[173:174], v[171:172]
	v_add_f64_e32 v[159:160], v[159:160], v[169:170]
	s_wait_loadcnt_dscnt 0x800
	v_mul_f64_e32 v[169:170], v[155:156], v[24:25]
	v_mul_f64_e32 v[24:25], v[157:158], v[24:25]
	v_fma_f64 v[165:166], v[4:5], v[18:19], v[165:166]
	v_fma_f64 v[171:172], v[2:3], v[18:19], -v[20:21]
	ds_load_b128 v[2:5], v1 offset:1152
	scratch_load_b128 v[18:21], off, off offset:464
	v_add_f64_e32 v[167:168], v[167:168], v[161:162]
	v_add_f64_e32 v[163:164], v[159:160], v[163:164]
	ds_load_b128 v[159:162], v1 offset:1168
	s_wait_loadcnt_dscnt 0x801
	v_mul_f64_e32 v[173:174], v[2:3], v[28:29]
	v_mul_f64_e32 v[28:29], v[4:5], v[28:29]
	v_fma_f64 v[157:158], v[157:158], v[22:23], v[169:170]
	v_fma_f64 v[155:156], v[155:156], v[22:23], -v[24:25]
	scratch_load_b128 v[22:25], off, off offset:480
	;; [unrolled: 18-line block ×4, first 2 shown]
	s_wait_loadcnt_dscnt 0x800
	v_mul_f64_e32 v[167:168], v[159:160], v[8:9]
	v_mul_f64_e32 v[8:9], v[161:162], v[8:9]
	v_add_f64_e32 v[165:166], v[165:166], v[171:172]
	v_add_f64_e32 v[163:164], v[163:164], v[169:170]
	v_fma_f64 v[169:170], v[4:5], v[42:43], v[173:174]
	v_fma_f64 v[171:172], v[2:3], v[42:43], -v[44:45]
	ds_load_b128 v[2:5], v1 offset:1248
	scratch_load_b128 v[42:45], off, off offset:560
	v_fma_f64 v[161:162], v[161:162], v[6:7], v[167:168]
	v_fma_f64 v[159:160], v[159:160], v[6:7], -v[8:9]
	scratch_load_b128 v[6:9], off, off offset:576
	v_add_f64_e32 v[165:166], v[165:166], v[155:156]
	v_add_f64_e32 v[163:164], v[163:164], v[157:158]
	ds_load_b128 v[155:158], v1 offset:1264
	s_wait_loadcnt_dscnt 0x901
	v_mul_f64_e32 v[173:174], v[2:3], v[12:13]
	v_mul_f64_e32 v[12:13], v[4:5], v[12:13]
	s_wait_loadcnt_dscnt 0x800
	v_mul_f64_e32 v[167:168], v[155:156], v[16:17]
	v_mul_f64_e32 v[16:17], v[157:158], v[16:17]
	v_add_f64_e32 v[165:166], v[165:166], v[171:172]
	v_add_f64_e32 v[163:164], v[163:164], v[169:170]
	v_fma_f64 v[169:170], v[4:5], v[10:11], v[173:174]
	v_fma_f64 v[171:172], v[2:3], v[10:11], -v[12:13]
	ds_load_b128 v[2:5], v1 offset:1280
	scratch_load_b128 v[10:13], off, off offset:592
	v_fma_f64 v[157:158], v[157:158], v[14:15], v[167:168]
	v_fma_f64 v[155:156], v[155:156], v[14:15], -v[16:17]
	scratch_load_b128 v[14:17], off, off offset:608
	v_add_f64_e32 v[165:166], v[165:166], v[159:160]
	v_add_f64_e32 v[163:164], v[163:164], v[161:162]
	ds_load_b128 v[159:162], v1 offset:1296
	s_wait_loadcnt_dscnt 0x901
	v_mul_f64_e32 v[173:174], v[2:3], v[20:21]
	v_mul_f64_e32 v[20:21], v[4:5], v[20:21]
	s_wait_loadcnt_dscnt 0x800
	v_mul_f64_e32 v[167:168], v[159:160], v[24:25]
	v_mul_f64_e32 v[24:25], v[161:162], v[24:25]
	v_add_f64_e32 v[165:166], v[165:166], v[171:172]
	v_add_f64_e32 v[163:164], v[163:164], v[169:170]
	v_fma_f64 v[169:170], v[4:5], v[18:19], v[173:174]
	v_fma_f64 v[171:172], v[2:3], v[18:19], -v[20:21]
	ds_load_b128 v[2:5], v1 offset:1312
	scratch_load_b128 v[18:21], off, off offset:624
	v_fma_f64 v[161:162], v[161:162], v[22:23], v[167:168]
	v_fma_f64 v[159:160], v[159:160], v[22:23], -v[24:25]
	scratch_load_b128 v[22:25], off, off offset:640
	v_add_f64_e32 v[165:166], v[165:166], v[155:156]
	v_add_f64_e32 v[163:164], v[163:164], v[157:158]
	ds_load_b128 v[155:158], v1 offset:1328
	s_wait_loadcnt_dscnt 0x901
	v_mul_f64_e32 v[173:174], v[2:3], v[28:29]
	v_mul_f64_e32 v[28:29], v[4:5], v[28:29]
	s_wait_loadcnt_dscnt 0x800
	v_mul_f64_e32 v[167:168], v[155:156], v[32:33]
	v_mul_f64_e32 v[32:33], v[157:158], v[32:33]
	v_add_f64_e32 v[165:166], v[165:166], v[171:172]
	v_add_f64_e32 v[163:164], v[163:164], v[169:170]
	v_fma_f64 v[169:170], v[4:5], v[26:27], v[173:174]
	v_fma_f64 v[171:172], v[2:3], v[26:27], -v[28:29]
	ds_load_b128 v[2:5], v1 offset:1344
	scratch_load_b128 v[26:29], off, off offset:656
	v_fma_f64 v[157:158], v[157:158], v[30:31], v[167:168]
	v_fma_f64 v[155:156], v[155:156], v[30:31], -v[32:33]
	scratch_load_b128 v[30:33], off, off offset:672
	v_add_f64_e32 v[165:166], v[165:166], v[159:160]
	v_add_f64_e32 v[163:164], v[163:164], v[161:162]
	ds_load_b128 v[159:162], v1 offset:1360
	s_wait_loadcnt_dscnt 0x901
	v_mul_f64_e32 v[173:174], v[2:3], v[36:37]
	v_mul_f64_e32 v[36:37], v[4:5], v[36:37]
	s_wait_loadcnt_dscnt 0x800
	v_mul_f64_e32 v[167:168], v[159:160], v[40:41]
	v_mul_f64_e32 v[40:41], v[161:162], v[40:41]
	v_add_f64_e32 v[165:166], v[165:166], v[171:172]
	v_add_f64_e32 v[163:164], v[163:164], v[169:170]
	v_fma_f64 v[169:170], v[4:5], v[34:35], v[173:174]
	v_fma_f64 v[171:172], v[2:3], v[34:35], -v[36:37]
	ds_load_b128 v[2:5], v1 offset:1376
	scratch_load_b128 v[34:37], off, off offset:688
	v_fma_f64 v[161:162], v[161:162], v[38:39], v[167:168]
	v_fma_f64 v[159:160], v[159:160], v[38:39], -v[40:41]
	scratch_load_b128 v[38:41], off, off offset:704
	v_add_f64_e32 v[165:166], v[165:166], v[155:156]
	v_add_f64_e32 v[163:164], v[163:164], v[157:158]
	ds_load_b128 v[155:158], v1 offset:1392
	s_wait_loadcnt_dscnt 0x901
	v_mul_f64_e32 v[173:174], v[2:3], v[44:45]
	v_mul_f64_e32 v[44:45], v[4:5], v[44:45]
	s_wait_loadcnt_dscnt 0x800
	v_mul_f64_e32 v[167:168], v[155:156], v[8:9]
	v_mul_f64_e32 v[8:9], v[157:158], v[8:9]
	v_add_f64_e32 v[165:166], v[165:166], v[171:172]
	v_add_f64_e32 v[163:164], v[163:164], v[169:170]
	v_fma_f64 v[169:170], v[4:5], v[42:43], v[173:174]
	v_fma_f64 v[171:172], v[2:3], v[42:43], -v[44:45]
	ds_load_b128 v[2:5], v1 offset:1408
	scratch_load_b128 v[42:45], off, off offset:720
	v_fma_f64 v[157:158], v[157:158], v[6:7], v[167:168]
	v_fma_f64 v[155:156], v[155:156], v[6:7], -v[8:9]
	scratch_load_b128 v[6:9], off, off offset:736
	v_add_f64_e32 v[165:166], v[165:166], v[159:160]
	v_add_f64_e32 v[163:164], v[163:164], v[161:162]
	ds_load_b128 v[159:162], v1 offset:1424
	s_wait_loadcnt_dscnt 0x901
	v_mul_f64_e32 v[173:174], v[2:3], v[12:13]
	v_mul_f64_e32 v[12:13], v[4:5], v[12:13]
	s_wait_loadcnt_dscnt 0x800
	v_mul_f64_e32 v[167:168], v[159:160], v[16:17]
	v_mul_f64_e32 v[16:17], v[161:162], v[16:17]
	v_add_f64_e32 v[165:166], v[165:166], v[171:172]
	v_add_f64_e32 v[163:164], v[163:164], v[169:170]
	v_fma_f64 v[169:170], v[4:5], v[10:11], v[173:174]
	v_fma_f64 v[171:172], v[2:3], v[10:11], -v[12:13]
	ds_load_b128 v[2:5], v1 offset:1440
	scratch_load_b128 v[10:13], off, off offset:752
	v_fma_f64 v[161:162], v[161:162], v[14:15], v[167:168]
	v_fma_f64 v[159:160], v[159:160], v[14:15], -v[16:17]
	scratch_load_b128 v[14:17], off, off offset:768
	v_add_f64_e32 v[165:166], v[165:166], v[155:156]
	v_add_f64_e32 v[163:164], v[163:164], v[157:158]
	ds_load_b128 v[155:158], v1 offset:1456
	s_wait_loadcnt_dscnt 0x901
	v_mul_f64_e32 v[173:174], v[2:3], v[20:21]
	v_mul_f64_e32 v[20:21], v[4:5], v[20:21]
	s_wait_loadcnt_dscnt 0x800
	v_mul_f64_e32 v[167:168], v[155:156], v[24:25]
	v_mul_f64_e32 v[24:25], v[157:158], v[24:25]
	v_add_f64_e32 v[165:166], v[165:166], v[171:172]
	v_add_f64_e32 v[163:164], v[163:164], v[169:170]
	v_fma_f64 v[169:170], v[4:5], v[18:19], v[173:174]
	v_fma_f64 v[171:172], v[2:3], v[18:19], -v[20:21]
	ds_load_b128 v[2:5], v1 offset:1472
	scratch_load_b128 v[18:21], off, off offset:784
	v_fma_f64 v[157:158], v[157:158], v[22:23], v[167:168]
	v_fma_f64 v[155:156], v[155:156], v[22:23], -v[24:25]
	scratch_load_b128 v[22:25], off, off offset:800
	v_add_f64_e32 v[165:166], v[165:166], v[159:160]
	v_add_f64_e32 v[163:164], v[163:164], v[161:162]
	ds_load_b128 v[159:162], v1 offset:1488
	s_wait_loadcnt_dscnt 0x901
	v_mul_f64_e32 v[173:174], v[2:3], v[28:29]
	v_mul_f64_e32 v[28:29], v[4:5], v[28:29]
	s_wait_loadcnt_dscnt 0x800
	v_mul_f64_e32 v[167:168], v[159:160], v[32:33]
	v_mul_f64_e32 v[32:33], v[161:162], v[32:33]
	v_add_f64_e32 v[165:166], v[165:166], v[171:172]
	v_add_f64_e32 v[163:164], v[163:164], v[169:170]
	v_fma_f64 v[169:170], v[4:5], v[26:27], v[173:174]
	v_fma_f64 v[171:172], v[2:3], v[26:27], -v[28:29]
	ds_load_b128 v[2:5], v1 offset:1504
	scratch_load_b128 v[26:29], off, off offset:816
	v_fma_f64 v[161:162], v[161:162], v[30:31], v[167:168]
	v_fma_f64 v[159:160], v[159:160], v[30:31], -v[32:33]
	scratch_load_b128 v[30:33], off, off offset:832
	v_add_f64_e32 v[165:166], v[165:166], v[155:156]
	v_add_f64_e32 v[163:164], v[163:164], v[157:158]
	ds_load_b128 v[155:158], v1 offset:1520
	s_wait_loadcnt_dscnt 0x901
	v_mul_f64_e32 v[173:174], v[2:3], v[36:37]
	v_mul_f64_e32 v[36:37], v[4:5], v[36:37]
	s_wait_loadcnt_dscnt 0x800
	v_mul_f64_e32 v[167:168], v[155:156], v[40:41]
	v_mul_f64_e32 v[40:41], v[157:158], v[40:41]
	v_add_f64_e32 v[165:166], v[165:166], v[171:172]
	v_add_f64_e32 v[163:164], v[163:164], v[169:170]
	v_fma_f64 v[169:170], v[4:5], v[34:35], v[173:174]
	v_fma_f64 v[171:172], v[2:3], v[34:35], -v[36:37]
	ds_load_b128 v[2:5], v1 offset:1536
	ds_load_b128 v[34:37], v1 offset:1552
	v_fma_f64 v[157:158], v[157:158], v[38:39], v[167:168]
	v_fma_f64 v[38:39], v[155:156], v[38:39], -v[40:41]
	v_add_f64_e32 v[159:160], v[165:166], v[159:160]
	v_add_f64_e32 v[161:162], v[163:164], v[161:162]
	s_wait_loadcnt_dscnt 0x701
	v_mul_f64_e32 v[163:164], v[2:3], v[44:45]
	v_mul_f64_e32 v[44:45], v[4:5], v[44:45]
	s_delay_alu instid0(VALU_DEP_4) | instskip(NEXT) | instid1(VALU_DEP_4)
	v_add_f64_e32 v[40:41], v[159:160], v[171:172]
	v_add_f64_e32 v[155:156], v[161:162], v[169:170]
	s_wait_loadcnt_dscnt 0x600
	v_mul_f64_e32 v[159:160], v[34:35], v[8:9]
	v_mul_f64_e32 v[8:9], v[36:37], v[8:9]
	v_fma_f64 v[161:162], v[4:5], v[42:43], v[163:164]
	v_fma_f64 v[42:43], v[2:3], v[42:43], -v[44:45]
	v_add_f64_e32 v[44:45], v[40:41], v[38:39]
	v_add_f64_e32 v[155:156], v[155:156], v[157:158]
	ds_load_b128 v[2:5], v1 offset:1568
	ds_load_b128 v[38:41], v1 offset:1584
	v_fma_f64 v[36:37], v[36:37], v[6:7], v[159:160]
	v_fma_f64 v[6:7], v[34:35], v[6:7], -v[8:9]
	s_wait_loadcnt_dscnt 0x501
	v_mul_f64_e32 v[157:158], v[2:3], v[12:13]
	v_mul_f64_e32 v[12:13], v[4:5], v[12:13]
	v_add_f64_e32 v[8:9], v[44:45], v[42:43]
	v_add_f64_e32 v[34:35], v[155:156], v[161:162]
	s_wait_loadcnt_dscnt 0x400
	v_mul_f64_e32 v[42:43], v[38:39], v[16:17]
	v_mul_f64_e32 v[16:17], v[40:41], v[16:17]
	v_fma_f64 v[44:45], v[4:5], v[10:11], v[157:158]
	v_fma_f64 v[10:11], v[2:3], v[10:11], -v[12:13]
	v_add_f64_e32 v[12:13], v[8:9], v[6:7]
	v_add_f64_e32 v[34:35], v[34:35], v[36:37]
	ds_load_b128 v[2:5], v1 offset:1600
	ds_load_b128 v[6:9], v1 offset:1616
	v_fma_f64 v[40:41], v[40:41], v[14:15], v[42:43]
	v_fma_f64 v[14:15], v[38:39], v[14:15], -v[16:17]
	s_wait_loadcnt_dscnt 0x301
	v_mul_f64_e32 v[36:37], v[2:3], v[20:21]
	v_mul_f64_e32 v[20:21], v[4:5], v[20:21]
	s_wait_loadcnt_dscnt 0x200
	v_mul_f64_e32 v[16:17], v[6:7], v[24:25]
	v_mul_f64_e32 v[24:25], v[8:9], v[24:25]
	v_add_f64_e32 v[10:11], v[12:13], v[10:11]
	v_add_f64_e32 v[12:13], v[34:35], v[44:45]
	v_fma_f64 v[34:35], v[4:5], v[18:19], v[36:37]
	v_fma_f64 v[18:19], v[2:3], v[18:19], -v[20:21]
	v_fma_f64 v[8:9], v[8:9], v[22:23], v[16:17]
	v_fma_f64 v[6:7], v[6:7], v[22:23], -v[24:25]
	v_add_f64_e32 v[14:15], v[10:11], v[14:15]
	v_add_f64_e32 v[20:21], v[12:13], v[40:41]
	ds_load_b128 v[2:5], v1 offset:1632
	ds_load_b128 v[10:13], v1 offset:1648
	s_wait_loadcnt_dscnt 0x101
	v_mul_f64_e32 v[36:37], v[2:3], v[28:29]
	v_mul_f64_e32 v[28:29], v[4:5], v[28:29]
	v_add_f64_e32 v[14:15], v[14:15], v[18:19]
	v_add_f64_e32 v[16:17], v[20:21], v[34:35]
	s_wait_loadcnt_dscnt 0x0
	v_mul_f64_e32 v[18:19], v[10:11], v[32:33]
	v_mul_f64_e32 v[20:21], v[12:13], v[32:33]
	v_fma_f64 v[4:5], v[4:5], v[26:27], v[36:37]
	v_fma_f64 v[1:2], v[2:3], v[26:27], -v[28:29]
	v_add_f64_e32 v[6:7], v[14:15], v[6:7]
	v_add_f64_e32 v[8:9], v[16:17], v[8:9]
	v_fma_f64 v[12:13], v[12:13], v[30:31], v[18:19]
	v_fma_f64 v[10:11], v[10:11], v[30:31], -v[20:21]
	s_delay_alu instid0(VALU_DEP_4) | instskip(NEXT) | instid1(VALU_DEP_4)
	v_add_f64_e32 v[1:2], v[6:7], v[1:2]
	v_add_f64_e32 v[3:4], v[8:9], v[4:5]
	s_delay_alu instid0(VALU_DEP_2) | instskip(NEXT) | instid1(VALU_DEP_2)
	v_add_f64_e32 v[1:2], v[1:2], v[10:11]
	v_add_f64_e32 v[3:4], v[3:4], v[12:13]
	s_delay_alu instid0(VALU_DEP_2) | instskip(NEXT) | instid1(VALU_DEP_2)
	v_add_f64_e64 v[1:2], v[151:152], -v[1:2]
	v_add_f64_e64 v[3:4], v[153:154], -v[3:4]
	scratch_store_b128 off, v[1:4], off offset:64
	v_cmpx_lt_u32_e32 2, v0
	s_cbranch_execz .LBB115_321
; %bb.320:
	scratch_load_b128 v[1:4], off, s13
	v_mov_b32_e32 v5, 0
	s_delay_alu instid0(VALU_DEP_1)
	v_dual_mov_b32 v6, v5 :: v_dual_mov_b32 v7, v5
	v_mov_b32_e32 v8, v5
	scratch_store_b128 off, v[5:8], off offset:48
	s_wait_loadcnt 0x0
	ds_store_b128 v150, v[1:4]
.LBB115_321:
	s_wait_alu 0xfffe
	s_or_b32 exec_lo, exec_lo, s0
	s_wait_storecnt_dscnt 0x0
	s_barrier_signal -1
	s_barrier_wait -1
	global_inv scope:SCOPE_SE
	s_clause 0x7
	scratch_load_b128 v[2:5], off, off offset:64
	scratch_load_b128 v[6:9], off, off offset:80
	;; [unrolled: 1-line block ×8, first 2 shown]
	v_mov_b32_e32 v1, 0
	s_mov_b32 s0, exec_lo
	ds_load_b128 v[38:41], v1 offset:880
	s_clause 0x1
	scratch_load_b128 v[34:37], off, off offset:192
	scratch_load_b128 v[42:45], off, off offset:48
	ds_load_b128 v[151:154], v1 offset:896
	scratch_load_b128 v[155:158], off, off offset:208
	s_wait_loadcnt_dscnt 0xa01
	v_mul_f64_e32 v[159:160], v[40:41], v[4:5]
	v_mul_f64_e32 v[4:5], v[38:39], v[4:5]
	s_delay_alu instid0(VALU_DEP_2) | instskip(NEXT) | instid1(VALU_DEP_2)
	v_fma_f64 v[165:166], v[38:39], v[2:3], -v[159:160]
	v_fma_f64 v[167:168], v[40:41], v[2:3], v[4:5]
	ds_load_b128 v[2:5], v1 offset:912
	s_wait_loadcnt_dscnt 0x901
	v_mul_f64_e32 v[163:164], v[151:152], v[8:9]
	v_mul_f64_e32 v[8:9], v[153:154], v[8:9]
	scratch_load_b128 v[38:41], off, off offset:224
	ds_load_b128 v[159:162], v1 offset:928
	s_wait_loadcnt_dscnt 0x901
	v_mul_f64_e32 v[169:170], v[2:3], v[12:13]
	v_mul_f64_e32 v[12:13], v[4:5], v[12:13]
	v_fma_f64 v[153:154], v[153:154], v[6:7], v[163:164]
	v_fma_f64 v[151:152], v[151:152], v[6:7], -v[8:9]
	v_add_f64_e32 v[163:164], 0, v[165:166]
	v_add_f64_e32 v[165:166], 0, v[167:168]
	scratch_load_b128 v[6:9], off, off offset:240
	v_fma_f64 v[169:170], v[4:5], v[10:11], v[169:170]
	v_fma_f64 v[171:172], v[2:3], v[10:11], -v[12:13]
	ds_load_b128 v[2:5], v1 offset:944
	s_wait_loadcnt_dscnt 0x901
	v_mul_f64_e32 v[167:168], v[159:160], v[16:17]
	v_mul_f64_e32 v[16:17], v[161:162], v[16:17]
	scratch_load_b128 v[10:13], off, off offset:256
	v_add_f64_e32 v[163:164], v[163:164], v[151:152]
	v_add_f64_e32 v[165:166], v[165:166], v[153:154]
	s_wait_loadcnt_dscnt 0x900
	v_mul_f64_e32 v[173:174], v[2:3], v[20:21]
	v_mul_f64_e32 v[20:21], v[4:5], v[20:21]
	ds_load_b128 v[151:154], v1 offset:960
	v_fma_f64 v[161:162], v[161:162], v[14:15], v[167:168]
	v_fma_f64 v[159:160], v[159:160], v[14:15], -v[16:17]
	scratch_load_b128 v[14:17], off, off offset:272
	v_add_f64_e32 v[163:164], v[163:164], v[171:172]
	v_add_f64_e32 v[165:166], v[165:166], v[169:170]
	v_fma_f64 v[169:170], v[4:5], v[18:19], v[173:174]
	v_fma_f64 v[171:172], v[2:3], v[18:19], -v[20:21]
	ds_load_b128 v[2:5], v1 offset:976
	s_wait_loadcnt_dscnt 0x901
	v_mul_f64_e32 v[167:168], v[151:152], v[24:25]
	v_mul_f64_e32 v[24:25], v[153:154], v[24:25]
	scratch_load_b128 v[18:21], off, off offset:288
	s_wait_loadcnt_dscnt 0x900
	v_mul_f64_e32 v[173:174], v[2:3], v[28:29]
	v_mul_f64_e32 v[28:29], v[4:5], v[28:29]
	v_add_f64_e32 v[163:164], v[163:164], v[159:160]
	v_add_f64_e32 v[165:166], v[165:166], v[161:162]
	ds_load_b128 v[159:162], v1 offset:992
	v_fma_f64 v[153:154], v[153:154], v[22:23], v[167:168]
	v_fma_f64 v[151:152], v[151:152], v[22:23], -v[24:25]
	scratch_load_b128 v[22:25], off, off offset:304
	v_add_f64_e32 v[163:164], v[163:164], v[171:172]
	v_add_f64_e32 v[165:166], v[165:166], v[169:170]
	v_fma_f64 v[169:170], v[4:5], v[26:27], v[173:174]
	v_fma_f64 v[171:172], v[2:3], v[26:27], -v[28:29]
	ds_load_b128 v[2:5], v1 offset:1008
	s_wait_loadcnt_dscnt 0x901
	v_mul_f64_e32 v[167:168], v[159:160], v[32:33]
	v_mul_f64_e32 v[32:33], v[161:162], v[32:33]
	scratch_load_b128 v[26:29], off, off offset:320
	s_wait_loadcnt_dscnt 0x900
	v_mul_f64_e32 v[173:174], v[2:3], v[36:37]
	v_mul_f64_e32 v[36:37], v[4:5], v[36:37]
	v_add_f64_e32 v[163:164], v[163:164], v[151:152]
	v_add_f64_e32 v[165:166], v[165:166], v[153:154]
	ds_load_b128 v[151:154], v1 offset:1024
	v_fma_f64 v[161:162], v[161:162], v[30:31], v[167:168]
	v_fma_f64 v[159:160], v[159:160], v[30:31], -v[32:33]
	scratch_load_b128 v[30:33], off, off offset:336
	v_add_f64_e32 v[163:164], v[163:164], v[171:172]
	v_add_f64_e32 v[165:166], v[165:166], v[169:170]
	v_fma_f64 v[171:172], v[4:5], v[34:35], v[173:174]
	v_fma_f64 v[173:174], v[2:3], v[34:35], -v[36:37]
	ds_load_b128 v[2:5], v1 offset:1040
	s_wait_loadcnt_dscnt 0x801
	v_mul_f64_e32 v[167:168], v[151:152], v[157:158]
	v_mul_f64_e32 v[169:170], v[153:154], v[157:158]
	scratch_load_b128 v[34:37], off, off offset:352
	v_add_f64_e32 v[163:164], v[163:164], v[159:160]
	v_add_f64_e32 v[161:162], v[165:166], v[161:162]
	ds_load_b128 v[157:160], v1 offset:1056
	v_fma_f64 v[167:168], v[153:154], v[155:156], v[167:168]
	v_fma_f64 v[155:156], v[151:152], v[155:156], -v[169:170]
	scratch_load_b128 v[151:154], off, off offset:368
	s_wait_loadcnt_dscnt 0x901
	v_mul_f64_e32 v[165:166], v[2:3], v[40:41]
	v_mul_f64_e32 v[40:41], v[4:5], v[40:41]
	v_add_f64_e32 v[163:164], v[163:164], v[173:174]
	v_add_f64_e32 v[161:162], v[161:162], v[171:172]
	s_delay_alu instid0(VALU_DEP_4) | instskip(NEXT) | instid1(VALU_DEP_4)
	v_fma_f64 v[165:166], v[4:5], v[38:39], v[165:166]
	v_fma_f64 v[171:172], v[2:3], v[38:39], -v[40:41]
	ds_load_b128 v[2:5], v1 offset:1072
	s_wait_loadcnt_dscnt 0x801
	v_mul_f64_e32 v[169:170], v[157:158], v[8:9]
	v_mul_f64_e32 v[8:9], v[159:160], v[8:9]
	scratch_load_b128 v[38:41], off, off offset:384
	s_wait_loadcnt_dscnt 0x800
	v_mul_f64_e32 v[173:174], v[2:3], v[12:13]
	v_add_f64_e32 v[155:156], v[163:164], v[155:156]
	v_add_f64_e32 v[167:168], v[161:162], v[167:168]
	v_mul_f64_e32 v[12:13], v[4:5], v[12:13]
	ds_load_b128 v[161:164], v1 offset:1088
	v_fma_f64 v[159:160], v[159:160], v[6:7], v[169:170]
	v_fma_f64 v[157:158], v[157:158], v[6:7], -v[8:9]
	scratch_load_b128 v[6:9], off, off offset:400
	v_fma_f64 v[169:170], v[4:5], v[10:11], v[173:174]
	v_add_f64_e32 v[155:156], v[155:156], v[171:172]
	v_add_f64_e32 v[165:166], v[167:168], v[165:166]
	v_fma_f64 v[171:172], v[2:3], v[10:11], -v[12:13]
	ds_load_b128 v[2:5], v1 offset:1104
	s_wait_loadcnt_dscnt 0x801
	v_mul_f64_e32 v[167:168], v[161:162], v[16:17]
	v_mul_f64_e32 v[16:17], v[163:164], v[16:17]
	scratch_load_b128 v[10:13], off, off offset:416
	v_add_f64_e32 v[173:174], v[155:156], v[157:158]
	v_add_f64_e32 v[159:160], v[165:166], v[159:160]
	s_wait_loadcnt_dscnt 0x800
	v_mul_f64_e32 v[165:166], v[2:3], v[20:21]
	v_mul_f64_e32 v[20:21], v[4:5], v[20:21]
	v_fma_f64 v[163:164], v[163:164], v[14:15], v[167:168]
	v_fma_f64 v[161:162], v[161:162], v[14:15], -v[16:17]
	ds_load_b128 v[155:158], v1 offset:1120
	scratch_load_b128 v[14:17], off, off offset:432
	v_add_f64_e32 v[167:168], v[173:174], v[171:172]
	v_add_f64_e32 v[159:160], v[159:160], v[169:170]
	v_fma_f64 v[165:166], v[4:5], v[18:19], v[165:166]
	v_fma_f64 v[171:172], v[2:3], v[18:19], -v[20:21]
	ds_load_b128 v[2:5], v1 offset:1136
	s_wait_loadcnt_dscnt 0x801
	v_mul_f64_e32 v[169:170], v[155:156], v[24:25]
	v_mul_f64_e32 v[24:25], v[157:158], v[24:25]
	scratch_load_b128 v[18:21], off, off offset:448
	s_wait_loadcnt_dscnt 0x800
	v_mul_f64_e32 v[173:174], v[2:3], v[28:29]
	v_mul_f64_e32 v[28:29], v[4:5], v[28:29]
	v_add_f64_e32 v[167:168], v[167:168], v[161:162]
	v_add_f64_e32 v[163:164], v[159:160], v[163:164]
	ds_load_b128 v[159:162], v1 offset:1152
	v_fma_f64 v[157:158], v[157:158], v[22:23], v[169:170]
	v_fma_f64 v[155:156], v[155:156], v[22:23], -v[24:25]
	scratch_load_b128 v[22:25], off, off offset:464
	v_fma_f64 v[169:170], v[4:5], v[26:27], v[173:174]
	v_add_f64_e32 v[167:168], v[167:168], v[171:172]
	v_add_f64_e32 v[163:164], v[163:164], v[165:166]
	v_fma_f64 v[171:172], v[2:3], v[26:27], -v[28:29]
	ds_load_b128 v[2:5], v1 offset:1168
	s_wait_loadcnt_dscnt 0x801
	v_mul_f64_e32 v[165:166], v[159:160], v[32:33]
	v_mul_f64_e32 v[32:33], v[161:162], v[32:33]
	scratch_load_b128 v[26:29], off, off offset:480
	s_wait_loadcnt_dscnt 0x800
	v_mul_f64_e32 v[173:174], v[2:3], v[36:37]
	v_mul_f64_e32 v[36:37], v[4:5], v[36:37]
	v_add_f64_e32 v[167:168], v[167:168], v[155:156]
	v_add_f64_e32 v[163:164], v[163:164], v[157:158]
	ds_load_b128 v[155:158], v1 offset:1184
	v_fma_f64 v[161:162], v[161:162], v[30:31], v[165:166]
	v_fma_f64 v[159:160], v[159:160], v[30:31], -v[32:33]
	scratch_load_b128 v[30:33], off, off offset:496
	v_add_f64_e32 v[165:166], v[167:168], v[171:172]
	v_add_f64_e32 v[163:164], v[163:164], v[169:170]
	v_fma_f64 v[169:170], v[4:5], v[34:35], v[173:174]
	v_fma_f64 v[171:172], v[2:3], v[34:35], -v[36:37]
	ds_load_b128 v[2:5], v1 offset:1200
	s_wait_loadcnt_dscnt 0x801
	v_mul_f64_e32 v[167:168], v[155:156], v[153:154]
	v_mul_f64_e32 v[153:154], v[157:158], v[153:154]
	scratch_load_b128 v[34:37], off, off offset:512
	s_wait_loadcnt_dscnt 0x800
	v_mul_f64_e32 v[173:174], v[2:3], v[40:41]
	v_mul_f64_e32 v[40:41], v[4:5], v[40:41]
	v_add_f64_e32 v[165:166], v[165:166], v[159:160]
	v_add_f64_e32 v[163:164], v[163:164], v[161:162]
	ds_load_b128 v[159:162], v1 offset:1216
	v_fma_f64 v[157:158], v[157:158], v[151:152], v[167:168]
	v_fma_f64 v[155:156], v[155:156], v[151:152], -v[153:154]
	scratch_load_b128 v[151:154], off, off offset:528
	v_add_f64_e32 v[165:166], v[165:166], v[171:172]
	v_add_f64_e32 v[163:164], v[163:164], v[169:170]
	v_fma_f64 v[169:170], v[4:5], v[38:39], v[173:174]
	;; [unrolled: 18-line block ×6, first 2 shown]
	v_fma_f64 v[173:174], v[2:3], v[34:35], -v[36:37]
	ds_load_b128 v[2:5], v1 offset:1360
	s_wait_loadcnt_dscnt 0x801
	v_mul_f64_e32 v[167:168], v[159:160], v[153:154]
	v_mul_f64_e32 v[169:170], v[161:162], v[153:154]
	scratch_load_b128 v[34:37], off, off offset:672
	v_add_f64_e32 v[165:166], v[165:166], v[155:156]
	v_add_f64_e32 v[157:158], v[163:164], v[157:158]
	s_wait_loadcnt_dscnt 0x800
	v_mul_f64_e32 v[163:164], v[2:3], v[40:41]
	v_mul_f64_e32 v[40:41], v[4:5], v[40:41]
	ds_load_b128 v[153:156], v1 offset:1376
	v_fma_f64 v[161:162], v[161:162], v[151:152], v[167:168]
	v_fma_f64 v[151:152], v[159:160], v[151:152], -v[169:170]
	v_add_f64_e32 v[165:166], v[165:166], v[173:174]
	v_add_f64_e32 v[167:168], v[157:158], v[171:172]
	scratch_load_b128 v[157:160], off, off offset:688
	v_fma_f64 v[171:172], v[4:5], v[38:39], v[163:164]
	v_fma_f64 v[173:174], v[2:3], v[38:39], -v[40:41]
	ds_load_b128 v[2:5], v1 offset:1392
	s_wait_loadcnt_dscnt 0x801
	v_mul_f64_e32 v[169:170], v[153:154], v[8:9]
	v_mul_f64_e32 v[8:9], v[155:156], v[8:9]
	scratch_load_b128 v[38:41], off, off offset:704
	v_add_f64_e32 v[151:152], v[165:166], v[151:152]
	v_add_f64_e32 v[165:166], v[167:168], v[161:162]
	s_wait_loadcnt_dscnt 0x800
	v_mul_f64_e32 v[167:168], v[2:3], v[12:13]
	v_mul_f64_e32 v[12:13], v[4:5], v[12:13]
	ds_load_b128 v[161:164], v1 offset:1408
	v_fma_f64 v[155:156], v[155:156], v[6:7], v[169:170]
	v_fma_f64 v[153:154], v[153:154], v[6:7], -v[8:9]
	scratch_load_b128 v[6:9], off, off offset:720
	v_add_f64_e32 v[151:152], v[151:152], v[173:174]
	v_add_f64_e32 v[165:166], v[165:166], v[171:172]
	v_fma_f64 v[167:168], v[4:5], v[10:11], v[167:168]
	v_fma_f64 v[171:172], v[2:3], v[10:11], -v[12:13]
	ds_load_b128 v[2:5], v1 offset:1424
	s_wait_loadcnt_dscnt 0x801
	v_mul_f64_e32 v[169:170], v[161:162], v[16:17]
	v_mul_f64_e32 v[16:17], v[163:164], v[16:17]
	scratch_load_b128 v[10:13], off, off offset:736
	v_add_f64_e32 v[173:174], v[151:152], v[153:154]
	v_add_f64_e32 v[155:156], v[165:166], v[155:156]
	s_wait_loadcnt_dscnt 0x800
	v_mul_f64_e32 v[165:166], v[2:3], v[20:21]
	v_mul_f64_e32 v[20:21], v[4:5], v[20:21]
	ds_load_b128 v[151:154], v1 offset:1440
	v_fma_f64 v[163:164], v[163:164], v[14:15], v[169:170]
	v_fma_f64 v[161:162], v[161:162], v[14:15], -v[16:17]
	scratch_load_b128 v[14:17], off, off offset:752
	v_add_f64_e32 v[169:170], v[173:174], v[171:172]
	v_add_f64_e32 v[155:156], v[155:156], v[167:168]
	v_fma_f64 v[165:166], v[4:5], v[18:19], v[165:166]
	v_fma_f64 v[171:172], v[2:3], v[18:19], -v[20:21]
	ds_load_b128 v[2:5], v1 offset:1456
	s_wait_loadcnt_dscnt 0x801
	v_mul_f64_e32 v[167:168], v[151:152], v[24:25]
	v_mul_f64_e32 v[24:25], v[153:154], v[24:25]
	scratch_load_b128 v[18:21], off, off offset:768
	s_wait_loadcnt_dscnt 0x800
	v_mul_f64_e32 v[173:174], v[2:3], v[28:29]
	v_mul_f64_e32 v[28:29], v[4:5], v[28:29]
	v_add_f64_e32 v[169:170], v[169:170], v[161:162]
	v_add_f64_e32 v[155:156], v[155:156], v[163:164]
	ds_load_b128 v[161:164], v1 offset:1472
	v_fma_f64 v[153:154], v[153:154], v[22:23], v[167:168]
	v_fma_f64 v[151:152], v[151:152], v[22:23], -v[24:25]
	scratch_load_b128 v[22:25], off, off offset:784
	v_add_f64_e32 v[167:168], v[169:170], v[171:172]
	v_add_f64_e32 v[155:156], v[155:156], v[165:166]
	v_fma_f64 v[169:170], v[4:5], v[26:27], v[173:174]
	v_fma_f64 v[171:172], v[2:3], v[26:27], -v[28:29]
	ds_load_b128 v[2:5], v1 offset:1488
	s_wait_loadcnt_dscnt 0x801
	v_mul_f64_e32 v[165:166], v[161:162], v[32:33]
	v_mul_f64_e32 v[32:33], v[163:164], v[32:33]
	scratch_load_b128 v[26:29], off, off offset:800
	s_wait_loadcnt_dscnt 0x800
	v_mul_f64_e32 v[173:174], v[2:3], v[36:37]
	v_mul_f64_e32 v[36:37], v[4:5], v[36:37]
	v_add_f64_e32 v[167:168], v[167:168], v[151:152]
	v_add_f64_e32 v[155:156], v[155:156], v[153:154]
	ds_load_b128 v[151:154], v1 offset:1504
	v_fma_f64 v[163:164], v[163:164], v[30:31], v[165:166]
	v_fma_f64 v[161:162], v[161:162], v[30:31], -v[32:33]
	scratch_load_b128 v[30:33], off, off offset:816
	v_add_f64_e32 v[165:166], v[167:168], v[171:172]
	v_add_f64_e32 v[155:156], v[155:156], v[169:170]
	v_fma_f64 v[171:172], v[4:5], v[34:35], v[173:174]
	v_fma_f64 v[173:174], v[2:3], v[34:35], -v[36:37]
	ds_load_b128 v[2:5], v1 offset:1520
	scratch_load_b128 v[34:37], off, off offset:832
	s_wait_loadcnt_dscnt 0x901
	v_mul_f64_e32 v[167:168], v[151:152], v[159:160]
	v_mul_f64_e32 v[169:170], v[153:154], v[159:160]
	v_add_f64_e32 v[165:166], v[165:166], v[161:162]
	v_add_f64_e32 v[155:156], v[155:156], v[163:164]
	s_wait_loadcnt_dscnt 0x800
	v_mul_f64_e32 v[163:164], v[2:3], v[40:41]
	v_mul_f64_e32 v[40:41], v[4:5], v[40:41]
	ds_load_b128 v[159:162], v1 offset:1536
	v_fma_f64 v[153:154], v[153:154], v[157:158], v[167:168]
	v_fma_f64 v[151:152], v[151:152], v[157:158], -v[169:170]
	v_add_f64_e32 v[157:158], v[165:166], v[173:174]
	v_add_f64_e32 v[155:156], v[155:156], v[171:172]
	s_wait_loadcnt_dscnt 0x700
	v_mul_f64_e32 v[165:166], v[159:160], v[8:9]
	v_mul_f64_e32 v[8:9], v[161:162], v[8:9]
	v_fma_f64 v[163:164], v[4:5], v[38:39], v[163:164]
	v_fma_f64 v[167:168], v[2:3], v[38:39], -v[40:41]
	ds_load_b128 v[2:5], v1 offset:1552
	ds_load_b128 v[38:41], v1 offset:1568
	v_add_f64_e32 v[151:152], v[157:158], v[151:152]
	v_add_f64_e32 v[153:154], v[155:156], v[153:154]
	s_wait_loadcnt_dscnt 0x601
	v_mul_f64_e32 v[155:156], v[2:3], v[12:13]
	v_mul_f64_e32 v[12:13], v[4:5], v[12:13]
	v_fma_f64 v[157:158], v[161:162], v[6:7], v[165:166]
	v_fma_f64 v[6:7], v[159:160], v[6:7], -v[8:9]
	v_add_f64_e32 v[8:9], v[151:152], v[167:168]
	v_add_f64_e32 v[151:152], v[153:154], v[163:164]
	s_wait_loadcnt_dscnt 0x500
	v_mul_f64_e32 v[153:154], v[38:39], v[16:17]
	v_mul_f64_e32 v[16:17], v[40:41], v[16:17]
	v_fma_f64 v[155:156], v[4:5], v[10:11], v[155:156]
	v_fma_f64 v[10:11], v[2:3], v[10:11], -v[12:13]
	v_add_f64_e32 v[12:13], v[8:9], v[6:7]
	v_add_f64_e32 v[151:152], v[151:152], v[157:158]
	ds_load_b128 v[2:5], v1 offset:1584
	ds_load_b128 v[6:9], v1 offset:1600
	v_fma_f64 v[40:41], v[40:41], v[14:15], v[153:154]
	v_fma_f64 v[14:15], v[38:39], v[14:15], -v[16:17]
	s_wait_loadcnt_dscnt 0x401
	v_mul_f64_e32 v[157:158], v[2:3], v[20:21]
	v_mul_f64_e32 v[20:21], v[4:5], v[20:21]
	s_wait_loadcnt_dscnt 0x300
	v_mul_f64_e32 v[16:17], v[6:7], v[24:25]
	v_mul_f64_e32 v[24:25], v[8:9], v[24:25]
	v_add_f64_e32 v[10:11], v[12:13], v[10:11]
	v_add_f64_e32 v[12:13], v[151:152], v[155:156]
	v_fma_f64 v[38:39], v[4:5], v[18:19], v[157:158]
	v_fma_f64 v[18:19], v[2:3], v[18:19], -v[20:21]
	v_fma_f64 v[8:9], v[8:9], v[22:23], v[16:17]
	v_fma_f64 v[6:7], v[6:7], v[22:23], -v[24:25]
	v_add_f64_e32 v[14:15], v[10:11], v[14:15]
	v_add_f64_e32 v[20:21], v[12:13], v[40:41]
	ds_load_b128 v[2:5], v1 offset:1616
	ds_load_b128 v[10:13], v1 offset:1632
	s_wait_loadcnt_dscnt 0x201
	v_mul_f64_e32 v[40:41], v[2:3], v[28:29]
	v_mul_f64_e32 v[28:29], v[4:5], v[28:29]
	v_add_f64_e32 v[14:15], v[14:15], v[18:19]
	v_add_f64_e32 v[16:17], v[20:21], v[38:39]
	s_wait_loadcnt_dscnt 0x100
	v_mul_f64_e32 v[18:19], v[10:11], v[32:33]
	v_mul_f64_e32 v[20:21], v[12:13], v[32:33]
	v_fma_f64 v[22:23], v[4:5], v[26:27], v[40:41]
	v_fma_f64 v[24:25], v[2:3], v[26:27], -v[28:29]
	ds_load_b128 v[2:5], v1 offset:1648
	v_add_f64_e32 v[6:7], v[14:15], v[6:7]
	v_add_f64_e32 v[8:9], v[16:17], v[8:9]
	v_fma_f64 v[12:13], v[12:13], v[30:31], v[18:19]
	v_fma_f64 v[10:11], v[10:11], v[30:31], -v[20:21]
	s_wait_loadcnt_dscnt 0x0
	v_mul_f64_e32 v[14:15], v[2:3], v[36:37]
	v_mul_f64_e32 v[16:17], v[4:5], v[36:37]
	v_add_f64_e32 v[6:7], v[6:7], v[24:25]
	v_add_f64_e32 v[8:9], v[8:9], v[22:23]
	s_delay_alu instid0(VALU_DEP_4) | instskip(NEXT) | instid1(VALU_DEP_4)
	v_fma_f64 v[4:5], v[4:5], v[34:35], v[14:15]
	v_fma_f64 v[2:3], v[2:3], v[34:35], -v[16:17]
	s_delay_alu instid0(VALU_DEP_4) | instskip(NEXT) | instid1(VALU_DEP_4)
	v_add_f64_e32 v[6:7], v[6:7], v[10:11]
	v_add_f64_e32 v[8:9], v[8:9], v[12:13]
	s_delay_alu instid0(VALU_DEP_2) | instskip(NEXT) | instid1(VALU_DEP_2)
	v_add_f64_e32 v[2:3], v[6:7], v[2:3]
	v_add_f64_e32 v[4:5], v[8:9], v[4:5]
	s_delay_alu instid0(VALU_DEP_2) | instskip(NEXT) | instid1(VALU_DEP_2)
	v_add_f64_e64 v[2:3], v[42:43], -v[2:3]
	v_add_f64_e64 v[4:5], v[44:45], -v[4:5]
	scratch_store_b128 off, v[2:5], off offset:48
	v_cmpx_lt_u32_e32 1, v0
	s_cbranch_execz .LBB115_323
; %bb.322:
	scratch_load_b128 v[5:8], off, s15
	v_dual_mov_b32 v2, v1 :: v_dual_mov_b32 v3, v1
	v_mov_b32_e32 v4, v1
	scratch_store_b128 off, v[1:4], off offset:32
	s_wait_loadcnt 0x0
	ds_store_b128 v150, v[5:8]
.LBB115_323:
	s_wait_alu 0xfffe
	s_or_b32 exec_lo, exec_lo, s0
	s_wait_storecnt_dscnt 0x0
	s_barrier_signal -1
	s_barrier_wait -1
	global_inv scope:SCOPE_SE
	s_clause 0x8
	scratch_load_b128 v[2:5], off, off offset:48
	scratch_load_b128 v[6:9], off, off offset:64
	;; [unrolled: 1-line block ×9, first 2 shown]
	ds_load_b128 v[42:45], v1 offset:864
	ds_load_b128 v[38:41], v1 offset:880
	s_clause 0x1
	scratch_load_b128 v[151:154], off, off offset:32
	scratch_load_b128 v[155:158], off, off offset:192
	s_mov_b32 s0, exec_lo
	s_wait_loadcnt_dscnt 0xa01
	v_mul_f64_e32 v[159:160], v[44:45], v[4:5]
	v_mul_f64_e32 v[4:5], v[42:43], v[4:5]
	s_wait_loadcnt_dscnt 0x900
	v_mul_f64_e32 v[163:164], v[38:39], v[8:9]
	v_mul_f64_e32 v[8:9], v[40:41], v[8:9]
	s_delay_alu instid0(VALU_DEP_4) | instskip(NEXT) | instid1(VALU_DEP_4)
	v_fma_f64 v[165:166], v[42:43], v[2:3], -v[159:160]
	v_fma_f64 v[167:168], v[44:45], v[2:3], v[4:5]
	ds_load_b128 v[2:5], v1 offset:896
	ds_load_b128 v[159:162], v1 offset:912
	scratch_load_b128 v[42:45], off, off offset:208
	v_fma_f64 v[40:41], v[40:41], v[6:7], v[163:164]
	v_fma_f64 v[38:39], v[38:39], v[6:7], -v[8:9]
	scratch_load_b128 v[6:9], off, off offset:224
	s_wait_loadcnt_dscnt 0xa01
	v_mul_f64_e32 v[169:170], v[2:3], v[12:13]
	v_mul_f64_e32 v[12:13], v[4:5], v[12:13]
	v_add_f64_e32 v[163:164], 0, v[165:166]
	v_add_f64_e32 v[165:166], 0, v[167:168]
	s_wait_loadcnt_dscnt 0x900
	v_mul_f64_e32 v[167:168], v[159:160], v[16:17]
	v_mul_f64_e32 v[16:17], v[161:162], v[16:17]
	v_fma_f64 v[169:170], v[4:5], v[10:11], v[169:170]
	v_fma_f64 v[171:172], v[2:3], v[10:11], -v[12:13]
	ds_load_b128 v[2:5], v1 offset:928
	scratch_load_b128 v[10:13], off, off offset:240
	v_add_f64_e32 v[163:164], v[163:164], v[38:39]
	v_add_f64_e32 v[165:166], v[165:166], v[40:41]
	ds_load_b128 v[38:41], v1 offset:944
	v_fma_f64 v[161:162], v[161:162], v[14:15], v[167:168]
	v_fma_f64 v[159:160], v[159:160], v[14:15], -v[16:17]
	scratch_load_b128 v[14:17], off, off offset:256
	s_wait_loadcnt_dscnt 0xa01
	v_mul_f64_e32 v[173:174], v[2:3], v[20:21]
	v_mul_f64_e32 v[20:21], v[4:5], v[20:21]
	s_wait_loadcnt_dscnt 0x900
	v_mul_f64_e32 v[167:168], v[38:39], v[24:25]
	v_mul_f64_e32 v[24:25], v[40:41], v[24:25]
	v_add_f64_e32 v[163:164], v[163:164], v[171:172]
	v_add_f64_e32 v[165:166], v[165:166], v[169:170]
	v_fma_f64 v[169:170], v[4:5], v[18:19], v[173:174]
	v_fma_f64 v[171:172], v[2:3], v[18:19], -v[20:21]
	ds_load_b128 v[2:5], v1 offset:960
	scratch_load_b128 v[18:21], off, off offset:272
	v_fma_f64 v[40:41], v[40:41], v[22:23], v[167:168]
	v_fma_f64 v[38:39], v[38:39], v[22:23], -v[24:25]
	scratch_load_b128 v[22:25], off, off offset:288
	v_add_f64_e32 v[163:164], v[163:164], v[159:160]
	v_add_f64_e32 v[165:166], v[165:166], v[161:162]
	ds_load_b128 v[159:162], v1 offset:976
	s_wait_loadcnt_dscnt 0xa01
	v_mul_f64_e32 v[173:174], v[2:3], v[28:29]
	v_mul_f64_e32 v[28:29], v[4:5], v[28:29]
	s_wait_loadcnt_dscnt 0x900
	v_mul_f64_e32 v[167:168], v[159:160], v[32:33]
	v_mul_f64_e32 v[32:33], v[161:162], v[32:33]
	v_add_f64_e32 v[163:164], v[163:164], v[171:172]
	v_add_f64_e32 v[165:166], v[165:166], v[169:170]
	v_fma_f64 v[169:170], v[4:5], v[26:27], v[173:174]
	v_fma_f64 v[171:172], v[2:3], v[26:27], -v[28:29]
	ds_load_b128 v[2:5], v1 offset:992
	scratch_load_b128 v[26:29], off, off offset:304
	v_fma_f64 v[161:162], v[161:162], v[30:31], v[167:168]
	v_fma_f64 v[159:160], v[159:160], v[30:31], -v[32:33]
	scratch_load_b128 v[30:33], off, off offset:320
	v_add_f64_e32 v[163:164], v[163:164], v[38:39]
	v_add_f64_e32 v[165:166], v[165:166], v[40:41]
	ds_load_b128 v[38:41], v1 offset:1008
	s_wait_loadcnt_dscnt 0xa01
	v_mul_f64_e32 v[173:174], v[2:3], v[36:37]
	v_mul_f64_e32 v[36:37], v[4:5], v[36:37]
	s_wait_loadcnt_dscnt 0x800
	v_mul_f64_e32 v[167:168], v[38:39], v[157:158]
	v_add_f64_e32 v[163:164], v[163:164], v[171:172]
	v_add_f64_e32 v[165:166], v[165:166], v[169:170]
	v_mul_f64_e32 v[169:170], v[40:41], v[157:158]
	v_fma_f64 v[171:172], v[4:5], v[34:35], v[173:174]
	v_fma_f64 v[173:174], v[2:3], v[34:35], -v[36:37]
	ds_load_b128 v[2:5], v1 offset:1024
	scratch_load_b128 v[34:37], off, off offset:336
	v_fma_f64 v[167:168], v[40:41], v[155:156], v[167:168]
	v_add_f64_e32 v[163:164], v[163:164], v[159:160]
	v_add_f64_e32 v[161:162], v[165:166], v[161:162]
	ds_load_b128 v[157:160], v1 offset:1040
	v_fma_f64 v[155:156], v[38:39], v[155:156], -v[169:170]
	scratch_load_b128 v[38:41], off, off offset:352
	s_wait_loadcnt_dscnt 0x901
	v_mul_f64_e32 v[165:166], v[2:3], v[44:45]
	v_mul_f64_e32 v[44:45], v[4:5], v[44:45]
	s_wait_loadcnt_dscnt 0x800
	v_mul_f64_e32 v[169:170], v[157:158], v[8:9]
	v_mul_f64_e32 v[8:9], v[159:160], v[8:9]
	v_add_f64_e32 v[163:164], v[163:164], v[173:174]
	v_add_f64_e32 v[161:162], v[161:162], v[171:172]
	v_fma_f64 v[165:166], v[4:5], v[42:43], v[165:166]
	v_fma_f64 v[171:172], v[2:3], v[42:43], -v[44:45]
	ds_load_b128 v[2:5], v1 offset:1056
	scratch_load_b128 v[42:45], off, off offset:368
	v_fma_f64 v[159:160], v[159:160], v[6:7], v[169:170]
	v_fma_f64 v[157:158], v[157:158], v[6:7], -v[8:9]
	scratch_load_b128 v[6:9], off, off offset:384
	v_add_f64_e32 v[155:156], v[163:164], v[155:156]
	v_add_f64_e32 v[167:168], v[161:162], v[167:168]
	ds_load_b128 v[161:164], v1 offset:1072
	s_wait_loadcnt_dscnt 0x901
	v_mul_f64_e32 v[173:174], v[2:3], v[12:13]
	v_mul_f64_e32 v[12:13], v[4:5], v[12:13]
	v_add_f64_e32 v[155:156], v[155:156], v[171:172]
	v_add_f64_e32 v[165:166], v[167:168], v[165:166]
	s_wait_loadcnt_dscnt 0x800
	v_mul_f64_e32 v[167:168], v[161:162], v[16:17]
	v_mul_f64_e32 v[16:17], v[163:164], v[16:17]
	v_fma_f64 v[169:170], v[4:5], v[10:11], v[173:174]
	v_fma_f64 v[171:172], v[2:3], v[10:11], -v[12:13]
	ds_load_b128 v[2:5], v1 offset:1088
	scratch_load_b128 v[10:13], off, off offset:400
	v_add_f64_e32 v[173:174], v[155:156], v[157:158]
	v_add_f64_e32 v[159:160], v[165:166], v[159:160]
	ds_load_b128 v[155:158], v1 offset:1104
	s_wait_loadcnt_dscnt 0x801
	v_mul_f64_e32 v[165:166], v[2:3], v[20:21]
	v_mul_f64_e32 v[20:21], v[4:5], v[20:21]
	v_fma_f64 v[163:164], v[163:164], v[14:15], v[167:168]
	v_fma_f64 v[161:162], v[161:162], v[14:15], -v[16:17]
	scratch_load_b128 v[14:17], off, off offset:416
	v_add_f64_e32 v[167:168], v[173:174], v[171:172]
	v_add_f64_e32 v[159:160], v[159:160], v[169:170]
	s_wait_loadcnt_dscnt 0x800
	v_mul_f64_e32 v[169:170], v[155:156], v[24:25]
	v_mul_f64_e32 v[24:25], v[157:158], v[24:25]
	v_fma_f64 v[165:166], v[4:5], v[18:19], v[165:166]
	v_fma_f64 v[171:172], v[2:3], v[18:19], -v[20:21]
	ds_load_b128 v[2:5], v1 offset:1120
	scratch_load_b128 v[18:21], off, off offset:432
	v_add_f64_e32 v[167:168], v[167:168], v[161:162]
	v_add_f64_e32 v[163:164], v[159:160], v[163:164]
	ds_load_b128 v[159:162], v1 offset:1136
	s_wait_loadcnt_dscnt 0x801
	v_mul_f64_e32 v[173:174], v[2:3], v[28:29]
	v_mul_f64_e32 v[28:29], v[4:5], v[28:29]
	v_fma_f64 v[157:158], v[157:158], v[22:23], v[169:170]
	v_fma_f64 v[155:156], v[155:156], v[22:23], -v[24:25]
	scratch_load_b128 v[22:25], off, off offset:448
	;; [unrolled: 18-line block ×4, first 2 shown]
	s_wait_loadcnt_dscnt 0x800
	v_mul_f64_e32 v[167:168], v[159:160], v[8:9]
	v_mul_f64_e32 v[8:9], v[161:162], v[8:9]
	v_add_f64_e32 v[165:166], v[165:166], v[171:172]
	v_add_f64_e32 v[163:164], v[163:164], v[169:170]
	v_fma_f64 v[169:170], v[4:5], v[42:43], v[173:174]
	v_fma_f64 v[171:172], v[2:3], v[42:43], -v[44:45]
	ds_load_b128 v[2:5], v1 offset:1216
	scratch_load_b128 v[42:45], off, off offset:528
	v_fma_f64 v[161:162], v[161:162], v[6:7], v[167:168]
	v_fma_f64 v[159:160], v[159:160], v[6:7], -v[8:9]
	scratch_load_b128 v[6:9], off, off offset:544
	v_add_f64_e32 v[165:166], v[165:166], v[155:156]
	v_add_f64_e32 v[163:164], v[163:164], v[157:158]
	ds_load_b128 v[155:158], v1 offset:1232
	s_wait_loadcnt_dscnt 0x901
	v_mul_f64_e32 v[173:174], v[2:3], v[12:13]
	v_mul_f64_e32 v[12:13], v[4:5], v[12:13]
	s_wait_loadcnt_dscnt 0x800
	v_mul_f64_e32 v[167:168], v[155:156], v[16:17]
	v_mul_f64_e32 v[16:17], v[157:158], v[16:17]
	v_add_f64_e32 v[165:166], v[165:166], v[171:172]
	v_add_f64_e32 v[163:164], v[163:164], v[169:170]
	v_fma_f64 v[169:170], v[4:5], v[10:11], v[173:174]
	v_fma_f64 v[171:172], v[2:3], v[10:11], -v[12:13]
	ds_load_b128 v[2:5], v1 offset:1248
	scratch_load_b128 v[10:13], off, off offset:560
	v_fma_f64 v[157:158], v[157:158], v[14:15], v[167:168]
	v_fma_f64 v[155:156], v[155:156], v[14:15], -v[16:17]
	scratch_load_b128 v[14:17], off, off offset:576
	v_add_f64_e32 v[165:166], v[165:166], v[159:160]
	v_add_f64_e32 v[163:164], v[163:164], v[161:162]
	ds_load_b128 v[159:162], v1 offset:1264
	s_wait_loadcnt_dscnt 0x901
	v_mul_f64_e32 v[173:174], v[2:3], v[20:21]
	v_mul_f64_e32 v[20:21], v[4:5], v[20:21]
	;; [unrolled: 18-line block ×10, first 2 shown]
	s_wait_loadcnt_dscnt 0x800
	v_mul_f64_e32 v[167:168], v[159:160], v[8:9]
	v_mul_f64_e32 v[8:9], v[161:162], v[8:9]
	v_add_f64_e32 v[165:166], v[165:166], v[171:172]
	v_add_f64_e32 v[163:164], v[163:164], v[169:170]
	v_fma_f64 v[169:170], v[4:5], v[42:43], v[173:174]
	v_fma_f64 v[171:172], v[2:3], v[42:43], -v[44:45]
	ds_load_b128 v[2:5], v1 offset:1536
	ds_load_b128 v[42:45], v1 offset:1552
	v_fma_f64 v[161:162], v[161:162], v[6:7], v[167:168]
	v_fma_f64 v[6:7], v[159:160], v[6:7], -v[8:9]
	v_add_f64_e32 v[155:156], v[165:166], v[155:156]
	v_add_f64_e32 v[157:158], v[163:164], v[157:158]
	s_wait_loadcnt_dscnt 0x701
	v_mul_f64_e32 v[163:164], v[2:3], v[12:13]
	v_mul_f64_e32 v[12:13], v[4:5], v[12:13]
	s_delay_alu instid0(VALU_DEP_4) | instskip(NEXT) | instid1(VALU_DEP_4)
	v_add_f64_e32 v[8:9], v[155:156], v[171:172]
	v_add_f64_e32 v[155:156], v[157:158], v[169:170]
	s_wait_loadcnt_dscnt 0x600
	v_mul_f64_e32 v[157:158], v[42:43], v[16:17]
	v_mul_f64_e32 v[16:17], v[44:45], v[16:17]
	v_fma_f64 v[159:160], v[4:5], v[10:11], v[163:164]
	v_fma_f64 v[10:11], v[2:3], v[10:11], -v[12:13]
	v_add_f64_e32 v[12:13], v[8:9], v[6:7]
	v_add_f64_e32 v[155:156], v[155:156], v[161:162]
	ds_load_b128 v[2:5], v1 offset:1568
	ds_load_b128 v[6:9], v1 offset:1584
	v_fma_f64 v[44:45], v[44:45], v[14:15], v[157:158]
	v_fma_f64 v[14:15], v[42:43], v[14:15], -v[16:17]
	s_wait_loadcnt_dscnt 0x501
	v_mul_f64_e32 v[161:162], v[2:3], v[20:21]
	v_mul_f64_e32 v[20:21], v[4:5], v[20:21]
	s_wait_loadcnt_dscnt 0x400
	v_mul_f64_e32 v[16:17], v[6:7], v[24:25]
	v_mul_f64_e32 v[24:25], v[8:9], v[24:25]
	v_add_f64_e32 v[10:11], v[12:13], v[10:11]
	v_add_f64_e32 v[12:13], v[155:156], v[159:160]
	v_fma_f64 v[42:43], v[4:5], v[18:19], v[161:162]
	v_fma_f64 v[18:19], v[2:3], v[18:19], -v[20:21]
	v_fma_f64 v[8:9], v[8:9], v[22:23], v[16:17]
	v_fma_f64 v[6:7], v[6:7], v[22:23], -v[24:25]
	v_add_f64_e32 v[14:15], v[10:11], v[14:15]
	v_add_f64_e32 v[20:21], v[12:13], v[44:45]
	ds_load_b128 v[2:5], v1 offset:1600
	ds_load_b128 v[10:13], v1 offset:1616
	s_wait_loadcnt_dscnt 0x301
	v_mul_f64_e32 v[44:45], v[2:3], v[28:29]
	v_mul_f64_e32 v[28:29], v[4:5], v[28:29]
	v_add_f64_e32 v[14:15], v[14:15], v[18:19]
	v_add_f64_e32 v[16:17], v[20:21], v[42:43]
	s_wait_loadcnt_dscnt 0x200
	v_mul_f64_e32 v[18:19], v[10:11], v[32:33]
	v_mul_f64_e32 v[20:21], v[12:13], v[32:33]
	v_fma_f64 v[22:23], v[4:5], v[26:27], v[44:45]
	v_fma_f64 v[24:25], v[2:3], v[26:27], -v[28:29]
	v_add_f64_e32 v[14:15], v[14:15], v[6:7]
	v_add_f64_e32 v[16:17], v[16:17], v[8:9]
	ds_load_b128 v[2:5], v1 offset:1632
	ds_load_b128 v[6:9], v1 offset:1648
	v_fma_f64 v[12:13], v[12:13], v[30:31], v[18:19]
	v_fma_f64 v[10:11], v[10:11], v[30:31], -v[20:21]
	s_wait_loadcnt_dscnt 0x101
	v_mul_f64_e32 v[26:27], v[2:3], v[36:37]
	v_mul_f64_e32 v[28:29], v[4:5], v[36:37]
	s_wait_loadcnt_dscnt 0x0
	v_mul_f64_e32 v[18:19], v[6:7], v[40:41]
	v_mul_f64_e32 v[20:21], v[8:9], v[40:41]
	v_add_f64_e32 v[14:15], v[14:15], v[24:25]
	v_add_f64_e32 v[16:17], v[16:17], v[22:23]
	v_fma_f64 v[4:5], v[4:5], v[34:35], v[26:27]
	v_fma_f64 v[1:2], v[2:3], v[34:35], -v[28:29]
	v_fma_f64 v[8:9], v[8:9], v[38:39], v[18:19]
	v_fma_f64 v[6:7], v[6:7], v[38:39], -v[20:21]
	v_add_f64_e32 v[10:11], v[14:15], v[10:11]
	v_add_f64_e32 v[12:13], v[16:17], v[12:13]
	s_delay_alu instid0(VALU_DEP_2) | instskip(NEXT) | instid1(VALU_DEP_2)
	v_add_f64_e32 v[1:2], v[10:11], v[1:2]
	v_add_f64_e32 v[3:4], v[12:13], v[4:5]
	s_delay_alu instid0(VALU_DEP_2) | instskip(NEXT) | instid1(VALU_DEP_2)
	;; [unrolled: 3-line block ×3, first 2 shown]
	v_add_f64_e64 v[1:2], v[151:152], -v[1:2]
	v_add_f64_e64 v[3:4], v[153:154], -v[3:4]
	scratch_store_b128 off, v[1:4], off offset:32
	v_cmpx_ne_u32_e32 0, v0
	s_cbranch_execz .LBB115_325
; %bb.324:
	scratch_load_b128 v[0:3], off, off offset:16
	v_mov_b32_e32 v4, 0
	s_delay_alu instid0(VALU_DEP_1)
	v_dual_mov_b32 v5, v4 :: v_dual_mov_b32 v6, v4
	v_mov_b32_e32 v7, v4
	scratch_store_b128 off, v[4:7], off offset:16
	s_wait_loadcnt 0x0
	ds_store_b128 v150, v[0:3]
.LBB115_325:
	s_wait_alu 0xfffe
	s_or_b32 exec_lo, exec_lo, s0
	s_wait_storecnt_dscnt 0x0
	s_barrier_signal -1
	s_barrier_wait -1
	global_inv scope:SCOPE_SE
	s_clause 0x7
	scratch_load_b128 v[0:3], off, off offset:32
	scratch_load_b128 v[4:7], off, off offset:48
	;; [unrolled: 1-line block ×8, first 2 shown]
	v_mov_b32_e32 v40, 0
	s_and_b32 vcc_lo, exec_lo, s12
	ds_load_b128 v[36:39], v40 offset:848
	s_clause 0x1
	scratch_load_b128 v[32:35], off, off offset:160
	scratch_load_b128 v[41:44], off, off offset:16
	ds_load_b128 v[150:153], v40 offset:864
	scratch_load_b128 v[154:157], off, off offset:176
	s_wait_loadcnt_dscnt 0xa01
	v_mul_f64_e32 v[158:159], v[38:39], v[2:3]
	v_mul_f64_e32 v[2:3], v[36:37], v[2:3]
	s_delay_alu instid0(VALU_DEP_2) | instskip(NEXT) | instid1(VALU_DEP_2)
	v_fma_f64 v[164:165], v[36:37], v[0:1], -v[158:159]
	v_fma_f64 v[166:167], v[38:39], v[0:1], v[2:3]
	ds_load_b128 v[0:3], v40 offset:880
	s_wait_loadcnt_dscnt 0x901
	v_mul_f64_e32 v[162:163], v[150:151], v[6:7]
	v_mul_f64_e32 v[6:7], v[152:153], v[6:7]
	scratch_load_b128 v[36:39], off, off offset:192
	ds_load_b128 v[158:161], v40 offset:896
	s_wait_loadcnt_dscnt 0x901
	v_mul_f64_e32 v[168:169], v[0:1], v[10:11]
	v_mul_f64_e32 v[10:11], v[2:3], v[10:11]
	v_fma_f64 v[152:153], v[152:153], v[4:5], v[162:163]
	v_fma_f64 v[150:151], v[150:151], v[4:5], -v[6:7]
	v_add_f64_e32 v[162:163], 0, v[164:165]
	v_add_f64_e32 v[164:165], 0, v[166:167]
	scratch_load_b128 v[4:7], off, off offset:208
	v_fma_f64 v[168:169], v[2:3], v[8:9], v[168:169]
	v_fma_f64 v[170:171], v[0:1], v[8:9], -v[10:11]
	ds_load_b128 v[0:3], v40 offset:912
	s_wait_loadcnt_dscnt 0x901
	v_mul_f64_e32 v[166:167], v[158:159], v[14:15]
	v_mul_f64_e32 v[14:15], v[160:161], v[14:15]
	scratch_load_b128 v[8:11], off, off offset:224
	v_add_f64_e32 v[162:163], v[162:163], v[150:151]
	v_add_f64_e32 v[164:165], v[164:165], v[152:153]
	s_wait_loadcnt_dscnt 0x900
	v_mul_f64_e32 v[172:173], v[0:1], v[18:19]
	v_mul_f64_e32 v[18:19], v[2:3], v[18:19]
	ds_load_b128 v[150:153], v40 offset:928
	v_fma_f64 v[160:161], v[160:161], v[12:13], v[166:167]
	v_fma_f64 v[158:159], v[158:159], v[12:13], -v[14:15]
	scratch_load_b128 v[12:15], off, off offset:240
	v_add_f64_e32 v[162:163], v[162:163], v[170:171]
	v_add_f64_e32 v[164:165], v[164:165], v[168:169]
	v_fma_f64 v[168:169], v[2:3], v[16:17], v[172:173]
	v_fma_f64 v[170:171], v[0:1], v[16:17], -v[18:19]
	ds_load_b128 v[0:3], v40 offset:944
	s_wait_loadcnt_dscnt 0x901
	v_mul_f64_e32 v[166:167], v[150:151], v[22:23]
	v_mul_f64_e32 v[22:23], v[152:153], v[22:23]
	scratch_load_b128 v[16:19], off, off offset:256
	s_wait_loadcnt_dscnt 0x900
	v_mul_f64_e32 v[172:173], v[0:1], v[26:27]
	v_mul_f64_e32 v[26:27], v[2:3], v[26:27]
	v_add_f64_e32 v[162:163], v[162:163], v[158:159]
	v_add_f64_e32 v[164:165], v[164:165], v[160:161]
	ds_load_b128 v[158:161], v40 offset:960
	v_fma_f64 v[152:153], v[152:153], v[20:21], v[166:167]
	v_fma_f64 v[150:151], v[150:151], v[20:21], -v[22:23]
	scratch_load_b128 v[20:23], off, off offset:272
	v_add_f64_e32 v[162:163], v[162:163], v[170:171]
	v_add_f64_e32 v[164:165], v[164:165], v[168:169]
	v_fma_f64 v[168:169], v[2:3], v[24:25], v[172:173]
	v_fma_f64 v[170:171], v[0:1], v[24:25], -v[26:27]
	ds_load_b128 v[0:3], v40 offset:976
	s_wait_loadcnt_dscnt 0x901
	v_mul_f64_e32 v[166:167], v[158:159], v[30:31]
	v_mul_f64_e32 v[30:31], v[160:161], v[30:31]
	scratch_load_b128 v[24:27], off, off offset:288
	s_wait_loadcnt_dscnt 0x900
	v_mul_f64_e32 v[172:173], v[0:1], v[34:35]
	v_mul_f64_e32 v[34:35], v[2:3], v[34:35]
	v_add_f64_e32 v[162:163], v[162:163], v[150:151]
	v_add_f64_e32 v[164:165], v[164:165], v[152:153]
	ds_load_b128 v[150:153], v40 offset:992
	v_fma_f64 v[160:161], v[160:161], v[28:29], v[166:167]
	v_fma_f64 v[158:159], v[158:159], v[28:29], -v[30:31]
	scratch_load_b128 v[28:31], off, off offset:304
	v_add_f64_e32 v[162:163], v[162:163], v[170:171]
	v_add_f64_e32 v[164:165], v[164:165], v[168:169]
	v_fma_f64 v[170:171], v[2:3], v[32:33], v[172:173]
	v_fma_f64 v[172:173], v[0:1], v[32:33], -v[34:35]
	ds_load_b128 v[0:3], v40 offset:1008
	s_wait_loadcnt_dscnt 0x801
	v_mul_f64_e32 v[166:167], v[150:151], v[156:157]
	v_mul_f64_e32 v[168:169], v[152:153], v[156:157]
	scratch_load_b128 v[32:35], off, off offset:320
	v_add_f64_e32 v[162:163], v[162:163], v[158:159]
	v_add_f64_e32 v[160:161], v[164:165], v[160:161]
	ds_load_b128 v[156:159], v40 offset:1024
	v_fma_f64 v[166:167], v[152:153], v[154:155], v[166:167]
	v_fma_f64 v[154:155], v[150:151], v[154:155], -v[168:169]
	scratch_load_b128 v[150:153], off, off offset:336
	s_wait_loadcnt_dscnt 0x901
	v_mul_f64_e32 v[164:165], v[0:1], v[38:39]
	v_mul_f64_e32 v[38:39], v[2:3], v[38:39]
	v_add_f64_e32 v[162:163], v[162:163], v[172:173]
	v_add_f64_e32 v[160:161], v[160:161], v[170:171]
	s_delay_alu instid0(VALU_DEP_4) | instskip(NEXT) | instid1(VALU_DEP_4)
	v_fma_f64 v[164:165], v[2:3], v[36:37], v[164:165]
	v_fma_f64 v[170:171], v[0:1], v[36:37], -v[38:39]
	ds_load_b128 v[0:3], v40 offset:1040
	s_wait_loadcnt_dscnt 0x801
	v_mul_f64_e32 v[168:169], v[156:157], v[6:7]
	v_mul_f64_e32 v[6:7], v[158:159], v[6:7]
	scratch_load_b128 v[36:39], off, off offset:352
	s_wait_loadcnt_dscnt 0x800
	v_mul_f64_e32 v[172:173], v[0:1], v[10:11]
	v_add_f64_e32 v[154:155], v[162:163], v[154:155]
	v_add_f64_e32 v[166:167], v[160:161], v[166:167]
	v_mul_f64_e32 v[10:11], v[2:3], v[10:11]
	ds_load_b128 v[160:163], v40 offset:1056
	v_fma_f64 v[158:159], v[158:159], v[4:5], v[168:169]
	v_fma_f64 v[156:157], v[156:157], v[4:5], -v[6:7]
	scratch_load_b128 v[4:7], off, off offset:368
	v_fma_f64 v[168:169], v[2:3], v[8:9], v[172:173]
	v_add_f64_e32 v[154:155], v[154:155], v[170:171]
	v_add_f64_e32 v[164:165], v[166:167], v[164:165]
	v_fma_f64 v[170:171], v[0:1], v[8:9], -v[10:11]
	ds_load_b128 v[0:3], v40 offset:1072
	s_wait_loadcnt_dscnt 0x801
	v_mul_f64_e32 v[166:167], v[160:161], v[14:15]
	v_mul_f64_e32 v[14:15], v[162:163], v[14:15]
	scratch_load_b128 v[8:11], off, off offset:384
	v_add_f64_e32 v[172:173], v[154:155], v[156:157]
	v_add_f64_e32 v[158:159], v[164:165], v[158:159]
	s_wait_loadcnt_dscnt 0x800
	v_mul_f64_e32 v[164:165], v[0:1], v[18:19]
	v_mul_f64_e32 v[18:19], v[2:3], v[18:19]
	v_fma_f64 v[162:163], v[162:163], v[12:13], v[166:167]
	v_fma_f64 v[160:161], v[160:161], v[12:13], -v[14:15]
	ds_load_b128 v[154:157], v40 offset:1088
	scratch_load_b128 v[12:15], off, off offset:400
	v_add_f64_e32 v[166:167], v[172:173], v[170:171]
	v_add_f64_e32 v[158:159], v[158:159], v[168:169]
	v_fma_f64 v[164:165], v[2:3], v[16:17], v[164:165]
	v_fma_f64 v[170:171], v[0:1], v[16:17], -v[18:19]
	ds_load_b128 v[0:3], v40 offset:1104
	s_wait_loadcnt_dscnt 0x801
	v_mul_f64_e32 v[168:169], v[154:155], v[22:23]
	v_mul_f64_e32 v[22:23], v[156:157], v[22:23]
	scratch_load_b128 v[16:19], off, off offset:416
	s_wait_loadcnt_dscnt 0x800
	v_mul_f64_e32 v[172:173], v[0:1], v[26:27]
	v_mul_f64_e32 v[26:27], v[2:3], v[26:27]
	v_add_f64_e32 v[166:167], v[166:167], v[160:161]
	v_add_f64_e32 v[162:163], v[158:159], v[162:163]
	ds_load_b128 v[158:161], v40 offset:1120
	v_fma_f64 v[156:157], v[156:157], v[20:21], v[168:169]
	v_fma_f64 v[154:155], v[154:155], v[20:21], -v[22:23]
	scratch_load_b128 v[20:23], off, off offset:432
	v_fma_f64 v[168:169], v[2:3], v[24:25], v[172:173]
	v_add_f64_e32 v[166:167], v[166:167], v[170:171]
	v_add_f64_e32 v[162:163], v[162:163], v[164:165]
	v_fma_f64 v[170:171], v[0:1], v[24:25], -v[26:27]
	ds_load_b128 v[0:3], v40 offset:1136
	s_wait_loadcnt_dscnt 0x801
	v_mul_f64_e32 v[164:165], v[158:159], v[30:31]
	v_mul_f64_e32 v[30:31], v[160:161], v[30:31]
	scratch_load_b128 v[24:27], off, off offset:448
	s_wait_loadcnt_dscnt 0x800
	v_mul_f64_e32 v[172:173], v[0:1], v[34:35]
	v_mul_f64_e32 v[34:35], v[2:3], v[34:35]
	v_add_f64_e32 v[166:167], v[166:167], v[154:155]
	v_add_f64_e32 v[162:163], v[162:163], v[156:157]
	ds_load_b128 v[154:157], v40 offset:1152
	v_fma_f64 v[160:161], v[160:161], v[28:29], v[164:165]
	v_fma_f64 v[158:159], v[158:159], v[28:29], -v[30:31]
	scratch_load_b128 v[28:31], off, off offset:464
	v_add_f64_e32 v[164:165], v[166:167], v[170:171]
	v_add_f64_e32 v[162:163], v[162:163], v[168:169]
	v_fma_f64 v[168:169], v[2:3], v[32:33], v[172:173]
	v_fma_f64 v[170:171], v[0:1], v[32:33], -v[34:35]
	ds_load_b128 v[0:3], v40 offset:1168
	s_wait_loadcnt_dscnt 0x801
	v_mul_f64_e32 v[166:167], v[154:155], v[152:153]
	v_mul_f64_e32 v[152:153], v[156:157], v[152:153]
	scratch_load_b128 v[32:35], off, off offset:480
	s_wait_loadcnt_dscnt 0x800
	v_mul_f64_e32 v[172:173], v[0:1], v[38:39]
	v_mul_f64_e32 v[38:39], v[2:3], v[38:39]
	v_add_f64_e32 v[164:165], v[164:165], v[158:159]
	v_add_f64_e32 v[162:163], v[162:163], v[160:161]
	ds_load_b128 v[158:161], v40 offset:1184
	v_fma_f64 v[156:157], v[156:157], v[150:151], v[166:167]
	v_fma_f64 v[154:155], v[154:155], v[150:151], -v[152:153]
	scratch_load_b128 v[150:153], off, off offset:496
	v_add_f64_e32 v[164:165], v[164:165], v[170:171]
	v_add_f64_e32 v[162:163], v[162:163], v[168:169]
	v_fma_f64 v[168:169], v[2:3], v[36:37], v[172:173]
	;; [unrolled: 18-line block ×6, first 2 shown]
	v_fma_f64 v[172:173], v[0:1], v[32:33], -v[34:35]
	ds_load_b128 v[0:3], v40 offset:1328
	s_wait_loadcnt_dscnt 0x801
	v_mul_f64_e32 v[166:167], v[158:159], v[152:153]
	v_mul_f64_e32 v[168:169], v[160:161], v[152:153]
	scratch_load_b128 v[32:35], off, off offset:640
	v_add_f64_e32 v[164:165], v[164:165], v[154:155]
	v_add_f64_e32 v[156:157], v[162:163], v[156:157]
	s_wait_loadcnt_dscnt 0x800
	v_mul_f64_e32 v[162:163], v[0:1], v[38:39]
	v_mul_f64_e32 v[38:39], v[2:3], v[38:39]
	ds_load_b128 v[152:155], v40 offset:1344
	v_fma_f64 v[160:161], v[160:161], v[150:151], v[166:167]
	v_fma_f64 v[150:151], v[158:159], v[150:151], -v[168:169]
	v_add_f64_e32 v[164:165], v[164:165], v[172:173]
	v_add_f64_e32 v[166:167], v[156:157], v[170:171]
	scratch_load_b128 v[156:159], off, off offset:656
	v_fma_f64 v[170:171], v[2:3], v[36:37], v[162:163]
	v_fma_f64 v[172:173], v[0:1], v[36:37], -v[38:39]
	ds_load_b128 v[0:3], v40 offset:1360
	s_wait_loadcnt_dscnt 0x801
	v_mul_f64_e32 v[168:169], v[152:153], v[6:7]
	v_mul_f64_e32 v[6:7], v[154:155], v[6:7]
	scratch_load_b128 v[36:39], off, off offset:672
	v_add_f64_e32 v[150:151], v[164:165], v[150:151]
	v_add_f64_e32 v[164:165], v[166:167], v[160:161]
	s_wait_loadcnt_dscnt 0x800
	v_mul_f64_e32 v[166:167], v[0:1], v[10:11]
	v_mul_f64_e32 v[10:11], v[2:3], v[10:11]
	ds_load_b128 v[160:163], v40 offset:1376
	v_fma_f64 v[154:155], v[154:155], v[4:5], v[168:169]
	v_fma_f64 v[152:153], v[152:153], v[4:5], -v[6:7]
	scratch_load_b128 v[4:7], off, off offset:688
	v_add_f64_e32 v[150:151], v[150:151], v[172:173]
	v_add_f64_e32 v[164:165], v[164:165], v[170:171]
	v_fma_f64 v[166:167], v[2:3], v[8:9], v[166:167]
	v_fma_f64 v[170:171], v[0:1], v[8:9], -v[10:11]
	ds_load_b128 v[0:3], v40 offset:1392
	s_wait_loadcnt_dscnt 0x801
	v_mul_f64_e32 v[168:169], v[160:161], v[14:15]
	v_mul_f64_e32 v[14:15], v[162:163], v[14:15]
	scratch_load_b128 v[8:11], off, off offset:704
	v_add_f64_e32 v[172:173], v[150:151], v[152:153]
	v_add_f64_e32 v[154:155], v[164:165], v[154:155]
	s_wait_loadcnt_dscnt 0x800
	v_mul_f64_e32 v[164:165], v[0:1], v[18:19]
	v_mul_f64_e32 v[18:19], v[2:3], v[18:19]
	ds_load_b128 v[150:153], v40 offset:1408
	v_fma_f64 v[162:163], v[162:163], v[12:13], v[168:169]
	v_fma_f64 v[160:161], v[160:161], v[12:13], -v[14:15]
	scratch_load_b128 v[12:15], off, off offset:720
	v_add_f64_e32 v[168:169], v[172:173], v[170:171]
	v_add_f64_e32 v[154:155], v[154:155], v[166:167]
	v_fma_f64 v[164:165], v[2:3], v[16:17], v[164:165]
	v_fma_f64 v[170:171], v[0:1], v[16:17], -v[18:19]
	ds_load_b128 v[0:3], v40 offset:1424
	s_wait_loadcnt_dscnt 0x801
	v_mul_f64_e32 v[166:167], v[150:151], v[22:23]
	v_mul_f64_e32 v[22:23], v[152:153], v[22:23]
	scratch_load_b128 v[16:19], off, off offset:736
	s_wait_loadcnt_dscnt 0x800
	v_mul_f64_e32 v[172:173], v[0:1], v[26:27]
	v_mul_f64_e32 v[26:27], v[2:3], v[26:27]
	v_add_f64_e32 v[168:169], v[168:169], v[160:161]
	v_add_f64_e32 v[154:155], v[154:155], v[162:163]
	ds_load_b128 v[160:163], v40 offset:1440
	v_fma_f64 v[152:153], v[152:153], v[20:21], v[166:167]
	v_fma_f64 v[150:151], v[150:151], v[20:21], -v[22:23]
	scratch_load_b128 v[20:23], off, off offset:752
	v_add_f64_e32 v[166:167], v[168:169], v[170:171]
	v_add_f64_e32 v[154:155], v[154:155], v[164:165]
	v_fma_f64 v[168:169], v[2:3], v[24:25], v[172:173]
	v_fma_f64 v[170:171], v[0:1], v[24:25], -v[26:27]
	ds_load_b128 v[0:3], v40 offset:1456
	s_wait_loadcnt_dscnt 0x801
	v_mul_f64_e32 v[164:165], v[160:161], v[30:31]
	v_mul_f64_e32 v[30:31], v[162:163], v[30:31]
	scratch_load_b128 v[24:27], off, off offset:768
	s_wait_loadcnt_dscnt 0x800
	v_mul_f64_e32 v[172:173], v[0:1], v[34:35]
	v_mul_f64_e32 v[34:35], v[2:3], v[34:35]
	v_add_f64_e32 v[166:167], v[166:167], v[150:151]
	v_add_f64_e32 v[154:155], v[154:155], v[152:153]
	ds_load_b128 v[150:153], v40 offset:1472
	v_fma_f64 v[162:163], v[162:163], v[28:29], v[164:165]
	v_fma_f64 v[160:161], v[160:161], v[28:29], -v[30:31]
	scratch_load_b128 v[28:31], off, off offset:784
	v_add_f64_e32 v[164:165], v[166:167], v[170:171]
	v_add_f64_e32 v[154:155], v[154:155], v[168:169]
	v_fma_f64 v[170:171], v[2:3], v[32:33], v[172:173]
	v_fma_f64 v[172:173], v[0:1], v[32:33], -v[34:35]
	ds_load_b128 v[0:3], v40 offset:1488
	scratch_load_b128 v[32:35], off, off offset:800
	s_wait_loadcnt_dscnt 0x901
	v_mul_f64_e32 v[166:167], v[150:151], v[158:159]
	v_mul_f64_e32 v[168:169], v[152:153], v[158:159]
	v_add_f64_e32 v[164:165], v[164:165], v[160:161]
	v_add_f64_e32 v[154:155], v[154:155], v[162:163]
	s_wait_loadcnt_dscnt 0x800
	v_mul_f64_e32 v[162:163], v[0:1], v[38:39]
	v_mul_f64_e32 v[38:39], v[2:3], v[38:39]
	ds_load_b128 v[158:161], v40 offset:1504
	v_fma_f64 v[166:167], v[152:153], v[156:157], v[166:167]
	v_fma_f64 v[156:157], v[150:151], v[156:157], -v[168:169]
	scratch_load_b128 v[150:153], off, off offset:816
	v_add_f64_e32 v[164:165], v[164:165], v[172:173]
	v_add_f64_e32 v[154:155], v[154:155], v[170:171]
	v_fma_f64 v[162:163], v[2:3], v[36:37], v[162:163]
	v_fma_f64 v[170:171], v[0:1], v[36:37], -v[38:39]
	ds_load_b128 v[0:3], v40 offset:1520
	s_wait_loadcnt_dscnt 0x801
	v_mul_f64_e32 v[168:169], v[158:159], v[6:7]
	v_mul_f64_e32 v[6:7], v[160:161], v[6:7]
	scratch_load_b128 v[36:39], off, off offset:832
	s_wait_loadcnt_dscnt 0x800
	v_mul_f64_e32 v[172:173], v[0:1], v[10:11]
	v_mul_f64_e32 v[10:11], v[2:3], v[10:11]
	v_add_f64_e32 v[164:165], v[164:165], v[156:157]
	v_add_f64_e32 v[166:167], v[154:155], v[166:167]
	ds_load_b128 v[154:157], v40 offset:1536
	v_fma_f64 v[160:161], v[160:161], v[4:5], v[168:169]
	v_fma_f64 v[4:5], v[158:159], v[4:5], -v[6:7]
	v_add_f64_e32 v[6:7], v[164:165], v[170:171]
	v_add_f64_e32 v[158:159], v[166:167], v[162:163]
	s_wait_loadcnt_dscnt 0x700
	v_mul_f64_e32 v[162:163], v[154:155], v[14:15]
	v_mul_f64_e32 v[14:15], v[156:157], v[14:15]
	v_fma_f64 v[164:165], v[2:3], v[8:9], v[172:173]
	v_fma_f64 v[8:9], v[0:1], v[8:9], -v[10:11]
	v_add_f64_e32 v[10:11], v[6:7], v[4:5]
	v_add_f64_e32 v[158:159], v[158:159], v[160:161]
	ds_load_b128 v[0:3], v40 offset:1552
	ds_load_b128 v[4:7], v40 offset:1568
	v_fma_f64 v[156:157], v[156:157], v[12:13], v[162:163]
	v_fma_f64 v[12:13], v[154:155], v[12:13], -v[14:15]
	s_wait_loadcnt_dscnt 0x601
	v_mul_f64_e32 v[160:161], v[0:1], v[18:19]
	v_mul_f64_e32 v[18:19], v[2:3], v[18:19]
	s_wait_loadcnt_dscnt 0x500
	v_mul_f64_e32 v[14:15], v[4:5], v[22:23]
	v_mul_f64_e32 v[22:23], v[6:7], v[22:23]
	v_add_f64_e32 v[8:9], v[10:11], v[8:9]
	v_add_f64_e32 v[10:11], v[158:159], v[164:165]
	v_fma_f64 v[154:155], v[2:3], v[16:17], v[160:161]
	v_fma_f64 v[16:17], v[0:1], v[16:17], -v[18:19]
	v_fma_f64 v[6:7], v[6:7], v[20:21], v[14:15]
	v_fma_f64 v[4:5], v[4:5], v[20:21], -v[22:23]
	v_add_f64_e32 v[12:13], v[8:9], v[12:13]
	v_add_f64_e32 v[18:19], v[10:11], v[156:157]
	ds_load_b128 v[0:3], v40 offset:1584
	ds_load_b128 v[8:11], v40 offset:1600
	s_wait_loadcnt_dscnt 0x401
	v_mul_f64_e32 v[156:157], v[0:1], v[26:27]
	v_mul_f64_e32 v[26:27], v[2:3], v[26:27]
	v_add_f64_e32 v[12:13], v[12:13], v[16:17]
	v_add_f64_e32 v[14:15], v[18:19], v[154:155]
	s_wait_loadcnt_dscnt 0x300
	v_mul_f64_e32 v[16:17], v[8:9], v[30:31]
	v_mul_f64_e32 v[18:19], v[10:11], v[30:31]
	v_fma_f64 v[20:21], v[2:3], v[24:25], v[156:157]
	v_fma_f64 v[22:23], v[0:1], v[24:25], -v[26:27]
	v_add_f64_e32 v[12:13], v[12:13], v[4:5]
	v_add_f64_e32 v[14:15], v[14:15], v[6:7]
	ds_load_b128 v[0:3], v40 offset:1616
	ds_load_b128 v[4:7], v40 offset:1632
	v_fma_f64 v[10:11], v[10:11], v[28:29], v[16:17]
	v_fma_f64 v[8:9], v[8:9], v[28:29], -v[18:19]
	s_wait_loadcnt_dscnt 0x201
	v_mul_f64_e32 v[24:25], v[0:1], v[34:35]
	v_mul_f64_e32 v[26:27], v[2:3], v[34:35]
	s_wait_loadcnt_dscnt 0x100
	v_mul_f64_e32 v[16:17], v[4:5], v[152:153]
	v_mul_f64_e32 v[18:19], v[6:7], v[152:153]
	v_add_f64_e32 v[12:13], v[12:13], v[22:23]
	v_add_f64_e32 v[14:15], v[14:15], v[20:21]
	v_fma_f64 v[20:21], v[2:3], v[32:33], v[24:25]
	v_fma_f64 v[22:23], v[0:1], v[32:33], -v[26:27]
	ds_load_b128 v[0:3], v40 offset:1648
	v_fma_f64 v[6:7], v[6:7], v[150:151], v[16:17]
	v_fma_f64 v[4:5], v[4:5], v[150:151], -v[18:19]
	v_add_f64_e32 v[8:9], v[12:13], v[8:9]
	v_add_f64_e32 v[10:11], v[14:15], v[10:11]
	s_wait_loadcnt_dscnt 0x0
	v_mul_f64_e32 v[12:13], v[0:1], v[38:39]
	v_mul_f64_e32 v[14:15], v[2:3], v[38:39]
	s_delay_alu instid0(VALU_DEP_4) | instskip(NEXT) | instid1(VALU_DEP_4)
	v_add_f64_e32 v[8:9], v[8:9], v[22:23]
	v_add_f64_e32 v[10:11], v[10:11], v[20:21]
	s_delay_alu instid0(VALU_DEP_4) | instskip(NEXT) | instid1(VALU_DEP_4)
	v_fma_f64 v[2:3], v[2:3], v[36:37], v[12:13]
	v_fma_f64 v[0:1], v[0:1], v[36:37], -v[14:15]
	s_delay_alu instid0(VALU_DEP_4) | instskip(NEXT) | instid1(VALU_DEP_4)
	v_add_f64_e32 v[4:5], v[8:9], v[4:5]
	v_add_f64_e32 v[6:7], v[10:11], v[6:7]
	s_delay_alu instid0(VALU_DEP_2) | instskip(NEXT) | instid1(VALU_DEP_2)
	v_add_f64_e32 v[0:1], v[4:5], v[0:1]
	v_add_f64_e32 v[2:3], v[6:7], v[2:3]
	s_delay_alu instid0(VALU_DEP_2) | instskip(NEXT) | instid1(VALU_DEP_2)
	v_add_f64_e64 v[0:1], v[41:42], -v[0:1]
	v_add_f64_e64 v[2:3], v[43:44], -v[2:3]
	scratch_store_b128 off, v[0:3], off offset:16
	s_wait_alu 0xfffe
	s_cbranch_vccz .LBB115_428
; %bb.326:
	global_load_b32 v0, v40, s[2:3] offset:200
	s_wait_loadcnt 0x0
	v_cmp_ne_u32_e32 vcc_lo, 51, v0
	s_cbranch_vccz .LBB115_328
; %bb.327:
	v_lshlrev_b32_e32 v0, 4, v0
	s_delay_alu instid0(VALU_DEP_1)
	v_add_nc_u32_e32 v8, 16, v0
	s_clause 0x1
	scratch_load_b128 v[0:3], v8, off offset:-16
	scratch_load_b128 v[4:7], off, s11
	s_wait_loadcnt 0x1
	scratch_store_b128 off, v[0:3], s11
	s_wait_loadcnt 0x0
	scratch_store_b128 v8, v[4:7], off offset:-16
.LBB115_328:
	v_mov_b32_e32 v0, 0
	global_load_b32 v1, v0, s[2:3] offset:196
	s_wait_loadcnt 0x0
	v_cmp_eq_u32_e32 vcc_lo, 50, v1
	s_cbranch_vccnz .LBB115_330
; %bb.329:
	v_lshlrev_b32_e32 v1, 4, v1
	s_delay_alu instid0(VALU_DEP_1)
	v_add_nc_u32_e32 v9, 16, v1
	s_clause 0x1
	scratch_load_b128 v[1:4], v9, off offset:-16
	scratch_load_b128 v[5:8], off, s14
	s_wait_loadcnt 0x1
	scratch_store_b128 off, v[1:4], s14
	s_wait_loadcnt 0x0
	scratch_store_b128 v9, v[5:8], off offset:-16
.LBB115_330:
	global_load_b32 v0, v0, s[2:3] offset:192
	s_wait_loadcnt 0x0
	v_cmp_eq_u32_e32 vcc_lo, 49, v0
	s_cbranch_vccnz .LBB115_332
; %bb.331:
	v_lshlrev_b32_e32 v0, 4, v0
	s_delay_alu instid0(VALU_DEP_1)
	v_add_nc_u32_e32 v8, 16, v0
	s_clause 0x1
	scratch_load_b128 v[0:3], v8, off offset:-16
	scratch_load_b128 v[4:7], off, s16
	s_wait_loadcnt 0x1
	scratch_store_b128 off, v[0:3], s16
	s_wait_loadcnt 0x0
	scratch_store_b128 v8, v[4:7], off offset:-16
.LBB115_332:
	v_mov_b32_e32 v0, 0
	global_load_b32 v1, v0, s[2:3] offset:188
	s_wait_loadcnt 0x0
	v_cmp_eq_u32_e32 vcc_lo, 48, v1
	s_cbranch_vccnz .LBB115_334
; %bb.333:
	v_lshlrev_b32_e32 v1, 4, v1
	s_delay_alu instid0(VALU_DEP_1)
	v_add_nc_u32_e32 v9, 16, v1
	s_clause 0x1
	scratch_load_b128 v[1:4], v9, off offset:-16
	scratch_load_b128 v[5:8], off, s17
	s_wait_loadcnt 0x1
	scratch_store_b128 off, v[1:4], s17
	s_wait_loadcnt 0x0
	scratch_store_b128 v9, v[5:8], off offset:-16
.LBB115_334:
	global_load_b32 v0, v0, s[2:3] offset:184
	s_wait_loadcnt 0x0
	v_cmp_eq_u32_e32 vcc_lo, 47, v0
	s_cbranch_vccnz .LBB115_336
; %bb.335:
	v_lshlrev_b32_e32 v0, 4, v0
	s_delay_alu instid0(VALU_DEP_1)
	v_add_nc_u32_e32 v8, 16, v0
	s_clause 0x1
	scratch_load_b128 v[0:3], v8, off offset:-16
	scratch_load_b128 v[4:7], off, s18
	s_wait_loadcnt 0x1
	scratch_store_b128 off, v[0:3], s18
	s_wait_loadcnt 0x0
	scratch_store_b128 v8, v[4:7], off offset:-16
.LBB115_336:
	;; [unrolled: 33-line block ×24, first 2 shown]
	v_mov_b32_e32 v0, 0
	global_load_b32 v1, v0, s[2:3] offset:4
	s_wait_loadcnt 0x0
	v_cmp_eq_u32_e32 vcc_lo, 2, v1
	s_cbranch_vccnz .LBB115_426
; %bb.425:
	v_lshlrev_b32_e32 v1, 4, v1
	s_delay_alu instid0(VALU_DEP_1)
	v_add_nc_u32_e32 v9, 16, v1
	s_clause 0x1
	scratch_load_b128 v[1:4], v9, off offset:-16
	scratch_load_b128 v[5:8], off, s15
	s_wait_loadcnt 0x1
	scratch_store_b128 off, v[1:4], s15
	s_wait_loadcnt 0x0
	scratch_store_b128 v9, v[5:8], off offset:-16
.LBB115_426:
	global_load_b32 v0, v0, s[2:3]
	s_wait_loadcnt 0x0
	v_cmp_eq_u32_e32 vcc_lo, 1, v0
	s_cbranch_vccnz .LBB115_428
; %bb.427:
	v_lshlrev_b32_e32 v0, 4, v0
	s_delay_alu instid0(VALU_DEP_1)
	v_add_nc_u32_e32 v8, 16, v0
	scratch_load_b128 v[0:3], v8, off offset:-16
	scratch_load_b128 v[4:7], off, off offset:16
	s_wait_loadcnt 0x1
	scratch_store_b128 off, v[0:3], off offset:16
	s_wait_loadcnt 0x0
	scratch_store_b128 v8, v[4:7], off offset:-16
.LBB115_428:
	scratch_load_b128 v[0:3], off, off offset:16
	s_wait_loadcnt 0x0
	flat_store_b128 v[46:47], v[0:3]
	scratch_load_b128 v[0:3], off, s15
	s_wait_loadcnt 0x0
	flat_store_b128 v[48:49], v[0:3]
	scratch_load_b128 v[0:3], off, s13
	;; [unrolled: 3-line block ×51, first 2 shown]
	s_wait_loadcnt 0x0
	flat_store_b128 v[148:149], v[0:3]
	s_nop 0
	s_sendmsg sendmsg(MSG_DEALLOC_VGPRS)
	s_endpgm
	.section	.rodata,"a",@progbits
	.p2align	6, 0x0
	.amdhsa_kernel _ZN9rocsolver6v33100L18getri_kernel_smallILi52E19rocblas_complex_numIdEPKPS3_EEvT1_iilPiilS8_bb
		.amdhsa_group_segment_fixed_size 1672
		.amdhsa_private_segment_fixed_size 864
		.amdhsa_kernarg_size 60
		.amdhsa_user_sgpr_count 2
		.amdhsa_user_sgpr_dispatch_ptr 0
		.amdhsa_user_sgpr_queue_ptr 0
		.amdhsa_user_sgpr_kernarg_segment_ptr 1
		.amdhsa_user_sgpr_dispatch_id 0
		.amdhsa_user_sgpr_private_segment_size 0
		.amdhsa_wavefront_size32 1
		.amdhsa_uses_dynamic_stack 0
		.amdhsa_enable_private_segment 1
		.amdhsa_system_sgpr_workgroup_id_x 1
		.amdhsa_system_sgpr_workgroup_id_y 0
		.amdhsa_system_sgpr_workgroup_id_z 0
		.amdhsa_system_sgpr_workgroup_info 0
		.amdhsa_system_vgpr_workitem_id 0
		.amdhsa_next_free_vgpr 177
		.amdhsa_next_free_sgpr 84
		.amdhsa_reserve_vcc 1
		.amdhsa_float_round_mode_32 0
		.amdhsa_float_round_mode_16_64 0
		.amdhsa_float_denorm_mode_32 3
		.amdhsa_float_denorm_mode_16_64 3
		.amdhsa_fp16_overflow 0
		.amdhsa_workgroup_processor_mode 1
		.amdhsa_memory_ordered 1
		.amdhsa_forward_progress 1
		.amdhsa_inst_pref_size 255
		.amdhsa_round_robin_scheduling 0
		.amdhsa_exception_fp_ieee_invalid_op 0
		.amdhsa_exception_fp_denorm_src 0
		.amdhsa_exception_fp_ieee_div_zero 0
		.amdhsa_exception_fp_ieee_overflow 0
		.amdhsa_exception_fp_ieee_underflow 0
		.amdhsa_exception_fp_ieee_inexact 0
		.amdhsa_exception_int_div_zero 0
	.end_amdhsa_kernel
	.section	.text._ZN9rocsolver6v33100L18getri_kernel_smallILi52E19rocblas_complex_numIdEPKPS3_EEvT1_iilPiilS8_bb,"axG",@progbits,_ZN9rocsolver6v33100L18getri_kernel_smallILi52E19rocblas_complex_numIdEPKPS3_EEvT1_iilPiilS8_bb,comdat
.Lfunc_end115:
	.size	_ZN9rocsolver6v33100L18getri_kernel_smallILi52E19rocblas_complex_numIdEPKPS3_EEvT1_iilPiilS8_bb, .Lfunc_end115-_ZN9rocsolver6v33100L18getri_kernel_smallILi52E19rocblas_complex_numIdEPKPS3_EEvT1_iilPiilS8_bb
                                        ; -- End function
	.set _ZN9rocsolver6v33100L18getri_kernel_smallILi52E19rocblas_complex_numIdEPKPS3_EEvT1_iilPiilS8_bb.num_vgpr, 177
	.set _ZN9rocsolver6v33100L18getri_kernel_smallILi52E19rocblas_complex_numIdEPKPS3_EEvT1_iilPiilS8_bb.num_agpr, 0
	.set _ZN9rocsolver6v33100L18getri_kernel_smallILi52E19rocblas_complex_numIdEPKPS3_EEvT1_iilPiilS8_bb.numbered_sgpr, 84
	.set _ZN9rocsolver6v33100L18getri_kernel_smallILi52E19rocblas_complex_numIdEPKPS3_EEvT1_iilPiilS8_bb.num_named_barrier, 0
	.set _ZN9rocsolver6v33100L18getri_kernel_smallILi52E19rocblas_complex_numIdEPKPS3_EEvT1_iilPiilS8_bb.private_seg_size, 864
	.set _ZN9rocsolver6v33100L18getri_kernel_smallILi52E19rocblas_complex_numIdEPKPS3_EEvT1_iilPiilS8_bb.uses_vcc, 1
	.set _ZN9rocsolver6v33100L18getri_kernel_smallILi52E19rocblas_complex_numIdEPKPS3_EEvT1_iilPiilS8_bb.uses_flat_scratch, 1
	.set _ZN9rocsolver6v33100L18getri_kernel_smallILi52E19rocblas_complex_numIdEPKPS3_EEvT1_iilPiilS8_bb.has_dyn_sized_stack, 0
	.set _ZN9rocsolver6v33100L18getri_kernel_smallILi52E19rocblas_complex_numIdEPKPS3_EEvT1_iilPiilS8_bb.has_recursion, 0
	.set _ZN9rocsolver6v33100L18getri_kernel_smallILi52E19rocblas_complex_numIdEPKPS3_EEvT1_iilPiilS8_bb.has_indirect_call, 0
	.section	.AMDGPU.csdata,"",@progbits
; Kernel info:
; codeLenInByte = 109324
; TotalNumSgprs: 86
; NumVgprs: 177
; ScratchSize: 864
; MemoryBound: 0
; FloatMode: 240
; IeeeMode: 1
; LDSByteSize: 1672 bytes/workgroup (compile time only)
; SGPRBlocks: 0
; VGPRBlocks: 22
; NumSGPRsForWavesPerEU: 86
; NumVGPRsForWavesPerEU: 177
; Occupancy: 8
; WaveLimiterHint : 1
; COMPUTE_PGM_RSRC2:SCRATCH_EN: 1
; COMPUTE_PGM_RSRC2:USER_SGPR: 2
; COMPUTE_PGM_RSRC2:TRAP_HANDLER: 0
; COMPUTE_PGM_RSRC2:TGID_X_EN: 1
; COMPUTE_PGM_RSRC2:TGID_Y_EN: 0
; COMPUTE_PGM_RSRC2:TGID_Z_EN: 0
; COMPUTE_PGM_RSRC2:TIDIG_COMP_CNT: 0
	.section	.text._ZN9rocsolver6v33100L18getri_kernel_smallILi53E19rocblas_complex_numIdEPKPS3_EEvT1_iilPiilS8_bb,"axG",@progbits,_ZN9rocsolver6v33100L18getri_kernel_smallILi53E19rocblas_complex_numIdEPKPS3_EEvT1_iilPiilS8_bb,comdat
	.globl	_ZN9rocsolver6v33100L18getri_kernel_smallILi53E19rocblas_complex_numIdEPKPS3_EEvT1_iilPiilS8_bb ; -- Begin function _ZN9rocsolver6v33100L18getri_kernel_smallILi53E19rocblas_complex_numIdEPKPS3_EEvT1_iilPiilS8_bb
	.p2align	8
	.type	_ZN9rocsolver6v33100L18getri_kernel_smallILi53E19rocblas_complex_numIdEPKPS3_EEvT1_iilPiilS8_bb,@function
_ZN9rocsolver6v33100L18getri_kernel_smallILi53E19rocblas_complex_numIdEPKPS3_EEvT1_iilPiilS8_bb: ; @_ZN9rocsolver6v33100L18getri_kernel_smallILi53E19rocblas_complex_numIdEPKPS3_EEvT1_iilPiilS8_bb
; %bb.0:
	s_mov_b32 s2, exec_lo
	v_cmpx_gt_u32_e32 53, v0
	s_cbranch_execz .LBB116_226
; %bb.1:
	s_clause 0x1
	s_load_b32 s13, s[0:1], 0x38
	s_load_b64 s[2:3], s[0:1], 0x0
	s_mov_b32 s8, ttmp9
	s_load_b128 s[4:7], s[0:1], 0x28
	s_wait_kmcnt 0x0
	s_bitcmp1_b32 s13, 8
	s_cselect_b32 s12, -1, 0
	s_ashr_i32 s9, ttmp9, 31
	s_delay_alu instid0(SALU_CYCLE_1) | instskip(NEXT) | instid1(SALU_CYCLE_1)
	s_lshl_b64 s[10:11], s[8:9], 3
	s_add_nc_u64 s[2:3], s[2:3], s[10:11]
	s_load_b64 s[10:11], s[2:3], 0x0
	s_bfe_u32 s2, s13, 0x10008
	s_delay_alu instid0(SALU_CYCLE_1)
	s_cmp_eq_u32 s2, 0
                                        ; implicit-def: $sgpr2_sgpr3
	s_cbranch_scc1 .LBB116_3
; %bb.2:
	s_load_b96 s[16:18], s[0:1], 0x18
	s_mul_u64 s[2:3], s[4:5], s[8:9]
	s_delay_alu instid0(SALU_CYCLE_1)
	s_lshl_b64 s[2:3], s[2:3], 2
	s_wait_kmcnt 0x0
	s_ashr_i32 s5, s18, 31
	s_mov_b32 s4, s18
	s_add_nc_u64 s[2:3], s[16:17], s[2:3]
	s_lshl_b64 s[4:5], s[4:5], 2
	s_delay_alu instid0(SALU_CYCLE_1)
	s_add_nc_u64 s[2:3], s[2:3], s[4:5]
.LBB116_3:
	s_clause 0x1
	s_load_b64 s[4:5], s[0:1], 0x8
	s_load_b32 s62, s[0:1], 0x38
	v_lshlrev_b32_e32 v13, 4, v0
	s_movk_i32 s14, 0x90
	s_movk_i32 s16, 0xa0
	;; [unrolled: 1-line block ×17, first 2 shown]
	s_wait_kmcnt 0x0
	s_ashr_i32 s1, s4, 31
	s_mov_b32 s0, s4
	v_add3_u32 v5, s5, s5, v0
	s_lshl_b64 s[0:1], s[0:1], 4
	s_movk_i32 s33, 0x1a0
	s_add_nc_u64 s[0:1], s[10:11], s[0:1]
	s_ashr_i32 s11, s5, 31
	v_add_co_u32 v46, s4, s0, v13
	s_wait_alu 0xf1ff
	v_add_co_ci_u32_e64 v47, null, s1, 0, s4
	s_mov_b32 s10, s5
	v_ashrrev_i32_e32 v6, 31, v5
	s_lshl_b64 s[10:11], s[10:11], 4
	flat_load_b128 v[1:4], v[46:47]
	v_add_co_u32 v48, vcc_lo, v46, s10
	s_delay_alu instid0(VALU_DEP_1)
	v_add_co_ci_u32_e64 v49, null, s11, v47, vcc_lo
	v_lshlrev_b64_e32 v[6:7], 4, v[5:6]
	v_add_nc_u32_e32 v5, s5, v5
	s_movk_i32 s11, 0x80
	s_movk_i32 s34, 0x1b0
	s_movk_i32 s35, 0x1c0
	s_movk_i32 s36, 0x1d0
	v_add_co_u32 v50, vcc_lo, s0, v6
	s_wait_alu 0xfffd
	v_add_co_ci_u32_e64 v51, null, s1, v7, vcc_lo
	v_ashrrev_i32_e32 v6, 31, v5
	s_movk_i32 s63, 0x1e0
	s_movk_i32 s64, 0x1f0
	s_movk_i32 s65, 0x200
	s_movk_i32 s66, 0x210
	v_lshlrev_b64_e32 v[6:7], 4, v[5:6]
	v_add_nc_u32_e32 v5, s5, v5
	s_movk_i32 s67, 0x220
	s_movk_i32 s68, 0x230
	s_movk_i32 s69, 0x240
	s_movk_i32 s70, 0x250
	v_add_co_u32 v52, vcc_lo, s0, v6
	s_wait_alu 0xfffd
	v_add_co_ci_u32_e64 v53, null, s1, v7, vcc_lo
	v_ashrrev_i32_e32 v6, 31, v5
	s_movk_i32 s71, 0x260
	s_movk_i32 s72, 0x270
	s_movk_i32 s73, 0x280
	s_movk_i32 s74, 0x290
	;; [unrolled: 14-line block ×3, first 2 shown]
	v_lshlrev_b64_e32 v[6:7], 4, v[5:6]
	v_add_nc_u32_e32 v5, s5, v5
	s_movk_i32 s83, 0x320
	s_movk_i32 s84, 0x330
	s_movk_i32 s85, 0x340
	s_wait_alu 0xfffe
	s_add_co_i32 s58, s11, 16
	v_add_co_u32 v56, vcc_lo, s0, v6
	s_wait_alu 0xfffd
	v_add_co_ci_u32_e64 v57, null, s1, v7, vcc_lo
	v_ashrrev_i32_e32 v6, 31, v5
	s_add_co_i32 s57, s14, 16
	s_add_co_i32 s56, s16, 16
	s_add_co_i32 s55, s17, 16
	s_add_co_i32 s54, s18, 16
	v_lshlrev_b64_e32 v[6:7], 4, v[5:6]
	v_add_nc_u32_e32 v5, s5, v5
	s_add_co_i32 s53, s19, 16
	s_add_co_i32 s52, s20, 16
	s_add_co_i32 s51, s21, 16
	s_add_co_i32 s50, s22, 16
	v_add_co_u32 v58, vcc_lo, s0, v6
	s_wait_alu 0xfffd
	v_add_co_ci_u32_e64 v59, null, s1, v7, vcc_lo
	v_ashrrev_i32_e32 v6, 31, v5
	s_add_co_i32 s49, s23, 16
	s_add_co_i32 s48, s24, 16
	s_add_co_i32 s47, s25, 16
	s_add_co_i32 s46, s26, 16
	v_lshlrev_b64_e32 v[6:7], 4, v[5:6]
	v_add_nc_u32_e32 v5, s5, v5
	s_add_co_i32 s45, s27, 16
	s_add_co_i32 s44, s28, 16
	s_add_co_i32 s43, s29, 16
	;; [unrolled: 14-line block ×5, first 2 shown]
	s_add_co_i32 s17, s81, 16
	v_add_co_u32 v66, vcc_lo, s0, v6
	s_wait_alu 0xfffd
	v_add_co_ci_u32_e64 v67, null, s1, v7, vcc_lo
	v_ashrrev_i32_e32 v6, 31, v5
	s_add_co_i32 s16, s82, 16
	s_add_co_i32 s14, s83, 16
	;; [unrolled: 1-line block ×3, first 2 shown]
	s_mov_b32 s15, 32
	v_lshlrev_b64_e32 v[6:7], 4, v[5:6]
	v_add_nc_u32_e32 v5, s5, v5
	s_mov_b32 s13, 48
	s_mov_b32 s10, 64
	s_movk_i32 s4, 0x50
	s_delay_alu instid0(VALU_DEP_2) | instskip(SKIP_3) | instid1(VALU_DEP_1)
	v_add_co_u32 v68, vcc_lo, s0, v6
	s_wait_alu 0xfffd
	v_add_co_ci_u32_e64 v69, null, s1, v7, vcc_lo
	v_ashrrev_i32_e32 v6, 31, v5
	v_lshlrev_b64_e32 v[6:7], 4, v[5:6]
	v_add_nc_u32_e32 v5, s5, v5
	s_delay_alu instid0(VALU_DEP_2) | instskip(SKIP_1) | instid1(VALU_DEP_3)
	v_add_co_u32 v70, vcc_lo, s0, v6
	s_wait_alu 0xfffd
	v_add_co_ci_u32_e64 v71, null, s1, v7, vcc_lo
	s_delay_alu instid0(VALU_DEP_3) | instskip(NEXT) | instid1(VALU_DEP_1)
	v_ashrrev_i32_e32 v6, 31, v5
	v_lshlrev_b64_e32 v[6:7], 4, v[5:6]
	v_add_nc_u32_e32 v5, s5, v5
	s_delay_alu instid0(VALU_DEP_2) | instskip(SKIP_1) | instid1(VALU_DEP_3)
	v_add_co_u32 v72, vcc_lo, s0, v6
	s_wait_alu 0xfffd
	v_add_co_ci_u32_e64 v73, null, s1, v7, vcc_lo
	s_delay_alu instid0(VALU_DEP_3) | instskip(NEXT) | instid1(VALU_DEP_1)
	;; [unrolled: 8-line block ×11, first 2 shown]
	v_ashrrev_i32_e32 v6, 31, v5
	v_lshlrev_b64_e32 v[6:7], 4, v[5:6]
	s_wait_loadcnt_dscnt 0x0
	scratch_store_b128 off, v[1:4], off offset:16
	flat_load_b128 v[1:4], v[48:49]
	v_add_nc_u32_e32 v5, s5, v5
	v_add_co_u32 v92, vcc_lo, s0, v6
	s_wait_alu 0xfffd
	v_add_co_ci_u32_e64 v93, null, s1, v7, vcc_lo
	s_delay_alu instid0(VALU_DEP_3) | instskip(NEXT) | instid1(VALU_DEP_1)
	v_ashrrev_i32_e32 v6, 31, v5
	v_lshlrev_b64_e32 v[6:7], 4, v[5:6]
	v_add_nc_u32_e32 v5, s5, v5
	s_delay_alu instid0(VALU_DEP_2) | instskip(SKIP_1) | instid1(VALU_DEP_3)
	v_add_co_u32 v94, vcc_lo, s0, v6
	s_wait_alu 0xfffd
	v_add_co_ci_u32_e64 v95, null, s1, v7, vcc_lo
	s_delay_alu instid0(VALU_DEP_3) | instskip(NEXT) | instid1(VALU_DEP_1)
	v_ashrrev_i32_e32 v6, 31, v5
	v_lshlrev_b64_e32 v[6:7], 4, v[5:6]
	v_add_nc_u32_e32 v5, s5, v5
	s_delay_alu instid0(VALU_DEP_2) | instskip(SKIP_1) | instid1(VALU_DEP_3)
	;; [unrolled: 8-line block ×20, first 2 shown]
	v_add_co_u32 v132, vcc_lo, s0, v6
	s_wait_alu 0xfffd
	v_add_co_ci_u32_e64 v133, null, s1, v7, vcc_lo
	s_delay_alu instid0(VALU_DEP_3) | instskip(NEXT) | instid1(VALU_DEP_1)
	v_ashrrev_i32_e32 v6, 31, v5
	v_lshlrev_b64_e32 v[6:7], 4, v[5:6]
	v_add_nc_u32_e32 v5, s5, v5
	s_delay_alu instid0(VALU_DEP_2)
	v_add_co_u32 v134, vcc_lo, s0, v6
	s_wait_loadcnt_dscnt 0x0
	scratch_store_b128 off, v[1:4], off offset:32
	flat_load_b128 v[1:4], v[50:51]
	s_wait_alu 0xfffd
	v_add_co_ci_u32_e64 v135, null, s1, v7, vcc_lo
	v_ashrrev_i32_e32 v6, 31, v5
	s_delay_alu instid0(VALU_DEP_1) | instskip(SKIP_1) | instid1(VALU_DEP_2)
	v_lshlrev_b64_e32 v[6:7], 4, v[5:6]
	v_add_nc_u32_e32 v5, s5, v5
	v_add_co_u32 v136, vcc_lo, s0, v6
	s_wait_alu 0xfffd
	s_delay_alu instid0(VALU_DEP_3) | instskip(NEXT) | instid1(VALU_DEP_3)
	v_add_co_ci_u32_e64 v137, null, s1, v7, vcc_lo
	v_ashrrev_i32_e32 v6, 31, v5
	s_delay_alu instid0(VALU_DEP_1) | instskip(SKIP_1) | instid1(VALU_DEP_2)
	v_lshlrev_b64_e32 v[6:7], 4, v[5:6]
	v_add_nc_u32_e32 v5, s5, v5
	v_add_co_u32 v138, vcc_lo, s0, v6
	s_wait_alu 0xfffd
	s_delay_alu instid0(VALU_DEP_3) | instskip(NEXT) | instid1(VALU_DEP_3)
	;; [unrolled: 8-line block ×6, first 2 shown]
	v_add_co_ci_u32_e64 v147, null, s1, v7, vcc_lo
	v_ashrrev_i32_e32 v6, 31, v5
	s_delay_alu instid0(VALU_DEP_1)
	v_lshlrev_b64_e32 v[6:7], 4, v[5:6]
	v_add_nc_u32_e32 v5, s5, v5
	s_movk_i32 s5, 0x70
	s_wait_alu 0xfffe
	s_add_co_i32 s59, s5, 16
	s_add_co_i32 s5, s85, 16
	v_add_co_u32 v148, vcc_lo, s0, v6
	s_wait_alu 0xfffd
	v_add_co_ci_u32_e64 v149, null, s1, v7, vcc_lo
	v_ashrrev_i32_e32 v6, 31, v5
	s_delay_alu instid0(VALU_DEP_1) | instskip(NEXT) | instid1(VALU_DEP_1)
	v_lshlrev_b64_e32 v[5:6], 4, v[5:6]
	v_add_co_u32 v150, vcc_lo, s0, v5
	s_wait_alu 0xfffd
	s_delay_alu instid0(VALU_DEP_2)
	v_add_co_ci_u32_e64 v151, null, s1, v6, vcc_lo
	s_movk_i32 s0, 0x50
	s_movk_i32 s1, 0x60
	s_wait_alu 0xfffe
	s_add_co_i32 s61, s0, 16
	s_add_co_i32 s60, s1, 16
	s_bitcmp0_b32 s62, 0
	s_mov_b32 s1, -1
	s_wait_loadcnt_dscnt 0x0
	scratch_store_b128 off, v[1:4], off offset:48
	flat_load_b128 v[1:4], v[52:53]
	s_wait_loadcnt_dscnt 0x0
	scratch_store_b128 off, v[1:4], off offset:64
	flat_load_b128 v[1:4], v[54:55]
	;; [unrolled: 3-line block ×50, first 2 shown]
	s_wait_loadcnt_dscnt 0x0
	scratch_store_b128 off, v[1:4], off offset:848
	s_cbranch_scc1 .LBB116_224
; %bb.4:
	v_cmp_eq_u32_e64 s0, 0, v0
	s_and_saveexec_b32 s1, s0
; %bb.5:
	v_mov_b32_e32 v1, 0
	ds_store_b32 v1, v1 offset:1696
; %bb.6:
	s_wait_alu 0xfffe
	s_or_b32 exec_lo, exec_lo, s1
	s_wait_storecnt_dscnt 0x0
	s_barrier_signal -1
	s_barrier_wait -1
	global_inv scope:SCOPE_SE
	scratch_load_b128 v[1:4], v13, off offset:16
	s_wait_loadcnt 0x0
	v_cmp_eq_f64_e32 vcc_lo, 0, v[1:2]
	v_cmp_eq_f64_e64 s1, 0, v[3:4]
	s_and_b32 s1, vcc_lo, s1
	s_wait_alu 0xfffe
	s_and_saveexec_b32 s62, s1
	s_cbranch_execz .LBB116_10
; %bb.7:
	v_mov_b32_e32 v1, 0
	s_mov_b32 s63, 0
	ds_load_b32 v2, v1 offset:1696
	s_wait_dscnt 0x0
	v_readfirstlane_b32 s1, v2
	v_add_nc_u32_e32 v2, 1, v0
	s_cmp_eq_u32 s1, 0
	s_delay_alu instid0(VALU_DEP_1) | instskip(SKIP_1) | instid1(SALU_CYCLE_1)
	v_cmp_gt_i32_e32 vcc_lo, s1, v2
	s_cselect_b32 s64, -1, 0
	s_or_b32 s64, s64, vcc_lo
	s_delay_alu instid0(SALU_CYCLE_1)
	s_and_b32 exec_lo, exec_lo, s64
	s_cbranch_execz .LBB116_10
; %bb.8:
	v_mov_b32_e32 v3, s1
.LBB116_9:                              ; =>This Inner Loop Header: Depth=1
	ds_cmpstore_rtn_b32 v3, v1, v2, v3 offset:1696
	s_wait_dscnt 0x0
	v_cmp_ne_u32_e32 vcc_lo, 0, v3
	v_cmp_le_i32_e64 s1, v3, v2
	s_and_b32 s1, vcc_lo, s1
	s_wait_alu 0xfffe
	s_and_b32 s1, exec_lo, s1
	s_wait_alu 0xfffe
	s_or_b32 s63, s1, s63
	s_delay_alu instid0(SALU_CYCLE_1)
	s_and_not1_b32 exec_lo, exec_lo, s63
	s_cbranch_execnz .LBB116_9
.LBB116_10:
	s_or_b32 exec_lo, exec_lo, s62
	v_mov_b32_e32 v1, 0
	s_barrier_signal -1
	s_barrier_wait -1
	global_inv scope:SCOPE_SE
	ds_load_b32 v2, v1 offset:1696
	s_and_saveexec_b32 s1, s0
	s_cbranch_execz .LBB116_12
; %bb.11:
	s_lshl_b64 s[62:63], s[8:9], 2
	s_delay_alu instid0(SALU_CYCLE_1)
	s_add_nc_u64 s[62:63], s[6:7], s[62:63]
	s_wait_dscnt 0x0
	global_store_b32 v1, v2, s[62:63]
.LBB116_12:
	s_wait_alu 0xfffe
	s_or_b32 exec_lo, exec_lo, s1
	s_wait_dscnt 0x0
	v_cmp_ne_u32_e32 vcc_lo, 0, v2
	s_mov_b32 s1, 0
	s_cbranch_vccnz .LBB116_224
; %bb.13:
	v_add_nc_u32_e32 v14, 16, v13
                                        ; implicit-def: $vgpr1_vgpr2
                                        ; implicit-def: $vgpr9_vgpr10
	scratch_load_b128 v[5:8], v14, off
	s_wait_loadcnt 0x0
	v_cmp_ngt_f64_e64 s1, |v[5:6]|, |v[7:8]|
	s_wait_alu 0xfffe
	s_and_saveexec_b32 s62, s1
	s_delay_alu instid0(SALU_CYCLE_1)
	s_xor_b32 s1, exec_lo, s62
	s_cbranch_execz .LBB116_15
; %bb.14:
	v_div_scale_f64 v[1:2], null, v[7:8], v[7:8], v[5:6]
	v_div_scale_f64 v[11:12], vcc_lo, v[5:6], v[7:8], v[5:6]
	s_delay_alu instid0(VALU_DEP_2) | instskip(NEXT) | instid1(TRANS32_DEP_1)
	v_rcp_f64_e32 v[3:4], v[1:2]
	v_fma_f64 v[9:10], -v[1:2], v[3:4], 1.0
	s_delay_alu instid0(VALU_DEP_1) | instskip(NEXT) | instid1(VALU_DEP_1)
	v_fma_f64 v[3:4], v[3:4], v[9:10], v[3:4]
	v_fma_f64 v[9:10], -v[1:2], v[3:4], 1.0
	s_delay_alu instid0(VALU_DEP_1) | instskip(NEXT) | instid1(VALU_DEP_1)
	v_fma_f64 v[3:4], v[3:4], v[9:10], v[3:4]
	v_mul_f64_e32 v[9:10], v[11:12], v[3:4]
	s_delay_alu instid0(VALU_DEP_1) | instskip(SKIP_1) | instid1(VALU_DEP_1)
	v_fma_f64 v[1:2], -v[1:2], v[9:10], v[11:12]
	s_wait_alu 0xfffd
	v_div_fmas_f64 v[1:2], v[1:2], v[3:4], v[9:10]
	s_delay_alu instid0(VALU_DEP_1) | instskip(NEXT) | instid1(VALU_DEP_1)
	v_div_fixup_f64 v[1:2], v[1:2], v[7:8], v[5:6]
	v_fma_f64 v[3:4], v[5:6], v[1:2], v[7:8]
	s_delay_alu instid0(VALU_DEP_1) | instskip(SKIP_1) | instid1(VALU_DEP_2)
	v_div_scale_f64 v[5:6], null, v[3:4], v[3:4], 1.0
	v_div_scale_f64 v[11:12], vcc_lo, 1.0, v[3:4], 1.0
	v_rcp_f64_e32 v[7:8], v[5:6]
	s_delay_alu instid0(TRANS32_DEP_1) | instskip(NEXT) | instid1(VALU_DEP_1)
	v_fma_f64 v[9:10], -v[5:6], v[7:8], 1.0
	v_fma_f64 v[7:8], v[7:8], v[9:10], v[7:8]
	s_delay_alu instid0(VALU_DEP_1) | instskip(NEXT) | instid1(VALU_DEP_1)
	v_fma_f64 v[9:10], -v[5:6], v[7:8], 1.0
	v_fma_f64 v[7:8], v[7:8], v[9:10], v[7:8]
	s_delay_alu instid0(VALU_DEP_1) | instskip(NEXT) | instid1(VALU_DEP_1)
	v_mul_f64_e32 v[9:10], v[11:12], v[7:8]
	v_fma_f64 v[5:6], -v[5:6], v[9:10], v[11:12]
	s_wait_alu 0xfffd
	s_delay_alu instid0(VALU_DEP_1) | instskip(NEXT) | instid1(VALU_DEP_1)
	v_div_fmas_f64 v[5:6], v[5:6], v[7:8], v[9:10]
	v_div_fixup_f64 v[3:4], v[5:6], v[3:4], 1.0
                                        ; implicit-def: $vgpr5_vgpr6
	s_delay_alu instid0(VALU_DEP_1) | instskip(SKIP_1) | instid1(VALU_DEP_2)
	v_mul_f64_e32 v[1:2], v[1:2], v[3:4]
	v_xor_b32_e32 v4, 0x80000000, v4
	v_xor_b32_e32 v10, 0x80000000, v2
	s_delay_alu instid0(VALU_DEP_3)
	v_mov_b32_e32 v9, v1
.LBB116_15:
	s_wait_alu 0xfffe
	s_and_not1_saveexec_b32 s1, s1
	s_cbranch_execz .LBB116_17
; %bb.16:
	v_div_scale_f64 v[1:2], null, v[5:6], v[5:6], v[7:8]
	v_div_scale_f64 v[11:12], vcc_lo, v[7:8], v[5:6], v[7:8]
	s_delay_alu instid0(VALU_DEP_2) | instskip(NEXT) | instid1(TRANS32_DEP_1)
	v_rcp_f64_e32 v[3:4], v[1:2]
	v_fma_f64 v[9:10], -v[1:2], v[3:4], 1.0
	s_delay_alu instid0(VALU_DEP_1) | instskip(NEXT) | instid1(VALU_DEP_1)
	v_fma_f64 v[3:4], v[3:4], v[9:10], v[3:4]
	v_fma_f64 v[9:10], -v[1:2], v[3:4], 1.0
	s_delay_alu instid0(VALU_DEP_1) | instskip(NEXT) | instid1(VALU_DEP_1)
	v_fma_f64 v[3:4], v[3:4], v[9:10], v[3:4]
	v_mul_f64_e32 v[9:10], v[11:12], v[3:4]
	s_delay_alu instid0(VALU_DEP_1) | instskip(SKIP_1) | instid1(VALU_DEP_1)
	v_fma_f64 v[1:2], -v[1:2], v[9:10], v[11:12]
	s_wait_alu 0xfffd
	v_div_fmas_f64 v[1:2], v[1:2], v[3:4], v[9:10]
	s_delay_alu instid0(VALU_DEP_1) | instskip(NEXT) | instid1(VALU_DEP_1)
	v_div_fixup_f64 v[3:4], v[1:2], v[5:6], v[7:8]
	v_fma_f64 v[1:2], v[7:8], v[3:4], v[5:6]
	s_delay_alu instid0(VALU_DEP_1) | instskip(NEXT) | instid1(VALU_DEP_1)
	v_div_scale_f64 v[5:6], null, v[1:2], v[1:2], 1.0
	v_rcp_f64_e32 v[7:8], v[5:6]
	s_delay_alu instid0(TRANS32_DEP_1) | instskip(NEXT) | instid1(VALU_DEP_1)
	v_fma_f64 v[9:10], -v[5:6], v[7:8], 1.0
	v_fma_f64 v[7:8], v[7:8], v[9:10], v[7:8]
	s_delay_alu instid0(VALU_DEP_1) | instskip(NEXT) | instid1(VALU_DEP_1)
	v_fma_f64 v[9:10], -v[5:6], v[7:8], 1.0
	v_fma_f64 v[7:8], v[7:8], v[9:10], v[7:8]
	v_div_scale_f64 v[9:10], vcc_lo, 1.0, v[1:2], 1.0
	s_delay_alu instid0(VALU_DEP_1) | instskip(NEXT) | instid1(VALU_DEP_1)
	v_mul_f64_e32 v[11:12], v[9:10], v[7:8]
	v_fma_f64 v[5:6], -v[5:6], v[11:12], v[9:10]
	s_wait_alu 0xfffd
	s_delay_alu instid0(VALU_DEP_1) | instskip(NEXT) | instid1(VALU_DEP_1)
	v_div_fmas_f64 v[5:6], v[5:6], v[7:8], v[11:12]
	v_div_fixup_f64 v[1:2], v[5:6], v[1:2], 1.0
	s_delay_alu instid0(VALU_DEP_1)
	v_mul_f64_e64 v[3:4], v[3:4], -v[1:2]
	v_xor_b32_e32 v10, 0x80000000, v2
	v_mov_b32_e32 v9, v1
.LBB116_17:
	s_wait_alu 0xfffe
	s_or_b32 exec_lo, exec_lo, s1
	scratch_store_b128 v14, v[1:4], off
	scratch_load_b128 v[15:18], off, s15
	v_xor_b32_e32 v12, 0x80000000, v4
	v_mov_b32_e32 v11, v3
	v_add_nc_u32_e32 v5, 0x350, v13
	ds_store_b128 v13, v[9:12]
	s_wait_loadcnt 0x0
	ds_store_b128 v13, v[15:18] offset:848
	s_wait_storecnt_dscnt 0x0
	s_barrier_signal -1
	s_barrier_wait -1
	global_inv scope:SCOPE_SE
	s_and_saveexec_b32 s1, s0
	s_cbranch_execz .LBB116_19
; %bb.18:
	scratch_load_b128 v[1:4], v14, off
	ds_load_b128 v[6:9], v5
	v_mov_b32_e32 v10, 0
	ds_load_b128 v[15:18], v10 offset:16
	s_wait_loadcnt_dscnt 0x1
	v_mul_f64_e32 v[10:11], v[6:7], v[3:4]
	v_mul_f64_e32 v[3:4], v[8:9], v[3:4]
	s_delay_alu instid0(VALU_DEP_2) | instskip(NEXT) | instid1(VALU_DEP_2)
	v_fma_f64 v[8:9], v[8:9], v[1:2], v[10:11]
	v_fma_f64 v[1:2], v[6:7], v[1:2], -v[3:4]
	s_delay_alu instid0(VALU_DEP_2) | instskip(NEXT) | instid1(VALU_DEP_2)
	v_add_f64_e32 v[3:4], 0, v[8:9]
	v_add_f64_e32 v[1:2], 0, v[1:2]
	s_wait_dscnt 0x0
	s_delay_alu instid0(VALU_DEP_2) | instskip(NEXT) | instid1(VALU_DEP_2)
	v_mul_f64_e32 v[6:7], v[3:4], v[17:18]
	v_mul_f64_e32 v[8:9], v[1:2], v[17:18]
	s_delay_alu instid0(VALU_DEP_2) | instskip(NEXT) | instid1(VALU_DEP_2)
	v_fma_f64 v[1:2], v[1:2], v[15:16], -v[6:7]
	v_fma_f64 v[3:4], v[3:4], v[15:16], v[8:9]
	scratch_store_b128 off, v[1:4], off offset:32
.LBB116_19:
	s_wait_alu 0xfffe
	s_or_b32 exec_lo, exec_lo, s1
	s_wait_loadcnt 0x0
	s_wait_storecnt 0x0
	s_barrier_signal -1
	s_barrier_wait -1
	global_inv scope:SCOPE_SE
	scratch_load_b128 v[1:4], off, s13
	s_mov_b32 s1, exec_lo
	s_wait_loadcnt 0x0
	ds_store_b128 v5, v[1:4]
	s_wait_dscnt 0x0
	s_barrier_signal -1
	s_barrier_wait -1
	global_inv scope:SCOPE_SE
	v_cmpx_gt_u32_e32 2, v0
	s_cbranch_execz .LBB116_23
; %bb.20:
	scratch_load_b128 v[1:4], v14, off
	ds_load_b128 v[6:9], v5
	s_wait_loadcnt_dscnt 0x0
	v_mul_f64_e32 v[10:11], v[8:9], v[3:4]
	v_mul_f64_e32 v[3:4], v[6:7], v[3:4]
	s_delay_alu instid0(VALU_DEP_2) | instskip(NEXT) | instid1(VALU_DEP_2)
	v_fma_f64 v[6:7], v[6:7], v[1:2], -v[10:11]
	v_fma_f64 v[3:4], v[8:9], v[1:2], v[3:4]
	s_delay_alu instid0(VALU_DEP_2) | instskip(NEXT) | instid1(VALU_DEP_2)
	v_add_f64_e32 v[1:2], 0, v[6:7]
	v_add_f64_e32 v[3:4], 0, v[3:4]
	s_and_saveexec_b32 s62, s0
	s_cbranch_execz .LBB116_22
; %bb.21:
	scratch_load_b128 v[6:9], off, off offset:32
	v_mov_b32_e32 v10, 0
	ds_load_b128 v[15:18], v10 offset:864
	s_wait_loadcnt_dscnt 0x0
	v_mul_f64_e32 v[10:11], v[15:16], v[8:9]
	v_mul_f64_e32 v[8:9], v[17:18], v[8:9]
	s_delay_alu instid0(VALU_DEP_2) | instskip(NEXT) | instid1(VALU_DEP_2)
	v_fma_f64 v[10:11], v[17:18], v[6:7], v[10:11]
	v_fma_f64 v[6:7], v[15:16], v[6:7], -v[8:9]
	s_delay_alu instid0(VALU_DEP_2) | instskip(NEXT) | instid1(VALU_DEP_2)
	v_add_f64_e32 v[3:4], v[3:4], v[10:11]
	v_add_f64_e32 v[1:2], v[1:2], v[6:7]
.LBB116_22:
	s_or_b32 exec_lo, exec_lo, s62
	v_mov_b32_e32 v6, 0
	ds_load_b128 v[6:9], v6 offset:32
	s_wait_dscnt 0x0
	v_mul_f64_e32 v[10:11], v[3:4], v[8:9]
	v_mul_f64_e32 v[8:9], v[1:2], v[8:9]
	s_delay_alu instid0(VALU_DEP_2) | instskip(NEXT) | instid1(VALU_DEP_2)
	v_fma_f64 v[1:2], v[1:2], v[6:7], -v[10:11]
	v_fma_f64 v[3:4], v[3:4], v[6:7], v[8:9]
	scratch_store_b128 off, v[1:4], off offset:48
.LBB116_23:
	s_wait_alu 0xfffe
	s_or_b32 exec_lo, exec_lo, s1
	s_wait_loadcnt 0x0
	s_wait_storecnt 0x0
	s_barrier_signal -1
	s_barrier_wait -1
	global_inv scope:SCOPE_SE
	scratch_load_b128 v[1:4], off, s10
	v_add_nc_u32_e32 v6, -1, v0
	s_mov_b32 s0, exec_lo
	s_wait_loadcnt 0x0
	ds_store_b128 v5, v[1:4]
	s_wait_dscnt 0x0
	s_barrier_signal -1
	s_barrier_wait -1
	global_inv scope:SCOPE_SE
	v_cmpx_gt_u32_e32 3, v0
	s_cbranch_execz .LBB116_27
; %bb.24:
	v_dual_mov_b32 v1, 0 :: v_dual_add_nc_u32 v8, 0x350, v13
	v_mov_b32_e32 v3, 0
	v_dual_mov_b32 v2, 0 :: v_dual_add_nc_u32 v7, -1, v0
	v_mov_b32_e32 v4, 0
	v_or_b32_e32 v9, 8, v14
	s_mov_b32 s1, 0
.LBB116_25:                             ; =>This Inner Loop Header: Depth=1
	scratch_load_b128 v[15:18], v9, off offset:-8
	ds_load_b128 v[19:22], v8
	v_add_nc_u32_e32 v7, 1, v7
	v_add_nc_u32_e32 v8, 16, v8
	v_add_nc_u32_e32 v9, 16, v9
	s_delay_alu instid0(VALU_DEP_3)
	v_cmp_lt_u32_e32 vcc_lo, 1, v7
	s_wait_alu 0xfffe
	s_or_b32 s1, vcc_lo, s1
	s_wait_loadcnt_dscnt 0x0
	v_mul_f64_e32 v[10:11], v[21:22], v[17:18]
	v_mul_f64_e32 v[17:18], v[19:20], v[17:18]
	s_delay_alu instid0(VALU_DEP_2) | instskip(NEXT) | instid1(VALU_DEP_2)
	v_fma_f64 v[10:11], v[19:20], v[15:16], -v[10:11]
	v_fma_f64 v[15:16], v[21:22], v[15:16], v[17:18]
	s_delay_alu instid0(VALU_DEP_2) | instskip(NEXT) | instid1(VALU_DEP_2)
	v_add_f64_e32 v[3:4], v[3:4], v[10:11]
	v_add_f64_e32 v[1:2], v[1:2], v[15:16]
	s_wait_alu 0xfffe
	s_and_not1_b32 exec_lo, exec_lo, s1
	s_cbranch_execnz .LBB116_25
; %bb.26:
	s_or_b32 exec_lo, exec_lo, s1
	v_mov_b32_e32 v7, 0
	ds_load_b128 v[7:10], v7 offset:48
	s_wait_dscnt 0x0
	v_mul_f64_e32 v[11:12], v[1:2], v[9:10]
	v_mul_f64_e32 v[15:16], v[3:4], v[9:10]
	s_delay_alu instid0(VALU_DEP_2) | instskip(NEXT) | instid1(VALU_DEP_2)
	v_fma_f64 v[9:10], v[3:4], v[7:8], -v[11:12]
	v_fma_f64 v[11:12], v[1:2], v[7:8], v[15:16]
	scratch_store_b128 off, v[9:12], off offset:64
.LBB116_27:
	s_wait_alu 0xfffe
	s_or_b32 exec_lo, exec_lo, s0
	s_wait_loadcnt 0x0
	s_wait_storecnt 0x0
	s_barrier_signal -1
	s_barrier_wait -1
	global_inv scope:SCOPE_SE
	scratch_load_b128 v[1:4], off, s4
	s_mov_b32 s0, exec_lo
	s_wait_loadcnt 0x0
	ds_store_b128 v5, v[1:4]
	s_wait_dscnt 0x0
	s_barrier_signal -1
	s_barrier_wait -1
	global_inv scope:SCOPE_SE
	v_cmpx_gt_u32_e32 4, v0
	s_cbranch_execz .LBB116_31
; %bb.28:
	v_dual_mov_b32 v1, 0 :: v_dual_add_nc_u32 v8, 0x350, v13
	v_mov_b32_e32 v3, 0
	v_dual_mov_b32 v2, 0 :: v_dual_add_nc_u32 v7, -1, v0
	v_mov_b32_e32 v4, 0
	v_or_b32_e32 v9, 8, v14
	s_mov_b32 s1, 0
.LBB116_29:                             ; =>This Inner Loop Header: Depth=1
	scratch_load_b128 v[15:18], v9, off offset:-8
	ds_load_b128 v[19:22], v8
	v_add_nc_u32_e32 v7, 1, v7
	v_add_nc_u32_e32 v8, 16, v8
	v_add_nc_u32_e32 v9, 16, v9
	s_delay_alu instid0(VALU_DEP_3)
	v_cmp_lt_u32_e32 vcc_lo, 2, v7
	s_wait_alu 0xfffe
	s_or_b32 s1, vcc_lo, s1
	s_wait_loadcnt_dscnt 0x0
	v_mul_f64_e32 v[10:11], v[21:22], v[17:18]
	v_mul_f64_e32 v[17:18], v[19:20], v[17:18]
	s_delay_alu instid0(VALU_DEP_2) | instskip(NEXT) | instid1(VALU_DEP_2)
	v_fma_f64 v[10:11], v[19:20], v[15:16], -v[10:11]
	v_fma_f64 v[15:16], v[21:22], v[15:16], v[17:18]
	s_delay_alu instid0(VALU_DEP_2) | instskip(NEXT) | instid1(VALU_DEP_2)
	v_add_f64_e32 v[3:4], v[3:4], v[10:11]
	v_add_f64_e32 v[1:2], v[1:2], v[15:16]
	s_wait_alu 0xfffe
	s_and_not1_b32 exec_lo, exec_lo, s1
	s_cbranch_execnz .LBB116_29
; %bb.30:
	s_or_b32 exec_lo, exec_lo, s1
	v_mov_b32_e32 v7, 0
	ds_load_b128 v[7:10], v7 offset:64
	s_wait_dscnt 0x0
	v_mul_f64_e32 v[11:12], v[1:2], v[9:10]
	v_mul_f64_e32 v[15:16], v[3:4], v[9:10]
	s_delay_alu instid0(VALU_DEP_2) | instskip(NEXT) | instid1(VALU_DEP_2)
	v_fma_f64 v[9:10], v[3:4], v[7:8], -v[11:12]
	v_fma_f64 v[11:12], v[1:2], v[7:8], v[15:16]
	scratch_store_b128 off, v[9:12], off offset:80
.LBB116_31:
	s_wait_alu 0xfffe
	s_or_b32 exec_lo, exec_lo, s0
	s_wait_loadcnt 0x0
	s_wait_storecnt 0x0
	s_barrier_signal -1
	s_barrier_wait -1
	global_inv scope:SCOPE_SE
	scratch_load_b128 v[1:4], off, s61
	;; [unrolled: 58-line block ×19, first 2 shown]
	s_mov_b32 s0, exec_lo
	s_wait_loadcnt 0x0
	ds_store_b128 v5, v[1:4]
	s_wait_dscnt 0x0
	s_barrier_signal -1
	s_barrier_wait -1
	global_inv scope:SCOPE_SE
	v_cmpx_gt_u32_e32 22, v0
	s_cbranch_execz .LBB116_103
; %bb.100:
	v_dual_mov_b32 v1, 0 :: v_dual_add_nc_u32 v8, 0x350, v13
	v_mov_b32_e32 v3, 0
	v_dual_mov_b32 v2, 0 :: v_dual_add_nc_u32 v7, -1, v0
	v_mov_b32_e32 v4, 0
	v_or_b32_e32 v9, 8, v14
	s_mov_b32 s1, 0
.LBB116_101:                            ; =>This Inner Loop Header: Depth=1
	scratch_load_b128 v[15:18], v9, off offset:-8
	ds_load_b128 v[19:22], v8
	v_add_nc_u32_e32 v7, 1, v7
	v_add_nc_u32_e32 v8, 16, v8
	v_add_nc_u32_e32 v9, 16, v9
	s_delay_alu instid0(VALU_DEP_3)
	v_cmp_lt_u32_e32 vcc_lo, 20, v7
	s_wait_alu 0xfffe
	s_or_b32 s1, vcc_lo, s1
	s_wait_loadcnt_dscnt 0x0
	v_mul_f64_e32 v[10:11], v[21:22], v[17:18]
	v_mul_f64_e32 v[17:18], v[19:20], v[17:18]
	s_delay_alu instid0(VALU_DEP_2) | instskip(NEXT) | instid1(VALU_DEP_2)
	v_fma_f64 v[10:11], v[19:20], v[15:16], -v[10:11]
	v_fma_f64 v[15:16], v[21:22], v[15:16], v[17:18]
	s_delay_alu instid0(VALU_DEP_2) | instskip(NEXT) | instid1(VALU_DEP_2)
	v_add_f64_e32 v[3:4], v[3:4], v[10:11]
	v_add_f64_e32 v[1:2], v[1:2], v[15:16]
	s_wait_alu 0xfffe
	s_and_not1_b32 exec_lo, exec_lo, s1
	s_cbranch_execnz .LBB116_101
; %bb.102:
	s_or_b32 exec_lo, exec_lo, s1
	v_mov_b32_e32 v7, 0
	ds_load_b128 v[7:10], v7 offset:352
	s_wait_dscnt 0x0
	v_mul_f64_e32 v[11:12], v[1:2], v[9:10]
	v_mul_f64_e32 v[15:16], v[3:4], v[9:10]
	s_delay_alu instid0(VALU_DEP_2) | instskip(NEXT) | instid1(VALU_DEP_2)
	v_fma_f64 v[9:10], v[3:4], v[7:8], -v[11:12]
	v_fma_f64 v[11:12], v[1:2], v[7:8], v[15:16]
	scratch_store_b128 off, v[9:12], off offset:368
.LBB116_103:
	s_wait_alu 0xfffe
	s_or_b32 exec_lo, exec_lo, s0
	s_wait_loadcnt 0x0
	s_wait_storecnt 0x0
	s_barrier_signal -1
	s_barrier_wait -1
	global_inv scope:SCOPE_SE
	scratch_load_b128 v[1:4], off, s43
	s_mov_b32 s0, exec_lo
	s_wait_loadcnt 0x0
	ds_store_b128 v5, v[1:4]
	s_wait_dscnt 0x0
	s_barrier_signal -1
	s_barrier_wait -1
	global_inv scope:SCOPE_SE
	v_cmpx_gt_u32_e32 23, v0
	s_cbranch_execz .LBB116_107
; %bb.104:
	v_dual_mov_b32 v1, 0 :: v_dual_add_nc_u32 v8, 0x350, v13
	v_mov_b32_e32 v3, 0
	v_dual_mov_b32 v2, 0 :: v_dual_add_nc_u32 v7, -1, v0
	v_mov_b32_e32 v4, 0
	v_or_b32_e32 v9, 8, v14
	s_mov_b32 s1, 0
.LBB116_105:                            ; =>This Inner Loop Header: Depth=1
	scratch_load_b128 v[15:18], v9, off offset:-8
	ds_load_b128 v[19:22], v8
	v_add_nc_u32_e32 v7, 1, v7
	v_add_nc_u32_e32 v8, 16, v8
	v_add_nc_u32_e32 v9, 16, v9
	s_delay_alu instid0(VALU_DEP_3)
	v_cmp_lt_u32_e32 vcc_lo, 21, v7
	s_wait_alu 0xfffe
	s_or_b32 s1, vcc_lo, s1
	s_wait_loadcnt_dscnt 0x0
	v_mul_f64_e32 v[10:11], v[21:22], v[17:18]
	v_mul_f64_e32 v[17:18], v[19:20], v[17:18]
	s_delay_alu instid0(VALU_DEP_2) | instskip(NEXT) | instid1(VALU_DEP_2)
	v_fma_f64 v[10:11], v[19:20], v[15:16], -v[10:11]
	v_fma_f64 v[15:16], v[21:22], v[15:16], v[17:18]
	s_delay_alu instid0(VALU_DEP_2) | instskip(NEXT) | instid1(VALU_DEP_2)
	v_add_f64_e32 v[3:4], v[3:4], v[10:11]
	v_add_f64_e32 v[1:2], v[1:2], v[15:16]
	s_wait_alu 0xfffe
	s_and_not1_b32 exec_lo, exec_lo, s1
	s_cbranch_execnz .LBB116_105
; %bb.106:
	s_or_b32 exec_lo, exec_lo, s1
	v_mov_b32_e32 v7, 0
	ds_load_b128 v[7:10], v7 offset:368
	s_wait_dscnt 0x0
	v_mul_f64_e32 v[11:12], v[1:2], v[9:10]
	v_mul_f64_e32 v[15:16], v[3:4], v[9:10]
	s_delay_alu instid0(VALU_DEP_2) | instskip(NEXT) | instid1(VALU_DEP_2)
	v_fma_f64 v[9:10], v[3:4], v[7:8], -v[11:12]
	v_fma_f64 v[11:12], v[1:2], v[7:8], v[15:16]
	scratch_store_b128 off, v[9:12], off offset:384
.LBB116_107:
	s_wait_alu 0xfffe
	s_or_b32 exec_lo, exec_lo, s0
	s_wait_loadcnt 0x0
	s_wait_storecnt 0x0
	s_barrier_signal -1
	s_barrier_wait -1
	global_inv scope:SCOPE_SE
	scratch_load_b128 v[1:4], off, s42
	s_mov_b32 s0, exec_lo
	s_wait_loadcnt 0x0
	ds_store_b128 v5, v[1:4]
	s_wait_dscnt 0x0
	s_barrier_signal -1
	s_barrier_wait -1
	global_inv scope:SCOPE_SE
	v_cmpx_gt_u32_e32 24, v0
	s_cbranch_execz .LBB116_111
; %bb.108:
	v_dual_mov_b32 v1, 0 :: v_dual_add_nc_u32 v8, 0x350, v13
	v_mov_b32_e32 v3, 0
	v_dual_mov_b32 v2, 0 :: v_dual_add_nc_u32 v7, -1, v0
	v_mov_b32_e32 v4, 0
	v_or_b32_e32 v9, 8, v14
	s_mov_b32 s1, 0
.LBB116_109:                            ; =>This Inner Loop Header: Depth=1
	scratch_load_b128 v[15:18], v9, off offset:-8
	ds_load_b128 v[19:22], v8
	v_add_nc_u32_e32 v7, 1, v7
	v_add_nc_u32_e32 v8, 16, v8
	v_add_nc_u32_e32 v9, 16, v9
	s_delay_alu instid0(VALU_DEP_3)
	v_cmp_lt_u32_e32 vcc_lo, 22, v7
	s_wait_alu 0xfffe
	s_or_b32 s1, vcc_lo, s1
	s_wait_loadcnt_dscnt 0x0
	v_mul_f64_e32 v[10:11], v[21:22], v[17:18]
	v_mul_f64_e32 v[17:18], v[19:20], v[17:18]
	s_delay_alu instid0(VALU_DEP_2) | instskip(NEXT) | instid1(VALU_DEP_2)
	v_fma_f64 v[10:11], v[19:20], v[15:16], -v[10:11]
	v_fma_f64 v[15:16], v[21:22], v[15:16], v[17:18]
	s_delay_alu instid0(VALU_DEP_2) | instskip(NEXT) | instid1(VALU_DEP_2)
	v_add_f64_e32 v[3:4], v[3:4], v[10:11]
	v_add_f64_e32 v[1:2], v[1:2], v[15:16]
	s_wait_alu 0xfffe
	s_and_not1_b32 exec_lo, exec_lo, s1
	s_cbranch_execnz .LBB116_109
; %bb.110:
	s_or_b32 exec_lo, exec_lo, s1
	v_mov_b32_e32 v7, 0
	ds_load_b128 v[7:10], v7 offset:384
	s_wait_dscnt 0x0
	v_mul_f64_e32 v[11:12], v[1:2], v[9:10]
	v_mul_f64_e32 v[15:16], v[3:4], v[9:10]
	s_delay_alu instid0(VALU_DEP_2) | instskip(NEXT) | instid1(VALU_DEP_2)
	v_fma_f64 v[9:10], v[3:4], v[7:8], -v[11:12]
	v_fma_f64 v[11:12], v[1:2], v[7:8], v[15:16]
	scratch_store_b128 off, v[9:12], off offset:400
.LBB116_111:
	s_wait_alu 0xfffe
	s_or_b32 exec_lo, exec_lo, s0
	s_wait_loadcnt 0x0
	s_wait_storecnt 0x0
	s_barrier_signal -1
	s_barrier_wait -1
	global_inv scope:SCOPE_SE
	scratch_load_b128 v[1:4], off, s41
	s_mov_b32 s0, exec_lo
	s_wait_loadcnt 0x0
	ds_store_b128 v5, v[1:4]
	s_wait_dscnt 0x0
	s_barrier_signal -1
	s_barrier_wait -1
	global_inv scope:SCOPE_SE
	v_cmpx_gt_u32_e32 25, v0
	s_cbranch_execz .LBB116_115
; %bb.112:
	v_dual_mov_b32 v1, 0 :: v_dual_add_nc_u32 v8, 0x350, v13
	v_mov_b32_e32 v3, 0
	v_dual_mov_b32 v2, 0 :: v_dual_add_nc_u32 v7, -1, v0
	v_mov_b32_e32 v4, 0
	v_or_b32_e32 v9, 8, v14
	s_mov_b32 s1, 0
.LBB116_113:                            ; =>This Inner Loop Header: Depth=1
	scratch_load_b128 v[15:18], v9, off offset:-8
	ds_load_b128 v[19:22], v8
	v_add_nc_u32_e32 v7, 1, v7
	v_add_nc_u32_e32 v8, 16, v8
	v_add_nc_u32_e32 v9, 16, v9
	s_delay_alu instid0(VALU_DEP_3)
	v_cmp_lt_u32_e32 vcc_lo, 23, v7
	s_wait_alu 0xfffe
	s_or_b32 s1, vcc_lo, s1
	s_wait_loadcnt_dscnt 0x0
	v_mul_f64_e32 v[10:11], v[21:22], v[17:18]
	v_mul_f64_e32 v[17:18], v[19:20], v[17:18]
	s_delay_alu instid0(VALU_DEP_2) | instskip(NEXT) | instid1(VALU_DEP_2)
	v_fma_f64 v[10:11], v[19:20], v[15:16], -v[10:11]
	v_fma_f64 v[15:16], v[21:22], v[15:16], v[17:18]
	s_delay_alu instid0(VALU_DEP_2) | instskip(NEXT) | instid1(VALU_DEP_2)
	v_add_f64_e32 v[3:4], v[3:4], v[10:11]
	v_add_f64_e32 v[1:2], v[1:2], v[15:16]
	s_wait_alu 0xfffe
	s_and_not1_b32 exec_lo, exec_lo, s1
	s_cbranch_execnz .LBB116_113
; %bb.114:
	s_or_b32 exec_lo, exec_lo, s1
	v_mov_b32_e32 v7, 0
	ds_load_b128 v[7:10], v7 offset:400
	s_wait_dscnt 0x0
	v_mul_f64_e32 v[11:12], v[1:2], v[9:10]
	v_mul_f64_e32 v[15:16], v[3:4], v[9:10]
	s_delay_alu instid0(VALU_DEP_2) | instskip(NEXT) | instid1(VALU_DEP_2)
	v_fma_f64 v[9:10], v[3:4], v[7:8], -v[11:12]
	v_fma_f64 v[11:12], v[1:2], v[7:8], v[15:16]
	scratch_store_b128 off, v[9:12], off offset:416
.LBB116_115:
	s_wait_alu 0xfffe
	s_or_b32 exec_lo, exec_lo, s0
	s_wait_loadcnt 0x0
	s_wait_storecnt 0x0
	s_barrier_signal -1
	s_barrier_wait -1
	global_inv scope:SCOPE_SE
	scratch_load_b128 v[1:4], off, s40
	s_mov_b32 s0, exec_lo
	s_wait_loadcnt 0x0
	ds_store_b128 v5, v[1:4]
	s_wait_dscnt 0x0
	s_barrier_signal -1
	s_barrier_wait -1
	global_inv scope:SCOPE_SE
	v_cmpx_gt_u32_e32 26, v0
	s_cbranch_execz .LBB116_119
; %bb.116:
	v_dual_mov_b32 v1, 0 :: v_dual_add_nc_u32 v8, 0x350, v13
	v_mov_b32_e32 v3, 0
	v_dual_mov_b32 v2, 0 :: v_dual_add_nc_u32 v7, -1, v0
	v_mov_b32_e32 v4, 0
	v_or_b32_e32 v9, 8, v14
	s_mov_b32 s1, 0
.LBB116_117:                            ; =>This Inner Loop Header: Depth=1
	scratch_load_b128 v[15:18], v9, off offset:-8
	ds_load_b128 v[19:22], v8
	v_add_nc_u32_e32 v7, 1, v7
	v_add_nc_u32_e32 v8, 16, v8
	v_add_nc_u32_e32 v9, 16, v9
	s_delay_alu instid0(VALU_DEP_3)
	v_cmp_lt_u32_e32 vcc_lo, 24, v7
	s_wait_alu 0xfffe
	s_or_b32 s1, vcc_lo, s1
	s_wait_loadcnt_dscnt 0x0
	v_mul_f64_e32 v[10:11], v[21:22], v[17:18]
	v_mul_f64_e32 v[17:18], v[19:20], v[17:18]
	s_delay_alu instid0(VALU_DEP_2) | instskip(NEXT) | instid1(VALU_DEP_2)
	v_fma_f64 v[10:11], v[19:20], v[15:16], -v[10:11]
	v_fma_f64 v[15:16], v[21:22], v[15:16], v[17:18]
	s_delay_alu instid0(VALU_DEP_2) | instskip(NEXT) | instid1(VALU_DEP_2)
	v_add_f64_e32 v[3:4], v[3:4], v[10:11]
	v_add_f64_e32 v[1:2], v[1:2], v[15:16]
	s_wait_alu 0xfffe
	s_and_not1_b32 exec_lo, exec_lo, s1
	s_cbranch_execnz .LBB116_117
; %bb.118:
	s_or_b32 exec_lo, exec_lo, s1
	v_mov_b32_e32 v7, 0
	ds_load_b128 v[7:10], v7 offset:416
	s_wait_dscnt 0x0
	v_mul_f64_e32 v[11:12], v[1:2], v[9:10]
	v_mul_f64_e32 v[15:16], v[3:4], v[9:10]
	s_delay_alu instid0(VALU_DEP_2) | instskip(NEXT) | instid1(VALU_DEP_2)
	v_fma_f64 v[9:10], v[3:4], v[7:8], -v[11:12]
	v_fma_f64 v[11:12], v[1:2], v[7:8], v[15:16]
	scratch_store_b128 off, v[9:12], off offset:432
.LBB116_119:
	s_wait_alu 0xfffe
	s_or_b32 exec_lo, exec_lo, s0
	s_wait_loadcnt 0x0
	s_wait_storecnt 0x0
	s_barrier_signal -1
	s_barrier_wait -1
	global_inv scope:SCOPE_SE
	scratch_load_b128 v[1:4], off, s39
	s_mov_b32 s0, exec_lo
	s_wait_loadcnt 0x0
	ds_store_b128 v5, v[1:4]
	s_wait_dscnt 0x0
	s_barrier_signal -1
	s_barrier_wait -1
	global_inv scope:SCOPE_SE
	v_cmpx_gt_u32_e32 27, v0
	s_cbranch_execz .LBB116_123
; %bb.120:
	v_dual_mov_b32 v1, 0 :: v_dual_add_nc_u32 v8, 0x350, v13
	v_mov_b32_e32 v3, 0
	v_dual_mov_b32 v2, 0 :: v_dual_add_nc_u32 v7, -1, v0
	v_mov_b32_e32 v4, 0
	v_or_b32_e32 v9, 8, v14
	s_mov_b32 s1, 0
.LBB116_121:                            ; =>This Inner Loop Header: Depth=1
	scratch_load_b128 v[15:18], v9, off offset:-8
	ds_load_b128 v[19:22], v8
	v_add_nc_u32_e32 v7, 1, v7
	v_add_nc_u32_e32 v8, 16, v8
	v_add_nc_u32_e32 v9, 16, v9
	s_delay_alu instid0(VALU_DEP_3)
	v_cmp_lt_u32_e32 vcc_lo, 25, v7
	s_wait_alu 0xfffe
	s_or_b32 s1, vcc_lo, s1
	s_wait_loadcnt_dscnt 0x0
	v_mul_f64_e32 v[10:11], v[21:22], v[17:18]
	v_mul_f64_e32 v[17:18], v[19:20], v[17:18]
	s_delay_alu instid0(VALU_DEP_2) | instskip(NEXT) | instid1(VALU_DEP_2)
	v_fma_f64 v[10:11], v[19:20], v[15:16], -v[10:11]
	v_fma_f64 v[15:16], v[21:22], v[15:16], v[17:18]
	s_delay_alu instid0(VALU_DEP_2) | instskip(NEXT) | instid1(VALU_DEP_2)
	v_add_f64_e32 v[3:4], v[3:4], v[10:11]
	v_add_f64_e32 v[1:2], v[1:2], v[15:16]
	s_wait_alu 0xfffe
	s_and_not1_b32 exec_lo, exec_lo, s1
	s_cbranch_execnz .LBB116_121
; %bb.122:
	s_or_b32 exec_lo, exec_lo, s1
	v_mov_b32_e32 v7, 0
	ds_load_b128 v[7:10], v7 offset:432
	s_wait_dscnt 0x0
	v_mul_f64_e32 v[11:12], v[1:2], v[9:10]
	v_mul_f64_e32 v[15:16], v[3:4], v[9:10]
	s_delay_alu instid0(VALU_DEP_2) | instskip(NEXT) | instid1(VALU_DEP_2)
	v_fma_f64 v[9:10], v[3:4], v[7:8], -v[11:12]
	v_fma_f64 v[11:12], v[1:2], v[7:8], v[15:16]
	scratch_store_b128 off, v[9:12], off offset:448
.LBB116_123:
	s_wait_alu 0xfffe
	s_or_b32 exec_lo, exec_lo, s0
	s_wait_loadcnt 0x0
	s_wait_storecnt 0x0
	s_barrier_signal -1
	s_barrier_wait -1
	global_inv scope:SCOPE_SE
	scratch_load_b128 v[1:4], off, s38
	s_mov_b32 s0, exec_lo
	s_wait_loadcnt 0x0
	ds_store_b128 v5, v[1:4]
	s_wait_dscnt 0x0
	s_barrier_signal -1
	s_barrier_wait -1
	global_inv scope:SCOPE_SE
	v_cmpx_gt_u32_e32 28, v0
	s_cbranch_execz .LBB116_127
; %bb.124:
	v_dual_mov_b32 v1, 0 :: v_dual_add_nc_u32 v8, 0x350, v13
	v_mov_b32_e32 v3, 0
	v_dual_mov_b32 v2, 0 :: v_dual_add_nc_u32 v7, -1, v0
	v_mov_b32_e32 v4, 0
	v_or_b32_e32 v9, 8, v14
	s_mov_b32 s1, 0
.LBB116_125:                            ; =>This Inner Loop Header: Depth=1
	scratch_load_b128 v[15:18], v9, off offset:-8
	ds_load_b128 v[19:22], v8
	v_add_nc_u32_e32 v7, 1, v7
	v_add_nc_u32_e32 v8, 16, v8
	v_add_nc_u32_e32 v9, 16, v9
	s_delay_alu instid0(VALU_DEP_3)
	v_cmp_lt_u32_e32 vcc_lo, 26, v7
	s_wait_alu 0xfffe
	s_or_b32 s1, vcc_lo, s1
	s_wait_loadcnt_dscnt 0x0
	v_mul_f64_e32 v[10:11], v[21:22], v[17:18]
	v_mul_f64_e32 v[17:18], v[19:20], v[17:18]
	s_delay_alu instid0(VALU_DEP_2) | instskip(NEXT) | instid1(VALU_DEP_2)
	v_fma_f64 v[10:11], v[19:20], v[15:16], -v[10:11]
	v_fma_f64 v[15:16], v[21:22], v[15:16], v[17:18]
	s_delay_alu instid0(VALU_DEP_2) | instskip(NEXT) | instid1(VALU_DEP_2)
	v_add_f64_e32 v[3:4], v[3:4], v[10:11]
	v_add_f64_e32 v[1:2], v[1:2], v[15:16]
	s_wait_alu 0xfffe
	s_and_not1_b32 exec_lo, exec_lo, s1
	s_cbranch_execnz .LBB116_125
; %bb.126:
	s_or_b32 exec_lo, exec_lo, s1
	v_mov_b32_e32 v7, 0
	ds_load_b128 v[7:10], v7 offset:448
	s_wait_dscnt 0x0
	v_mul_f64_e32 v[11:12], v[1:2], v[9:10]
	v_mul_f64_e32 v[15:16], v[3:4], v[9:10]
	s_delay_alu instid0(VALU_DEP_2) | instskip(NEXT) | instid1(VALU_DEP_2)
	v_fma_f64 v[9:10], v[3:4], v[7:8], -v[11:12]
	v_fma_f64 v[11:12], v[1:2], v[7:8], v[15:16]
	scratch_store_b128 off, v[9:12], off offset:464
.LBB116_127:
	s_wait_alu 0xfffe
	s_or_b32 exec_lo, exec_lo, s0
	s_wait_loadcnt 0x0
	s_wait_storecnt 0x0
	s_barrier_signal -1
	s_barrier_wait -1
	global_inv scope:SCOPE_SE
	scratch_load_b128 v[1:4], off, s37
	s_mov_b32 s0, exec_lo
	s_wait_loadcnt 0x0
	ds_store_b128 v5, v[1:4]
	s_wait_dscnt 0x0
	s_barrier_signal -1
	s_barrier_wait -1
	global_inv scope:SCOPE_SE
	v_cmpx_gt_u32_e32 29, v0
	s_cbranch_execz .LBB116_131
; %bb.128:
	v_dual_mov_b32 v1, 0 :: v_dual_add_nc_u32 v8, 0x350, v13
	v_mov_b32_e32 v3, 0
	v_dual_mov_b32 v2, 0 :: v_dual_add_nc_u32 v7, -1, v0
	v_mov_b32_e32 v4, 0
	v_or_b32_e32 v9, 8, v14
	s_mov_b32 s1, 0
.LBB116_129:                            ; =>This Inner Loop Header: Depth=1
	scratch_load_b128 v[15:18], v9, off offset:-8
	ds_load_b128 v[19:22], v8
	v_add_nc_u32_e32 v7, 1, v7
	v_add_nc_u32_e32 v8, 16, v8
	v_add_nc_u32_e32 v9, 16, v9
	s_delay_alu instid0(VALU_DEP_3)
	v_cmp_lt_u32_e32 vcc_lo, 27, v7
	s_wait_alu 0xfffe
	s_or_b32 s1, vcc_lo, s1
	s_wait_loadcnt_dscnt 0x0
	v_mul_f64_e32 v[10:11], v[21:22], v[17:18]
	v_mul_f64_e32 v[17:18], v[19:20], v[17:18]
	s_delay_alu instid0(VALU_DEP_2) | instskip(NEXT) | instid1(VALU_DEP_2)
	v_fma_f64 v[10:11], v[19:20], v[15:16], -v[10:11]
	v_fma_f64 v[15:16], v[21:22], v[15:16], v[17:18]
	s_delay_alu instid0(VALU_DEP_2) | instskip(NEXT) | instid1(VALU_DEP_2)
	v_add_f64_e32 v[3:4], v[3:4], v[10:11]
	v_add_f64_e32 v[1:2], v[1:2], v[15:16]
	s_wait_alu 0xfffe
	s_and_not1_b32 exec_lo, exec_lo, s1
	s_cbranch_execnz .LBB116_129
; %bb.130:
	s_or_b32 exec_lo, exec_lo, s1
	v_mov_b32_e32 v7, 0
	ds_load_b128 v[7:10], v7 offset:464
	s_wait_dscnt 0x0
	v_mul_f64_e32 v[11:12], v[1:2], v[9:10]
	v_mul_f64_e32 v[15:16], v[3:4], v[9:10]
	s_delay_alu instid0(VALU_DEP_2) | instskip(NEXT) | instid1(VALU_DEP_2)
	v_fma_f64 v[9:10], v[3:4], v[7:8], -v[11:12]
	v_fma_f64 v[11:12], v[1:2], v[7:8], v[15:16]
	scratch_store_b128 off, v[9:12], off offset:480
.LBB116_131:
	s_wait_alu 0xfffe
	s_or_b32 exec_lo, exec_lo, s0
	s_wait_loadcnt 0x0
	s_wait_storecnt 0x0
	s_barrier_signal -1
	s_barrier_wait -1
	global_inv scope:SCOPE_SE
	scratch_load_b128 v[1:4], off, s36
	s_mov_b32 s0, exec_lo
	s_wait_loadcnt 0x0
	ds_store_b128 v5, v[1:4]
	s_wait_dscnt 0x0
	s_barrier_signal -1
	s_barrier_wait -1
	global_inv scope:SCOPE_SE
	v_cmpx_gt_u32_e32 30, v0
	s_cbranch_execz .LBB116_135
; %bb.132:
	v_dual_mov_b32 v1, 0 :: v_dual_add_nc_u32 v8, 0x350, v13
	v_mov_b32_e32 v3, 0
	v_dual_mov_b32 v2, 0 :: v_dual_add_nc_u32 v7, -1, v0
	v_mov_b32_e32 v4, 0
	v_or_b32_e32 v9, 8, v14
	s_mov_b32 s1, 0
.LBB116_133:                            ; =>This Inner Loop Header: Depth=1
	scratch_load_b128 v[15:18], v9, off offset:-8
	ds_load_b128 v[19:22], v8
	v_add_nc_u32_e32 v7, 1, v7
	v_add_nc_u32_e32 v8, 16, v8
	v_add_nc_u32_e32 v9, 16, v9
	s_delay_alu instid0(VALU_DEP_3)
	v_cmp_lt_u32_e32 vcc_lo, 28, v7
	s_wait_alu 0xfffe
	s_or_b32 s1, vcc_lo, s1
	s_wait_loadcnt_dscnt 0x0
	v_mul_f64_e32 v[10:11], v[21:22], v[17:18]
	v_mul_f64_e32 v[17:18], v[19:20], v[17:18]
	s_delay_alu instid0(VALU_DEP_2) | instskip(NEXT) | instid1(VALU_DEP_2)
	v_fma_f64 v[10:11], v[19:20], v[15:16], -v[10:11]
	v_fma_f64 v[15:16], v[21:22], v[15:16], v[17:18]
	s_delay_alu instid0(VALU_DEP_2) | instskip(NEXT) | instid1(VALU_DEP_2)
	v_add_f64_e32 v[3:4], v[3:4], v[10:11]
	v_add_f64_e32 v[1:2], v[1:2], v[15:16]
	s_wait_alu 0xfffe
	s_and_not1_b32 exec_lo, exec_lo, s1
	s_cbranch_execnz .LBB116_133
; %bb.134:
	s_or_b32 exec_lo, exec_lo, s1
	v_mov_b32_e32 v7, 0
	ds_load_b128 v[7:10], v7 offset:480
	s_wait_dscnt 0x0
	v_mul_f64_e32 v[11:12], v[1:2], v[9:10]
	v_mul_f64_e32 v[15:16], v[3:4], v[9:10]
	s_delay_alu instid0(VALU_DEP_2) | instskip(NEXT) | instid1(VALU_DEP_2)
	v_fma_f64 v[9:10], v[3:4], v[7:8], -v[11:12]
	v_fma_f64 v[11:12], v[1:2], v[7:8], v[15:16]
	scratch_store_b128 off, v[9:12], off offset:496
.LBB116_135:
	s_wait_alu 0xfffe
	s_or_b32 exec_lo, exec_lo, s0
	s_wait_loadcnt 0x0
	s_wait_storecnt 0x0
	s_barrier_signal -1
	s_barrier_wait -1
	global_inv scope:SCOPE_SE
	scratch_load_b128 v[1:4], off, s35
	s_mov_b32 s0, exec_lo
	s_wait_loadcnt 0x0
	ds_store_b128 v5, v[1:4]
	s_wait_dscnt 0x0
	s_barrier_signal -1
	s_barrier_wait -1
	global_inv scope:SCOPE_SE
	v_cmpx_gt_u32_e32 31, v0
	s_cbranch_execz .LBB116_139
; %bb.136:
	v_dual_mov_b32 v1, 0 :: v_dual_add_nc_u32 v8, 0x350, v13
	v_mov_b32_e32 v3, 0
	v_dual_mov_b32 v2, 0 :: v_dual_add_nc_u32 v7, -1, v0
	v_mov_b32_e32 v4, 0
	v_or_b32_e32 v9, 8, v14
	s_mov_b32 s1, 0
.LBB116_137:                            ; =>This Inner Loop Header: Depth=1
	scratch_load_b128 v[15:18], v9, off offset:-8
	ds_load_b128 v[19:22], v8
	v_add_nc_u32_e32 v7, 1, v7
	v_add_nc_u32_e32 v8, 16, v8
	v_add_nc_u32_e32 v9, 16, v9
	s_delay_alu instid0(VALU_DEP_3)
	v_cmp_lt_u32_e32 vcc_lo, 29, v7
	s_wait_alu 0xfffe
	s_or_b32 s1, vcc_lo, s1
	s_wait_loadcnt_dscnt 0x0
	v_mul_f64_e32 v[10:11], v[21:22], v[17:18]
	v_mul_f64_e32 v[17:18], v[19:20], v[17:18]
	s_delay_alu instid0(VALU_DEP_2) | instskip(NEXT) | instid1(VALU_DEP_2)
	v_fma_f64 v[10:11], v[19:20], v[15:16], -v[10:11]
	v_fma_f64 v[15:16], v[21:22], v[15:16], v[17:18]
	s_delay_alu instid0(VALU_DEP_2) | instskip(NEXT) | instid1(VALU_DEP_2)
	v_add_f64_e32 v[3:4], v[3:4], v[10:11]
	v_add_f64_e32 v[1:2], v[1:2], v[15:16]
	s_wait_alu 0xfffe
	s_and_not1_b32 exec_lo, exec_lo, s1
	s_cbranch_execnz .LBB116_137
; %bb.138:
	s_or_b32 exec_lo, exec_lo, s1
	v_mov_b32_e32 v7, 0
	ds_load_b128 v[7:10], v7 offset:496
	s_wait_dscnt 0x0
	v_mul_f64_e32 v[11:12], v[1:2], v[9:10]
	v_mul_f64_e32 v[15:16], v[3:4], v[9:10]
	s_delay_alu instid0(VALU_DEP_2) | instskip(NEXT) | instid1(VALU_DEP_2)
	v_fma_f64 v[9:10], v[3:4], v[7:8], -v[11:12]
	v_fma_f64 v[11:12], v[1:2], v[7:8], v[15:16]
	scratch_store_b128 off, v[9:12], off offset:512
.LBB116_139:
	s_wait_alu 0xfffe
	s_or_b32 exec_lo, exec_lo, s0
	s_wait_loadcnt 0x0
	s_wait_storecnt 0x0
	s_barrier_signal -1
	s_barrier_wait -1
	global_inv scope:SCOPE_SE
	scratch_load_b128 v[1:4], off, s34
	s_mov_b32 s0, exec_lo
	s_wait_loadcnt 0x0
	ds_store_b128 v5, v[1:4]
	s_wait_dscnt 0x0
	s_barrier_signal -1
	s_barrier_wait -1
	global_inv scope:SCOPE_SE
	v_cmpx_gt_u32_e32 32, v0
	s_cbranch_execz .LBB116_143
; %bb.140:
	v_dual_mov_b32 v1, 0 :: v_dual_add_nc_u32 v8, 0x350, v13
	v_mov_b32_e32 v3, 0
	v_dual_mov_b32 v2, 0 :: v_dual_add_nc_u32 v7, -1, v0
	v_mov_b32_e32 v4, 0
	v_or_b32_e32 v9, 8, v14
	s_mov_b32 s1, 0
.LBB116_141:                            ; =>This Inner Loop Header: Depth=1
	scratch_load_b128 v[15:18], v9, off offset:-8
	ds_load_b128 v[19:22], v8
	v_add_nc_u32_e32 v7, 1, v7
	v_add_nc_u32_e32 v8, 16, v8
	v_add_nc_u32_e32 v9, 16, v9
	s_delay_alu instid0(VALU_DEP_3)
	v_cmp_lt_u32_e32 vcc_lo, 30, v7
	s_wait_alu 0xfffe
	s_or_b32 s1, vcc_lo, s1
	s_wait_loadcnt_dscnt 0x0
	v_mul_f64_e32 v[10:11], v[21:22], v[17:18]
	v_mul_f64_e32 v[17:18], v[19:20], v[17:18]
	s_delay_alu instid0(VALU_DEP_2) | instskip(NEXT) | instid1(VALU_DEP_2)
	v_fma_f64 v[10:11], v[19:20], v[15:16], -v[10:11]
	v_fma_f64 v[15:16], v[21:22], v[15:16], v[17:18]
	s_delay_alu instid0(VALU_DEP_2) | instskip(NEXT) | instid1(VALU_DEP_2)
	v_add_f64_e32 v[3:4], v[3:4], v[10:11]
	v_add_f64_e32 v[1:2], v[1:2], v[15:16]
	s_wait_alu 0xfffe
	s_and_not1_b32 exec_lo, exec_lo, s1
	s_cbranch_execnz .LBB116_141
; %bb.142:
	s_or_b32 exec_lo, exec_lo, s1
	v_mov_b32_e32 v7, 0
	ds_load_b128 v[7:10], v7 offset:512
	s_wait_dscnt 0x0
	v_mul_f64_e32 v[11:12], v[1:2], v[9:10]
	v_mul_f64_e32 v[15:16], v[3:4], v[9:10]
	s_delay_alu instid0(VALU_DEP_2) | instskip(NEXT) | instid1(VALU_DEP_2)
	v_fma_f64 v[9:10], v[3:4], v[7:8], -v[11:12]
	v_fma_f64 v[11:12], v[1:2], v[7:8], v[15:16]
	scratch_store_b128 off, v[9:12], off offset:528
.LBB116_143:
	s_wait_alu 0xfffe
	s_or_b32 exec_lo, exec_lo, s0
	s_wait_loadcnt 0x0
	s_wait_storecnt 0x0
	s_barrier_signal -1
	s_barrier_wait -1
	global_inv scope:SCOPE_SE
	scratch_load_b128 v[1:4], off, s33
	s_mov_b32 s0, exec_lo
	s_wait_loadcnt 0x0
	ds_store_b128 v5, v[1:4]
	s_wait_dscnt 0x0
	s_barrier_signal -1
	s_barrier_wait -1
	global_inv scope:SCOPE_SE
	v_cmpx_gt_u32_e32 33, v0
	s_cbranch_execz .LBB116_147
; %bb.144:
	v_dual_mov_b32 v1, 0 :: v_dual_add_nc_u32 v8, 0x350, v13
	v_mov_b32_e32 v3, 0
	v_dual_mov_b32 v2, 0 :: v_dual_add_nc_u32 v7, -1, v0
	v_mov_b32_e32 v4, 0
	v_or_b32_e32 v9, 8, v14
	s_mov_b32 s1, 0
.LBB116_145:                            ; =>This Inner Loop Header: Depth=1
	scratch_load_b128 v[15:18], v9, off offset:-8
	ds_load_b128 v[19:22], v8
	v_add_nc_u32_e32 v7, 1, v7
	v_add_nc_u32_e32 v8, 16, v8
	v_add_nc_u32_e32 v9, 16, v9
	s_delay_alu instid0(VALU_DEP_3)
	v_cmp_lt_u32_e32 vcc_lo, 31, v7
	s_wait_alu 0xfffe
	s_or_b32 s1, vcc_lo, s1
	s_wait_loadcnt_dscnt 0x0
	v_mul_f64_e32 v[10:11], v[21:22], v[17:18]
	v_mul_f64_e32 v[17:18], v[19:20], v[17:18]
	s_delay_alu instid0(VALU_DEP_2) | instskip(NEXT) | instid1(VALU_DEP_2)
	v_fma_f64 v[10:11], v[19:20], v[15:16], -v[10:11]
	v_fma_f64 v[15:16], v[21:22], v[15:16], v[17:18]
	s_delay_alu instid0(VALU_DEP_2) | instskip(NEXT) | instid1(VALU_DEP_2)
	v_add_f64_e32 v[3:4], v[3:4], v[10:11]
	v_add_f64_e32 v[1:2], v[1:2], v[15:16]
	s_wait_alu 0xfffe
	s_and_not1_b32 exec_lo, exec_lo, s1
	s_cbranch_execnz .LBB116_145
; %bb.146:
	s_or_b32 exec_lo, exec_lo, s1
	v_mov_b32_e32 v7, 0
	ds_load_b128 v[7:10], v7 offset:528
	s_wait_dscnt 0x0
	v_mul_f64_e32 v[11:12], v[1:2], v[9:10]
	v_mul_f64_e32 v[15:16], v[3:4], v[9:10]
	s_delay_alu instid0(VALU_DEP_2) | instskip(NEXT) | instid1(VALU_DEP_2)
	v_fma_f64 v[9:10], v[3:4], v[7:8], -v[11:12]
	v_fma_f64 v[11:12], v[1:2], v[7:8], v[15:16]
	scratch_store_b128 off, v[9:12], off offset:544
.LBB116_147:
	s_wait_alu 0xfffe
	s_or_b32 exec_lo, exec_lo, s0
	s_wait_loadcnt 0x0
	s_wait_storecnt 0x0
	s_barrier_signal -1
	s_barrier_wait -1
	global_inv scope:SCOPE_SE
	scratch_load_b128 v[1:4], off, s31
	s_mov_b32 s0, exec_lo
	s_wait_loadcnt 0x0
	ds_store_b128 v5, v[1:4]
	s_wait_dscnt 0x0
	s_barrier_signal -1
	s_barrier_wait -1
	global_inv scope:SCOPE_SE
	v_cmpx_gt_u32_e32 34, v0
	s_cbranch_execz .LBB116_151
; %bb.148:
	v_dual_mov_b32 v1, 0 :: v_dual_add_nc_u32 v8, 0x350, v13
	v_mov_b32_e32 v3, 0
	v_dual_mov_b32 v2, 0 :: v_dual_add_nc_u32 v7, -1, v0
	v_mov_b32_e32 v4, 0
	v_or_b32_e32 v9, 8, v14
	s_mov_b32 s1, 0
.LBB116_149:                            ; =>This Inner Loop Header: Depth=1
	scratch_load_b128 v[15:18], v9, off offset:-8
	ds_load_b128 v[19:22], v8
	v_add_nc_u32_e32 v7, 1, v7
	v_add_nc_u32_e32 v8, 16, v8
	v_add_nc_u32_e32 v9, 16, v9
	s_delay_alu instid0(VALU_DEP_3)
	v_cmp_lt_u32_e32 vcc_lo, 32, v7
	s_wait_alu 0xfffe
	s_or_b32 s1, vcc_lo, s1
	s_wait_loadcnt_dscnt 0x0
	v_mul_f64_e32 v[10:11], v[21:22], v[17:18]
	v_mul_f64_e32 v[17:18], v[19:20], v[17:18]
	s_delay_alu instid0(VALU_DEP_2) | instskip(NEXT) | instid1(VALU_DEP_2)
	v_fma_f64 v[10:11], v[19:20], v[15:16], -v[10:11]
	v_fma_f64 v[15:16], v[21:22], v[15:16], v[17:18]
	s_delay_alu instid0(VALU_DEP_2) | instskip(NEXT) | instid1(VALU_DEP_2)
	v_add_f64_e32 v[3:4], v[3:4], v[10:11]
	v_add_f64_e32 v[1:2], v[1:2], v[15:16]
	s_wait_alu 0xfffe
	s_and_not1_b32 exec_lo, exec_lo, s1
	s_cbranch_execnz .LBB116_149
; %bb.150:
	s_or_b32 exec_lo, exec_lo, s1
	v_mov_b32_e32 v7, 0
	ds_load_b128 v[7:10], v7 offset:544
	s_wait_dscnt 0x0
	v_mul_f64_e32 v[11:12], v[1:2], v[9:10]
	v_mul_f64_e32 v[15:16], v[3:4], v[9:10]
	s_delay_alu instid0(VALU_DEP_2) | instskip(NEXT) | instid1(VALU_DEP_2)
	v_fma_f64 v[9:10], v[3:4], v[7:8], -v[11:12]
	v_fma_f64 v[11:12], v[1:2], v[7:8], v[15:16]
	scratch_store_b128 off, v[9:12], off offset:560
.LBB116_151:
	s_wait_alu 0xfffe
	s_or_b32 exec_lo, exec_lo, s0
	s_wait_loadcnt 0x0
	s_wait_storecnt 0x0
	s_barrier_signal -1
	s_barrier_wait -1
	global_inv scope:SCOPE_SE
	scratch_load_b128 v[1:4], off, s30
	s_mov_b32 s0, exec_lo
	s_wait_loadcnt 0x0
	ds_store_b128 v5, v[1:4]
	s_wait_dscnt 0x0
	s_barrier_signal -1
	s_barrier_wait -1
	global_inv scope:SCOPE_SE
	v_cmpx_gt_u32_e32 35, v0
	s_cbranch_execz .LBB116_155
; %bb.152:
	v_dual_mov_b32 v1, 0 :: v_dual_add_nc_u32 v8, 0x350, v13
	v_mov_b32_e32 v3, 0
	v_dual_mov_b32 v2, 0 :: v_dual_add_nc_u32 v7, -1, v0
	v_mov_b32_e32 v4, 0
	v_or_b32_e32 v9, 8, v14
	s_mov_b32 s1, 0
.LBB116_153:                            ; =>This Inner Loop Header: Depth=1
	scratch_load_b128 v[15:18], v9, off offset:-8
	ds_load_b128 v[19:22], v8
	v_add_nc_u32_e32 v7, 1, v7
	v_add_nc_u32_e32 v8, 16, v8
	v_add_nc_u32_e32 v9, 16, v9
	s_delay_alu instid0(VALU_DEP_3)
	v_cmp_lt_u32_e32 vcc_lo, 33, v7
	s_wait_alu 0xfffe
	s_or_b32 s1, vcc_lo, s1
	s_wait_loadcnt_dscnt 0x0
	v_mul_f64_e32 v[10:11], v[21:22], v[17:18]
	v_mul_f64_e32 v[17:18], v[19:20], v[17:18]
	s_delay_alu instid0(VALU_DEP_2) | instskip(NEXT) | instid1(VALU_DEP_2)
	v_fma_f64 v[10:11], v[19:20], v[15:16], -v[10:11]
	v_fma_f64 v[15:16], v[21:22], v[15:16], v[17:18]
	s_delay_alu instid0(VALU_DEP_2) | instskip(NEXT) | instid1(VALU_DEP_2)
	v_add_f64_e32 v[3:4], v[3:4], v[10:11]
	v_add_f64_e32 v[1:2], v[1:2], v[15:16]
	s_wait_alu 0xfffe
	s_and_not1_b32 exec_lo, exec_lo, s1
	s_cbranch_execnz .LBB116_153
; %bb.154:
	s_or_b32 exec_lo, exec_lo, s1
	v_mov_b32_e32 v7, 0
	ds_load_b128 v[7:10], v7 offset:560
	s_wait_dscnt 0x0
	v_mul_f64_e32 v[11:12], v[1:2], v[9:10]
	v_mul_f64_e32 v[15:16], v[3:4], v[9:10]
	s_delay_alu instid0(VALU_DEP_2) | instskip(NEXT) | instid1(VALU_DEP_2)
	v_fma_f64 v[9:10], v[3:4], v[7:8], -v[11:12]
	v_fma_f64 v[11:12], v[1:2], v[7:8], v[15:16]
	scratch_store_b128 off, v[9:12], off offset:576
.LBB116_155:
	s_wait_alu 0xfffe
	s_or_b32 exec_lo, exec_lo, s0
	s_wait_loadcnt 0x0
	s_wait_storecnt 0x0
	s_barrier_signal -1
	s_barrier_wait -1
	global_inv scope:SCOPE_SE
	scratch_load_b128 v[1:4], off, s29
	s_mov_b32 s0, exec_lo
	s_wait_loadcnt 0x0
	ds_store_b128 v5, v[1:4]
	s_wait_dscnt 0x0
	s_barrier_signal -1
	s_barrier_wait -1
	global_inv scope:SCOPE_SE
	v_cmpx_gt_u32_e32 36, v0
	s_cbranch_execz .LBB116_159
; %bb.156:
	v_dual_mov_b32 v1, 0 :: v_dual_add_nc_u32 v8, 0x350, v13
	v_mov_b32_e32 v3, 0
	v_dual_mov_b32 v2, 0 :: v_dual_add_nc_u32 v7, -1, v0
	v_mov_b32_e32 v4, 0
	v_or_b32_e32 v9, 8, v14
	s_mov_b32 s1, 0
.LBB116_157:                            ; =>This Inner Loop Header: Depth=1
	scratch_load_b128 v[15:18], v9, off offset:-8
	ds_load_b128 v[19:22], v8
	v_add_nc_u32_e32 v7, 1, v7
	v_add_nc_u32_e32 v8, 16, v8
	v_add_nc_u32_e32 v9, 16, v9
	s_delay_alu instid0(VALU_DEP_3)
	v_cmp_lt_u32_e32 vcc_lo, 34, v7
	s_wait_alu 0xfffe
	s_or_b32 s1, vcc_lo, s1
	s_wait_loadcnt_dscnt 0x0
	v_mul_f64_e32 v[10:11], v[21:22], v[17:18]
	v_mul_f64_e32 v[17:18], v[19:20], v[17:18]
	s_delay_alu instid0(VALU_DEP_2) | instskip(NEXT) | instid1(VALU_DEP_2)
	v_fma_f64 v[10:11], v[19:20], v[15:16], -v[10:11]
	v_fma_f64 v[15:16], v[21:22], v[15:16], v[17:18]
	s_delay_alu instid0(VALU_DEP_2) | instskip(NEXT) | instid1(VALU_DEP_2)
	v_add_f64_e32 v[3:4], v[3:4], v[10:11]
	v_add_f64_e32 v[1:2], v[1:2], v[15:16]
	s_wait_alu 0xfffe
	s_and_not1_b32 exec_lo, exec_lo, s1
	s_cbranch_execnz .LBB116_157
; %bb.158:
	s_or_b32 exec_lo, exec_lo, s1
	v_mov_b32_e32 v7, 0
	ds_load_b128 v[7:10], v7 offset:576
	s_wait_dscnt 0x0
	v_mul_f64_e32 v[11:12], v[1:2], v[9:10]
	v_mul_f64_e32 v[15:16], v[3:4], v[9:10]
	s_delay_alu instid0(VALU_DEP_2) | instskip(NEXT) | instid1(VALU_DEP_2)
	v_fma_f64 v[9:10], v[3:4], v[7:8], -v[11:12]
	v_fma_f64 v[11:12], v[1:2], v[7:8], v[15:16]
	scratch_store_b128 off, v[9:12], off offset:592
.LBB116_159:
	s_wait_alu 0xfffe
	s_or_b32 exec_lo, exec_lo, s0
	s_wait_loadcnt 0x0
	s_wait_storecnt 0x0
	s_barrier_signal -1
	s_barrier_wait -1
	global_inv scope:SCOPE_SE
	scratch_load_b128 v[1:4], off, s28
	s_mov_b32 s0, exec_lo
	s_wait_loadcnt 0x0
	ds_store_b128 v5, v[1:4]
	s_wait_dscnt 0x0
	s_barrier_signal -1
	s_barrier_wait -1
	global_inv scope:SCOPE_SE
	v_cmpx_gt_u32_e32 37, v0
	s_cbranch_execz .LBB116_163
; %bb.160:
	v_dual_mov_b32 v1, 0 :: v_dual_add_nc_u32 v8, 0x350, v13
	v_mov_b32_e32 v3, 0
	v_dual_mov_b32 v2, 0 :: v_dual_add_nc_u32 v7, -1, v0
	v_mov_b32_e32 v4, 0
	v_or_b32_e32 v9, 8, v14
	s_mov_b32 s1, 0
.LBB116_161:                            ; =>This Inner Loop Header: Depth=1
	scratch_load_b128 v[15:18], v9, off offset:-8
	ds_load_b128 v[19:22], v8
	v_add_nc_u32_e32 v7, 1, v7
	v_add_nc_u32_e32 v8, 16, v8
	v_add_nc_u32_e32 v9, 16, v9
	s_delay_alu instid0(VALU_DEP_3)
	v_cmp_lt_u32_e32 vcc_lo, 35, v7
	s_wait_alu 0xfffe
	s_or_b32 s1, vcc_lo, s1
	s_wait_loadcnt_dscnt 0x0
	v_mul_f64_e32 v[10:11], v[21:22], v[17:18]
	v_mul_f64_e32 v[17:18], v[19:20], v[17:18]
	s_delay_alu instid0(VALU_DEP_2) | instskip(NEXT) | instid1(VALU_DEP_2)
	v_fma_f64 v[10:11], v[19:20], v[15:16], -v[10:11]
	v_fma_f64 v[15:16], v[21:22], v[15:16], v[17:18]
	s_delay_alu instid0(VALU_DEP_2) | instskip(NEXT) | instid1(VALU_DEP_2)
	v_add_f64_e32 v[3:4], v[3:4], v[10:11]
	v_add_f64_e32 v[1:2], v[1:2], v[15:16]
	s_wait_alu 0xfffe
	s_and_not1_b32 exec_lo, exec_lo, s1
	s_cbranch_execnz .LBB116_161
; %bb.162:
	s_or_b32 exec_lo, exec_lo, s1
	v_mov_b32_e32 v7, 0
	ds_load_b128 v[7:10], v7 offset:592
	s_wait_dscnt 0x0
	v_mul_f64_e32 v[11:12], v[1:2], v[9:10]
	v_mul_f64_e32 v[15:16], v[3:4], v[9:10]
	s_delay_alu instid0(VALU_DEP_2) | instskip(NEXT) | instid1(VALU_DEP_2)
	v_fma_f64 v[9:10], v[3:4], v[7:8], -v[11:12]
	v_fma_f64 v[11:12], v[1:2], v[7:8], v[15:16]
	scratch_store_b128 off, v[9:12], off offset:608
.LBB116_163:
	s_wait_alu 0xfffe
	s_or_b32 exec_lo, exec_lo, s0
	s_wait_loadcnt 0x0
	s_wait_storecnt 0x0
	s_barrier_signal -1
	s_barrier_wait -1
	global_inv scope:SCOPE_SE
	scratch_load_b128 v[1:4], off, s27
	s_mov_b32 s0, exec_lo
	s_wait_loadcnt 0x0
	ds_store_b128 v5, v[1:4]
	s_wait_dscnt 0x0
	s_barrier_signal -1
	s_barrier_wait -1
	global_inv scope:SCOPE_SE
	v_cmpx_gt_u32_e32 38, v0
	s_cbranch_execz .LBB116_167
; %bb.164:
	v_dual_mov_b32 v1, 0 :: v_dual_add_nc_u32 v8, 0x350, v13
	v_mov_b32_e32 v3, 0
	v_dual_mov_b32 v2, 0 :: v_dual_add_nc_u32 v7, -1, v0
	v_mov_b32_e32 v4, 0
	v_or_b32_e32 v9, 8, v14
	s_mov_b32 s1, 0
.LBB116_165:                            ; =>This Inner Loop Header: Depth=1
	scratch_load_b128 v[15:18], v9, off offset:-8
	ds_load_b128 v[19:22], v8
	v_add_nc_u32_e32 v7, 1, v7
	v_add_nc_u32_e32 v8, 16, v8
	v_add_nc_u32_e32 v9, 16, v9
	s_delay_alu instid0(VALU_DEP_3)
	v_cmp_lt_u32_e32 vcc_lo, 36, v7
	s_wait_alu 0xfffe
	s_or_b32 s1, vcc_lo, s1
	s_wait_loadcnt_dscnt 0x0
	v_mul_f64_e32 v[10:11], v[21:22], v[17:18]
	v_mul_f64_e32 v[17:18], v[19:20], v[17:18]
	s_delay_alu instid0(VALU_DEP_2) | instskip(NEXT) | instid1(VALU_DEP_2)
	v_fma_f64 v[10:11], v[19:20], v[15:16], -v[10:11]
	v_fma_f64 v[15:16], v[21:22], v[15:16], v[17:18]
	s_delay_alu instid0(VALU_DEP_2) | instskip(NEXT) | instid1(VALU_DEP_2)
	v_add_f64_e32 v[3:4], v[3:4], v[10:11]
	v_add_f64_e32 v[1:2], v[1:2], v[15:16]
	s_wait_alu 0xfffe
	s_and_not1_b32 exec_lo, exec_lo, s1
	s_cbranch_execnz .LBB116_165
; %bb.166:
	s_or_b32 exec_lo, exec_lo, s1
	v_mov_b32_e32 v7, 0
	ds_load_b128 v[7:10], v7 offset:608
	s_wait_dscnt 0x0
	v_mul_f64_e32 v[11:12], v[1:2], v[9:10]
	v_mul_f64_e32 v[15:16], v[3:4], v[9:10]
	s_delay_alu instid0(VALU_DEP_2) | instskip(NEXT) | instid1(VALU_DEP_2)
	v_fma_f64 v[9:10], v[3:4], v[7:8], -v[11:12]
	v_fma_f64 v[11:12], v[1:2], v[7:8], v[15:16]
	scratch_store_b128 off, v[9:12], off offset:624
.LBB116_167:
	s_wait_alu 0xfffe
	s_or_b32 exec_lo, exec_lo, s0
	s_wait_loadcnt 0x0
	s_wait_storecnt 0x0
	s_barrier_signal -1
	s_barrier_wait -1
	global_inv scope:SCOPE_SE
	scratch_load_b128 v[1:4], off, s26
	s_mov_b32 s0, exec_lo
	s_wait_loadcnt 0x0
	ds_store_b128 v5, v[1:4]
	s_wait_dscnt 0x0
	s_barrier_signal -1
	s_barrier_wait -1
	global_inv scope:SCOPE_SE
	v_cmpx_gt_u32_e32 39, v0
	s_cbranch_execz .LBB116_171
; %bb.168:
	v_dual_mov_b32 v1, 0 :: v_dual_add_nc_u32 v8, 0x350, v13
	v_mov_b32_e32 v3, 0
	v_dual_mov_b32 v2, 0 :: v_dual_add_nc_u32 v7, -1, v0
	v_mov_b32_e32 v4, 0
	v_or_b32_e32 v9, 8, v14
	s_mov_b32 s1, 0
.LBB116_169:                            ; =>This Inner Loop Header: Depth=1
	scratch_load_b128 v[15:18], v9, off offset:-8
	ds_load_b128 v[19:22], v8
	v_add_nc_u32_e32 v7, 1, v7
	v_add_nc_u32_e32 v8, 16, v8
	v_add_nc_u32_e32 v9, 16, v9
	s_delay_alu instid0(VALU_DEP_3)
	v_cmp_lt_u32_e32 vcc_lo, 37, v7
	s_wait_alu 0xfffe
	s_or_b32 s1, vcc_lo, s1
	s_wait_loadcnt_dscnt 0x0
	v_mul_f64_e32 v[10:11], v[21:22], v[17:18]
	v_mul_f64_e32 v[17:18], v[19:20], v[17:18]
	s_delay_alu instid0(VALU_DEP_2) | instskip(NEXT) | instid1(VALU_DEP_2)
	v_fma_f64 v[10:11], v[19:20], v[15:16], -v[10:11]
	v_fma_f64 v[15:16], v[21:22], v[15:16], v[17:18]
	s_delay_alu instid0(VALU_DEP_2) | instskip(NEXT) | instid1(VALU_DEP_2)
	v_add_f64_e32 v[3:4], v[3:4], v[10:11]
	v_add_f64_e32 v[1:2], v[1:2], v[15:16]
	s_wait_alu 0xfffe
	s_and_not1_b32 exec_lo, exec_lo, s1
	s_cbranch_execnz .LBB116_169
; %bb.170:
	s_or_b32 exec_lo, exec_lo, s1
	v_mov_b32_e32 v7, 0
	ds_load_b128 v[7:10], v7 offset:624
	s_wait_dscnt 0x0
	v_mul_f64_e32 v[11:12], v[1:2], v[9:10]
	v_mul_f64_e32 v[15:16], v[3:4], v[9:10]
	s_delay_alu instid0(VALU_DEP_2) | instskip(NEXT) | instid1(VALU_DEP_2)
	v_fma_f64 v[9:10], v[3:4], v[7:8], -v[11:12]
	v_fma_f64 v[11:12], v[1:2], v[7:8], v[15:16]
	scratch_store_b128 off, v[9:12], off offset:640
.LBB116_171:
	s_wait_alu 0xfffe
	s_or_b32 exec_lo, exec_lo, s0
	s_wait_loadcnt 0x0
	s_wait_storecnt 0x0
	s_barrier_signal -1
	s_barrier_wait -1
	global_inv scope:SCOPE_SE
	scratch_load_b128 v[1:4], off, s25
	s_mov_b32 s0, exec_lo
	s_wait_loadcnt 0x0
	ds_store_b128 v5, v[1:4]
	s_wait_dscnt 0x0
	s_barrier_signal -1
	s_barrier_wait -1
	global_inv scope:SCOPE_SE
	v_cmpx_gt_u32_e32 40, v0
	s_cbranch_execz .LBB116_175
; %bb.172:
	v_dual_mov_b32 v1, 0 :: v_dual_add_nc_u32 v8, 0x350, v13
	v_mov_b32_e32 v3, 0
	v_dual_mov_b32 v2, 0 :: v_dual_add_nc_u32 v7, -1, v0
	v_mov_b32_e32 v4, 0
	v_or_b32_e32 v9, 8, v14
	s_mov_b32 s1, 0
.LBB116_173:                            ; =>This Inner Loop Header: Depth=1
	scratch_load_b128 v[15:18], v9, off offset:-8
	ds_load_b128 v[19:22], v8
	v_add_nc_u32_e32 v7, 1, v7
	v_add_nc_u32_e32 v8, 16, v8
	v_add_nc_u32_e32 v9, 16, v9
	s_delay_alu instid0(VALU_DEP_3)
	v_cmp_lt_u32_e32 vcc_lo, 38, v7
	s_wait_alu 0xfffe
	s_or_b32 s1, vcc_lo, s1
	s_wait_loadcnt_dscnt 0x0
	v_mul_f64_e32 v[10:11], v[21:22], v[17:18]
	v_mul_f64_e32 v[17:18], v[19:20], v[17:18]
	s_delay_alu instid0(VALU_DEP_2) | instskip(NEXT) | instid1(VALU_DEP_2)
	v_fma_f64 v[10:11], v[19:20], v[15:16], -v[10:11]
	v_fma_f64 v[15:16], v[21:22], v[15:16], v[17:18]
	s_delay_alu instid0(VALU_DEP_2) | instskip(NEXT) | instid1(VALU_DEP_2)
	v_add_f64_e32 v[3:4], v[3:4], v[10:11]
	v_add_f64_e32 v[1:2], v[1:2], v[15:16]
	s_wait_alu 0xfffe
	s_and_not1_b32 exec_lo, exec_lo, s1
	s_cbranch_execnz .LBB116_173
; %bb.174:
	s_or_b32 exec_lo, exec_lo, s1
	v_mov_b32_e32 v7, 0
	ds_load_b128 v[7:10], v7 offset:640
	s_wait_dscnt 0x0
	v_mul_f64_e32 v[11:12], v[1:2], v[9:10]
	v_mul_f64_e32 v[15:16], v[3:4], v[9:10]
	s_delay_alu instid0(VALU_DEP_2) | instskip(NEXT) | instid1(VALU_DEP_2)
	v_fma_f64 v[9:10], v[3:4], v[7:8], -v[11:12]
	v_fma_f64 v[11:12], v[1:2], v[7:8], v[15:16]
	scratch_store_b128 off, v[9:12], off offset:656
.LBB116_175:
	s_wait_alu 0xfffe
	s_or_b32 exec_lo, exec_lo, s0
	s_wait_loadcnt 0x0
	s_wait_storecnt 0x0
	s_barrier_signal -1
	s_barrier_wait -1
	global_inv scope:SCOPE_SE
	scratch_load_b128 v[1:4], off, s24
	s_mov_b32 s0, exec_lo
	s_wait_loadcnt 0x0
	ds_store_b128 v5, v[1:4]
	s_wait_dscnt 0x0
	s_barrier_signal -1
	s_barrier_wait -1
	global_inv scope:SCOPE_SE
	v_cmpx_gt_u32_e32 41, v0
	s_cbranch_execz .LBB116_179
; %bb.176:
	v_dual_mov_b32 v1, 0 :: v_dual_add_nc_u32 v8, 0x350, v13
	v_mov_b32_e32 v3, 0
	v_dual_mov_b32 v2, 0 :: v_dual_add_nc_u32 v7, -1, v0
	v_mov_b32_e32 v4, 0
	v_or_b32_e32 v9, 8, v14
	s_mov_b32 s1, 0
.LBB116_177:                            ; =>This Inner Loop Header: Depth=1
	scratch_load_b128 v[15:18], v9, off offset:-8
	ds_load_b128 v[19:22], v8
	v_add_nc_u32_e32 v7, 1, v7
	v_add_nc_u32_e32 v8, 16, v8
	v_add_nc_u32_e32 v9, 16, v9
	s_delay_alu instid0(VALU_DEP_3)
	v_cmp_lt_u32_e32 vcc_lo, 39, v7
	s_wait_alu 0xfffe
	s_or_b32 s1, vcc_lo, s1
	s_wait_loadcnt_dscnt 0x0
	v_mul_f64_e32 v[10:11], v[21:22], v[17:18]
	v_mul_f64_e32 v[17:18], v[19:20], v[17:18]
	s_delay_alu instid0(VALU_DEP_2) | instskip(NEXT) | instid1(VALU_DEP_2)
	v_fma_f64 v[10:11], v[19:20], v[15:16], -v[10:11]
	v_fma_f64 v[15:16], v[21:22], v[15:16], v[17:18]
	s_delay_alu instid0(VALU_DEP_2) | instskip(NEXT) | instid1(VALU_DEP_2)
	v_add_f64_e32 v[3:4], v[3:4], v[10:11]
	v_add_f64_e32 v[1:2], v[1:2], v[15:16]
	s_wait_alu 0xfffe
	s_and_not1_b32 exec_lo, exec_lo, s1
	s_cbranch_execnz .LBB116_177
; %bb.178:
	s_or_b32 exec_lo, exec_lo, s1
	v_mov_b32_e32 v7, 0
	ds_load_b128 v[7:10], v7 offset:656
	s_wait_dscnt 0x0
	v_mul_f64_e32 v[11:12], v[1:2], v[9:10]
	v_mul_f64_e32 v[15:16], v[3:4], v[9:10]
	s_delay_alu instid0(VALU_DEP_2) | instskip(NEXT) | instid1(VALU_DEP_2)
	v_fma_f64 v[9:10], v[3:4], v[7:8], -v[11:12]
	v_fma_f64 v[11:12], v[1:2], v[7:8], v[15:16]
	scratch_store_b128 off, v[9:12], off offset:672
.LBB116_179:
	s_wait_alu 0xfffe
	s_or_b32 exec_lo, exec_lo, s0
	s_wait_loadcnt 0x0
	s_wait_storecnt 0x0
	s_barrier_signal -1
	s_barrier_wait -1
	global_inv scope:SCOPE_SE
	scratch_load_b128 v[1:4], off, s23
	s_mov_b32 s0, exec_lo
	s_wait_loadcnt 0x0
	ds_store_b128 v5, v[1:4]
	s_wait_dscnt 0x0
	s_barrier_signal -1
	s_barrier_wait -1
	global_inv scope:SCOPE_SE
	v_cmpx_gt_u32_e32 42, v0
	s_cbranch_execz .LBB116_183
; %bb.180:
	v_dual_mov_b32 v1, 0 :: v_dual_add_nc_u32 v8, 0x350, v13
	v_mov_b32_e32 v3, 0
	v_dual_mov_b32 v2, 0 :: v_dual_add_nc_u32 v7, -1, v0
	v_mov_b32_e32 v4, 0
	v_or_b32_e32 v9, 8, v14
	s_mov_b32 s1, 0
.LBB116_181:                            ; =>This Inner Loop Header: Depth=1
	scratch_load_b128 v[15:18], v9, off offset:-8
	ds_load_b128 v[19:22], v8
	v_add_nc_u32_e32 v7, 1, v7
	v_add_nc_u32_e32 v8, 16, v8
	v_add_nc_u32_e32 v9, 16, v9
	s_delay_alu instid0(VALU_DEP_3)
	v_cmp_lt_u32_e32 vcc_lo, 40, v7
	s_wait_alu 0xfffe
	s_or_b32 s1, vcc_lo, s1
	s_wait_loadcnt_dscnt 0x0
	v_mul_f64_e32 v[10:11], v[21:22], v[17:18]
	v_mul_f64_e32 v[17:18], v[19:20], v[17:18]
	s_delay_alu instid0(VALU_DEP_2) | instskip(NEXT) | instid1(VALU_DEP_2)
	v_fma_f64 v[10:11], v[19:20], v[15:16], -v[10:11]
	v_fma_f64 v[15:16], v[21:22], v[15:16], v[17:18]
	s_delay_alu instid0(VALU_DEP_2) | instskip(NEXT) | instid1(VALU_DEP_2)
	v_add_f64_e32 v[3:4], v[3:4], v[10:11]
	v_add_f64_e32 v[1:2], v[1:2], v[15:16]
	s_wait_alu 0xfffe
	s_and_not1_b32 exec_lo, exec_lo, s1
	s_cbranch_execnz .LBB116_181
; %bb.182:
	s_or_b32 exec_lo, exec_lo, s1
	v_mov_b32_e32 v7, 0
	ds_load_b128 v[7:10], v7 offset:672
	s_wait_dscnt 0x0
	v_mul_f64_e32 v[11:12], v[1:2], v[9:10]
	v_mul_f64_e32 v[15:16], v[3:4], v[9:10]
	s_delay_alu instid0(VALU_DEP_2) | instskip(NEXT) | instid1(VALU_DEP_2)
	v_fma_f64 v[9:10], v[3:4], v[7:8], -v[11:12]
	v_fma_f64 v[11:12], v[1:2], v[7:8], v[15:16]
	scratch_store_b128 off, v[9:12], off offset:688
.LBB116_183:
	s_wait_alu 0xfffe
	s_or_b32 exec_lo, exec_lo, s0
	s_wait_loadcnt 0x0
	s_wait_storecnt 0x0
	s_barrier_signal -1
	s_barrier_wait -1
	global_inv scope:SCOPE_SE
	scratch_load_b128 v[1:4], off, s22
	s_mov_b32 s0, exec_lo
	s_wait_loadcnt 0x0
	ds_store_b128 v5, v[1:4]
	s_wait_dscnt 0x0
	s_barrier_signal -1
	s_barrier_wait -1
	global_inv scope:SCOPE_SE
	v_cmpx_gt_u32_e32 43, v0
	s_cbranch_execz .LBB116_187
; %bb.184:
	v_dual_mov_b32 v1, 0 :: v_dual_add_nc_u32 v8, 0x350, v13
	v_mov_b32_e32 v3, 0
	v_dual_mov_b32 v2, 0 :: v_dual_add_nc_u32 v7, -1, v0
	v_mov_b32_e32 v4, 0
	v_or_b32_e32 v9, 8, v14
	s_mov_b32 s1, 0
.LBB116_185:                            ; =>This Inner Loop Header: Depth=1
	scratch_load_b128 v[15:18], v9, off offset:-8
	ds_load_b128 v[19:22], v8
	v_add_nc_u32_e32 v7, 1, v7
	v_add_nc_u32_e32 v8, 16, v8
	v_add_nc_u32_e32 v9, 16, v9
	s_delay_alu instid0(VALU_DEP_3)
	v_cmp_lt_u32_e32 vcc_lo, 41, v7
	s_wait_alu 0xfffe
	s_or_b32 s1, vcc_lo, s1
	s_wait_loadcnt_dscnt 0x0
	v_mul_f64_e32 v[10:11], v[21:22], v[17:18]
	v_mul_f64_e32 v[17:18], v[19:20], v[17:18]
	s_delay_alu instid0(VALU_DEP_2) | instskip(NEXT) | instid1(VALU_DEP_2)
	v_fma_f64 v[10:11], v[19:20], v[15:16], -v[10:11]
	v_fma_f64 v[15:16], v[21:22], v[15:16], v[17:18]
	s_delay_alu instid0(VALU_DEP_2) | instskip(NEXT) | instid1(VALU_DEP_2)
	v_add_f64_e32 v[3:4], v[3:4], v[10:11]
	v_add_f64_e32 v[1:2], v[1:2], v[15:16]
	s_wait_alu 0xfffe
	s_and_not1_b32 exec_lo, exec_lo, s1
	s_cbranch_execnz .LBB116_185
; %bb.186:
	s_or_b32 exec_lo, exec_lo, s1
	v_mov_b32_e32 v7, 0
	ds_load_b128 v[7:10], v7 offset:688
	s_wait_dscnt 0x0
	v_mul_f64_e32 v[11:12], v[1:2], v[9:10]
	v_mul_f64_e32 v[15:16], v[3:4], v[9:10]
	s_delay_alu instid0(VALU_DEP_2) | instskip(NEXT) | instid1(VALU_DEP_2)
	v_fma_f64 v[9:10], v[3:4], v[7:8], -v[11:12]
	v_fma_f64 v[11:12], v[1:2], v[7:8], v[15:16]
	scratch_store_b128 off, v[9:12], off offset:704
.LBB116_187:
	s_wait_alu 0xfffe
	s_or_b32 exec_lo, exec_lo, s0
	s_wait_loadcnt 0x0
	s_wait_storecnt 0x0
	s_barrier_signal -1
	s_barrier_wait -1
	global_inv scope:SCOPE_SE
	scratch_load_b128 v[1:4], off, s21
	s_mov_b32 s0, exec_lo
	s_wait_loadcnt 0x0
	ds_store_b128 v5, v[1:4]
	s_wait_dscnt 0x0
	s_barrier_signal -1
	s_barrier_wait -1
	global_inv scope:SCOPE_SE
	v_cmpx_gt_u32_e32 44, v0
	s_cbranch_execz .LBB116_191
; %bb.188:
	v_dual_mov_b32 v1, 0 :: v_dual_add_nc_u32 v8, 0x350, v13
	v_mov_b32_e32 v3, 0
	v_dual_mov_b32 v2, 0 :: v_dual_add_nc_u32 v7, -1, v0
	v_mov_b32_e32 v4, 0
	v_or_b32_e32 v9, 8, v14
	s_mov_b32 s1, 0
.LBB116_189:                            ; =>This Inner Loop Header: Depth=1
	scratch_load_b128 v[15:18], v9, off offset:-8
	ds_load_b128 v[19:22], v8
	v_add_nc_u32_e32 v7, 1, v7
	v_add_nc_u32_e32 v8, 16, v8
	v_add_nc_u32_e32 v9, 16, v9
	s_delay_alu instid0(VALU_DEP_3)
	v_cmp_lt_u32_e32 vcc_lo, 42, v7
	s_wait_alu 0xfffe
	s_or_b32 s1, vcc_lo, s1
	s_wait_loadcnt_dscnt 0x0
	v_mul_f64_e32 v[10:11], v[21:22], v[17:18]
	v_mul_f64_e32 v[17:18], v[19:20], v[17:18]
	s_delay_alu instid0(VALU_DEP_2) | instskip(NEXT) | instid1(VALU_DEP_2)
	v_fma_f64 v[10:11], v[19:20], v[15:16], -v[10:11]
	v_fma_f64 v[15:16], v[21:22], v[15:16], v[17:18]
	s_delay_alu instid0(VALU_DEP_2) | instskip(NEXT) | instid1(VALU_DEP_2)
	v_add_f64_e32 v[3:4], v[3:4], v[10:11]
	v_add_f64_e32 v[1:2], v[1:2], v[15:16]
	s_wait_alu 0xfffe
	s_and_not1_b32 exec_lo, exec_lo, s1
	s_cbranch_execnz .LBB116_189
; %bb.190:
	s_or_b32 exec_lo, exec_lo, s1
	v_mov_b32_e32 v7, 0
	ds_load_b128 v[7:10], v7 offset:704
	s_wait_dscnt 0x0
	v_mul_f64_e32 v[11:12], v[1:2], v[9:10]
	v_mul_f64_e32 v[15:16], v[3:4], v[9:10]
	s_delay_alu instid0(VALU_DEP_2) | instskip(NEXT) | instid1(VALU_DEP_2)
	v_fma_f64 v[9:10], v[3:4], v[7:8], -v[11:12]
	v_fma_f64 v[11:12], v[1:2], v[7:8], v[15:16]
	scratch_store_b128 off, v[9:12], off offset:720
.LBB116_191:
	s_wait_alu 0xfffe
	s_or_b32 exec_lo, exec_lo, s0
	s_wait_loadcnt 0x0
	s_wait_storecnt 0x0
	s_barrier_signal -1
	s_barrier_wait -1
	global_inv scope:SCOPE_SE
	scratch_load_b128 v[1:4], off, s20
	s_mov_b32 s0, exec_lo
	s_wait_loadcnt 0x0
	ds_store_b128 v5, v[1:4]
	s_wait_dscnt 0x0
	s_barrier_signal -1
	s_barrier_wait -1
	global_inv scope:SCOPE_SE
	v_cmpx_gt_u32_e32 45, v0
	s_cbranch_execz .LBB116_195
; %bb.192:
	v_dual_mov_b32 v1, 0 :: v_dual_add_nc_u32 v8, 0x350, v13
	v_mov_b32_e32 v3, 0
	v_dual_mov_b32 v2, 0 :: v_dual_add_nc_u32 v7, -1, v0
	v_mov_b32_e32 v4, 0
	v_or_b32_e32 v9, 8, v14
	s_mov_b32 s1, 0
.LBB116_193:                            ; =>This Inner Loop Header: Depth=1
	scratch_load_b128 v[15:18], v9, off offset:-8
	ds_load_b128 v[19:22], v8
	v_add_nc_u32_e32 v7, 1, v7
	v_add_nc_u32_e32 v8, 16, v8
	v_add_nc_u32_e32 v9, 16, v9
	s_delay_alu instid0(VALU_DEP_3)
	v_cmp_lt_u32_e32 vcc_lo, 43, v7
	s_wait_alu 0xfffe
	s_or_b32 s1, vcc_lo, s1
	s_wait_loadcnt_dscnt 0x0
	v_mul_f64_e32 v[10:11], v[21:22], v[17:18]
	v_mul_f64_e32 v[17:18], v[19:20], v[17:18]
	s_delay_alu instid0(VALU_DEP_2) | instskip(NEXT) | instid1(VALU_DEP_2)
	v_fma_f64 v[10:11], v[19:20], v[15:16], -v[10:11]
	v_fma_f64 v[15:16], v[21:22], v[15:16], v[17:18]
	s_delay_alu instid0(VALU_DEP_2) | instskip(NEXT) | instid1(VALU_DEP_2)
	v_add_f64_e32 v[3:4], v[3:4], v[10:11]
	v_add_f64_e32 v[1:2], v[1:2], v[15:16]
	s_wait_alu 0xfffe
	s_and_not1_b32 exec_lo, exec_lo, s1
	s_cbranch_execnz .LBB116_193
; %bb.194:
	s_or_b32 exec_lo, exec_lo, s1
	v_mov_b32_e32 v7, 0
	ds_load_b128 v[7:10], v7 offset:720
	s_wait_dscnt 0x0
	v_mul_f64_e32 v[11:12], v[1:2], v[9:10]
	v_mul_f64_e32 v[15:16], v[3:4], v[9:10]
	s_delay_alu instid0(VALU_DEP_2) | instskip(NEXT) | instid1(VALU_DEP_2)
	v_fma_f64 v[9:10], v[3:4], v[7:8], -v[11:12]
	v_fma_f64 v[11:12], v[1:2], v[7:8], v[15:16]
	scratch_store_b128 off, v[9:12], off offset:736
.LBB116_195:
	s_wait_alu 0xfffe
	s_or_b32 exec_lo, exec_lo, s0
	s_wait_loadcnt 0x0
	s_wait_storecnt 0x0
	s_barrier_signal -1
	s_barrier_wait -1
	global_inv scope:SCOPE_SE
	scratch_load_b128 v[1:4], off, s19
	s_mov_b32 s0, exec_lo
	s_wait_loadcnt 0x0
	ds_store_b128 v5, v[1:4]
	s_wait_dscnt 0x0
	s_barrier_signal -1
	s_barrier_wait -1
	global_inv scope:SCOPE_SE
	v_cmpx_gt_u32_e32 46, v0
	s_cbranch_execz .LBB116_199
; %bb.196:
	v_dual_mov_b32 v1, 0 :: v_dual_add_nc_u32 v8, 0x350, v13
	v_mov_b32_e32 v3, 0
	v_dual_mov_b32 v2, 0 :: v_dual_add_nc_u32 v7, -1, v0
	v_mov_b32_e32 v4, 0
	v_or_b32_e32 v9, 8, v14
	s_mov_b32 s1, 0
.LBB116_197:                            ; =>This Inner Loop Header: Depth=1
	scratch_load_b128 v[15:18], v9, off offset:-8
	ds_load_b128 v[19:22], v8
	v_add_nc_u32_e32 v7, 1, v7
	v_add_nc_u32_e32 v8, 16, v8
	v_add_nc_u32_e32 v9, 16, v9
	s_delay_alu instid0(VALU_DEP_3)
	v_cmp_lt_u32_e32 vcc_lo, 44, v7
	s_wait_alu 0xfffe
	s_or_b32 s1, vcc_lo, s1
	s_wait_loadcnt_dscnt 0x0
	v_mul_f64_e32 v[10:11], v[21:22], v[17:18]
	v_mul_f64_e32 v[17:18], v[19:20], v[17:18]
	s_delay_alu instid0(VALU_DEP_2) | instskip(NEXT) | instid1(VALU_DEP_2)
	v_fma_f64 v[10:11], v[19:20], v[15:16], -v[10:11]
	v_fma_f64 v[15:16], v[21:22], v[15:16], v[17:18]
	s_delay_alu instid0(VALU_DEP_2) | instskip(NEXT) | instid1(VALU_DEP_2)
	v_add_f64_e32 v[3:4], v[3:4], v[10:11]
	v_add_f64_e32 v[1:2], v[1:2], v[15:16]
	s_wait_alu 0xfffe
	s_and_not1_b32 exec_lo, exec_lo, s1
	s_cbranch_execnz .LBB116_197
; %bb.198:
	s_or_b32 exec_lo, exec_lo, s1
	v_mov_b32_e32 v7, 0
	ds_load_b128 v[7:10], v7 offset:736
	s_wait_dscnt 0x0
	v_mul_f64_e32 v[11:12], v[1:2], v[9:10]
	v_mul_f64_e32 v[15:16], v[3:4], v[9:10]
	s_delay_alu instid0(VALU_DEP_2) | instskip(NEXT) | instid1(VALU_DEP_2)
	v_fma_f64 v[9:10], v[3:4], v[7:8], -v[11:12]
	v_fma_f64 v[11:12], v[1:2], v[7:8], v[15:16]
	scratch_store_b128 off, v[9:12], off offset:752
.LBB116_199:
	s_wait_alu 0xfffe
	s_or_b32 exec_lo, exec_lo, s0
	s_wait_loadcnt 0x0
	s_wait_storecnt 0x0
	s_barrier_signal -1
	s_barrier_wait -1
	global_inv scope:SCOPE_SE
	scratch_load_b128 v[1:4], off, s18
	s_mov_b32 s0, exec_lo
	s_wait_loadcnt 0x0
	ds_store_b128 v5, v[1:4]
	s_wait_dscnt 0x0
	s_barrier_signal -1
	s_barrier_wait -1
	global_inv scope:SCOPE_SE
	v_cmpx_gt_u32_e32 47, v0
	s_cbranch_execz .LBB116_203
; %bb.200:
	v_dual_mov_b32 v1, 0 :: v_dual_add_nc_u32 v8, 0x350, v13
	v_mov_b32_e32 v3, 0
	v_dual_mov_b32 v2, 0 :: v_dual_add_nc_u32 v7, -1, v0
	v_mov_b32_e32 v4, 0
	v_or_b32_e32 v9, 8, v14
	s_mov_b32 s1, 0
.LBB116_201:                            ; =>This Inner Loop Header: Depth=1
	scratch_load_b128 v[15:18], v9, off offset:-8
	ds_load_b128 v[19:22], v8
	v_add_nc_u32_e32 v7, 1, v7
	v_add_nc_u32_e32 v8, 16, v8
	v_add_nc_u32_e32 v9, 16, v9
	s_delay_alu instid0(VALU_DEP_3)
	v_cmp_lt_u32_e32 vcc_lo, 45, v7
	s_wait_alu 0xfffe
	s_or_b32 s1, vcc_lo, s1
	s_wait_loadcnt_dscnt 0x0
	v_mul_f64_e32 v[10:11], v[21:22], v[17:18]
	v_mul_f64_e32 v[17:18], v[19:20], v[17:18]
	s_delay_alu instid0(VALU_DEP_2) | instskip(NEXT) | instid1(VALU_DEP_2)
	v_fma_f64 v[10:11], v[19:20], v[15:16], -v[10:11]
	v_fma_f64 v[15:16], v[21:22], v[15:16], v[17:18]
	s_delay_alu instid0(VALU_DEP_2) | instskip(NEXT) | instid1(VALU_DEP_2)
	v_add_f64_e32 v[3:4], v[3:4], v[10:11]
	v_add_f64_e32 v[1:2], v[1:2], v[15:16]
	s_wait_alu 0xfffe
	s_and_not1_b32 exec_lo, exec_lo, s1
	s_cbranch_execnz .LBB116_201
; %bb.202:
	s_or_b32 exec_lo, exec_lo, s1
	v_mov_b32_e32 v7, 0
	ds_load_b128 v[7:10], v7 offset:752
	s_wait_dscnt 0x0
	v_mul_f64_e32 v[11:12], v[1:2], v[9:10]
	v_mul_f64_e32 v[15:16], v[3:4], v[9:10]
	s_delay_alu instid0(VALU_DEP_2) | instskip(NEXT) | instid1(VALU_DEP_2)
	v_fma_f64 v[9:10], v[3:4], v[7:8], -v[11:12]
	v_fma_f64 v[11:12], v[1:2], v[7:8], v[15:16]
	scratch_store_b128 off, v[9:12], off offset:768
.LBB116_203:
	s_wait_alu 0xfffe
	s_or_b32 exec_lo, exec_lo, s0
	s_wait_loadcnt 0x0
	s_wait_storecnt 0x0
	s_barrier_signal -1
	s_barrier_wait -1
	global_inv scope:SCOPE_SE
	scratch_load_b128 v[1:4], off, s17
	s_mov_b32 s0, exec_lo
	s_wait_loadcnt 0x0
	ds_store_b128 v5, v[1:4]
	s_wait_dscnt 0x0
	s_barrier_signal -1
	s_barrier_wait -1
	global_inv scope:SCOPE_SE
	v_cmpx_gt_u32_e32 48, v0
	s_cbranch_execz .LBB116_207
; %bb.204:
	v_dual_mov_b32 v1, 0 :: v_dual_add_nc_u32 v8, 0x350, v13
	v_mov_b32_e32 v3, 0
	v_dual_mov_b32 v2, 0 :: v_dual_add_nc_u32 v7, -1, v0
	v_mov_b32_e32 v4, 0
	v_or_b32_e32 v9, 8, v14
	s_mov_b32 s1, 0
.LBB116_205:                            ; =>This Inner Loop Header: Depth=1
	scratch_load_b128 v[15:18], v9, off offset:-8
	ds_load_b128 v[19:22], v8
	v_add_nc_u32_e32 v7, 1, v7
	v_add_nc_u32_e32 v8, 16, v8
	v_add_nc_u32_e32 v9, 16, v9
	s_delay_alu instid0(VALU_DEP_3)
	v_cmp_lt_u32_e32 vcc_lo, 46, v7
	s_wait_alu 0xfffe
	s_or_b32 s1, vcc_lo, s1
	s_wait_loadcnt_dscnt 0x0
	v_mul_f64_e32 v[10:11], v[21:22], v[17:18]
	v_mul_f64_e32 v[17:18], v[19:20], v[17:18]
	s_delay_alu instid0(VALU_DEP_2) | instskip(NEXT) | instid1(VALU_DEP_2)
	v_fma_f64 v[10:11], v[19:20], v[15:16], -v[10:11]
	v_fma_f64 v[15:16], v[21:22], v[15:16], v[17:18]
	s_delay_alu instid0(VALU_DEP_2) | instskip(NEXT) | instid1(VALU_DEP_2)
	v_add_f64_e32 v[3:4], v[3:4], v[10:11]
	v_add_f64_e32 v[1:2], v[1:2], v[15:16]
	s_wait_alu 0xfffe
	s_and_not1_b32 exec_lo, exec_lo, s1
	s_cbranch_execnz .LBB116_205
; %bb.206:
	s_or_b32 exec_lo, exec_lo, s1
	v_mov_b32_e32 v7, 0
	ds_load_b128 v[7:10], v7 offset:768
	s_wait_dscnt 0x0
	v_mul_f64_e32 v[11:12], v[1:2], v[9:10]
	v_mul_f64_e32 v[15:16], v[3:4], v[9:10]
	s_delay_alu instid0(VALU_DEP_2) | instskip(NEXT) | instid1(VALU_DEP_2)
	v_fma_f64 v[9:10], v[3:4], v[7:8], -v[11:12]
	v_fma_f64 v[11:12], v[1:2], v[7:8], v[15:16]
	scratch_store_b128 off, v[9:12], off offset:784
.LBB116_207:
	s_wait_alu 0xfffe
	s_or_b32 exec_lo, exec_lo, s0
	s_wait_loadcnt 0x0
	s_wait_storecnt 0x0
	s_barrier_signal -1
	s_barrier_wait -1
	global_inv scope:SCOPE_SE
	scratch_load_b128 v[1:4], off, s16
	s_mov_b32 s0, exec_lo
	s_wait_loadcnt 0x0
	ds_store_b128 v5, v[1:4]
	s_wait_dscnt 0x0
	s_barrier_signal -1
	s_barrier_wait -1
	global_inv scope:SCOPE_SE
	v_cmpx_gt_u32_e32 49, v0
	s_cbranch_execz .LBB116_211
; %bb.208:
	v_dual_mov_b32 v1, 0 :: v_dual_add_nc_u32 v8, 0x350, v13
	v_mov_b32_e32 v3, 0
	v_dual_mov_b32 v2, 0 :: v_dual_add_nc_u32 v7, -1, v0
	v_mov_b32_e32 v4, 0
	v_or_b32_e32 v9, 8, v14
	s_mov_b32 s1, 0
.LBB116_209:                            ; =>This Inner Loop Header: Depth=1
	scratch_load_b128 v[15:18], v9, off offset:-8
	ds_load_b128 v[19:22], v8
	v_add_nc_u32_e32 v7, 1, v7
	v_add_nc_u32_e32 v8, 16, v8
	v_add_nc_u32_e32 v9, 16, v9
	s_delay_alu instid0(VALU_DEP_3)
	v_cmp_lt_u32_e32 vcc_lo, 47, v7
	s_wait_alu 0xfffe
	s_or_b32 s1, vcc_lo, s1
	s_wait_loadcnt_dscnt 0x0
	v_mul_f64_e32 v[10:11], v[21:22], v[17:18]
	v_mul_f64_e32 v[17:18], v[19:20], v[17:18]
	s_delay_alu instid0(VALU_DEP_2) | instskip(NEXT) | instid1(VALU_DEP_2)
	v_fma_f64 v[10:11], v[19:20], v[15:16], -v[10:11]
	v_fma_f64 v[15:16], v[21:22], v[15:16], v[17:18]
	s_delay_alu instid0(VALU_DEP_2) | instskip(NEXT) | instid1(VALU_DEP_2)
	v_add_f64_e32 v[3:4], v[3:4], v[10:11]
	v_add_f64_e32 v[1:2], v[1:2], v[15:16]
	s_wait_alu 0xfffe
	s_and_not1_b32 exec_lo, exec_lo, s1
	s_cbranch_execnz .LBB116_209
; %bb.210:
	s_or_b32 exec_lo, exec_lo, s1
	v_mov_b32_e32 v7, 0
	ds_load_b128 v[7:10], v7 offset:784
	s_wait_dscnt 0x0
	v_mul_f64_e32 v[11:12], v[1:2], v[9:10]
	v_mul_f64_e32 v[15:16], v[3:4], v[9:10]
	s_delay_alu instid0(VALU_DEP_2) | instskip(NEXT) | instid1(VALU_DEP_2)
	v_fma_f64 v[9:10], v[3:4], v[7:8], -v[11:12]
	v_fma_f64 v[11:12], v[1:2], v[7:8], v[15:16]
	scratch_store_b128 off, v[9:12], off offset:800
.LBB116_211:
	s_wait_alu 0xfffe
	s_or_b32 exec_lo, exec_lo, s0
	s_wait_loadcnt 0x0
	s_wait_storecnt 0x0
	s_barrier_signal -1
	s_barrier_wait -1
	global_inv scope:SCOPE_SE
	scratch_load_b128 v[1:4], off, s14
	s_mov_b32 s0, exec_lo
	s_wait_loadcnt 0x0
	ds_store_b128 v5, v[1:4]
	s_wait_dscnt 0x0
	s_barrier_signal -1
	s_barrier_wait -1
	global_inv scope:SCOPE_SE
	v_cmpx_gt_u32_e32 50, v0
	s_cbranch_execz .LBB116_215
; %bb.212:
	v_dual_mov_b32 v1, 0 :: v_dual_add_nc_u32 v8, 0x350, v13
	v_mov_b32_e32 v3, 0
	v_dual_mov_b32 v2, 0 :: v_dual_add_nc_u32 v7, -1, v0
	v_mov_b32_e32 v4, 0
	v_or_b32_e32 v9, 8, v14
	s_mov_b32 s1, 0
.LBB116_213:                            ; =>This Inner Loop Header: Depth=1
	scratch_load_b128 v[15:18], v9, off offset:-8
	ds_load_b128 v[19:22], v8
	v_add_nc_u32_e32 v7, 1, v7
	v_add_nc_u32_e32 v8, 16, v8
	v_add_nc_u32_e32 v9, 16, v9
	s_delay_alu instid0(VALU_DEP_3)
	v_cmp_lt_u32_e32 vcc_lo, 48, v7
	s_wait_alu 0xfffe
	s_or_b32 s1, vcc_lo, s1
	s_wait_loadcnt_dscnt 0x0
	v_mul_f64_e32 v[10:11], v[21:22], v[17:18]
	v_mul_f64_e32 v[17:18], v[19:20], v[17:18]
	s_delay_alu instid0(VALU_DEP_2) | instskip(NEXT) | instid1(VALU_DEP_2)
	v_fma_f64 v[10:11], v[19:20], v[15:16], -v[10:11]
	v_fma_f64 v[15:16], v[21:22], v[15:16], v[17:18]
	s_delay_alu instid0(VALU_DEP_2) | instskip(NEXT) | instid1(VALU_DEP_2)
	v_add_f64_e32 v[3:4], v[3:4], v[10:11]
	v_add_f64_e32 v[1:2], v[1:2], v[15:16]
	s_wait_alu 0xfffe
	s_and_not1_b32 exec_lo, exec_lo, s1
	s_cbranch_execnz .LBB116_213
; %bb.214:
	s_or_b32 exec_lo, exec_lo, s1
	v_mov_b32_e32 v7, 0
	ds_load_b128 v[7:10], v7 offset:800
	s_wait_dscnt 0x0
	v_mul_f64_e32 v[11:12], v[1:2], v[9:10]
	v_mul_f64_e32 v[15:16], v[3:4], v[9:10]
	s_delay_alu instid0(VALU_DEP_2) | instskip(NEXT) | instid1(VALU_DEP_2)
	v_fma_f64 v[9:10], v[3:4], v[7:8], -v[11:12]
	v_fma_f64 v[11:12], v[1:2], v[7:8], v[15:16]
	scratch_store_b128 off, v[9:12], off offset:816
.LBB116_215:
	s_wait_alu 0xfffe
	s_or_b32 exec_lo, exec_lo, s0
	s_wait_loadcnt 0x0
	s_wait_storecnt 0x0
	s_barrier_signal -1
	s_barrier_wait -1
	global_inv scope:SCOPE_SE
	scratch_load_b128 v[1:4], off, s11
	s_mov_b32 s0, exec_lo
	s_wait_loadcnt 0x0
	ds_store_b128 v5, v[1:4]
	s_wait_dscnt 0x0
	s_barrier_signal -1
	s_barrier_wait -1
	global_inv scope:SCOPE_SE
	v_cmpx_gt_u32_e32 51, v0
	s_cbranch_execz .LBB116_219
; %bb.216:
	v_dual_mov_b32 v1, 0 :: v_dual_add_nc_u32 v8, 0x350, v13
	v_mov_b32_e32 v3, 0
	v_dual_mov_b32 v2, 0 :: v_dual_add_nc_u32 v7, -1, v0
	v_mov_b32_e32 v4, 0
	v_or_b32_e32 v9, 8, v14
	s_mov_b32 s1, 0
.LBB116_217:                            ; =>This Inner Loop Header: Depth=1
	scratch_load_b128 v[10:13], v9, off offset:-8
	ds_load_b128 v[15:18], v8
	v_add_nc_u32_e32 v7, 1, v7
	v_add_nc_u32_e32 v8, 16, v8
	v_add_nc_u32_e32 v9, 16, v9
	s_delay_alu instid0(VALU_DEP_3)
	v_cmp_lt_u32_e32 vcc_lo, 49, v7
	s_wait_alu 0xfffe
	s_or_b32 s1, vcc_lo, s1
	s_wait_loadcnt_dscnt 0x0
	v_mul_f64_e32 v[19:20], v[17:18], v[12:13]
	v_mul_f64_e32 v[12:13], v[15:16], v[12:13]
	s_delay_alu instid0(VALU_DEP_2) | instskip(NEXT) | instid1(VALU_DEP_2)
	v_fma_f64 v[15:16], v[15:16], v[10:11], -v[19:20]
	v_fma_f64 v[10:11], v[17:18], v[10:11], v[12:13]
	s_delay_alu instid0(VALU_DEP_2) | instskip(NEXT) | instid1(VALU_DEP_2)
	v_add_f64_e32 v[3:4], v[3:4], v[15:16]
	v_add_f64_e32 v[1:2], v[1:2], v[10:11]
	s_wait_alu 0xfffe
	s_and_not1_b32 exec_lo, exec_lo, s1
	s_cbranch_execnz .LBB116_217
; %bb.218:
	s_or_b32 exec_lo, exec_lo, s1
	v_mov_b32_e32 v7, 0
	ds_load_b128 v[7:10], v7 offset:816
	s_wait_dscnt 0x0
	v_mul_f64_e32 v[11:12], v[1:2], v[9:10]
	v_mul_f64_e32 v[15:16], v[3:4], v[9:10]
	s_delay_alu instid0(VALU_DEP_2) | instskip(NEXT) | instid1(VALU_DEP_2)
	v_fma_f64 v[9:10], v[3:4], v[7:8], -v[11:12]
	v_fma_f64 v[11:12], v[1:2], v[7:8], v[15:16]
	scratch_store_b128 off, v[9:12], off offset:832
.LBB116_219:
	s_wait_alu 0xfffe
	s_or_b32 exec_lo, exec_lo, s0
	s_wait_loadcnt 0x0
	s_wait_storecnt 0x0
	s_barrier_signal -1
	s_barrier_wait -1
	global_inv scope:SCOPE_SE
	scratch_load_b128 v[1:4], off, s5
	s_mov_b32 s0, exec_lo
	s_wait_loadcnt 0x0
	ds_store_b128 v5, v[1:4]
	s_wait_dscnt 0x0
	s_barrier_signal -1
	s_barrier_wait -1
	global_inv scope:SCOPE_SE
	v_cmpx_ne_u32_e32 52, v0
	s_cbranch_execz .LBB116_223
; %bb.220:
	v_mov_b32_e32 v1, 0
	v_dual_mov_b32 v2, 0 :: v_dual_mov_b32 v3, 0
	v_mov_b32_e32 v4, 0
	v_or_b32_e32 v7, 8, v14
	s_mov_b32 s1, 0
.LBB116_221:                            ; =>This Inner Loop Header: Depth=1
	scratch_load_b128 v[8:11], v7, off offset:-8
	ds_load_b128 v[12:15], v5
	v_add_nc_u32_e32 v6, 1, v6
	v_add_nc_u32_e32 v5, 16, v5
	;; [unrolled: 1-line block ×3, first 2 shown]
	s_delay_alu instid0(VALU_DEP_3)
	v_cmp_lt_u32_e32 vcc_lo, 50, v6
	s_wait_alu 0xfffe
	s_or_b32 s1, vcc_lo, s1
	s_wait_loadcnt_dscnt 0x0
	v_mul_f64_e32 v[16:17], v[14:15], v[10:11]
	v_mul_f64_e32 v[10:11], v[12:13], v[10:11]
	s_delay_alu instid0(VALU_DEP_2) | instskip(NEXT) | instid1(VALU_DEP_2)
	v_fma_f64 v[12:13], v[12:13], v[8:9], -v[16:17]
	v_fma_f64 v[8:9], v[14:15], v[8:9], v[10:11]
	s_delay_alu instid0(VALU_DEP_2) | instskip(NEXT) | instid1(VALU_DEP_2)
	v_add_f64_e32 v[3:4], v[3:4], v[12:13]
	v_add_f64_e32 v[1:2], v[1:2], v[8:9]
	s_wait_alu 0xfffe
	s_and_not1_b32 exec_lo, exec_lo, s1
	s_cbranch_execnz .LBB116_221
; %bb.222:
	s_or_b32 exec_lo, exec_lo, s1
	v_mov_b32_e32 v5, 0
	ds_load_b128 v[5:8], v5 offset:832
	s_wait_dscnt 0x0
	v_mul_f64_e32 v[9:10], v[1:2], v[7:8]
	v_mul_f64_e32 v[7:8], v[3:4], v[7:8]
	s_delay_alu instid0(VALU_DEP_2) | instskip(NEXT) | instid1(VALU_DEP_2)
	v_fma_f64 v[3:4], v[3:4], v[5:6], -v[9:10]
	v_fma_f64 v[5:6], v[1:2], v[5:6], v[7:8]
	scratch_store_b128 off, v[3:6], off offset:848
.LBB116_223:
	s_wait_alu 0xfffe
	s_or_b32 exec_lo, exec_lo, s0
	s_mov_b32 s1, -1
	s_wait_loadcnt 0x0
	s_wait_storecnt 0x0
	s_barrier_signal -1
	s_barrier_wait -1
	global_inv scope:SCOPE_SE
.LBB116_224:
	s_wait_alu 0xfffe
	s_and_b32 vcc_lo, exec_lo, s1
	s_wait_alu 0xfffe
	s_cbranch_vccz .LBB116_226
; %bb.225:
	v_mov_b32_e32 v1, 0
	s_lshl_b64 s[0:1], s[8:9], 2
	s_wait_alu 0xfffe
	s_add_nc_u64 s[0:1], s[6:7], s[0:1]
	global_load_b32 v1, v1, s[0:1]
	s_wait_loadcnt 0x0
	v_cmp_ne_u32_e32 vcc_lo, 0, v1
	s_cbranch_vccz .LBB116_227
.LBB116_226:
	s_nop 0
	s_sendmsg sendmsg(MSG_DEALLOC_VGPRS)
	s_endpgm
.LBB116_227:
	v_lshl_add_u32 v152, v0, 4, 0x350
	s_mov_b32 s0, exec_lo
	v_cmpx_eq_u32_e32 52, v0
	s_cbranch_execz .LBB116_229
; %bb.228:
	scratch_load_b128 v[1:4], off, s11
	v_mov_b32_e32 v5, 0
	s_delay_alu instid0(VALU_DEP_1)
	v_dual_mov_b32 v6, v5 :: v_dual_mov_b32 v7, v5
	v_mov_b32_e32 v8, v5
	scratch_store_b128 off, v[5:8], off offset:832
	s_wait_loadcnt 0x0
	ds_store_b128 v152, v[1:4]
.LBB116_229:
	s_wait_alu 0xfffe
	s_or_b32 exec_lo, exec_lo, s0
	s_wait_storecnt_dscnt 0x0
	s_barrier_signal -1
	s_barrier_wait -1
	global_inv scope:SCOPE_SE
	s_clause 0x1
	scratch_load_b128 v[2:5], off, off offset:848
	scratch_load_b128 v[6:9], off, off offset:832
	v_mov_b32_e32 v1, 0
	s_mov_b32 s0, exec_lo
	ds_load_b128 v[10:13], v1 offset:1680
	s_wait_loadcnt_dscnt 0x100
	v_mul_f64_e32 v[14:15], v[12:13], v[4:5]
	v_mul_f64_e32 v[4:5], v[10:11], v[4:5]
	s_delay_alu instid0(VALU_DEP_2) | instskip(NEXT) | instid1(VALU_DEP_2)
	v_fma_f64 v[10:11], v[10:11], v[2:3], -v[14:15]
	v_fma_f64 v[2:3], v[12:13], v[2:3], v[4:5]
	s_delay_alu instid0(VALU_DEP_2) | instskip(NEXT) | instid1(VALU_DEP_2)
	v_add_f64_e32 v[4:5], 0, v[10:11]
	v_add_f64_e32 v[10:11], 0, v[2:3]
	s_wait_loadcnt 0x0
	s_delay_alu instid0(VALU_DEP_2) | instskip(NEXT) | instid1(VALU_DEP_2)
	v_add_f64_e64 v[2:3], v[6:7], -v[4:5]
	v_add_f64_e64 v[4:5], v[8:9], -v[10:11]
	scratch_store_b128 off, v[2:5], off offset:832
	v_cmpx_lt_u32_e32 50, v0
	s_cbranch_execz .LBB116_231
; %bb.230:
	scratch_load_b128 v[5:8], off, s14
	v_dual_mov_b32 v2, v1 :: v_dual_mov_b32 v3, v1
	v_mov_b32_e32 v4, v1
	scratch_store_b128 off, v[1:4], off offset:816
	s_wait_loadcnt 0x0
	ds_store_b128 v152, v[5:8]
.LBB116_231:
	s_wait_alu 0xfffe
	s_or_b32 exec_lo, exec_lo, s0
	s_wait_storecnt_dscnt 0x0
	s_barrier_signal -1
	s_barrier_wait -1
	global_inv scope:SCOPE_SE
	s_clause 0x2
	scratch_load_b128 v[2:5], off, off offset:832
	scratch_load_b128 v[6:9], off, off offset:848
	scratch_load_b128 v[10:13], off, off offset:816
	ds_load_b128 v[14:17], v1 offset:1664
	ds_load_b128 v[18:21], v1 offset:1680
	s_mov_b32 s0, exec_lo
	s_wait_loadcnt_dscnt 0x201
	v_mul_f64_e32 v[22:23], v[16:17], v[4:5]
	v_mul_f64_e32 v[4:5], v[14:15], v[4:5]
	s_wait_loadcnt_dscnt 0x100
	v_mul_f64_e32 v[24:25], v[18:19], v[8:9]
	v_mul_f64_e32 v[8:9], v[20:21], v[8:9]
	s_delay_alu instid0(VALU_DEP_4) | instskip(NEXT) | instid1(VALU_DEP_4)
	v_fma_f64 v[14:15], v[14:15], v[2:3], -v[22:23]
	v_fma_f64 v[1:2], v[16:17], v[2:3], v[4:5]
	s_delay_alu instid0(VALU_DEP_4) | instskip(NEXT) | instid1(VALU_DEP_4)
	v_fma_f64 v[3:4], v[20:21], v[6:7], v[24:25]
	v_fma_f64 v[5:6], v[18:19], v[6:7], -v[8:9]
	s_delay_alu instid0(VALU_DEP_4) | instskip(NEXT) | instid1(VALU_DEP_4)
	v_add_f64_e32 v[7:8], 0, v[14:15]
	v_add_f64_e32 v[1:2], 0, v[1:2]
	s_delay_alu instid0(VALU_DEP_2) | instskip(NEXT) | instid1(VALU_DEP_2)
	v_add_f64_e32 v[5:6], v[7:8], v[5:6]
	v_add_f64_e32 v[3:4], v[1:2], v[3:4]
	s_wait_loadcnt 0x0
	s_delay_alu instid0(VALU_DEP_2) | instskip(NEXT) | instid1(VALU_DEP_2)
	v_add_f64_e64 v[1:2], v[10:11], -v[5:6]
	v_add_f64_e64 v[3:4], v[12:13], -v[3:4]
	scratch_store_b128 off, v[1:4], off offset:816
	v_cmpx_lt_u32_e32 49, v0
	s_cbranch_execz .LBB116_233
; %bb.232:
	scratch_load_b128 v[1:4], off, s16
	v_mov_b32_e32 v5, 0
	s_delay_alu instid0(VALU_DEP_1)
	v_dual_mov_b32 v6, v5 :: v_dual_mov_b32 v7, v5
	v_mov_b32_e32 v8, v5
	scratch_store_b128 off, v[5:8], off offset:800
	s_wait_loadcnt 0x0
	ds_store_b128 v152, v[1:4]
.LBB116_233:
	s_wait_alu 0xfffe
	s_or_b32 exec_lo, exec_lo, s0
	s_wait_storecnt_dscnt 0x0
	s_barrier_signal -1
	s_barrier_wait -1
	global_inv scope:SCOPE_SE
	s_clause 0x3
	scratch_load_b128 v[2:5], off, off offset:816
	scratch_load_b128 v[6:9], off, off offset:832
	;; [unrolled: 1-line block ×4, first 2 shown]
	v_mov_b32_e32 v1, 0
	ds_load_b128 v[18:21], v1 offset:1648
	ds_load_b128 v[22:25], v1 offset:1664
	s_mov_b32 s0, exec_lo
	s_wait_loadcnt_dscnt 0x301
	v_mul_f64_e32 v[26:27], v[20:21], v[4:5]
	v_mul_f64_e32 v[4:5], v[18:19], v[4:5]
	s_wait_loadcnt_dscnt 0x200
	v_mul_f64_e32 v[28:29], v[22:23], v[8:9]
	v_mul_f64_e32 v[8:9], v[24:25], v[8:9]
	s_delay_alu instid0(VALU_DEP_4) | instskip(NEXT) | instid1(VALU_DEP_4)
	v_fma_f64 v[18:19], v[18:19], v[2:3], -v[26:27]
	v_fma_f64 v[20:21], v[20:21], v[2:3], v[4:5]
	ds_load_b128 v[2:5], v1 offset:1680
	v_fma_f64 v[24:25], v[24:25], v[6:7], v[28:29]
	v_fma_f64 v[6:7], v[22:23], v[6:7], -v[8:9]
	s_wait_loadcnt_dscnt 0x100
	v_mul_f64_e32 v[26:27], v[2:3], v[12:13]
	v_mul_f64_e32 v[12:13], v[4:5], v[12:13]
	v_add_f64_e32 v[8:9], 0, v[18:19]
	v_add_f64_e32 v[18:19], 0, v[20:21]
	s_delay_alu instid0(VALU_DEP_4) | instskip(NEXT) | instid1(VALU_DEP_4)
	v_fma_f64 v[4:5], v[4:5], v[10:11], v[26:27]
	v_fma_f64 v[2:3], v[2:3], v[10:11], -v[12:13]
	s_delay_alu instid0(VALU_DEP_4) | instskip(NEXT) | instid1(VALU_DEP_4)
	v_add_f64_e32 v[6:7], v[8:9], v[6:7]
	v_add_f64_e32 v[8:9], v[18:19], v[24:25]
	s_delay_alu instid0(VALU_DEP_2) | instskip(NEXT) | instid1(VALU_DEP_2)
	v_add_f64_e32 v[2:3], v[6:7], v[2:3]
	v_add_f64_e32 v[4:5], v[8:9], v[4:5]
	s_wait_loadcnt 0x0
	s_delay_alu instid0(VALU_DEP_2) | instskip(NEXT) | instid1(VALU_DEP_2)
	v_add_f64_e64 v[2:3], v[14:15], -v[2:3]
	v_add_f64_e64 v[4:5], v[16:17], -v[4:5]
	scratch_store_b128 off, v[2:5], off offset:800
	v_cmpx_lt_u32_e32 48, v0
	s_cbranch_execz .LBB116_235
; %bb.234:
	scratch_load_b128 v[5:8], off, s17
	v_dual_mov_b32 v2, v1 :: v_dual_mov_b32 v3, v1
	v_mov_b32_e32 v4, v1
	scratch_store_b128 off, v[1:4], off offset:784
	s_wait_loadcnt 0x0
	ds_store_b128 v152, v[5:8]
.LBB116_235:
	s_wait_alu 0xfffe
	s_or_b32 exec_lo, exec_lo, s0
	s_wait_storecnt_dscnt 0x0
	s_barrier_signal -1
	s_barrier_wait -1
	global_inv scope:SCOPE_SE
	s_clause 0x4
	scratch_load_b128 v[2:5], off, off offset:800
	scratch_load_b128 v[6:9], off, off offset:816
	;; [unrolled: 1-line block ×5, first 2 shown]
	ds_load_b128 v[22:25], v1 offset:1632
	ds_load_b128 v[26:29], v1 offset:1648
	s_mov_b32 s0, exec_lo
	s_wait_loadcnt_dscnt 0x401
	v_mul_f64_e32 v[30:31], v[24:25], v[4:5]
	v_mul_f64_e32 v[4:5], v[22:23], v[4:5]
	s_wait_loadcnt_dscnt 0x300
	v_mul_f64_e32 v[32:33], v[26:27], v[8:9]
	v_mul_f64_e32 v[8:9], v[28:29], v[8:9]
	s_delay_alu instid0(VALU_DEP_4) | instskip(NEXT) | instid1(VALU_DEP_4)
	v_fma_f64 v[30:31], v[22:23], v[2:3], -v[30:31]
	v_fma_f64 v[34:35], v[24:25], v[2:3], v[4:5]
	ds_load_b128 v[2:5], v1 offset:1664
	ds_load_b128 v[22:25], v1 offset:1680
	v_fma_f64 v[28:29], v[28:29], v[6:7], v[32:33]
	v_fma_f64 v[6:7], v[26:27], v[6:7], -v[8:9]
	s_wait_loadcnt_dscnt 0x201
	v_mul_f64_e32 v[36:37], v[2:3], v[12:13]
	v_mul_f64_e32 v[12:13], v[4:5], v[12:13]
	v_add_f64_e32 v[8:9], 0, v[30:31]
	v_add_f64_e32 v[26:27], 0, v[34:35]
	s_wait_loadcnt_dscnt 0x100
	v_mul_f64_e32 v[30:31], v[22:23], v[16:17]
	v_mul_f64_e32 v[16:17], v[24:25], v[16:17]
	v_fma_f64 v[4:5], v[4:5], v[10:11], v[36:37]
	v_fma_f64 v[1:2], v[2:3], v[10:11], -v[12:13]
	v_add_f64_e32 v[6:7], v[8:9], v[6:7]
	v_add_f64_e32 v[8:9], v[26:27], v[28:29]
	v_fma_f64 v[10:11], v[24:25], v[14:15], v[30:31]
	v_fma_f64 v[12:13], v[22:23], v[14:15], -v[16:17]
	s_delay_alu instid0(VALU_DEP_4) | instskip(NEXT) | instid1(VALU_DEP_4)
	v_add_f64_e32 v[1:2], v[6:7], v[1:2]
	v_add_f64_e32 v[3:4], v[8:9], v[4:5]
	s_delay_alu instid0(VALU_DEP_2) | instskip(NEXT) | instid1(VALU_DEP_2)
	v_add_f64_e32 v[1:2], v[1:2], v[12:13]
	v_add_f64_e32 v[3:4], v[3:4], v[10:11]
	s_wait_loadcnt 0x0
	s_delay_alu instid0(VALU_DEP_2) | instskip(NEXT) | instid1(VALU_DEP_2)
	v_add_f64_e64 v[1:2], v[18:19], -v[1:2]
	v_add_f64_e64 v[3:4], v[20:21], -v[3:4]
	scratch_store_b128 off, v[1:4], off offset:784
	v_cmpx_lt_u32_e32 47, v0
	s_cbranch_execz .LBB116_237
; %bb.236:
	scratch_load_b128 v[1:4], off, s18
	v_mov_b32_e32 v5, 0
	s_delay_alu instid0(VALU_DEP_1)
	v_dual_mov_b32 v6, v5 :: v_dual_mov_b32 v7, v5
	v_mov_b32_e32 v8, v5
	scratch_store_b128 off, v[5:8], off offset:768
	s_wait_loadcnt 0x0
	ds_store_b128 v152, v[1:4]
.LBB116_237:
	s_wait_alu 0xfffe
	s_or_b32 exec_lo, exec_lo, s0
	s_wait_storecnt_dscnt 0x0
	s_barrier_signal -1
	s_barrier_wait -1
	global_inv scope:SCOPE_SE
	s_clause 0x5
	scratch_load_b128 v[2:5], off, off offset:784
	scratch_load_b128 v[6:9], off, off offset:800
	;; [unrolled: 1-line block ×6, first 2 shown]
	v_mov_b32_e32 v1, 0
	ds_load_b128 v[26:29], v1 offset:1616
	ds_load_b128 v[30:33], v1 offset:1632
	s_mov_b32 s0, exec_lo
	s_wait_loadcnt_dscnt 0x501
	v_mul_f64_e32 v[34:35], v[28:29], v[4:5]
	v_mul_f64_e32 v[4:5], v[26:27], v[4:5]
	s_wait_loadcnt_dscnt 0x400
	v_mul_f64_e32 v[36:37], v[30:31], v[8:9]
	v_mul_f64_e32 v[8:9], v[32:33], v[8:9]
	s_delay_alu instid0(VALU_DEP_4) | instskip(NEXT) | instid1(VALU_DEP_4)
	v_fma_f64 v[34:35], v[26:27], v[2:3], -v[34:35]
	v_fma_f64 v[38:39], v[28:29], v[2:3], v[4:5]
	ds_load_b128 v[2:5], v1 offset:1648
	ds_load_b128 v[26:29], v1 offset:1664
	v_fma_f64 v[32:33], v[32:33], v[6:7], v[36:37]
	v_fma_f64 v[6:7], v[30:31], v[6:7], -v[8:9]
	s_wait_loadcnt_dscnt 0x301
	v_mul_f64_e32 v[40:41], v[2:3], v[12:13]
	v_mul_f64_e32 v[12:13], v[4:5], v[12:13]
	v_add_f64_e32 v[8:9], 0, v[34:35]
	v_add_f64_e32 v[30:31], 0, v[38:39]
	s_wait_loadcnt_dscnt 0x200
	v_mul_f64_e32 v[34:35], v[26:27], v[16:17]
	v_mul_f64_e32 v[16:17], v[28:29], v[16:17]
	v_fma_f64 v[36:37], v[4:5], v[10:11], v[40:41]
	v_fma_f64 v[10:11], v[2:3], v[10:11], -v[12:13]
	ds_load_b128 v[2:5], v1 offset:1680
	v_add_f64_e32 v[6:7], v[8:9], v[6:7]
	v_add_f64_e32 v[8:9], v[30:31], v[32:33]
	v_fma_f64 v[28:29], v[28:29], v[14:15], v[34:35]
	v_fma_f64 v[14:15], v[26:27], v[14:15], -v[16:17]
	s_wait_loadcnt_dscnt 0x100
	v_mul_f64_e32 v[12:13], v[2:3], v[20:21]
	v_mul_f64_e32 v[20:21], v[4:5], v[20:21]
	v_add_f64_e32 v[6:7], v[6:7], v[10:11]
	v_add_f64_e32 v[8:9], v[8:9], v[36:37]
	s_delay_alu instid0(VALU_DEP_4) | instskip(NEXT) | instid1(VALU_DEP_4)
	v_fma_f64 v[4:5], v[4:5], v[18:19], v[12:13]
	v_fma_f64 v[2:3], v[2:3], v[18:19], -v[20:21]
	s_delay_alu instid0(VALU_DEP_4) | instskip(NEXT) | instid1(VALU_DEP_4)
	v_add_f64_e32 v[6:7], v[6:7], v[14:15]
	v_add_f64_e32 v[8:9], v[8:9], v[28:29]
	s_delay_alu instid0(VALU_DEP_2) | instskip(NEXT) | instid1(VALU_DEP_2)
	v_add_f64_e32 v[2:3], v[6:7], v[2:3]
	v_add_f64_e32 v[4:5], v[8:9], v[4:5]
	s_wait_loadcnt 0x0
	s_delay_alu instid0(VALU_DEP_2) | instskip(NEXT) | instid1(VALU_DEP_2)
	v_add_f64_e64 v[2:3], v[22:23], -v[2:3]
	v_add_f64_e64 v[4:5], v[24:25], -v[4:5]
	scratch_store_b128 off, v[2:5], off offset:768
	v_cmpx_lt_u32_e32 46, v0
	s_cbranch_execz .LBB116_239
; %bb.238:
	scratch_load_b128 v[5:8], off, s19
	v_dual_mov_b32 v2, v1 :: v_dual_mov_b32 v3, v1
	v_mov_b32_e32 v4, v1
	scratch_store_b128 off, v[1:4], off offset:752
	s_wait_loadcnt 0x0
	ds_store_b128 v152, v[5:8]
.LBB116_239:
	s_wait_alu 0xfffe
	s_or_b32 exec_lo, exec_lo, s0
	s_wait_storecnt_dscnt 0x0
	s_barrier_signal -1
	s_barrier_wait -1
	global_inv scope:SCOPE_SE
	s_clause 0x5
	scratch_load_b128 v[2:5], off, off offset:768
	scratch_load_b128 v[6:9], off, off offset:784
	;; [unrolled: 1-line block ×6, first 2 shown]
	ds_load_b128 v[26:29], v1 offset:1600
	ds_load_b128 v[34:37], v1 offset:1616
	scratch_load_b128 v[30:33], off, off offset:752
	s_mov_b32 s0, exec_lo
	s_wait_loadcnt_dscnt 0x601
	v_mul_f64_e32 v[38:39], v[28:29], v[4:5]
	v_mul_f64_e32 v[4:5], v[26:27], v[4:5]
	s_wait_loadcnt_dscnt 0x500
	v_mul_f64_e32 v[40:41], v[34:35], v[8:9]
	v_mul_f64_e32 v[8:9], v[36:37], v[8:9]
	s_delay_alu instid0(VALU_DEP_4) | instskip(NEXT) | instid1(VALU_DEP_4)
	v_fma_f64 v[38:39], v[26:27], v[2:3], -v[38:39]
	v_fma_f64 v[42:43], v[28:29], v[2:3], v[4:5]
	ds_load_b128 v[2:5], v1 offset:1632
	ds_load_b128 v[26:29], v1 offset:1648
	v_fma_f64 v[36:37], v[36:37], v[6:7], v[40:41]
	v_fma_f64 v[6:7], v[34:35], v[6:7], -v[8:9]
	s_wait_loadcnt_dscnt 0x401
	v_mul_f64_e32 v[44:45], v[2:3], v[12:13]
	v_mul_f64_e32 v[12:13], v[4:5], v[12:13]
	v_add_f64_e32 v[8:9], 0, v[38:39]
	v_add_f64_e32 v[34:35], 0, v[42:43]
	s_wait_loadcnt_dscnt 0x300
	v_mul_f64_e32 v[38:39], v[26:27], v[16:17]
	v_mul_f64_e32 v[16:17], v[28:29], v[16:17]
	v_fma_f64 v[40:41], v[4:5], v[10:11], v[44:45]
	v_fma_f64 v[10:11], v[2:3], v[10:11], -v[12:13]
	v_add_f64_e32 v[12:13], v[8:9], v[6:7]
	v_add_f64_e32 v[34:35], v[34:35], v[36:37]
	ds_load_b128 v[2:5], v1 offset:1664
	ds_load_b128 v[6:9], v1 offset:1680
	v_fma_f64 v[28:29], v[28:29], v[14:15], v[38:39]
	v_fma_f64 v[14:15], v[26:27], v[14:15], -v[16:17]
	s_wait_loadcnt_dscnt 0x201
	v_mul_f64_e32 v[36:37], v[2:3], v[20:21]
	v_mul_f64_e32 v[20:21], v[4:5], v[20:21]
	s_wait_loadcnt_dscnt 0x100
	v_mul_f64_e32 v[16:17], v[6:7], v[24:25]
	v_mul_f64_e32 v[24:25], v[8:9], v[24:25]
	v_add_f64_e32 v[10:11], v[12:13], v[10:11]
	v_add_f64_e32 v[12:13], v[34:35], v[40:41]
	v_fma_f64 v[4:5], v[4:5], v[18:19], v[36:37]
	v_fma_f64 v[1:2], v[2:3], v[18:19], -v[20:21]
	v_fma_f64 v[8:9], v[8:9], v[22:23], v[16:17]
	v_fma_f64 v[6:7], v[6:7], v[22:23], -v[24:25]
	v_add_f64_e32 v[10:11], v[10:11], v[14:15]
	v_add_f64_e32 v[12:13], v[12:13], v[28:29]
	s_delay_alu instid0(VALU_DEP_2) | instskip(NEXT) | instid1(VALU_DEP_2)
	v_add_f64_e32 v[1:2], v[10:11], v[1:2]
	v_add_f64_e32 v[3:4], v[12:13], v[4:5]
	s_delay_alu instid0(VALU_DEP_2) | instskip(NEXT) | instid1(VALU_DEP_2)
	v_add_f64_e32 v[1:2], v[1:2], v[6:7]
	v_add_f64_e32 v[3:4], v[3:4], v[8:9]
	s_wait_loadcnt 0x0
	s_delay_alu instid0(VALU_DEP_2) | instskip(NEXT) | instid1(VALU_DEP_2)
	v_add_f64_e64 v[1:2], v[30:31], -v[1:2]
	v_add_f64_e64 v[3:4], v[32:33], -v[3:4]
	scratch_store_b128 off, v[1:4], off offset:752
	v_cmpx_lt_u32_e32 45, v0
	s_cbranch_execz .LBB116_241
; %bb.240:
	scratch_load_b128 v[1:4], off, s20
	v_mov_b32_e32 v5, 0
	s_delay_alu instid0(VALU_DEP_1)
	v_dual_mov_b32 v6, v5 :: v_dual_mov_b32 v7, v5
	v_mov_b32_e32 v8, v5
	scratch_store_b128 off, v[5:8], off offset:736
	s_wait_loadcnt 0x0
	ds_store_b128 v152, v[1:4]
.LBB116_241:
	s_wait_alu 0xfffe
	s_or_b32 exec_lo, exec_lo, s0
	s_wait_storecnt_dscnt 0x0
	s_barrier_signal -1
	s_barrier_wait -1
	global_inv scope:SCOPE_SE
	s_clause 0x6
	scratch_load_b128 v[2:5], off, off offset:752
	scratch_load_b128 v[6:9], off, off offset:768
	;; [unrolled: 1-line block ×7, first 2 shown]
	v_mov_b32_e32 v1, 0
	scratch_load_b128 v[34:37], off, off offset:736
	s_mov_b32 s0, exec_lo
	ds_load_b128 v[30:33], v1 offset:1584
	ds_load_b128 v[38:41], v1 offset:1600
	s_wait_loadcnt_dscnt 0x701
	v_mul_f64_e32 v[42:43], v[32:33], v[4:5]
	v_mul_f64_e32 v[4:5], v[30:31], v[4:5]
	s_wait_loadcnt_dscnt 0x600
	v_mul_f64_e32 v[44:45], v[38:39], v[8:9]
	v_mul_f64_e32 v[8:9], v[40:41], v[8:9]
	s_delay_alu instid0(VALU_DEP_4) | instskip(NEXT) | instid1(VALU_DEP_4)
	v_fma_f64 v[42:43], v[30:31], v[2:3], -v[42:43]
	v_fma_f64 v[153:154], v[32:33], v[2:3], v[4:5]
	ds_load_b128 v[2:5], v1 offset:1616
	ds_load_b128 v[30:33], v1 offset:1632
	v_fma_f64 v[40:41], v[40:41], v[6:7], v[44:45]
	v_fma_f64 v[6:7], v[38:39], v[6:7], -v[8:9]
	s_wait_loadcnt_dscnt 0x501
	v_mul_f64_e32 v[155:156], v[2:3], v[12:13]
	v_mul_f64_e32 v[12:13], v[4:5], v[12:13]
	v_add_f64_e32 v[8:9], 0, v[42:43]
	v_add_f64_e32 v[38:39], 0, v[153:154]
	s_wait_loadcnt_dscnt 0x400
	v_mul_f64_e32 v[42:43], v[30:31], v[16:17]
	v_mul_f64_e32 v[16:17], v[32:33], v[16:17]
	v_fma_f64 v[44:45], v[4:5], v[10:11], v[155:156]
	v_fma_f64 v[10:11], v[2:3], v[10:11], -v[12:13]
	v_add_f64_e32 v[12:13], v[8:9], v[6:7]
	v_add_f64_e32 v[38:39], v[38:39], v[40:41]
	ds_load_b128 v[2:5], v1 offset:1648
	ds_load_b128 v[6:9], v1 offset:1664
	v_fma_f64 v[32:33], v[32:33], v[14:15], v[42:43]
	v_fma_f64 v[14:15], v[30:31], v[14:15], -v[16:17]
	s_wait_loadcnt_dscnt 0x301
	v_mul_f64_e32 v[40:41], v[2:3], v[20:21]
	v_mul_f64_e32 v[20:21], v[4:5], v[20:21]
	s_wait_loadcnt_dscnt 0x200
	v_mul_f64_e32 v[16:17], v[6:7], v[24:25]
	v_mul_f64_e32 v[24:25], v[8:9], v[24:25]
	v_add_f64_e32 v[10:11], v[12:13], v[10:11]
	v_add_f64_e32 v[12:13], v[38:39], v[44:45]
	v_fma_f64 v[30:31], v[4:5], v[18:19], v[40:41]
	v_fma_f64 v[18:19], v[2:3], v[18:19], -v[20:21]
	ds_load_b128 v[2:5], v1 offset:1680
	v_fma_f64 v[8:9], v[8:9], v[22:23], v[16:17]
	v_fma_f64 v[6:7], v[6:7], v[22:23], -v[24:25]
	v_add_f64_e32 v[10:11], v[10:11], v[14:15]
	v_add_f64_e32 v[12:13], v[12:13], v[32:33]
	s_wait_loadcnt_dscnt 0x100
	v_mul_f64_e32 v[14:15], v[2:3], v[28:29]
	v_mul_f64_e32 v[20:21], v[4:5], v[28:29]
	s_delay_alu instid0(VALU_DEP_4) | instskip(NEXT) | instid1(VALU_DEP_4)
	v_add_f64_e32 v[10:11], v[10:11], v[18:19]
	v_add_f64_e32 v[12:13], v[12:13], v[30:31]
	s_delay_alu instid0(VALU_DEP_4) | instskip(NEXT) | instid1(VALU_DEP_4)
	v_fma_f64 v[4:5], v[4:5], v[26:27], v[14:15]
	v_fma_f64 v[2:3], v[2:3], v[26:27], -v[20:21]
	s_delay_alu instid0(VALU_DEP_4) | instskip(NEXT) | instid1(VALU_DEP_4)
	v_add_f64_e32 v[6:7], v[10:11], v[6:7]
	v_add_f64_e32 v[8:9], v[12:13], v[8:9]
	s_delay_alu instid0(VALU_DEP_2) | instskip(NEXT) | instid1(VALU_DEP_2)
	v_add_f64_e32 v[2:3], v[6:7], v[2:3]
	v_add_f64_e32 v[4:5], v[8:9], v[4:5]
	s_wait_loadcnt 0x0
	s_delay_alu instid0(VALU_DEP_2) | instskip(NEXT) | instid1(VALU_DEP_2)
	v_add_f64_e64 v[2:3], v[34:35], -v[2:3]
	v_add_f64_e64 v[4:5], v[36:37], -v[4:5]
	scratch_store_b128 off, v[2:5], off offset:736
	v_cmpx_lt_u32_e32 44, v0
	s_cbranch_execz .LBB116_243
; %bb.242:
	scratch_load_b128 v[5:8], off, s21
	v_dual_mov_b32 v2, v1 :: v_dual_mov_b32 v3, v1
	v_mov_b32_e32 v4, v1
	scratch_store_b128 off, v[1:4], off offset:720
	s_wait_loadcnt 0x0
	ds_store_b128 v152, v[5:8]
.LBB116_243:
	s_wait_alu 0xfffe
	s_or_b32 exec_lo, exec_lo, s0
	s_wait_storecnt_dscnt 0x0
	s_barrier_signal -1
	s_barrier_wait -1
	global_inv scope:SCOPE_SE
	s_clause 0x7
	scratch_load_b128 v[2:5], off, off offset:736
	scratch_load_b128 v[6:9], off, off offset:752
	;; [unrolled: 1-line block ×8, first 2 shown]
	ds_load_b128 v[34:37], v1 offset:1568
	ds_load_b128 v[38:41], v1 offset:1584
	scratch_load_b128 v[42:45], off, off offset:720
	s_mov_b32 s0, exec_lo
	s_wait_loadcnt_dscnt 0x801
	v_mul_f64_e32 v[153:154], v[36:37], v[4:5]
	v_mul_f64_e32 v[4:5], v[34:35], v[4:5]
	s_wait_loadcnt_dscnt 0x700
	v_mul_f64_e32 v[155:156], v[38:39], v[8:9]
	v_mul_f64_e32 v[8:9], v[40:41], v[8:9]
	s_delay_alu instid0(VALU_DEP_4) | instskip(NEXT) | instid1(VALU_DEP_4)
	v_fma_f64 v[153:154], v[34:35], v[2:3], -v[153:154]
	v_fma_f64 v[157:158], v[36:37], v[2:3], v[4:5]
	ds_load_b128 v[2:5], v1 offset:1600
	ds_load_b128 v[34:37], v1 offset:1616
	v_fma_f64 v[40:41], v[40:41], v[6:7], v[155:156]
	v_fma_f64 v[6:7], v[38:39], v[6:7], -v[8:9]
	s_wait_loadcnt_dscnt 0x601
	v_mul_f64_e32 v[159:160], v[2:3], v[12:13]
	v_mul_f64_e32 v[12:13], v[4:5], v[12:13]
	v_add_f64_e32 v[8:9], 0, v[153:154]
	v_add_f64_e32 v[38:39], 0, v[157:158]
	s_wait_loadcnt_dscnt 0x500
	v_mul_f64_e32 v[153:154], v[34:35], v[16:17]
	v_mul_f64_e32 v[16:17], v[36:37], v[16:17]
	v_fma_f64 v[155:156], v[4:5], v[10:11], v[159:160]
	v_fma_f64 v[10:11], v[2:3], v[10:11], -v[12:13]
	v_add_f64_e32 v[12:13], v[8:9], v[6:7]
	v_add_f64_e32 v[38:39], v[38:39], v[40:41]
	ds_load_b128 v[2:5], v1 offset:1632
	ds_load_b128 v[6:9], v1 offset:1648
	v_fma_f64 v[36:37], v[36:37], v[14:15], v[153:154]
	v_fma_f64 v[14:15], v[34:35], v[14:15], -v[16:17]
	s_wait_loadcnt_dscnt 0x401
	v_mul_f64_e32 v[40:41], v[2:3], v[20:21]
	v_mul_f64_e32 v[20:21], v[4:5], v[20:21]
	s_wait_loadcnt_dscnt 0x300
	v_mul_f64_e32 v[16:17], v[6:7], v[24:25]
	v_mul_f64_e32 v[24:25], v[8:9], v[24:25]
	v_add_f64_e32 v[10:11], v[12:13], v[10:11]
	v_add_f64_e32 v[12:13], v[38:39], v[155:156]
	v_fma_f64 v[34:35], v[4:5], v[18:19], v[40:41]
	v_fma_f64 v[18:19], v[2:3], v[18:19], -v[20:21]
	v_fma_f64 v[8:9], v[8:9], v[22:23], v[16:17]
	v_fma_f64 v[6:7], v[6:7], v[22:23], -v[24:25]
	v_add_f64_e32 v[14:15], v[10:11], v[14:15]
	v_add_f64_e32 v[20:21], v[12:13], v[36:37]
	ds_load_b128 v[2:5], v1 offset:1664
	ds_load_b128 v[10:13], v1 offset:1680
	s_wait_loadcnt_dscnt 0x201
	v_mul_f64_e32 v[36:37], v[2:3], v[28:29]
	v_mul_f64_e32 v[28:29], v[4:5], v[28:29]
	v_add_f64_e32 v[14:15], v[14:15], v[18:19]
	v_add_f64_e32 v[16:17], v[20:21], v[34:35]
	s_wait_loadcnt_dscnt 0x100
	v_mul_f64_e32 v[18:19], v[10:11], v[32:33]
	v_mul_f64_e32 v[20:21], v[12:13], v[32:33]
	v_fma_f64 v[4:5], v[4:5], v[26:27], v[36:37]
	v_fma_f64 v[1:2], v[2:3], v[26:27], -v[28:29]
	v_add_f64_e32 v[6:7], v[14:15], v[6:7]
	v_add_f64_e32 v[8:9], v[16:17], v[8:9]
	v_fma_f64 v[12:13], v[12:13], v[30:31], v[18:19]
	v_fma_f64 v[10:11], v[10:11], v[30:31], -v[20:21]
	s_delay_alu instid0(VALU_DEP_4) | instskip(NEXT) | instid1(VALU_DEP_4)
	v_add_f64_e32 v[1:2], v[6:7], v[1:2]
	v_add_f64_e32 v[3:4], v[8:9], v[4:5]
	s_delay_alu instid0(VALU_DEP_2) | instskip(NEXT) | instid1(VALU_DEP_2)
	v_add_f64_e32 v[1:2], v[1:2], v[10:11]
	v_add_f64_e32 v[3:4], v[3:4], v[12:13]
	s_wait_loadcnt 0x0
	s_delay_alu instid0(VALU_DEP_2) | instskip(NEXT) | instid1(VALU_DEP_2)
	v_add_f64_e64 v[1:2], v[42:43], -v[1:2]
	v_add_f64_e64 v[3:4], v[44:45], -v[3:4]
	scratch_store_b128 off, v[1:4], off offset:720
	v_cmpx_lt_u32_e32 43, v0
	s_cbranch_execz .LBB116_245
; %bb.244:
	scratch_load_b128 v[1:4], off, s22
	v_mov_b32_e32 v5, 0
	s_delay_alu instid0(VALU_DEP_1)
	v_dual_mov_b32 v6, v5 :: v_dual_mov_b32 v7, v5
	v_mov_b32_e32 v8, v5
	scratch_store_b128 off, v[5:8], off offset:704
	s_wait_loadcnt 0x0
	ds_store_b128 v152, v[1:4]
.LBB116_245:
	s_wait_alu 0xfffe
	s_or_b32 exec_lo, exec_lo, s0
	s_wait_storecnt_dscnt 0x0
	s_barrier_signal -1
	s_barrier_wait -1
	global_inv scope:SCOPE_SE
	s_clause 0x7
	scratch_load_b128 v[2:5], off, off offset:720
	scratch_load_b128 v[6:9], off, off offset:736
	;; [unrolled: 1-line block ×8, first 2 shown]
	v_mov_b32_e32 v1, 0
	s_mov_b32 s0, exec_lo
	ds_load_b128 v[34:37], v1 offset:1552
	s_clause 0x1
	scratch_load_b128 v[38:41], off, off offset:848
	scratch_load_b128 v[42:45], off, off offset:704
	ds_load_b128 v[153:156], v1 offset:1568
	s_wait_loadcnt_dscnt 0x901
	v_mul_f64_e32 v[157:158], v[36:37], v[4:5]
	v_mul_f64_e32 v[4:5], v[34:35], v[4:5]
	s_wait_loadcnt_dscnt 0x800
	v_mul_f64_e32 v[159:160], v[153:154], v[8:9]
	v_mul_f64_e32 v[8:9], v[155:156], v[8:9]
	s_delay_alu instid0(VALU_DEP_4) | instskip(NEXT) | instid1(VALU_DEP_4)
	v_fma_f64 v[157:158], v[34:35], v[2:3], -v[157:158]
	v_fma_f64 v[161:162], v[36:37], v[2:3], v[4:5]
	ds_load_b128 v[2:5], v1 offset:1584
	ds_load_b128 v[34:37], v1 offset:1600
	v_fma_f64 v[155:156], v[155:156], v[6:7], v[159:160]
	v_fma_f64 v[6:7], v[153:154], v[6:7], -v[8:9]
	s_wait_loadcnt_dscnt 0x701
	v_mul_f64_e32 v[163:164], v[2:3], v[12:13]
	v_mul_f64_e32 v[12:13], v[4:5], v[12:13]
	v_add_f64_e32 v[8:9], 0, v[157:158]
	v_add_f64_e32 v[153:154], 0, v[161:162]
	s_wait_loadcnt_dscnt 0x600
	v_mul_f64_e32 v[157:158], v[34:35], v[16:17]
	v_mul_f64_e32 v[16:17], v[36:37], v[16:17]
	v_fma_f64 v[159:160], v[4:5], v[10:11], v[163:164]
	v_fma_f64 v[10:11], v[2:3], v[10:11], -v[12:13]
	v_add_f64_e32 v[12:13], v[8:9], v[6:7]
	v_add_f64_e32 v[153:154], v[153:154], v[155:156]
	ds_load_b128 v[2:5], v1 offset:1616
	ds_load_b128 v[6:9], v1 offset:1632
	v_fma_f64 v[36:37], v[36:37], v[14:15], v[157:158]
	v_fma_f64 v[14:15], v[34:35], v[14:15], -v[16:17]
	s_wait_loadcnt_dscnt 0x501
	v_mul_f64_e32 v[155:156], v[2:3], v[20:21]
	v_mul_f64_e32 v[20:21], v[4:5], v[20:21]
	s_wait_loadcnt_dscnt 0x400
	v_mul_f64_e32 v[16:17], v[6:7], v[24:25]
	v_mul_f64_e32 v[24:25], v[8:9], v[24:25]
	v_add_f64_e32 v[10:11], v[12:13], v[10:11]
	v_add_f64_e32 v[12:13], v[153:154], v[159:160]
	v_fma_f64 v[34:35], v[4:5], v[18:19], v[155:156]
	v_fma_f64 v[18:19], v[2:3], v[18:19], -v[20:21]
	v_fma_f64 v[8:9], v[8:9], v[22:23], v[16:17]
	v_fma_f64 v[6:7], v[6:7], v[22:23], -v[24:25]
	v_add_f64_e32 v[14:15], v[10:11], v[14:15]
	v_add_f64_e32 v[20:21], v[12:13], v[36:37]
	ds_load_b128 v[2:5], v1 offset:1648
	ds_load_b128 v[10:13], v1 offset:1664
	s_wait_loadcnt_dscnt 0x301
	v_mul_f64_e32 v[36:37], v[2:3], v[28:29]
	v_mul_f64_e32 v[28:29], v[4:5], v[28:29]
	v_add_f64_e32 v[14:15], v[14:15], v[18:19]
	v_add_f64_e32 v[16:17], v[20:21], v[34:35]
	s_wait_loadcnt_dscnt 0x200
	v_mul_f64_e32 v[18:19], v[10:11], v[32:33]
	v_mul_f64_e32 v[20:21], v[12:13], v[32:33]
	v_fma_f64 v[22:23], v[4:5], v[26:27], v[36:37]
	v_fma_f64 v[24:25], v[2:3], v[26:27], -v[28:29]
	ds_load_b128 v[2:5], v1 offset:1680
	v_add_f64_e32 v[6:7], v[14:15], v[6:7]
	v_add_f64_e32 v[8:9], v[16:17], v[8:9]
	v_fma_f64 v[12:13], v[12:13], v[30:31], v[18:19]
	v_fma_f64 v[10:11], v[10:11], v[30:31], -v[20:21]
	s_wait_loadcnt_dscnt 0x100
	v_mul_f64_e32 v[14:15], v[2:3], v[40:41]
	v_mul_f64_e32 v[16:17], v[4:5], v[40:41]
	v_add_f64_e32 v[6:7], v[6:7], v[24:25]
	v_add_f64_e32 v[8:9], v[8:9], v[22:23]
	s_delay_alu instid0(VALU_DEP_4) | instskip(NEXT) | instid1(VALU_DEP_4)
	v_fma_f64 v[4:5], v[4:5], v[38:39], v[14:15]
	v_fma_f64 v[2:3], v[2:3], v[38:39], -v[16:17]
	s_delay_alu instid0(VALU_DEP_4) | instskip(NEXT) | instid1(VALU_DEP_4)
	v_add_f64_e32 v[6:7], v[6:7], v[10:11]
	v_add_f64_e32 v[8:9], v[8:9], v[12:13]
	s_delay_alu instid0(VALU_DEP_2) | instskip(NEXT) | instid1(VALU_DEP_2)
	v_add_f64_e32 v[2:3], v[6:7], v[2:3]
	v_add_f64_e32 v[4:5], v[8:9], v[4:5]
	s_wait_loadcnt 0x0
	s_delay_alu instid0(VALU_DEP_2) | instskip(NEXT) | instid1(VALU_DEP_2)
	v_add_f64_e64 v[2:3], v[42:43], -v[2:3]
	v_add_f64_e64 v[4:5], v[44:45], -v[4:5]
	scratch_store_b128 off, v[2:5], off offset:704
	v_cmpx_lt_u32_e32 42, v0
	s_cbranch_execz .LBB116_247
; %bb.246:
	scratch_load_b128 v[5:8], off, s23
	v_dual_mov_b32 v2, v1 :: v_dual_mov_b32 v3, v1
	v_mov_b32_e32 v4, v1
	scratch_store_b128 off, v[1:4], off offset:688
	s_wait_loadcnt 0x0
	ds_store_b128 v152, v[5:8]
.LBB116_247:
	s_wait_alu 0xfffe
	s_or_b32 exec_lo, exec_lo, s0
	s_wait_storecnt_dscnt 0x0
	s_barrier_signal -1
	s_barrier_wait -1
	global_inv scope:SCOPE_SE
	s_clause 0x7
	scratch_load_b128 v[2:5], off, off offset:704
	scratch_load_b128 v[6:9], off, off offset:720
	;; [unrolled: 1-line block ×8, first 2 shown]
	ds_load_b128 v[34:37], v1 offset:1536
	ds_load_b128 v[42:45], v1 offset:1552
	s_clause 0x1
	scratch_load_b128 v[38:41], off, off offset:832
	scratch_load_b128 v[153:156], off, off offset:848
	s_mov_b32 s0, exec_lo
	s_wait_loadcnt_dscnt 0x901
	v_mul_f64_e32 v[157:158], v[36:37], v[4:5]
	v_mul_f64_e32 v[4:5], v[34:35], v[4:5]
	s_wait_loadcnt_dscnt 0x800
	v_mul_f64_e32 v[159:160], v[42:43], v[8:9]
	v_mul_f64_e32 v[8:9], v[44:45], v[8:9]
	s_delay_alu instid0(VALU_DEP_4) | instskip(NEXT) | instid1(VALU_DEP_4)
	v_fma_f64 v[34:35], v[34:35], v[2:3], -v[157:158]
	v_fma_f64 v[36:37], v[36:37], v[2:3], v[4:5]
	ds_load_b128 v[2:5], v1 offset:1568
	v_fma_f64 v[44:45], v[44:45], v[6:7], v[159:160]
	v_fma_f64 v[42:43], v[42:43], v[6:7], -v[8:9]
	ds_load_b128 v[6:9], v1 offset:1584
	s_wait_loadcnt_dscnt 0x701
	v_mul_f64_e32 v[157:158], v[2:3], v[12:13]
	v_mul_f64_e32 v[12:13], v[4:5], v[12:13]
	s_wait_loadcnt_dscnt 0x600
	v_mul_f64_e32 v[159:160], v[6:7], v[16:17]
	v_mul_f64_e32 v[16:17], v[8:9], v[16:17]
	v_add_f64_e32 v[34:35], 0, v[34:35]
	v_add_f64_e32 v[36:37], 0, v[36:37]
	v_fma_f64 v[157:158], v[4:5], v[10:11], v[157:158]
	v_fma_f64 v[161:162], v[2:3], v[10:11], -v[12:13]
	ds_load_b128 v[2:5], v1 offset:1600
	scratch_load_b128 v[10:13], off, off offset:688
	v_add_f64_e32 v[34:35], v[34:35], v[42:43]
	v_add_f64_e32 v[36:37], v[36:37], v[44:45]
	v_fma_f64 v[44:45], v[8:9], v[14:15], v[159:160]
	v_fma_f64 v[14:15], v[6:7], v[14:15], -v[16:17]
	ds_load_b128 v[6:9], v1 offset:1616
	s_wait_loadcnt_dscnt 0x601
	v_mul_f64_e32 v[42:43], v[2:3], v[20:21]
	v_mul_f64_e32 v[20:21], v[4:5], v[20:21]
	v_add_f64_e32 v[16:17], v[34:35], v[161:162]
	v_add_f64_e32 v[34:35], v[36:37], v[157:158]
	s_wait_loadcnt_dscnt 0x500
	v_mul_f64_e32 v[36:37], v[6:7], v[24:25]
	v_mul_f64_e32 v[24:25], v[8:9], v[24:25]
	v_fma_f64 v[42:43], v[4:5], v[18:19], v[42:43]
	v_fma_f64 v[18:19], v[2:3], v[18:19], -v[20:21]
	ds_load_b128 v[2:5], v1 offset:1632
	v_add_f64_e32 v[14:15], v[16:17], v[14:15]
	v_add_f64_e32 v[16:17], v[34:35], v[44:45]
	v_fma_f64 v[34:35], v[8:9], v[22:23], v[36:37]
	v_fma_f64 v[22:23], v[6:7], v[22:23], -v[24:25]
	ds_load_b128 v[6:9], v1 offset:1648
	s_wait_loadcnt_dscnt 0x401
	v_mul_f64_e32 v[20:21], v[2:3], v[28:29]
	v_mul_f64_e32 v[28:29], v[4:5], v[28:29]
	s_wait_loadcnt_dscnt 0x300
	v_mul_f64_e32 v[24:25], v[8:9], v[32:33]
	v_add_f64_e32 v[14:15], v[14:15], v[18:19]
	v_add_f64_e32 v[16:17], v[16:17], v[42:43]
	v_mul_f64_e32 v[18:19], v[6:7], v[32:33]
	v_fma_f64 v[20:21], v[4:5], v[26:27], v[20:21]
	v_fma_f64 v[26:27], v[2:3], v[26:27], -v[28:29]
	ds_load_b128 v[2:5], v1 offset:1664
	v_fma_f64 v[24:25], v[6:7], v[30:31], -v[24:25]
	v_add_f64_e32 v[14:15], v[14:15], v[22:23]
	v_add_f64_e32 v[16:17], v[16:17], v[34:35]
	v_fma_f64 v[18:19], v[8:9], v[30:31], v[18:19]
	ds_load_b128 v[6:9], v1 offset:1680
	s_wait_loadcnt_dscnt 0x201
	v_mul_f64_e32 v[22:23], v[2:3], v[40:41]
	v_mul_f64_e32 v[28:29], v[4:5], v[40:41]
	v_add_f64_e32 v[14:15], v[14:15], v[26:27]
	v_add_f64_e32 v[16:17], v[16:17], v[20:21]
	s_wait_loadcnt_dscnt 0x100
	v_mul_f64_e32 v[20:21], v[6:7], v[155:156]
	v_mul_f64_e32 v[26:27], v[8:9], v[155:156]
	v_fma_f64 v[4:5], v[4:5], v[38:39], v[22:23]
	v_fma_f64 v[1:2], v[2:3], v[38:39], -v[28:29]
	v_add_f64_e32 v[14:15], v[14:15], v[24:25]
	v_add_f64_e32 v[16:17], v[16:17], v[18:19]
	v_fma_f64 v[8:9], v[8:9], v[153:154], v[20:21]
	v_fma_f64 v[6:7], v[6:7], v[153:154], -v[26:27]
	s_delay_alu instid0(VALU_DEP_4) | instskip(NEXT) | instid1(VALU_DEP_4)
	v_add_f64_e32 v[1:2], v[14:15], v[1:2]
	v_add_f64_e32 v[3:4], v[16:17], v[4:5]
	s_delay_alu instid0(VALU_DEP_2) | instskip(NEXT) | instid1(VALU_DEP_2)
	v_add_f64_e32 v[1:2], v[1:2], v[6:7]
	v_add_f64_e32 v[3:4], v[3:4], v[8:9]
	s_wait_loadcnt 0x0
	s_delay_alu instid0(VALU_DEP_2) | instskip(NEXT) | instid1(VALU_DEP_2)
	v_add_f64_e64 v[1:2], v[10:11], -v[1:2]
	v_add_f64_e64 v[3:4], v[12:13], -v[3:4]
	scratch_store_b128 off, v[1:4], off offset:688
	v_cmpx_lt_u32_e32 41, v0
	s_cbranch_execz .LBB116_249
; %bb.248:
	scratch_load_b128 v[1:4], off, s24
	v_mov_b32_e32 v5, 0
	s_delay_alu instid0(VALU_DEP_1)
	v_dual_mov_b32 v6, v5 :: v_dual_mov_b32 v7, v5
	v_mov_b32_e32 v8, v5
	scratch_store_b128 off, v[5:8], off offset:672
	s_wait_loadcnt 0x0
	ds_store_b128 v152, v[1:4]
.LBB116_249:
	s_wait_alu 0xfffe
	s_or_b32 exec_lo, exec_lo, s0
	s_wait_storecnt_dscnt 0x0
	s_barrier_signal -1
	s_barrier_wait -1
	global_inv scope:SCOPE_SE
	s_clause 0x7
	scratch_load_b128 v[2:5], off, off offset:688
	scratch_load_b128 v[6:9], off, off offset:704
	;; [unrolled: 1-line block ×8, first 2 shown]
	v_mov_b32_e32 v1, 0
	s_clause 0x1
	scratch_load_b128 v[38:41], off, off offset:816
	scratch_load_b128 v[153:156], off, off offset:832
	s_mov_b32 s0, exec_lo
	ds_load_b128 v[34:37], v1 offset:1520
	ds_load_b128 v[42:45], v1 offset:1536
	s_wait_loadcnt_dscnt 0x901
	v_mul_f64_e32 v[157:158], v[36:37], v[4:5]
	v_mul_f64_e32 v[4:5], v[34:35], v[4:5]
	s_wait_loadcnt_dscnt 0x800
	v_mul_f64_e32 v[159:160], v[42:43], v[8:9]
	v_mul_f64_e32 v[8:9], v[44:45], v[8:9]
	s_delay_alu instid0(VALU_DEP_4) | instskip(NEXT) | instid1(VALU_DEP_4)
	v_fma_f64 v[157:158], v[34:35], v[2:3], -v[157:158]
	v_fma_f64 v[161:162], v[36:37], v[2:3], v[4:5]
	ds_load_b128 v[2:5], v1 offset:1552
	scratch_load_b128 v[34:37], off, off offset:848
	v_fma_f64 v[44:45], v[44:45], v[6:7], v[159:160]
	v_fma_f64 v[42:43], v[42:43], v[6:7], -v[8:9]
	ds_load_b128 v[6:9], v1 offset:1568
	s_wait_loadcnt_dscnt 0x801
	v_mul_f64_e32 v[163:164], v[2:3], v[12:13]
	v_mul_f64_e32 v[12:13], v[4:5], v[12:13]
	v_add_f64_e32 v[157:158], 0, v[157:158]
	v_add_f64_e32 v[159:160], 0, v[161:162]
	s_wait_loadcnt_dscnt 0x700
	v_mul_f64_e32 v[161:162], v[6:7], v[16:17]
	v_mul_f64_e32 v[16:17], v[8:9], v[16:17]
	v_fma_f64 v[163:164], v[4:5], v[10:11], v[163:164]
	v_fma_f64 v[10:11], v[2:3], v[10:11], -v[12:13]
	ds_load_b128 v[2:5], v1 offset:1584
	v_add_f64_e32 v[12:13], v[157:158], v[42:43]
	v_add_f64_e32 v[42:43], v[159:160], v[44:45]
	v_fma_f64 v[157:158], v[8:9], v[14:15], v[161:162]
	v_fma_f64 v[14:15], v[6:7], v[14:15], -v[16:17]
	ds_load_b128 v[6:9], v1 offset:1600
	s_wait_loadcnt_dscnt 0x601
	v_mul_f64_e32 v[44:45], v[2:3], v[20:21]
	v_mul_f64_e32 v[20:21], v[4:5], v[20:21]
	s_wait_loadcnt_dscnt 0x500
	v_mul_f64_e32 v[159:160], v[6:7], v[24:25]
	v_mul_f64_e32 v[24:25], v[8:9], v[24:25]
	v_add_f64_e32 v[16:17], v[12:13], v[10:11]
	v_add_f64_e32 v[42:43], v[42:43], v[163:164]
	scratch_load_b128 v[10:13], off, off offset:672
	v_fma_f64 v[44:45], v[4:5], v[18:19], v[44:45]
	v_fma_f64 v[18:19], v[2:3], v[18:19], -v[20:21]
	ds_load_b128 v[2:5], v1 offset:1616
	v_add_f64_e32 v[14:15], v[16:17], v[14:15]
	v_add_f64_e32 v[16:17], v[42:43], v[157:158]
	v_fma_f64 v[42:43], v[8:9], v[22:23], v[159:160]
	v_fma_f64 v[22:23], v[6:7], v[22:23], -v[24:25]
	ds_load_b128 v[6:9], v1 offset:1632
	s_wait_loadcnt_dscnt 0x501
	v_mul_f64_e32 v[20:21], v[2:3], v[28:29]
	v_mul_f64_e32 v[28:29], v[4:5], v[28:29]
	s_wait_loadcnt_dscnt 0x400
	v_mul_f64_e32 v[24:25], v[8:9], v[32:33]
	v_add_f64_e32 v[14:15], v[14:15], v[18:19]
	v_add_f64_e32 v[16:17], v[16:17], v[44:45]
	v_mul_f64_e32 v[18:19], v[6:7], v[32:33]
	v_fma_f64 v[20:21], v[4:5], v[26:27], v[20:21]
	v_fma_f64 v[26:27], v[2:3], v[26:27], -v[28:29]
	ds_load_b128 v[2:5], v1 offset:1648
	v_fma_f64 v[24:25], v[6:7], v[30:31], -v[24:25]
	v_add_f64_e32 v[14:15], v[14:15], v[22:23]
	v_add_f64_e32 v[16:17], v[16:17], v[42:43]
	v_fma_f64 v[18:19], v[8:9], v[30:31], v[18:19]
	ds_load_b128 v[6:9], v1 offset:1664
	s_wait_loadcnt_dscnt 0x301
	v_mul_f64_e32 v[22:23], v[2:3], v[40:41]
	v_mul_f64_e32 v[28:29], v[4:5], v[40:41]
	v_add_f64_e32 v[14:15], v[14:15], v[26:27]
	v_add_f64_e32 v[16:17], v[16:17], v[20:21]
	s_wait_loadcnt_dscnt 0x200
	v_mul_f64_e32 v[20:21], v[6:7], v[155:156]
	v_mul_f64_e32 v[26:27], v[8:9], v[155:156]
	v_fma_f64 v[22:23], v[4:5], v[38:39], v[22:23]
	v_fma_f64 v[28:29], v[2:3], v[38:39], -v[28:29]
	ds_load_b128 v[2:5], v1 offset:1680
	v_add_f64_e32 v[14:15], v[14:15], v[24:25]
	v_add_f64_e32 v[16:17], v[16:17], v[18:19]
	v_fma_f64 v[8:9], v[8:9], v[153:154], v[20:21]
	v_fma_f64 v[6:7], v[6:7], v[153:154], -v[26:27]
	s_wait_loadcnt_dscnt 0x100
	v_mul_f64_e32 v[18:19], v[2:3], v[36:37]
	v_mul_f64_e32 v[24:25], v[4:5], v[36:37]
	v_add_f64_e32 v[14:15], v[14:15], v[28:29]
	v_add_f64_e32 v[16:17], v[16:17], v[22:23]
	s_delay_alu instid0(VALU_DEP_4) | instskip(NEXT) | instid1(VALU_DEP_4)
	v_fma_f64 v[4:5], v[4:5], v[34:35], v[18:19]
	v_fma_f64 v[2:3], v[2:3], v[34:35], -v[24:25]
	s_delay_alu instid0(VALU_DEP_4) | instskip(NEXT) | instid1(VALU_DEP_4)
	v_add_f64_e32 v[6:7], v[14:15], v[6:7]
	v_add_f64_e32 v[8:9], v[16:17], v[8:9]
	s_delay_alu instid0(VALU_DEP_2) | instskip(NEXT) | instid1(VALU_DEP_2)
	v_add_f64_e32 v[2:3], v[6:7], v[2:3]
	v_add_f64_e32 v[4:5], v[8:9], v[4:5]
	s_wait_loadcnt 0x0
	s_delay_alu instid0(VALU_DEP_2) | instskip(NEXT) | instid1(VALU_DEP_2)
	v_add_f64_e64 v[2:3], v[10:11], -v[2:3]
	v_add_f64_e64 v[4:5], v[12:13], -v[4:5]
	scratch_store_b128 off, v[2:5], off offset:672
	v_cmpx_lt_u32_e32 40, v0
	s_cbranch_execz .LBB116_251
; %bb.250:
	scratch_load_b128 v[5:8], off, s25
	v_dual_mov_b32 v2, v1 :: v_dual_mov_b32 v3, v1
	v_mov_b32_e32 v4, v1
	scratch_store_b128 off, v[1:4], off offset:656
	s_wait_loadcnt 0x0
	ds_store_b128 v152, v[5:8]
.LBB116_251:
	s_wait_alu 0xfffe
	s_or_b32 exec_lo, exec_lo, s0
	s_wait_storecnt_dscnt 0x0
	s_barrier_signal -1
	s_barrier_wait -1
	global_inv scope:SCOPE_SE
	s_clause 0x7
	scratch_load_b128 v[2:5], off, off offset:672
	scratch_load_b128 v[6:9], off, off offset:688
	;; [unrolled: 1-line block ×8, first 2 shown]
	ds_load_b128 v[34:37], v1 offset:1504
	ds_load_b128 v[42:45], v1 offset:1520
	s_clause 0x1
	scratch_load_b128 v[38:41], off, off offset:800
	scratch_load_b128 v[153:156], off, off offset:816
	s_mov_b32 s0, exec_lo
	s_wait_loadcnt_dscnt 0x901
	v_mul_f64_e32 v[157:158], v[36:37], v[4:5]
	v_mul_f64_e32 v[4:5], v[34:35], v[4:5]
	s_wait_loadcnt_dscnt 0x800
	v_mul_f64_e32 v[159:160], v[42:43], v[8:9]
	v_mul_f64_e32 v[8:9], v[44:45], v[8:9]
	s_delay_alu instid0(VALU_DEP_4) | instskip(NEXT) | instid1(VALU_DEP_4)
	v_fma_f64 v[157:158], v[34:35], v[2:3], -v[157:158]
	v_fma_f64 v[161:162], v[36:37], v[2:3], v[4:5]
	ds_load_b128 v[2:5], v1 offset:1536
	scratch_load_b128 v[34:37], off, off offset:832
	v_fma_f64 v[159:160], v[44:45], v[6:7], v[159:160]
	v_fma_f64 v[165:166], v[42:43], v[6:7], -v[8:9]
	ds_load_b128 v[6:9], v1 offset:1552
	scratch_load_b128 v[42:45], off, off offset:848
	s_wait_loadcnt_dscnt 0x901
	v_mul_f64_e32 v[163:164], v[2:3], v[12:13]
	v_mul_f64_e32 v[12:13], v[4:5], v[12:13]
	s_wait_loadcnt_dscnt 0x800
	v_mul_f64_e32 v[167:168], v[6:7], v[16:17]
	v_mul_f64_e32 v[16:17], v[8:9], v[16:17]
	v_add_f64_e32 v[157:158], 0, v[157:158]
	v_add_f64_e32 v[161:162], 0, v[161:162]
	v_fma_f64 v[163:164], v[4:5], v[10:11], v[163:164]
	v_fma_f64 v[10:11], v[2:3], v[10:11], -v[12:13]
	ds_load_b128 v[2:5], v1 offset:1568
	v_add_f64_e32 v[12:13], v[157:158], v[165:166]
	v_add_f64_e32 v[157:158], v[161:162], v[159:160]
	v_fma_f64 v[161:162], v[8:9], v[14:15], v[167:168]
	v_fma_f64 v[14:15], v[6:7], v[14:15], -v[16:17]
	ds_load_b128 v[6:9], v1 offset:1584
	s_wait_loadcnt_dscnt 0x701
	v_mul_f64_e32 v[159:160], v[2:3], v[20:21]
	v_mul_f64_e32 v[20:21], v[4:5], v[20:21]
	s_wait_loadcnt_dscnt 0x600
	v_mul_f64_e32 v[16:17], v[6:7], v[24:25]
	v_mul_f64_e32 v[24:25], v[8:9], v[24:25]
	v_add_f64_e32 v[10:11], v[12:13], v[10:11]
	v_add_f64_e32 v[12:13], v[157:158], v[163:164]
	v_fma_f64 v[157:158], v[4:5], v[18:19], v[159:160]
	v_fma_f64 v[18:19], v[2:3], v[18:19], -v[20:21]
	ds_load_b128 v[2:5], v1 offset:1600
	v_fma_f64 v[16:17], v[8:9], v[22:23], v[16:17]
	v_fma_f64 v[22:23], v[6:7], v[22:23], -v[24:25]
	ds_load_b128 v[6:9], v1 offset:1616
	s_wait_loadcnt_dscnt 0x501
	v_mul_f64_e32 v[159:160], v[2:3], v[28:29]
	v_mul_f64_e32 v[28:29], v[4:5], v[28:29]
	v_add_f64_e32 v[14:15], v[10:11], v[14:15]
	v_add_f64_e32 v[20:21], v[12:13], v[161:162]
	scratch_load_b128 v[10:13], off, off offset:656
	s_wait_loadcnt_dscnt 0x500
	v_mul_f64_e32 v[24:25], v[8:9], v[32:33]
	v_add_f64_e32 v[14:15], v[14:15], v[18:19]
	v_add_f64_e32 v[18:19], v[20:21], v[157:158]
	v_mul_f64_e32 v[20:21], v[6:7], v[32:33]
	v_fma_f64 v[32:33], v[4:5], v[26:27], v[159:160]
	v_fma_f64 v[26:27], v[2:3], v[26:27], -v[28:29]
	ds_load_b128 v[2:5], v1 offset:1632
	v_fma_f64 v[24:25], v[6:7], v[30:31], -v[24:25]
	v_add_f64_e32 v[14:15], v[14:15], v[22:23]
	v_add_f64_e32 v[16:17], v[18:19], v[16:17]
	v_fma_f64 v[20:21], v[8:9], v[30:31], v[20:21]
	ds_load_b128 v[6:9], v1 offset:1648
	s_wait_loadcnt_dscnt 0x401
	v_mul_f64_e32 v[18:19], v[2:3], v[40:41]
	v_mul_f64_e32 v[22:23], v[4:5], v[40:41]
	s_wait_loadcnt_dscnt 0x300
	v_mul_f64_e32 v[28:29], v[8:9], v[155:156]
	v_add_f64_e32 v[14:15], v[14:15], v[26:27]
	v_add_f64_e32 v[16:17], v[16:17], v[32:33]
	v_mul_f64_e32 v[26:27], v[6:7], v[155:156]
	v_fma_f64 v[18:19], v[4:5], v[38:39], v[18:19]
	v_fma_f64 v[22:23], v[2:3], v[38:39], -v[22:23]
	ds_load_b128 v[2:5], v1 offset:1664
	v_fma_f64 v[28:29], v[6:7], v[153:154], -v[28:29]
	v_add_f64_e32 v[14:15], v[14:15], v[24:25]
	v_add_f64_e32 v[16:17], v[16:17], v[20:21]
	v_fma_f64 v[26:27], v[8:9], v[153:154], v[26:27]
	ds_load_b128 v[6:9], v1 offset:1680
	s_wait_loadcnt_dscnt 0x201
	v_mul_f64_e32 v[20:21], v[2:3], v[36:37]
	v_mul_f64_e32 v[24:25], v[4:5], v[36:37]
	v_add_f64_e32 v[14:15], v[14:15], v[22:23]
	v_add_f64_e32 v[16:17], v[16:17], v[18:19]
	s_wait_loadcnt_dscnt 0x100
	v_mul_f64_e32 v[18:19], v[6:7], v[44:45]
	v_mul_f64_e32 v[22:23], v[8:9], v[44:45]
	v_fma_f64 v[4:5], v[4:5], v[34:35], v[20:21]
	v_fma_f64 v[1:2], v[2:3], v[34:35], -v[24:25]
	v_add_f64_e32 v[14:15], v[14:15], v[28:29]
	v_add_f64_e32 v[16:17], v[16:17], v[26:27]
	v_fma_f64 v[8:9], v[8:9], v[42:43], v[18:19]
	v_fma_f64 v[6:7], v[6:7], v[42:43], -v[22:23]
	s_delay_alu instid0(VALU_DEP_4) | instskip(NEXT) | instid1(VALU_DEP_4)
	v_add_f64_e32 v[1:2], v[14:15], v[1:2]
	v_add_f64_e32 v[3:4], v[16:17], v[4:5]
	s_delay_alu instid0(VALU_DEP_2) | instskip(NEXT) | instid1(VALU_DEP_2)
	v_add_f64_e32 v[1:2], v[1:2], v[6:7]
	v_add_f64_e32 v[3:4], v[3:4], v[8:9]
	s_wait_loadcnt 0x0
	s_delay_alu instid0(VALU_DEP_2) | instskip(NEXT) | instid1(VALU_DEP_2)
	v_add_f64_e64 v[1:2], v[10:11], -v[1:2]
	v_add_f64_e64 v[3:4], v[12:13], -v[3:4]
	scratch_store_b128 off, v[1:4], off offset:656
	v_cmpx_lt_u32_e32 39, v0
	s_cbranch_execz .LBB116_253
; %bb.252:
	scratch_load_b128 v[1:4], off, s26
	v_mov_b32_e32 v5, 0
	s_delay_alu instid0(VALU_DEP_1)
	v_dual_mov_b32 v6, v5 :: v_dual_mov_b32 v7, v5
	v_mov_b32_e32 v8, v5
	scratch_store_b128 off, v[5:8], off offset:640
	s_wait_loadcnt 0x0
	ds_store_b128 v152, v[1:4]
.LBB116_253:
	s_wait_alu 0xfffe
	s_or_b32 exec_lo, exec_lo, s0
	s_wait_storecnt_dscnt 0x0
	s_barrier_signal -1
	s_barrier_wait -1
	global_inv scope:SCOPE_SE
	s_clause 0x7
	scratch_load_b128 v[2:5], off, off offset:656
	scratch_load_b128 v[6:9], off, off offset:672
	;; [unrolled: 1-line block ×8, first 2 shown]
	v_mov_b32_e32 v1, 0
	s_mov_b32 s0, exec_lo
	ds_load_b128 v[34:37], v1 offset:1488
	s_clause 0x1
	scratch_load_b128 v[38:41], off, off offset:784
	scratch_load_b128 v[42:45], off, off offset:640
	ds_load_b128 v[153:156], v1 offset:1504
	scratch_load_b128 v[157:160], off, off offset:800
	s_wait_loadcnt_dscnt 0xa01
	v_mul_f64_e32 v[161:162], v[36:37], v[4:5]
	v_mul_f64_e32 v[4:5], v[34:35], v[4:5]
	s_delay_alu instid0(VALU_DEP_2) | instskip(NEXT) | instid1(VALU_DEP_2)
	v_fma_f64 v[167:168], v[34:35], v[2:3], -v[161:162]
	v_fma_f64 v[169:170], v[36:37], v[2:3], v[4:5]
	ds_load_b128 v[2:5], v1 offset:1520
	s_wait_loadcnt_dscnt 0x901
	v_mul_f64_e32 v[165:166], v[153:154], v[8:9]
	v_mul_f64_e32 v[8:9], v[155:156], v[8:9]
	scratch_load_b128 v[34:37], off, off offset:816
	ds_load_b128 v[161:164], v1 offset:1536
	s_wait_loadcnt_dscnt 0x901
	v_mul_f64_e32 v[171:172], v[2:3], v[12:13]
	v_mul_f64_e32 v[12:13], v[4:5], v[12:13]
	v_fma_f64 v[155:156], v[155:156], v[6:7], v[165:166]
	v_fma_f64 v[153:154], v[153:154], v[6:7], -v[8:9]
	v_add_f64_e32 v[165:166], 0, v[167:168]
	v_add_f64_e32 v[167:168], 0, v[169:170]
	scratch_load_b128 v[6:9], off, off offset:832
	v_fma_f64 v[171:172], v[4:5], v[10:11], v[171:172]
	v_fma_f64 v[173:174], v[2:3], v[10:11], -v[12:13]
	ds_load_b128 v[2:5], v1 offset:1552
	s_wait_loadcnt_dscnt 0x901
	v_mul_f64_e32 v[169:170], v[161:162], v[16:17]
	v_mul_f64_e32 v[16:17], v[163:164], v[16:17]
	scratch_load_b128 v[10:13], off, off offset:848
	v_add_f64_e32 v[165:166], v[165:166], v[153:154]
	v_add_f64_e32 v[167:168], v[167:168], v[155:156]
	s_wait_loadcnt_dscnt 0x900
	v_mul_f64_e32 v[175:176], v[2:3], v[20:21]
	v_mul_f64_e32 v[20:21], v[4:5], v[20:21]
	ds_load_b128 v[153:156], v1 offset:1568
	v_fma_f64 v[163:164], v[163:164], v[14:15], v[169:170]
	v_fma_f64 v[14:15], v[161:162], v[14:15], -v[16:17]
	v_add_f64_e32 v[16:17], v[165:166], v[173:174]
	v_add_f64_e32 v[161:162], v[167:168], v[171:172]
	s_wait_loadcnt_dscnt 0x800
	v_mul_f64_e32 v[165:166], v[153:154], v[24:25]
	v_mul_f64_e32 v[24:25], v[155:156], v[24:25]
	v_fma_f64 v[167:168], v[4:5], v[18:19], v[175:176]
	v_fma_f64 v[18:19], v[2:3], v[18:19], -v[20:21]
	v_add_f64_e32 v[20:21], v[16:17], v[14:15]
	v_add_f64_e32 v[161:162], v[161:162], v[163:164]
	ds_load_b128 v[2:5], v1 offset:1584
	ds_load_b128 v[14:17], v1 offset:1600
	v_fma_f64 v[155:156], v[155:156], v[22:23], v[165:166]
	v_fma_f64 v[22:23], v[153:154], v[22:23], -v[24:25]
	s_wait_loadcnt_dscnt 0x701
	v_mul_f64_e32 v[163:164], v[2:3], v[28:29]
	v_mul_f64_e32 v[28:29], v[4:5], v[28:29]
	s_wait_loadcnt_dscnt 0x600
	v_mul_f64_e32 v[24:25], v[14:15], v[32:33]
	v_mul_f64_e32 v[32:33], v[16:17], v[32:33]
	v_add_f64_e32 v[18:19], v[20:21], v[18:19]
	v_add_f64_e32 v[20:21], v[161:162], v[167:168]
	v_fma_f64 v[153:154], v[4:5], v[26:27], v[163:164]
	v_fma_f64 v[26:27], v[2:3], v[26:27], -v[28:29]
	v_fma_f64 v[16:17], v[16:17], v[30:31], v[24:25]
	v_fma_f64 v[14:15], v[14:15], v[30:31], -v[32:33]
	v_add_f64_e32 v[22:23], v[18:19], v[22:23]
	v_add_f64_e32 v[28:29], v[20:21], v[155:156]
	ds_load_b128 v[2:5], v1 offset:1616
	ds_load_b128 v[18:21], v1 offset:1632
	s_wait_loadcnt_dscnt 0x501
	v_mul_f64_e32 v[155:156], v[2:3], v[40:41]
	v_mul_f64_e32 v[40:41], v[4:5], v[40:41]
	v_add_f64_e32 v[22:23], v[22:23], v[26:27]
	v_add_f64_e32 v[24:25], v[28:29], v[153:154]
	s_wait_loadcnt_dscnt 0x300
	v_mul_f64_e32 v[26:27], v[18:19], v[159:160]
	v_mul_f64_e32 v[28:29], v[20:21], v[159:160]
	v_fma_f64 v[30:31], v[4:5], v[38:39], v[155:156]
	v_fma_f64 v[32:33], v[2:3], v[38:39], -v[40:41]
	v_add_f64_e32 v[22:23], v[22:23], v[14:15]
	v_add_f64_e32 v[24:25], v[24:25], v[16:17]
	ds_load_b128 v[2:5], v1 offset:1648
	ds_load_b128 v[14:17], v1 offset:1664
	v_fma_f64 v[20:21], v[20:21], v[157:158], v[26:27]
	v_fma_f64 v[18:19], v[18:19], v[157:158], -v[28:29]
	s_wait_loadcnt_dscnt 0x201
	v_mul_f64_e32 v[38:39], v[2:3], v[36:37]
	v_mul_f64_e32 v[36:37], v[4:5], v[36:37]
	v_add_f64_e32 v[22:23], v[22:23], v[32:33]
	v_add_f64_e32 v[24:25], v[24:25], v[30:31]
	s_wait_loadcnt_dscnt 0x100
	v_mul_f64_e32 v[26:27], v[14:15], v[8:9]
	v_mul_f64_e32 v[8:9], v[16:17], v[8:9]
	v_fma_f64 v[28:29], v[4:5], v[34:35], v[38:39]
	v_fma_f64 v[30:31], v[2:3], v[34:35], -v[36:37]
	ds_load_b128 v[2:5], v1 offset:1680
	v_add_f64_e32 v[18:19], v[22:23], v[18:19]
	v_add_f64_e32 v[20:21], v[24:25], v[20:21]
	s_wait_loadcnt_dscnt 0x0
	v_mul_f64_e32 v[22:23], v[2:3], v[12:13]
	v_mul_f64_e32 v[12:13], v[4:5], v[12:13]
	v_fma_f64 v[16:17], v[16:17], v[6:7], v[26:27]
	v_fma_f64 v[6:7], v[14:15], v[6:7], -v[8:9]
	v_add_f64_e32 v[8:9], v[18:19], v[30:31]
	v_add_f64_e32 v[14:15], v[20:21], v[28:29]
	v_fma_f64 v[4:5], v[4:5], v[10:11], v[22:23]
	v_fma_f64 v[2:3], v[2:3], v[10:11], -v[12:13]
	s_delay_alu instid0(VALU_DEP_4) | instskip(NEXT) | instid1(VALU_DEP_4)
	v_add_f64_e32 v[6:7], v[8:9], v[6:7]
	v_add_f64_e32 v[8:9], v[14:15], v[16:17]
	s_delay_alu instid0(VALU_DEP_2) | instskip(NEXT) | instid1(VALU_DEP_2)
	v_add_f64_e32 v[2:3], v[6:7], v[2:3]
	v_add_f64_e32 v[4:5], v[8:9], v[4:5]
	s_delay_alu instid0(VALU_DEP_2) | instskip(NEXT) | instid1(VALU_DEP_2)
	v_add_f64_e64 v[2:3], v[42:43], -v[2:3]
	v_add_f64_e64 v[4:5], v[44:45], -v[4:5]
	scratch_store_b128 off, v[2:5], off offset:640
	v_cmpx_lt_u32_e32 38, v0
	s_cbranch_execz .LBB116_255
; %bb.254:
	scratch_load_b128 v[5:8], off, s27
	v_dual_mov_b32 v2, v1 :: v_dual_mov_b32 v3, v1
	v_mov_b32_e32 v4, v1
	scratch_store_b128 off, v[1:4], off offset:624
	s_wait_loadcnt 0x0
	ds_store_b128 v152, v[5:8]
.LBB116_255:
	s_wait_alu 0xfffe
	s_or_b32 exec_lo, exec_lo, s0
	s_wait_storecnt_dscnt 0x0
	s_barrier_signal -1
	s_barrier_wait -1
	global_inv scope:SCOPE_SE
	s_clause 0x8
	scratch_load_b128 v[2:5], off, off offset:640
	scratch_load_b128 v[6:9], off, off offset:656
	;; [unrolled: 1-line block ×9, first 2 shown]
	ds_load_b128 v[38:41], v1 offset:1472
	ds_load_b128 v[42:45], v1 offset:1488
	s_clause 0x1
	scratch_load_b128 v[153:156], off, off offset:624
	scratch_load_b128 v[157:160], off, off offset:784
	s_mov_b32 s0, exec_lo
	s_wait_loadcnt_dscnt 0xa01
	v_mul_f64_e32 v[161:162], v[40:41], v[4:5]
	v_mul_f64_e32 v[4:5], v[38:39], v[4:5]
	s_wait_loadcnt_dscnt 0x900
	v_mul_f64_e32 v[165:166], v[42:43], v[8:9]
	v_mul_f64_e32 v[8:9], v[44:45], v[8:9]
	s_delay_alu instid0(VALU_DEP_4) | instskip(NEXT) | instid1(VALU_DEP_4)
	v_fma_f64 v[167:168], v[38:39], v[2:3], -v[161:162]
	v_fma_f64 v[169:170], v[40:41], v[2:3], v[4:5]
	ds_load_b128 v[2:5], v1 offset:1504
	ds_load_b128 v[161:164], v1 offset:1520
	scratch_load_b128 v[38:41], off, off offset:800
	v_fma_f64 v[44:45], v[44:45], v[6:7], v[165:166]
	v_fma_f64 v[42:43], v[42:43], v[6:7], -v[8:9]
	scratch_load_b128 v[6:9], off, off offset:816
	s_wait_loadcnt_dscnt 0xa01
	v_mul_f64_e32 v[171:172], v[2:3], v[12:13]
	v_mul_f64_e32 v[12:13], v[4:5], v[12:13]
	v_add_f64_e32 v[165:166], 0, v[167:168]
	v_add_f64_e32 v[167:168], 0, v[169:170]
	s_wait_loadcnt_dscnt 0x900
	v_mul_f64_e32 v[169:170], v[161:162], v[16:17]
	v_mul_f64_e32 v[16:17], v[163:164], v[16:17]
	v_fma_f64 v[171:172], v[4:5], v[10:11], v[171:172]
	v_fma_f64 v[173:174], v[2:3], v[10:11], -v[12:13]
	ds_load_b128 v[2:5], v1 offset:1536
	scratch_load_b128 v[10:13], off, off offset:832
	v_add_f64_e32 v[165:166], v[165:166], v[42:43]
	v_add_f64_e32 v[167:168], v[167:168], v[44:45]
	ds_load_b128 v[42:45], v1 offset:1552
	v_fma_f64 v[163:164], v[163:164], v[14:15], v[169:170]
	v_fma_f64 v[161:162], v[161:162], v[14:15], -v[16:17]
	scratch_load_b128 v[14:17], off, off offset:848
	s_wait_loadcnt_dscnt 0xa01
	v_mul_f64_e32 v[175:176], v[2:3], v[20:21]
	v_mul_f64_e32 v[20:21], v[4:5], v[20:21]
	s_wait_loadcnt_dscnt 0x900
	v_mul_f64_e32 v[169:170], v[42:43], v[24:25]
	v_mul_f64_e32 v[24:25], v[44:45], v[24:25]
	v_add_f64_e32 v[165:166], v[165:166], v[173:174]
	v_add_f64_e32 v[167:168], v[167:168], v[171:172]
	v_fma_f64 v[171:172], v[4:5], v[18:19], v[175:176]
	v_fma_f64 v[173:174], v[2:3], v[18:19], -v[20:21]
	ds_load_b128 v[2:5], v1 offset:1568
	ds_load_b128 v[18:21], v1 offset:1584
	v_fma_f64 v[44:45], v[44:45], v[22:23], v[169:170]
	v_fma_f64 v[22:23], v[42:43], v[22:23], -v[24:25]
	v_add_f64_e32 v[161:162], v[165:166], v[161:162]
	v_add_f64_e32 v[163:164], v[167:168], v[163:164]
	s_wait_loadcnt_dscnt 0x801
	v_mul_f64_e32 v[165:166], v[2:3], v[28:29]
	v_mul_f64_e32 v[28:29], v[4:5], v[28:29]
	s_delay_alu instid0(VALU_DEP_4) | instskip(NEXT) | instid1(VALU_DEP_4)
	v_add_f64_e32 v[24:25], v[161:162], v[173:174]
	v_add_f64_e32 v[42:43], v[163:164], v[171:172]
	s_wait_loadcnt_dscnt 0x700
	v_mul_f64_e32 v[161:162], v[18:19], v[32:33]
	v_mul_f64_e32 v[32:33], v[20:21], v[32:33]
	v_fma_f64 v[163:164], v[4:5], v[26:27], v[165:166]
	v_fma_f64 v[26:27], v[2:3], v[26:27], -v[28:29]
	v_add_f64_e32 v[28:29], v[24:25], v[22:23]
	v_add_f64_e32 v[42:43], v[42:43], v[44:45]
	ds_load_b128 v[2:5], v1 offset:1600
	ds_load_b128 v[22:25], v1 offset:1616
	v_fma_f64 v[20:21], v[20:21], v[30:31], v[161:162]
	v_fma_f64 v[18:19], v[18:19], v[30:31], -v[32:33]
	s_wait_loadcnt_dscnt 0x601
	v_mul_f64_e32 v[44:45], v[2:3], v[36:37]
	v_mul_f64_e32 v[36:37], v[4:5], v[36:37]
	s_wait_loadcnt_dscnt 0x400
	v_mul_f64_e32 v[30:31], v[22:23], v[159:160]
	v_mul_f64_e32 v[32:33], v[24:25], v[159:160]
	v_add_f64_e32 v[26:27], v[28:29], v[26:27]
	v_add_f64_e32 v[28:29], v[42:43], v[163:164]
	v_fma_f64 v[42:43], v[4:5], v[34:35], v[44:45]
	v_fma_f64 v[34:35], v[2:3], v[34:35], -v[36:37]
	v_fma_f64 v[24:25], v[24:25], v[157:158], v[30:31]
	v_fma_f64 v[22:23], v[22:23], v[157:158], -v[32:33]
	v_add_f64_e32 v[26:27], v[26:27], v[18:19]
	v_add_f64_e32 v[28:29], v[28:29], v[20:21]
	ds_load_b128 v[2:5], v1 offset:1632
	ds_load_b128 v[18:21], v1 offset:1648
	s_wait_loadcnt_dscnt 0x301
	v_mul_f64_e32 v[36:37], v[2:3], v[40:41]
	v_mul_f64_e32 v[40:41], v[4:5], v[40:41]
	s_wait_loadcnt_dscnt 0x200
	v_mul_f64_e32 v[30:31], v[18:19], v[8:9]
	v_mul_f64_e32 v[8:9], v[20:21], v[8:9]
	v_add_f64_e32 v[26:27], v[26:27], v[34:35]
	v_add_f64_e32 v[28:29], v[28:29], v[42:43]
	v_fma_f64 v[32:33], v[4:5], v[38:39], v[36:37]
	v_fma_f64 v[34:35], v[2:3], v[38:39], -v[40:41]
	v_fma_f64 v[20:21], v[20:21], v[6:7], v[30:31]
	v_fma_f64 v[6:7], v[18:19], v[6:7], -v[8:9]
	v_add_f64_e32 v[26:27], v[26:27], v[22:23]
	v_add_f64_e32 v[28:29], v[28:29], v[24:25]
	ds_load_b128 v[2:5], v1 offset:1664
	ds_load_b128 v[22:25], v1 offset:1680
	s_wait_loadcnt_dscnt 0x101
	v_mul_f64_e32 v[36:37], v[2:3], v[12:13]
	v_mul_f64_e32 v[12:13], v[4:5], v[12:13]
	v_add_f64_e32 v[8:9], v[26:27], v[34:35]
	v_add_f64_e32 v[18:19], v[28:29], v[32:33]
	s_wait_loadcnt_dscnt 0x0
	v_mul_f64_e32 v[26:27], v[22:23], v[16:17]
	v_mul_f64_e32 v[16:17], v[24:25], v[16:17]
	v_fma_f64 v[4:5], v[4:5], v[10:11], v[36:37]
	v_fma_f64 v[1:2], v[2:3], v[10:11], -v[12:13]
	v_add_f64_e32 v[6:7], v[8:9], v[6:7]
	v_add_f64_e32 v[8:9], v[18:19], v[20:21]
	v_fma_f64 v[10:11], v[24:25], v[14:15], v[26:27]
	v_fma_f64 v[12:13], v[22:23], v[14:15], -v[16:17]
	s_delay_alu instid0(VALU_DEP_4) | instskip(NEXT) | instid1(VALU_DEP_4)
	v_add_f64_e32 v[1:2], v[6:7], v[1:2]
	v_add_f64_e32 v[3:4], v[8:9], v[4:5]
	s_delay_alu instid0(VALU_DEP_2) | instskip(NEXT) | instid1(VALU_DEP_2)
	v_add_f64_e32 v[1:2], v[1:2], v[12:13]
	v_add_f64_e32 v[3:4], v[3:4], v[10:11]
	s_delay_alu instid0(VALU_DEP_2) | instskip(NEXT) | instid1(VALU_DEP_2)
	v_add_f64_e64 v[1:2], v[153:154], -v[1:2]
	v_add_f64_e64 v[3:4], v[155:156], -v[3:4]
	scratch_store_b128 off, v[1:4], off offset:624
	v_cmpx_lt_u32_e32 37, v0
	s_cbranch_execz .LBB116_257
; %bb.256:
	scratch_load_b128 v[1:4], off, s28
	v_mov_b32_e32 v5, 0
	s_delay_alu instid0(VALU_DEP_1)
	v_dual_mov_b32 v6, v5 :: v_dual_mov_b32 v7, v5
	v_mov_b32_e32 v8, v5
	scratch_store_b128 off, v[5:8], off offset:608
	s_wait_loadcnt 0x0
	ds_store_b128 v152, v[1:4]
.LBB116_257:
	s_wait_alu 0xfffe
	s_or_b32 exec_lo, exec_lo, s0
	s_wait_storecnt_dscnt 0x0
	s_barrier_signal -1
	s_barrier_wait -1
	global_inv scope:SCOPE_SE
	s_clause 0x7
	scratch_load_b128 v[2:5], off, off offset:624
	scratch_load_b128 v[6:9], off, off offset:640
	;; [unrolled: 1-line block ×8, first 2 shown]
	v_mov_b32_e32 v1, 0
	s_mov_b32 s0, exec_lo
	ds_load_b128 v[34:37], v1 offset:1456
	s_clause 0x1
	scratch_load_b128 v[38:41], off, off offset:752
	scratch_load_b128 v[42:45], off, off offset:608
	ds_load_b128 v[153:156], v1 offset:1472
	scratch_load_b128 v[157:160], off, off offset:768
	s_wait_loadcnt_dscnt 0xa01
	v_mul_f64_e32 v[161:162], v[36:37], v[4:5]
	v_mul_f64_e32 v[4:5], v[34:35], v[4:5]
	s_delay_alu instid0(VALU_DEP_2) | instskip(NEXT) | instid1(VALU_DEP_2)
	v_fma_f64 v[167:168], v[34:35], v[2:3], -v[161:162]
	v_fma_f64 v[169:170], v[36:37], v[2:3], v[4:5]
	ds_load_b128 v[2:5], v1 offset:1488
	s_wait_loadcnt_dscnt 0x901
	v_mul_f64_e32 v[165:166], v[153:154], v[8:9]
	v_mul_f64_e32 v[8:9], v[155:156], v[8:9]
	scratch_load_b128 v[34:37], off, off offset:784
	ds_load_b128 v[161:164], v1 offset:1504
	s_wait_loadcnt_dscnt 0x901
	v_mul_f64_e32 v[171:172], v[2:3], v[12:13]
	v_mul_f64_e32 v[12:13], v[4:5], v[12:13]
	v_fma_f64 v[155:156], v[155:156], v[6:7], v[165:166]
	v_fma_f64 v[153:154], v[153:154], v[6:7], -v[8:9]
	v_add_f64_e32 v[165:166], 0, v[167:168]
	v_add_f64_e32 v[167:168], 0, v[169:170]
	scratch_load_b128 v[6:9], off, off offset:800
	v_fma_f64 v[171:172], v[4:5], v[10:11], v[171:172]
	v_fma_f64 v[173:174], v[2:3], v[10:11], -v[12:13]
	ds_load_b128 v[2:5], v1 offset:1520
	s_wait_loadcnt_dscnt 0x901
	v_mul_f64_e32 v[169:170], v[161:162], v[16:17]
	v_mul_f64_e32 v[16:17], v[163:164], v[16:17]
	scratch_load_b128 v[10:13], off, off offset:816
	v_add_f64_e32 v[165:166], v[165:166], v[153:154]
	v_add_f64_e32 v[167:168], v[167:168], v[155:156]
	s_wait_loadcnt_dscnt 0x900
	v_mul_f64_e32 v[175:176], v[2:3], v[20:21]
	v_mul_f64_e32 v[20:21], v[4:5], v[20:21]
	ds_load_b128 v[153:156], v1 offset:1536
	v_fma_f64 v[163:164], v[163:164], v[14:15], v[169:170]
	v_fma_f64 v[161:162], v[161:162], v[14:15], -v[16:17]
	scratch_load_b128 v[14:17], off, off offset:832
	v_add_f64_e32 v[165:166], v[165:166], v[173:174]
	v_add_f64_e32 v[167:168], v[167:168], v[171:172]
	v_fma_f64 v[171:172], v[4:5], v[18:19], v[175:176]
	v_fma_f64 v[173:174], v[2:3], v[18:19], -v[20:21]
	ds_load_b128 v[2:5], v1 offset:1552
	s_wait_loadcnt_dscnt 0x901
	v_mul_f64_e32 v[169:170], v[153:154], v[24:25]
	v_mul_f64_e32 v[24:25], v[155:156], v[24:25]
	scratch_load_b128 v[18:21], off, off offset:848
	s_wait_loadcnt_dscnt 0x900
	v_mul_f64_e32 v[175:176], v[2:3], v[28:29]
	v_mul_f64_e32 v[28:29], v[4:5], v[28:29]
	v_add_f64_e32 v[165:166], v[165:166], v[161:162]
	v_add_f64_e32 v[167:168], v[167:168], v[163:164]
	ds_load_b128 v[161:164], v1 offset:1568
	v_fma_f64 v[155:156], v[155:156], v[22:23], v[169:170]
	v_fma_f64 v[22:23], v[153:154], v[22:23], -v[24:25]
	v_add_f64_e32 v[24:25], v[165:166], v[173:174]
	v_add_f64_e32 v[153:154], v[167:168], v[171:172]
	s_wait_loadcnt_dscnt 0x800
	v_mul_f64_e32 v[165:166], v[161:162], v[32:33]
	v_mul_f64_e32 v[32:33], v[163:164], v[32:33]
	v_fma_f64 v[167:168], v[4:5], v[26:27], v[175:176]
	v_fma_f64 v[26:27], v[2:3], v[26:27], -v[28:29]
	v_add_f64_e32 v[28:29], v[24:25], v[22:23]
	v_add_f64_e32 v[153:154], v[153:154], v[155:156]
	ds_load_b128 v[2:5], v1 offset:1584
	ds_load_b128 v[22:25], v1 offset:1600
	v_fma_f64 v[163:164], v[163:164], v[30:31], v[165:166]
	v_fma_f64 v[30:31], v[161:162], v[30:31], -v[32:33]
	s_wait_loadcnt_dscnt 0x701
	v_mul_f64_e32 v[155:156], v[2:3], v[40:41]
	v_mul_f64_e32 v[40:41], v[4:5], v[40:41]
	s_wait_loadcnt_dscnt 0x500
	v_mul_f64_e32 v[32:33], v[22:23], v[159:160]
	v_add_f64_e32 v[26:27], v[28:29], v[26:27]
	v_add_f64_e32 v[28:29], v[153:154], v[167:168]
	v_mul_f64_e32 v[153:154], v[24:25], v[159:160]
	v_fma_f64 v[155:156], v[4:5], v[38:39], v[155:156]
	v_fma_f64 v[38:39], v[2:3], v[38:39], -v[40:41]
	v_fma_f64 v[24:25], v[24:25], v[157:158], v[32:33]
	v_add_f64_e32 v[30:31], v[26:27], v[30:31]
	v_add_f64_e32 v[40:41], v[28:29], v[163:164]
	ds_load_b128 v[2:5], v1 offset:1616
	ds_load_b128 v[26:29], v1 offset:1632
	v_fma_f64 v[22:23], v[22:23], v[157:158], -v[153:154]
	s_wait_loadcnt_dscnt 0x401
	v_mul_f64_e32 v[159:160], v[2:3], v[36:37]
	v_mul_f64_e32 v[36:37], v[4:5], v[36:37]
	v_add_f64_e32 v[30:31], v[30:31], v[38:39]
	v_add_f64_e32 v[32:33], v[40:41], v[155:156]
	s_wait_loadcnt_dscnt 0x300
	v_mul_f64_e32 v[38:39], v[26:27], v[8:9]
	v_mul_f64_e32 v[8:9], v[28:29], v[8:9]
	v_fma_f64 v[40:41], v[4:5], v[34:35], v[159:160]
	v_fma_f64 v[34:35], v[2:3], v[34:35], -v[36:37]
	v_add_f64_e32 v[30:31], v[30:31], v[22:23]
	v_add_f64_e32 v[32:33], v[32:33], v[24:25]
	ds_load_b128 v[2:5], v1 offset:1648
	ds_load_b128 v[22:25], v1 offset:1664
	v_fma_f64 v[28:29], v[28:29], v[6:7], v[38:39]
	v_fma_f64 v[6:7], v[26:27], v[6:7], -v[8:9]
	s_wait_loadcnt_dscnt 0x201
	v_mul_f64_e32 v[36:37], v[2:3], v[12:13]
	v_mul_f64_e32 v[12:13], v[4:5], v[12:13]
	v_add_f64_e32 v[8:9], v[30:31], v[34:35]
	v_add_f64_e32 v[26:27], v[32:33], v[40:41]
	s_wait_loadcnt_dscnt 0x100
	v_mul_f64_e32 v[30:31], v[22:23], v[16:17]
	v_mul_f64_e32 v[16:17], v[24:25], v[16:17]
	v_fma_f64 v[32:33], v[4:5], v[10:11], v[36:37]
	v_fma_f64 v[10:11], v[2:3], v[10:11], -v[12:13]
	ds_load_b128 v[2:5], v1 offset:1680
	v_add_f64_e32 v[6:7], v[8:9], v[6:7]
	v_add_f64_e32 v[8:9], v[26:27], v[28:29]
	v_fma_f64 v[24:25], v[24:25], v[14:15], v[30:31]
	v_fma_f64 v[14:15], v[22:23], v[14:15], -v[16:17]
	s_wait_loadcnt_dscnt 0x0
	v_mul_f64_e32 v[12:13], v[2:3], v[20:21]
	v_mul_f64_e32 v[20:21], v[4:5], v[20:21]
	v_add_f64_e32 v[6:7], v[6:7], v[10:11]
	v_add_f64_e32 v[8:9], v[8:9], v[32:33]
	s_delay_alu instid0(VALU_DEP_4) | instskip(NEXT) | instid1(VALU_DEP_4)
	v_fma_f64 v[4:5], v[4:5], v[18:19], v[12:13]
	v_fma_f64 v[2:3], v[2:3], v[18:19], -v[20:21]
	s_delay_alu instid0(VALU_DEP_4) | instskip(NEXT) | instid1(VALU_DEP_4)
	v_add_f64_e32 v[6:7], v[6:7], v[14:15]
	v_add_f64_e32 v[8:9], v[8:9], v[24:25]
	s_delay_alu instid0(VALU_DEP_2) | instskip(NEXT) | instid1(VALU_DEP_2)
	v_add_f64_e32 v[2:3], v[6:7], v[2:3]
	v_add_f64_e32 v[4:5], v[8:9], v[4:5]
	s_delay_alu instid0(VALU_DEP_2) | instskip(NEXT) | instid1(VALU_DEP_2)
	v_add_f64_e64 v[2:3], v[42:43], -v[2:3]
	v_add_f64_e64 v[4:5], v[44:45], -v[4:5]
	scratch_store_b128 off, v[2:5], off offset:608
	v_cmpx_lt_u32_e32 36, v0
	s_cbranch_execz .LBB116_259
; %bb.258:
	scratch_load_b128 v[5:8], off, s29
	v_dual_mov_b32 v2, v1 :: v_dual_mov_b32 v3, v1
	v_mov_b32_e32 v4, v1
	scratch_store_b128 off, v[1:4], off offset:592
	s_wait_loadcnt 0x0
	ds_store_b128 v152, v[5:8]
.LBB116_259:
	s_wait_alu 0xfffe
	s_or_b32 exec_lo, exec_lo, s0
	s_wait_storecnt_dscnt 0x0
	s_barrier_signal -1
	s_barrier_wait -1
	global_inv scope:SCOPE_SE
	s_clause 0x8
	scratch_load_b128 v[2:5], off, off offset:608
	scratch_load_b128 v[6:9], off, off offset:624
	;; [unrolled: 1-line block ×9, first 2 shown]
	ds_load_b128 v[38:41], v1 offset:1440
	ds_load_b128 v[42:45], v1 offset:1456
	s_clause 0x1
	scratch_load_b128 v[153:156], off, off offset:592
	scratch_load_b128 v[157:160], off, off offset:752
	s_mov_b32 s0, exec_lo
	s_wait_loadcnt_dscnt 0xa01
	v_mul_f64_e32 v[161:162], v[40:41], v[4:5]
	v_mul_f64_e32 v[4:5], v[38:39], v[4:5]
	s_wait_loadcnt_dscnt 0x900
	v_mul_f64_e32 v[165:166], v[42:43], v[8:9]
	v_mul_f64_e32 v[8:9], v[44:45], v[8:9]
	s_delay_alu instid0(VALU_DEP_4) | instskip(NEXT) | instid1(VALU_DEP_4)
	v_fma_f64 v[167:168], v[38:39], v[2:3], -v[161:162]
	v_fma_f64 v[169:170], v[40:41], v[2:3], v[4:5]
	ds_load_b128 v[2:5], v1 offset:1472
	ds_load_b128 v[161:164], v1 offset:1488
	scratch_load_b128 v[38:41], off, off offset:768
	v_fma_f64 v[44:45], v[44:45], v[6:7], v[165:166]
	v_fma_f64 v[42:43], v[42:43], v[6:7], -v[8:9]
	scratch_load_b128 v[6:9], off, off offset:784
	s_wait_loadcnt_dscnt 0xa01
	v_mul_f64_e32 v[171:172], v[2:3], v[12:13]
	v_mul_f64_e32 v[12:13], v[4:5], v[12:13]
	v_add_f64_e32 v[165:166], 0, v[167:168]
	v_add_f64_e32 v[167:168], 0, v[169:170]
	s_wait_loadcnt_dscnt 0x900
	v_mul_f64_e32 v[169:170], v[161:162], v[16:17]
	v_mul_f64_e32 v[16:17], v[163:164], v[16:17]
	v_fma_f64 v[171:172], v[4:5], v[10:11], v[171:172]
	v_fma_f64 v[173:174], v[2:3], v[10:11], -v[12:13]
	ds_load_b128 v[2:5], v1 offset:1504
	scratch_load_b128 v[10:13], off, off offset:800
	v_add_f64_e32 v[165:166], v[165:166], v[42:43]
	v_add_f64_e32 v[167:168], v[167:168], v[44:45]
	ds_load_b128 v[42:45], v1 offset:1520
	v_fma_f64 v[163:164], v[163:164], v[14:15], v[169:170]
	v_fma_f64 v[161:162], v[161:162], v[14:15], -v[16:17]
	scratch_load_b128 v[14:17], off, off offset:816
	s_wait_loadcnt_dscnt 0xa01
	v_mul_f64_e32 v[175:176], v[2:3], v[20:21]
	v_mul_f64_e32 v[20:21], v[4:5], v[20:21]
	s_wait_loadcnt_dscnt 0x900
	v_mul_f64_e32 v[169:170], v[42:43], v[24:25]
	v_mul_f64_e32 v[24:25], v[44:45], v[24:25]
	v_add_f64_e32 v[165:166], v[165:166], v[173:174]
	v_add_f64_e32 v[167:168], v[167:168], v[171:172]
	v_fma_f64 v[171:172], v[4:5], v[18:19], v[175:176]
	v_fma_f64 v[173:174], v[2:3], v[18:19], -v[20:21]
	ds_load_b128 v[2:5], v1 offset:1536
	scratch_load_b128 v[18:21], off, off offset:832
	v_fma_f64 v[44:45], v[44:45], v[22:23], v[169:170]
	v_fma_f64 v[42:43], v[42:43], v[22:23], -v[24:25]
	scratch_load_b128 v[22:25], off, off offset:848
	v_add_f64_e32 v[165:166], v[165:166], v[161:162]
	v_add_f64_e32 v[167:168], v[167:168], v[163:164]
	ds_load_b128 v[161:164], v1 offset:1552
	s_wait_loadcnt_dscnt 0xa01
	v_mul_f64_e32 v[175:176], v[2:3], v[28:29]
	v_mul_f64_e32 v[28:29], v[4:5], v[28:29]
	s_wait_loadcnt_dscnt 0x900
	v_mul_f64_e32 v[169:170], v[161:162], v[32:33]
	v_mul_f64_e32 v[32:33], v[163:164], v[32:33]
	v_add_f64_e32 v[165:166], v[165:166], v[173:174]
	v_add_f64_e32 v[167:168], v[167:168], v[171:172]
	v_fma_f64 v[171:172], v[4:5], v[26:27], v[175:176]
	v_fma_f64 v[173:174], v[2:3], v[26:27], -v[28:29]
	ds_load_b128 v[2:5], v1 offset:1568
	ds_load_b128 v[26:29], v1 offset:1584
	v_fma_f64 v[163:164], v[163:164], v[30:31], v[169:170]
	v_fma_f64 v[30:31], v[161:162], v[30:31], -v[32:33]
	v_add_f64_e32 v[42:43], v[165:166], v[42:43]
	v_add_f64_e32 v[44:45], v[167:168], v[44:45]
	s_wait_loadcnt_dscnt 0x801
	v_mul_f64_e32 v[165:166], v[2:3], v[36:37]
	v_mul_f64_e32 v[36:37], v[4:5], v[36:37]
	s_delay_alu instid0(VALU_DEP_4) | instskip(NEXT) | instid1(VALU_DEP_4)
	v_add_f64_e32 v[32:33], v[42:43], v[173:174]
	v_add_f64_e32 v[42:43], v[44:45], v[171:172]
	s_wait_loadcnt_dscnt 0x600
	v_mul_f64_e32 v[44:45], v[26:27], v[159:160]
	v_mul_f64_e32 v[159:160], v[28:29], v[159:160]
	v_fma_f64 v[161:162], v[4:5], v[34:35], v[165:166]
	v_fma_f64 v[34:35], v[2:3], v[34:35], -v[36:37]
	v_add_f64_e32 v[36:37], v[32:33], v[30:31]
	v_add_f64_e32 v[42:43], v[42:43], v[163:164]
	ds_load_b128 v[2:5], v1 offset:1600
	ds_load_b128 v[30:33], v1 offset:1616
	v_fma_f64 v[28:29], v[28:29], v[157:158], v[44:45]
	v_fma_f64 v[26:27], v[26:27], v[157:158], -v[159:160]
	s_wait_loadcnt_dscnt 0x501
	v_mul_f64_e32 v[163:164], v[2:3], v[40:41]
	v_mul_f64_e32 v[40:41], v[4:5], v[40:41]
	v_add_f64_e32 v[34:35], v[36:37], v[34:35]
	v_add_f64_e32 v[36:37], v[42:43], v[161:162]
	s_wait_loadcnt_dscnt 0x400
	v_mul_f64_e32 v[42:43], v[30:31], v[8:9]
	v_mul_f64_e32 v[8:9], v[32:33], v[8:9]
	v_fma_f64 v[44:45], v[4:5], v[38:39], v[163:164]
	v_fma_f64 v[38:39], v[2:3], v[38:39], -v[40:41]
	v_add_f64_e32 v[34:35], v[34:35], v[26:27]
	v_add_f64_e32 v[36:37], v[36:37], v[28:29]
	ds_load_b128 v[2:5], v1 offset:1632
	ds_load_b128 v[26:29], v1 offset:1648
	v_fma_f64 v[32:33], v[32:33], v[6:7], v[42:43]
	v_fma_f64 v[6:7], v[30:31], v[6:7], -v[8:9]
	s_wait_loadcnt_dscnt 0x301
	v_mul_f64_e32 v[40:41], v[2:3], v[12:13]
	v_mul_f64_e32 v[12:13], v[4:5], v[12:13]
	;; [unrolled: 16-line block ×3, first 2 shown]
	s_wait_loadcnt_dscnt 0x0
	v_mul_f64_e32 v[16:17], v[6:7], v[24:25]
	v_mul_f64_e32 v[24:25], v[8:9], v[24:25]
	v_add_f64_e32 v[10:11], v[12:13], v[10:11]
	v_add_f64_e32 v[12:13], v[30:31], v[36:37]
	v_fma_f64 v[4:5], v[4:5], v[18:19], v[32:33]
	v_fma_f64 v[1:2], v[2:3], v[18:19], -v[20:21]
	v_fma_f64 v[8:9], v[8:9], v[22:23], v[16:17]
	v_fma_f64 v[6:7], v[6:7], v[22:23], -v[24:25]
	v_add_f64_e32 v[10:11], v[10:11], v[14:15]
	v_add_f64_e32 v[12:13], v[12:13], v[28:29]
	s_delay_alu instid0(VALU_DEP_2) | instskip(NEXT) | instid1(VALU_DEP_2)
	v_add_f64_e32 v[1:2], v[10:11], v[1:2]
	v_add_f64_e32 v[3:4], v[12:13], v[4:5]
	s_delay_alu instid0(VALU_DEP_2) | instskip(NEXT) | instid1(VALU_DEP_2)
	;; [unrolled: 3-line block ×3, first 2 shown]
	v_add_f64_e64 v[1:2], v[153:154], -v[1:2]
	v_add_f64_e64 v[3:4], v[155:156], -v[3:4]
	scratch_store_b128 off, v[1:4], off offset:592
	v_cmpx_lt_u32_e32 35, v0
	s_cbranch_execz .LBB116_261
; %bb.260:
	scratch_load_b128 v[1:4], off, s30
	v_mov_b32_e32 v5, 0
	s_delay_alu instid0(VALU_DEP_1)
	v_dual_mov_b32 v6, v5 :: v_dual_mov_b32 v7, v5
	v_mov_b32_e32 v8, v5
	scratch_store_b128 off, v[5:8], off offset:576
	s_wait_loadcnt 0x0
	ds_store_b128 v152, v[1:4]
.LBB116_261:
	s_wait_alu 0xfffe
	s_or_b32 exec_lo, exec_lo, s0
	s_wait_storecnt_dscnt 0x0
	s_barrier_signal -1
	s_barrier_wait -1
	global_inv scope:SCOPE_SE
	s_clause 0x7
	scratch_load_b128 v[2:5], off, off offset:592
	scratch_load_b128 v[6:9], off, off offset:608
	;; [unrolled: 1-line block ×8, first 2 shown]
	v_mov_b32_e32 v1, 0
	s_mov_b32 s0, exec_lo
	ds_load_b128 v[34:37], v1 offset:1424
	s_clause 0x1
	scratch_load_b128 v[38:41], off, off offset:720
	scratch_load_b128 v[42:45], off, off offset:576
	ds_load_b128 v[153:156], v1 offset:1440
	scratch_load_b128 v[157:160], off, off offset:736
	s_wait_loadcnt_dscnt 0xa01
	v_mul_f64_e32 v[161:162], v[36:37], v[4:5]
	v_mul_f64_e32 v[4:5], v[34:35], v[4:5]
	s_delay_alu instid0(VALU_DEP_2) | instskip(NEXT) | instid1(VALU_DEP_2)
	v_fma_f64 v[167:168], v[34:35], v[2:3], -v[161:162]
	v_fma_f64 v[169:170], v[36:37], v[2:3], v[4:5]
	ds_load_b128 v[2:5], v1 offset:1456
	s_wait_loadcnt_dscnt 0x901
	v_mul_f64_e32 v[165:166], v[153:154], v[8:9]
	v_mul_f64_e32 v[8:9], v[155:156], v[8:9]
	scratch_load_b128 v[34:37], off, off offset:752
	ds_load_b128 v[161:164], v1 offset:1472
	s_wait_loadcnt_dscnt 0x901
	v_mul_f64_e32 v[171:172], v[2:3], v[12:13]
	v_mul_f64_e32 v[12:13], v[4:5], v[12:13]
	v_fma_f64 v[155:156], v[155:156], v[6:7], v[165:166]
	v_fma_f64 v[153:154], v[153:154], v[6:7], -v[8:9]
	v_add_f64_e32 v[165:166], 0, v[167:168]
	v_add_f64_e32 v[167:168], 0, v[169:170]
	scratch_load_b128 v[6:9], off, off offset:768
	v_fma_f64 v[171:172], v[4:5], v[10:11], v[171:172]
	v_fma_f64 v[173:174], v[2:3], v[10:11], -v[12:13]
	ds_load_b128 v[2:5], v1 offset:1488
	s_wait_loadcnt_dscnt 0x901
	v_mul_f64_e32 v[169:170], v[161:162], v[16:17]
	v_mul_f64_e32 v[16:17], v[163:164], v[16:17]
	scratch_load_b128 v[10:13], off, off offset:784
	v_add_f64_e32 v[165:166], v[165:166], v[153:154]
	v_add_f64_e32 v[167:168], v[167:168], v[155:156]
	s_wait_loadcnt_dscnt 0x900
	v_mul_f64_e32 v[175:176], v[2:3], v[20:21]
	v_mul_f64_e32 v[20:21], v[4:5], v[20:21]
	ds_load_b128 v[153:156], v1 offset:1504
	v_fma_f64 v[163:164], v[163:164], v[14:15], v[169:170]
	v_fma_f64 v[161:162], v[161:162], v[14:15], -v[16:17]
	scratch_load_b128 v[14:17], off, off offset:800
	v_add_f64_e32 v[165:166], v[165:166], v[173:174]
	v_add_f64_e32 v[167:168], v[167:168], v[171:172]
	v_fma_f64 v[171:172], v[4:5], v[18:19], v[175:176]
	v_fma_f64 v[173:174], v[2:3], v[18:19], -v[20:21]
	ds_load_b128 v[2:5], v1 offset:1520
	s_wait_loadcnt_dscnt 0x901
	v_mul_f64_e32 v[169:170], v[153:154], v[24:25]
	v_mul_f64_e32 v[24:25], v[155:156], v[24:25]
	scratch_load_b128 v[18:21], off, off offset:816
	s_wait_loadcnt_dscnt 0x900
	v_mul_f64_e32 v[175:176], v[2:3], v[28:29]
	v_mul_f64_e32 v[28:29], v[4:5], v[28:29]
	v_add_f64_e32 v[165:166], v[165:166], v[161:162]
	v_add_f64_e32 v[167:168], v[167:168], v[163:164]
	ds_load_b128 v[161:164], v1 offset:1536
	v_fma_f64 v[155:156], v[155:156], v[22:23], v[169:170]
	v_fma_f64 v[153:154], v[153:154], v[22:23], -v[24:25]
	scratch_load_b128 v[22:25], off, off offset:832
	v_add_f64_e32 v[165:166], v[165:166], v[173:174]
	v_add_f64_e32 v[167:168], v[167:168], v[171:172]
	v_fma_f64 v[171:172], v[4:5], v[26:27], v[175:176]
	v_fma_f64 v[173:174], v[2:3], v[26:27], -v[28:29]
	ds_load_b128 v[2:5], v1 offset:1552
	s_wait_loadcnt_dscnt 0x901
	v_mul_f64_e32 v[169:170], v[161:162], v[32:33]
	v_mul_f64_e32 v[32:33], v[163:164], v[32:33]
	scratch_load_b128 v[26:29], off, off offset:848
	s_wait_loadcnt_dscnt 0x900
	v_mul_f64_e32 v[175:176], v[2:3], v[40:41]
	v_mul_f64_e32 v[40:41], v[4:5], v[40:41]
	v_add_f64_e32 v[165:166], v[165:166], v[153:154]
	v_add_f64_e32 v[167:168], v[167:168], v[155:156]
	ds_load_b128 v[153:156], v1 offset:1568
	v_fma_f64 v[163:164], v[163:164], v[30:31], v[169:170]
	v_fma_f64 v[30:31], v[161:162], v[30:31], -v[32:33]
	v_add_f64_e32 v[32:33], v[165:166], v[173:174]
	v_add_f64_e32 v[161:162], v[167:168], v[171:172]
	s_wait_loadcnt_dscnt 0x700
	v_mul_f64_e32 v[165:166], v[153:154], v[159:160]
	v_mul_f64_e32 v[159:160], v[155:156], v[159:160]
	v_fma_f64 v[167:168], v[4:5], v[38:39], v[175:176]
	v_fma_f64 v[38:39], v[2:3], v[38:39], -v[40:41]
	v_add_f64_e32 v[40:41], v[32:33], v[30:31]
	v_add_f64_e32 v[161:162], v[161:162], v[163:164]
	ds_load_b128 v[2:5], v1 offset:1584
	ds_load_b128 v[30:33], v1 offset:1600
	v_fma_f64 v[155:156], v[155:156], v[157:158], v[165:166]
	v_fma_f64 v[153:154], v[153:154], v[157:158], -v[159:160]
	s_wait_loadcnt_dscnt 0x601
	v_mul_f64_e32 v[163:164], v[2:3], v[36:37]
	v_mul_f64_e32 v[36:37], v[4:5], v[36:37]
	v_add_f64_e32 v[38:39], v[40:41], v[38:39]
	v_add_f64_e32 v[40:41], v[161:162], v[167:168]
	s_wait_loadcnt_dscnt 0x500
	v_mul_f64_e32 v[157:158], v[30:31], v[8:9]
	v_mul_f64_e32 v[8:9], v[32:33], v[8:9]
	v_fma_f64 v[159:160], v[4:5], v[34:35], v[163:164]
	v_fma_f64 v[161:162], v[2:3], v[34:35], -v[36:37]
	ds_load_b128 v[2:5], v1 offset:1616
	ds_load_b128 v[34:37], v1 offset:1632
	v_add_f64_e32 v[38:39], v[38:39], v[153:154]
	v_add_f64_e32 v[40:41], v[40:41], v[155:156]
	s_wait_loadcnt_dscnt 0x401
	v_mul_f64_e32 v[153:154], v[2:3], v[12:13]
	v_mul_f64_e32 v[12:13], v[4:5], v[12:13]
	v_fma_f64 v[32:33], v[32:33], v[6:7], v[157:158]
	v_fma_f64 v[6:7], v[30:31], v[6:7], -v[8:9]
	v_add_f64_e32 v[8:9], v[38:39], v[161:162]
	v_add_f64_e32 v[30:31], v[40:41], v[159:160]
	s_wait_loadcnt_dscnt 0x300
	v_mul_f64_e32 v[38:39], v[34:35], v[16:17]
	v_mul_f64_e32 v[16:17], v[36:37], v[16:17]
	v_fma_f64 v[40:41], v[4:5], v[10:11], v[153:154]
	v_fma_f64 v[10:11], v[2:3], v[10:11], -v[12:13]
	v_add_f64_e32 v[12:13], v[8:9], v[6:7]
	v_add_f64_e32 v[30:31], v[30:31], v[32:33]
	ds_load_b128 v[2:5], v1 offset:1648
	ds_load_b128 v[6:9], v1 offset:1664
	v_fma_f64 v[36:37], v[36:37], v[14:15], v[38:39]
	v_fma_f64 v[14:15], v[34:35], v[14:15], -v[16:17]
	s_wait_loadcnt_dscnt 0x201
	v_mul_f64_e32 v[32:33], v[2:3], v[20:21]
	v_mul_f64_e32 v[20:21], v[4:5], v[20:21]
	s_wait_loadcnt_dscnt 0x100
	v_mul_f64_e32 v[16:17], v[6:7], v[24:25]
	v_mul_f64_e32 v[24:25], v[8:9], v[24:25]
	v_add_f64_e32 v[10:11], v[12:13], v[10:11]
	v_add_f64_e32 v[12:13], v[30:31], v[40:41]
	v_fma_f64 v[30:31], v[4:5], v[18:19], v[32:33]
	v_fma_f64 v[18:19], v[2:3], v[18:19], -v[20:21]
	ds_load_b128 v[2:5], v1 offset:1680
	v_fma_f64 v[8:9], v[8:9], v[22:23], v[16:17]
	v_fma_f64 v[6:7], v[6:7], v[22:23], -v[24:25]
	v_add_f64_e32 v[10:11], v[10:11], v[14:15]
	v_add_f64_e32 v[12:13], v[12:13], v[36:37]
	s_wait_loadcnt_dscnt 0x0
	v_mul_f64_e32 v[14:15], v[2:3], v[28:29]
	v_mul_f64_e32 v[20:21], v[4:5], v[28:29]
	s_delay_alu instid0(VALU_DEP_4) | instskip(NEXT) | instid1(VALU_DEP_4)
	v_add_f64_e32 v[10:11], v[10:11], v[18:19]
	v_add_f64_e32 v[12:13], v[12:13], v[30:31]
	s_delay_alu instid0(VALU_DEP_4) | instskip(NEXT) | instid1(VALU_DEP_4)
	v_fma_f64 v[4:5], v[4:5], v[26:27], v[14:15]
	v_fma_f64 v[2:3], v[2:3], v[26:27], -v[20:21]
	s_delay_alu instid0(VALU_DEP_4) | instskip(NEXT) | instid1(VALU_DEP_4)
	v_add_f64_e32 v[6:7], v[10:11], v[6:7]
	v_add_f64_e32 v[8:9], v[12:13], v[8:9]
	s_delay_alu instid0(VALU_DEP_2) | instskip(NEXT) | instid1(VALU_DEP_2)
	v_add_f64_e32 v[2:3], v[6:7], v[2:3]
	v_add_f64_e32 v[4:5], v[8:9], v[4:5]
	s_delay_alu instid0(VALU_DEP_2) | instskip(NEXT) | instid1(VALU_DEP_2)
	v_add_f64_e64 v[2:3], v[42:43], -v[2:3]
	v_add_f64_e64 v[4:5], v[44:45], -v[4:5]
	scratch_store_b128 off, v[2:5], off offset:576
	v_cmpx_lt_u32_e32 34, v0
	s_cbranch_execz .LBB116_263
; %bb.262:
	scratch_load_b128 v[5:8], off, s31
	v_dual_mov_b32 v2, v1 :: v_dual_mov_b32 v3, v1
	v_mov_b32_e32 v4, v1
	scratch_store_b128 off, v[1:4], off offset:560
	s_wait_loadcnt 0x0
	ds_store_b128 v152, v[5:8]
.LBB116_263:
	s_wait_alu 0xfffe
	s_or_b32 exec_lo, exec_lo, s0
	s_wait_storecnt_dscnt 0x0
	s_barrier_signal -1
	s_barrier_wait -1
	global_inv scope:SCOPE_SE
	s_clause 0x8
	scratch_load_b128 v[2:5], off, off offset:576
	scratch_load_b128 v[6:9], off, off offset:592
	;; [unrolled: 1-line block ×9, first 2 shown]
	ds_load_b128 v[38:41], v1 offset:1408
	ds_load_b128 v[42:45], v1 offset:1424
	s_clause 0x1
	scratch_load_b128 v[153:156], off, off offset:560
	scratch_load_b128 v[157:160], off, off offset:720
	s_mov_b32 s0, exec_lo
	s_wait_loadcnt_dscnt 0xa01
	v_mul_f64_e32 v[161:162], v[40:41], v[4:5]
	v_mul_f64_e32 v[4:5], v[38:39], v[4:5]
	s_wait_loadcnt_dscnt 0x900
	v_mul_f64_e32 v[165:166], v[42:43], v[8:9]
	v_mul_f64_e32 v[8:9], v[44:45], v[8:9]
	s_delay_alu instid0(VALU_DEP_4) | instskip(NEXT) | instid1(VALU_DEP_4)
	v_fma_f64 v[167:168], v[38:39], v[2:3], -v[161:162]
	v_fma_f64 v[169:170], v[40:41], v[2:3], v[4:5]
	ds_load_b128 v[2:5], v1 offset:1440
	ds_load_b128 v[161:164], v1 offset:1456
	scratch_load_b128 v[38:41], off, off offset:736
	v_fma_f64 v[44:45], v[44:45], v[6:7], v[165:166]
	v_fma_f64 v[42:43], v[42:43], v[6:7], -v[8:9]
	scratch_load_b128 v[6:9], off, off offset:752
	s_wait_loadcnt_dscnt 0xa01
	v_mul_f64_e32 v[171:172], v[2:3], v[12:13]
	v_mul_f64_e32 v[12:13], v[4:5], v[12:13]
	v_add_f64_e32 v[165:166], 0, v[167:168]
	v_add_f64_e32 v[167:168], 0, v[169:170]
	s_wait_loadcnt_dscnt 0x900
	v_mul_f64_e32 v[169:170], v[161:162], v[16:17]
	v_mul_f64_e32 v[16:17], v[163:164], v[16:17]
	v_fma_f64 v[171:172], v[4:5], v[10:11], v[171:172]
	v_fma_f64 v[173:174], v[2:3], v[10:11], -v[12:13]
	ds_load_b128 v[2:5], v1 offset:1472
	scratch_load_b128 v[10:13], off, off offset:768
	v_add_f64_e32 v[165:166], v[165:166], v[42:43]
	v_add_f64_e32 v[167:168], v[167:168], v[44:45]
	ds_load_b128 v[42:45], v1 offset:1488
	v_fma_f64 v[163:164], v[163:164], v[14:15], v[169:170]
	v_fma_f64 v[161:162], v[161:162], v[14:15], -v[16:17]
	scratch_load_b128 v[14:17], off, off offset:784
	s_wait_loadcnt_dscnt 0xa01
	v_mul_f64_e32 v[175:176], v[2:3], v[20:21]
	v_mul_f64_e32 v[20:21], v[4:5], v[20:21]
	s_wait_loadcnt_dscnt 0x900
	v_mul_f64_e32 v[169:170], v[42:43], v[24:25]
	v_mul_f64_e32 v[24:25], v[44:45], v[24:25]
	v_add_f64_e32 v[165:166], v[165:166], v[173:174]
	v_add_f64_e32 v[167:168], v[167:168], v[171:172]
	v_fma_f64 v[171:172], v[4:5], v[18:19], v[175:176]
	v_fma_f64 v[173:174], v[2:3], v[18:19], -v[20:21]
	ds_load_b128 v[2:5], v1 offset:1504
	scratch_load_b128 v[18:21], off, off offset:800
	v_fma_f64 v[44:45], v[44:45], v[22:23], v[169:170]
	v_fma_f64 v[42:43], v[42:43], v[22:23], -v[24:25]
	scratch_load_b128 v[22:25], off, off offset:816
	v_add_f64_e32 v[165:166], v[165:166], v[161:162]
	v_add_f64_e32 v[167:168], v[167:168], v[163:164]
	ds_load_b128 v[161:164], v1 offset:1520
	s_wait_loadcnt_dscnt 0xa01
	v_mul_f64_e32 v[175:176], v[2:3], v[28:29]
	v_mul_f64_e32 v[28:29], v[4:5], v[28:29]
	s_wait_loadcnt_dscnt 0x900
	v_mul_f64_e32 v[169:170], v[161:162], v[32:33]
	v_mul_f64_e32 v[32:33], v[163:164], v[32:33]
	v_add_f64_e32 v[165:166], v[165:166], v[173:174]
	v_add_f64_e32 v[167:168], v[167:168], v[171:172]
	v_fma_f64 v[171:172], v[4:5], v[26:27], v[175:176]
	v_fma_f64 v[173:174], v[2:3], v[26:27], -v[28:29]
	ds_load_b128 v[2:5], v1 offset:1536
	scratch_load_b128 v[26:29], off, off offset:832
	v_fma_f64 v[163:164], v[163:164], v[30:31], v[169:170]
	v_fma_f64 v[161:162], v[161:162], v[30:31], -v[32:33]
	scratch_load_b128 v[30:33], off, off offset:848
	v_add_f64_e32 v[165:166], v[165:166], v[42:43]
	v_add_f64_e32 v[167:168], v[167:168], v[44:45]
	ds_load_b128 v[42:45], v1 offset:1552
	s_wait_loadcnt_dscnt 0xa01
	v_mul_f64_e32 v[175:176], v[2:3], v[36:37]
	v_mul_f64_e32 v[36:37], v[4:5], v[36:37]
	s_wait_loadcnt_dscnt 0x800
	v_mul_f64_e32 v[169:170], v[42:43], v[159:160]
	v_mul_f64_e32 v[159:160], v[44:45], v[159:160]
	v_add_f64_e32 v[165:166], v[165:166], v[173:174]
	v_add_f64_e32 v[167:168], v[167:168], v[171:172]
	v_fma_f64 v[171:172], v[4:5], v[34:35], v[175:176]
	v_fma_f64 v[173:174], v[2:3], v[34:35], -v[36:37]
	ds_load_b128 v[2:5], v1 offset:1568
	ds_load_b128 v[34:37], v1 offset:1584
	v_fma_f64 v[44:45], v[44:45], v[157:158], v[169:170]
	v_fma_f64 v[42:43], v[42:43], v[157:158], -v[159:160]
	v_add_f64_e32 v[161:162], v[165:166], v[161:162]
	v_add_f64_e32 v[163:164], v[167:168], v[163:164]
	s_wait_loadcnt_dscnt 0x701
	v_mul_f64_e32 v[165:166], v[2:3], v[40:41]
	v_mul_f64_e32 v[40:41], v[4:5], v[40:41]
	s_delay_alu instid0(VALU_DEP_4) | instskip(NEXT) | instid1(VALU_DEP_4)
	v_add_f64_e32 v[157:158], v[161:162], v[173:174]
	v_add_f64_e32 v[159:160], v[163:164], v[171:172]
	s_wait_loadcnt_dscnt 0x600
	v_mul_f64_e32 v[161:162], v[34:35], v[8:9]
	v_mul_f64_e32 v[8:9], v[36:37], v[8:9]
	v_fma_f64 v[163:164], v[4:5], v[38:39], v[165:166]
	v_fma_f64 v[165:166], v[2:3], v[38:39], -v[40:41]
	ds_load_b128 v[2:5], v1 offset:1600
	ds_load_b128 v[38:41], v1 offset:1616
	v_add_f64_e32 v[42:43], v[157:158], v[42:43]
	v_add_f64_e32 v[44:45], v[159:160], v[44:45]
	v_fma_f64 v[36:37], v[36:37], v[6:7], v[161:162]
	s_wait_loadcnt_dscnt 0x501
	v_mul_f64_e32 v[157:158], v[2:3], v[12:13]
	v_mul_f64_e32 v[12:13], v[4:5], v[12:13]
	v_fma_f64 v[6:7], v[34:35], v[6:7], -v[8:9]
	v_add_f64_e32 v[8:9], v[42:43], v[165:166]
	v_add_f64_e32 v[34:35], v[44:45], v[163:164]
	s_wait_loadcnt_dscnt 0x400
	v_mul_f64_e32 v[42:43], v[38:39], v[16:17]
	v_mul_f64_e32 v[16:17], v[40:41], v[16:17]
	v_fma_f64 v[44:45], v[4:5], v[10:11], v[157:158]
	v_fma_f64 v[10:11], v[2:3], v[10:11], -v[12:13]
	v_add_f64_e32 v[12:13], v[8:9], v[6:7]
	v_add_f64_e32 v[34:35], v[34:35], v[36:37]
	ds_load_b128 v[2:5], v1 offset:1632
	ds_load_b128 v[6:9], v1 offset:1648
	v_fma_f64 v[40:41], v[40:41], v[14:15], v[42:43]
	v_fma_f64 v[14:15], v[38:39], v[14:15], -v[16:17]
	s_wait_loadcnt_dscnt 0x301
	v_mul_f64_e32 v[36:37], v[2:3], v[20:21]
	v_mul_f64_e32 v[20:21], v[4:5], v[20:21]
	s_wait_loadcnt_dscnt 0x200
	v_mul_f64_e32 v[16:17], v[6:7], v[24:25]
	v_mul_f64_e32 v[24:25], v[8:9], v[24:25]
	v_add_f64_e32 v[10:11], v[12:13], v[10:11]
	v_add_f64_e32 v[12:13], v[34:35], v[44:45]
	v_fma_f64 v[34:35], v[4:5], v[18:19], v[36:37]
	v_fma_f64 v[18:19], v[2:3], v[18:19], -v[20:21]
	v_fma_f64 v[8:9], v[8:9], v[22:23], v[16:17]
	v_fma_f64 v[6:7], v[6:7], v[22:23], -v[24:25]
	v_add_f64_e32 v[14:15], v[10:11], v[14:15]
	v_add_f64_e32 v[20:21], v[12:13], v[40:41]
	ds_load_b128 v[2:5], v1 offset:1664
	ds_load_b128 v[10:13], v1 offset:1680
	s_wait_loadcnt_dscnt 0x101
	v_mul_f64_e32 v[36:37], v[2:3], v[28:29]
	v_mul_f64_e32 v[28:29], v[4:5], v[28:29]
	v_add_f64_e32 v[14:15], v[14:15], v[18:19]
	v_add_f64_e32 v[16:17], v[20:21], v[34:35]
	s_wait_loadcnt_dscnt 0x0
	v_mul_f64_e32 v[18:19], v[10:11], v[32:33]
	v_mul_f64_e32 v[20:21], v[12:13], v[32:33]
	v_fma_f64 v[4:5], v[4:5], v[26:27], v[36:37]
	v_fma_f64 v[1:2], v[2:3], v[26:27], -v[28:29]
	v_add_f64_e32 v[6:7], v[14:15], v[6:7]
	v_add_f64_e32 v[8:9], v[16:17], v[8:9]
	v_fma_f64 v[12:13], v[12:13], v[30:31], v[18:19]
	v_fma_f64 v[10:11], v[10:11], v[30:31], -v[20:21]
	s_delay_alu instid0(VALU_DEP_4) | instskip(NEXT) | instid1(VALU_DEP_4)
	v_add_f64_e32 v[1:2], v[6:7], v[1:2]
	v_add_f64_e32 v[3:4], v[8:9], v[4:5]
	s_delay_alu instid0(VALU_DEP_2) | instskip(NEXT) | instid1(VALU_DEP_2)
	v_add_f64_e32 v[1:2], v[1:2], v[10:11]
	v_add_f64_e32 v[3:4], v[3:4], v[12:13]
	s_delay_alu instid0(VALU_DEP_2) | instskip(NEXT) | instid1(VALU_DEP_2)
	v_add_f64_e64 v[1:2], v[153:154], -v[1:2]
	v_add_f64_e64 v[3:4], v[155:156], -v[3:4]
	scratch_store_b128 off, v[1:4], off offset:560
	v_cmpx_lt_u32_e32 33, v0
	s_cbranch_execz .LBB116_265
; %bb.264:
	scratch_load_b128 v[1:4], off, s33
	v_mov_b32_e32 v5, 0
	s_delay_alu instid0(VALU_DEP_1)
	v_dual_mov_b32 v6, v5 :: v_dual_mov_b32 v7, v5
	v_mov_b32_e32 v8, v5
	scratch_store_b128 off, v[5:8], off offset:544
	s_wait_loadcnt 0x0
	ds_store_b128 v152, v[1:4]
.LBB116_265:
	s_wait_alu 0xfffe
	s_or_b32 exec_lo, exec_lo, s0
	s_wait_storecnt_dscnt 0x0
	s_barrier_signal -1
	s_barrier_wait -1
	global_inv scope:SCOPE_SE
	s_clause 0x7
	scratch_load_b128 v[2:5], off, off offset:560
	scratch_load_b128 v[6:9], off, off offset:576
	;; [unrolled: 1-line block ×8, first 2 shown]
	v_mov_b32_e32 v1, 0
	s_mov_b32 s0, exec_lo
	ds_load_b128 v[34:37], v1 offset:1392
	s_clause 0x1
	scratch_load_b128 v[38:41], off, off offset:688
	scratch_load_b128 v[42:45], off, off offset:544
	ds_load_b128 v[153:156], v1 offset:1408
	scratch_load_b128 v[157:160], off, off offset:704
	s_wait_loadcnt_dscnt 0xa01
	v_mul_f64_e32 v[161:162], v[36:37], v[4:5]
	v_mul_f64_e32 v[4:5], v[34:35], v[4:5]
	s_delay_alu instid0(VALU_DEP_2) | instskip(NEXT) | instid1(VALU_DEP_2)
	v_fma_f64 v[167:168], v[34:35], v[2:3], -v[161:162]
	v_fma_f64 v[169:170], v[36:37], v[2:3], v[4:5]
	ds_load_b128 v[2:5], v1 offset:1424
	s_wait_loadcnt_dscnt 0x901
	v_mul_f64_e32 v[165:166], v[153:154], v[8:9]
	v_mul_f64_e32 v[8:9], v[155:156], v[8:9]
	scratch_load_b128 v[34:37], off, off offset:720
	ds_load_b128 v[161:164], v1 offset:1440
	s_wait_loadcnt_dscnt 0x901
	v_mul_f64_e32 v[171:172], v[2:3], v[12:13]
	v_mul_f64_e32 v[12:13], v[4:5], v[12:13]
	v_fma_f64 v[155:156], v[155:156], v[6:7], v[165:166]
	v_fma_f64 v[153:154], v[153:154], v[6:7], -v[8:9]
	v_add_f64_e32 v[165:166], 0, v[167:168]
	v_add_f64_e32 v[167:168], 0, v[169:170]
	scratch_load_b128 v[6:9], off, off offset:736
	v_fma_f64 v[171:172], v[4:5], v[10:11], v[171:172]
	v_fma_f64 v[173:174], v[2:3], v[10:11], -v[12:13]
	ds_load_b128 v[2:5], v1 offset:1456
	s_wait_loadcnt_dscnt 0x901
	v_mul_f64_e32 v[169:170], v[161:162], v[16:17]
	v_mul_f64_e32 v[16:17], v[163:164], v[16:17]
	scratch_load_b128 v[10:13], off, off offset:752
	v_add_f64_e32 v[165:166], v[165:166], v[153:154]
	v_add_f64_e32 v[167:168], v[167:168], v[155:156]
	s_wait_loadcnt_dscnt 0x900
	v_mul_f64_e32 v[175:176], v[2:3], v[20:21]
	v_mul_f64_e32 v[20:21], v[4:5], v[20:21]
	ds_load_b128 v[153:156], v1 offset:1472
	v_fma_f64 v[163:164], v[163:164], v[14:15], v[169:170]
	v_fma_f64 v[161:162], v[161:162], v[14:15], -v[16:17]
	scratch_load_b128 v[14:17], off, off offset:768
	v_add_f64_e32 v[165:166], v[165:166], v[173:174]
	v_add_f64_e32 v[167:168], v[167:168], v[171:172]
	v_fma_f64 v[171:172], v[4:5], v[18:19], v[175:176]
	v_fma_f64 v[173:174], v[2:3], v[18:19], -v[20:21]
	ds_load_b128 v[2:5], v1 offset:1488
	s_wait_loadcnt_dscnt 0x901
	v_mul_f64_e32 v[169:170], v[153:154], v[24:25]
	v_mul_f64_e32 v[24:25], v[155:156], v[24:25]
	scratch_load_b128 v[18:21], off, off offset:784
	s_wait_loadcnt_dscnt 0x900
	v_mul_f64_e32 v[175:176], v[2:3], v[28:29]
	v_mul_f64_e32 v[28:29], v[4:5], v[28:29]
	v_add_f64_e32 v[165:166], v[165:166], v[161:162]
	v_add_f64_e32 v[167:168], v[167:168], v[163:164]
	ds_load_b128 v[161:164], v1 offset:1504
	v_fma_f64 v[155:156], v[155:156], v[22:23], v[169:170]
	v_fma_f64 v[153:154], v[153:154], v[22:23], -v[24:25]
	scratch_load_b128 v[22:25], off, off offset:800
	v_add_f64_e32 v[165:166], v[165:166], v[173:174]
	v_add_f64_e32 v[167:168], v[167:168], v[171:172]
	v_fma_f64 v[171:172], v[4:5], v[26:27], v[175:176]
	v_fma_f64 v[173:174], v[2:3], v[26:27], -v[28:29]
	ds_load_b128 v[2:5], v1 offset:1520
	s_wait_loadcnt_dscnt 0x901
	v_mul_f64_e32 v[169:170], v[161:162], v[32:33]
	v_mul_f64_e32 v[32:33], v[163:164], v[32:33]
	scratch_load_b128 v[26:29], off, off offset:816
	s_wait_loadcnt_dscnt 0x900
	v_mul_f64_e32 v[175:176], v[2:3], v[40:41]
	v_mul_f64_e32 v[40:41], v[4:5], v[40:41]
	v_add_f64_e32 v[165:166], v[165:166], v[153:154]
	v_add_f64_e32 v[167:168], v[167:168], v[155:156]
	ds_load_b128 v[153:156], v1 offset:1536
	v_fma_f64 v[163:164], v[163:164], v[30:31], v[169:170]
	v_fma_f64 v[161:162], v[161:162], v[30:31], -v[32:33]
	scratch_load_b128 v[30:33], off, off offset:832
	v_add_f64_e32 v[165:166], v[165:166], v[173:174]
	v_add_f64_e32 v[167:168], v[167:168], v[171:172]
	v_fma_f64 v[173:174], v[4:5], v[38:39], v[175:176]
	v_fma_f64 v[175:176], v[2:3], v[38:39], -v[40:41]
	ds_load_b128 v[2:5], v1 offset:1552
	s_wait_loadcnt_dscnt 0x801
	v_mul_f64_e32 v[169:170], v[153:154], v[159:160]
	v_mul_f64_e32 v[171:172], v[155:156], v[159:160]
	scratch_load_b128 v[38:41], off, off offset:848
	v_add_f64_e32 v[165:166], v[165:166], v[161:162]
	v_add_f64_e32 v[163:164], v[167:168], v[163:164]
	ds_load_b128 v[159:162], v1 offset:1568
	v_fma_f64 v[155:156], v[155:156], v[157:158], v[169:170]
	v_fma_f64 v[153:154], v[153:154], v[157:158], -v[171:172]
	s_wait_loadcnt_dscnt 0x801
	v_mul_f64_e32 v[167:168], v[2:3], v[36:37]
	v_mul_f64_e32 v[36:37], v[4:5], v[36:37]
	v_add_f64_e32 v[157:158], v[165:166], v[175:176]
	v_add_f64_e32 v[163:164], v[163:164], v[173:174]
	s_delay_alu instid0(VALU_DEP_4) | instskip(NEXT) | instid1(VALU_DEP_4)
	v_fma_f64 v[167:168], v[4:5], v[34:35], v[167:168]
	v_fma_f64 v[169:170], v[2:3], v[34:35], -v[36:37]
	s_wait_loadcnt_dscnt 0x700
	v_mul_f64_e32 v[165:166], v[159:160], v[8:9]
	v_mul_f64_e32 v[8:9], v[161:162], v[8:9]
	ds_load_b128 v[2:5], v1 offset:1584
	ds_load_b128 v[34:37], v1 offset:1600
	v_add_f64_e32 v[153:154], v[157:158], v[153:154]
	v_add_f64_e32 v[155:156], v[163:164], v[155:156]
	s_wait_loadcnt_dscnt 0x601
	v_mul_f64_e32 v[157:158], v[2:3], v[12:13]
	v_mul_f64_e32 v[12:13], v[4:5], v[12:13]
	v_fma_f64 v[161:162], v[161:162], v[6:7], v[165:166]
	v_fma_f64 v[6:7], v[159:160], v[6:7], -v[8:9]
	v_add_f64_e32 v[8:9], v[153:154], v[169:170]
	v_add_f64_e32 v[153:154], v[155:156], v[167:168]
	s_wait_loadcnt_dscnt 0x500
	v_mul_f64_e32 v[155:156], v[34:35], v[16:17]
	v_mul_f64_e32 v[16:17], v[36:37], v[16:17]
	v_fma_f64 v[157:158], v[4:5], v[10:11], v[157:158]
	v_fma_f64 v[10:11], v[2:3], v[10:11], -v[12:13]
	v_add_f64_e32 v[12:13], v[8:9], v[6:7]
	v_add_f64_e32 v[153:154], v[153:154], v[161:162]
	ds_load_b128 v[2:5], v1 offset:1616
	ds_load_b128 v[6:9], v1 offset:1632
	v_fma_f64 v[36:37], v[36:37], v[14:15], v[155:156]
	v_fma_f64 v[14:15], v[34:35], v[14:15], -v[16:17]
	s_wait_loadcnt_dscnt 0x401
	v_mul_f64_e32 v[159:160], v[2:3], v[20:21]
	v_mul_f64_e32 v[20:21], v[4:5], v[20:21]
	s_wait_loadcnt_dscnt 0x300
	v_mul_f64_e32 v[16:17], v[6:7], v[24:25]
	v_mul_f64_e32 v[24:25], v[8:9], v[24:25]
	v_add_f64_e32 v[10:11], v[12:13], v[10:11]
	v_add_f64_e32 v[12:13], v[153:154], v[157:158]
	v_fma_f64 v[34:35], v[4:5], v[18:19], v[159:160]
	v_fma_f64 v[18:19], v[2:3], v[18:19], -v[20:21]
	v_fma_f64 v[8:9], v[8:9], v[22:23], v[16:17]
	v_fma_f64 v[6:7], v[6:7], v[22:23], -v[24:25]
	v_add_f64_e32 v[14:15], v[10:11], v[14:15]
	v_add_f64_e32 v[20:21], v[12:13], v[36:37]
	ds_load_b128 v[2:5], v1 offset:1648
	ds_load_b128 v[10:13], v1 offset:1664
	s_wait_loadcnt_dscnt 0x201
	v_mul_f64_e32 v[36:37], v[2:3], v[28:29]
	v_mul_f64_e32 v[28:29], v[4:5], v[28:29]
	v_add_f64_e32 v[14:15], v[14:15], v[18:19]
	v_add_f64_e32 v[16:17], v[20:21], v[34:35]
	s_wait_loadcnt_dscnt 0x100
	v_mul_f64_e32 v[18:19], v[10:11], v[32:33]
	v_mul_f64_e32 v[20:21], v[12:13], v[32:33]
	v_fma_f64 v[22:23], v[4:5], v[26:27], v[36:37]
	v_fma_f64 v[24:25], v[2:3], v[26:27], -v[28:29]
	ds_load_b128 v[2:5], v1 offset:1680
	v_add_f64_e32 v[6:7], v[14:15], v[6:7]
	v_add_f64_e32 v[8:9], v[16:17], v[8:9]
	v_fma_f64 v[12:13], v[12:13], v[30:31], v[18:19]
	v_fma_f64 v[10:11], v[10:11], v[30:31], -v[20:21]
	s_wait_loadcnt_dscnt 0x0
	v_mul_f64_e32 v[14:15], v[2:3], v[40:41]
	v_mul_f64_e32 v[16:17], v[4:5], v[40:41]
	v_add_f64_e32 v[6:7], v[6:7], v[24:25]
	v_add_f64_e32 v[8:9], v[8:9], v[22:23]
	s_delay_alu instid0(VALU_DEP_4) | instskip(NEXT) | instid1(VALU_DEP_4)
	v_fma_f64 v[4:5], v[4:5], v[38:39], v[14:15]
	v_fma_f64 v[2:3], v[2:3], v[38:39], -v[16:17]
	s_delay_alu instid0(VALU_DEP_4) | instskip(NEXT) | instid1(VALU_DEP_4)
	v_add_f64_e32 v[6:7], v[6:7], v[10:11]
	v_add_f64_e32 v[8:9], v[8:9], v[12:13]
	s_delay_alu instid0(VALU_DEP_2) | instskip(NEXT) | instid1(VALU_DEP_2)
	v_add_f64_e32 v[2:3], v[6:7], v[2:3]
	v_add_f64_e32 v[4:5], v[8:9], v[4:5]
	s_delay_alu instid0(VALU_DEP_2) | instskip(NEXT) | instid1(VALU_DEP_2)
	v_add_f64_e64 v[2:3], v[42:43], -v[2:3]
	v_add_f64_e64 v[4:5], v[44:45], -v[4:5]
	scratch_store_b128 off, v[2:5], off offset:544
	v_cmpx_lt_u32_e32 32, v0
	s_cbranch_execz .LBB116_267
; %bb.266:
	scratch_load_b128 v[5:8], off, s34
	v_dual_mov_b32 v2, v1 :: v_dual_mov_b32 v3, v1
	v_mov_b32_e32 v4, v1
	scratch_store_b128 off, v[1:4], off offset:528
	s_wait_loadcnt 0x0
	ds_store_b128 v152, v[5:8]
.LBB116_267:
	s_wait_alu 0xfffe
	s_or_b32 exec_lo, exec_lo, s0
	s_wait_storecnt_dscnt 0x0
	s_barrier_signal -1
	s_barrier_wait -1
	global_inv scope:SCOPE_SE
	s_clause 0x8
	scratch_load_b128 v[2:5], off, off offset:544
	scratch_load_b128 v[6:9], off, off offset:560
	;; [unrolled: 1-line block ×9, first 2 shown]
	ds_load_b128 v[38:41], v1 offset:1376
	ds_load_b128 v[42:45], v1 offset:1392
	s_clause 0x1
	scratch_load_b128 v[153:156], off, off offset:528
	scratch_load_b128 v[157:160], off, off offset:688
	s_mov_b32 s0, exec_lo
	s_wait_loadcnt_dscnt 0xa01
	v_mul_f64_e32 v[161:162], v[40:41], v[4:5]
	v_mul_f64_e32 v[4:5], v[38:39], v[4:5]
	s_wait_loadcnt_dscnt 0x900
	v_mul_f64_e32 v[165:166], v[42:43], v[8:9]
	v_mul_f64_e32 v[8:9], v[44:45], v[8:9]
	s_delay_alu instid0(VALU_DEP_4) | instskip(NEXT) | instid1(VALU_DEP_4)
	v_fma_f64 v[167:168], v[38:39], v[2:3], -v[161:162]
	v_fma_f64 v[169:170], v[40:41], v[2:3], v[4:5]
	ds_load_b128 v[2:5], v1 offset:1408
	ds_load_b128 v[161:164], v1 offset:1424
	scratch_load_b128 v[38:41], off, off offset:704
	v_fma_f64 v[44:45], v[44:45], v[6:7], v[165:166]
	v_fma_f64 v[42:43], v[42:43], v[6:7], -v[8:9]
	scratch_load_b128 v[6:9], off, off offset:720
	s_wait_loadcnt_dscnt 0xa01
	v_mul_f64_e32 v[171:172], v[2:3], v[12:13]
	v_mul_f64_e32 v[12:13], v[4:5], v[12:13]
	v_add_f64_e32 v[165:166], 0, v[167:168]
	v_add_f64_e32 v[167:168], 0, v[169:170]
	s_wait_loadcnt_dscnt 0x900
	v_mul_f64_e32 v[169:170], v[161:162], v[16:17]
	v_mul_f64_e32 v[16:17], v[163:164], v[16:17]
	v_fma_f64 v[171:172], v[4:5], v[10:11], v[171:172]
	v_fma_f64 v[173:174], v[2:3], v[10:11], -v[12:13]
	ds_load_b128 v[2:5], v1 offset:1440
	scratch_load_b128 v[10:13], off, off offset:736
	v_add_f64_e32 v[165:166], v[165:166], v[42:43]
	v_add_f64_e32 v[167:168], v[167:168], v[44:45]
	ds_load_b128 v[42:45], v1 offset:1456
	v_fma_f64 v[163:164], v[163:164], v[14:15], v[169:170]
	v_fma_f64 v[161:162], v[161:162], v[14:15], -v[16:17]
	scratch_load_b128 v[14:17], off, off offset:752
	s_wait_loadcnt_dscnt 0xa01
	v_mul_f64_e32 v[175:176], v[2:3], v[20:21]
	v_mul_f64_e32 v[20:21], v[4:5], v[20:21]
	s_wait_loadcnt_dscnt 0x900
	v_mul_f64_e32 v[169:170], v[42:43], v[24:25]
	v_mul_f64_e32 v[24:25], v[44:45], v[24:25]
	v_add_f64_e32 v[165:166], v[165:166], v[173:174]
	v_add_f64_e32 v[167:168], v[167:168], v[171:172]
	v_fma_f64 v[171:172], v[4:5], v[18:19], v[175:176]
	v_fma_f64 v[173:174], v[2:3], v[18:19], -v[20:21]
	ds_load_b128 v[2:5], v1 offset:1472
	scratch_load_b128 v[18:21], off, off offset:768
	v_fma_f64 v[44:45], v[44:45], v[22:23], v[169:170]
	v_fma_f64 v[42:43], v[42:43], v[22:23], -v[24:25]
	scratch_load_b128 v[22:25], off, off offset:784
	v_add_f64_e32 v[165:166], v[165:166], v[161:162]
	v_add_f64_e32 v[167:168], v[167:168], v[163:164]
	ds_load_b128 v[161:164], v1 offset:1488
	s_wait_loadcnt_dscnt 0xa01
	v_mul_f64_e32 v[175:176], v[2:3], v[28:29]
	v_mul_f64_e32 v[28:29], v[4:5], v[28:29]
	s_wait_loadcnt_dscnt 0x900
	v_mul_f64_e32 v[169:170], v[161:162], v[32:33]
	v_mul_f64_e32 v[32:33], v[163:164], v[32:33]
	v_add_f64_e32 v[165:166], v[165:166], v[173:174]
	v_add_f64_e32 v[167:168], v[167:168], v[171:172]
	v_fma_f64 v[171:172], v[4:5], v[26:27], v[175:176]
	v_fma_f64 v[173:174], v[2:3], v[26:27], -v[28:29]
	ds_load_b128 v[2:5], v1 offset:1504
	scratch_load_b128 v[26:29], off, off offset:800
	v_fma_f64 v[163:164], v[163:164], v[30:31], v[169:170]
	v_fma_f64 v[161:162], v[161:162], v[30:31], -v[32:33]
	scratch_load_b128 v[30:33], off, off offset:816
	v_add_f64_e32 v[165:166], v[165:166], v[42:43]
	v_add_f64_e32 v[167:168], v[167:168], v[44:45]
	ds_load_b128 v[42:45], v1 offset:1520
	s_wait_loadcnt_dscnt 0xa01
	v_mul_f64_e32 v[175:176], v[2:3], v[36:37]
	v_mul_f64_e32 v[36:37], v[4:5], v[36:37]
	s_wait_loadcnt_dscnt 0x800
	v_mul_f64_e32 v[169:170], v[42:43], v[159:160]
	v_add_f64_e32 v[165:166], v[165:166], v[173:174]
	v_add_f64_e32 v[167:168], v[167:168], v[171:172]
	v_mul_f64_e32 v[171:172], v[44:45], v[159:160]
	v_fma_f64 v[173:174], v[4:5], v[34:35], v[175:176]
	v_fma_f64 v[175:176], v[2:3], v[34:35], -v[36:37]
	ds_load_b128 v[2:5], v1 offset:1536
	scratch_load_b128 v[34:37], off, off offset:832
	v_fma_f64 v[44:45], v[44:45], v[157:158], v[169:170]
	v_add_f64_e32 v[165:166], v[165:166], v[161:162]
	v_add_f64_e32 v[163:164], v[167:168], v[163:164]
	ds_load_b128 v[159:162], v1 offset:1552
	v_fma_f64 v[157:158], v[42:43], v[157:158], -v[171:172]
	s_wait_loadcnt_dscnt 0x801
	v_mul_f64_e32 v[167:168], v[2:3], v[40:41]
	v_mul_f64_e32 v[177:178], v[4:5], v[40:41]
	scratch_load_b128 v[40:43], off, off offset:848
	s_wait_loadcnt_dscnt 0x800
	v_mul_f64_e32 v[169:170], v[159:160], v[8:9]
	v_mul_f64_e32 v[8:9], v[161:162], v[8:9]
	v_add_f64_e32 v[165:166], v[165:166], v[175:176]
	v_add_f64_e32 v[163:164], v[163:164], v[173:174]
	v_fma_f64 v[167:168], v[4:5], v[38:39], v[167:168]
	v_fma_f64 v[38:39], v[2:3], v[38:39], -v[177:178]
	v_fma_f64 v[161:162], v[161:162], v[6:7], v[169:170]
	v_fma_f64 v[6:7], v[159:160], v[6:7], -v[8:9]
	v_add_f64_e32 v[157:158], v[165:166], v[157:158]
	v_add_f64_e32 v[44:45], v[163:164], v[44:45]
	ds_load_b128 v[2:5], v1 offset:1568
	ds_load_b128 v[163:166], v1 offset:1584
	s_wait_loadcnt_dscnt 0x701
	v_mul_f64_e32 v[171:172], v[2:3], v[12:13]
	v_mul_f64_e32 v[12:13], v[4:5], v[12:13]
	v_add_f64_e32 v[8:9], v[157:158], v[38:39]
	v_add_f64_e32 v[38:39], v[44:45], v[167:168]
	s_wait_loadcnt_dscnt 0x600
	v_mul_f64_e32 v[44:45], v[163:164], v[16:17]
	v_mul_f64_e32 v[16:17], v[165:166], v[16:17]
	v_fma_f64 v[157:158], v[4:5], v[10:11], v[171:172]
	v_fma_f64 v[10:11], v[2:3], v[10:11], -v[12:13]
	v_add_f64_e32 v[12:13], v[8:9], v[6:7]
	v_add_f64_e32 v[38:39], v[38:39], v[161:162]
	ds_load_b128 v[2:5], v1 offset:1600
	ds_load_b128 v[6:9], v1 offset:1616
	v_fma_f64 v[44:45], v[165:166], v[14:15], v[44:45]
	v_fma_f64 v[14:15], v[163:164], v[14:15], -v[16:17]
	s_wait_loadcnt_dscnt 0x501
	v_mul_f64_e32 v[159:160], v[2:3], v[20:21]
	v_mul_f64_e32 v[20:21], v[4:5], v[20:21]
	s_wait_loadcnt_dscnt 0x400
	v_mul_f64_e32 v[16:17], v[6:7], v[24:25]
	v_mul_f64_e32 v[24:25], v[8:9], v[24:25]
	v_add_f64_e32 v[10:11], v[12:13], v[10:11]
	v_add_f64_e32 v[12:13], v[38:39], v[157:158]
	v_fma_f64 v[38:39], v[4:5], v[18:19], v[159:160]
	v_fma_f64 v[18:19], v[2:3], v[18:19], -v[20:21]
	v_fma_f64 v[8:9], v[8:9], v[22:23], v[16:17]
	v_fma_f64 v[6:7], v[6:7], v[22:23], -v[24:25]
	v_add_f64_e32 v[14:15], v[10:11], v[14:15]
	v_add_f64_e32 v[20:21], v[12:13], v[44:45]
	ds_load_b128 v[2:5], v1 offset:1632
	ds_load_b128 v[10:13], v1 offset:1648
	s_wait_loadcnt_dscnt 0x301
	v_mul_f64_e32 v[44:45], v[2:3], v[28:29]
	v_mul_f64_e32 v[28:29], v[4:5], v[28:29]
	v_add_f64_e32 v[14:15], v[14:15], v[18:19]
	v_add_f64_e32 v[16:17], v[20:21], v[38:39]
	s_wait_loadcnt_dscnt 0x200
	v_mul_f64_e32 v[18:19], v[10:11], v[32:33]
	v_mul_f64_e32 v[20:21], v[12:13], v[32:33]
	v_fma_f64 v[22:23], v[4:5], v[26:27], v[44:45]
	v_fma_f64 v[24:25], v[2:3], v[26:27], -v[28:29]
	v_add_f64_e32 v[14:15], v[14:15], v[6:7]
	v_add_f64_e32 v[16:17], v[16:17], v[8:9]
	ds_load_b128 v[2:5], v1 offset:1664
	ds_load_b128 v[6:9], v1 offset:1680
	v_fma_f64 v[12:13], v[12:13], v[30:31], v[18:19]
	v_fma_f64 v[10:11], v[10:11], v[30:31], -v[20:21]
	s_wait_loadcnt_dscnt 0x101
	v_mul_f64_e32 v[26:27], v[2:3], v[36:37]
	v_mul_f64_e32 v[28:29], v[4:5], v[36:37]
	s_wait_loadcnt_dscnt 0x0
	v_mul_f64_e32 v[18:19], v[6:7], v[42:43]
	v_add_f64_e32 v[14:15], v[14:15], v[24:25]
	v_add_f64_e32 v[16:17], v[16:17], v[22:23]
	v_mul_f64_e32 v[20:21], v[8:9], v[42:43]
	v_fma_f64 v[4:5], v[4:5], v[34:35], v[26:27]
	v_fma_f64 v[1:2], v[2:3], v[34:35], -v[28:29]
	v_fma_f64 v[8:9], v[8:9], v[40:41], v[18:19]
	v_add_f64_e32 v[10:11], v[14:15], v[10:11]
	v_add_f64_e32 v[12:13], v[16:17], v[12:13]
	v_fma_f64 v[6:7], v[6:7], v[40:41], -v[20:21]
	s_delay_alu instid0(VALU_DEP_3) | instskip(NEXT) | instid1(VALU_DEP_3)
	v_add_f64_e32 v[1:2], v[10:11], v[1:2]
	v_add_f64_e32 v[3:4], v[12:13], v[4:5]
	s_delay_alu instid0(VALU_DEP_2) | instskip(NEXT) | instid1(VALU_DEP_2)
	v_add_f64_e32 v[1:2], v[1:2], v[6:7]
	v_add_f64_e32 v[3:4], v[3:4], v[8:9]
	s_delay_alu instid0(VALU_DEP_2) | instskip(NEXT) | instid1(VALU_DEP_2)
	v_add_f64_e64 v[1:2], v[153:154], -v[1:2]
	v_add_f64_e64 v[3:4], v[155:156], -v[3:4]
	scratch_store_b128 off, v[1:4], off offset:528
	v_cmpx_lt_u32_e32 31, v0
	s_cbranch_execz .LBB116_269
; %bb.268:
	scratch_load_b128 v[1:4], off, s35
	v_mov_b32_e32 v5, 0
	s_delay_alu instid0(VALU_DEP_1)
	v_dual_mov_b32 v6, v5 :: v_dual_mov_b32 v7, v5
	v_mov_b32_e32 v8, v5
	scratch_store_b128 off, v[5:8], off offset:512
	s_wait_loadcnt 0x0
	ds_store_b128 v152, v[1:4]
.LBB116_269:
	s_wait_alu 0xfffe
	s_or_b32 exec_lo, exec_lo, s0
	s_wait_storecnt_dscnt 0x0
	s_barrier_signal -1
	s_barrier_wait -1
	global_inv scope:SCOPE_SE
	s_clause 0x7
	scratch_load_b128 v[2:5], off, off offset:528
	scratch_load_b128 v[6:9], off, off offset:544
	;; [unrolled: 1-line block ×8, first 2 shown]
	v_mov_b32_e32 v1, 0
	s_mov_b32 s0, exec_lo
	ds_load_b128 v[34:37], v1 offset:1360
	s_clause 0x1
	scratch_load_b128 v[38:41], off, off offset:656
	scratch_load_b128 v[42:45], off, off offset:512
	ds_load_b128 v[153:156], v1 offset:1376
	scratch_load_b128 v[157:160], off, off offset:672
	s_wait_loadcnt_dscnt 0xa01
	v_mul_f64_e32 v[161:162], v[36:37], v[4:5]
	v_mul_f64_e32 v[4:5], v[34:35], v[4:5]
	s_delay_alu instid0(VALU_DEP_2) | instskip(NEXT) | instid1(VALU_DEP_2)
	v_fma_f64 v[167:168], v[34:35], v[2:3], -v[161:162]
	v_fma_f64 v[169:170], v[36:37], v[2:3], v[4:5]
	ds_load_b128 v[2:5], v1 offset:1392
	s_wait_loadcnt_dscnt 0x901
	v_mul_f64_e32 v[165:166], v[153:154], v[8:9]
	v_mul_f64_e32 v[8:9], v[155:156], v[8:9]
	scratch_load_b128 v[34:37], off, off offset:688
	ds_load_b128 v[161:164], v1 offset:1408
	s_wait_loadcnt_dscnt 0x901
	v_mul_f64_e32 v[171:172], v[2:3], v[12:13]
	v_mul_f64_e32 v[12:13], v[4:5], v[12:13]
	v_fma_f64 v[155:156], v[155:156], v[6:7], v[165:166]
	v_fma_f64 v[153:154], v[153:154], v[6:7], -v[8:9]
	v_add_f64_e32 v[165:166], 0, v[167:168]
	v_add_f64_e32 v[167:168], 0, v[169:170]
	scratch_load_b128 v[6:9], off, off offset:704
	v_fma_f64 v[171:172], v[4:5], v[10:11], v[171:172]
	v_fma_f64 v[173:174], v[2:3], v[10:11], -v[12:13]
	ds_load_b128 v[2:5], v1 offset:1424
	s_wait_loadcnt_dscnt 0x901
	v_mul_f64_e32 v[169:170], v[161:162], v[16:17]
	v_mul_f64_e32 v[16:17], v[163:164], v[16:17]
	scratch_load_b128 v[10:13], off, off offset:720
	v_add_f64_e32 v[165:166], v[165:166], v[153:154]
	v_add_f64_e32 v[167:168], v[167:168], v[155:156]
	s_wait_loadcnt_dscnt 0x900
	v_mul_f64_e32 v[175:176], v[2:3], v[20:21]
	v_mul_f64_e32 v[20:21], v[4:5], v[20:21]
	ds_load_b128 v[153:156], v1 offset:1440
	v_fma_f64 v[163:164], v[163:164], v[14:15], v[169:170]
	v_fma_f64 v[161:162], v[161:162], v[14:15], -v[16:17]
	scratch_load_b128 v[14:17], off, off offset:736
	v_add_f64_e32 v[165:166], v[165:166], v[173:174]
	v_add_f64_e32 v[167:168], v[167:168], v[171:172]
	v_fma_f64 v[171:172], v[4:5], v[18:19], v[175:176]
	v_fma_f64 v[173:174], v[2:3], v[18:19], -v[20:21]
	ds_load_b128 v[2:5], v1 offset:1456
	s_wait_loadcnt_dscnt 0x901
	v_mul_f64_e32 v[169:170], v[153:154], v[24:25]
	v_mul_f64_e32 v[24:25], v[155:156], v[24:25]
	scratch_load_b128 v[18:21], off, off offset:752
	s_wait_loadcnt_dscnt 0x900
	v_mul_f64_e32 v[175:176], v[2:3], v[28:29]
	v_mul_f64_e32 v[28:29], v[4:5], v[28:29]
	v_add_f64_e32 v[165:166], v[165:166], v[161:162]
	v_add_f64_e32 v[167:168], v[167:168], v[163:164]
	ds_load_b128 v[161:164], v1 offset:1472
	v_fma_f64 v[155:156], v[155:156], v[22:23], v[169:170]
	v_fma_f64 v[153:154], v[153:154], v[22:23], -v[24:25]
	scratch_load_b128 v[22:25], off, off offset:768
	v_add_f64_e32 v[165:166], v[165:166], v[173:174]
	v_add_f64_e32 v[167:168], v[167:168], v[171:172]
	v_fma_f64 v[171:172], v[4:5], v[26:27], v[175:176]
	v_fma_f64 v[173:174], v[2:3], v[26:27], -v[28:29]
	ds_load_b128 v[2:5], v1 offset:1488
	s_wait_loadcnt_dscnt 0x901
	v_mul_f64_e32 v[169:170], v[161:162], v[32:33]
	v_mul_f64_e32 v[32:33], v[163:164], v[32:33]
	scratch_load_b128 v[26:29], off, off offset:784
	s_wait_loadcnt_dscnt 0x900
	v_mul_f64_e32 v[175:176], v[2:3], v[40:41]
	v_mul_f64_e32 v[40:41], v[4:5], v[40:41]
	v_add_f64_e32 v[165:166], v[165:166], v[153:154]
	v_add_f64_e32 v[167:168], v[167:168], v[155:156]
	ds_load_b128 v[153:156], v1 offset:1504
	v_fma_f64 v[163:164], v[163:164], v[30:31], v[169:170]
	v_fma_f64 v[161:162], v[161:162], v[30:31], -v[32:33]
	scratch_load_b128 v[30:33], off, off offset:800
	v_add_f64_e32 v[165:166], v[165:166], v[173:174]
	v_add_f64_e32 v[167:168], v[167:168], v[171:172]
	v_fma_f64 v[173:174], v[4:5], v[38:39], v[175:176]
	v_fma_f64 v[175:176], v[2:3], v[38:39], -v[40:41]
	ds_load_b128 v[2:5], v1 offset:1520
	s_wait_loadcnt_dscnt 0x801
	v_mul_f64_e32 v[169:170], v[153:154], v[159:160]
	v_mul_f64_e32 v[171:172], v[155:156], v[159:160]
	scratch_load_b128 v[38:41], off, off offset:816
	v_add_f64_e32 v[165:166], v[165:166], v[161:162]
	v_add_f64_e32 v[163:164], v[167:168], v[163:164]
	ds_load_b128 v[159:162], v1 offset:1536
	v_fma_f64 v[169:170], v[155:156], v[157:158], v[169:170]
	v_fma_f64 v[157:158], v[153:154], v[157:158], -v[171:172]
	scratch_load_b128 v[153:156], off, off offset:832
	s_wait_loadcnt_dscnt 0x901
	v_mul_f64_e32 v[167:168], v[2:3], v[36:37]
	v_mul_f64_e32 v[36:37], v[4:5], v[36:37]
	v_add_f64_e32 v[165:166], v[165:166], v[175:176]
	v_add_f64_e32 v[163:164], v[163:164], v[173:174]
	s_delay_alu instid0(VALU_DEP_4) | instskip(NEXT) | instid1(VALU_DEP_4)
	v_fma_f64 v[167:168], v[4:5], v[34:35], v[167:168]
	v_fma_f64 v[173:174], v[2:3], v[34:35], -v[36:37]
	ds_load_b128 v[2:5], v1 offset:1552
	s_wait_loadcnt_dscnt 0x801
	v_mul_f64_e32 v[171:172], v[159:160], v[8:9]
	v_mul_f64_e32 v[8:9], v[161:162], v[8:9]
	scratch_load_b128 v[34:37], off, off offset:848
	s_wait_loadcnt_dscnt 0x800
	v_mul_f64_e32 v[175:176], v[2:3], v[12:13]
	v_add_f64_e32 v[157:158], v[165:166], v[157:158]
	v_add_f64_e32 v[169:170], v[163:164], v[169:170]
	v_mul_f64_e32 v[12:13], v[4:5], v[12:13]
	ds_load_b128 v[163:166], v1 offset:1568
	v_fma_f64 v[161:162], v[161:162], v[6:7], v[171:172]
	v_fma_f64 v[6:7], v[159:160], v[6:7], -v[8:9]
	s_wait_loadcnt_dscnt 0x700
	v_mul_f64_e32 v[159:160], v[163:164], v[16:17]
	v_add_f64_e32 v[8:9], v[157:158], v[173:174]
	v_add_f64_e32 v[157:158], v[169:170], v[167:168]
	v_mul_f64_e32 v[16:17], v[165:166], v[16:17]
	v_fma_f64 v[167:168], v[4:5], v[10:11], v[175:176]
	v_fma_f64 v[10:11], v[2:3], v[10:11], -v[12:13]
	v_fma_f64 v[159:160], v[165:166], v[14:15], v[159:160]
	v_add_f64_e32 v[12:13], v[8:9], v[6:7]
	v_add_f64_e32 v[157:158], v[157:158], v[161:162]
	ds_load_b128 v[2:5], v1 offset:1584
	ds_load_b128 v[6:9], v1 offset:1600
	v_fma_f64 v[14:15], v[163:164], v[14:15], -v[16:17]
	s_wait_loadcnt_dscnt 0x601
	v_mul_f64_e32 v[161:162], v[2:3], v[20:21]
	v_mul_f64_e32 v[20:21], v[4:5], v[20:21]
	s_wait_loadcnt_dscnt 0x500
	v_mul_f64_e32 v[16:17], v[6:7], v[24:25]
	v_mul_f64_e32 v[24:25], v[8:9], v[24:25]
	v_add_f64_e32 v[10:11], v[12:13], v[10:11]
	v_add_f64_e32 v[12:13], v[157:158], v[167:168]
	v_fma_f64 v[157:158], v[4:5], v[18:19], v[161:162]
	v_fma_f64 v[18:19], v[2:3], v[18:19], -v[20:21]
	v_fma_f64 v[8:9], v[8:9], v[22:23], v[16:17]
	v_fma_f64 v[6:7], v[6:7], v[22:23], -v[24:25]
	v_add_f64_e32 v[14:15], v[10:11], v[14:15]
	v_add_f64_e32 v[20:21], v[12:13], v[159:160]
	ds_load_b128 v[2:5], v1 offset:1616
	ds_load_b128 v[10:13], v1 offset:1632
	s_wait_loadcnt_dscnt 0x401
	v_mul_f64_e32 v[159:160], v[2:3], v[28:29]
	v_mul_f64_e32 v[28:29], v[4:5], v[28:29]
	v_add_f64_e32 v[14:15], v[14:15], v[18:19]
	v_add_f64_e32 v[16:17], v[20:21], v[157:158]
	s_wait_loadcnt_dscnt 0x300
	v_mul_f64_e32 v[18:19], v[10:11], v[32:33]
	v_mul_f64_e32 v[20:21], v[12:13], v[32:33]
	v_fma_f64 v[22:23], v[4:5], v[26:27], v[159:160]
	v_fma_f64 v[24:25], v[2:3], v[26:27], -v[28:29]
	v_add_f64_e32 v[14:15], v[14:15], v[6:7]
	v_add_f64_e32 v[16:17], v[16:17], v[8:9]
	ds_load_b128 v[2:5], v1 offset:1648
	ds_load_b128 v[6:9], v1 offset:1664
	v_fma_f64 v[12:13], v[12:13], v[30:31], v[18:19]
	v_fma_f64 v[10:11], v[10:11], v[30:31], -v[20:21]
	s_wait_loadcnt_dscnt 0x201
	v_mul_f64_e32 v[26:27], v[2:3], v[40:41]
	v_mul_f64_e32 v[28:29], v[4:5], v[40:41]
	s_wait_loadcnt_dscnt 0x100
	v_mul_f64_e32 v[18:19], v[6:7], v[155:156]
	v_mul_f64_e32 v[20:21], v[8:9], v[155:156]
	v_add_f64_e32 v[14:15], v[14:15], v[24:25]
	v_add_f64_e32 v[16:17], v[16:17], v[22:23]
	v_fma_f64 v[22:23], v[4:5], v[38:39], v[26:27]
	v_fma_f64 v[24:25], v[2:3], v[38:39], -v[28:29]
	ds_load_b128 v[2:5], v1 offset:1680
	v_fma_f64 v[8:9], v[8:9], v[153:154], v[18:19]
	v_fma_f64 v[6:7], v[6:7], v[153:154], -v[20:21]
	v_add_f64_e32 v[10:11], v[14:15], v[10:11]
	v_add_f64_e32 v[12:13], v[16:17], v[12:13]
	s_wait_loadcnt_dscnt 0x0
	v_mul_f64_e32 v[14:15], v[2:3], v[36:37]
	v_mul_f64_e32 v[16:17], v[4:5], v[36:37]
	s_delay_alu instid0(VALU_DEP_4) | instskip(NEXT) | instid1(VALU_DEP_4)
	v_add_f64_e32 v[10:11], v[10:11], v[24:25]
	v_add_f64_e32 v[12:13], v[12:13], v[22:23]
	s_delay_alu instid0(VALU_DEP_4) | instskip(NEXT) | instid1(VALU_DEP_4)
	v_fma_f64 v[4:5], v[4:5], v[34:35], v[14:15]
	v_fma_f64 v[2:3], v[2:3], v[34:35], -v[16:17]
	s_delay_alu instid0(VALU_DEP_4) | instskip(NEXT) | instid1(VALU_DEP_4)
	v_add_f64_e32 v[6:7], v[10:11], v[6:7]
	v_add_f64_e32 v[8:9], v[12:13], v[8:9]
	s_delay_alu instid0(VALU_DEP_2) | instskip(NEXT) | instid1(VALU_DEP_2)
	v_add_f64_e32 v[2:3], v[6:7], v[2:3]
	v_add_f64_e32 v[4:5], v[8:9], v[4:5]
	s_delay_alu instid0(VALU_DEP_2) | instskip(NEXT) | instid1(VALU_DEP_2)
	v_add_f64_e64 v[2:3], v[42:43], -v[2:3]
	v_add_f64_e64 v[4:5], v[44:45], -v[4:5]
	scratch_store_b128 off, v[2:5], off offset:512
	v_cmpx_lt_u32_e32 30, v0
	s_cbranch_execz .LBB116_271
; %bb.270:
	scratch_load_b128 v[5:8], off, s36
	v_dual_mov_b32 v2, v1 :: v_dual_mov_b32 v3, v1
	v_mov_b32_e32 v4, v1
	scratch_store_b128 off, v[1:4], off offset:496
	s_wait_loadcnt 0x0
	ds_store_b128 v152, v[5:8]
.LBB116_271:
	s_wait_alu 0xfffe
	s_or_b32 exec_lo, exec_lo, s0
	s_wait_storecnt_dscnt 0x0
	s_barrier_signal -1
	s_barrier_wait -1
	global_inv scope:SCOPE_SE
	s_clause 0x8
	scratch_load_b128 v[2:5], off, off offset:512
	scratch_load_b128 v[6:9], off, off offset:528
	;; [unrolled: 1-line block ×9, first 2 shown]
	ds_load_b128 v[38:41], v1 offset:1344
	ds_load_b128 v[42:45], v1 offset:1360
	s_clause 0x1
	scratch_load_b128 v[153:156], off, off offset:496
	scratch_load_b128 v[157:160], off, off offset:656
	s_mov_b32 s0, exec_lo
	s_wait_loadcnt_dscnt 0xa01
	v_mul_f64_e32 v[161:162], v[40:41], v[4:5]
	v_mul_f64_e32 v[4:5], v[38:39], v[4:5]
	s_wait_loadcnt_dscnt 0x900
	v_mul_f64_e32 v[165:166], v[42:43], v[8:9]
	v_mul_f64_e32 v[8:9], v[44:45], v[8:9]
	s_delay_alu instid0(VALU_DEP_4) | instskip(NEXT) | instid1(VALU_DEP_4)
	v_fma_f64 v[167:168], v[38:39], v[2:3], -v[161:162]
	v_fma_f64 v[169:170], v[40:41], v[2:3], v[4:5]
	ds_load_b128 v[2:5], v1 offset:1376
	ds_load_b128 v[161:164], v1 offset:1392
	scratch_load_b128 v[38:41], off, off offset:672
	v_fma_f64 v[44:45], v[44:45], v[6:7], v[165:166]
	v_fma_f64 v[42:43], v[42:43], v[6:7], -v[8:9]
	scratch_load_b128 v[6:9], off, off offset:688
	s_wait_loadcnt_dscnt 0xa01
	v_mul_f64_e32 v[171:172], v[2:3], v[12:13]
	v_mul_f64_e32 v[12:13], v[4:5], v[12:13]
	v_add_f64_e32 v[165:166], 0, v[167:168]
	v_add_f64_e32 v[167:168], 0, v[169:170]
	s_wait_loadcnt_dscnt 0x900
	v_mul_f64_e32 v[169:170], v[161:162], v[16:17]
	v_mul_f64_e32 v[16:17], v[163:164], v[16:17]
	v_fma_f64 v[171:172], v[4:5], v[10:11], v[171:172]
	v_fma_f64 v[173:174], v[2:3], v[10:11], -v[12:13]
	ds_load_b128 v[2:5], v1 offset:1408
	scratch_load_b128 v[10:13], off, off offset:704
	v_add_f64_e32 v[165:166], v[165:166], v[42:43]
	v_add_f64_e32 v[167:168], v[167:168], v[44:45]
	ds_load_b128 v[42:45], v1 offset:1424
	v_fma_f64 v[163:164], v[163:164], v[14:15], v[169:170]
	v_fma_f64 v[161:162], v[161:162], v[14:15], -v[16:17]
	scratch_load_b128 v[14:17], off, off offset:720
	s_wait_loadcnt_dscnt 0xa01
	v_mul_f64_e32 v[175:176], v[2:3], v[20:21]
	v_mul_f64_e32 v[20:21], v[4:5], v[20:21]
	s_wait_loadcnt_dscnt 0x900
	v_mul_f64_e32 v[169:170], v[42:43], v[24:25]
	v_mul_f64_e32 v[24:25], v[44:45], v[24:25]
	v_add_f64_e32 v[165:166], v[165:166], v[173:174]
	v_add_f64_e32 v[167:168], v[167:168], v[171:172]
	v_fma_f64 v[171:172], v[4:5], v[18:19], v[175:176]
	v_fma_f64 v[173:174], v[2:3], v[18:19], -v[20:21]
	ds_load_b128 v[2:5], v1 offset:1440
	scratch_load_b128 v[18:21], off, off offset:736
	v_fma_f64 v[44:45], v[44:45], v[22:23], v[169:170]
	v_fma_f64 v[42:43], v[42:43], v[22:23], -v[24:25]
	scratch_load_b128 v[22:25], off, off offset:752
	v_add_f64_e32 v[165:166], v[165:166], v[161:162]
	v_add_f64_e32 v[167:168], v[167:168], v[163:164]
	ds_load_b128 v[161:164], v1 offset:1456
	s_wait_loadcnt_dscnt 0xa01
	v_mul_f64_e32 v[175:176], v[2:3], v[28:29]
	v_mul_f64_e32 v[28:29], v[4:5], v[28:29]
	s_wait_loadcnt_dscnt 0x900
	v_mul_f64_e32 v[169:170], v[161:162], v[32:33]
	v_mul_f64_e32 v[32:33], v[163:164], v[32:33]
	v_add_f64_e32 v[165:166], v[165:166], v[173:174]
	v_add_f64_e32 v[167:168], v[167:168], v[171:172]
	v_fma_f64 v[171:172], v[4:5], v[26:27], v[175:176]
	v_fma_f64 v[173:174], v[2:3], v[26:27], -v[28:29]
	ds_load_b128 v[2:5], v1 offset:1472
	scratch_load_b128 v[26:29], off, off offset:768
	v_fma_f64 v[163:164], v[163:164], v[30:31], v[169:170]
	v_fma_f64 v[161:162], v[161:162], v[30:31], -v[32:33]
	scratch_load_b128 v[30:33], off, off offset:784
	v_add_f64_e32 v[165:166], v[165:166], v[42:43]
	v_add_f64_e32 v[167:168], v[167:168], v[44:45]
	ds_load_b128 v[42:45], v1 offset:1488
	s_wait_loadcnt_dscnt 0xa01
	v_mul_f64_e32 v[175:176], v[2:3], v[36:37]
	v_mul_f64_e32 v[36:37], v[4:5], v[36:37]
	s_wait_loadcnt_dscnt 0x800
	v_mul_f64_e32 v[169:170], v[42:43], v[159:160]
	v_add_f64_e32 v[165:166], v[165:166], v[173:174]
	v_add_f64_e32 v[167:168], v[167:168], v[171:172]
	v_mul_f64_e32 v[171:172], v[44:45], v[159:160]
	v_fma_f64 v[173:174], v[4:5], v[34:35], v[175:176]
	v_fma_f64 v[175:176], v[2:3], v[34:35], -v[36:37]
	ds_load_b128 v[2:5], v1 offset:1504
	scratch_load_b128 v[34:37], off, off offset:800
	v_fma_f64 v[44:45], v[44:45], v[157:158], v[169:170]
	v_add_f64_e32 v[165:166], v[165:166], v[161:162]
	v_add_f64_e32 v[163:164], v[167:168], v[163:164]
	ds_load_b128 v[159:162], v1 offset:1520
	v_fma_f64 v[157:158], v[42:43], v[157:158], -v[171:172]
	s_wait_loadcnt_dscnt 0x801
	v_mul_f64_e32 v[167:168], v[2:3], v[40:41]
	v_mul_f64_e32 v[177:178], v[4:5], v[40:41]
	scratch_load_b128 v[40:43], off, off offset:816
	s_wait_loadcnt_dscnt 0x800
	v_mul_f64_e32 v[171:172], v[159:160], v[8:9]
	v_mul_f64_e32 v[8:9], v[161:162], v[8:9]
	v_add_f64_e32 v[165:166], v[165:166], v[175:176]
	v_add_f64_e32 v[163:164], v[163:164], v[173:174]
	v_fma_f64 v[173:174], v[4:5], v[38:39], v[167:168]
	v_fma_f64 v[38:39], v[2:3], v[38:39], -v[177:178]
	ds_load_b128 v[2:5], v1 offset:1536
	ds_load_b128 v[167:170], v1 offset:1552
	v_fma_f64 v[161:162], v[161:162], v[6:7], v[171:172]
	v_fma_f64 v[159:160], v[159:160], v[6:7], -v[8:9]
	scratch_load_b128 v[6:9], off, off offset:848
	v_add_f64_e32 v[157:158], v[165:166], v[157:158]
	v_add_f64_e32 v[44:45], v[163:164], v[44:45]
	scratch_load_b128 v[163:166], off, off offset:832
	s_wait_loadcnt_dscnt 0x901
	v_mul_f64_e32 v[175:176], v[2:3], v[12:13]
	v_mul_f64_e32 v[12:13], v[4:5], v[12:13]
	v_add_f64_e32 v[38:39], v[157:158], v[38:39]
	v_add_f64_e32 v[44:45], v[44:45], v[173:174]
	s_wait_loadcnt_dscnt 0x800
	v_mul_f64_e32 v[157:158], v[167:168], v[16:17]
	v_mul_f64_e32 v[16:17], v[169:170], v[16:17]
	v_fma_f64 v[171:172], v[4:5], v[10:11], v[175:176]
	v_fma_f64 v[173:174], v[2:3], v[10:11], -v[12:13]
	ds_load_b128 v[2:5], v1 offset:1568
	ds_load_b128 v[10:13], v1 offset:1584
	v_add_f64_e32 v[38:39], v[38:39], v[159:160]
	v_add_f64_e32 v[44:45], v[44:45], v[161:162]
	s_wait_loadcnt_dscnt 0x701
	v_mul_f64_e32 v[159:160], v[2:3], v[20:21]
	v_mul_f64_e32 v[20:21], v[4:5], v[20:21]
	v_fma_f64 v[157:158], v[169:170], v[14:15], v[157:158]
	v_fma_f64 v[14:15], v[167:168], v[14:15], -v[16:17]
	v_add_f64_e32 v[16:17], v[38:39], v[173:174]
	v_add_f64_e32 v[38:39], v[44:45], v[171:172]
	s_wait_loadcnt_dscnt 0x600
	v_mul_f64_e32 v[44:45], v[10:11], v[24:25]
	v_mul_f64_e32 v[24:25], v[12:13], v[24:25]
	v_fma_f64 v[159:160], v[4:5], v[18:19], v[159:160]
	v_fma_f64 v[18:19], v[2:3], v[18:19], -v[20:21]
	v_add_f64_e32 v[20:21], v[16:17], v[14:15]
	v_add_f64_e32 v[38:39], v[38:39], v[157:158]
	ds_load_b128 v[2:5], v1 offset:1600
	ds_load_b128 v[14:17], v1 offset:1616
	v_fma_f64 v[12:13], v[12:13], v[22:23], v[44:45]
	v_fma_f64 v[10:11], v[10:11], v[22:23], -v[24:25]
	s_wait_loadcnt_dscnt 0x501
	v_mul_f64_e32 v[157:158], v[2:3], v[28:29]
	v_mul_f64_e32 v[28:29], v[4:5], v[28:29]
	s_wait_loadcnt_dscnt 0x400
	v_mul_f64_e32 v[22:23], v[14:15], v[32:33]
	v_mul_f64_e32 v[24:25], v[16:17], v[32:33]
	v_add_f64_e32 v[18:19], v[20:21], v[18:19]
	v_add_f64_e32 v[20:21], v[38:39], v[159:160]
	v_fma_f64 v[32:33], v[4:5], v[26:27], v[157:158]
	v_fma_f64 v[26:27], v[2:3], v[26:27], -v[28:29]
	v_fma_f64 v[16:17], v[16:17], v[30:31], v[22:23]
	v_fma_f64 v[14:15], v[14:15], v[30:31], -v[24:25]
	v_add_f64_e32 v[18:19], v[18:19], v[10:11]
	v_add_f64_e32 v[20:21], v[20:21], v[12:13]
	ds_load_b128 v[2:5], v1 offset:1632
	ds_load_b128 v[10:13], v1 offset:1648
	s_wait_loadcnt_dscnt 0x301
	v_mul_f64_e32 v[28:29], v[2:3], v[36:37]
	v_mul_f64_e32 v[36:37], v[4:5], v[36:37]
	s_wait_loadcnt_dscnt 0x200
	v_mul_f64_e32 v[22:23], v[10:11], v[42:43]
	v_add_f64_e32 v[18:19], v[18:19], v[26:27]
	v_add_f64_e32 v[20:21], v[20:21], v[32:33]
	v_mul_f64_e32 v[24:25], v[12:13], v[42:43]
	v_fma_f64 v[26:27], v[4:5], v[34:35], v[28:29]
	v_fma_f64 v[28:29], v[2:3], v[34:35], -v[36:37]
	v_fma_f64 v[12:13], v[12:13], v[40:41], v[22:23]
	v_add_f64_e32 v[18:19], v[18:19], v[14:15]
	v_add_f64_e32 v[20:21], v[20:21], v[16:17]
	ds_load_b128 v[2:5], v1 offset:1664
	ds_load_b128 v[14:17], v1 offset:1680
	v_fma_f64 v[10:11], v[10:11], v[40:41], -v[24:25]
	s_wait_loadcnt_dscnt 0x1
	v_mul_f64_e32 v[30:31], v[2:3], v[165:166]
	v_mul_f64_e32 v[32:33], v[4:5], v[165:166]
	s_wait_dscnt 0x0
	v_mul_f64_e32 v[22:23], v[14:15], v[8:9]
	v_mul_f64_e32 v[8:9], v[16:17], v[8:9]
	v_add_f64_e32 v[18:19], v[18:19], v[28:29]
	v_add_f64_e32 v[20:21], v[20:21], v[26:27]
	v_fma_f64 v[4:5], v[4:5], v[163:164], v[30:31]
	v_fma_f64 v[1:2], v[2:3], v[163:164], -v[32:33]
	v_fma_f64 v[16:17], v[16:17], v[6:7], v[22:23]
	v_fma_f64 v[6:7], v[14:15], v[6:7], -v[8:9]
	v_add_f64_e32 v[10:11], v[18:19], v[10:11]
	v_add_f64_e32 v[12:13], v[20:21], v[12:13]
	s_delay_alu instid0(VALU_DEP_2) | instskip(NEXT) | instid1(VALU_DEP_2)
	v_add_f64_e32 v[1:2], v[10:11], v[1:2]
	v_add_f64_e32 v[3:4], v[12:13], v[4:5]
	s_delay_alu instid0(VALU_DEP_2) | instskip(NEXT) | instid1(VALU_DEP_2)
	;; [unrolled: 3-line block ×3, first 2 shown]
	v_add_f64_e64 v[1:2], v[153:154], -v[1:2]
	v_add_f64_e64 v[3:4], v[155:156], -v[3:4]
	scratch_store_b128 off, v[1:4], off offset:496
	v_cmpx_lt_u32_e32 29, v0
	s_cbranch_execz .LBB116_273
; %bb.272:
	scratch_load_b128 v[1:4], off, s37
	v_mov_b32_e32 v5, 0
	s_delay_alu instid0(VALU_DEP_1)
	v_dual_mov_b32 v6, v5 :: v_dual_mov_b32 v7, v5
	v_mov_b32_e32 v8, v5
	scratch_store_b128 off, v[5:8], off offset:480
	s_wait_loadcnt 0x0
	ds_store_b128 v152, v[1:4]
.LBB116_273:
	s_wait_alu 0xfffe
	s_or_b32 exec_lo, exec_lo, s0
	s_wait_storecnt_dscnt 0x0
	s_barrier_signal -1
	s_barrier_wait -1
	global_inv scope:SCOPE_SE
	s_clause 0x7
	scratch_load_b128 v[2:5], off, off offset:496
	scratch_load_b128 v[6:9], off, off offset:512
	;; [unrolled: 1-line block ×8, first 2 shown]
	v_mov_b32_e32 v1, 0
	s_mov_b32 s0, exec_lo
	ds_load_b128 v[34:37], v1 offset:1328
	s_clause 0x1
	scratch_load_b128 v[38:41], off, off offset:624
	scratch_load_b128 v[42:45], off, off offset:480
	ds_load_b128 v[153:156], v1 offset:1344
	scratch_load_b128 v[157:160], off, off offset:640
	s_wait_loadcnt_dscnt 0xa01
	v_mul_f64_e32 v[161:162], v[36:37], v[4:5]
	v_mul_f64_e32 v[4:5], v[34:35], v[4:5]
	s_delay_alu instid0(VALU_DEP_2) | instskip(NEXT) | instid1(VALU_DEP_2)
	v_fma_f64 v[167:168], v[34:35], v[2:3], -v[161:162]
	v_fma_f64 v[169:170], v[36:37], v[2:3], v[4:5]
	ds_load_b128 v[2:5], v1 offset:1360
	s_wait_loadcnt_dscnt 0x901
	v_mul_f64_e32 v[165:166], v[153:154], v[8:9]
	v_mul_f64_e32 v[8:9], v[155:156], v[8:9]
	scratch_load_b128 v[34:37], off, off offset:656
	ds_load_b128 v[161:164], v1 offset:1376
	s_wait_loadcnt_dscnt 0x901
	v_mul_f64_e32 v[171:172], v[2:3], v[12:13]
	v_mul_f64_e32 v[12:13], v[4:5], v[12:13]
	v_fma_f64 v[155:156], v[155:156], v[6:7], v[165:166]
	v_fma_f64 v[153:154], v[153:154], v[6:7], -v[8:9]
	v_add_f64_e32 v[165:166], 0, v[167:168]
	v_add_f64_e32 v[167:168], 0, v[169:170]
	scratch_load_b128 v[6:9], off, off offset:672
	v_fma_f64 v[171:172], v[4:5], v[10:11], v[171:172]
	v_fma_f64 v[173:174], v[2:3], v[10:11], -v[12:13]
	ds_load_b128 v[2:5], v1 offset:1392
	s_wait_loadcnt_dscnt 0x901
	v_mul_f64_e32 v[169:170], v[161:162], v[16:17]
	v_mul_f64_e32 v[16:17], v[163:164], v[16:17]
	scratch_load_b128 v[10:13], off, off offset:688
	v_add_f64_e32 v[165:166], v[165:166], v[153:154]
	v_add_f64_e32 v[167:168], v[167:168], v[155:156]
	s_wait_loadcnt_dscnt 0x900
	v_mul_f64_e32 v[175:176], v[2:3], v[20:21]
	v_mul_f64_e32 v[20:21], v[4:5], v[20:21]
	ds_load_b128 v[153:156], v1 offset:1408
	v_fma_f64 v[163:164], v[163:164], v[14:15], v[169:170]
	v_fma_f64 v[161:162], v[161:162], v[14:15], -v[16:17]
	scratch_load_b128 v[14:17], off, off offset:704
	v_add_f64_e32 v[165:166], v[165:166], v[173:174]
	v_add_f64_e32 v[167:168], v[167:168], v[171:172]
	v_fma_f64 v[171:172], v[4:5], v[18:19], v[175:176]
	v_fma_f64 v[173:174], v[2:3], v[18:19], -v[20:21]
	ds_load_b128 v[2:5], v1 offset:1424
	s_wait_loadcnt_dscnt 0x901
	v_mul_f64_e32 v[169:170], v[153:154], v[24:25]
	v_mul_f64_e32 v[24:25], v[155:156], v[24:25]
	scratch_load_b128 v[18:21], off, off offset:720
	s_wait_loadcnt_dscnt 0x900
	v_mul_f64_e32 v[175:176], v[2:3], v[28:29]
	v_mul_f64_e32 v[28:29], v[4:5], v[28:29]
	v_add_f64_e32 v[165:166], v[165:166], v[161:162]
	v_add_f64_e32 v[167:168], v[167:168], v[163:164]
	ds_load_b128 v[161:164], v1 offset:1440
	v_fma_f64 v[155:156], v[155:156], v[22:23], v[169:170]
	v_fma_f64 v[153:154], v[153:154], v[22:23], -v[24:25]
	scratch_load_b128 v[22:25], off, off offset:736
	v_add_f64_e32 v[165:166], v[165:166], v[173:174]
	v_add_f64_e32 v[167:168], v[167:168], v[171:172]
	v_fma_f64 v[171:172], v[4:5], v[26:27], v[175:176]
	v_fma_f64 v[173:174], v[2:3], v[26:27], -v[28:29]
	ds_load_b128 v[2:5], v1 offset:1456
	s_wait_loadcnt_dscnt 0x901
	v_mul_f64_e32 v[169:170], v[161:162], v[32:33]
	v_mul_f64_e32 v[32:33], v[163:164], v[32:33]
	scratch_load_b128 v[26:29], off, off offset:752
	s_wait_loadcnt_dscnt 0x900
	v_mul_f64_e32 v[175:176], v[2:3], v[40:41]
	v_mul_f64_e32 v[40:41], v[4:5], v[40:41]
	v_add_f64_e32 v[165:166], v[165:166], v[153:154]
	v_add_f64_e32 v[167:168], v[167:168], v[155:156]
	ds_load_b128 v[153:156], v1 offset:1472
	v_fma_f64 v[163:164], v[163:164], v[30:31], v[169:170]
	v_fma_f64 v[161:162], v[161:162], v[30:31], -v[32:33]
	scratch_load_b128 v[30:33], off, off offset:768
	v_add_f64_e32 v[165:166], v[165:166], v[173:174]
	v_add_f64_e32 v[167:168], v[167:168], v[171:172]
	v_fma_f64 v[173:174], v[4:5], v[38:39], v[175:176]
	v_fma_f64 v[175:176], v[2:3], v[38:39], -v[40:41]
	ds_load_b128 v[2:5], v1 offset:1488
	s_wait_loadcnt_dscnt 0x801
	v_mul_f64_e32 v[169:170], v[153:154], v[159:160]
	v_mul_f64_e32 v[171:172], v[155:156], v[159:160]
	scratch_load_b128 v[38:41], off, off offset:784
	v_add_f64_e32 v[165:166], v[165:166], v[161:162]
	v_add_f64_e32 v[163:164], v[167:168], v[163:164]
	ds_load_b128 v[159:162], v1 offset:1504
	v_fma_f64 v[169:170], v[155:156], v[157:158], v[169:170]
	v_fma_f64 v[157:158], v[153:154], v[157:158], -v[171:172]
	scratch_load_b128 v[153:156], off, off offset:800
	s_wait_loadcnt_dscnt 0x901
	v_mul_f64_e32 v[167:168], v[2:3], v[36:37]
	v_mul_f64_e32 v[36:37], v[4:5], v[36:37]
	v_add_f64_e32 v[165:166], v[165:166], v[175:176]
	v_add_f64_e32 v[163:164], v[163:164], v[173:174]
	s_delay_alu instid0(VALU_DEP_4) | instskip(NEXT) | instid1(VALU_DEP_4)
	v_fma_f64 v[167:168], v[4:5], v[34:35], v[167:168]
	v_fma_f64 v[173:174], v[2:3], v[34:35], -v[36:37]
	ds_load_b128 v[2:5], v1 offset:1520
	s_wait_loadcnt_dscnt 0x801
	v_mul_f64_e32 v[171:172], v[159:160], v[8:9]
	v_mul_f64_e32 v[8:9], v[161:162], v[8:9]
	scratch_load_b128 v[34:37], off, off offset:816
	s_wait_loadcnt_dscnt 0x800
	v_mul_f64_e32 v[175:176], v[2:3], v[12:13]
	v_add_f64_e32 v[157:158], v[165:166], v[157:158]
	v_add_f64_e32 v[169:170], v[163:164], v[169:170]
	v_mul_f64_e32 v[12:13], v[4:5], v[12:13]
	ds_load_b128 v[163:166], v1 offset:1536
	v_fma_f64 v[161:162], v[161:162], v[6:7], v[171:172]
	v_fma_f64 v[159:160], v[159:160], v[6:7], -v[8:9]
	scratch_load_b128 v[6:9], off, off offset:832
	v_fma_f64 v[171:172], v[4:5], v[10:11], v[175:176]
	v_add_f64_e32 v[157:158], v[157:158], v[173:174]
	v_add_f64_e32 v[167:168], v[169:170], v[167:168]
	v_fma_f64 v[173:174], v[2:3], v[10:11], -v[12:13]
	ds_load_b128 v[2:5], v1 offset:1552
	s_wait_loadcnt_dscnt 0x801
	v_mul_f64_e32 v[169:170], v[163:164], v[16:17]
	v_mul_f64_e32 v[16:17], v[165:166], v[16:17]
	scratch_load_b128 v[10:13], off, off offset:848
	v_add_f64_e32 v[175:176], v[157:158], v[159:160]
	v_add_f64_e32 v[161:162], v[167:168], v[161:162]
	s_wait_loadcnt_dscnt 0x800
	v_mul_f64_e32 v[167:168], v[2:3], v[20:21]
	v_mul_f64_e32 v[20:21], v[4:5], v[20:21]
	v_fma_f64 v[165:166], v[165:166], v[14:15], v[169:170]
	v_fma_f64 v[14:15], v[163:164], v[14:15], -v[16:17]
	ds_load_b128 v[157:160], v1 offset:1568
	s_wait_loadcnt_dscnt 0x700
	v_mul_f64_e32 v[163:164], v[157:158], v[24:25]
	v_mul_f64_e32 v[24:25], v[159:160], v[24:25]
	v_add_f64_e32 v[16:17], v[175:176], v[173:174]
	v_add_f64_e32 v[161:162], v[161:162], v[171:172]
	v_fma_f64 v[167:168], v[4:5], v[18:19], v[167:168]
	v_fma_f64 v[18:19], v[2:3], v[18:19], -v[20:21]
	v_fma_f64 v[159:160], v[159:160], v[22:23], v[163:164]
	v_fma_f64 v[22:23], v[157:158], v[22:23], -v[24:25]
	v_add_f64_e32 v[20:21], v[16:17], v[14:15]
	v_add_f64_e32 v[161:162], v[161:162], v[165:166]
	ds_load_b128 v[2:5], v1 offset:1584
	ds_load_b128 v[14:17], v1 offset:1600
	s_wait_loadcnt_dscnt 0x601
	v_mul_f64_e32 v[165:166], v[2:3], v[28:29]
	v_mul_f64_e32 v[28:29], v[4:5], v[28:29]
	s_wait_loadcnt_dscnt 0x500
	v_mul_f64_e32 v[24:25], v[14:15], v[32:33]
	v_mul_f64_e32 v[32:33], v[16:17], v[32:33]
	v_add_f64_e32 v[18:19], v[20:21], v[18:19]
	v_add_f64_e32 v[20:21], v[161:162], v[167:168]
	v_fma_f64 v[157:158], v[4:5], v[26:27], v[165:166]
	v_fma_f64 v[26:27], v[2:3], v[26:27], -v[28:29]
	v_fma_f64 v[16:17], v[16:17], v[30:31], v[24:25]
	v_fma_f64 v[14:15], v[14:15], v[30:31], -v[32:33]
	v_add_f64_e32 v[22:23], v[18:19], v[22:23]
	v_add_f64_e32 v[28:29], v[20:21], v[159:160]
	ds_load_b128 v[2:5], v1 offset:1616
	ds_load_b128 v[18:21], v1 offset:1632
	s_wait_loadcnt_dscnt 0x401
	v_mul_f64_e32 v[159:160], v[2:3], v[40:41]
	v_mul_f64_e32 v[40:41], v[4:5], v[40:41]
	v_add_f64_e32 v[22:23], v[22:23], v[26:27]
	v_add_f64_e32 v[24:25], v[28:29], v[157:158]
	s_wait_loadcnt_dscnt 0x300
	v_mul_f64_e32 v[26:27], v[18:19], v[155:156]
	v_mul_f64_e32 v[28:29], v[20:21], v[155:156]
	v_fma_f64 v[30:31], v[4:5], v[38:39], v[159:160]
	v_fma_f64 v[32:33], v[2:3], v[38:39], -v[40:41]
	v_add_f64_e32 v[22:23], v[22:23], v[14:15]
	v_add_f64_e32 v[24:25], v[24:25], v[16:17]
	ds_load_b128 v[2:5], v1 offset:1648
	ds_load_b128 v[14:17], v1 offset:1664
	v_fma_f64 v[20:21], v[20:21], v[153:154], v[26:27]
	v_fma_f64 v[18:19], v[18:19], v[153:154], -v[28:29]
	s_wait_loadcnt_dscnt 0x201
	v_mul_f64_e32 v[38:39], v[2:3], v[36:37]
	v_mul_f64_e32 v[36:37], v[4:5], v[36:37]
	s_wait_loadcnt_dscnt 0x100
	v_mul_f64_e32 v[26:27], v[14:15], v[8:9]
	v_mul_f64_e32 v[8:9], v[16:17], v[8:9]
	v_add_f64_e32 v[22:23], v[22:23], v[32:33]
	v_add_f64_e32 v[24:25], v[24:25], v[30:31]
	v_fma_f64 v[28:29], v[4:5], v[34:35], v[38:39]
	v_fma_f64 v[30:31], v[2:3], v[34:35], -v[36:37]
	ds_load_b128 v[2:5], v1 offset:1680
	v_fma_f64 v[16:17], v[16:17], v[6:7], v[26:27]
	v_fma_f64 v[6:7], v[14:15], v[6:7], -v[8:9]
	v_add_f64_e32 v[18:19], v[22:23], v[18:19]
	v_add_f64_e32 v[20:21], v[24:25], v[20:21]
	s_wait_loadcnt_dscnt 0x0
	v_mul_f64_e32 v[22:23], v[2:3], v[12:13]
	v_mul_f64_e32 v[12:13], v[4:5], v[12:13]
	s_delay_alu instid0(VALU_DEP_4) | instskip(NEXT) | instid1(VALU_DEP_4)
	v_add_f64_e32 v[8:9], v[18:19], v[30:31]
	v_add_f64_e32 v[14:15], v[20:21], v[28:29]
	s_delay_alu instid0(VALU_DEP_4) | instskip(NEXT) | instid1(VALU_DEP_4)
	v_fma_f64 v[4:5], v[4:5], v[10:11], v[22:23]
	v_fma_f64 v[2:3], v[2:3], v[10:11], -v[12:13]
	s_delay_alu instid0(VALU_DEP_4) | instskip(NEXT) | instid1(VALU_DEP_4)
	v_add_f64_e32 v[6:7], v[8:9], v[6:7]
	v_add_f64_e32 v[8:9], v[14:15], v[16:17]
	s_delay_alu instid0(VALU_DEP_2) | instskip(NEXT) | instid1(VALU_DEP_2)
	v_add_f64_e32 v[2:3], v[6:7], v[2:3]
	v_add_f64_e32 v[4:5], v[8:9], v[4:5]
	s_delay_alu instid0(VALU_DEP_2) | instskip(NEXT) | instid1(VALU_DEP_2)
	v_add_f64_e64 v[2:3], v[42:43], -v[2:3]
	v_add_f64_e64 v[4:5], v[44:45], -v[4:5]
	scratch_store_b128 off, v[2:5], off offset:480
	v_cmpx_lt_u32_e32 28, v0
	s_cbranch_execz .LBB116_275
; %bb.274:
	scratch_load_b128 v[5:8], off, s38
	v_dual_mov_b32 v2, v1 :: v_dual_mov_b32 v3, v1
	v_mov_b32_e32 v4, v1
	scratch_store_b128 off, v[1:4], off offset:464
	s_wait_loadcnt 0x0
	ds_store_b128 v152, v[5:8]
.LBB116_275:
	s_wait_alu 0xfffe
	s_or_b32 exec_lo, exec_lo, s0
	s_wait_storecnt_dscnt 0x0
	s_barrier_signal -1
	s_barrier_wait -1
	global_inv scope:SCOPE_SE
	s_clause 0x8
	scratch_load_b128 v[2:5], off, off offset:480
	scratch_load_b128 v[6:9], off, off offset:496
	scratch_load_b128 v[10:13], off, off offset:512
	scratch_load_b128 v[14:17], off, off offset:528
	scratch_load_b128 v[18:21], off, off offset:544
	scratch_load_b128 v[22:25], off, off offset:560
	scratch_load_b128 v[26:29], off, off offset:576
	scratch_load_b128 v[30:33], off, off offset:592
	scratch_load_b128 v[34:37], off, off offset:608
	ds_load_b128 v[38:41], v1 offset:1312
	ds_load_b128 v[42:45], v1 offset:1328
	s_clause 0x1
	scratch_load_b128 v[153:156], off, off offset:464
	scratch_load_b128 v[157:160], off, off offset:624
	s_mov_b32 s0, exec_lo
	s_wait_loadcnt_dscnt 0xa01
	v_mul_f64_e32 v[161:162], v[40:41], v[4:5]
	v_mul_f64_e32 v[4:5], v[38:39], v[4:5]
	s_wait_loadcnt_dscnt 0x900
	v_mul_f64_e32 v[165:166], v[42:43], v[8:9]
	v_mul_f64_e32 v[8:9], v[44:45], v[8:9]
	s_delay_alu instid0(VALU_DEP_4) | instskip(NEXT) | instid1(VALU_DEP_4)
	v_fma_f64 v[167:168], v[38:39], v[2:3], -v[161:162]
	v_fma_f64 v[169:170], v[40:41], v[2:3], v[4:5]
	ds_load_b128 v[2:5], v1 offset:1344
	ds_load_b128 v[161:164], v1 offset:1360
	scratch_load_b128 v[38:41], off, off offset:640
	v_fma_f64 v[44:45], v[44:45], v[6:7], v[165:166]
	v_fma_f64 v[42:43], v[42:43], v[6:7], -v[8:9]
	scratch_load_b128 v[6:9], off, off offset:656
	s_wait_loadcnt_dscnt 0xa01
	v_mul_f64_e32 v[171:172], v[2:3], v[12:13]
	v_mul_f64_e32 v[12:13], v[4:5], v[12:13]
	v_add_f64_e32 v[165:166], 0, v[167:168]
	v_add_f64_e32 v[167:168], 0, v[169:170]
	s_wait_loadcnt_dscnt 0x900
	v_mul_f64_e32 v[169:170], v[161:162], v[16:17]
	v_mul_f64_e32 v[16:17], v[163:164], v[16:17]
	v_fma_f64 v[171:172], v[4:5], v[10:11], v[171:172]
	v_fma_f64 v[173:174], v[2:3], v[10:11], -v[12:13]
	ds_load_b128 v[2:5], v1 offset:1376
	scratch_load_b128 v[10:13], off, off offset:672
	v_add_f64_e32 v[165:166], v[165:166], v[42:43]
	v_add_f64_e32 v[167:168], v[167:168], v[44:45]
	ds_load_b128 v[42:45], v1 offset:1392
	v_fma_f64 v[163:164], v[163:164], v[14:15], v[169:170]
	v_fma_f64 v[161:162], v[161:162], v[14:15], -v[16:17]
	scratch_load_b128 v[14:17], off, off offset:688
	s_wait_loadcnt_dscnt 0xa01
	v_mul_f64_e32 v[175:176], v[2:3], v[20:21]
	v_mul_f64_e32 v[20:21], v[4:5], v[20:21]
	s_wait_loadcnt_dscnt 0x900
	v_mul_f64_e32 v[169:170], v[42:43], v[24:25]
	v_mul_f64_e32 v[24:25], v[44:45], v[24:25]
	v_add_f64_e32 v[165:166], v[165:166], v[173:174]
	v_add_f64_e32 v[167:168], v[167:168], v[171:172]
	v_fma_f64 v[171:172], v[4:5], v[18:19], v[175:176]
	v_fma_f64 v[173:174], v[2:3], v[18:19], -v[20:21]
	ds_load_b128 v[2:5], v1 offset:1408
	scratch_load_b128 v[18:21], off, off offset:704
	v_fma_f64 v[44:45], v[44:45], v[22:23], v[169:170]
	v_fma_f64 v[42:43], v[42:43], v[22:23], -v[24:25]
	scratch_load_b128 v[22:25], off, off offset:720
	v_add_f64_e32 v[165:166], v[165:166], v[161:162]
	v_add_f64_e32 v[167:168], v[167:168], v[163:164]
	ds_load_b128 v[161:164], v1 offset:1424
	s_wait_loadcnt_dscnt 0xa01
	v_mul_f64_e32 v[175:176], v[2:3], v[28:29]
	v_mul_f64_e32 v[28:29], v[4:5], v[28:29]
	s_wait_loadcnt_dscnt 0x900
	v_mul_f64_e32 v[169:170], v[161:162], v[32:33]
	v_mul_f64_e32 v[32:33], v[163:164], v[32:33]
	v_add_f64_e32 v[165:166], v[165:166], v[173:174]
	v_add_f64_e32 v[167:168], v[167:168], v[171:172]
	v_fma_f64 v[171:172], v[4:5], v[26:27], v[175:176]
	v_fma_f64 v[173:174], v[2:3], v[26:27], -v[28:29]
	ds_load_b128 v[2:5], v1 offset:1440
	scratch_load_b128 v[26:29], off, off offset:736
	v_fma_f64 v[163:164], v[163:164], v[30:31], v[169:170]
	v_fma_f64 v[161:162], v[161:162], v[30:31], -v[32:33]
	scratch_load_b128 v[30:33], off, off offset:752
	v_add_f64_e32 v[165:166], v[165:166], v[42:43]
	v_add_f64_e32 v[167:168], v[167:168], v[44:45]
	ds_load_b128 v[42:45], v1 offset:1456
	s_wait_loadcnt_dscnt 0xa01
	v_mul_f64_e32 v[175:176], v[2:3], v[36:37]
	v_mul_f64_e32 v[36:37], v[4:5], v[36:37]
	s_wait_loadcnt_dscnt 0x800
	v_mul_f64_e32 v[169:170], v[42:43], v[159:160]
	v_add_f64_e32 v[165:166], v[165:166], v[173:174]
	v_add_f64_e32 v[167:168], v[167:168], v[171:172]
	v_mul_f64_e32 v[171:172], v[44:45], v[159:160]
	v_fma_f64 v[173:174], v[4:5], v[34:35], v[175:176]
	v_fma_f64 v[175:176], v[2:3], v[34:35], -v[36:37]
	ds_load_b128 v[2:5], v1 offset:1472
	scratch_load_b128 v[34:37], off, off offset:768
	v_fma_f64 v[44:45], v[44:45], v[157:158], v[169:170]
	v_add_f64_e32 v[165:166], v[165:166], v[161:162]
	v_add_f64_e32 v[163:164], v[167:168], v[163:164]
	ds_load_b128 v[159:162], v1 offset:1488
	v_fma_f64 v[157:158], v[42:43], v[157:158], -v[171:172]
	s_wait_loadcnt_dscnt 0x801
	v_mul_f64_e32 v[167:168], v[2:3], v[40:41]
	v_mul_f64_e32 v[177:178], v[4:5], v[40:41]
	scratch_load_b128 v[40:43], off, off offset:784
	s_wait_loadcnt_dscnt 0x800
	v_mul_f64_e32 v[171:172], v[159:160], v[8:9]
	v_mul_f64_e32 v[8:9], v[161:162], v[8:9]
	v_add_f64_e32 v[165:166], v[165:166], v[175:176]
	v_add_f64_e32 v[163:164], v[163:164], v[173:174]
	v_fma_f64 v[173:174], v[4:5], v[38:39], v[167:168]
	v_fma_f64 v[38:39], v[2:3], v[38:39], -v[177:178]
	ds_load_b128 v[2:5], v1 offset:1504
	ds_load_b128 v[167:170], v1 offset:1520
	v_fma_f64 v[161:162], v[161:162], v[6:7], v[171:172]
	v_fma_f64 v[159:160], v[159:160], v[6:7], -v[8:9]
	scratch_load_b128 v[6:9], off, off offset:816
	v_add_f64_e32 v[157:158], v[165:166], v[157:158]
	v_add_f64_e32 v[44:45], v[163:164], v[44:45]
	scratch_load_b128 v[163:166], off, off offset:800
	s_wait_loadcnt_dscnt 0x901
	v_mul_f64_e32 v[175:176], v[2:3], v[12:13]
	v_mul_f64_e32 v[12:13], v[4:5], v[12:13]
	s_wait_loadcnt_dscnt 0x800
	v_mul_f64_e32 v[171:172], v[167:168], v[16:17]
	v_mul_f64_e32 v[16:17], v[169:170], v[16:17]
	v_add_f64_e32 v[38:39], v[157:158], v[38:39]
	v_add_f64_e32 v[44:45], v[44:45], v[173:174]
	v_fma_f64 v[173:174], v[4:5], v[10:11], v[175:176]
	v_fma_f64 v[175:176], v[2:3], v[10:11], -v[12:13]
	ds_load_b128 v[2:5], v1 offset:1536
	scratch_load_b128 v[10:13], off, off offset:832
	v_fma_f64 v[169:170], v[169:170], v[14:15], v[171:172]
	v_fma_f64 v[167:168], v[167:168], v[14:15], -v[16:17]
	scratch_load_b128 v[14:17], off, off offset:848
	v_add_f64_e32 v[38:39], v[38:39], v[159:160]
	v_add_f64_e32 v[44:45], v[44:45], v[161:162]
	ds_load_b128 v[157:160], v1 offset:1552
	s_wait_loadcnt_dscnt 0x901
	v_mul_f64_e32 v[161:162], v[2:3], v[20:21]
	v_mul_f64_e32 v[20:21], v[4:5], v[20:21]
	s_wait_loadcnt_dscnt 0x800
	v_mul_f64_e32 v[171:172], v[157:158], v[24:25]
	v_mul_f64_e32 v[24:25], v[159:160], v[24:25]
	v_add_f64_e32 v[38:39], v[38:39], v[175:176]
	v_add_f64_e32 v[44:45], v[44:45], v[173:174]
	v_fma_f64 v[161:162], v[4:5], v[18:19], v[161:162]
	v_fma_f64 v[173:174], v[2:3], v[18:19], -v[20:21]
	ds_load_b128 v[2:5], v1 offset:1568
	ds_load_b128 v[18:21], v1 offset:1584
	v_fma_f64 v[159:160], v[159:160], v[22:23], v[171:172]
	v_fma_f64 v[22:23], v[157:158], v[22:23], -v[24:25]
	v_add_f64_e32 v[38:39], v[38:39], v[167:168]
	v_add_f64_e32 v[44:45], v[44:45], v[169:170]
	s_wait_loadcnt_dscnt 0x701
	v_mul_f64_e32 v[167:168], v[2:3], v[28:29]
	v_mul_f64_e32 v[28:29], v[4:5], v[28:29]
	s_delay_alu instid0(VALU_DEP_4) | instskip(NEXT) | instid1(VALU_DEP_4)
	v_add_f64_e32 v[24:25], v[38:39], v[173:174]
	v_add_f64_e32 v[38:39], v[44:45], v[161:162]
	s_wait_loadcnt_dscnt 0x600
	v_mul_f64_e32 v[44:45], v[18:19], v[32:33]
	v_mul_f64_e32 v[32:33], v[20:21], v[32:33]
	v_fma_f64 v[157:158], v[4:5], v[26:27], v[167:168]
	v_fma_f64 v[26:27], v[2:3], v[26:27], -v[28:29]
	v_add_f64_e32 v[28:29], v[24:25], v[22:23]
	v_add_f64_e32 v[38:39], v[38:39], v[159:160]
	ds_load_b128 v[2:5], v1 offset:1600
	ds_load_b128 v[22:25], v1 offset:1616
	v_fma_f64 v[20:21], v[20:21], v[30:31], v[44:45]
	v_fma_f64 v[18:19], v[18:19], v[30:31], -v[32:33]
	s_wait_loadcnt_dscnt 0x501
	v_mul_f64_e32 v[159:160], v[2:3], v[36:37]
	v_mul_f64_e32 v[36:37], v[4:5], v[36:37]
	s_wait_loadcnt_dscnt 0x400
	v_mul_f64_e32 v[30:31], v[22:23], v[42:43]
	v_add_f64_e32 v[26:27], v[28:29], v[26:27]
	v_add_f64_e32 v[28:29], v[38:39], v[157:158]
	v_mul_f64_e32 v[32:33], v[24:25], v[42:43]
	v_fma_f64 v[38:39], v[4:5], v[34:35], v[159:160]
	v_fma_f64 v[34:35], v[2:3], v[34:35], -v[36:37]
	v_fma_f64 v[24:25], v[24:25], v[40:41], v[30:31]
	v_add_f64_e32 v[26:27], v[26:27], v[18:19]
	v_add_f64_e32 v[28:29], v[28:29], v[20:21]
	ds_load_b128 v[2:5], v1 offset:1632
	ds_load_b128 v[18:21], v1 offset:1648
	v_fma_f64 v[22:23], v[22:23], v[40:41], -v[32:33]
	s_wait_loadcnt_dscnt 0x201
	v_mul_f64_e32 v[36:37], v[2:3], v[165:166]
	v_mul_f64_e32 v[42:43], v[4:5], v[165:166]
	s_wait_dscnt 0x0
	v_mul_f64_e32 v[30:31], v[18:19], v[8:9]
	v_mul_f64_e32 v[8:9], v[20:21], v[8:9]
	v_add_f64_e32 v[26:27], v[26:27], v[34:35]
	v_add_f64_e32 v[28:29], v[28:29], v[38:39]
	v_fma_f64 v[32:33], v[4:5], v[163:164], v[36:37]
	v_fma_f64 v[34:35], v[2:3], v[163:164], -v[42:43]
	v_fma_f64 v[20:21], v[20:21], v[6:7], v[30:31]
	v_fma_f64 v[6:7], v[18:19], v[6:7], -v[8:9]
	v_add_f64_e32 v[26:27], v[26:27], v[22:23]
	v_add_f64_e32 v[28:29], v[28:29], v[24:25]
	ds_load_b128 v[2:5], v1 offset:1664
	ds_load_b128 v[22:25], v1 offset:1680
	s_wait_loadcnt_dscnt 0x101
	v_mul_f64_e32 v[36:37], v[2:3], v[12:13]
	v_mul_f64_e32 v[12:13], v[4:5], v[12:13]
	v_add_f64_e32 v[8:9], v[26:27], v[34:35]
	v_add_f64_e32 v[18:19], v[28:29], v[32:33]
	s_wait_loadcnt_dscnt 0x0
	v_mul_f64_e32 v[26:27], v[22:23], v[16:17]
	v_mul_f64_e32 v[16:17], v[24:25], v[16:17]
	v_fma_f64 v[4:5], v[4:5], v[10:11], v[36:37]
	v_fma_f64 v[1:2], v[2:3], v[10:11], -v[12:13]
	v_add_f64_e32 v[6:7], v[8:9], v[6:7]
	v_add_f64_e32 v[8:9], v[18:19], v[20:21]
	v_fma_f64 v[10:11], v[24:25], v[14:15], v[26:27]
	v_fma_f64 v[12:13], v[22:23], v[14:15], -v[16:17]
	s_delay_alu instid0(VALU_DEP_4) | instskip(NEXT) | instid1(VALU_DEP_4)
	v_add_f64_e32 v[1:2], v[6:7], v[1:2]
	v_add_f64_e32 v[3:4], v[8:9], v[4:5]
	s_delay_alu instid0(VALU_DEP_2) | instskip(NEXT) | instid1(VALU_DEP_2)
	v_add_f64_e32 v[1:2], v[1:2], v[12:13]
	v_add_f64_e32 v[3:4], v[3:4], v[10:11]
	s_delay_alu instid0(VALU_DEP_2) | instskip(NEXT) | instid1(VALU_DEP_2)
	v_add_f64_e64 v[1:2], v[153:154], -v[1:2]
	v_add_f64_e64 v[3:4], v[155:156], -v[3:4]
	scratch_store_b128 off, v[1:4], off offset:464
	v_cmpx_lt_u32_e32 27, v0
	s_cbranch_execz .LBB116_277
; %bb.276:
	scratch_load_b128 v[1:4], off, s39
	v_mov_b32_e32 v5, 0
	s_delay_alu instid0(VALU_DEP_1)
	v_dual_mov_b32 v6, v5 :: v_dual_mov_b32 v7, v5
	v_mov_b32_e32 v8, v5
	scratch_store_b128 off, v[5:8], off offset:448
	s_wait_loadcnt 0x0
	ds_store_b128 v152, v[1:4]
.LBB116_277:
	s_wait_alu 0xfffe
	s_or_b32 exec_lo, exec_lo, s0
	s_wait_storecnt_dscnt 0x0
	s_barrier_signal -1
	s_barrier_wait -1
	global_inv scope:SCOPE_SE
	s_clause 0x7
	scratch_load_b128 v[2:5], off, off offset:464
	scratch_load_b128 v[6:9], off, off offset:480
	;; [unrolled: 1-line block ×8, first 2 shown]
	v_mov_b32_e32 v1, 0
	s_mov_b32 s0, exec_lo
	ds_load_b128 v[34:37], v1 offset:1296
	s_clause 0x1
	scratch_load_b128 v[38:41], off, off offset:592
	scratch_load_b128 v[42:45], off, off offset:448
	ds_load_b128 v[153:156], v1 offset:1312
	scratch_load_b128 v[157:160], off, off offset:608
	s_wait_loadcnt_dscnt 0xa01
	v_mul_f64_e32 v[161:162], v[36:37], v[4:5]
	v_mul_f64_e32 v[4:5], v[34:35], v[4:5]
	s_delay_alu instid0(VALU_DEP_2) | instskip(NEXT) | instid1(VALU_DEP_2)
	v_fma_f64 v[167:168], v[34:35], v[2:3], -v[161:162]
	v_fma_f64 v[169:170], v[36:37], v[2:3], v[4:5]
	ds_load_b128 v[2:5], v1 offset:1328
	s_wait_loadcnt_dscnt 0x901
	v_mul_f64_e32 v[165:166], v[153:154], v[8:9]
	v_mul_f64_e32 v[8:9], v[155:156], v[8:9]
	scratch_load_b128 v[34:37], off, off offset:624
	ds_load_b128 v[161:164], v1 offset:1344
	s_wait_loadcnt_dscnt 0x901
	v_mul_f64_e32 v[171:172], v[2:3], v[12:13]
	v_mul_f64_e32 v[12:13], v[4:5], v[12:13]
	v_fma_f64 v[155:156], v[155:156], v[6:7], v[165:166]
	v_fma_f64 v[153:154], v[153:154], v[6:7], -v[8:9]
	v_add_f64_e32 v[165:166], 0, v[167:168]
	v_add_f64_e32 v[167:168], 0, v[169:170]
	scratch_load_b128 v[6:9], off, off offset:640
	v_fma_f64 v[171:172], v[4:5], v[10:11], v[171:172]
	v_fma_f64 v[173:174], v[2:3], v[10:11], -v[12:13]
	ds_load_b128 v[2:5], v1 offset:1360
	s_wait_loadcnt_dscnt 0x901
	v_mul_f64_e32 v[169:170], v[161:162], v[16:17]
	v_mul_f64_e32 v[16:17], v[163:164], v[16:17]
	scratch_load_b128 v[10:13], off, off offset:656
	v_add_f64_e32 v[165:166], v[165:166], v[153:154]
	v_add_f64_e32 v[167:168], v[167:168], v[155:156]
	s_wait_loadcnt_dscnt 0x900
	v_mul_f64_e32 v[175:176], v[2:3], v[20:21]
	v_mul_f64_e32 v[20:21], v[4:5], v[20:21]
	ds_load_b128 v[153:156], v1 offset:1376
	v_fma_f64 v[163:164], v[163:164], v[14:15], v[169:170]
	v_fma_f64 v[161:162], v[161:162], v[14:15], -v[16:17]
	scratch_load_b128 v[14:17], off, off offset:672
	v_add_f64_e32 v[165:166], v[165:166], v[173:174]
	v_add_f64_e32 v[167:168], v[167:168], v[171:172]
	v_fma_f64 v[171:172], v[4:5], v[18:19], v[175:176]
	v_fma_f64 v[173:174], v[2:3], v[18:19], -v[20:21]
	ds_load_b128 v[2:5], v1 offset:1392
	s_wait_loadcnt_dscnt 0x901
	v_mul_f64_e32 v[169:170], v[153:154], v[24:25]
	v_mul_f64_e32 v[24:25], v[155:156], v[24:25]
	scratch_load_b128 v[18:21], off, off offset:688
	s_wait_loadcnt_dscnt 0x900
	v_mul_f64_e32 v[175:176], v[2:3], v[28:29]
	v_mul_f64_e32 v[28:29], v[4:5], v[28:29]
	v_add_f64_e32 v[165:166], v[165:166], v[161:162]
	v_add_f64_e32 v[167:168], v[167:168], v[163:164]
	ds_load_b128 v[161:164], v1 offset:1408
	v_fma_f64 v[155:156], v[155:156], v[22:23], v[169:170]
	v_fma_f64 v[153:154], v[153:154], v[22:23], -v[24:25]
	scratch_load_b128 v[22:25], off, off offset:704
	v_add_f64_e32 v[165:166], v[165:166], v[173:174]
	v_add_f64_e32 v[167:168], v[167:168], v[171:172]
	v_fma_f64 v[171:172], v[4:5], v[26:27], v[175:176]
	v_fma_f64 v[173:174], v[2:3], v[26:27], -v[28:29]
	ds_load_b128 v[2:5], v1 offset:1424
	s_wait_loadcnt_dscnt 0x901
	v_mul_f64_e32 v[169:170], v[161:162], v[32:33]
	v_mul_f64_e32 v[32:33], v[163:164], v[32:33]
	scratch_load_b128 v[26:29], off, off offset:720
	s_wait_loadcnt_dscnt 0x900
	v_mul_f64_e32 v[175:176], v[2:3], v[40:41]
	v_mul_f64_e32 v[40:41], v[4:5], v[40:41]
	v_add_f64_e32 v[165:166], v[165:166], v[153:154]
	v_add_f64_e32 v[167:168], v[167:168], v[155:156]
	ds_load_b128 v[153:156], v1 offset:1440
	v_fma_f64 v[163:164], v[163:164], v[30:31], v[169:170]
	v_fma_f64 v[161:162], v[161:162], v[30:31], -v[32:33]
	scratch_load_b128 v[30:33], off, off offset:736
	v_add_f64_e32 v[165:166], v[165:166], v[173:174]
	v_add_f64_e32 v[167:168], v[167:168], v[171:172]
	v_fma_f64 v[173:174], v[4:5], v[38:39], v[175:176]
	v_fma_f64 v[175:176], v[2:3], v[38:39], -v[40:41]
	ds_load_b128 v[2:5], v1 offset:1456
	s_wait_loadcnt_dscnt 0x801
	v_mul_f64_e32 v[169:170], v[153:154], v[159:160]
	v_mul_f64_e32 v[171:172], v[155:156], v[159:160]
	scratch_load_b128 v[38:41], off, off offset:752
	v_add_f64_e32 v[165:166], v[165:166], v[161:162]
	v_add_f64_e32 v[163:164], v[167:168], v[163:164]
	ds_load_b128 v[159:162], v1 offset:1472
	v_fma_f64 v[169:170], v[155:156], v[157:158], v[169:170]
	v_fma_f64 v[157:158], v[153:154], v[157:158], -v[171:172]
	scratch_load_b128 v[153:156], off, off offset:768
	s_wait_loadcnt_dscnt 0x901
	v_mul_f64_e32 v[167:168], v[2:3], v[36:37]
	v_mul_f64_e32 v[36:37], v[4:5], v[36:37]
	v_add_f64_e32 v[165:166], v[165:166], v[175:176]
	v_add_f64_e32 v[163:164], v[163:164], v[173:174]
	s_delay_alu instid0(VALU_DEP_4) | instskip(NEXT) | instid1(VALU_DEP_4)
	v_fma_f64 v[167:168], v[4:5], v[34:35], v[167:168]
	v_fma_f64 v[173:174], v[2:3], v[34:35], -v[36:37]
	ds_load_b128 v[2:5], v1 offset:1488
	s_wait_loadcnt_dscnt 0x801
	v_mul_f64_e32 v[171:172], v[159:160], v[8:9]
	v_mul_f64_e32 v[8:9], v[161:162], v[8:9]
	scratch_load_b128 v[34:37], off, off offset:784
	s_wait_loadcnt_dscnt 0x800
	v_mul_f64_e32 v[175:176], v[2:3], v[12:13]
	v_add_f64_e32 v[157:158], v[165:166], v[157:158]
	v_add_f64_e32 v[169:170], v[163:164], v[169:170]
	v_mul_f64_e32 v[12:13], v[4:5], v[12:13]
	ds_load_b128 v[163:166], v1 offset:1504
	v_fma_f64 v[161:162], v[161:162], v[6:7], v[171:172]
	v_fma_f64 v[159:160], v[159:160], v[6:7], -v[8:9]
	scratch_load_b128 v[6:9], off, off offset:800
	v_fma_f64 v[171:172], v[4:5], v[10:11], v[175:176]
	v_add_f64_e32 v[157:158], v[157:158], v[173:174]
	v_add_f64_e32 v[167:168], v[169:170], v[167:168]
	v_fma_f64 v[173:174], v[2:3], v[10:11], -v[12:13]
	ds_load_b128 v[2:5], v1 offset:1520
	s_wait_loadcnt_dscnt 0x801
	v_mul_f64_e32 v[169:170], v[163:164], v[16:17]
	v_mul_f64_e32 v[16:17], v[165:166], v[16:17]
	scratch_load_b128 v[10:13], off, off offset:816
	v_add_f64_e32 v[175:176], v[157:158], v[159:160]
	v_add_f64_e32 v[161:162], v[167:168], v[161:162]
	s_wait_loadcnt_dscnt 0x800
	v_mul_f64_e32 v[167:168], v[2:3], v[20:21]
	v_mul_f64_e32 v[20:21], v[4:5], v[20:21]
	v_fma_f64 v[165:166], v[165:166], v[14:15], v[169:170]
	v_fma_f64 v[163:164], v[163:164], v[14:15], -v[16:17]
	ds_load_b128 v[157:160], v1 offset:1536
	scratch_load_b128 v[14:17], off, off offset:832
	v_add_f64_e32 v[169:170], v[175:176], v[173:174]
	v_add_f64_e32 v[161:162], v[161:162], v[171:172]
	v_fma_f64 v[167:168], v[4:5], v[18:19], v[167:168]
	v_fma_f64 v[173:174], v[2:3], v[18:19], -v[20:21]
	ds_load_b128 v[2:5], v1 offset:1552
	s_wait_loadcnt_dscnt 0x801
	v_mul_f64_e32 v[171:172], v[157:158], v[24:25]
	v_mul_f64_e32 v[24:25], v[159:160], v[24:25]
	scratch_load_b128 v[18:21], off, off offset:848
	s_wait_loadcnt_dscnt 0x800
	v_mul_f64_e32 v[175:176], v[2:3], v[28:29]
	v_mul_f64_e32 v[28:29], v[4:5], v[28:29]
	v_add_f64_e32 v[169:170], v[169:170], v[163:164]
	v_add_f64_e32 v[165:166], v[161:162], v[165:166]
	ds_load_b128 v[161:164], v1 offset:1568
	v_fma_f64 v[159:160], v[159:160], v[22:23], v[171:172]
	v_fma_f64 v[22:23], v[157:158], v[22:23], -v[24:25]
	v_add_f64_e32 v[24:25], v[169:170], v[173:174]
	v_add_f64_e32 v[157:158], v[165:166], v[167:168]
	s_wait_loadcnt_dscnt 0x700
	v_mul_f64_e32 v[165:166], v[161:162], v[32:33]
	v_mul_f64_e32 v[32:33], v[163:164], v[32:33]
	v_fma_f64 v[167:168], v[4:5], v[26:27], v[175:176]
	v_fma_f64 v[26:27], v[2:3], v[26:27], -v[28:29]
	v_add_f64_e32 v[28:29], v[24:25], v[22:23]
	v_add_f64_e32 v[157:158], v[157:158], v[159:160]
	ds_load_b128 v[2:5], v1 offset:1584
	ds_load_b128 v[22:25], v1 offset:1600
	v_fma_f64 v[163:164], v[163:164], v[30:31], v[165:166]
	v_fma_f64 v[30:31], v[161:162], v[30:31], -v[32:33]
	s_wait_loadcnt_dscnt 0x601
	v_mul_f64_e32 v[159:160], v[2:3], v[40:41]
	v_mul_f64_e32 v[40:41], v[4:5], v[40:41]
	s_wait_loadcnt_dscnt 0x500
	v_mul_f64_e32 v[32:33], v[22:23], v[155:156]
	v_mul_f64_e32 v[155:156], v[24:25], v[155:156]
	v_add_f64_e32 v[26:27], v[28:29], v[26:27]
	v_add_f64_e32 v[28:29], v[157:158], v[167:168]
	v_fma_f64 v[157:158], v[4:5], v[38:39], v[159:160]
	v_fma_f64 v[38:39], v[2:3], v[38:39], -v[40:41]
	v_fma_f64 v[24:25], v[24:25], v[153:154], v[32:33]
	v_fma_f64 v[22:23], v[22:23], v[153:154], -v[155:156]
	v_add_f64_e32 v[30:31], v[26:27], v[30:31]
	v_add_f64_e32 v[40:41], v[28:29], v[163:164]
	ds_load_b128 v[2:5], v1 offset:1616
	ds_load_b128 v[26:29], v1 offset:1632
	s_wait_loadcnt_dscnt 0x401
	v_mul_f64_e32 v[159:160], v[2:3], v[36:37]
	v_mul_f64_e32 v[36:37], v[4:5], v[36:37]
	v_add_f64_e32 v[30:31], v[30:31], v[38:39]
	v_add_f64_e32 v[32:33], v[40:41], v[157:158]
	s_wait_loadcnt_dscnt 0x300
	v_mul_f64_e32 v[38:39], v[26:27], v[8:9]
	v_mul_f64_e32 v[8:9], v[28:29], v[8:9]
	v_fma_f64 v[40:41], v[4:5], v[34:35], v[159:160]
	v_fma_f64 v[34:35], v[2:3], v[34:35], -v[36:37]
	v_add_f64_e32 v[30:31], v[30:31], v[22:23]
	v_add_f64_e32 v[32:33], v[32:33], v[24:25]
	ds_load_b128 v[2:5], v1 offset:1648
	ds_load_b128 v[22:25], v1 offset:1664
	v_fma_f64 v[28:29], v[28:29], v[6:7], v[38:39]
	v_fma_f64 v[6:7], v[26:27], v[6:7], -v[8:9]
	s_wait_loadcnt_dscnt 0x201
	v_mul_f64_e32 v[36:37], v[2:3], v[12:13]
	v_mul_f64_e32 v[12:13], v[4:5], v[12:13]
	v_add_f64_e32 v[8:9], v[30:31], v[34:35]
	v_add_f64_e32 v[26:27], v[32:33], v[40:41]
	s_wait_loadcnt_dscnt 0x100
	v_mul_f64_e32 v[30:31], v[22:23], v[16:17]
	v_mul_f64_e32 v[16:17], v[24:25], v[16:17]
	v_fma_f64 v[32:33], v[4:5], v[10:11], v[36:37]
	v_fma_f64 v[10:11], v[2:3], v[10:11], -v[12:13]
	ds_load_b128 v[2:5], v1 offset:1680
	v_add_f64_e32 v[6:7], v[8:9], v[6:7]
	v_add_f64_e32 v[8:9], v[26:27], v[28:29]
	v_fma_f64 v[24:25], v[24:25], v[14:15], v[30:31]
	v_fma_f64 v[14:15], v[22:23], v[14:15], -v[16:17]
	s_wait_loadcnt_dscnt 0x0
	v_mul_f64_e32 v[12:13], v[2:3], v[20:21]
	v_mul_f64_e32 v[20:21], v[4:5], v[20:21]
	v_add_f64_e32 v[6:7], v[6:7], v[10:11]
	v_add_f64_e32 v[8:9], v[8:9], v[32:33]
	s_delay_alu instid0(VALU_DEP_4) | instskip(NEXT) | instid1(VALU_DEP_4)
	v_fma_f64 v[4:5], v[4:5], v[18:19], v[12:13]
	v_fma_f64 v[2:3], v[2:3], v[18:19], -v[20:21]
	s_delay_alu instid0(VALU_DEP_4) | instskip(NEXT) | instid1(VALU_DEP_4)
	v_add_f64_e32 v[6:7], v[6:7], v[14:15]
	v_add_f64_e32 v[8:9], v[8:9], v[24:25]
	s_delay_alu instid0(VALU_DEP_2) | instskip(NEXT) | instid1(VALU_DEP_2)
	v_add_f64_e32 v[2:3], v[6:7], v[2:3]
	v_add_f64_e32 v[4:5], v[8:9], v[4:5]
	s_delay_alu instid0(VALU_DEP_2) | instskip(NEXT) | instid1(VALU_DEP_2)
	v_add_f64_e64 v[2:3], v[42:43], -v[2:3]
	v_add_f64_e64 v[4:5], v[44:45], -v[4:5]
	scratch_store_b128 off, v[2:5], off offset:448
	v_cmpx_lt_u32_e32 26, v0
	s_cbranch_execz .LBB116_279
; %bb.278:
	scratch_load_b128 v[5:8], off, s40
	v_dual_mov_b32 v2, v1 :: v_dual_mov_b32 v3, v1
	v_mov_b32_e32 v4, v1
	scratch_store_b128 off, v[1:4], off offset:432
	s_wait_loadcnt 0x0
	ds_store_b128 v152, v[5:8]
.LBB116_279:
	s_wait_alu 0xfffe
	s_or_b32 exec_lo, exec_lo, s0
	s_wait_storecnt_dscnt 0x0
	s_barrier_signal -1
	s_barrier_wait -1
	global_inv scope:SCOPE_SE
	s_clause 0x8
	scratch_load_b128 v[2:5], off, off offset:448
	scratch_load_b128 v[6:9], off, off offset:464
	;; [unrolled: 1-line block ×9, first 2 shown]
	ds_load_b128 v[38:41], v1 offset:1280
	ds_load_b128 v[42:45], v1 offset:1296
	s_clause 0x1
	scratch_load_b128 v[153:156], off, off offset:432
	scratch_load_b128 v[157:160], off, off offset:592
	s_mov_b32 s0, exec_lo
	s_wait_loadcnt_dscnt 0xa01
	v_mul_f64_e32 v[161:162], v[40:41], v[4:5]
	v_mul_f64_e32 v[4:5], v[38:39], v[4:5]
	s_wait_loadcnt_dscnt 0x900
	v_mul_f64_e32 v[165:166], v[42:43], v[8:9]
	v_mul_f64_e32 v[8:9], v[44:45], v[8:9]
	s_delay_alu instid0(VALU_DEP_4) | instskip(NEXT) | instid1(VALU_DEP_4)
	v_fma_f64 v[167:168], v[38:39], v[2:3], -v[161:162]
	v_fma_f64 v[169:170], v[40:41], v[2:3], v[4:5]
	ds_load_b128 v[2:5], v1 offset:1312
	ds_load_b128 v[161:164], v1 offset:1328
	scratch_load_b128 v[38:41], off, off offset:608
	v_fma_f64 v[44:45], v[44:45], v[6:7], v[165:166]
	v_fma_f64 v[42:43], v[42:43], v[6:7], -v[8:9]
	scratch_load_b128 v[6:9], off, off offset:624
	s_wait_loadcnt_dscnt 0xa01
	v_mul_f64_e32 v[171:172], v[2:3], v[12:13]
	v_mul_f64_e32 v[12:13], v[4:5], v[12:13]
	v_add_f64_e32 v[165:166], 0, v[167:168]
	v_add_f64_e32 v[167:168], 0, v[169:170]
	s_wait_loadcnt_dscnt 0x900
	v_mul_f64_e32 v[169:170], v[161:162], v[16:17]
	v_mul_f64_e32 v[16:17], v[163:164], v[16:17]
	v_fma_f64 v[171:172], v[4:5], v[10:11], v[171:172]
	v_fma_f64 v[173:174], v[2:3], v[10:11], -v[12:13]
	ds_load_b128 v[2:5], v1 offset:1344
	scratch_load_b128 v[10:13], off, off offset:640
	v_add_f64_e32 v[165:166], v[165:166], v[42:43]
	v_add_f64_e32 v[167:168], v[167:168], v[44:45]
	ds_load_b128 v[42:45], v1 offset:1360
	v_fma_f64 v[163:164], v[163:164], v[14:15], v[169:170]
	v_fma_f64 v[161:162], v[161:162], v[14:15], -v[16:17]
	scratch_load_b128 v[14:17], off, off offset:656
	s_wait_loadcnt_dscnt 0xa01
	v_mul_f64_e32 v[175:176], v[2:3], v[20:21]
	v_mul_f64_e32 v[20:21], v[4:5], v[20:21]
	s_wait_loadcnt_dscnt 0x900
	v_mul_f64_e32 v[169:170], v[42:43], v[24:25]
	v_mul_f64_e32 v[24:25], v[44:45], v[24:25]
	v_add_f64_e32 v[165:166], v[165:166], v[173:174]
	v_add_f64_e32 v[167:168], v[167:168], v[171:172]
	v_fma_f64 v[171:172], v[4:5], v[18:19], v[175:176]
	v_fma_f64 v[173:174], v[2:3], v[18:19], -v[20:21]
	ds_load_b128 v[2:5], v1 offset:1376
	scratch_load_b128 v[18:21], off, off offset:672
	v_fma_f64 v[44:45], v[44:45], v[22:23], v[169:170]
	v_fma_f64 v[42:43], v[42:43], v[22:23], -v[24:25]
	scratch_load_b128 v[22:25], off, off offset:688
	v_add_f64_e32 v[165:166], v[165:166], v[161:162]
	v_add_f64_e32 v[167:168], v[167:168], v[163:164]
	ds_load_b128 v[161:164], v1 offset:1392
	s_wait_loadcnt_dscnt 0xa01
	v_mul_f64_e32 v[175:176], v[2:3], v[28:29]
	v_mul_f64_e32 v[28:29], v[4:5], v[28:29]
	s_wait_loadcnt_dscnt 0x900
	v_mul_f64_e32 v[169:170], v[161:162], v[32:33]
	v_mul_f64_e32 v[32:33], v[163:164], v[32:33]
	v_add_f64_e32 v[165:166], v[165:166], v[173:174]
	v_add_f64_e32 v[167:168], v[167:168], v[171:172]
	v_fma_f64 v[171:172], v[4:5], v[26:27], v[175:176]
	v_fma_f64 v[173:174], v[2:3], v[26:27], -v[28:29]
	ds_load_b128 v[2:5], v1 offset:1408
	scratch_load_b128 v[26:29], off, off offset:704
	v_fma_f64 v[163:164], v[163:164], v[30:31], v[169:170]
	v_fma_f64 v[161:162], v[161:162], v[30:31], -v[32:33]
	scratch_load_b128 v[30:33], off, off offset:720
	v_add_f64_e32 v[165:166], v[165:166], v[42:43]
	v_add_f64_e32 v[167:168], v[167:168], v[44:45]
	ds_load_b128 v[42:45], v1 offset:1424
	s_wait_loadcnt_dscnt 0xa01
	v_mul_f64_e32 v[175:176], v[2:3], v[36:37]
	v_mul_f64_e32 v[36:37], v[4:5], v[36:37]
	s_wait_loadcnt_dscnt 0x800
	v_mul_f64_e32 v[169:170], v[42:43], v[159:160]
	v_add_f64_e32 v[165:166], v[165:166], v[173:174]
	v_add_f64_e32 v[167:168], v[167:168], v[171:172]
	v_mul_f64_e32 v[171:172], v[44:45], v[159:160]
	v_fma_f64 v[173:174], v[4:5], v[34:35], v[175:176]
	v_fma_f64 v[175:176], v[2:3], v[34:35], -v[36:37]
	ds_load_b128 v[2:5], v1 offset:1440
	scratch_load_b128 v[34:37], off, off offset:736
	v_fma_f64 v[44:45], v[44:45], v[157:158], v[169:170]
	v_add_f64_e32 v[165:166], v[165:166], v[161:162]
	v_add_f64_e32 v[163:164], v[167:168], v[163:164]
	ds_load_b128 v[159:162], v1 offset:1456
	v_fma_f64 v[157:158], v[42:43], v[157:158], -v[171:172]
	s_wait_loadcnt_dscnt 0x801
	v_mul_f64_e32 v[167:168], v[2:3], v[40:41]
	v_mul_f64_e32 v[177:178], v[4:5], v[40:41]
	scratch_load_b128 v[40:43], off, off offset:752
	s_wait_loadcnt_dscnt 0x800
	v_mul_f64_e32 v[171:172], v[159:160], v[8:9]
	v_mul_f64_e32 v[8:9], v[161:162], v[8:9]
	v_add_f64_e32 v[165:166], v[165:166], v[175:176]
	v_add_f64_e32 v[163:164], v[163:164], v[173:174]
	v_fma_f64 v[173:174], v[4:5], v[38:39], v[167:168]
	v_fma_f64 v[38:39], v[2:3], v[38:39], -v[177:178]
	ds_load_b128 v[2:5], v1 offset:1472
	ds_load_b128 v[167:170], v1 offset:1488
	v_fma_f64 v[161:162], v[161:162], v[6:7], v[171:172]
	v_fma_f64 v[159:160], v[159:160], v[6:7], -v[8:9]
	scratch_load_b128 v[6:9], off, off offset:784
	v_add_f64_e32 v[157:158], v[165:166], v[157:158]
	v_add_f64_e32 v[44:45], v[163:164], v[44:45]
	scratch_load_b128 v[163:166], off, off offset:768
	s_wait_loadcnt_dscnt 0x901
	v_mul_f64_e32 v[175:176], v[2:3], v[12:13]
	v_mul_f64_e32 v[12:13], v[4:5], v[12:13]
	s_wait_loadcnt_dscnt 0x800
	v_mul_f64_e32 v[171:172], v[167:168], v[16:17]
	v_mul_f64_e32 v[16:17], v[169:170], v[16:17]
	v_add_f64_e32 v[38:39], v[157:158], v[38:39]
	v_add_f64_e32 v[44:45], v[44:45], v[173:174]
	v_fma_f64 v[173:174], v[4:5], v[10:11], v[175:176]
	v_fma_f64 v[175:176], v[2:3], v[10:11], -v[12:13]
	ds_load_b128 v[2:5], v1 offset:1504
	scratch_load_b128 v[10:13], off, off offset:800
	v_fma_f64 v[169:170], v[169:170], v[14:15], v[171:172]
	v_fma_f64 v[167:168], v[167:168], v[14:15], -v[16:17]
	scratch_load_b128 v[14:17], off, off offset:816
	v_add_f64_e32 v[38:39], v[38:39], v[159:160]
	v_add_f64_e32 v[44:45], v[44:45], v[161:162]
	ds_load_b128 v[157:160], v1 offset:1520
	s_wait_loadcnt_dscnt 0x901
	v_mul_f64_e32 v[161:162], v[2:3], v[20:21]
	v_mul_f64_e32 v[20:21], v[4:5], v[20:21]
	s_wait_loadcnt_dscnt 0x800
	v_mul_f64_e32 v[171:172], v[157:158], v[24:25]
	v_mul_f64_e32 v[24:25], v[159:160], v[24:25]
	v_add_f64_e32 v[38:39], v[38:39], v[175:176]
	v_add_f64_e32 v[44:45], v[44:45], v[173:174]
	v_fma_f64 v[161:162], v[4:5], v[18:19], v[161:162]
	v_fma_f64 v[173:174], v[2:3], v[18:19], -v[20:21]
	ds_load_b128 v[2:5], v1 offset:1536
	scratch_load_b128 v[18:21], off, off offset:832
	v_fma_f64 v[159:160], v[159:160], v[22:23], v[171:172]
	v_fma_f64 v[157:158], v[157:158], v[22:23], -v[24:25]
	scratch_load_b128 v[22:25], off, off offset:848
	v_add_f64_e32 v[38:39], v[38:39], v[167:168]
	v_add_f64_e32 v[44:45], v[44:45], v[169:170]
	ds_load_b128 v[167:170], v1 offset:1552
	s_wait_loadcnt_dscnt 0x901
	v_mul_f64_e32 v[175:176], v[2:3], v[28:29]
	v_mul_f64_e32 v[28:29], v[4:5], v[28:29]
	v_add_f64_e32 v[38:39], v[38:39], v[173:174]
	v_add_f64_e32 v[44:45], v[44:45], v[161:162]
	s_wait_loadcnt_dscnt 0x800
	v_mul_f64_e32 v[161:162], v[167:168], v[32:33]
	v_mul_f64_e32 v[32:33], v[169:170], v[32:33]
	v_fma_f64 v[171:172], v[4:5], v[26:27], v[175:176]
	v_fma_f64 v[173:174], v[2:3], v[26:27], -v[28:29]
	ds_load_b128 v[2:5], v1 offset:1568
	ds_load_b128 v[26:29], v1 offset:1584
	v_add_f64_e32 v[38:39], v[38:39], v[157:158]
	v_add_f64_e32 v[44:45], v[44:45], v[159:160]
	s_wait_loadcnt_dscnt 0x701
	v_mul_f64_e32 v[157:158], v[2:3], v[36:37]
	v_mul_f64_e32 v[36:37], v[4:5], v[36:37]
	v_fma_f64 v[159:160], v[169:170], v[30:31], v[161:162]
	v_fma_f64 v[30:31], v[167:168], v[30:31], -v[32:33]
	v_add_f64_e32 v[32:33], v[38:39], v[173:174]
	v_add_f64_e32 v[38:39], v[44:45], v[171:172]
	s_wait_loadcnt_dscnt 0x600
	v_mul_f64_e32 v[44:45], v[26:27], v[42:43]
	v_mul_f64_e32 v[42:43], v[28:29], v[42:43]
	v_fma_f64 v[157:158], v[4:5], v[34:35], v[157:158]
	v_fma_f64 v[34:35], v[2:3], v[34:35], -v[36:37]
	v_add_f64_e32 v[36:37], v[32:33], v[30:31]
	v_add_f64_e32 v[38:39], v[38:39], v[159:160]
	ds_load_b128 v[2:5], v1 offset:1600
	ds_load_b128 v[30:33], v1 offset:1616
	v_fma_f64 v[28:29], v[28:29], v[40:41], v[44:45]
	v_fma_f64 v[26:27], v[26:27], v[40:41], -v[42:43]
	s_wait_loadcnt_dscnt 0x401
	v_mul_f64_e32 v[159:160], v[2:3], v[165:166]
	v_mul_f64_e32 v[161:162], v[4:5], v[165:166]
	v_add_f64_e32 v[34:35], v[36:37], v[34:35]
	v_add_f64_e32 v[36:37], v[38:39], v[157:158]
	s_wait_dscnt 0x0
	v_mul_f64_e32 v[38:39], v[30:31], v[8:9]
	v_mul_f64_e32 v[8:9], v[32:33], v[8:9]
	v_fma_f64 v[40:41], v[4:5], v[163:164], v[159:160]
	v_fma_f64 v[42:43], v[2:3], v[163:164], -v[161:162]
	v_add_f64_e32 v[34:35], v[34:35], v[26:27]
	v_add_f64_e32 v[36:37], v[36:37], v[28:29]
	ds_load_b128 v[2:5], v1 offset:1632
	ds_load_b128 v[26:29], v1 offset:1648
	v_fma_f64 v[32:33], v[32:33], v[6:7], v[38:39]
	v_fma_f64 v[6:7], v[30:31], v[6:7], -v[8:9]
	s_wait_loadcnt_dscnt 0x301
	v_mul_f64_e32 v[44:45], v[2:3], v[12:13]
	v_mul_f64_e32 v[12:13], v[4:5], v[12:13]
	v_add_f64_e32 v[8:9], v[34:35], v[42:43]
	v_add_f64_e32 v[30:31], v[36:37], v[40:41]
	s_wait_loadcnt_dscnt 0x200
	v_mul_f64_e32 v[34:35], v[26:27], v[16:17]
	v_mul_f64_e32 v[16:17], v[28:29], v[16:17]
	v_fma_f64 v[36:37], v[4:5], v[10:11], v[44:45]
	v_fma_f64 v[10:11], v[2:3], v[10:11], -v[12:13]
	v_add_f64_e32 v[12:13], v[8:9], v[6:7]
	v_add_f64_e32 v[30:31], v[30:31], v[32:33]
	ds_load_b128 v[2:5], v1 offset:1664
	ds_load_b128 v[6:9], v1 offset:1680
	v_fma_f64 v[28:29], v[28:29], v[14:15], v[34:35]
	v_fma_f64 v[14:15], v[26:27], v[14:15], -v[16:17]
	s_wait_loadcnt_dscnt 0x101
	v_mul_f64_e32 v[32:33], v[2:3], v[20:21]
	v_mul_f64_e32 v[20:21], v[4:5], v[20:21]
	s_wait_loadcnt_dscnt 0x0
	v_mul_f64_e32 v[16:17], v[6:7], v[24:25]
	v_mul_f64_e32 v[24:25], v[8:9], v[24:25]
	v_add_f64_e32 v[10:11], v[12:13], v[10:11]
	v_add_f64_e32 v[12:13], v[30:31], v[36:37]
	v_fma_f64 v[4:5], v[4:5], v[18:19], v[32:33]
	v_fma_f64 v[1:2], v[2:3], v[18:19], -v[20:21]
	v_fma_f64 v[8:9], v[8:9], v[22:23], v[16:17]
	v_fma_f64 v[6:7], v[6:7], v[22:23], -v[24:25]
	v_add_f64_e32 v[10:11], v[10:11], v[14:15]
	v_add_f64_e32 v[12:13], v[12:13], v[28:29]
	s_delay_alu instid0(VALU_DEP_2) | instskip(NEXT) | instid1(VALU_DEP_2)
	v_add_f64_e32 v[1:2], v[10:11], v[1:2]
	v_add_f64_e32 v[3:4], v[12:13], v[4:5]
	s_delay_alu instid0(VALU_DEP_2) | instskip(NEXT) | instid1(VALU_DEP_2)
	v_add_f64_e32 v[1:2], v[1:2], v[6:7]
	v_add_f64_e32 v[3:4], v[3:4], v[8:9]
	s_delay_alu instid0(VALU_DEP_2) | instskip(NEXT) | instid1(VALU_DEP_2)
	v_add_f64_e64 v[1:2], v[153:154], -v[1:2]
	v_add_f64_e64 v[3:4], v[155:156], -v[3:4]
	scratch_store_b128 off, v[1:4], off offset:432
	v_cmpx_lt_u32_e32 25, v0
	s_cbranch_execz .LBB116_281
; %bb.280:
	scratch_load_b128 v[1:4], off, s41
	v_mov_b32_e32 v5, 0
	s_delay_alu instid0(VALU_DEP_1)
	v_dual_mov_b32 v6, v5 :: v_dual_mov_b32 v7, v5
	v_mov_b32_e32 v8, v5
	scratch_store_b128 off, v[5:8], off offset:416
	s_wait_loadcnt 0x0
	ds_store_b128 v152, v[1:4]
.LBB116_281:
	s_wait_alu 0xfffe
	s_or_b32 exec_lo, exec_lo, s0
	s_wait_storecnt_dscnt 0x0
	s_barrier_signal -1
	s_barrier_wait -1
	global_inv scope:SCOPE_SE
	s_clause 0x7
	scratch_load_b128 v[2:5], off, off offset:432
	scratch_load_b128 v[6:9], off, off offset:448
	;; [unrolled: 1-line block ×8, first 2 shown]
	v_mov_b32_e32 v1, 0
	s_mov_b32 s0, exec_lo
	ds_load_b128 v[34:37], v1 offset:1264
	s_clause 0x1
	scratch_load_b128 v[38:41], off, off offset:560
	scratch_load_b128 v[42:45], off, off offset:416
	ds_load_b128 v[153:156], v1 offset:1280
	scratch_load_b128 v[157:160], off, off offset:576
	s_wait_loadcnt_dscnt 0xa01
	v_mul_f64_e32 v[161:162], v[36:37], v[4:5]
	v_mul_f64_e32 v[4:5], v[34:35], v[4:5]
	s_delay_alu instid0(VALU_DEP_2) | instskip(NEXT) | instid1(VALU_DEP_2)
	v_fma_f64 v[167:168], v[34:35], v[2:3], -v[161:162]
	v_fma_f64 v[169:170], v[36:37], v[2:3], v[4:5]
	ds_load_b128 v[2:5], v1 offset:1296
	s_wait_loadcnt_dscnt 0x901
	v_mul_f64_e32 v[165:166], v[153:154], v[8:9]
	v_mul_f64_e32 v[8:9], v[155:156], v[8:9]
	scratch_load_b128 v[34:37], off, off offset:592
	ds_load_b128 v[161:164], v1 offset:1312
	s_wait_loadcnt_dscnt 0x901
	v_mul_f64_e32 v[171:172], v[2:3], v[12:13]
	v_mul_f64_e32 v[12:13], v[4:5], v[12:13]
	v_fma_f64 v[155:156], v[155:156], v[6:7], v[165:166]
	v_fma_f64 v[153:154], v[153:154], v[6:7], -v[8:9]
	v_add_f64_e32 v[165:166], 0, v[167:168]
	v_add_f64_e32 v[167:168], 0, v[169:170]
	scratch_load_b128 v[6:9], off, off offset:608
	v_fma_f64 v[171:172], v[4:5], v[10:11], v[171:172]
	v_fma_f64 v[173:174], v[2:3], v[10:11], -v[12:13]
	ds_load_b128 v[2:5], v1 offset:1328
	s_wait_loadcnt_dscnt 0x901
	v_mul_f64_e32 v[169:170], v[161:162], v[16:17]
	v_mul_f64_e32 v[16:17], v[163:164], v[16:17]
	scratch_load_b128 v[10:13], off, off offset:624
	v_add_f64_e32 v[165:166], v[165:166], v[153:154]
	v_add_f64_e32 v[167:168], v[167:168], v[155:156]
	s_wait_loadcnt_dscnt 0x900
	v_mul_f64_e32 v[175:176], v[2:3], v[20:21]
	v_mul_f64_e32 v[20:21], v[4:5], v[20:21]
	ds_load_b128 v[153:156], v1 offset:1344
	v_fma_f64 v[163:164], v[163:164], v[14:15], v[169:170]
	v_fma_f64 v[161:162], v[161:162], v[14:15], -v[16:17]
	scratch_load_b128 v[14:17], off, off offset:640
	v_add_f64_e32 v[165:166], v[165:166], v[173:174]
	v_add_f64_e32 v[167:168], v[167:168], v[171:172]
	v_fma_f64 v[171:172], v[4:5], v[18:19], v[175:176]
	v_fma_f64 v[173:174], v[2:3], v[18:19], -v[20:21]
	ds_load_b128 v[2:5], v1 offset:1360
	s_wait_loadcnt_dscnt 0x901
	v_mul_f64_e32 v[169:170], v[153:154], v[24:25]
	v_mul_f64_e32 v[24:25], v[155:156], v[24:25]
	scratch_load_b128 v[18:21], off, off offset:656
	s_wait_loadcnt_dscnt 0x900
	v_mul_f64_e32 v[175:176], v[2:3], v[28:29]
	v_mul_f64_e32 v[28:29], v[4:5], v[28:29]
	v_add_f64_e32 v[165:166], v[165:166], v[161:162]
	v_add_f64_e32 v[167:168], v[167:168], v[163:164]
	ds_load_b128 v[161:164], v1 offset:1376
	v_fma_f64 v[155:156], v[155:156], v[22:23], v[169:170]
	v_fma_f64 v[153:154], v[153:154], v[22:23], -v[24:25]
	scratch_load_b128 v[22:25], off, off offset:672
	v_add_f64_e32 v[165:166], v[165:166], v[173:174]
	v_add_f64_e32 v[167:168], v[167:168], v[171:172]
	v_fma_f64 v[171:172], v[4:5], v[26:27], v[175:176]
	v_fma_f64 v[173:174], v[2:3], v[26:27], -v[28:29]
	ds_load_b128 v[2:5], v1 offset:1392
	s_wait_loadcnt_dscnt 0x901
	v_mul_f64_e32 v[169:170], v[161:162], v[32:33]
	v_mul_f64_e32 v[32:33], v[163:164], v[32:33]
	scratch_load_b128 v[26:29], off, off offset:688
	s_wait_loadcnt_dscnt 0x900
	v_mul_f64_e32 v[175:176], v[2:3], v[40:41]
	v_mul_f64_e32 v[40:41], v[4:5], v[40:41]
	v_add_f64_e32 v[165:166], v[165:166], v[153:154]
	v_add_f64_e32 v[167:168], v[167:168], v[155:156]
	ds_load_b128 v[153:156], v1 offset:1408
	v_fma_f64 v[163:164], v[163:164], v[30:31], v[169:170]
	v_fma_f64 v[161:162], v[161:162], v[30:31], -v[32:33]
	scratch_load_b128 v[30:33], off, off offset:704
	v_add_f64_e32 v[165:166], v[165:166], v[173:174]
	v_add_f64_e32 v[167:168], v[167:168], v[171:172]
	v_fma_f64 v[173:174], v[4:5], v[38:39], v[175:176]
	v_fma_f64 v[175:176], v[2:3], v[38:39], -v[40:41]
	ds_load_b128 v[2:5], v1 offset:1424
	s_wait_loadcnt_dscnt 0x801
	v_mul_f64_e32 v[169:170], v[153:154], v[159:160]
	v_mul_f64_e32 v[171:172], v[155:156], v[159:160]
	scratch_load_b128 v[38:41], off, off offset:720
	v_add_f64_e32 v[165:166], v[165:166], v[161:162]
	v_add_f64_e32 v[163:164], v[167:168], v[163:164]
	ds_load_b128 v[159:162], v1 offset:1440
	v_fma_f64 v[169:170], v[155:156], v[157:158], v[169:170]
	v_fma_f64 v[157:158], v[153:154], v[157:158], -v[171:172]
	scratch_load_b128 v[153:156], off, off offset:736
	s_wait_loadcnt_dscnt 0x901
	v_mul_f64_e32 v[167:168], v[2:3], v[36:37]
	v_mul_f64_e32 v[36:37], v[4:5], v[36:37]
	v_add_f64_e32 v[165:166], v[165:166], v[175:176]
	v_add_f64_e32 v[163:164], v[163:164], v[173:174]
	s_delay_alu instid0(VALU_DEP_4) | instskip(NEXT) | instid1(VALU_DEP_4)
	v_fma_f64 v[167:168], v[4:5], v[34:35], v[167:168]
	v_fma_f64 v[173:174], v[2:3], v[34:35], -v[36:37]
	ds_load_b128 v[2:5], v1 offset:1456
	s_wait_loadcnt_dscnt 0x801
	v_mul_f64_e32 v[171:172], v[159:160], v[8:9]
	v_mul_f64_e32 v[8:9], v[161:162], v[8:9]
	scratch_load_b128 v[34:37], off, off offset:752
	s_wait_loadcnt_dscnt 0x800
	v_mul_f64_e32 v[175:176], v[2:3], v[12:13]
	v_add_f64_e32 v[157:158], v[165:166], v[157:158]
	v_add_f64_e32 v[169:170], v[163:164], v[169:170]
	v_mul_f64_e32 v[12:13], v[4:5], v[12:13]
	ds_load_b128 v[163:166], v1 offset:1472
	v_fma_f64 v[161:162], v[161:162], v[6:7], v[171:172]
	v_fma_f64 v[159:160], v[159:160], v[6:7], -v[8:9]
	scratch_load_b128 v[6:9], off, off offset:768
	v_fma_f64 v[171:172], v[4:5], v[10:11], v[175:176]
	v_add_f64_e32 v[157:158], v[157:158], v[173:174]
	v_add_f64_e32 v[167:168], v[169:170], v[167:168]
	v_fma_f64 v[173:174], v[2:3], v[10:11], -v[12:13]
	ds_load_b128 v[2:5], v1 offset:1488
	s_wait_loadcnt_dscnt 0x801
	v_mul_f64_e32 v[169:170], v[163:164], v[16:17]
	v_mul_f64_e32 v[16:17], v[165:166], v[16:17]
	scratch_load_b128 v[10:13], off, off offset:784
	v_add_f64_e32 v[175:176], v[157:158], v[159:160]
	v_add_f64_e32 v[161:162], v[167:168], v[161:162]
	s_wait_loadcnt_dscnt 0x800
	v_mul_f64_e32 v[167:168], v[2:3], v[20:21]
	v_mul_f64_e32 v[20:21], v[4:5], v[20:21]
	v_fma_f64 v[165:166], v[165:166], v[14:15], v[169:170]
	v_fma_f64 v[163:164], v[163:164], v[14:15], -v[16:17]
	ds_load_b128 v[157:160], v1 offset:1504
	scratch_load_b128 v[14:17], off, off offset:800
	v_add_f64_e32 v[169:170], v[175:176], v[173:174]
	v_add_f64_e32 v[161:162], v[161:162], v[171:172]
	v_fma_f64 v[167:168], v[4:5], v[18:19], v[167:168]
	v_fma_f64 v[173:174], v[2:3], v[18:19], -v[20:21]
	ds_load_b128 v[2:5], v1 offset:1520
	s_wait_loadcnt_dscnt 0x801
	v_mul_f64_e32 v[171:172], v[157:158], v[24:25]
	v_mul_f64_e32 v[24:25], v[159:160], v[24:25]
	scratch_load_b128 v[18:21], off, off offset:816
	s_wait_loadcnt_dscnt 0x800
	v_mul_f64_e32 v[175:176], v[2:3], v[28:29]
	v_mul_f64_e32 v[28:29], v[4:5], v[28:29]
	v_add_f64_e32 v[169:170], v[169:170], v[163:164]
	v_add_f64_e32 v[165:166], v[161:162], v[165:166]
	ds_load_b128 v[161:164], v1 offset:1536
	v_fma_f64 v[159:160], v[159:160], v[22:23], v[171:172]
	v_fma_f64 v[157:158], v[157:158], v[22:23], -v[24:25]
	scratch_load_b128 v[22:25], off, off offset:832
	v_fma_f64 v[171:172], v[4:5], v[26:27], v[175:176]
	v_add_f64_e32 v[169:170], v[169:170], v[173:174]
	v_add_f64_e32 v[165:166], v[165:166], v[167:168]
	v_fma_f64 v[173:174], v[2:3], v[26:27], -v[28:29]
	ds_load_b128 v[2:5], v1 offset:1552
	s_wait_loadcnt_dscnt 0x801
	v_mul_f64_e32 v[167:168], v[161:162], v[32:33]
	v_mul_f64_e32 v[32:33], v[163:164], v[32:33]
	scratch_load_b128 v[26:29], off, off offset:848
	s_wait_loadcnt_dscnt 0x800
	v_mul_f64_e32 v[175:176], v[2:3], v[40:41]
	v_mul_f64_e32 v[40:41], v[4:5], v[40:41]
	v_add_f64_e32 v[169:170], v[169:170], v[157:158]
	v_add_f64_e32 v[165:166], v[165:166], v[159:160]
	ds_load_b128 v[157:160], v1 offset:1568
	v_fma_f64 v[163:164], v[163:164], v[30:31], v[167:168]
	v_fma_f64 v[30:31], v[161:162], v[30:31], -v[32:33]
	v_fma_f64 v[167:168], v[4:5], v[38:39], v[175:176]
	v_fma_f64 v[38:39], v[2:3], v[38:39], -v[40:41]
	v_add_f64_e32 v[32:33], v[169:170], v[173:174]
	v_add_f64_e32 v[161:162], v[165:166], v[171:172]
	s_wait_loadcnt_dscnt 0x700
	v_mul_f64_e32 v[165:166], v[157:158], v[155:156]
	v_mul_f64_e32 v[155:156], v[159:160], v[155:156]
	s_delay_alu instid0(VALU_DEP_4) | instskip(NEXT) | instid1(VALU_DEP_4)
	v_add_f64_e32 v[40:41], v[32:33], v[30:31]
	v_add_f64_e32 v[161:162], v[161:162], v[163:164]
	ds_load_b128 v[2:5], v1 offset:1584
	ds_load_b128 v[30:33], v1 offset:1600
	v_fma_f64 v[159:160], v[159:160], v[153:154], v[165:166]
	v_fma_f64 v[153:154], v[157:158], v[153:154], -v[155:156]
	s_wait_loadcnt_dscnt 0x601
	v_mul_f64_e32 v[163:164], v[2:3], v[36:37]
	v_mul_f64_e32 v[36:37], v[4:5], v[36:37]
	s_wait_loadcnt_dscnt 0x500
	v_mul_f64_e32 v[155:156], v[30:31], v[8:9]
	v_mul_f64_e32 v[8:9], v[32:33], v[8:9]
	v_add_f64_e32 v[38:39], v[40:41], v[38:39]
	v_add_f64_e32 v[40:41], v[161:162], v[167:168]
	v_fma_f64 v[157:158], v[4:5], v[34:35], v[163:164]
	v_fma_f64 v[161:162], v[2:3], v[34:35], -v[36:37]
	ds_load_b128 v[2:5], v1 offset:1616
	ds_load_b128 v[34:37], v1 offset:1632
	v_fma_f64 v[32:33], v[32:33], v[6:7], v[155:156]
	v_fma_f64 v[6:7], v[30:31], v[6:7], -v[8:9]
	v_add_f64_e32 v[38:39], v[38:39], v[153:154]
	v_add_f64_e32 v[40:41], v[40:41], v[159:160]
	s_wait_loadcnt_dscnt 0x401
	v_mul_f64_e32 v[153:154], v[2:3], v[12:13]
	v_mul_f64_e32 v[12:13], v[4:5], v[12:13]
	s_delay_alu instid0(VALU_DEP_4) | instskip(NEXT) | instid1(VALU_DEP_4)
	v_add_f64_e32 v[8:9], v[38:39], v[161:162]
	v_add_f64_e32 v[30:31], v[40:41], v[157:158]
	s_wait_loadcnt_dscnt 0x300
	v_mul_f64_e32 v[38:39], v[34:35], v[16:17]
	v_mul_f64_e32 v[16:17], v[36:37], v[16:17]
	v_fma_f64 v[40:41], v[4:5], v[10:11], v[153:154]
	v_fma_f64 v[10:11], v[2:3], v[10:11], -v[12:13]
	v_add_f64_e32 v[12:13], v[8:9], v[6:7]
	v_add_f64_e32 v[30:31], v[30:31], v[32:33]
	ds_load_b128 v[2:5], v1 offset:1648
	ds_load_b128 v[6:9], v1 offset:1664
	v_fma_f64 v[36:37], v[36:37], v[14:15], v[38:39]
	v_fma_f64 v[14:15], v[34:35], v[14:15], -v[16:17]
	s_wait_loadcnt_dscnt 0x201
	v_mul_f64_e32 v[32:33], v[2:3], v[20:21]
	v_mul_f64_e32 v[20:21], v[4:5], v[20:21]
	s_wait_loadcnt_dscnt 0x100
	v_mul_f64_e32 v[16:17], v[6:7], v[24:25]
	v_mul_f64_e32 v[24:25], v[8:9], v[24:25]
	v_add_f64_e32 v[10:11], v[12:13], v[10:11]
	v_add_f64_e32 v[12:13], v[30:31], v[40:41]
	v_fma_f64 v[30:31], v[4:5], v[18:19], v[32:33]
	v_fma_f64 v[18:19], v[2:3], v[18:19], -v[20:21]
	ds_load_b128 v[2:5], v1 offset:1680
	v_fma_f64 v[8:9], v[8:9], v[22:23], v[16:17]
	v_fma_f64 v[6:7], v[6:7], v[22:23], -v[24:25]
	v_add_f64_e32 v[10:11], v[10:11], v[14:15]
	v_add_f64_e32 v[12:13], v[12:13], v[36:37]
	s_wait_loadcnt_dscnt 0x0
	v_mul_f64_e32 v[14:15], v[2:3], v[28:29]
	v_mul_f64_e32 v[20:21], v[4:5], v[28:29]
	s_delay_alu instid0(VALU_DEP_4) | instskip(NEXT) | instid1(VALU_DEP_4)
	v_add_f64_e32 v[10:11], v[10:11], v[18:19]
	v_add_f64_e32 v[12:13], v[12:13], v[30:31]
	s_delay_alu instid0(VALU_DEP_4) | instskip(NEXT) | instid1(VALU_DEP_4)
	v_fma_f64 v[4:5], v[4:5], v[26:27], v[14:15]
	v_fma_f64 v[2:3], v[2:3], v[26:27], -v[20:21]
	s_delay_alu instid0(VALU_DEP_4) | instskip(NEXT) | instid1(VALU_DEP_4)
	v_add_f64_e32 v[6:7], v[10:11], v[6:7]
	v_add_f64_e32 v[8:9], v[12:13], v[8:9]
	s_delay_alu instid0(VALU_DEP_2) | instskip(NEXT) | instid1(VALU_DEP_2)
	v_add_f64_e32 v[2:3], v[6:7], v[2:3]
	v_add_f64_e32 v[4:5], v[8:9], v[4:5]
	s_delay_alu instid0(VALU_DEP_2) | instskip(NEXT) | instid1(VALU_DEP_2)
	v_add_f64_e64 v[2:3], v[42:43], -v[2:3]
	v_add_f64_e64 v[4:5], v[44:45], -v[4:5]
	scratch_store_b128 off, v[2:5], off offset:416
	v_cmpx_lt_u32_e32 24, v0
	s_cbranch_execz .LBB116_283
; %bb.282:
	scratch_load_b128 v[5:8], off, s42
	v_dual_mov_b32 v2, v1 :: v_dual_mov_b32 v3, v1
	v_mov_b32_e32 v4, v1
	scratch_store_b128 off, v[1:4], off offset:400
	s_wait_loadcnt 0x0
	ds_store_b128 v152, v[5:8]
.LBB116_283:
	s_wait_alu 0xfffe
	s_or_b32 exec_lo, exec_lo, s0
	s_wait_storecnt_dscnt 0x0
	s_barrier_signal -1
	s_barrier_wait -1
	global_inv scope:SCOPE_SE
	s_clause 0x8
	scratch_load_b128 v[2:5], off, off offset:416
	scratch_load_b128 v[6:9], off, off offset:432
	;; [unrolled: 1-line block ×9, first 2 shown]
	ds_load_b128 v[38:41], v1 offset:1248
	ds_load_b128 v[42:45], v1 offset:1264
	s_clause 0x1
	scratch_load_b128 v[153:156], off, off offset:400
	scratch_load_b128 v[157:160], off, off offset:560
	s_mov_b32 s0, exec_lo
	s_wait_loadcnt_dscnt 0xa01
	v_mul_f64_e32 v[161:162], v[40:41], v[4:5]
	v_mul_f64_e32 v[4:5], v[38:39], v[4:5]
	s_wait_loadcnt_dscnt 0x900
	v_mul_f64_e32 v[165:166], v[42:43], v[8:9]
	v_mul_f64_e32 v[8:9], v[44:45], v[8:9]
	s_delay_alu instid0(VALU_DEP_4) | instskip(NEXT) | instid1(VALU_DEP_4)
	v_fma_f64 v[167:168], v[38:39], v[2:3], -v[161:162]
	v_fma_f64 v[169:170], v[40:41], v[2:3], v[4:5]
	ds_load_b128 v[2:5], v1 offset:1280
	ds_load_b128 v[161:164], v1 offset:1296
	scratch_load_b128 v[38:41], off, off offset:576
	v_fma_f64 v[44:45], v[44:45], v[6:7], v[165:166]
	v_fma_f64 v[42:43], v[42:43], v[6:7], -v[8:9]
	scratch_load_b128 v[6:9], off, off offset:592
	s_wait_loadcnt_dscnt 0xa01
	v_mul_f64_e32 v[171:172], v[2:3], v[12:13]
	v_mul_f64_e32 v[12:13], v[4:5], v[12:13]
	v_add_f64_e32 v[165:166], 0, v[167:168]
	v_add_f64_e32 v[167:168], 0, v[169:170]
	s_wait_loadcnt_dscnt 0x900
	v_mul_f64_e32 v[169:170], v[161:162], v[16:17]
	v_mul_f64_e32 v[16:17], v[163:164], v[16:17]
	v_fma_f64 v[171:172], v[4:5], v[10:11], v[171:172]
	v_fma_f64 v[173:174], v[2:3], v[10:11], -v[12:13]
	ds_load_b128 v[2:5], v1 offset:1312
	scratch_load_b128 v[10:13], off, off offset:608
	v_add_f64_e32 v[165:166], v[165:166], v[42:43]
	v_add_f64_e32 v[167:168], v[167:168], v[44:45]
	ds_load_b128 v[42:45], v1 offset:1328
	v_fma_f64 v[163:164], v[163:164], v[14:15], v[169:170]
	v_fma_f64 v[161:162], v[161:162], v[14:15], -v[16:17]
	scratch_load_b128 v[14:17], off, off offset:624
	s_wait_loadcnt_dscnt 0xa01
	v_mul_f64_e32 v[175:176], v[2:3], v[20:21]
	v_mul_f64_e32 v[20:21], v[4:5], v[20:21]
	s_wait_loadcnt_dscnt 0x900
	v_mul_f64_e32 v[169:170], v[42:43], v[24:25]
	v_mul_f64_e32 v[24:25], v[44:45], v[24:25]
	v_add_f64_e32 v[165:166], v[165:166], v[173:174]
	v_add_f64_e32 v[167:168], v[167:168], v[171:172]
	v_fma_f64 v[171:172], v[4:5], v[18:19], v[175:176]
	v_fma_f64 v[173:174], v[2:3], v[18:19], -v[20:21]
	ds_load_b128 v[2:5], v1 offset:1344
	scratch_load_b128 v[18:21], off, off offset:640
	v_fma_f64 v[44:45], v[44:45], v[22:23], v[169:170]
	v_fma_f64 v[42:43], v[42:43], v[22:23], -v[24:25]
	scratch_load_b128 v[22:25], off, off offset:656
	v_add_f64_e32 v[165:166], v[165:166], v[161:162]
	v_add_f64_e32 v[167:168], v[167:168], v[163:164]
	ds_load_b128 v[161:164], v1 offset:1360
	s_wait_loadcnt_dscnt 0xa01
	v_mul_f64_e32 v[175:176], v[2:3], v[28:29]
	v_mul_f64_e32 v[28:29], v[4:5], v[28:29]
	s_wait_loadcnt_dscnt 0x900
	v_mul_f64_e32 v[169:170], v[161:162], v[32:33]
	v_mul_f64_e32 v[32:33], v[163:164], v[32:33]
	v_add_f64_e32 v[165:166], v[165:166], v[173:174]
	v_add_f64_e32 v[167:168], v[167:168], v[171:172]
	v_fma_f64 v[171:172], v[4:5], v[26:27], v[175:176]
	v_fma_f64 v[173:174], v[2:3], v[26:27], -v[28:29]
	ds_load_b128 v[2:5], v1 offset:1376
	scratch_load_b128 v[26:29], off, off offset:672
	v_fma_f64 v[163:164], v[163:164], v[30:31], v[169:170]
	v_fma_f64 v[161:162], v[161:162], v[30:31], -v[32:33]
	scratch_load_b128 v[30:33], off, off offset:688
	v_add_f64_e32 v[165:166], v[165:166], v[42:43]
	v_add_f64_e32 v[167:168], v[167:168], v[44:45]
	ds_load_b128 v[42:45], v1 offset:1392
	s_wait_loadcnt_dscnt 0xa01
	v_mul_f64_e32 v[175:176], v[2:3], v[36:37]
	v_mul_f64_e32 v[36:37], v[4:5], v[36:37]
	s_wait_loadcnt_dscnt 0x800
	v_mul_f64_e32 v[169:170], v[42:43], v[159:160]
	v_add_f64_e32 v[165:166], v[165:166], v[173:174]
	v_add_f64_e32 v[167:168], v[167:168], v[171:172]
	v_mul_f64_e32 v[171:172], v[44:45], v[159:160]
	v_fma_f64 v[173:174], v[4:5], v[34:35], v[175:176]
	v_fma_f64 v[175:176], v[2:3], v[34:35], -v[36:37]
	ds_load_b128 v[2:5], v1 offset:1408
	scratch_load_b128 v[34:37], off, off offset:704
	v_fma_f64 v[44:45], v[44:45], v[157:158], v[169:170]
	v_add_f64_e32 v[165:166], v[165:166], v[161:162]
	v_add_f64_e32 v[163:164], v[167:168], v[163:164]
	ds_load_b128 v[159:162], v1 offset:1424
	v_fma_f64 v[157:158], v[42:43], v[157:158], -v[171:172]
	s_wait_loadcnt_dscnt 0x801
	v_mul_f64_e32 v[167:168], v[2:3], v[40:41]
	v_mul_f64_e32 v[177:178], v[4:5], v[40:41]
	scratch_load_b128 v[40:43], off, off offset:720
	s_wait_loadcnt_dscnt 0x800
	v_mul_f64_e32 v[171:172], v[159:160], v[8:9]
	v_mul_f64_e32 v[8:9], v[161:162], v[8:9]
	v_add_f64_e32 v[165:166], v[165:166], v[175:176]
	v_add_f64_e32 v[163:164], v[163:164], v[173:174]
	v_fma_f64 v[173:174], v[4:5], v[38:39], v[167:168]
	v_fma_f64 v[38:39], v[2:3], v[38:39], -v[177:178]
	ds_load_b128 v[2:5], v1 offset:1440
	ds_load_b128 v[167:170], v1 offset:1456
	v_fma_f64 v[161:162], v[161:162], v[6:7], v[171:172]
	v_fma_f64 v[159:160], v[159:160], v[6:7], -v[8:9]
	scratch_load_b128 v[6:9], off, off offset:752
	v_add_f64_e32 v[157:158], v[165:166], v[157:158]
	v_add_f64_e32 v[44:45], v[163:164], v[44:45]
	scratch_load_b128 v[163:166], off, off offset:736
	s_wait_loadcnt_dscnt 0x901
	v_mul_f64_e32 v[175:176], v[2:3], v[12:13]
	v_mul_f64_e32 v[12:13], v[4:5], v[12:13]
	s_wait_loadcnt_dscnt 0x800
	v_mul_f64_e32 v[171:172], v[167:168], v[16:17]
	v_mul_f64_e32 v[16:17], v[169:170], v[16:17]
	v_add_f64_e32 v[38:39], v[157:158], v[38:39]
	v_add_f64_e32 v[44:45], v[44:45], v[173:174]
	v_fma_f64 v[173:174], v[4:5], v[10:11], v[175:176]
	v_fma_f64 v[175:176], v[2:3], v[10:11], -v[12:13]
	ds_load_b128 v[2:5], v1 offset:1472
	scratch_load_b128 v[10:13], off, off offset:768
	v_fma_f64 v[169:170], v[169:170], v[14:15], v[171:172]
	v_fma_f64 v[167:168], v[167:168], v[14:15], -v[16:17]
	scratch_load_b128 v[14:17], off, off offset:784
	v_add_f64_e32 v[38:39], v[38:39], v[159:160]
	v_add_f64_e32 v[44:45], v[44:45], v[161:162]
	ds_load_b128 v[157:160], v1 offset:1488
	s_wait_loadcnt_dscnt 0x901
	v_mul_f64_e32 v[161:162], v[2:3], v[20:21]
	v_mul_f64_e32 v[20:21], v[4:5], v[20:21]
	s_wait_loadcnt_dscnt 0x800
	v_mul_f64_e32 v[171:172], v[157:158], v[24:25]
	v_mul_f64_e32 v[24:25], v[159:160], v[24:25]
	v_add_f64_e32 v[38:39], v[38:39], v[175:176]
	v_add_f64_e32 v[44:45], v[44:45], v[173:174]
	v_fma_f64 v[161:162], v[4:5], v[18:19], v[161:162]
	v_fma_f64 v[173:174], v[2:3], v[18:19], -v[20:21]
	ds_load_b128 v[2:5], v1 offset:1504
	scratch_load_b128 v[18:21], off, off offset:800
	v_fma_f64 v[159:160], v[159:160], v[22:23], v[171:172]
	v_fma_f64 v[157:158], v[157:158], v[22:23], -v[24:25]
	scratch_load_b128 v[22:25], off, off offset:816
	v_add_f64_e32 v[38:39], v[38:39], v[167:168]
	v_add_f64_e32 v[44:45], v[44:45], v[169:170]
	ds_load_b128 v[167:170], v1 offset:1520
	s_wait_loadcnt_dscnt 0x901
	v_mul_f64_e32 v[175:176], v[2:3], v[28:29]
	v_mul_f64_e32 v[28:29], v[4:5], v[28:29]
	v_add_f64_e32 v[38:39], v[38:39], v[173:174]
	v_add_f64_e32 v[44:45], v[44:45], v[161:162]
	s_wait_loadcnt_dscnt 0x800
	v_mul_f64_e32 v[161:162], v[167:168], v[32:33]
	v_mul_f64_e32 v[32:33], v[169:170], v[32:33]
	v_fma_f64 v[171:172], v[4:5], v[26:27], v[175:176]
	v_fma_f64 v[173:174], v[2:3], v[26:27], -v[28:29]
	ds_load_b128 v[2:5], v1 offset:1536
	scratch_load_b128 v[26:29], off, off offset:832
	v_add_f64_e32 v[38:39], v[38:39], v[157:158]
	v_add_f64_e32 v[44:45], v[44:45], v[159:160]
	ds_load_b128 v[157:160], v1 offset:1552
	s_wait_loadcnt_dscnt 0x801
	v_mul_f64_e32 v[175:176], v[2:3], v[36:37]
	v_mul_f64_e32 v[36:37], v[4:5], v[36:37]
	v_fma_f64 v[161:162], v[169:170], v[30:31], v[161:162]
	v_fma_f64 v[167:168], v[167:168], v[30:31], -v[32:33]
	scratch_load_b128 v[30:33], off, off offset:848
	s_wait_loadcnt_dscnt 0x800
	v_mul_f64_e32 v[169:170], v[157:158], v[42:43]
	v_add_f64_e32 v[38:39], v[38:39], v[173:174]
	v_add_f64_e32 v[44:45], v[44:45], v[171:172]
	v_mul_f64_e32 v[42:43], v[159:160], v[42:43]
	v_fma_f64 v[171:172], v[4:5], v[34:35], v[175:176]
	v_fma_f64 v[173:174], v[2:3], v[34:35], -v[36:37]
	ds_load_b128 v[2:5], v1 offset:1568
	ds_load_b128 v[34:37], v1 offset:1584
	v_fma_f64 v[159:160], v[159:160], v[40:41], v[169:170]
	v_add_f64_e32 v[38:39], v[38:39], v[167:168]
	v_add_f64_e32 v[44:45], v[44:45], v[161:162]
	v_fma_f64 v[40:41], v[157:158], v[40:41], -v[42:43]
	s_wait_loadcnt_dscnt 0x601
	v_mul_f64_e32 v[161:162], v[2:3], v[165:166]
	v_mul_f64_e32 v[165:166], v[4:5], v[165:166]
	v_add_f64_e32 v[38:39], v[38:39], v[173:174]
	v_add_f64_e32 v[42:43], v[44:45], v[171:172]
	s_wait_dscnt 0x0
	v_mul_f64_e32 v[44:45], v[34:35], v[8:9]
	v_mul_f64_e32 v[8:9], v[36:37], v[8:9]
	v_fma_f64 v[157:158], v[4:5], v[163:164], v[161:162]
	v_fma_f64 v[161:162], v[2:3], v[163:164], -v[165:166]
	v_add_f64_e32 v[163:164], v[38:39], v[40:41]
	v_add_f64_e32 v[42:43], v[42:43], v[159:160]
	ds_load_b128 v[2:5], v1 offset:1600
	ds_load_b128 v[38:41], v1 offset:1616
	v_fma_f64 v[36:37], v[36:37], v[6:7], v[44:45]
	v_fma_f64 v[6:7], v[34:35], v[6:7], -v[8:9]
	s_wait_loadcnt_dscnt 0x501
	v_mul_f64_e32 v[159:160], v[2:3], v[12:13]
	v_mul_f64_e32 v[12:13], v[4:5], v[12:13]
	v_add_f64_e32 v[8:9], v[163:164], v[161:162]
	v_add_f64_e32 v[34:35], v[42:43], v[157:158]
	s_wait_loadcnt_dscnt 0x400
	v_mul_f64_e32 v[42:43], v[38:39], v[16:17]
	v_mul_f64_e32 v[16:17], v[40:41], v[16:17]
	v_fma_f64 v[44:45], v[4:5], v[10:11], v[159:160]
	v_fma_f64 v[10:11], v[2:3], v[10:11], -v[12:13]
	v_add_f64_e32 v[12:13], v[8:9], v[6:7]
	v_add_f64_e32 v[34:35], v[34:35], v[36:37]
	ds_load_b128 v[2:5], v1 offset:1632
	ds_load_b128 v[6:9], v1 offset:1648
	v_fma_f64 v[40:41], v[40:41], v[14:15], v[42:43]
	v_fma_f64 v[14:15], v[38:39], v[14:15], -v[16:17]
	s_wait_loadcnt_dscnt 0x301
	v_mul_f64_e32 v[36:37], v[2:3], v[20:21]
	v_mul_f64_e32 v[20:21], v[4:5], v[20:21]
	s_wait_loadcnt_dscnt 0x200
	v_mul_f64_e32 v[16:17], v[6:7], v[24:25]
	v_mul_f64_e32 v[24:25], v[8:9], v[24:25]
	v_add_f64_e32 v[10:11], v[12:13], v[10:11]
	v_add_f64_e32 v[12:13], v[34:35], v[44:45]
	v_fma_f64 v[34:35], v[4:5], v[18:19], v[36:37]
	v_fma_f64 v[18:19], v[2:3], v[18:19], -v[20:21]
	v_fma_f64 v[8:9], v[8:9], v[22:23], v[16:17]
	v_fma_f64 v[6:7], v[6:7], v[22:23], -v[24:25]
	v_add_f64_e32 v[14:15], v[10:11], v[14:15]
	v_add_f64_e32 v[20:21], v[12:13], v[40:41]
	ds_load_b128 v[2:5], v1 offset:1664
	ds_load_b128 v[10:13], v1 offset:1680
	s_wait_loadcnt_dscnt 0x101
	v_mul_f64_e32 v[36:37], v[2:3], v[28:29]
	v_mul_f64_e32 v[28:29], v[4:5], v[28:29]
	v_add_f64_e32 v[14:15], v[14:15], v[18:19]
	v_add_f64_e32 v[16:17], v[20:21], v[34:35]
	s_wait_loadcnt_dscnt 0x0
	v_mul_f64_e32 v[18:19], v[10:11], v[32:33]
	v_mul_f64_e32 v[20:21], v[12:13], v[32:33]
	v_fma_f64 v[4:5], v[4:5], v[26:27], v[36:37]
	v_fma_f64 v[1:2], v[2:3], v[26:27], -v[28:29]
	v_add_f64_e32 v[6:7], v[14:15], v[6:7]
	v_add_f64_e32 v[8:9], v[16:17], v[8:9]
	v_fma_f64 v[12:13], v[12:13], v[30:31], v[18:19]
	v_fma_f64 v[10:11], v[10:11], v[30:31], -v[20:21]
	s_delay_alu instid0(VALU_DEP_4) | instskip(NEXT) | instid1(VALU_DEP_4)
	v_add_f64_e32 v[1:2], v[6:7], v[1:2]
	v_add_f64_e32 v[3:4], v[8:9], v[4:5]
	s_delay_alu instid0(VALU_DEP_2) | instskip(NEXT) | instid1(VALU_DEP_2)
	v_add_f64_e32 v[1:2], v[1:2], v[10:11]
	v_add_f64_e32 v[3:4], v[3:4], v[12:13]
	s_delay_alu instid0(VALU_DEP_2) | instskip(NEXT) | instid1(VALU_DEP_2)
	v_add_f64_e64 v[1:2], v[153:154], -v[1:2]
	v_add_f64_e64 v[3:4], v[155:156], -v[3:4]
	scratch_store_b128 off, v[1:4], off offset:400
	v_cmpx_lt_u32_e32 23, v0
	s_cbranch_execz .LBB116_285
; %bb.284:
	scratch_load_b128 v[1:4], off, s43
	v_mov_b32_e32 v5, 0
	s_delay_alu instid0(VALU_DEP_1)
	v_dual_mov_b32 v6, v5 :: v_dual_mov_b32 v7, v5
	v_mov_b32_e32 v8, v5
	scratch_store_b128 off, v[5:8], off offset:384
	s_wait_loadcnt 0x0
	ds_store_b128 v152, v[1:4]
.LBB116_285:
	s_wait_alu 0xfffe
	s_or_b32 exec_lo, exec_lo, s0
	s_wait_storecnt_dscnt 0x0
	s_barrier_signal -1
	s_barrier_wait -1
	global_inv scope:SCOPE_SE
	s_clause 0x7
	scratch_load_b128 v[2:5], off, off offset:400
	scratch_load_b128 v[6:9], off, off offset:416
	;; [unrolled: 1-line block ×8, first 2 shown]
	v_mov_b32_e32 v1, 0
	s_mov_b32 s0, exec_lo
	ds_load_b128 v[34:37], v1 offset:1232
	s_clause 0x1
	scratch_load_b128 v[38:41], off, off offset:528
	scratch_load_b128 v[42:45], off, off offset:384
	ds_load_b128 v[153:156], v1 offset:1248
	scratch_load_b128 v[157:160], off, off offset:544
	s_wait_loadcnt_dscnt 0xa01
	v_mul_f64_e32 v[161:162], v[36:37], v[4:5]
	v_mul_f64_e32 v[4:5], v[34:35], v[4:5]
	s_delay_alu instid0(VALU_DEP_2) | instskip(NEXT) | instid1(VALU_DEP_2)
	v_fma_f64 v[167:168], v[34:35], v[2:3], -v[161:162]
	v_fma_f64 v[169:170], v[36:37], v[2:3], v[4:5]
	ds_load_b128 v[2:5], v1 offset:1264
	s_wait_loadcnt_dscnt 0x901
	v_mul_f64_e32 v[165:166], v[153:154], v[8:9]
	v_mul_f64_e32 v[8:9], v[155:156], v[8:9]
	scratch_load_b128 v[34:37], off, off offset:560
	ds_load_b128 v[161:164], v1 offset:1280
	s_wait_loadcnt_dscnt 0x901
	v_mul_f64_e32 v[171:172], v[2:3], v[12:13]
	v_mul_f64_e32 v[12:13], v[4:5], v[12:13]
	v_fma_f64 v[155:156], v[155:156], v[6:7], v[165:166]
	v_fma_f64 v[153:154], v[153:154], v[6:7], -v[8:9]
	v_add_f64_e32 v[165:166], 0, v[167:168]
	v_add_f64_e32 v[167:168], 0, v[169:170]
	scratch_load_b128 v[6:9], off, off offset:576
	v_fma_f64 v[171:172], v[4:5], v[10:11], v[171:172]
	v_fma_f64 v[173:174], v[2:3], v[10:11], -v[12:13]
	ds_load_b128 v[2:5], v1 offset:1296
	s_wait_loadcnt_dscnt 0x901
	v_mul_f64_e32 v[169:170], v[161:162], v[16:17]
	v_mul_f64_e32 v[16:17], v[163:164], v[16:17]
	scratch_load_b128 v[10:13], off, off offset:592
	v_add_f64_e32 v[165:166], v[165:166], v[153:154]
	v_add_f64_e32 v[167:168], v[167:168], v[155:156]
	s_wait_loadcnt_dscnt 0x900
	v_mul_f64_e32 v[175:176], v[2:3], v[20:21]
	v_mul_f64_e32 v[20:21], v[4:5], v[20:21]
	ds_load_b128 v[153:156], v1 offset:1312
	v_fma_f64 v[163:164], v[163:164], v[14:15], v[169:170]
	v_fma_f64 v[161:162], v[161:162], v[14:15], -v[16:17]
	scratch_load_b128 v[14:17], off, off offset:608
	v_add_f64_e32 v[165:166], v[165:166], v[173:174]
	v_add_f64_e32 v[167:168], v[167:168], v[171:172]
	v_fma_f64 v[171:172], v[4:5], v[18:19], v[175:176]
	v_fma_f64 v[173:174], v[2:3], v[18:19], -v[20:21]
	ds_load_b128 v[2:5], v1 offset:1328
	s_wait_loadcnt_dscnt 0x901
	v_mul_f64_e32 v[169:170], v[153:154], v[24:25]
	v_mul_f64_e32 v[24:25], v[155:156], v[24:25]
	scratch_load_b128 v[18:21], off, off offset:624
	s_wait_loadcnt_dscnt 0x900
	v_mul_f64_e32 v[175:176], v[2:3], v[28:29]
	v_mul_f64_e32 v[28:29], v[4:5], v[28:29]
	v_add_f64_e32 v[165:166], v[165:166], v[161:162]
	v_add_f64_e32 v[167:168], v[167:168], v[163:164]
	ds_load_b128 v[161:164], v1 offset:1344
	v_fma_f64 v[155:156], v[155:156], v[22:23], v[169:170]
	v_fma_f64 v[153:154], v[153:154], v[22:23], -v[24:25]
	scratch_load_b128 v[22:25], off, off offset:640
	v_add_f64_e32 v[165:166], v[165:166], v[173:174]
	v_add_f64_e32 v[167:168], v[167:168], v[171:172]
	v_fma_f64 v[171:172], v[4:5], v[26:27], v[175:176]
	v_fma_f64 v[173:174], v[2:3], v[26:27], -v[28:29]
	ds_load_b128 v[2:5], v1 offset:1360
	s_wait_loadcnt_dscnt 0x901
	v_mul_f64_e32 v[169:170], v[161:162], v[32:33]
	v_mul_f64_e32 v[32:33], v[163:164], v[32:33]
	scratch_load_b128 v[26:29], off, off offset:656
	s_wait_loadcnt_dscnt 0x900
	v_mul_f64_e32 v[175:176], v[2:3], v[40:41]
	v_mul_f64_e32 v[40:41], v[4:5], v[40:41]
	v_add_f64_e32 v[165:166], v[165:166], v[153:154]
	v_add_f64_e32 v[167:168], v[167:168], v[155:156]
	ds_load_b128 v[153:156], v1 offset:1376
	v_fma_f64 v[163:164], v[163:164], v[30:31], v[169:170]
	v_fma_f64 v[161:162], v[161:162], v[30:31], -v[32:33]
	scratch_load_b128 v[30:33], off, off offset:672
	v_add_f64_e32 v[165:166], v[165:166], v[173:174]
	v_add_f64_e32 v[167:168], v[167:168], v[171:172]
	v_fma_f64 v[173:174], v[4:5], v[38:39], v[175:176]
	v_fma_f64 v[175:176], v[2:3], v[38:39], -v[40:41]
	ds_load_b128 v[2:5], v1 offset:1392
	s_wait_loadcnt_dscnt 0x801
	v_mul_f64_e32 v[169:170], v[153:154], v[159:160]
	v_mul_f64_e32 v[171:172], v[155:156], v[159:160]
	scratch_load_b128 v[38:41], off, off offset:688
	v_add_f64_e32 v[165:166], v[165:166], v[161:162]
	v_add_f64_e32 v[163:164], v[167:168], v[163:164]
	ds_load_b128 v[159:162], v1 offset:1408
	v_fma_f64 v[169:170], v[155:156], v[157:158], v[169:170]
	v_fma_f64 v[157:158], v[153:154], v[157:158], -v[171:172]
	scratch_load_b128 v[153:156], off, off offset:704
	s_wait_loadcnt_dscnt 0x901
	v_mul_f64_e32 v[167:168], v[2:3], v[36:37]
	v_mul_f64_e32 v[36:37], v[4:5], v[36:37]
	v_add_f64_e32 v[165:166], v[165:166], v[175:176]
	v_add_f64_e32 v[163:164], v[163:164], v[173:174]
	s_delay_alu instid0(VALU_DEP_4) | instskip(NEXT) | instid1(VALU_DEP_4)
	v_fma_f64 v[167:168], v[4:5], v[34:35], v[167:168]
	v_fma_f64 v[173:174], v[2:3], v[34:35], -v[36:37]
	ds_load_b128 v[2:5], v1 offset:1424
	s_wait_loadcnt_dscnt 0x801
	v_mul_f64_e32 v[171:172], v[159:160], v[8:9]
	v_mul_f64_e32 v[8:9], v[161:162], v[8:9]
	scratch_load_b128 v[34:37], off, off offset:720
	s_wait_loadcnt_dscnt 0x800
	v_mul_f64_e32 v[175:176], v[2:3], v[12:13]
	v_add_f64_e32 v[157:158], v[165:166], v[157:158]
	v_add_f64_e32 v[169:170], v[163:164], v[169:170]
	v_mul_f64_e32 v[12:13], v[4:5], v[12:13]
	ds_load_b128 v[163:166], v1 offset:1440
	v_fma_f64 v[161:162], v[161:162], v[6:7], v[171:172]
	v_fma_f64 v[159:160], v[159:160], v[6:7], -v[8:9]
	scratch_load_b128 v[6:9], off, off offset:736
	v_fma_f64 v[171:172], v[4:5], v[10:11], v[175:176]
	v_add_f64_e32 v[157:158], v[157:158], v[173:174]
	v_add_f64_e32 v[167:168], v[169:170], v[167:168]
	v_fma_f64 v[173:174], v[2:3], v[10:11], -v[12:13]
	ds_load_b128 v[2:5], v1 offset:1456
	s_wait_loadcnt_dscnt 0x801
	v_mul_f64_e32 v[169:170], v[163:164], v[16:17]
	v_mul_f64_e32 v[16:17], v[165:166], v[16:17]
	scratch_load_b128 v[10:13], off, off offset:752
	v_add_f64_e32 v[175:176], v[157:158], v[159:160]
	v_add_f64_e32 v[161:162], v[167:168], v[161:162]
	s_wait_loadcnt_dscnt 0x800
	v_mul_f64_e32 v[167:168], v[2:3], v[20:21]
	v_mul_f64_e32 v[20:21], v[4:5], v[20:21]
	v_fma_f64 v[165:166], v[165:166], v[14:15], v[169:170]
	v_fma_f64 v[163:164], v[163:164], v[14:15], -v[16:17]
	ds_load_b128 v[157:160], v1 offset:1472
	scratch_load_b128 v[14:17], off, off offset:768
	v_add_f64_e32 v[169:170], v[175:176], v[173:174]
	v_add_f64_e32 v[161:162], v[161:162], v[171:172]
	v_fma_f64 v[167:168], v[4:5], v[18:19], v[167:168]
	v_fma_f64 v[173:174], v[2:3], v[18:19], -v[20:21]
	ds_load_b128 v[2:5], v1 offset:1488
	s_wait_loadcnt_dscnt 0x801
	v_mul_f64_e32 v[171:172], v[157:158], v[24:25]
	v_mul_f64_e32 v[24:25], v[159:160], v[24:25]
	scratch_load_b128 v[18:21], off, off offset:784
	s_wait_loadcnt_dscnt 0x800
	v_mul_f64_e32 v[175:176], v[2:3], v[28:29]
	v_mul_f64_e32 v[28:29], v[4:5], v[28:29]
	v_add_f64_e32 v[169:170], v[169:170], v[163:164]
	v_add_f64_e32 v[165:166], v[161:162], v[165:166]
	ds_load_b128 v[161:164], v1 offset:1504
	v_fma_f64 v[159:160], v[159:160], v[22:23], v[171:172]
	v_fma_f64 v[157:158], v[157:158], v[22:23], -v[24:25]
	scratch_load_b128 v[22:25], off, off offset:800
	v_fma_f64 v[171:172], v[4:5], v[26:27], v[175:176]
	v_add_f64_e32 v[169:170], v[169:170], v[173:174]
	v_add_f64_e32 v[165:166], v[165:166], v[167:168]
	v_fma_f64 v[173:174], v[2:3], v[26:27], -v[28:29]
	ds_load_b128 v[2:5], v1 offset:1520
	s_wait_loadcnt_dscnt 0x801
	v_mul_f64_e32 v[167:168], v[161:162], v[32:33]
	v_mul_f64_e32 v[32:33], v[163:164], v[32:33]
	scratch_load_b128 v[26:29], off, off offset:816
	s_wait_loadcnt_dscnt 0x800
	v_mul_f64_e32 v[175:176], v[2:3], v[40:41]
	v_mul_f64_e32 v[40:41], v[4:5], v[40:41]
	v_add_f64_e32 v[169:170], v[169:170], v[157:158]
	v_add_f64_e32 v[165:166], v[165:166], v[159:160]
	ds_load_b128 v[157:160], v1 offset:1536
	v_fma_f64 v[163:164], v[163:164], v[30:31], v[167:168]
	v_fma_f64 v[161:162], v[161:162], v[30:31], -v[32:33]
	scratch_load_b128 v[30:33], off, off offset:832
	v_add_f64_e32 v[167:168], v[169:170], v[173:174]
	v_add_f64_e32 v[165:166], v[165:166], v[171:172]
	v_fma_f64 v[171:172], v[4:5], v[38:39], v[175:176]
	v_fma_f64 v[173:174], v[2:3], v[38:39], -v[40:41]
	ds_load_b128 v[2:5], v1 offset:1552
	s_wait_loadcnt_dscnt 0x801
	v_mul_f64_e32 v[169:170], v[157:158], v[155:156]
	v_mul_f64_e32 v[155:156], v[159:160], v[155:156]
	scratch_load_b128 v[38:41], off, off offset:848
	s_wait_loadcnt_dscnt 0x800
	v_mul_f64_e32 v[175:176], v[2:3], v[36:37]
	v_mul_f64_e32 v[36:37], v[4:5], v[36:37]
	v_add_f64_e32 v[167:168], v[167:168], v[161:162]
	v_add_f64_e32 v[165:166], v[165:166], v[163:164]
	ds_load_b128 v[161:164], v1 offset:1568
	v_fma_f64 v[159:160], v[159:160], v[153:154], v[169:170]
	v_fma_f64 v[153:154], v[157:158], v[153:154], -v[155:156]
	v_fma_f64 v[169:170], v[2:3], v[34:35], -v[36:37]
	v_add_f64_e32 v[155:156], v[167:168], v[173:174]
	v_add_f64_e32 v[157:158], v[165:166], v[171:172]
	s_wait_loadcnt_dscnt 0x700
	v_mul_f64_e32 v[165:166], v[161:162], v[8:9]
	v_mul_f64_e32 v[8:9], v[163:164], v[8:9]
	v_fma_f64 v[167:168], v[4:5], v[34:35], v[175:176]
	ds_load_b128 v[2:5], v1 offset:1584
	ds_load_b128 v[34:37], v1 offset:1600
	v_add_f64_e32 v[153:154], v[155:156], v[153:154]
	v_add_f64_e32 v[155:156], v[157:158], v[159:160]
	s_wait_loadcnt_dscnt 0x601
	v_mul_f64_e32 v[157:158], v[2:3], v[12:13]
	v_mul_f64_e32 v[12:13], v[4:5], v[12:13]
	v_fma_f64 v[159:160], v[163:164], v[6:7], v[165:166]
	v_fma_f64 v[6:7], v[161:162], v[6:7], -v[8:9]
	v_add_f64_e32 v[8:9], v[153:154], v[169:170]
	v_add_f64_e32 v[153:154], v[155:156], v[167:168]
	s_wait_loadcnt_dscnt 0x500
	v_mul_f64_e32 v[155:156], v[34:35], v[16:17]
	v_mul_f64_e32 v[16:17], v[36:37], v[16:17]
	v_fma_f64 v[157:158], v[4:5], v[10:11], v[157:158]
	v_fma_f64 v[10:11], v[2:3], v[10:11], -v[12:13]
	v_add_f64_e32 v[12:13], v[8:9], v[6:7]
	v_add_f64_e32 v[153:154], v[153:154], v[159:160]
	ds_load_b128 v[2:5], v1 offset:1616
	ds_load_b128 v[6:9], v1 offset:1632
	v_fma_f64 v[36:37], v[36:37], v[14:15], v[155:156]
	v_fma_f64 v[14:15], v[34:35], v[14:15], -v[16:17]
	s_wait_loadcnt_dscnt 0x401
	v_mul_f64_e32 v[159:160], v[2:3], v[20:21]
	v_mul_f64_e32 v[20:21], v[4:5], v[20:21]
	s_wait_loadcnt_dscnt 0x300
	v_mul_f64_e32 v[16:17], v[6:7], v[24:25]
	v_mul_f64_e32 v[24:25], v[8:9], v[24:25]
	v_add_f64_e32 v[10:11], v[12:13], v[10:11]
	v_add_f64_e32 v[12:13], v[153:154], v[157:158]
	v_fma_f64 v[34:35], v[4:5], v[18:19], v[159:160]
	v_fma_f64 v[18:19], v[2:3], v[18:19], -v[20:21]
	v_fma_f64 v[8:9], v[8:9], v[22:23], v[16:17]
	v_fma_f64 v[6:7], v[6:7], v[22:23], -v[24:25]
	v_add_f64_e32 v[14:15], v[10:11], v[14:15]
	v_add_f64_e32 v[20:21], v[12:13], v[36:37]
	ds_load_b128 v[2:5], v1 offset:1648
	ds_load_b128 v[10:13], v1 offset:1664
	s_wait_loadcnt_dscnt 0x201
	v_mul_f64_e32 v[36:37], v[2:3], v[28:29]
	v_mul_f64_e32 v[28:29], v[4:5], v[28:29]
	v_add_f64_e32 v[14:15], v[14:15], v[18:19]
	v_add_f64_e32 v[16:17], v[20:21], v[34:35]
	s_wait_loadcnt_dscnt 0x100
	v_mul_f64_e32 v[18:19], v[10:11], v[32:33]
	v_mul_f64_e32 v[20:21], v[12:13], v[32:33]
	v_fma_f64 v[22:23], v[4:5], v[26:27], v[36:37]
	v_fma_f64 v[24:25], v[2:3], v[26:27], -v[28:29]
	ds_load_b128 v[2:5], v1 offset:1680
	v_add_f64_e32 v[6:7], v[14:15], v[6:7]
	v_add_f64_e32 v[8:9], v[16:17], v[8:9]
	v_fma_f64 v[12:13], v[12:13], v[30:31], v[18:19]
	v_fma_f64 v[10:11], v[10:11], v[30:31], -v[20:21]
	s_wait_loadcnt_dscnt 0x0
	v_mul_f64_e32 v[14:15], v[2:3], v[40:41]
	v_mul_f64_e32 v[16:17], v[4:5], v[40:41]
	v_add_f64_e32 v[6:7], v[6:7], v[24:25]
	v_add_f64_e32 v[8:9], v[8:9], v[22:23]
	s_delay_alu instid0(VALU_DEP_4) | instskip(NEXT) | instid1(VALU_DEP_4)
	v_fma_f64 v[4:5], v[4:5], v[38:39], v[14:15]
	v_fma_f64 v[2:3], v[2:3], v[38:39], -v[16:17]
	s_delay_alu instid0(VALU_DEP_4) | instskip(NEXT) | instid1(VALU_DEP_4)
	v_add_f64_e32 v[6:7], v[6:7], v[10:11]
	v_add_f64_e32 v[8:9], v[8:9], v[12:13]
	s_delay_alu instid0(VALU_DEP_2) | instskip(NEXT) | instid1(VALU_DEP_2)
	v_add_f64_e32 v[2:3], v[6:7], v[2:3]
	v_add_f64_e32 v[4:5], v[8:9], v[4:5]
	s_delay_alu instid0(VALU_DEP_2) | instskip(NEXT) | instid1(VALU_DEP_2)
	v_add_f64_e64 v[2:3], v[42:43], -v[2:3]
	v_add_f64_e64 v[4:5], v[44:45], -v[4:5]
	scratch_store_b128 off, v[2:5], off offset:384
	v_cmpx_lt_u32_e32 22, v0
	s_cbranch_execz .LBB116_287
; %bb.286:
	scratch_load_b128 v[5:8], off, s44
	v_dual_mov_b32 v2, v1 :: v_dual_mov_b32 v3, v1
	v_mov_b32_e32 v4, v1
	scratch_store_b128 off, v[1:4], off offset:368
	s_wait_loadcnt 0x0
	ds_store_b128 v152, v[5:8]
.LBB116_287:
	s_wait_alu 0xfffe
	s_or_b32 exec_lo, exec_lo, s0
	s_wait_storecnt_dscnt 0x0
	s_barrier_signal -1
	s_barrier_wait -1
	global_inv scope:SCOPE_SE
	s_clause 0x8
	scratch_load_b128 v[2:5], off, off offset:384
	scratch_load_b128 v[6:9], off, off offset:400
	;; [unrolled: 1-line block ×9, first 2 shown]
	ds_load_b128 v[38:41], v1 offset:1216
	ds_load_b128 v[42:45], v1 offset:1232
	s_clause 0x1
	scratch_load_b128 v[153:156], off, off offset:368
	scratch_load_b128 v[157:160], off, off offset:528
	s_mov_b32 s0, exec_lo
	s_wait_loadcnt_dscnt 0xa01
	v_mul_f64_e32 v[161:162], v[40:41], v[4:5]
	v_mul_f64_e32 v[4:5], v[38:39], v[4:5]
	s_wait_loadcnt_dscnt 0x900
	v_mul_f64_e32 v[165:166], v[42:43], v[8:9]
	v_mul_f64_e32 v[8:9], v[44:45], v[8:9]
	s_delay_alu instid0(VALU_DEP_4) | instskip(NEXT) | instid1(VALU_DEP_4)
	v_fma_f64 v[167:168], v[38:39], v[2:3], -v[161:162]
	v_fma_f64 v[169:170], v[40:41], v[2:3], v[4:5]
	ds_load_b128 v[2:5], v1 offset:1248
	ds_load_b128 v[161:164], v1 offset:1264
	scratch_load_b128 v[38:41], off, off offset:544
	v_fma_f64 v[44:45], v[44:45], v[6:7], v[165:166]
	v_fma_f64 v[42:43], v[42:43], v[6:7], -v[8:9]
	scratch_load_b128 v[6:9], off, off offset:560
	s_wait_loadcnt_dscnt 0xa01
	v_mul_f64_e32 v[171:172], v[2:3], v[12:13]
	v_mul_f64_e32 v[12:13], v[4:5], v[12:13]
	v_add_f64_e32 v[165:166], 0, v[167:168]
	v_add_f64_e32 v[167:168], 0, v[169:170]
	s_wait_loadcnt_dscnt 0x900
	v_mul_f64_e32 v[169:170], v[161:162], v[16:17]
	v_mul_f64_e32 v[16:17], v[163:164], v[16:17]
	v_fma_f64 v[171:172], v[4:5], v[10:11], v[171:172]
	v_fma_f64 v[173:174], v[2:3], v[10:11], -v[12:13]
	ds_load_b128 v[2:5], v1 offset:1280
	scratch_load_b128 v[10:13], off, off offset:576
	v_add_f64_e32 v[165:166], v[165:166], v[42:43]
	v_add_f64_e32 v[167:168], v[167:168], v[44:45]
	ds_load_b128 v[42:45], v1 offset:1296
	v_fma_f64 v[163:164], v[163:164], v[14:15], v[169:170]
	v_fma_f64 v[161:162], v[161:162], v[14:15], -v[16:17]
	scratch_load_b128 v[14:17], off, off offset:592
	s_wait_loadcnt_dscnt 0xa01
	v_mul_f64_e32 v[175:176], v[2:3], v[20:21]
	v_mul_f64_e32 v[20:21], v[4:5], v[20:21]
	s_wait_loadcnt_dscnt 0x900
	v_mul_f64_e32 v[169:170], v[42:43], v[24:25]
	v_mul_f64_e32 v[24:25], v[44:45], v[24:25]
	v_add_f64_e32 v[165:166], v[165:166], v[173:174]
	v_add_f64_e32 v[167:168], v[167:168], v[171:172]
	v_fma_f64 v[171:172], v[4:5], v[18:19], v[175:176]
	v_fma_f64 v[173:174], v[2:3], v[18:19], -v[20:21]
	ds_load_b128 v[2:5], v1 offset:1312
	scratch_load_b128 v[18:21], off, off offset:608
	v_fma_f64 v[44:45], v[44:45], v[22:23], v[169:170]
	v_fma_f64 v[42:43], v[42:43], v[22:23], -v[24:25]
	scratch_load_b128 v[22:25], off, off offset:624
	v_add_f64_e32 v[165:166], v[165:166], v[161:162]
	v_add_f64_e32 v[167:168], v[167:168], v[163:164]
	ds_load_b128 v[161:164], v1 offset:1328
	s_wait_loadcnt_dscnt 0xa01
	v_mul_f64_e32 v[175:176], v[2:3], v[28:29]
	v_mul_f64_e32 v[28:29], v[4:5], v[28:29]
	s_wait_loadcnt_dscnt 0x900
	v_mul_f64_e32 v[169:170], v[161:162], v[32:33]
	v_mul_f64_e32 v[32:33], v[163:164], v[32:33]
	v_add_f64_e32 v[165:166], v[165:166], v[173:174]
	v_add_f64_e32 v[167:168], v[167:168], v[171:172]
	v_fma_f64 v[171:172], v[4:5], v[26:27], v[175:176]
	v_fma_f64 v[173:174], v[2:3], v[26:27], -v[28:29]
	ds_load_b128 v[2:5], v1 offset:1344
	scratch_load_b128 v[26:29], off, off offset:640
	v_fma_f64 v[163:164], v[163:164], v[30:31], v[169:170]
	v_fma_f64 v[161:162], v[161:162], v[30:31], -v[32:33]
	scratch_load_b128 v[30:33], off, off offset:656
	v_add_f64_e32 v[165:166], v[165:166], v[42:43]
	v_add_f64_e32 v[167:168], v[167:168], v[44:45]
	ds_load_b128 v[42:45], v1 offset:1360
	s_wait_loadcnt_dscnt 0xa01
	v_mul_f64_e32 v[175:176], v[2:3], v[36:37]
	v_mul_f64_e32 v[36:37], v[4:5], v[36:37]
	s_wait_loadcnt_dscnt 0x800
	v_mul_f64_e32 v[169:170], v[42:43], v[159:160]
	v_add_f64_e32 v[165:166], v[165:166], v[173:174]
	v_add_f64_e32 v[167:168], v[167:168], v[171:172]
	v_mul_f64_e32 v[171:172], v[44:45], v[159:160]
	v_fma_f64 v[173:174], v[4:5], v[34:35], v[175:176]
	v_fma_f64 v[175:176], v[2:3], v[34:35], -v[36:37]
	ds_load_b128 v[2:5], v1 offset:1376
	scratch_load_b128 v[34:37], off, off offset:672
	v_fma_f64 v[44:45], v[44:45], v[157:158], v[169:170]
	v_add_f64_e32 v[165:166], v[165:166], v[161:162]
	v_add_f64_e32 v[163:164], v[167:168], v[163:164]
	ds_load_b128 v[159:162], v1 offset:1392
	v_fma_f64 v[157:158], v[42:43], v[157:158], -v[171:172]
	s_wait_loadcnt_dscnt 0x801
	v_mul_f64_e32 v[167:168], v[2:3], v[40:41]
	v_mul_f64_e32 v[177:178], v[4:5], v[40:41]
	scratch_load_b128 v[40:43], off, off offset:688
	s_wait_loadcnt_dscnt 0x800
	v_mul_f64_e32 v[171:172], v[159:160], v[8:9]
	v_mul_f64_e32 v[8:9], v[161:162], v[8:9]
	v_add_f64_e32 v[165:166], v[165:166], v[175:176]
	v_add_f64_e32 v[163:164], v[163:164], v[173:174]
	v_fma_f64 v[173:174], v[4:5], v[38:39], v[167:168]
	v_fma_f64 v[38:39], v[2:3], v[38:39], -v[177:178]
	ds_load_b128 v[2:5], v1 offset:1408
	ds_load_b128 v[167:170], v1 offset:1424
	v_fma_f64 v[161:162], v[161:162], v[6:7], v[171:172]
	v_fma_f64 v[159:160], v[159:160], v[6:7], -v[8:9]
	scratch_load_b128 v[6:9], off, off offset:720
	v_add_f64_e32 v[157:158], v[165:166], v[157:158]
	v_add_f64_e32 v[44:45], v[163:164], v[44:45]
	scratch_load_b128 v[163:166], off, off offset:704
	s_wait_loadcnt_dscnt 0x901
	v_mul_f64_e32 v[175:176], v[2:3], v[12:13]
	v_mul_f64_e32 v[12:13], v[4:5], v[12:13]
	s_wait_loadcnt_dscnt 0x800
	v_mul_f64_e32 v[171:172], v[167:168], v[16:17]
	v_mul_f64_e32 v[16:17], v[169:170], v[16:17]
	v_add_f64_e32 v[38:39], v[157:158], v[38:39]
	v_add_f64_e32 v[44:45], v[44:45], v[173:174]
	v_fma_f64 v[173:174], v[4:5], v[10:11], v[175:176]
	v_fma_f64 v[175:176], v[2:3], v[10:11], -v[12:13]
	ds_load_b128 v[2:5], v1 offset:1440
	scratch_load_b128 v[10:13], off, off offset:736
	v_fma_f64 v[169:170], v[169:170], v[14:15], v[171:172]
	v_fma_f64 v[167:168], v[167:168], v[14:15], -v[16:17]
	scratch_load_b128 v[14:17], off, off offset:752
	v_add_f64_e32 v[38:39], v[38:39], v[159:160]
	v_add_f64_e32 v[44:45], v[44:45], v[161:162]
	ds_load_b128 v[157:160], v1 offset:1456
	s_wait_loadcnt_dscnt 0x901
	v_mul_f64_e32 v[161:162], v[2:3], v[20:21]
	v_mul_f64_e32 v[20:21], v[4:5], v[20:21]
	s_wait_loadcnt_dscnt 0x800
	v_mul_f64_e32 v[171:172], v[157:158], v[24:25]
	v_mul_f64_e32 v[24:25], v[159:160], v[24:25]
	v_add_f64_e32 v[38:39], v[38:39], v[175:176]
	v_add_f64_e32 v[44:45], v[44:45], v[173:174]
	v_fma_f64 v[161:162], v[4:5], v[18:19], v[161:162]
	v_fma_f64 v[173:174], v[2:3], v[18:19], -v[20:21]
	ds_load_b128 v[2:5], v1 offset:1472
	scratch_load_b128 v[18:21], off, off offset:768
	v_fma_f64 v[159:160], v[159:160], v[22:23], v[171:172]
	v_fma_f64 v[157:158], v[157:158], v[22:23], -v[24:25]
	scratch_load_b128 v[22:25], off, off offset:784
	v_add_f64_e32 v[38:39], v[38:39], v[167:168]
	v_add_f64_e32 v[44:45], v[44:45], v[169:170]
	ds_load_b128 v[167:170], v1 offset:1488
	s_wait_loadcnt_dscnt 0x901
	v_mul_f64_e32 v[175:176], v[2:3], v[28:29]
	v_mul_f64_e32 v[28:29], v[4:5], v[28:29]
	v_add_f64_e32 v[38:39], v[38:39], v[173:174]
	v_add_f64_e32 v[44:45], v[44:45], v[161:162]
	s_wait_loadcnt_dscnt 0x800
	v_mul_f64_e32 v[161:162], v[167:168], v[32:33]
	v_mul_f64_e32 v[32:33], v[169:170], v[32:33]
	v_fma_f64 v[171:172], v[4:5], v[26:27], v[175:176]
	v_fma_f64 v[173:174], v[2:3], v[26:27], -v[28:29]
	ds_load_b128 v[2:5], v1 offset:1504
	scratch_load_b128 v[26:29], off, off offset:800
	v_add_f64_e32 v[38:39], v[38:39], v[157:158]
	v_add_f64_e32 v[44:45], v[44:45], v[159:160]
	ds_load_b128 v[157:160], v1 offset:1520
	s_wait_loadcnt_dscnt 0x801
	v_mul_f64_e32 v[175:176], v[2:3], v[36:37]
	v_mul_f64_e32 v[36:37], v[4:5], v[36:37]
	v_fma_f64 v[161:162], v[169:170], v[30:31], v[161:162]
	v_fma_f64 v[167:168], v[167:168], v[30:31], -v[32:33]
	scratch_load_b128 v[30:33], off, off offset:816
	s_wait_loadcnt_dscnt 0x800
	v_mul_f64_e32 v[169:170], v[157:158], v[42:43]
	v_add_f64_e32 v[38:39], v[38:39], v[173:174]
	v_add_f64_e32 v[44:45], v[44:45], v[171:172]
	v_mul_f64_e32 v[171:172], v[159:160], v[42:43]
	v_fma_f64 v[173:174], v[4:5], v[34:35], v[175:176]
	v_fma_f64 v[175:176], v[2:3], v[34:35], -v[36:37]
	ds_load_b128 v[2:5], v1 offset:1536
	scratch_load_b128 v[34:37], off, off offset:832
	v_fma_f64 v[159:160], v[159:160], v[40:41], v[169:170]
	v_add_f64_e32 v[38:39], v[38:39], v[167:168]
	v_add_f64_e32 v[161:162], v[44:45], v[161:162]
	ds_load_b128 v[42:45], v1 offset:1552
	v_fma_f64 v[157:158], v[157:158], v[40:41], -v[171:172]
	s_wait_loadcnt_dscnt 0x701
	v_mul_f64_e32 v[167:168], v[2:3], v[165:166]
	v_mul_f64_e32 v[165:166], v[4:5], v[165:166]
	s_wait_dscnt 0x0
	v_mul_f64_e32 v[171:172], v[42:43], v[8:9]
	v_mul_f64_e32 v[8:9], v[44:45], v[8:9]
	v_add_f64_e32 v[169:170], v[38:39], v[175:176]
	v_add_f64_e32 v[161:162], v[161:162], v[173:174]
	scratch_load_b128 v[38:41], off, off offset:848
	v_fma_f64 v[167:168], v[4:5], v[163:164], v[167:168]
	v_fma_f64 v[163:164], v[2:3], v[163:164], -v[165:166]
	v_fma_f64 v[44:45], v[44:45], v[6:7], v[171:172]
	v_fma_f64 v[6:7], v[42:43], v[6:7], -v[8:9]
	v_add_f64_e32 v[165:166], v[169:170], v[157:158]
	v_add_f64_e32 v[161:162], v[161:162], v[159:160]
	ds_load_b128 v[2:5], v1 offset:1568
	ds_load_b128 v[157:160], v1 offset:1584
	s_wait_loadcnt_dscnt 0x701
	v_mul_f64_e32 v[169:170], v[2:3], v[12:13]
	v_mul_f64_e32 v[12:13], v[4:5], v[12:13]
	v_add_f64_e32 v[8:9], v[165:166], v[163:164]
	v_add_f64_e32 v[42:43], v[161:162], v[167:168]
	s_wait_loadcnt_dscnt 0x600
	v_mul_f64_e32 v[161:162], v[157:158], v[16:17]
	v_mul_f64_e32 v[16:17], v[159:160], v[16:17]
	v_fma_f64 v[163:164], v[4:5], v[10:11], v[169:170]
	v_fma_f64 v[10:11], v[2:3], v[10:11], -v[12:13]
	v_add_f64_e32 v[12:13], v[8:9], v[6:7]
	v_add_f64_e32 v[42:43], v[42:43], v[44:45]
	ds_load_b128 v[2:5], v1 offset:1600
	ds_load_b128 v[6:9], v1 offset:1616
	v_fma_f64 v[159:160], v[159:160], v[14:15], v[161:162]
	v_fma_f64 v[14:15], v[157:158], v[14:15], -v[16:17]
	s_wait_loadcnt_dscnt 0x501
	v_mul_f64_e32 v[44:45], v[2:3], v[20:21]
	v_mul_f64_e32 v[20:21], v[4:5], v[20:21]
	s_wait_loadcnt_dscnt 0x400
	v_mul_f64_e32 v[16:17], v[6:7], v[24:25]
	v_mul_f64_e32 v[24:25], v[8:9], v[24:25]
	v_add_f64_e32 v[10:11], v[12:13], v[10:11]
	v_add_f64_e32 v[12:13], v[42:43], v[163:164]
	v_fma_f64 v[42:43], v[4:5], v[18:19], v[44:45]
	v_fma_f64 v[18:19], v[2:3], v[18:19], -v[20:21]
	v_fma_f64 v[8:9], v[8:9], v[22:23], v[16:17]
	v_fma_f64 v[6:7], v[6:7], v[22:23], -v[24:25]
	v_add_f64_e32 v[14:15], v[10:11], v[14:15]
	v_add_f64_e32 v[20:21], v[12:13], v[159:160]
	ds_load_b128 v[2:5], v1 offset:1632
	ds_load_b128 v[10:13], v1 offset:1648
	s_wait_loadcnt_dscnt 0x301
	v_mul_f64_e32 v[44:45], v[2:3], v[28:29]
	v_mul_f64_e32 v[28:29], v[4:5], v[28:29]
	v_add_f64_e32 v[14:15], v[14:15], v[18:19]
	v_add_f64_e32 v[16:17], v[20:21], v[42:43]
	s_wait_loadcnt_dscnt 0x200
	v_mul_f64_e32 v[18:19], v[10:11], v[32:33]
	v_mul_f64_e32 v[20:21], v[12:13], v[32:33]
	v_fma_f64 v[22:23], v[4:5], v[26:27], v[44:45]
	v_fma_f64 v[24:25], v[2:3], v[26:27], -v[28:29]
	v_add_f64_e32 v[14:15], v[14:15], v[6:7]
	v_add_f64_e32 v[16:17], v[16:17], v[8:9]
	ds_load_b128 v[2:5], v1 offset:1664
	ds_load_b128 v[6:9], v1 offset:1680
	v_fma_f64 v[12:13], v[12:13], v[30:31], v[18:19]
	v_fma_f64 v[10:11], v[10:11], v[30:31], -v[20:21]
	s_wait_loadcnt_dscnt 0x101
	v_mul_f64_e32 v[26:27], v[2:3], v[36:37]
	v_mul_f64_e32 v[28:29], v[4:5], v[36:37]
	v_add_f64_e32 v[14:15], v[14:15], v[24:25]
	v_add_f64_e32 v[16:17], v[16:17], v[22:23]
	s_wait_loadcnt_dscnt 0x0
	v_mul_f64_e32 v[18:19], v[6:7], v[40:41]
	v_mul_f64_e32 v[20:21], v[8:9], v[40:41]
	v_fma_f64 v[4:5], v[4:5], v[34:35], v[26:27]
	v_fma_f64 v[1:2], v[2:3], v[34:35], -v[28:29]
	v_add_f64_e32 v[10:11], v[14:15], v[10:11]
	v_add_f64_e32 v[12:13], v[16:17], v[12:13]
	v_fma_f64 v[8:9], v[8:9], v[38:39], v[18:19]
	v_fma_f64 v[6:7], v[6:7], v[38:39], -v[20:21]
	s_delay_alu instid0(VALU_DEP_4) | instskip(NEXT) | instid1(VALU_DEP_4)
	v_add_f64_e32 v[1:2], v[10:11], v[1:2]
	v_add_f64_e32 v[3:4], v[12:13], v[4:5]
	s_delay_alu instid0(VALU_DEP_2) | instskip(NEXT) | instid1(VALU_DEP_2)
	v_add_f64_e32 v[1:2], v[1:2], v[6:7]
	v_add_f64_e32 v[3:4], v[3:4], v[8:9]
	s_delay_alu instid0(VALU_DEP_2) | instskip(NEXT) | instid1(VALU_DEP_2)
	v_add_f64_e64 v[1:2], v[153:154], -v[1:2]
	v_add_f64_e64 v[3:4], v[155:156], -v[3:4]
	scratch_store_b128 off, v[1:4], off offset:368
	v_cmpx_lt_u32_e32 21, v0
	s_cbranch_execz .LBB116_289
; %bb.288:
	scratch_load_b128 v[1:4], off, s45
	v_mov_b32_e32 v5, 0
	s_delay_alu instid0(VALU_DEP_1)
	v_dual_mov_b32 v6, v5 :: v_dual_mov_b32 v7, v5
	v_mov_b32_e32 v8, v5
	scratch_store_b128 off, v[5:8], off offset:352
	s_wait_loadcnt 0x0
	ds_store_b128 v152, v[1:4]
.LBB116_289:
	s_wait_alu 0xfffe
	s_or_b32 exec_lo, exec_lo, s0
	s_wait_storecnt_dscnt 0x0
	s_barrier_signal -1
	s_barrier_wait -1
	global_inv scope:SCOPE_SE
	s_clause 0x7
	scratch_load_b128 v[2:5], off, off offset:368
	scratch_load_b128 v[6:9], off, off offset:384
	;; [unrolled: 1-line block ×8, first 2 shown]
	v_mov_b32_e32 v1, 0
	s_mov_b32 s0, exec_lo
	ds_load_b128 v[34:37], v1 offset:1200
	s_clause 0x1
	scratch_load_b128 v[38:41], off, off offset:496
	scratch_load_b128 v[42:45], off, off offset:352
	ds_load_b128 v[153:156], v1 offset:1216
	scratch_load_b128 v[157:160], off, off offset:512
	s_wait_loadcnt_dscnt 0xa01
	v_mul_f64_e32 v[161:162], v[36:37], v[4:5]
	v_mul_f64_e32 v[4:5], v[34:35], v[4:5]
	s_delay_alu instid0(VALU_DEP_2) | instskip(NEXT) | instid1(VALU_DEP_2)
	v_fma_f64 v[167:168], v[34:35], v[2:3], -v[161:162]
	v_fma_f64 v[169:170], v[36:37], v[2:3], v[4:5]
	ds_load_b128 v[2:5], v1 offset:1232
	s_wait_loadcnt_dscnt 0x901
	v_mul_f64_e32 v[165:166], v[153:154], v[8:9]
	v_mul_f64_e32 v[8:9], v[155:156], v[8:9]
	scratch_load_b128 v[34:37], off, off offset:528
	ds_load_b128 v[161:164], v1 offset:1248
	s_wait_loadcnt_dscnt 0x901
	v_mul_f64_e32 v[171:172], v[2:3], v[12:13]
	v_mul_f64_e32 v[12:13], v[4:5], v[12:13]
	v_fma_f64 v[155:156], v[155:156], v[6:7], v[165:166]
	v_fma_f64 v[153:154], v[153:154], v[6:7], -v[8:9]
	v_add_f64_e32 v[165:166], 0, v[167:168]
	v_add_f64_e32 v[167:168], 0, v[169:170]
	scratch_load_b128 v[6:9], off, off offset:544
	v_fma_f64 v[171:172], v[4:5], v[10:11], v[171:172]
	v_fma_f64 v[173:174], v[2:3], v[10:11], -v[12:13]
	ds_load_b128 v[2:5], v1 offset:1264
	s_wait_loadcnt_dscnt 0x901
	v_mul_f64_e32 v[169:170], v[161:162], v[16:17]
	v_mul_f64_e32 v[16:17], v[163:164], v[16:17]
	scratch_load_b128 v[10:13], off, off offset:560
	v_add_f64_e32 v[165:166], v[165:166], v[153:154]
	v_add_f64_e32 v[167:168], v[167:168], v[155:156]
	s_wait_loadcnt_dscnt 0x900
	v_mul_f64_e32 v[175:176], v[2:3], v[20:21]
	v_mul_f64_e32 v[20:21], v[4:5], v[20:21]
	ds_load_b128 v[153:156], v1 offset:1280
	v_fma_f64 v[163:164], v[163:164], v[14:15], v[169:170]
	v_fma_f64 v[161:162], v[161:162], v[14:15], -v[16:17]
	scratch_load_b128 v[14:17], off, off offset:576
	v_add_f64_e32 v[165:166], v[165:166], v[173:174]
	v_add_f64_e32 v[167:168], v[167:168], v[171:172]
	v_fma_f64 v[171:172], v[4:5], v[18:19], v[175:176]
	v_fma_f64 v[173:174], v[2:3], v[18:19], -v[20:21]
	ds_load_b128 v[2:5], v1 offset:1296
	s_wait_loadcnt_dscnt 0x901
	v_mul_f64_e32 v[169:170], v[153:154], v[24:25]
	v_mul_f64_e32 v[24:25], v[155:156], v[24:25]
	scratch_load_b128 v[18:21], off, off offset:592
	s_wait_loadcnt_dscnt 0x900
	v_mul_f64_e32 v[175:176], v[2:3], v[28:29]
	v_mul_f64_e32 v[28:29], v[4:5], v[28:29]
	v_add_f64_e32 v[165:166], v[165:166], v[161:162]
	v_add_f64_e32 v[167:168], v[167:168], v[163:164]
	ds_load_b128 v[161:164], v1 offset:1312
	v_fma_f64 v[155:156], v[155:156], v[22:23], v[169:170]
	v_fma_f64 v[153:154], v[153:154], v[22:23], -v[24:25]
	scratch_load_b128 v[22:25], off, off offset:608
	v_add_f64_e32 v[165:166], v[165:166], v[173:174]
	v_add_f64_e32 v[167:168], v[167:168], v[171:172]
	v_fma_f64 v[171:172], v[4:5], v[26:27], v[175:176]
	v_fma_f64 v[173:174], v[2:3], v[26:27], -v[28:29]
	ds_load_b128 v[2:5], v1 offset:1328
	s_wait_loadcnt_dscnt 0x901
	v_mul_f64_e32 v[169:170], v[161:162], v[32:33]
	v_mul_f64_e32 v[32:33], v[163:164], v[32:33]
	scratch_load_b128 v[26:29], off, off offset:624
	s_wait_loadcnt_dscnt 0x900
	v_mul_f64_e32 v[175:176], v[2:3], v[40:41]
	v_mul_f64_e32 v[40:41], v[4:5], v[40:41]
	v_add_f64_e32 v[165:166], v[165:166], v[153:154]
	v_add_f64_e32 v[167:168], v[167:168], v[155:156]
	ds_load_b128 v[153:156], v1 offset:1344
	v_fma_f64 v[163:164], v[163:164], v[30:31], v[169:170]
	v_fma_f64 v[161:162], v[161:162], v[30:31], -v[32:33]
	scratch_load_b128 v[30:33], off, off offset:640
	v_add_f64_e32 v[165:166], v[165:166], v[173:174]
	v_add_f64_e32 v[167:168], v[167:168], v[171:172]
	v_fma_f64 v[173:174], v[4:5], v[38:39], v[175:176]
	v_fma_f64 v[175:176], v[2:3], v[38:39], -v[40:41]
	ds_load_b128 v[2:5], v1 offset:1360
	s_wait_loadcnt_dscnt 0x801
	v_mul_f64_e32 v[169:170], v[153:154], v[159:160]
	v_mul_f64_e32 v[171:172], v[155:156], v[159:160]
	scratch_load_b128 v[38:41], off, off offset:656
	v_add_f64_e32 v[165:166], v[165:166], v[161:162]
	v_add_f64_e32 v[163:164], v[167:168], v[163:164]
	ds_load_b128 v[159:162], v1 offset:1376
	v_fma_f64 v[169:170], v[155:156], v[157:158], v[169:170]
	v_fma_f64 v[157:158], v[153:154], v[157:158], -v[171:172]
	scratch_load_b128 v[153:156], off, off offset:672
	s_wait_loadcnt_dscnt 0x901
	v_mul_f64_e32 v[167:168], v[2:3], v[36:37]
	v_mul_f64_e32 v[36:37], v[4:5], v[36:37]
	v_add_f64_e32 v[165:166], v[165:166], v[175:176]
	v_add_f64_e32 v[163:164], v[163:164], v[173:174]
	s_delay_alu instid0(VALU_DEP_4) | instskip(NEXT) | instid1(VALU_DEP_4)
	v_fma_f64 v[167:168], v[4:5], v[34:35], v[167:168]
	v_fma_f64 v[173:174], v[2:3], v[34:35], -v[36:37]
	ds_load_b128 v[2:5], v1 offset:1392
	s_wait_loadcnt_dscnt 0x801
	v_mul_f64_e32 v[171:172], v[159:160], v[8:9]
	v_mul_f64_e32 v[8:9], v[161:162], v[8:9]
	scratch_load_b128 v[34:37], off, off offset:688
	s_wait_loadcnt_dscnt 0x800
	v_mul_f64_e32 v[175:176], v[2:3], v[12:13]
	v_add_f64_e32 v[157:158], v[165:166], v[157:158]
	v_add_f64_e32 v[169:170], v[163:164], v[169:170]
	v_mul_f64_e32 v[12:13], v[4:5], v[12:13]
	ds_load_b128 v[163:166], v1 offset:1408
	v_fma_f64 v[161:162], v[161:162], v[6:7], v[171:172]
	v_fma_f64 v[159:160], v[159:160], v[6:7], -v[8:9]
	scratch_load_b128 v[6:9], off, off offset:704
	v_fma_f64 v[171:172], v[4:5], v[10:11], v[175:176]
	v_add_f64_e32 v[157:158], v[157:158], v[173:174]
	v_add_f64_e32 v[167:168], v[169:170], v[167:168]
	v_fma_f64 v[173:174], v[2:3], v[10:11], -v[12:13]
	ds_load_b128 v[2:5], v1 offset:1424
	s_wait_loadcnt_dscnt 0x801
	v_mul_f64_e32 v[169:170], v[163:164], v[16:17]
	v_mul_f64_e32 v[16:17], v[165:166], v[16:17]
	scratch_load_b128 v[10:13], off, off offset:720
	v_add_f64_e32 v[175:176], v[157:158], v[159:160]
	v_add_f64_e32 v[161:162], v[167:168], v[161:162]
	s_wait_loadcnt_dscnt 0x800
	v_mul_f64_e32 v[167:168], v[2:3], v[20:21]
	v_mul_f64_e32 v[20:21], v[4:5], v[20:21]
	v_fma_f64 v[165:166], v[165:166], v[14:15], v[169:170]
	v_fma_f64 v[163:164], v[163:164], v[14:15], -v[16:17]
	ds_load_b128 v[157:160], v1 offset:1440
	scratch_load_b128 v[14:17], off, off offset:736
	v_add_f64_e32 v[169:170], v[175:176], v[173:174]
	v_add_f64_e32 v[161:162], v[161:162], v[171:172]
	v_fma_f64 v[167:168], v[4:5], v[18:19], v[167:168]
	v_fma_f64 v[173:174], v[2:3], v[18:19], -v[20:21]
	ds_load_b128 v[2:5], v1 offset:1456
	s_wait_loadcnt_dscnt 0x801
	v_mul_f64_e32 v[171:172], v[157:158], v[24:25]
	v_mul_f64_e32 v[24:25], v[159:160], v[24:25]
	scratch_load_b128 v[18:21], off, off offset:752
	s_wait_loadcnt_dscnt 0x800
	v_mul_f64_e32 v[175:176], v[2:3], v[28:29]
	v_mul_f64_e32 v[28:29], v[4:5], v[28:29]
	v_add_f64_e32 v[169:170], v[169:170], v[163:164]
	v_add_f64_e32 v[165:166], v[161:162], v[165:166]
	ds_load_b128 v[161:164], v1 offset:1472
	v_fma_f64 v[159:160], v[159:160], v[22:23], v[171:172]
	v_fma_f64 v[157:158], v[157:158], v[22:23], -v[24:25]
	scratch_load_b128 v[22:25], off, off offset:768
	v_fma_f64 v[171:172], v[4:5], v[26:27], v[175:176]
	v_add_f64_e32 v[169:170], v[169:170], v[173:174]
	v_add_f64_e32 v[165:166], v[165:166], v[167:168]
	v_fma_f64 v[173:174], v[2:3], v[26:27], -v[28:29]
	ds_load_b128 v[2:5], v1 offset:1488
	s_wait_loadcnt_dscnt 0x801
	v_mul_f64_e32 v[167:168], v[161:162], v[32:33]
	v_mul_f64_e32 v[32:33], v[163:164], v[32:33]
	scratch_load_b128 v[26:29], off, off offset:784
	s_wait_loadcnt_dscnt 0x800
	v_mul_f64_e32 v[175:176], v[2:3], v[40:41]
	v_mul_f64_e32 v[40:41], v[4:5], v[40:41]
	v_add_f64_e32 v[169:170], v[169:170], v[157:158]
	v_add_f64_e32 v[165:166], v[165:166], v[159:160]
	ds_load_b128 v[157:160], v1 offset:1504
	v_fma_f64 v[163:164], v[163:164], v[30:31], v[167:168]
	v_fma_f64 v[161:162], v[161:162], v[30:31], -v[32:33]
	scratch_load_b128 v[30:33], off, off offset:800
	v_add_f64_e32 v[167:168], v[169:170], v[173:174]
	v_add_f64_e32 v[165:166], v[165:166], v[171:172]
	v_fma_f64 v[171:172], v[4:5], v[38:39], v[175:176]
	v_fma_f64 v[173:174], v[2:3], v[38:39], -v[40:41]
	ds_load_b128 v[2:5], v1 offset:1520
	s_wait_loadcnt_dscnt 0x801
	v_mul_f64_e32 v[169:170], v[157:158], v[155:156]
	v_mul_f64_e32 v[155:156], v[159:160], v[155:156]
	scratch_load_b128 v[38:41], off, off offset:816
	s_wait_loadcnt_dscnt 0x800
	v_mul_f64_e32 v[175:176], v[2:3], v[36:37]
	v_mul_f64_e32 v[36:37], v[4:5], v[36:37]
	v_add_f64_e32 v[167:168], v[167:168], v[161:162]
	v_add_f64_e32 v[165:166], v[165:166], v[163:164]
	ds_load_b128 v[161:164], v1 offset:1536
	v_fma_f64 v[159:160], v[159:160], v[153:154], v[169:170]
	v_fma_f64 v[157:158], v[157:158], v[153:154], -v[155:156]
	scratch_load_b128 v[153:156], off, off offset:832
	v_add_f64_e32 v[167:168], v[167:168], v[173:174]
	v_add_f64_e32 v[165:166], v[165:166], v[171:172]
	v_fma_f64 v[171:172], v[4:5], v[34:35], v[175:176]
	v_fma_f64 v[173:174], v[2:3], v[34:35], -v[36:37]
	ds_load_b128 v[2:5], v1 offset:1552
	s_wait_loadcnt_dscnt 0x801
	v_mul_f64_e32 v[169:170], v[161:162], v[8:9]
	v_mul_f64_e32 v[8:9], v[163:164], v[8:9]
	scratch_load_b128 v[34:37], off, off offset:848
	s_wait_loadcnt_dscnt 0x800
	v_mul_f64_e32 v[175:176], v[2:3], v[12:13]
	v_mul_f64_e32 v[12:13], v[4:5], v[12:13]
	v_add_f64_e32 v[167:168], v[167:168], v[157:158]
	v_add_f64_e32 v[165:166], v[165:166], v[159:160]
	ds_load_b128 v[157:160], v1 offset:1568
	v_fma_f64 v[163:164], v[163:164], v[6:7], v[169:170]
	v_fma_f64 v[6:7], v[161:162], v[6:7], -v[8:9]
	v_add_f64_e32 v[8:9], v[167:168], v[173:174]
	v_add_f64_e32 v[161:162], v[165:166], v[171:172]
	s_wait_loadcnt_dscnt 0x700
	v_mul_f64_e32 v[165:166], v[157:158], v[16:17]
	v_mul_f64_e32 v[16:17], v[159:160], v[16:17]
	v_fma_f64 v[167:168], v[4:5], v[10:11], v[175:176]
	v_fma_f64 v[10:11], v[2:3], v[10:11], -v[12:13]
	v_add_f64_e32 v[12:13], v[8:9], v[6:7]
	v_add_f64_e32 v[161:162], v[161:162], v[163:164]
	ds_load_b128 v[2:5], v1 offset:1584
	ds_load_b128 v[6:9], v1 offset:1600
	v_fma_f64 v[159:160], v[159:160], v[14:15], v[165:166]
	v_fma_f64 v[14:15], v[157:158], v[14:15], -v[16:17]
	s_wait_loadcnt_dscnt 0x601
	v_mul_f64_e32 v[163:164], v[2:3], v[20:21]
	v_mul_f64_e32 v[20:21], v[4:5], v[20:21]
	s_wait_loadcnt_dscnt 0x500
	v_mul_f64_e32 v[16:17], v[6:7], v[24:25]
	v_mul_f64_e32 v[24:25], v[8:9], v[24:25]
	v_add_f64_e32 v[10:11], v[12:13], v[10:11]
	v_add_f64_e32 v[12:13], v[161:162], v[167:168]
	v_fma_f64 v[157:158], v[4:5], v[18:19], v[163:164]
	v_fma_f64 v[18:19], v[2:3], v[18:19], -v[20:21]
	v_fma_f64 v[8:9], v[8:9], v[22:23], v[16:17]
	v_fma_f64 v[6:7], v[6:7], v[22:23], -v[24:25]
	v_add_f64_e32 v[14:15], v[10:11], v[14:15]
	v_add_f64_e32 v[20:21], v[12:13], v[159:160]
	ds_load_b128 v[2:5], v1 offset:1616
	ds_load_b128 v[10:13], v1 offset:1632
	s_wait_loadcnt_dscnt 0x401
	v_mul_f64_e32 v[159:160], v[2:3], v[28:29]
	v_mul_f64_e32 v[28:29], v[4:5], v[28:29]
	v_add_f64_e32 v[14:15], v[14:15], v[18:19]
	v_add_f64_e32 v[16:17], v[20:21], v[157:158]
	s_wait_loadcnt_dscnt 0x300
	v_mul_f64_e32 v[18:19], v[10:11], v[32:33]
	v_mul_f64_e32 v[20:21], v[12:13], v[32:33]
	v_fma_f64 v[22:23], v[4:5], v[26:27], v[159:160]
	v_fma_f64 v[24:25], v[2:3], v[26:27], -v[28:29]
	v_add_f64_e32 v[14:15], v[14:15], v[6:7]
	v_add_f64_e32 v[16:17], v[16:17], v[8:9]
	ds_load_b128 v[2:5], v1 offset:1648
	ds_load_b128 v[6:9], v1 offset:1664
	v_fma_f64 v[12:13], v[12:13], v[30:31], v[18:19]
	v_fma_f64 v[10:11], v[10:11], v[30:31], -v[20:21]
	s_wait_loadcnt_dscnt 0x201
	v_mul_f64_e32 v[26:27], v[2:3], v[40:41]
	v_mul_f64_e32 v[28:29], v[4:5], v[40:41]
	s_wait_loadcnt_dscnt 0x100
	v_mul_f64_e32 v[18:19], v[6:7], v[155:156]
	v_mul_f64_e32 v[20:21], v[8:9], v[155:156]
	v_add_f64_e32 v[14:15], v[14:15], v[24:25]
	v_add_f64_e32 v[16:17], v[16:17], v[22:23]
	v_fma_f64 v[22:23], v[4:5], v[38:39], v[26:27]
	v_fma_f64 v[24:25], v[2:3], v[38:39], -v[28:29]
	ds_load_b128 v[2:5], v1 offset:1680
	v_fma_f64 v[8:9], v[8:9], v[153:154], v[18:19]
	v_fma_f64 v[6:7], v[6:7], v[153:154], -v[20:21]
	v_add_f64_e32 v[10:11], v[14:15], v[10:11]
	v_add_f64_e32 v[12:13], v[16:17], v[12:13]
	s_wait_loadcnt_dscnt 0x0
	v_mul_f64_e32 v[14:15], v[2:3], v[36:37]
	v_mul_f64_e32 v[16:17], v[4:5], v[36:37]
	s_delay_alu instid0(VALU_DEP_4) | instskip(NEXT) | instid1(VALU_DEP_4)
	v_add_f64_e32 v[10:11], v[10:11], v[24:25]
	v_add_f64_e32 v[12:13], v[12:13], v[22:23]
	s_delay_alu instid0(VALU_DEP_4) | instskip(NEXT) | instid1(VALU_DEP_4)
	v_fma_f64 v[4:5], v[4:5], v[34:35], v[14:15]
	v_fma_f64 v[2:3], v[2:3], v[34:35], -v[16:17]
	s_delay_alu instid0(VALU_DEP_4) | instskip(NEXT) | instid1(VALU_DEP_4)
	v_add_f64_e32 v[6:7], v[10:11], v[6:7]
	v_add_f64_e32 v[8:9], v[12:13], v[8:9]
	s_delay_alu instid0(VALU_DEP_2) | instskip(NEXT) | instid1(VALU_DEP_2)
	v_add_f64_e32 v[2:3], v[6:7], v[2:3]
	v_add_f64_e32 v[4:5], v[8:9], v[4:5]
	s_delay_alu instid0(VALU_DEP_2) | instskip(NEXT) | instid1(VALU_DEP_2)
	v_add_f64_e64 v[2:3], v[42:43], -v[2:3]
	v_add_f64_e64 v[4:5], v[44:45], -v[4:5]
	scratch_store_b128 off, v[2:5], off offset:352
	v_cmpx_lt_u32_e32 20, v0
	s_cbranch_execz .LBB116_291
; %bb.290:
	scratch_load_b128 v[5:8], off, s46
	v_dual_mov_b32 v2, v1 :: v_dual_mov_b32 v3, v1
	v_mov_b32_e32 v4, v1
	scratch_store_b128 off, v[1:4], off offset:336
	s_wait_loadcnt 0x0
	ds_store_b128 v152, v[5:8]
.LBB116_291:
	s_wait_alu 0xfffe
	s_or_b32 exec_lo, exec_lo, s0
	s_wait_storecnt_dscnt 0x0
	s_barrier_signal -1
	s_barrier_wait -1
	global_inv scope:SCOPE_SE
	s_clause 0x8
	scratch_load_b128 v[2:5], off, off offset:352
	scratch_load_b128 v[6:9], off, off offset:368
	scratch_load_b128 v[10:13], off, off offset:384
	scratch_load_b128 v[14:17], off, off offset:400
	scratch_load_b128 v[18:21], off, off offset:416
	scratch_load_b128 v[22:25], off, off offset:432
	scratch_load_b128 v[26:29], off, off offset:448
	scratch_load_b128 v[30:33], off, off offset:464
	scratch_load_b128 v[34:37], off, off offset:480
	ds_load_b128 v[38:41], v1 offset:1184
	ds_load_b128 v[42:45], v1 offset:1200
	s_clause 0x1
	scratch_load_b128 v[153:156], off, off offset:336
	scratch_load_b128 v[157:160], off, off offset:496
	s_mov_b32 s0, exec_lo
	s_wait_loadcnt_dscnt 0xa01
	v_mul_f64_e32 v[161:162], v[40:41], v[4:5]
	v_mul_f64_e32 v[4:5], v[38:39], v[4:5]
	s_wait_loadcnt_dscnt 0x900
	v_mul_f64_e32 v[165:166], v[42:43], v[8:9]
	v_mul_f64_e32 v[8:9], v[44:45], v[8:9]
	s_delay_alu instid0(VALU_DEP_4) | instskip(NEXT) | instid1(VALU_DEP_4)
	v_fma_f64 v[167:168], v[38:39], v[2:3], -v[161:162]
	v_fma_f64 v[169:170], v[40:41], v[2:3], v[4:5]
	ds_load_b128 v[2:5], v1 offset:1216
	ds_load_b128 v[161:164], v1 offset:1232
	scratch_load_b128 v[38:41], off, off offset:512
	v_fma_f64 v[44:45], v[44:45], v[6:7], v[165:166]
	v_fma_f64 v[42:43], v[42:43], v[6:7], -v[8:9]
	scratch_load_b128 v[6:9], off, off offset:528
	s_wait_loadcnt_dscnt 0xa01
	v_mul_f64_e32 v[171:172], v[2:3], v[12:13]
	v_mul_f64_e32 v[12:13], v[4:5], v[12:13]
	v_add_f64_e32 v[165:166], 0, v[167:168]
	v_add_f64_e32 v[167:168], 0, v[169:170]
	s_wait_loadcnt_dscnt 0x900
	v_mul_f64_e32 v[169:170], v[161:162], v[16:17]
	v_mul_f64_e32 v[16:17], v[163:164], v[16:17]
	v_fma_f64 v[171:172], v[4:5], v[10:11], v[171:172]
	v_fma_f64 v[173:174], v[2:3], v[10:11], -v[12:13]
	ds_load_b128 v[2:5], v1 offset:1248
	scratch_load_b128 v[10:13], off, off offset:544
	v_add_f64_e32 v[165:166], v[165:166], v[42:43]
	v_add_f64_e32 v[167:168], v[167:168], v[44:45]
	ds_load_b128 v[42:45], v1 offset:1264
	v_fma_f64 v[163:164], v[163:164], v[14:15], v[169:170]
	v_fma_f64 v[161:162], v[161:162], v[14:15], -v[16:17]
	scratch_load_b128 v[14:17], off, off offset:560
	s_wait_loadcnt_dscnt 0xa01
	v_mul_f64_e32 v[175:176], v[2:3], v[20:21]
	v_mul_f64_e32 v[20:21], v[4:5], v[20:21]
	s_wait_loadcnt_dscnt 0x900
	v_mul_f64_e32 v[169:170], v[42:43], v[24:25]
	v_mul_f64_e32 v[24:25], v[44:45], v[24:25]
	v_add_f64_e32 v[165:166], v[165:166], v[173:174]
	v_add_f64_e32 v[167:168], v[167:168], v[171:172]
	v_fma_f64 v[171:172], v[4:5], v[18:19], v[175:176]
	v_fma_f64 v[173:174], v[2:3], v[18:19], -v[20:21]
	ds_load_b128 v[2:5], v1 offset:1280
	scratch_load_b128 v[18:21], off, off offset:576
	v_fma_f64 v[44:45], v[44:45], v[22:23], v[169:170]
	v_fma_f64 v[42:43], v[42:43], v[22:23], -v[24:25]
	scratch_load_b128 v[22:25], off, off offset:592
	v_add_f64_e32 v[165:166], v[165:166], v[161:162]
	v_add_f64_e32 v[167:168], v[167:168], v[163:164]
	ds_load_b128 v[161:164], v1 offset:1296
	s_wait_loadcnt_dscnt 0xa01
	v_mul_f64_e32 v[175:176], v[2:3], v[28:29]
	v_mul_f64_e32 v[28:29], v[4:5], v[28:29]
	s_wait_loadcnt_dscnt 0x900
	v_mul_f64_e32 v[169:170], v[161:162], v[32:33]
	v_mul_f64_e32 v[32:33], v[163:164], v[32:33]
	v_add_f64_e32 v[165:166], v[165:166], v[173:174]
	v_add_f64_e32 v[167:168], v[167:168], v[171:172]
	v_fma_f64 v[171:172], v[4:5], v[26:27], v[175:176]
	v_fma_f64 v[173:174], v[2:3], v[26:27], -v[28:29]
	ds_load_b128 v[2:5], v1 offset:1312
	scratch_load_b128 v[26:29], off, off offset:608
	v_fma_f64 v[163:164], v[163:164], v[30:31], v[169:170]
	v_fma_f64 v[161:162], v[161:162], v[30:31], -v[32:33]
	scratch_load_b128 v[30:33], off, off offset:624
	v_add_f64_e32 v[165:166], v[165:166], v[42:43]
	v_add_f64_e32 v[167:168], v[167:168], v[44:45]
	ds_load_b128 v[42:45], v1 offset:1328
	s_wait_loadcnt_dscnt 0xa01
	v_mul_f64_e32 v[175:176], v[2:3], v[36:37]
	v_mul_f64_e32 v[36:37], v[4:5], v[36:37]
	s_wait_loadcnt_dscnt 0x800
	v_mul_f64_e32 v[169:170], v[42:43], v[159:160]
	v_add_f64_e32 v[165:166], v[165:166], v[173:174]
	v_add_f64_e32 v[167:168], v[167:168], v[171:172]
	v_mul_f64_e32 v[171:172], v[44:45], v[159:160]
	v_fma_f64 v[173:174], v[4:5], v[34:35], v[175:176]
	v_fma_f64 v[175:176], v[2:3], v[34:35], -v[36:37]
	ds_load_b128 v[2:5], v1 offset:1344
	scratch_load_b128 v[34:37], off, off offset:640
	v_fma_f64 v[44:45], v[44:45], v[157:158], v[169:170]
	v_add_f64_e32 v[165:166], v[165:166], v[161:162]
	v_add_f64_e32 v[163:164], v[167:168], v[163:164]
	ds_load_b128 v[159:162], v1 offset:1360
	v_fma_f64 v[157:158], v[42:43], v[157:158], -v[171:172]
	s_wait_loadcnt_dscnt 0x801
	v_mul_f64_e32 v[167:168], v[2:3], v[40:41]
	v_mul_f64_e32 v[177:178], v[4:5], v[40:41]
	scratch_load_b128 v[40:43], off, off offset:656
	s_wait_loadcnt_dscnt 0x800
	v_mul_f64_e32 v[171:172], v[159:160], v[8:9]
	v_mul_f64_e32 v[8:9], v[161:162], v[8:9]
	v_add_f64_e32 v[165:166], v[165:166], v[175:176]
	v_add_f64_e32 v[163:164], v[163:164], v[173:174]
	v_fma_f64 v[173:174], v[4:5], v[38:39], v[167:168]
	v_fma_f64 v[38:39], v[2:3], v[38:39], -v[177:178]
	ds_load_b128 v[2:5], v1 offset:1376
	ds_load_b128 v[167:170], v1 offset:1392
	v_fma_f64 v[161:162], v[161:162], v[6:7], v[171:172]
	v_fma_f64 v[159:160], v[159:160], v[6:7], -v[8:9]
	scratch_load_b128 v[6:9], off, off offset:688
	v_add_f64_e32 v[157:158], v[165:166], v[157:158]
	v_add_f64_e32 v[44:45], v[163:164], v[44:45]
	scratch_load_b128 v[163:166], off, off offset:672
	s_wait_loadcnt_dscnt 0x901
	v_mul_f64_e32 v[175:176], v[2:3], v[12:13]
	v_mul_f64_e32 v[12:13], v[4:5], v[12:13]
	s_wait_loadcnt_dscnt 0x800
	v_mul_f64_e32 v[171:172], v[167:168], v[16:17]
	v_mul_f64_e32 v[16:17], v[169:170], v[16:17]
	v_add_f64_e32 v[38:39], v[157:158], v[38:39]
	v_add_f64_e32 v[44:45], v[44:45], v[173:174]
	v_fma_f64 v[173:174], v[4:5], v[10:11], v[175:176]
	v_fma_f64 v[175:176], v[2:3], v[10:11], -v[12:13]
	ds_load_b128 v[2:5], v1 offset:1408
	scratch_load_b128 v[10:13], off, off offset:704
	v_fma_f64 v[169:170], v[169:170], v[14:15], v[171:172]
	v_fma_f64 v[167:168], v[167:168], v[14:15], -v[16:17]
	scratch_load_b128 v[14:17], off, off offset:720
	v_add_f64_e32 v[38:39], v[38:39], v[159:160]
	v_add_f64_e32 v[44:45], v[44:45], v[161:162]
	ds_load_b128 v[157:160], v1 offset:1424
	s_wait_loadcnt_dscnt 0x901
	v_mul_f64_e32 v[161:162], v[2:3], v[20:21]
	v_mul_f64_e32 v[20:21], v[4:5], v[20:21]
	s_wait_loadcnt_dscnt 0x800
	v_mul_f64_e32 v[171:172], v[157:158], v[24:25]
	v_mul_f64_e32 v[24:25], v[159:160], v[24:25]
	v_add_f64_e32 v[38:39], v[38:39], v[175:176]
	v_add_f64_e32 v[44:45], v[44:45], v[173:174]
	v_fma_f64 v[161:162], v[4:5], v[18:19], v[161:162]
	v_fma_f64 v[173:174], v[2:3], v[18:19], -v[20:21]
	ds_load_b128 v[2:5], v1 offset:1440
	scratch_load_b128 v[18:21], off, off offset:736
	v_fma_f64 v[159:160], v[159:160], v[22:23], v[171:172]
	v_fma_f64 v[157:158], v[157:158], v[22:23], -v[24:25]
	scratch_load_b128 v[22:25], off, off offset:752
	v_add_f64_e32 v[38:39], v[38:39], v[167:168]
	v_add_f64_e32 v[44:45], v[44:45], v[169:170]
	ds_load_b128 v[167:170], v1 offset:1456
	s_wait_loadcnt_dscnt 0x901
	v_mul_f64_e32 v[175:176], v[2:3], v[28:29]
	v_mul_f64_e32 v[28:29], v[4:5], v[28:29]
	v_add_f64_e32 v[38:39], v[38:39], v[173:174]
	v_add_f64_e32 v[44:45], v[44:45], v[161:162]
	s_wait_loadcnt_dscnt 0x800
	v_mul_f64_e32 v[161:162], v[167:168], v[32:33]
	v_mul_f64_e32 v[32:33], v[169:170], v[32:33]
	v_fma_f64 v[171:172], v[4:5], v[26:27], v[175:176]
	v_fma_f64 v[173:174], v[2:3], v[26:27], -v[28:29]
	ds_load_b128 v[2:5], v1 offset:1472
	scratch_load_b128 v[26:29], off, off offset:768
	v_add_f64_e32 v[38:39], v[38:39], v[157:158]
	v_add_f64_e32 v[44:45], v[44:45], v[159:160]
	ds_load_b128 v[157:160], v1 offset:1488
	s_wait_loadcnt_dscnt 0x801
	v_mul_f64_e32 v[175:176], v[2:3], v[36:37]
	v_mul_f64_e32 v[36:37], v[4:5], v[36:37]
	v_fma_f64 v[161:162], v[169:170], v[30:31], v[161:162]
	v_fma_f64 v[167:168], v[167:168], v[30:31], -v[32:33]
	scratch_load_b128 v[30:33], off, off offset:784
	s_wait_loadcnt_dscnt 0x800
	v_mul_f64_e32 v[169:170], v[157:158], v[42:43]
	v_add_f64_e32 v[38:39], v[38:39], v[173:174]
	v_add_f64_e32 v[44:45], v[44:45], v[171:172]
	v_mul_f64_e32 v[171:172], v[159:160], v[42:43]
	v_fma_f64 v[173:174], v[4:5], v[34:35], v[175:176]
	v_fma_f64 v[175:176], v[2:3], v[34:35], -v[36:37]
	ds_load_b128 v[2:5], v1 offset:1504
	scratch_load_b128 v[34:37], off, off offset:800
	v_fma_f64 v[159:160], v[159:160], v[40:41], v[169:170]
	v_add_f64_e32 v[38:39], v[38:39], v[167:168]
	v_add_f64_e32 v[161:162], v[44:45], v[161:162]
	ds_load_b128 v[42:45], v1 offset:1520
	v_fma_f64 v[157:158], v[157:158], v[40:41], -v[171:172]
	s_wait_loadcnt_dscnt 0x701
	v_mul_f64_e32 v[167:168], v[2:3], v[165:166]
	v_mul_f64_e32 v[165:166], v[4:5], v[165:166]
	s_wait_dscnt 0x0
	v_mul_f64_e32 v[171:172], v[42:43], v[8:9]
	v_mul_f64_e32 v[8:9], v[44:45], v[8:9]
	v_add_f64_e32 v[169:170], v[38:39], v[175:176]
	v_add_f64_e32 v[161:162], v[161:162], v[173:174]
	scratch_load_b128 v[38:41], off, off offset:816
	v_fma_f64 v[167:168], v[4:5], v[163:164], v[167:168]
	v_fma_f64 v[165:166], v[2:3], v[163:164], -v[165:166]
	ds_load_b128 v[2:5], v1 offset:1536
	v_fma_f64 v[44:45], v[44:45], v[6:7], v[171:172]
	v_fma_f64 v[42:43], v[42:43], v[6:7], -v[8:9]
	scratch_load_b128 v[6:9], off, off offset:848
	v_add_f64_e32 v[169:170], v[169:170], v[157:158]
	v_add_f64_e32 v[173:174], v[161:162], v[159:160]
	scratch_load_b128 v[157:160], off, off offset:832
	ds_load_b128 v[161:164], v1 offset:1552
	s_wait_loadcnt_dscnt 0x901
	v_mul_f64_e32 v[175:176], v[2:3], v[12:13]
	v_mul_f64_e32 v[12:13], v[4:5], v[12:13]
	v_add_f64_e32 v[165:166], v[169:170], v[165:166]
	v_add_f64_e32 v[167:168], v[173:174], v[167:168]
	s_wait_loadcnt_dscnt 0x800
	v_mul_f64_e32 v[169:170], v[161:162], v[16:17]
	v_mul_f64_e32 v[16:17], v[163:164], v[16:17]
	v_fma_f64 v[171:172], v[4:5], v[10:11], v[175:176]
	v_fma_f64 v[173:174], v[2:3], v[10:11], -v[12:13]
	ds_load_b128 v[2:5], v1 offset:1568
	ds_load_b128 v[10:13], v1 offset:1584
	v_add_f64_e32 v[42:43], v[165:166], v[42:43]
	v_add_f64_e32 v[44:45], v[167:168], v[44:45]
	s_wait_loadcnt_dscnt 0x701
	v_mul_f64_e32 v[165:166], v[2:3], v[20:21]
	v_mul_f64_e32 v[20:21], v[4:5], v[20:21]
	v_fma_f64 v[163:164], v[163:164], v[14:15], v[169:170]
	v_fma_f64 v[14:15], v[161:162], v[14:15], -v[16:17]
	v_add_f64_e32 v[16:17], v[42:43], v[173:174]
	v_add_f64_e32 v[42:43], v[44:45], v[171:172]
	s_wait_loadcnt_dscnt 0x600
	v_mul_f64_e32 v[44:45], v[10:11], v[24:25]
	v_mul_f64_e32 v[24:25], v[12:13], v[24:25]
	v_fma_f64 v[161:162], v[4:5], v[18:19], v[165:166]
	v_fma_f64 v[18:19], v[2:3], v[18:19], -v[20:21]
	v_add_f64_e32 v[20:21], v[16:17], v[14:15]
	v_add_f64_e32 v[42:43], v[42:43], v[163:164]
	ds_load_b128 v[2:5], v1 offset:1600
	ds_load_b128 v[14:17], v1 offset:1616
	v_fma_f64 v[12:13], v[12:13], v[22:23], v[44:45]
	v_fma_f64 v[10:11], v[10:11], v[22:23], -v[24:25]
	s_wait_loadcnt_dscnt 0x501
	v_mul_f64_e32 v[163:164], v[2:3], v[28:29]
	v_mul_f64_e32 v[28:29], v[4:5], v[28:29]
	s_wait_loadcnt_dscnt 0x400
	v_mul_f64_e32 v[22:23], v[14:15], v[32:33]
	v_mul_f64_e32 v[24:25], v[16:17], v[32:33]
	v_add_f64_e32 v[18:19], v[20:21], v[18:19]
	v_add_f64_e32 v[20:21], v[42:43], v[161:162]
	v_fma_f64 v[32:33], v[4:5], v[26:27], v[163:164]
	v_fma_f64 v[26:27], v[2:3], v[26:27], -v[28:29]
	v_fma_f64 v[16:17], v[16:17], v[30:31], v[22:23]
	v_fma_f64 v[14:15], v[14:15], v[30:31], -v[24:25]
	v_add_f64_e32 v[18:19], v[18:19], v[10:11]
	v_add_f64_e32 v[20:21], v[20:21], v[12:13]
	ds_load_b128 v[2:5], v1 offset:1632
	ds_load_b128 v[10:13], v1 offset:1648
	s_wait_loadcnt_dscnt 0x301
	v_mul_f64_e32 v[28:29], v[2:3], v[36:37]
	v_mul_f64_e32 v[36:37], v[4:5], v[36:37]
	v_add_f64_e32 v[18:19], v[18:19], v[26:27]
	v_add_f64_e32 v[20:21], v[20:21], v[32:33]
	s_wait_loadcnt_dscnt 0x200
	v_mul_f64_e32 v[22:23], v[10:11], v[40:41]
	v_mul_f64_e32 v[24:25], v[12:13], v[40:41]
	v_fma_f64 v[26:27], v[4:5], v[34:35], v[28:29]
	v_fma_f64 v[28:29], v[2:3], v[34:35], -v[36:37]
	v_add_f64_e32 v[18:19], v[18:19], v[14:15]
	v_add_f64_e32 v[20:21], v[20:21], v[16:17]
	ds_load_b128 v[2:5], v1 offset:1664
	ds_load_b128 v[14:17], v1 offset:1680
	v_fma_f64 v[12:13], v[12:13], v[38:39], v[22:23]
	v_fma_f64 v[10:11], v[10:11], v[38:39], -v[24:25]
	s_wait_loadcnt_dscnt 0x1
	v_mul_f64_e32 v[30:31], v[2:3], v[159:160]
	v_mul_f64_e32 v[32:33], v[4:5], v[159:160]
	s_wait_dscnt 0x0
	v_mul_f64_e32 v[22:23], v[14:15], v[8:9]
	v_mul_f64_e32 v[8:9], v[16:17], v[8:9]
	v_add_f64_e32 v[18:19], v[18:19], v[28:29]
	v_add_f64_e32 v[20:21], v[20:21], v[26:27]
	v_fma_f64 v[4:5], v[4:5], v[157:158], v[30:31]
	v_fma_f64 v[1:2], v[2:3], v[157:158], -v[32:33]
	v_fma_f64 v[16:17], v[16:17], v[6:7], v[22:23]
	v_fma_f64 v[6:7], v[14:15], v[6:7], -v[8:9]
	v_add_f64_e32 v[10:11], v[18:19], v[10:11]
	v_add_f64_e32 v[12:13], v[20:21], v[12:13]
	s_delay_alu instid0(VALU_DEP_2) | instskip(NEXT) | instid1(VALU_DEP_2)
	v_add_f64_e32 v[1:2], v[10:11], v[1:2]
	v_add_f64_e32 v[3:4], v[12:13], v[4:5]
	s_delay_alu instid0(VALU_DEP_2) | instskip(NEXT) | instid1(VALU_DEP_2)
	;; [unrolled: 3-line block ×3, first 2 shown]
	v_add_f64_e64 v[1:2], v[153:154], -v[1:2]
	v_add_f64_e64 v[3:4], v[155:156], -v[3:4]
	scratch_store_b128 off, v[1:4], off offset:336
	v_cmpx_lt_u32_e32 19, v0
	s_cbranch_execz .LBB116_293
; %bb.292:
	scratch_load_b128 v[1:4], off, s47
	v_mov_b32_e32 v5, 0
	s_delay_alu instid0(VALU_DEP_1)
	v_dual_mov_b32 v6, v5 :: v_dual_mov_b32 v7, v5
	v_mov_b32_e32 v8, v5
	scratch_store_b128 off, v[5:8], off offset:320
	s_wait_loadcnt 0x0
	ds_store_b128 v152, v[1:4]
.LBB116_293:
	s_wait_alu 0xfffe
	s_or_b32 exec_lo, exec_lo, s0
	s_wait_storecnt_dscnt 0x0
	s_barrier_signal -1
	s_barrier_wait -1
	global_inv scope:SCOPE_SE
	s_clause 0x7
	scratch_load_b128 v[2:5], off, off offset:336
	scratch_load_b128 v[6:9], off, off offset:352
	;; [unrolled: 1-line block ×8, first 2 shown]
	v_mov_b32_e32 v1, 0
	s_mov_b32 s0, exec_lo
	ds_load_b128 v[34:37], v1 offset:1168
	s_clause 0x1
	scratch_load_b128 v[38:41], off, off offset:464
	scratch_load_b128 v[42:45], off, off offset:320
	ds_load_b128 v[153:156], v1 offset:1184
	scratch_load_b128 v[157:160], off, off offset:480
	s_wait_loadcnt_dscnt 0xa01
	v_mul_f64_e32 v[161:162], v[36:37], v[4:5]
	v_mul_f64_e32 v[4:5], v[34:35], v[4:5]
	s_delay_alu instid0(VALU_DEP_2) | instskip(NEXT) | instid1(VALU_DEP_2)
	v_fma_f64 v[167:168], v[34:35], v[2:3], -v[161:162]
	v_fma_f64 v[169:170], v[36:37], v[2:3], v[4:5]
	ds_load_b128 v[2:5], v1 offset:1200
	s_wait_loadcnt_dscnt 0x901
	v_mul_f64_e32 v[165:166], v[153:154], v[8:9]
	v_mul_f64_e32 v[8:9], v[155:156], v[8:9]
	scratch_load_b128 v[34:37], off, off offset:496
	ds_load_b128 v[161:164], v1 offset:1216
	s_wait_loadcnt_dscnt 0x901
	v_mul_f64_e32 v[171:172], v[2:3], v[12:13]
	v_mul_f64_e32 v[12:13], v[4:5], v[12:13]
	v_fma_f64 v[155:156], v[155:156], v[6:7], v[165:166]
	v_fma_f64 v[153:154], v[153:154], v[6:7], -v[8:9]
	v_add_f64_e32 v[165:166], 0, v[167:168]
	v_add_f64_e32 v[167:168], 0, v[169:170]
	scratch_load_b128 v[6:9], off, off offset:512
	v_fma_f64 v[171:172], v[4:5], v[10:11], v[171:172]
	v_fma_f64 v[173:174], v[2:3], v[10:11], -v[12:13]
	ds_load_b128 v[2:5], v1 offset:1232
	s_wait_loadcnt_dscnt 0x901
	v_mul_f64_e32 v[169:170], v[161:162], v[16:17]
	v_mul_f64_e32 v[16:17], v[163:164], v[16:17]
	scratch_load_b128 v[10:13], off, off offset:528
	v_add_f64_e32 v[165:166], v[165:166], v[153:154]
	v_add_f64_e32 v[167:168], v[167:168], v[155:156]
	s_wait_loadcnt_dscnt 0x900
	v_mul_f64_e32 v[175:176], v[2:3], v[20:21]
	v_mul_f64_e32 v[20:21], v[4:5], v[20:21]
	ds_load_b128 v[153:156], v1 offset:1248
	v_fma_f64 v[163:164], v[163:164], v[14:15], v[169:170]
	v_fma_f64 v[161:162], v[161:162], v[14:15], -v[16:17]
	scratch_load_b128 v[14:17], off, off offset:544
	v_add_f64_e32 v[165:166], v[165:166], v[173:174]
	v_add_f64_e32 v[167:168], v[167:168], v[171:172]
	v_fma_f64 v[171:172], v[4:5], v[18:19], v[175:176]
	v_fma_f64 v[173:174], v[2:3], v[18:19], -v[20:21]
	ds_load_b128 v[2:5], v1 offset:1264
	s_wait_loadcnt_dscnt 0x901
	v_mul_f64_e32 v[169:170], v[153:154], v[24:25]
	v_mul_f64_e32 v[24:25], v[155:156], v[24:25]
	scratch_load_b128 v[18:21], off, off offset:560
	s_wait_loadcnt_dscnt 0x900
	v_mul_f64_e32 v[175:176], v[2:3], v[28:29]
	v_mul_f64_e32 v[28:29], v[4:5], v[28:29]
	v_add_f64_e32 v[165:166], v[165:166], v[161:162]
	v_add_f64_e32 v[167:168], v[167:168], v[163:164]
	ds_load_b128 v[161:164], v1 offset:1280
	v_fma_f64 v[155:156], v[155:156], v[22:23], v[169:170]
	v_fma_f64 v[153:154], v[153:154], v[22:23], -v[24:25]
	scratch_load_b128 v[22:25], off, off offset:576
	v_add_f64_e32 v[165:166], v[165:166], v[173:174]
	v_add_f64_e32 v[167:168], v[167:168], v[171:172]
	v_fma_f64 v[171:172], v[4:5], v[26:27], v[175:176]
	v_fma_f64 v[173:174], v[2:3], v[26:27], -v[28:29]
	ds_load_b128 v[2:5], v1 offset:1296
	s_wait_loadcnt_dscnt 0x901
	v_mul_f64_e32 v[169:170], v[161:162], v[32:33]
	v_mul_f64_e32 v[32:33], v[163:164], v[32:33]
	scratch_load_b128 v[26:29], off, off offset:592
	s_wait_loadcnt_dscnt 0x900
	v_mul_f64_e32 v[175:176], v[2:3], v[40:41]
	v_mul_f64_e32 v[40:41], v[4:5], v[40:41]
	v_add_f64_e32 v[165:166], v[165:166], v[153:154]
	v_add_f64_e32 v[167:168], v[167:168], v[155:156]
	ds_load_b128 v[153:156], v1 offset:1312
	v_fma_f64 v[163:164], v[163:164], v[30:31], v[169:170]
	v_fma_f64 v[161:162], v[161:162], v[30:31], -v[32:33]
	scratch_load_b128 v[30:33], off, off offset:608
	v_add_f64_e32 v[165:166], v[165:166], v[173:174]
	v_add_f64_e32 v[167:168], v[167:168], v[171:172]
	v_fma_f64 v[173:174], v[4:5], v[38:39], v[175:176]
	v_fma_f64 v[175:176], v[2:3], v[38:39], -v[40:41]
	ds_load_b128 v[2:5], v1 offset:1328
	s_wait_loadcnt_dscnt 0x801
	v_mul_f64_e32 v[169:170], v[153:154], v[159:160]
	v_mul_f64_e32 v[171:172], v[155:156], v[159:160]
	scratch_load_b128 v[38:41], off, off offset:624
	v_add_f64_e32 v[165:166], v[165:166], v[161:162]
	v_add_f64_e32 v[163:164], v[167:168], v[163:164]
	ds_load_b128 v[159:162], v1 offset:1344
	v_fma_f64 v[169:170], v[155:156], v[157:158], v[169:170]
	v_fma_f64 v[157:158], v[153:154], v[157:158], -v[171:172]
	scratch_load_b128 v[153:156], off, off offset:640
	s_wait_loadcnt_dscnt 0x901
	v_mul_f64_e32 v[167:168], v[2:3], v[36:37]
	v_mul_f64_e32 v[36:37], v[4:5], v[36:37]
	v_add_f64_e32 v[165:166], v[165:166], v[175:176]
	v_add_f64_e32 v[163:164], v[163:164], v[173:174]
	s_delay_alu instid0(VALU_DEP_4) | instskip(NEXT) | instid1(VALU_DEP_4)
	v_fma_f64 v[167:168], v[4:5], v[34:35], v[167:168]
	v_fma_f64 v[173:174], v[2:3], v[34:35], -v[36:37]
	ds_load_b128 v[2:5], v1 offset:1360
	s_wait_loadcnt_dscnt 0x801
	v_mul_f64_e32 v[171:172], v[159:160], v[8:9]
	v_mul_f64_e32 v[8:9], v[161:162], v[8:9]
	scratch_load_b128 v[34:37], off, off offset:656
	s_wait_loadcnt_dscnt 0x800
	v_mul_f64_e32 v[175:176], v[2:3], v[12:13]
	v_add_f64_e32 v[157:158], v[165:166], v[157:158]
	v_add_f64_e32 v[169:170], v[163:164], v[169:170]
	v_mul_f64_e32 v[12:13], v[4:5], v[12:13]
	ds_load_b128 v[163:166], v1 offset:1376
	v_fma_f64 v[161:162], v[161:162], v[6:7], v[171:172]
	v_fma_f64 v[159:160], v[159:160], v[6:7], -v[8:9]
	scratch_load_b128 v[6:9], off, off offset:672
	v_fma_f64 v[171:172], v[4:5], v[10:11], v[175:176]
	v_add_f64_e32 v[157:158], v[157:158], v[173:174]
	v_add_f64_e32 v[167:168], v[169:170], v[167:168]
	v_fma_f64 v[173:174], v[2:3], v[10:11], -v[12:13]
	ds_load_b128 v[2:5], v1 offset:1392
	s_wait_loadcnt_dscnt 0x801
	v_mul_f64_e32 v[169:170], v[163:164], v[16:17]
	v_mul_f64_e32 v[16:17], v[165:166], v[16:17]
	scratch_load_b128 v[10:13], off, off offset:688
	v_add_f64_e32 v[175:176], v[157:158], v[159:160]
	v_add_f64_e32 v[161:162], v[167:168], v[161:162]
	s_wait_loadcnt_dscnt 0x800
	v_mul_f64_e32 v[167:168], v[2:3], v[20:21]
	v_mul_f64_e32 v[20:21], v[4:5], v[20:21]
	v_fma_f64 v[165:166], v[165:166], v[14:15], v[169:170]
	v_fma_f64 v[163:164], v[163:164], v[14:15], -v[16:17]
	ds_load_b128 v[157:160], v1 offset:1408
	scratch_load_b128 v[14:17], off, off offset:704
	v_add_f64_e32 v[169:170], v[175:176], v[173:174]
	v_add_f64_e32 v[161:162], v[161:162], v[171:172]
	v_fma_f64 v[167:168], v[4:5], v[18:19], v[167:168]
	v_fma_f64 v[173:174], v[2:3], v[18:19], -v[20:21]
	ds_load_b128 v[2:5], v1 offset:1424
	s_wait_loadcnt_dscnt 0x801
	v_mul_f64_e32 v[171:172], v[157:158], v[24:25]
	v_mul_f64_e32 v[24:25], v[159:160], v[24:25]
	scratch_load_b128 v[18:21], off, off offset:720
	s_wait_loadcnt_dscnt 0x800
	v_mul_f64_e32 v[175:176], v[2:3], v[28:29]
	v_mul_f64_e32 v[28:29], v[4:5], v[28:29]
	v_add_f64_e32 v[169:170], v[169:170], v[163:164]
	v_add_f64_e32 v[165:166], v[161:162], v[165:166]
	ds_load_b128 v[161:164], v1 offset:1440
	v_fma_f64 v[159:160], v[159:160], v[22:23], v[171:172]
	v_fma_f64 v[157:158], v[157:158], v[22:23], -v[24:25]
	scratch_load_b128 v[22:25], off, off offset:736
	v_fma_f64 v[171:172], v[4:5], v[26:27], v[175:176]
	v_add_f64_e32 v[169:170], v[169:170], v[173:174]
	v_add_f64_e32 v[165:166], v[165:166], v[167:168]
	v_fma_f64 v[173:174], v[2:3], v[26:27], -v[28:29]
	ds_load_b128 v[2:5], v1 offset:1456
	s_wait_loadcnt_dscnt 0x801
	v_mul_f64_e32 v[167:168], v[161:162], v[32:33]
	v_mul_f64_e32 v[32:33], v[163:164], v[32:33]
	scratch_load_b128 v[26:29], off, off offset:752
	s_wait_loadcnt_dscnt 0x800
	v_mul_f64_e32 v[175:176], v[2:3], v[40:41]
	v_mul_f64_e32 v[40:41], v[4:5], v[40:41]
	v_add_f64_e32 v[169:170], v[169:170], v[157:158]
	v_add_f64_e32 v[165:166], v[165:166], v[159:160]
	ds_load_b128 v[157:160], v1 offset:1472
	v_fma_f64 v[163:164], v[163:164], v[30:31], v[167:168]
	v_fma_f64 v[161:162], v[161:162], v[30:31], -v[32:33]
	scratch_load_b128 v[30:33], off, off offset:768
	v_add_f64_e32 v[167:168], v[169:170], v[173:174]
	v_add_f64_e32 v[165:166], v[165:166], v[171:172]
	v_fma_f64 v[171:172], v[4:5], v[38:39], v[175:176]
	v_fma_f64 v[173:174], v[2:3], v[38:39], -v[40:41]
	ds_load_b128 v[2:5], v1 offset:1488
	s_wait_loadcnt_dscnt 0x801
	v_mul_f64_e32 v[169:170], v[157:158], v[155:156]
	v_mul_f64_e32 v[155:156], v[159:160], v[155:156]
	scratch_load_b128 v[38:41], off, off offset:784
	s_wait_loadcnt_dscnt 0x800
	v_mul_f64_e32 v[175:176], v[2:3], v[36:37]
	v_mul_f64_e32 v[36:37], v[4:5], v[36:37]
	v_add_f64_e32 v[167:168], v[167:168], v[161:162]
	v_add_f64_e32 v[165:166], v[165:166], v[163:164]
	ds_load_b128 v[161:164], v1 offset:1504
	v_fma_f64 v[159:160], v[159:160], v[153:154], v[169:170]
	v_fma_f64 v[157:158], v[157:158], v[153:154], -v[155:156]
	scratch_load_b128 v[153:156], off, off offset:800
	v_add_f64_e32 v[167:168], v[167:168], v[173:174]
	v_add_f64_e32 v[165:166], v[165:166], v[171:172]
	v_fma_f64 v[171:172], v[4:5], v[34:35], v[175:176]
	;; [unrolled: 18-line block ×3, first 2 shown]
	v_fma_f64 v[173:174], v[2:3], v[10:11], -v[12:13]
	ds_load_b128 v[2:5], v1 offset:1552
	s_wait_loadcnt_dscnt 0x801
	v_mul_f64_e32 v[169:170], v[157:158], v[16:17]
	v_mul_f64_e32 v[16:17], v[159:160], v[16:17]
	scratch_load_b128 v[10:13], off, off offset:848
	s_wait_loadcnt_dscnt 0x800
	v_mul_f64_e32 v[175:176], v[2:3], v[20:21]
	v_mul_f64_e32 v[20:21], v[4:5], v[20:21]
	v_add_f64_e32 v[167:168], v[167:168], v[161:162]
	v_add_f64_e32 v[165:166], v[165:166], v[163:164]
	ds_load_b128 v[161:164], v1 offset:1568
	v_fma_f64 v[159:160], v[159:160], v[14:15], v[169:170]
	v_fma_f64 v[14:15], v[157:158], v[14:15], -v[16:17]
	v_add_f64_e32 v[16:17], v[167:168], v[173:174]
	v_add_f64_e32 v[157:158], v[165:166], v[171:172]
	s_wait_loadcnt_dscnt 0x700
	v_mul_f64_e32 v[165:166], v[161:162], v[24:25]
	v_mul_f64_e32 v[24:25], v[163:164], v[24:25]
	v_fma_f64 v[167:168], v[4:5], v[18:19], v[175:176]
	v_fma_f64 v[18:19], v[2:3], v[18:19], -v[20:21]
	v_add_f64_e32 v[20:21], v[16:17], v[14:15]
	v_add_f64_e32 v[157:158], v[157:158], v[159:160]
	ds_load_b128 v[2:5], v1 offset:1584
	ds_load_b128 v[14:17], v1 offset:1600
	v_fma_f64 v[163:164], v[163:164], v[22:23], v[165:166]
	v_fma_f64 v[22:23], v[161:162], v[22:23], -v[24:25]
	s_wait_loadcnt_dscnt 0x601
	v_mul_f64_e32 v[159:160], v[2:3], v[28:29]
	v_mul_f64_e32 v[28:29], v[4:5], v[28:29]
	s_wait_loadcnt_dscnt 0x500
	v_mul_f64_e32 v[24:25], v[14:15], v[32:33]
	v_mul_f64_e32 v[32:33], v[16:17], v[32:33]
	v_add_f64_e32 v[18:19], v[20:21], v[18:19]
	v_add_f64_e32 v[20:21], v[157:158], v[167:168]
	v_fma_f64 v[157:158], v[4:5], v[26:27], v[159:160]
	v_fma_f64 v[26:27], v[2:3], v[26:27], -v[28:29]
	v_fma_f64 v[16:17], v[16:17], v[30:31], v[24:25]
	v_fma_f64 v[14:15], v[14:15], v[30:31], -v[32:33]
	v_add_f64_e32 v[22:23], v[18:19], v[22:23]
	v_add_f64_e32 v[28:29], v[20:21], v[163:164]
	ds_load_b128 v[2:5], v1 offset:1616
	ds_load_b128 v[18:21], v1 offset:1632
	s_wait_loadcnt_dscnt 0x401
	v_mul_f64_e32 v[159:160], v[2:3], v[40:41]
	v_mul_f64_e32 v[40:41], v[4:5], v[40:41]
	v_add_f64_e32 v[22:23], v[22:23], v[26:27]
	v_add_f64_e32 v[24:25], v[28:29], v[157:158]
	s_wait_loadcnt_dscnt 0x300
	v_mul_f64_e32 v[26:27], v[18:19], v[155:156]
	v_mul_f64_e32 v[28:29], v[20:21], v[155:156]
	v_fma_f64 v[30:31], v[4:5], v[38:39], v[159:160]
	v_fma_f64 v[32:33], v[2:3], v[38:39], -v[40:41]
	v_add_f64_e32 v[22:23], v[22:23], v[14:15]
	v_add_f64_e32 v[24:25], v[24:25], v[16:17]
	ds_load_b128 v[2:5], v1 offset:1648
	ds_load_b128 v[14:17], v1 offset:1664
	v_fma_f64 v[20:21], v[20:21], v[153:154], v[26:27]
	v_fma_f64 v[18:19], v[18:19], v[153:154], -v[28:29]
	s_wait_loadcnt_dscnt 0x201
	v_mul_f64_e32 v[38:39], v[2:3], v[36:37]
	v_mul_f64_e32 v[36:37], v[4:5], v[36:37]
	s_wait_loadcnt_dscnt 0x100
	v_mul_f64_e32 v[26:27], v[14:15], v[8:9]
	v_mul_f64_e32 v[8:9], v[16:17], v[8:9]
	v_add_f64_e32 v[22:23], v[22:23], v[32:33]
	v_add_f64_e32 v[24:25], v[24:25], v[30:31]
	v_fma_f64 v[28:29], v[4:5], v[34:35], v[38:39]
	v_fma_f64 v[30:31], v[2:3], v[34:35], -v[36:37]
	ds_load_b128 v[2:5], v1 offset:1680
	v_fma_f64 v[16:17], v[16:17], v[6:7], v[26:27]
	v_fma_f64 v[6:7], v[14:15], v[6:7], -v[8:9]
	v_add_f64_e32 v[18:19], v[22:23], v[18:19]
	v_add_f64_e32 v[20:21], v[24:25], v[20:21]
	s_wait_loadcnt_dscnt 0x0
	v_mul_f64_e32 v[22:23], v[2:3], v[12:13]
	v_mul_f64_e32 v[12:13], v[4:5], v[12:13]
	s_delay_alu instid0(VALU_DEP_4) | instskip(NEXT) | instid1(VALU_DEP_4)
	v_add_f64_e32 v[8:9], v[18:19], v[30:31]
	v_add_f64_e32 v[14:15], v[20:21], v[28:29]
	s_delay_alu instid0(VALU_DEP_4) | instskip(NEXT) | instid1(VALU_DEP_4)
	v_fma_f64 v[4:5], v[4:5], v[10:11], v[22:23]
	v_fma_f64 v[2:3], v[2:3], v[10:11], -v[12:13]
	s_delay_alu instid0(VALU_DEP_4) | instskip(NEXT) | instid1(VALU_DEP_4)
	v_add_f64_e32 v[6:7], v[8:9], v[6:7]
	v_add_f64_e32 v[8:9], v[14:15], v[16:17]
	s_delay_alu instid0(VALU_DEP_2) | instskip(NEXT) | instid1(VALU_DEP_2)
	v_add_f64_e32 v[2:3], v[6:7], v[2:3]
	v_add_f64_e32 v[4:5], v[8:9], v[4:5]
	s_delay_alu instid0(VALU_DEP_2) | instskip(NEXT) | instid1(VALU_DEP_2)
	v_add_f64_e64 v[2:3], v[42:43], -v[2:3]
	v_add_f64_e64 v[4:5], v[44:45], -v[4:5]
	scratch_store_b128 off, v[2:5], off offset:320
	v_cmpx_lt_u32_e32 18, v0
	s_cbranch_execz .LBB116_295
; %bb.294:
	scratch_load_b128 v[5:8], off, s48
	v_dual_mov_b32 v2, v1 :: v_dual_mov_b32 v3, v1
	v_mov_b32_e32 v4, v1
	scratch_store_b128 off, v[1:4], off offset:304
	s_wait_loadcnt 0x0
	ds_store_b128 v152, v[5:8]
.LBB116_295:
	s_wait_alu 0xfffe
	s_or_b32 exec_lo, exec_lo, s0
	s_wait_storecnt_dscnt 0x0
	s_barrier_signal -1
	s_barrier_wait -1
	global_inv scope:SCOPE_SE
	s_clause 0x8
	scratch_load_b128 v[2:5], off, off offset:320
	scratch_load_b128 v[6:9], off, off offset:336
	;; [unrolled: 1-line block ×9, first 2 shown]
	ds_load_b128 v[38:41], v1 offset:1152
	ds_load_b128 v[42:45], v1 offset:1168
	s_clause 0x1
	scratch_load_b128 v[153:156], off, off offset:304
	scratch_load_b128 v[157:160], off, off offset:464
	s_mov_b32 s0, exec_lo
	s_wait_loadcnt_dscnt 0xa01
	v_mul_f64_e32 v[161:162], v[40:41], v[4:5]
	v_mul_f64_e32 v[4:5], v[38:39], v[4:5]
	s_wait_loadcnt_dscnt 0x900
	v_mul_f64_e32 v[165:166], v[42:43], v[8:9]
	v_mul_f64_e32 v[8:9], v[44:45], v[8:9]
	s_delay_alu instid0(VALU_DEP_4) | instskip(NEXT) | instid1(VALU_DEP_4)
	v_fma_f64 v[167:168], v[38:39], v[2:3], -v[161:162]
	v_fma_f64 v[169:170], v[40:41], v[2:3], v[4:5]
	ds_load_b128 v[2:5], v1 offset:1184
	ds_load_b128 v[161:164], v1 offset:1200
	scratch_load_b128 v[38:41], off, off offset:480
	v_fma_f64 v[44:45], v[44:45], v[6:7], v[165:166]
	v_fma_f64 v[42:43], v[42:43], v[6:7], -v[8:9]
	scratch_load_b128 v[6:9], off, off offset:496
	s_wait_loadcnt_dscnt 0xa01
	v_mul_f64_e32 v[171:172], v[2:3], v[12:13]
	v_mul_f64_e32 v[12:13], v[4:5], v[12:13]
	v_add_f64_e32 v[165:166], 0, v[167:168]
	v_add_f64_e32 v[167:168], 0, v[169:170]
	s_wait_loadcnt_dscnt 0x900
	v_mul_f64_e32 v[169:170], v[161:162], v[16:17]
	v_mul_f64_e32 v[16:17], v[163:164], v[16:17]
	v_fma_f64 v[171:172], v[4:5], v[10:11], v[171:172]
	v_fma_f64 v[173:174], v[2:3], v[10:11], -v[12:13]
	ds_load_b128 v[2:5], v1 offset:1216
	scratch_load_b128 v[10:13], off, off offset:512
	v_add_f64_e32 v[165:166], v[165:166], v[42:43]
	v_add_f64_e32 v[167:168], v[167:168], v[44:45]
	ds_load_b128 v[42:45], v1 offset:1232
	v_fma_f64 v[163:164], v[163:164], v[14:15], v[169:170]
	v_fma_f64 v[161:162], v[161:162], v[14:15], -v[16:17]
	scratch_load_b128 v[14:17], off, off offset:528
	s_wait_loadcnt_dscnt 0xa01
	v_mul_f64_e32 v[175:176], v[2:3], v[20:21]
	v_mul_f64_e32 v[20:21], v[4:5], v[20:21]
	s_wait_loadcnt_dscnt 0x900
	v_mul_f64_e32 v[169:170], v[42:43], v[24:25]
	v_mul_f64_e32 v[24:25], v[44:45], v[24:25]
	v_add_f64_e32 v[165:166], v[165:166], v[173:174]
	v_add_f64_e32 v[167:168], v[167:168], v[171:172]
	v_fma_f64 v[171:172], v[4:5], v[18:19], v[175:176]
	v_fma_f64 v[173:174], v[2:3], v[18:19], -v[20:21]
	ds_load_b128 v[2:5], v1 offset:1248
	scratch_load_b128 v[18:21], off, off offset:544
	v_fma_f64 v[44:45], v[44:45], v[22:23], v[169:170]
	v_fma_f64 v[42:43], v[42:43], v[22:23], -v[24:25]
	scratch_load_b128 v[22:25], off, off offset:560
	v_add_f64_e32 v[165:166], v[165:166], v[161:162]
	v_add_f64_e32 v[167:168], v[167:168], v[163:164]
	ds_load_b128 v[161:164], v1 offset:1264
	s_wait_loadcnt_dscnt 0xa01
	v_mul_f64_e32 v[175:176], v[2:3], v[28:29]
	v_mul_f64_e32 v[28:29], v[4:5], v[28:29]
	s_wait_loadcnt_dscnt 0x900
	v_mul_f64_e32 v[169:170], v[161:162], v[32:33]
	v_mul_f64_e32 v[32:33], v[163:164], v[32:33]
	v_add_f64_e32 v[165:166], v[165:166], v[173:174]
	v_add_f64_e32 v[167:168], v[167:168], v[171:172]
	v_fma_f64 v[171:172], v[4:5], v[26:27], v[175:176]
	v_fma_f64 v[173:174], v[2:3], v[26:27], -v[28:29]
	ds_load_b128 v[2:5], v1 offset:1280
	scratch_load_b128 v[26:29], off, off offset:576
	v_fma_f64 v[163:164], v[163:164], v[30:31], v[169:170]
	v_fma_f64 v[161:162], v[161:162], v[30:31], -v[32:33]
	scratch_load_b128 v[30:33], off, off offset:592
	v_add_f64_e32 v[165:166], v[165:166], v[42:43]
	v_add_f64_e32 v[167:168], v[167:168], v[44:45]
	ds_load_b128 v[42:45], v1 offset:1296
	s_wait_loadcnt_dscnt 0xa01
	v_mul_f64_e32 v[175:176], v[2:3], v[36:37]
	v_mul_f64_e32 v[36:37], v[4:5], v[36:37]
	s_wait_loadcnt_dscnt 0x800
	v_mul_f64_e32 v[169:170], v[42:43], v[159:160]
	v_add_f64_e32 v[165:166], v[165:166], v[173:174]
	v_add_f64_e32 v[167:168], v[167:168], v[171:172]
	v_mul_f64_e32 v[171:172], v[44:45], v[159:160]
	v_fma_f64 v[173:174], v[4:5], v[34:35], v[175:176]
	v_fma_f64 v[175:176], v[2:3], v[34:35], -v[36:37]
	ds_load_b128 v[2:5], v1 offset:1312
	scratch_load_b128 v[34:37], off, off offset:608
	v_fma_f64 v[44:45], v[44:45], v[157:158], v[169:170]
	v_add_f64_e32 v[165:166], v[165:166], v[161:162]
	v_add_f64_e32 v[163:164], v[167:168], v[163:164]
	ds_load_b128 v[159:162], v1 offset:1328
	v_fma_f64 v[157:158], v[42:43], v[157:158], -v[171:172]
	s_wait_loadcnt_dscnt 0x801
	v_mul_f64_e32 v[167:168], v[2:3], v[40:41]
	v_mul_f64_e32 v[177:178], v[4:5], v[40:41]
	scratch_load_b128 v[40:43], off, off offset:624
	s_wait_loadcnt_dscnt 0x800
	v_mul_f64_e32 v[171:172], v[159:160], v[8:9]
	v_mul_f64_e32 v[8:9], v[161:162], v[8:9]
	v_add_f64_e32 v[165:166], v[165:166], v[175:176]
	v_add_f64_e32 v[163:164], v[163:164], v[173:174]
	v_fma_f64 v[173:174], v[4:5], v[38:39], v[167:168]
	v_fma_f64 v[38:39], v[2:3], v[38:39], -v[177:178]
	ds_load_b128 v[2:5], v1 offset:1344
	ds_load_b128 v[167:170], v1 offset:1360
	v_fma_f64 v[161:162], v[161:162], v[6:7], v[171:172]
	v_fma_f64 v[159:160], v[159:160], v[6:7], -v[8:9]
	scratch_load_b128 v[6:9], off, off offset:656
	v_add_f64_e32 v[157:158], v[165:166], v[157:158]
	v_add_f64_e32 v[44:45], v[163:164], v[44:45]
	scratch_load_b128 v[163:166], off, off offset:640
	s_wait_loadcnt_dscnt 0x901
	v_mul_f64_e32 v[175:176], v[2:3], v[12:13]
	v_mul_f64_e32 v[12:13], v[4:5], v[12:13]
	s_wait_loadcnt_dscnt 0x800
	v_mul_f64_e32 v[171:172], v[167:168], v[16:17]
	v_mul_f64_e32 v[16:17], v[169:170], v[16:17]
	v_add_f64_e32 v[38:39], v[157:158], v[38:39]
	v_add_f64_e32 v[44:45], v[44:45], v[173:174]
	v_fma_f64 v[173:174], v[4:5], v[10:11], v[175:176]
	v_fma_f64 v[175:176], v[2:3], v[10:11], -v[12:13]
	ds_load_b128 v[2:5], v1 offset:1376
	scratch_load_b128 v[10:13], off, off offset:672
	v_fma_f64 v[169:170], v[169:170], v[14:15], v[171:172]
	v_fma_f64 v[167:168], v[167:168], v[14:15], -v[16:17]
	scratch_load_b128 v[14:17], off, off offset:688
	v_add_f64_e32 v[38:39], v[38:39], v[159:160]
	v_add_f64_e32 v[44:45], v[44:45], v[161:162]
	ds_load_b128 v[157:160], v1 offset:1392
	s_wait_loadcnt_dscnt 0x901
	v_mul_f64_e32 v[161:162], v[2:3], v[20:21]
	v_mul_f64_e32 v[20:21], v[4:5], v[20:21]
	s_wait_loadcnt_dscnt 0x800
	v_mul_f64_e32 v[171:172], v[157:158], v[24:25]
	v_mul_f64_e32 v[24:25], v[159:160], v[24:25]
	v_add_f64_e32 v[38:39], v[38:39], v[175:176]
	v_add_f64_e32 v[44:45], v[44:45], v[173:174]
	v_fma_f64 v[161:162], v[4:5], v[18:19], v[161:162]
	v_fma_f64 v[173:174], v[2:3], v[18:19], -v[20:21]
	ds_load_b128 v[2:5], v1 offset:1408
	scratch_load_b128 v[18:21], off, off offset:704
	v_fma_f64 v[159:160], v[159:160], v[22:23], v[171:172]
	v_fma_f64 v[157:158], v[157:158], v[22:23], -v[24:25]
	scratch_load_b128 v[22:25], off, off offset:720
	v_add_f64_e32 v[38:39], v[38:39], v[167:168]
	v_add_f64_e32 v[44:45], v[44:45], v[169:170]
	ds_load_b128 v[167:170], v1 offset:1424
	s_wait_loadcnt_dscnt 0x901
	v_mul_f64_e32 v[175:176], v[2:3], v[28:29]
	v_mul_f64_e32 v[28:29], v[4:5], v[28:29]
	v_add_f64_e32 v[38:39], v[38:39], v[173:174]
	v_add_f64_e32 v[44:45], v[44:45], v[161:162]
	s_wait_loadcnt_dscnt 0x800
	v_mul_f64_e32 v[161:162], v[167:168], v[32:33]
	v_mul_f64_e32 v[32:33], v[169:170], v[32:33]
	v_fma_f64 v[171:172], v[4:5], v[26:27], v[175:176]
	v_fma_f64 v[173:174], v[2:3], v[26:27], -v[28:29]
	ds_load_b128 v[2:5], v1 offset:1440
	scratch_load_b128 v[26:29], off, off offset:736
	v_add_f64_e32 v[38:39], v[38:39], v[157:158]
	v_add_f64_e32 v[44:45], v[44:45], v[159:160]
	ds_load_b128 v[157:160], v1 offset:1456
	s_wait_loadcnt_dscnt 0x801
	v_mul_f64_e32 v[175:176], v[2:3], v[36:37]
	v_mul_f64_e32 v[36:37], v[4:5], v[36:37]
	v_fma_f64 v[161:162], v[169:170], v[30:31], v[161:162]
	v_fma_f64 v[167:168], v[167:168], v[30:31], -v[32:33]
	scratch_load_b128 v[30:33], off, off offset:752
	s_wait_loadcnt_dscnt 0x800
	v_mul_f64_e32 v[169:170], v[157:158], v[42:43]
	v_add_f64_e32 v[38:39], v[38:39], v[173:174]
	v_add_f64_e32 v[44:45], v[44:45], v[171:172]
	v_mul_f64_e32 v[171:172], v[159:160], v[42:43]
	v_fma_f64 v[173:174], v[4:5], v[34:35], v[175:176]
	v_fma_f64 v[175:176], v[2:3], v[34:35], -v[36:37]
	ds_load_b128 v[2:5], v1 offset:1472
	scratch_load_b128 v[34:37], off, off offset:768
	v_fma_f64 v[159:160], v[159:160], v[40:41], v[169:170]
	v_add_f64_e32 v[38:39], v[38:39], v[167:168]
	v_add_f64_e32 v[161:162], v[44:45], v[161:162]
	ds_load_b128 v[42:45], v1 offset:1488
	v_fma_f64 v[157:158], v[157:158], v[40:41], -v[171:172]
	s_wait_loadcnt_dscnt 0x701
	v_mul_f64_e32 v[167:168], v[2:3], v[165:166]
	v_mul_f64_e32 v[165:166], v[4:5], v[165:166]
	s_wait_dscnt 0x0
	v_mul_f64_e32 v[171:172], v[42:43], v[8:9]
	v_mul_f64_e32 v[8:9], v[44:45], v[8:9]
	v_add_f64_e32 v[169:170], v[38:39], v[175:176]
	v_add_f64_e32 v[161:162], v[161:162], v[173:174]
	scratch_load_b128 v[38:41], off, off offset:784
	v_fma_f64 v[167:168], v[4:5], v[163:164], v[167:168]
	v_fma_f64 v[165:166], v[2:3], v[163:164], -v[165:166]
	ds_load_b128 v[2:5], v1 offset:1504
	v_fma_f64 v[44:45], v[44:45], v[6:7], v[171:172]
	v_fma_f64 v[42:43], v[42:43], v[6:7], -v[8:9]
	scratch_load_b128 v[6:9], off, off offset:816
	v_add_f64_e32 v[169:170], v[169:170], v[157:158]
	v_add_f64_e32 v[173:174], v[161:162], v[159:160]
	scratch_load_b128 v[157:160], off, off offset:800
	ds_load_b128 v[161:164], v1 offset:1520
	s_wait_loadcnt_dscnt 0x901
	v_mul_f64_e32 v[175:176], v[2:3], v[12:13]
	v_mul_f64_e32 v[12:13], v[4:5], v[12:13]
	v_add_f64_e32 v[165:166], v[169:170], v[165:166]
	v_add_f64_e32 v[167:168], v[173:174], v[167:168]
	s_wait_loadcnt_dscnt 0x800
	v_mul_f64_e32 v[169:170], v[161:162], v[16:17]
	v_mul_f64_e32 v[16:17], v[163:164], v[16:17]
	v_fma_f64 v[171:172], v[4:5], v[10:11], v[175:176]
	v_fma_f64 v[173:174], v[2:3], v[10:11], -v[12:13]
	ds_load_b128 v[2:5], v1 offset:1536
	scratch_load_b128 v[10:13], off, off offset:832
	v_add_f64_e32 v[165:166], v[165:166], v[42:43]
	v_add_f64_e32 v[167:168], v[167:168], v[44:45]
	ds_load_b128 v[42:45], v1 offset:1552
	s_wait_loadcnt_dscnt 0x801
	v_mul_f64_e32 v[175:176], v[2:3], v[20:21]
	v_mul_f64_e32 v[20:21], v[4:5], v[20:21]
	v_fma_f64 v[163:164], v[163:164], v[14:15], v[169:170]
	v_fma_f64 v[161:162], v[161:162], v[14:15], -v[16:17]
	scratch_load_b128 v[14:17], off, off offset:848
	s_wait_loadcnt_dscnt 0x800
	v_mul_f64_e32 v[169:170], v[42:43], v[24:25]
	v_mul_f64_e32 v[24:25], v[44:45], v[24:25]
	v_add_f64_e32 v[165:166], v[165:166], v[173:174]
	v_add_f64_e32 v[167:168], v[167:168], v[171:172]
	v_fma_f64 v[171:172], v[4:5], v[18:19], v[175:176]
	v_fma_f64 v[173:174], v[2:3], v[18:19], -v[20:21]
	ds_load_b128 v[2:5], v1 offset:1568
	ds_load_b128 v[18:21], v1 offset:1584
	v_fma_f64 v[44:45], v[44:45], v[22:23], v[169:170]
	v_fma_f64 v[22:23], v[42:43], v[22:23], -v[24:25]
	v_add_f64_e32 v[161:162], v[165:166], v[161:162]
	v_add_f64_e32 v[163:164], v[167:168], v[163:164]
	s_wait_loadcnt_dscnt 0x701
	v_mul_f64_e32 v[165:166], v[2:3], v[28:29]
	v_mul_f64_e32 v[28:29], v[4:5], v[28:29]
	s_delay_alu instid0(VALU_DEP_4) | instskip(NEXT) | instid1(VALU_DEP_4)
	v_add_f64_e32 v[24:25], v[161:162], v[173:174]
	v_add_f64_e32 v[42:43], v[163:164], v[171:172]
	s_wait_loadcnt_dscnt 0x600
	v_mul_f64_e32 v[161:162], v[18:19], v[32:33]
	v_mul_f64_e32 v[32:33], v[20:21], v[32:33]
	v_fma_f64 v[163:164], v[4:5], v[26:27], v[165:166]
	v_fma_f64 v[26:27], v[2:3], v[26:27], -v[28:29]
	v_add_f64_e32 v[28:29], v[24:25], v[22:23]
	v_add_f64_e32 v[42:43], v[42:43], v[44:45]
	ds_load_b128 v[2:5], v1 offset:1600
	ds_load_b128 v[22:25], v1 offset:1616
	v_fma_f64 v[20:21], v[20:21], v[30:31], v[161:162]
	v_fma_f64 v[18:19], v[18:19], v[30:31], -v[32:33]
	s_wait_loadcnt_dscnt 0x501
	v_mul_f64_e32 v[44:45], v[2:3], v[36:37]
	v_mul_f64_e32 v[36:37], v[4:5], v[36:37]
	v_add_f64_e32 v[26:27], v[28:29], v[26:27]
	v_add_f64_e32 v[28:29], v[42:43], v[163:164]
	s_wait_loadcnt_dscnt 0x400
	v_mul_f64_e32 v[30:31], v[22:23], v[40:41]
	v_mul_f64_e32 v[32:33], v[24:25], v[40:41]
	v_fma_f64 v[40:41], v[4:5], v[34:35], v[44:45]
	v_fma_f64 v[34:35], v[2:3], v[34:35], -v[36:37]
	v_add_f64_e32 v[26:27], v[26:27], v[18:19]
	v_add_f64_e32 v[28:29], v[28:29], v[20:21]
	ds_load_b128 v[2:5], v1 offset:1632
	ds_load_b128 v[18:21], v1 offset:1648
	v_fma_f64 v[24:25], v[24:25], v[38:39], v[30:31]
	v_fma_f64 v[22:23], v[22:23], v[38:39], -v[32:33]
	s_wait_loadcnt_dscnt 0x201
	v_mul_f64_e32 v[36:37], v[2:3], v[159:160]
	v_mul_f64_e32 v[42:43], v[4:5], v[159:160]
	s_wait_dscnt 0x0
	v_mul_f64_e32 v[30:31], v[18:19], v[8:9]
	v_mul_f64_e32 v[8:9], v[20:21], v[8:9]
	v_add_f64_e32 v[26:27], v[26:27], v[34:35]
	v_add_f64_e32 v[28:29], v[28:29], v[40:41]
	v_fma_f64 v[32:33], v[4:5], v[157:158], v[36:37]
	v_fma_f64 v[34:35], v[2:3], v[157:158], -v[42:43]
	v_fma_f64 v[20:21], v[20:21], v[6:7], v[30:31]
	v_fma_f64 v[6:7], v[18:19], v[6:7], -v[8:9]
	v_add_f64_e32 v[26:27], v[26:27], v[22:23]
	v_add_f64_e32 v[28:29], v[28:29], v[24:25]
	ds_load_b128 v[2:5], v1 offset:1664
	ds_load_b128 v[22:25], v1 offset:1680
	s_wait_loadcnt_dscnt 0x101
	v_mul_f64_e32 v[36:37], v[2:3], v[12:13]
	v_mul_f64_e32 v[12:13], v[4:5], v[12:13]
	v_add_f64_e32 v[8:9], v[26:27], v[34:35]
	v_add_f64_e32 v[18:19], v[28:29], v[32:33]
	s_wait_loadcnt_dscnt 0x0
	v_mul_f64_e32 v[26:27], v[22:23], v[16:17]
	v_mul_f64_e32 v[16:17], v[24:25], v[16:17]
	v_fma_f64 v[4:5], v[4:5], v[10:11], v[36:37]
	v_fma_f64 v[1:2], v[2:3], v[10:11], -v[12:13]
	v_add_f64_e32 v[6:7], v[8:9], v[6:7]
	v_add_f64_e32 v[8:9], v[18:19], v[20:21]
	v_fma_f64 v[10:11], v[24:25], v[14:15], v[26:27]
	v_fma_f64 v[12:13], v[22:23], v[14:15], -v[16:17]
	s_delay_alu instid0(VALU_DEP_4) | instskip(NEXT) | instid1(VALU_DEP_4)
	v_add_f64_e32 v[1:2], v[6:7], v[1:2]
	v_add_f64_e32 v[3:4], v[8:9], v[4:5]
	s_delay_alu instid0(VALU_DEP_2) | instskip(NEXT) | instid1(VALU_DEP_2)
	v_add_f64_e32 v[1:2], v[1:2], v[12:13]
	v_add_f64_e32 v[3:4], v[3:4], v[10:11]
	s_delay_alu instid0(VALU_DEP_2) | instskip(NEXT) | instid1(VALU_DEP_2)
	v_add_f64_e64 v[1:2], v[153:154], -v[1:2]
	v_add_f64_e64 v[3:4], v[155:156], -v[3:4]
	scratch_store_b128 off, v[1:4], off offset:304
	v_cmpx_lt_u32_e32 17, v0
	s_cbranch_execz .LBB116_297
; %bb.296:
	scratch_load_b128 v[1:4], off, s49
	v_mov_b32_e32 v5, 0
	s_delay_alu instid0(VALU_DEP_1)
	v_dual_mov_b32 v6, v5 :: v_dual_mov_b32 v7, v5
	v_mov_b32_e32 v8, v5
	scratch_store_b128 off, v[5:8], off offset:288
	s_wait_loadcnt 0x0
	ds_store_b128 v152, v[1:4]
.LBB116_297:
	s_wait_alu 0xfffe
	s_or_b32 exec_lo, exec_lo, s0
	s_wait_storecnt_dscnt 0x0
	s_barrier_signal -1
	s_barrier_wait -1
	global_inv scope:SCOPE_SE
	s_clause 0x7
	scratch_load_b128 v[2:5], off, off offset:304
	scratch_load_b128 v[6:9], off, off offset:320
	;; [unrolled: 1-line block ×8, first 2 shown]
	v_mov_b32_e32 v1, 0
	s_mov_b32 s0, exec_lo
	ds_load_b128 v[38:41], v1 offset:1136
	s_clause 0x1
	scratch_load_b128 v[34:37], off, off offset:432
	scratch_load_b128 v[42:45], off, off offset:288
	ds_load_b128 v[153:156], v1 offset:1152
	scratch_load_b128 v[157:160], off, off offset:448
	s_wait_loadcnt_dscnt 0xa01
	v_mul_f64_e32 v[161:162], v[40:41], v[4:5]
	v_mul_f64_e32 v[4:5], v[38:39], v[4:5]
	s_delay_alu instid0(VALU_DEP_2) | instskip(NEXT) | instid1(VALU_DEP_2)
	v_fma_f64 v[167:168], v[38:39], v[2:3], -v[161:162]
	v_fma_f64 v[169:170], v[40:41], v[2:3], v[4:5]
	ds_load_b128 v[2:5], v1 offset:1168
	s_wait_loadcnt_dscnt 0x901
	v_mul_f64_e32 v[165:166], v[153:154], v[8:9]
	v_mul_f64_e32 v[8:9], v[155:156], v[8:9]
	scratch_load_b128 v[38:41], off, off offset:464
	ds_load_b128 v[161:164], v1 offset:1184
	s_wait_loadcnt_dscnt 0x901
	v_mul_f64_e32 v[171:172], v[2:3], v[12:13]
	v_mul_f64_e32 v[12:13], v[4:5], v[12:13]
	v_fma_f64 v[155:156], v[155:156], v[6:7], v[165:166]
	v_fma_f64 v[153:154], v[153:154], v[6:7], -v[8:9]
	v_add_f64_e32 v[165:166], 0, v[167:168]
	v_add_f64_e32 v[167:168], 0, v[169:170]
	scratch_load_b128 v[6:9], off, off offset:480
	v_fma_f64 v[171:172], v[4:5], v[10:11], v[171:172]
	v_fma_f64 v[173:174], v[2:3], v[10:11], -v[12:13]
	ds_load_b128 v[2:5], v1 offset:1200
	s_wait_loadcnt_dscnt 0x901
	v_mul_f64_e32 v[169:170], v[161:162], v[16:17]
	v_mul_f64_e32 v[16:17], v[163:164], v[16:17]
	scratch_load_b128 v[10:13], off, off offset:496
	v_add_f64_e32 v[165:166], v[165:166], v[153:154]
	v_add_f64_e32 v[167:168], v[167:168], v[155:156]
	s_wait_loadcnt_dscnt 0x900
	v_mul_f64_e32 v[175:176], v[2:3], v[20:21]
	v_mul_f64_e32 v[20:21], v[4:5], v[20:21]
	ds_load_b128 v[153:156], v1 offset:1216
	v_fma_f64 v[163:164], v[163:164], v[14:15], v[169:170]
	v_fma_f64 v[161:162], v[161:162], v[14:15], -v[16:17]
	scratch_load_b128 v[14:17], off, off offset:512
	v_add_f64_e32 v[165:166], v[165:166], v[173:174]
	v_add_f64_e32 v[167:168], v[167:168], v[171:172]
	v_fma_f64 v[171:172], v[4:5], v[18:19], v[175:176]
	v_fma_f64 v[173:174], v[2:3], v[18:19], -v[20:21]
	ds_load_b128 v[2:5], v1 offset:1232
	s_wait_loadcnt_dscnt 0x901
	v_mul_f64_e32 v[169:170], v[153:154], v[24:25]
	v_mul_f64_e32 v[24:25], v[155:156], v[24:25]
	scratch_load_b128 v[18:21], off, off offset:528
	s_wait_loadcnt_dscnt 0x900
	v_mul_f64_e32 v[175:176], v[2:3], v[28:29]
	v_mul_f64_e32 v[28:29], v[4:5], v[28:29]
	v_add_f64_e32 v[165:166], v[165:166], v[161:162]
	v_add_f64_e32 v[167:168], v[167:168], v[163:164]
	ds_load_b128 v[161:164], v1 offset:1248
	v_fma_f64 v[155:156], v[155:156], v[22:23], v[169:170]
	v_fma_f64 v[153:154], v[153:154], v[22:23], -v[24:25]
	scratch_load_b128 v[22:25], off, off offset:544
	v_add_f64_e32 v[165:166], v[165:166], v[173:174]
	v_add_f64_e32 v[167:168], v[167:168], v[171:172]
	v_fma_f64 v[171:172], v[4:5], v[26:27], v[175:176]
	v_fma_f64 v[173:174], v[2:3], v[26:27], -v[28:29]
	ds_load_b128 v[2:5], v1 offset:1264
	s_wait_loadcnt_dscnt 0x901
	v_mul_f64_e32 v[169:170], v[161:162], v[32:33]
	v_mul_f64_e32 v[32:33], v[163:164], v[32:33]
	scratch_load_b128 v[26:29], off, off offset:560
	s_wait_loadcnt_dscnt 0x900
	v_mul_f64_e32 v[175:176], v[2:3], v[36:37]
	v_mul_f64_e32 v[36:37], v[4:5], v[36:37]
	v_add_f64_e32 v[165:166], v[165:166], v[153:154]
	v_add_f64_e32 v[167:168], v[167:168], v[155:156]
	ds_load_b128 v[153:156], v1 offset:1280
	v_fma_f64 v[163:164], v[163:164], v[30:31], v[169:170]
	v_fma_f64 v[161:162], v[161:162], v[30:31], -v[32:33]
	scratch_load_b128 v[30:33], off, off offset:576
	v_add_f64_e32 v[165:166], v[165:166], v[173:174]
	v_add_f64_e32 v[167:168], v[167:168], v[171:172]
	v_fma_f64 v[173:174], v[4:5], v[34:35], v[175:176]
	v_fma_f64 v[175:176], v[2:3], v[34:35], -v[36:37]
	ds_load_b128 v[2:5], v1 offset:1296
	s_wait_loadcnt_dscnt 0x801
	v_mul_f64_e32 v[169:170], v[153:154], v[159:160]
	v_mul_f64_e32 v[171:172], v[155:156], v[159:160]
	scratch_load_b128 v[34:37], off, off offset:592
	v_add_f64_e32 v[165:166], v[165:166], v[161:162]
	v_add_f64_e32 v[163:164], v[167:168], v[163:164]
	ds_load_b128 v[159:162], v1 offset:1312
	v_fma_f64 v[169:170], v[155:156], v[157:158], v[169:170]
	v_fma_f64 v[157:158], v[153:154], v[157:158], -v[171:172]
	scratch_load_b128 v[153:156], off, off offset:608
	s_wait_loadcnt_dscnt 0x901
	v_mul_f64_e32 v[167:168], v[2:3], v[40:41]
	v_mul_f64_e32 v[40:41], v[4:5], v[40:41]
	v_add_f64_e32 v[165:166], v[165:166], v[175:176]
	v_add_f64_e32 v[163:164], v[163:164], v[173:174]
	s_delay_alu instid0(VALU_DEP_4) | instskip(NEXT) | instid1(VALU_DEP_4)
	v_fma_f64 v[167:168], v[4:5], v[38:39], v[167:168]
	v_fma_f64 v[173:174], v[2:3], v[38:39], -v[40:41]
	ds_load_b128 v[2:5], v1 offset:1328
	s_wait_loadcnt_dscnt 0x801
	v_mul_f64_e32 v[171:172], v[159:160], v[8:9]
	v_mul_f64_e32 v[8:9], v[161:162], v[8:9]
	scratch_load_b128 v[38:41], off, off offset:624
	s_wait_loadcnt_dscnt 0x800
	v_mul_f64_e32 v[175:176], v[2:3], v[12:13]
	v_add_f64_e32 v[157:158], v[165:166], v[157:158]
	v_add_f64_e32 v[169:170], v[163:164], v[169:170]
	v_mul_f64_e32 v[12:13], v[4:5], v[12:13]
	ds_load_b128 v[163:166], v1 offset:1344
	v_fma_f64 v[161:162], v[161:162], v[6:7], v[171:172]
	v_fma_f64 v[159:160], v[159:160], v[6:7], -v[8:9]
	scratch_load_b128 v[6:9], off, off offset:640
	v_fma_f64 v[171:172], v[4:5], v[10:11], v[175:176]
	v_add_f64_e32 v[157:158], v[157:158], v[173:174]
	v_add_f64_e32 v[167:168], v[169:170], v[167:168]
	v_fma_f64 v[173:174], v[2:3], v[10:11], -v[12:13]
	ds_load_b128 v[2:5], v1 offset:1360
	s_wait_loadcnt_dscnt 0x801
	v_mul_f64_e32 v[169:170], v[163:164], v[16:17]
	v_mul_f64_e32 v[16:17], v[165:166], v[16:17]
	scratch_load_b128 v[10:13], off, off offset:656
	v_add_f64_e32 v[175:176], v[157:158], v[159:160]
	v_add_f64_e32 v[161:162], v[167:168], v[161:162]
	s_wait_loadcnt_dscnt 0x800
	v_mul_f64_e32 v[167:168], v[2:3], v[20:21]
	v_mul_f64_e32 v[20:21], v[4:5], v[20:21]
	v_fma_f64 v[165:166], v[165:166], v[14:15], v[169:170]
	v_fma_f64 v[163:164], v[163:164], v[14:15], -v[16:17]
	ds_load_b128 v[157:160], v1 offset:1376
	scratch_load_b128 v[14:17], off, off offset:672
	v_add_f64_e32 v[169:170], v[175:176], v[173:174]
	v_add_f64_e32 v[161:162], v[161:162], v[171:172]
	v_fma_f64 v[167:168], v[4:5], v[18:19], v[167:168]
	v_fma_f64 v[173:174], v[2:3], v[18:19], -v[20:21]
	ds_load_b128 v[2:5], v1 offset:1392
	s_wait_loadcnt_dscnt 0x801
	v_mul_f64_e32 v[171:172], v[157:158], v[24:25]
	v_mul_f64_e32 v[24:25], v[159:160], v[24:25]
	scratch_load_b128 v[18:21], off, off offset:688
	s_wait_loadcnt_dscnt 0x800
	v_mul_f64_e32 v[175:176], v[2:3], v[28:29]
	v_mul_f64_e32 v[28:29], v[4:5], v[28:29]
	v_add_f64_e32 v[169:170], v[169:170], v[163:164]
	v_add_f64_e32 v[165:166], v[161:162], v[165:166]
	ds_load_b128 v[161:164], v1 offset:1408
	v_fma_f64 v[159:160], v[159:160], v[22:23], v[171:172]
	v_fma_f64 v[157:158], v[157:158], v[22:23], -v[24:25]
	scratch_load_b128 v[22:25], off, off offset:704
	v_fma_f64 v[171:172], v[4:5], v[26:27], v[175:176]
	v_add_f64_e32 v[169:170], v[169:170], v[173:174]
	v_add_f64_e32 v[165:166], v[165:166], v[167:168]
	v_fma_f64 v[173:174], v[2:3], v[26:27], -v[28:29]
	ds_load_b128 v[2:5], v1 offset:1424
	s_wait_loadcnt_dscnt 0x801
	v_mul_f64_e32 v[167:168], v[161:162], v[32:33]
	v_mul_f64_e32 v[32:33], v[163:164], v[32:33]
	scratch_load_b128 v[26:29], off, off offset:720
	s_wait_loadcnt_dscnt 0x800
	v_mul_f64_e32 v[175:176], v[2:3], v[36:37]
	v_mul_f64_e32 v[36:37], v[4:5], v[36:37]
	v_add_f64_e32 v[169:170], v[169:170], v[157:158]
	v_add_f64_e32 v[165:166], v[165:166], v[159:160]
	ds_load_b128 v[157:160], v1 offset:1440
	v_fma_f64 v[163:164], v[163:164], v[30:31], v[167:168]
	v_fma_f64 v[161:162], v[161:162], v[30:31], -v[32:33]
	scratch_load_b128 v[30:33], off, off offset:736
	v_add_f64_e32 v[167:168], v[169:170], v[173:174]
	v_add_f64_e32 v[165:166], v[165:166], v[171:172]
	v_fma_f64 v[171:172], v[4:5], v[34:35], v[175:176]
	v_fma_f64 v[173:174], v[2:3], v[34:35], -v[36:37]
	ds_load_b128 v[2:5], v1 offset:1456
	s_wait_loadcnt_dscnt 0x801
	v_mul_f64_e32 v[169:170], v[157:158], v[155:156]
	v_mul_f64_e32 v[155:156], v[159:160], v[155:156]
	scratch_load_b128 v[34:37], off, off offset:752
	s_wait_loadcnt_dscnt 0x800
	v_mul_f64_e32 v[175:176], v[2:3], v[40:41]
	v_mul_f64_e32 v[40:41], v[4:5], v[40:41]
	v_add_f64_e32 v[167:168], v[167:168], v[161:162]
	v_add_f64_e32 v[165:166], v[165:166], v[163:164]
	ds_load_b128 v[161:164], v1 offset:1472
	v_fma_f64 v[159:160], v[159:160], v[153:154], v[169:170]
	v_fma_f64 v[157:158], v[157:158], v[153:154], -v[155:156]
	scratch_load_b128 v[153:156], off, off offset:768
	v_add_f64_e32 v[167:168], v[167:168], v[173:174]
	v_add_f64_e32 v[165:166], v[165:166], v[171:172]
	v_fma_f64 v[171:172], v[4:5], v[38:39], v[175:176]
	;; [unrolled: 18-line block ×4, first 2 shown]
	v_fma_f64 v[173:174], v[2:3], v[18:19], -v[20:21]
	ds_load_b128 v[2:5], v1 offset:1552
	s_wait_loadcnt_dscnt 0x801
	v_mul_f64_e32 v[169:170], v[161:162], v[24:25]
	v_mul_f64_e32 v[24:25], v[163:164], v[24:25]
	scratch_load_b128 v[18:21], off, off offset:848
	s_wait_loadcnt_dscnt 0x800
	v_mul_f64_e32 v[175:176], v[2:3], v[28:29]
	v_mul_f64_e32 v[28:29], v[4:5], v[28:29]
	v_add_f64_e32 v[167:168], v[167:168], v[157:158]
	v_add_f64_e32 v[165:166], v[165:166], v[159:160]
	ds_load_b128 v[157:160], v1 offset:1568
	v_fma_f64 v[163:164], v[163:164], v[22:23], v[169:170]
	v_fma_f64 v[22:23], v[161:162], v[22:23], -v[24:25]
	v_add_f64_e32 v[24:25], v[167:168], v[173:174]
	v_add_f64_e32 v[161:162], v[165:166], v[171:172]
	s_wait_loadcnt_dscnt 0x700
	v_mul_f64_e32 v[165:166], v[157:158], v[32:33]
	v_mul_f64_e32 v[32:33], v[159:160], v[32:33]
	v_fma_f64 v[167:168], v[4:5], v[26:27], v[175:176]
	v_fma_f64 v[26:27], v[2:3], v[26:27], -v[28:29]
	v_add_f64_e32 v[28:29], v[24:25], v[22:23]
	v_add_f64_e32 v[161:162], v[161:162], v[163:164]
	ds_load_b128 v[2:5], v1 offset:1584
	ds_load_b128 v[22:25], v1 offset:1600
	v_fma_f64 v[159:160], v[159:160], v[30:31], v[165:166]
	v_fma_f64 v[30:31], v[157:158], v[30:31], -v[32:33]
	s_wait_loadcnt_dscnt 0x601
	v_mul_f64_e32 v[163:164], v[2:3], v[36:37]
	v_mul_f64_e32 v[36:37], v[4:5], v[36:37]
	s_wait_loadcnt_dscnt 0x500
	v_mul_f64_e32 v[32:33], v[22:23], v[155:156]
	v_mul_f64_e32 v[155:156], v[24:25], v[155:156]
	v_add_f64_e32 v[26:27], v[28:29], v[26:27]
	v_add_f64_e32 v[28:29], v[161:162], v[167:168]
	v_fma_f64 v[157:158], v[4:5], v[34:35], v[163:164]
	v_fma_f64 v[34:35], v[2:3], v[34:35], -v[36:37]
	v_fma_f64 v[24:25], v[24:25], v[153:154], v[32:33]
	v_fma_f64 v[22:23], v[22:23], v[153:154], -v[155:156]
	v_add_f64_e32 v[30:31], v[26:27], v[30:31]
	v_add_f64_e32 v[36:37], v[28:29], v[159:160]
	ds_load_b128 v[2:5], v1 offset:1616
	ds_load_b128 v[26:29], v1 offset:1632
	s_wait_loadcnt_dscnt 0x401
	v_mul_f64_e32 v[159:160], v[2:3], v[40:41]
	v_mul_f64_e32 v[40:41], v[4:5], v[40:41]
	v_add_f64_e32 v[30:31], v[30:31], v[34:35]
	v_add_f64_e32 v[32:33], v[36:37], v[157:158]
	s_wait_loadcnt_dscnt 0x300
	v_mul_f64_e32 v[34:35], v[26:27], v[8:9]
	v_mul_f64_e32 v[8:9], v[28:29], v[8:9]
	v_fma_f64 v[36:37], v[4:5], v[38:39], v[159:160]
	v_fma_f64 v[38:39], v[2:3], v[38:39], -v[40:41]
	v_add_f64_e32 v[30:31], v[30:31], v[22:23]
	v_add_f64_e32 v[32:33], v[32:33], v[24:25]
	ds_load_b128 v[2:5], v1 offset:1648
	ds_load_b128 v[22:25], v1 offset:1664
	v_fma_f64 v[28:29], v[28:29], v[6:7], v[34:35]
	v_fma_f64 v[6:7], v[26:27], v[6:7], -v[8:9]
	s_wait_loadcnt_dscnt 0x201
	v_mul_f64_e32 v[40:41], v[2:3], v[12:13]
	v_mul_f64_e32 v[12:13], v[4:5], v[12:13]
	v_add_f64_e32 v[8:9], v[30:31], v[38:39]
	v_add_f64_e32 v[26:27], v[32:33], v[36:37]
	s_wait_loadcnt_dscnt 0x100
	v_mul_f64_e32 v[30:31], v[22:23], v[16:17]
	v_mul_f64_e32 v[16:17], v[24:25], v[16:17]
	v_fma_f64 v[32:33], v[4:5], v[10:11], v[40:41]
	v_fma_f64 v[10:11], v[2:3], v[10:11], -v[12:13]
	ds_load_b128 v[2:5], v1 offset:1680
	v_add_f64_e32 v[6:7], v[8:9], v[6:7]
	v_add_f64_e32 v[8:9], v[26:27], v[28:29]
	v_fma_f64 v[24:25], v[24:25], v[14:15], v[30:31]
	v_fma_f64 v[14:15], v[22:23], v[14:15], -v[16:17]
	s_wait_loadcnt_dscnt 0x0
	v_mul_f64_e32 v[12:13], v[2:3], v[20:21]
	v_mul_f64_e32 v[20:21], v[4:5], v[20:21]
	v_add_f64_e32 v[6:7], v[6:7], v[10:11]
	v_add_f64_e32 v[8:9], v[8:9], v[32:33]
	s_delay_alu instid0(VALU_DEP_4) | instskip(NEXT) | instid1(VALU_DEP_4)
	v_fma_f64 v[4:5], v[4:5], v[18:19], v[12:13]
	v_fma_f64 v[2:3], v[2:3], v[18:19], -v[20:21]
	s_delay_alu instid0(VALU_DEP_4) | instskip(NEXT) | instid1(VALU_DEP_4)
	v_add_f64_e32 v[6:7], v[6:7], v[14:15]
	v_add_f64_e32 v[8:9], v[8:9], v[24:25]
	s_delay_alu instid0(VALU_DEP_2) | instskip(NEXT) | instid1(VALU_DEP_2)
	v_add_f64_e32 v[2:3], v[6:7], v[2:3]
	v_add_f64_e32 v[4:5], v[8:9], v[4:5]
	s_delay_alu instid0(VALU_DEP_2) | instskip(NEXT) | instid1(VALU_DEP_2)
	v_add_f64_e64 v[2:3], v[42:43], -v[2:3]
	v_add_f64_e64 v[4:5], v[44:45], -v[4:5]
	scratch_store_b128 off, v[2:5], off offset:288
	v_cmpx_lt_u32_e32 16, v0
	s_cbranch_execz .LBB116_299
; %bb.298:
	scratch_load_b128 v[5:8], off, s50
	v_dual_mov_b32 v2, v1 :: v_dual_mov_b32 v3, v1
	v_mov_b32_e32 v4, v1
	scratch_store_b128 off, v[1:4], off offset:272
	s_wait_loadcnt 0x0
	ds_store_b128 v152, v[5:8]
.LBB116_299:
	s_wait_alu 0xfffe
	s_or_b32 exec_lo, exec_lo, s0
	s_wait_storecnt_dscnt 0x0
	s_barrier_signal -1
	s_barrier_wait -1
	global_inv scope:SCOPE_SE
	s_clause 0x8
	scratch_load_b128 v[2:5], off, off offset:288
	scratch_load_b128 v[6:9], off, off offset:304
	;; [unrolled: 1-line block ×9, first 2 shown]
	ds_load_b128 v[38:41], v1 offset:1120
	ds_load_b128 v[42:45], v1 offset:1136
	s_clause 0x1
	scratch_load_b128 v[153:156], off, off offset:272
	scratch_load_b128 v[157:160], off, off offset:432
	s_mov_b32 s0, exec_lo
	s_wait_loadcnt_dscnt 0xa01
	v_mul_f64_e32 v[161:162], v[40:41], v[4:5]
	v_mul_f64_e32 v[4:5], v[38:39], v[4:5]
	s_wait_loadcnt_dscnt 0x900
	v_mul_f64_e32 v[165:166], v[42:43], v[8:9]
	v_mul_f64_e32 v[8:9], v[44:45], v[8:9]
	s_delay_alu instid0(VALU_DEP_4) | instskip(NEXT) | instid1(VALU_DEP_4)
	v_fma_f64 v[167:168], v[38:39], v[2:3], -v[161:162]
	v_fma_f64 v[169:170], v[40:41], v[2:3], v[4:5]
	ds_load_b128 v[2:5], v1 offset:1152
	ds_load_b128 v[161:164], v1 offset:1168
	scratch_load_b128 v[38:41], off, off offset:448
	v_fma_f64 v[44:45], v[44:45], v[6:7], v[165:166]
	v_fma_f64 v[42:43], v[42:43], v[6:7], -v[8:9]
	scratch_load_b128 v[6:9], off, off offset:464
	s_wait_loadcnt_dscnt 0xa01
	v_mul_f64_e32 v[171:172], v[2:3], v[12:13]
	v_mul_f64_e32 v[12:13], v[4:5], v[12:13]
	v_add_f64_e32 v[165:166], 0, v[167:168]
	v_add_f64_e32 v[167:168], 0, v[169:170]
	s_wait_loadcnt_dscnt 0x900
	v_mul_f64_e32 v[169:170], v[161:162], v[16:17]
	v_mul_f64_e32 v[16:17], v[163:164], v[16:17]
	v_fma_f64 v[171:172], v[4:5], v[10:11], v[171:172]
	v_fma_f64 v[173:174], v[2:3], v[10:11], -v[12:13]
	ds_load_b128 v[2:5], v1 offset:1184
	scratch_load_b128 v[10:13], off, off offset:480
	v_add_f64_e32 v[165:166], v[165:166], v[42:43]
	v_add_f64_e32 v[167:168], v[167:168], v[44:45]
	ds_load_b128 v[42:45], v1 offset:1200
	v_fma_f64 v[163:164], v[163:164], v[14:15], v[169:170]
	v_fma_f64 v[161:162], v[161:162], v[14:15], -v[16:17]
	scratch_load_b128 v[14:17], off, off offset:496
	s_wait_loadcnt_dscnt 0xa01
	v_mul_f64_e32 v[175:176], v[2:3], v[20:21]
	v_mul_f64_e32 v[20:21], v[4:5], v[20:21]
	s_wait_loadcnt_dscnt 0x900
	v_mul_f64_e32 v[169:170], v[42:43], v[24:25]
	v_mul_f64_e32 v[24:25], v[44:45], v[24:25]
	v_add_f64_e32 v[165:166], v[165:166], v[173:174]
	v_add_f64_e32 v[167:168], v[167:168], v[171:172]
	v_fma_f64 v[171:172], v[4:5], v[18:19], v[175:176]
	v_fma_f64 v[173:174], v[2:3], v[18:19], -v[20:21]
	ds_load_b128 v[2:5], v1 offset:1216
	scratch_load_b128 v[18:21], off, off offset:512
	v_fma_f64 v[44:45], v[44:45], v[22:23], v[169:170]
	v_fma_f64 v[42:43], v[42:43], v[22:23], -v[24:25]
	scratch_load_b128 v[22:25], off, off offset:528
	v_add_f64_e32 v[165:166], v[165:166], v[161:162]
	v_add_f64_e32 v[167:168], v[167:168], v[163:164]
	ds_load_b128 v[161:164], v1 offset:1232
	s_wait_loadcnt_dscnt 0xa01
	v_mul_f64_e32 v[175:176], v[2:3], v[28:29]
	v_mul_f64_e32 v[28:29], v[4:5], v[28:29]
	s_wait_loadcnt_dscnt 0x900
	v_mul_f64_e32 v[169:170], v[161:162], v[32:33]
	v_mul_f64_e32 v[32:33], v[163:164], v[32:33]
	v_add_f64_e32 v[165:166], v[165:166], v[173:174]
	v_add_f64_e32 v[167:168], v[167:168], v[171:172]
	v_fma_f64 v[171:172], v[4:5], v[26:27], v[175:176]
	v_fma_f64 v[173:174], v[2:3], v[26:27], -v[28:29]
	ds_load_b128 v[2:5], v1 offset:1248
	scratch_load_b128 v[26:29], off, off offset:544
	v_fma_f64 v[163:164], v[163:164], v[30:31], v[169:170]
	v_fma_f64 v[161:162], v[161:162], v[30:31], -v[32:33]
	scratch_load_b128 v[30:33], off, off offset:560
	v_add_f64_e32 v[165:166], v[165:166], v[42:43]
	v_add_f64_e32 v[167:168], v[167:168], v[44:45]
	ds_load_b128 v[42:45], v1 offset:1264
	s_wait_loadcnt_dscnt 0xa01
	v_mul_f64_e32 v[175:176], v[2:3], v[36:37]
	v_mul_f64_e32 v[36:37], v[4:5], v[36:37]
	s_wait_loadcnt_dscnt 0x800
	v_mul_f64_e32 v[169:170], v[42:43], v[159:160]
	v_add_f64_e32 v[165:166], v[165:166], v[173:174]
	v_add_f64_e32 v[167:168], v[167:168], v[171:172]
	v_mul_f64_e32 v[171:172], v[44:45], v[159:160]
	v_fma_f64 v[173:174], v[4:5], v[34:35], v[175:176]
	v_fma_f64 v[175:176], v[2:3], v[34:35], -v[36:37]
	ds_load_b128 v[2:5], v1 offset:1280
	scratch_load_b128 v[34:37], off, off offset:576
	v_fma_f64 v[44:45], v[44:45], v[157:158], v[169:170]
	v_add_f64_e32 v[165:166], v[165:166], v[161:162]
	v_add_f64_e32 v[163:164], v[167:168], v[163:164]
	ds_load_b128 v[159:162], v1 offset:1296
	v_fma_f64 v[157:158], v[42:43], v[157:158], -v[171:172]
	s_wait_loadcnt_dscnt 0x801
	v_mul_f64_e32 v[167:168], v[2:3], v[40:41]
	v_mul_f64_e32 v[177:178], v[4:5], v[40:41]
	scratch_load_b128 v[40:43], off, off offset:592
	s_wait_loadcnt_dscnt 0x800
	v_mul_f64_e32 v[171:172], v[159:160], v[8:9]
	v_mul_f64_e32 v[8:9], v[161:162], v[8:9]
	v_add_f64_e32 v[165:166], v[165:166], v[175:176]
	v_add_f64_e32 v[163:164], v[163:164], v[173:174]
	v_fma_f64 v[173:174], v[4:5], v[38:39], v[167:168]
	v_fma_f64 v[38:39], v[2:3], v[38:39], -v[177:178]
	ds_load_b128 v[2:5], v1 offset:1312
	ds_load_b128 v[167:170], v1 offset:1328
	v_fma_f64 v[161:162], v[161:162], v[6:7], v[171:172]
	v_fma_f64 v[159:160], v[159:160], v[6:7], -v[8:9]
	scratch_load_b128 v[6:9], off, off offset:624
	v_add_f64_e32 v[157:158], v[165:166], v[157:158]
	v_add_f64_e32 v[44:45], v[163:164], v[44:45]
	scratch_load_b128 v[163:166], off, off offset:608
	s_wait_loadcnt_dscnt 0x901
	v_mul_f64_e32 v[175:176], v[2:3], v[12:13]
	v_mul_f64_e32 v[12:13], v[4:5], v[12:13]
	s_wait_loadcnt_dscnt 0x800
	v_mul_f64_e32 v[171:172], v[167:168], v[16:17]
	v_mul_f64_e32 v[16:17], v[169:170], v[16:17]
	v_add_f64_e32 v[38:39], v[157:158], v[38:39]
	v_add_f64_e32 v[44:45], v[44:45], v[173:174]
	v_fma_f64 v[173:174], v[4:5], v[10:11], v[175:176]
	v_fma_f64 v[175:176], v[2:3], v[10:11], -v[12:13]
	ds_load_b128 v[2:5], v1 offset:1344
	scratch_load_b128 v[10:13], off, off offset:640
	v_fma_f64 v[169:170], v[169:170], v[14:15], v[171:172]
	v_fma_f64 v[167:168], v[167:168], v[14:15], -v[16:17]
	scratch_load_b128 v[14:17], off, off offset:656
	v_add_f64_e32 v[38:39], v[38:39], v[159:160]
	v_add_f64_e32 v[44:45], v[44:45], v[161:162]
	ds_load_b128 v[157:160], v1 offset:1360
	s_wait_loadcnt_dscnt 0x901
	v_mul_f64_e32 v[161:162], v[2:3], v[20:21]
	v_mul_f64_e32 v[20:21], v[4:5], v[20:21]
	s_wait_loadcnt_dscnt 0x800
	v_mul_f64_e32 v[171:172], v[157:158], v[24:25]
	v_mul_f64_e32 v[24:25], v[159:160], v[24:25]
	v_add_f64_e32 v[38:39], v[38:39], v[175:176]
	v_add_f64_e32 v[44:45], v[44:45], v[173:174]
	v_fma_f64 v[161:162], v[4:5], v[18:19], v[161:162]
	v_fma_f64 v[173:174], v[2:3], v[18:19], -v[20:21]
	ds_load_b128 v[2:5], v1 offset:1376
	scratch_load_b128 v[18:21], off, off offset:672
	v_fma_f64 v[159:160], v[159:160], v[22:23], v[171:172]
	v_fma_f64 v[157:158], v[157:158], v[22:23], -v[24:25]
	scratch_load_b128 v[22:25], off, off offset:688
	v_add_f64_e32 v[38:39], v[38:39], v[167:168]
	v_add_f64_e32 v[44:45], v[44:45], v[169:170]
	ds_load_b128 v[167:170], v1 offset:1392
	s_wait_loadcnt_dscnt 0x901
	v_mul_f64_e32 v[175:176], v[2:3], v[28:29]
	v_mul_f64_e32 v[28:29], v[4:5], v[28:29]
	v_add_f64_e32 v[38:39], v[38:39], v[173:174]
	v_add_f64_e32 v[44:45], v[44:45], v[161:162]
	s_wait_loadcnt_dscnt 0x800
	v_mul_f64_e32 v[161:162], v[167:168], v[32:33]
	v_mul_f64_e32 v[32:33], v[169:170], v[32:33]
	v_fma_f64 v[171:172], v[4:5], v[26:27], v[175:176]
	v_fma_f64 v[173:174], v[2:3], v[26:27], -v[28:29]
	ds_load_b128 v[2:5], v1 offset:1408
	scratch_load_b128 v[26:29], off, off offset:704
	v_add_f64_e32 v[38:39], v[38:39], v[157:158]
	v_add_f64_e32 v[44:45], v[44:45], v[159:160]
	ds_load_b128 v[157:160], v1 offset:1424
	s_wait_loadcnt_dscnt 0x801
	v_mul_f64_e32 v[175:176], v[2:3], v[36:37]
	v_mul_f64_e32 v[36:37], v[4:5], v[36:37]
	v_fma_f64 v[161:162], v[169:170], v[30:31], v[161:162]
	v_fma_f64 v[167:168], v[167:168], v[30:31], -v[32:33]
	scratch_load_b128 v[30:33], off, off offset:720
	s_wait_loadcnt_dscnt 0x800
	v_mul_f64_e32 v[169:170], v[157:158], v[42:43]
	v_add_f64_e32 v[38:39], v[38:39], v[173:174]
	v_add_f64_e32 v[44:45], v[44:45], v[171:172]
	v_mul_f64_e32 v[171:172], v[159:160], v[42:43]
	v_fma_f64 v[173:174], v[4:5], v[34:35], v[175:176]
	v_fma_f64 v[175:176], v[2:3], v[34:35], -v[36:37]
	ds_load_b128 v[2:5], v1 offset:1440
	scratch_load_b128 v[34:37], off, off offset:736
	v_fma_f64 v[159:160], v[159:160], v[40:41], v[169:170]
	v_add_f64_e32 v[38:39], v[38:39], v[167:168]
	v_add_f64_e32 v[161:162], v[44:45], v[161:162]
	ds_load_b128 v[42:45], v1 offset:1456
	v_fma_f64 v[157:158], v[157:158], v[40:41], -v[171:172]
	s_wait_loadcnt_dscnt 0x701
	v_mul_f64_e32 v[167:168], v[2:3], v[165:166]
	v_mul_f64_e32 v[165:166], v[4:5], v[165:166]
	s_wait_dscnt 0x0
	v_mul_f64_e32 v[171:172], v[42:43], v[8:9]
	v_mul_f64_e32 v[8:9], v[44:45], v[8:9]
	v_add_f64_e32 v[169:170], v[38:39], v[175:176]
	v_add_f64_e32 v[161:162], v[161:162], v[173:174]
	scratch_load_b128 v[38:41], off, off offset:752
	v_fma_f64 v[167:168], v[4:5], v[163:164], v[167:168]
	v_fma_f64 v[165:166], v[2:3], v[163:164], -v[165:166]
	ds_load_b128 v[2:5], v1 offset:1472
	v_fma_f64 v[44:45], v[44:45], v[6:7], v[171:172]
	v_fma_f64 v[42:43], v[42:43], v[6:7], -v[8:9]
	scratch_load_b128 v[6:9], off, off offset:784
	v_add_f64_e32 v[169:170], v[169:170], v[157:158]
	v_add_f64_e32 v[173:174], v[161:162], v[159:160]
	scratch_load_b128 v[157:160], off, off offset:768
	ds_load_b128 v[161:164], v1 offset:1488
	s_wait_loadcnt_dscnt 0x901
	v_mul_f64_e32 v[175:176], v[2:3], v[12:13]
	v_mul_f64_e32 v[12:13], v[4:5], v[12:13]
	v_add_f64_e32 v[165:166], v[169:170], v[165:166]
	v_add_f64_e32 v[167:168], v[173:174], v[167:168]
	s_wait_loadcnt_dscnt 0x800
	v_mul_f64_e32 v[169:170], v[161:162], v[16:17]
	v_mul_f64_e32 v[16:17], v[163:164], v[16:17]
	v_fma_f64 v[171:172], v[4:5], v[10:11], v[175:176]
	v_fma_f64 v[173:174], v[2:3], v[10:11], -v[12:13]
	ds_load_b128 v[2:5], v1 offset:1504
	scratch_load_b128 v[10:13], off, off offset:800
	v_add_f64_e32 v[165:166], v[165:166], v[42:43]
	v_add_f64_e32 v[167:168], v[167:168], v[44:45]
	ds_load_b128 v[42:45], v1 offset:1520
	s_wait_loadcnt_dscnt 0x801
	v_mul_f64_e32 v[175:176], v[2:3], v[20:21]
	v_mul_f64_e32 v[20:21], v[4:5], v[20:21]
	v_fma_f64 v[163:164], v[163:164], v[14:15], v[169:170]
	v_fma_f64 v[161:162], v[161:162], v[14:15], -v[16:17]
	scratch_load_b128 v[14:17], off, off offset:816
	s_wait_loadcnt_dscnt 0x800
	v_mul_f64_e32 v[169:170], v[42:43], v[24:25]
	v_mul_f64_e32 v[24:25], v[44:45], v[24:25]
	v_add_f64_e32 v[165:166], v[165:166], v[173:174]
	v_add_f64_e32 v[167:168], v[167:168], v[171:172]
	v_fma_f64 v[171:172], v[4:5], v[18:19], v[175:176]
	v_fma_f64 v[173:174], v[2:3], v[18:19], -v[20:21]
	ds_load_b128 v[2:5], v1 offset:1536
	scratch_load_b128 v[18:21], off, off offset:832
	v_fma_f64 v[44:45], v[44:45], v[22:23], v[169:170]
	v_fma_f64 v[42:43], v[42:43], v[22:23], -v[24:25]
	scratch_load_b128 v[22:25], off, off offset:848
	v_add_f64_e32 v[165:166], v[165:166], v[161:162]
	v_add_f64_e32 v[167:168], v[167:168], v[163:164]
	ds_load_b128 v[161:164], v1 offset:1552
	s_wait_loadcnt_dscnt 0x901
	v_mul_f64_e32 v[175:176], v[2:3], v[28:29]
	v_mul_f64_e32 v[28:29], v[4:5], v[28:29]
	s_wait_loadcnt_dscnt 0x800
	v_mul_f64_e32 v[169:170], v[161:162], v[32:33]
	v_mul_f64_e32 v[32:33], v[163:164], v[32:33]
	v_add_f64_e32 v[165:166], v[165:166], v[173:174]
	v_add_f64_e32 v[167:168], v[167:168], v[171:172]
	v_fma_f64 v[171:172], v[4:5], v[26:27], v[175:176]
	v_fma_f64 v[173:174], v[2:3], v[26:27], -v[28:29]
	ds_load_b128 v[2:5], v1 offset:1568
	ds_load_b128 v[26:29], v1 offset:1584
	v_fma_f64 v[163:164], v[163:164], v[30:31], v[169:170]
	v_fma_f64 v[30:31], v[161:162], v[30:31], -v[32:33]
	v_add_f64_e32 v[42:43], v[165:166], v[42:43]
	v_add_f64_e32 v[44:45], v[167:168], v[44:45]
	s_wait_loadcnt_dscnt 0x701
	v_mul_f64_e32 v[165:166], v[2:3], v[36:37]
	v_mul_f64_e32 v[36:37], v[4:5], v[36:37]
	s_delay_alu instid0(VALU_DEP_4) | instskip(NEXT) | instid1(VALU_DEP_4)
	v_add_f64_e32 v[32:33], v[42:43], v[173:174]
	v_add_f64_e32 v[42:43], v[44:45], v[171:172]
	s_delay_alu instid0(VALU_DEP_4) | instskip(NEXT) | instid1(VALU_DEP_4)
	v_fma_f64 v[161:162], v[4:5], v[34:35], v[165:166]
	v_fma_f64 v[34:35], v[2:3], v[34:35], -v[36:37]
	s_wait_loadcnt_dscnt 0x600
	v_mul_f64_e32 v[44:45], v[26:27], v[40:41]
	v_mul_f64_e32 v[40:41], v[28:29], v[40:41]
	v_add_f64_e32 v[36:37], v[32:33], v[30:31]
	v_add_f64_e32 v[42:43], v[42:43], v[163:164]
	ds_load_b128 v[2:5], v1 offset:1600
	ds_load_b128 v[30:33], v1 offset:1616
	v_fma_f64 v[28:29], v[28:29], v[38:39], v[44:45]
	v_fma_f64 v[26:27], v[26:27], v[38:39], -v[40:41]
	s_wait_loadcnt_dscnt 0x401
	v_mul_f64_e32 v[163:164], v[2:3], v[159:160]
	v_mul_f64_e32 v[159:160], v[4:5], v[159:160]
	s_wait_dscnt 0x0
	v_mul_f64_e32 v[38:39], v[30:31], v[8:9]
	v_mul_f64_e32 v[8:9], v[32:33], v[8:9]
	v_add_f64_e32 v[34:35], v[36:37], v[34:35]
	v_add_f64_e32 v[36:37], v[42:43], v[161:162]
	v_fma_f64 v[40:41], v[4:5], v[157:158], v[163:164]
	v_fma_f64 v[42:43], v[2:3], v[157:158], -v[159:160]
	v_fma_f64 v[32:33], v[32:33], v[6:7], v[38:39]
	v_fma_f64 v[6:7], v[30:31], v[6:7], -v[8:9]
	v_add_f64_e32 v[34:35], v[34:35], v[26:27]
	v_add_f64_e32 v[36:37], v[36:37], v[28:29]
	ds_load_b128 v[2:5], v1 offset:1632
	ds_load_b128 v[26:29], v1 offset:1648
	s_wait_loadcnt_dscnt 0x301
	v_mul_f64_e32 v[44:45], v[2:3], v[12:13]
	v_mul_f64_e32 v[12:13], v[4:5], v[12:13]
	v_add_f64_e32 v[8:9], v[34:35], v[42:43]
	v_add_f64_e32 v[30:31], v[36:37], v[40:41]
	s_wait_loadcnt_dscnt 0x200
	v_mul_f64_e32 v[34:35], v[26:27], v[16:17]
	v_mul_f64_e32 v[16:17], v[28:29], v[16:17]
	v_fma_f64 v[36:37], v[4:5], v[10:11], v[44:45]
	v_fma_f64 v[10:11], v[2:3], v[10:11], -v[12:13]
	v_add_f64_e32 v[12:13], v[8:9], v[6:7]
	v_add_f64_e32 v[30:31], v[30:31], v[32:33]
	ds_load_b128 v[2:5], v1 offset:1664
	ds_load_b128 v[6:9], v1 offset:1680
	v_fma_f64 v[28:29], v[28:29], v[14:15], v[34:35]
	v_fma_f64 v[14:15], v[26:27], v[14:15], -v[16:17]
	s_wait_loadcnt_dscnt 0x101
	v_mul_f64_e32 v[32:33], v[2:3], v[20:21]
	v_mul_f64_e32 v[20:21], v[4:5], v[20:21]
	s_wait_loadcnt_dscnt 0x0
	v_mul_f64_e32 v[16:17], v[6:7], v[24:25]
	v_mul_f64_e32 v[24:25], v[8:9], v[24:25]
	v_add_f64_e32 v[10:11], v[12:13], v[10:11]
	v_add_f64_e32 v[12:13], v[30:31], v[36:37]
	v_fma_f64 v[4:5], v[4:5], v[18:19], v[32:33]
	v_fma_f64 v[1:2], v[2:3], v[18:19], -v[20:21]
	v_fma_f64 v[8:9], v[8:9], v[22:23], v[16:17]
	v_fma_f64 v[6:7], v[6:7], v[22:23], -v[24:25]
	v_add_f64_e32 v[10:11], v[10:11], v[14:15]
	v_add_f64_e32 v[12:13], v[12:13], v[28:29]
	s_delay_alu instid0(VALU_DEP_2) | instskip(NEXT) | instid1(VALU_DEP_2)
	v_add_f64_e32 v[1:2], v[10:11], v[1:2]
	v_add_f64_e32 v[3:4], v[12:13], v[4:5]
	s_delay_alu instid0(VALU_DEP_2) | instskip(NEXT) | instid1(VALU_DEP_2)
	;; [unrolled: 3-line block ×3, first 2 shown]
	v_add_f64_e64 v[1:2], v[153:154], -v[1:2]
	v_add_f64_e64 v[3:4], v[155:156], -v[3:4]
	scratch_store_b128 off, v[1:4], off offset:272
	v_cmpx_lt_u32_e32 15, v0
	s_cbranch_execz .LBB116_301
; %bb.300:
	scratch_load_b128 v[1:4], off, s51
	v_mov_b32_e32 v5, 0
	s_delay_alu instid0(VALU_DEP_1)
	v_dual_mov_b32 v6, v5 :: v_dual_mov_b32 v7, v5
	v_mov_b32_e32 v8, v5
	scratch_store_b128 off, v[5:8], off offset:256
	s_wait_loadcnt 0x0
	ds_store_b128 v152, v[1:4]
.LBB116_301:
	s_wait_alu 0xfffe
	s_or_b32 exec_lo, exec_lo, s0
	s_wait_storecnt_dscnt 0x0
	s_barrier_signal -1
	s_barrier_wait -1
	global_inv scope:SCOPE_SE
	s_clause 0x7
	scratch_load_b128 v[2:5], off, off offset:272
	scratch_load_b128 v[6:9], off, off offset:288
	;; [unrolled: 1-line block ×8, first 2 shown]
	v_mov_b32_e32 v1, 0
	s_mov_b32 s0, exec_lo
	ds_load_b128 v[38:41], v1 offset:1104
	s_clause 0x1
	scratch_load_b128 v[34:37], off, off offset:400
	scratch_load_b128 v[42:45], off, off offset:256
	ds_load_b128 v[153:156], v1 offset:1120
	scratch_load_b128 v[157:160], off, off offset:416
	s_wait_loadcnt_dscnt 0xa01
	v_mul_f64_e32 v[161:162], v[40:41], v[4:5]
	v_mul_f64_e32 v[4:5], v[38:39], v[4:5]
	s_delay_alu instid0(VALU_DEP_2) | instskip(NEXT) | instid1(VALU_DEP_2)
	v_fma_f64 v[167:168], v[38:39], v[2:3], -v[161:162]
	v_fma_f64 v[169:170], v[40:41], v[2:3], v[4:5]
	ds_load_b128 v[2:5], v1 offset:1136
	s_wait_loadcnt_dscnt 0x901
	v_mul_f64_e32 v[165:166], v[153:154], v[8:9]
	v_mul_f64_e32 v[8:9], v[155:156], v[8:9]
	scratch_load_b128 v[38:41], off, off offset:432
	ds_load_b128 v[161:164], v1 offset:1152
	s_wait_loadcnt_dscnt 0x901
	v_mul_f64_e32 v[171:172], v[2:3], v[12:13]
	v_mul_f64_e32 v[12:13], v[4:5], v[12:13]
	v_fma_f64 v[155:156], v[155:156], v[6:7], v[165:166]
	v_fma_f64 v[153:154], v[153:154], v[6:7], -v[8:9]
	v_add_f64_e32 v[165:166], 0, v[167:168]
	v_add_f64_e32 v[167:168], 0, v[169:170]
	scratch_load_b128 v[6:9], off, off offset:448
	v_fma_f64 v[171:172], v[4:5], v[10:11], v[171:172]
	v_fma_f64 v[173:174], v[2:3], v[10:11], -v[12:13]
	ds_load_b128 v[2:5], v1 offset:1168
	s_wait_loadcnt_dscnt 0x901
	v_mul_f64_e32 v[169:170], v[161:162], v[16:17]
	v_mul_f64_e32 v[16:17], v[163:164], v[16:17]
	scratch_load_b128 v[10:13], off, off offset:464
	v_add_f64_e32 v[165:166], v[165:166], v[153:154]
	v_add_f64_e32 v[167:168], v[167:168], v[155:156]
	s_wait_loadcnt_dscnt 0x900
	v_mul_f64_e32 v[175:176], v[2:3], v[20:21]
	v_mul_f64_e32 v[20:21], v[4:5], v[20:21]
	ds_load_b128 v[153:156], v1 offset:1184
	v_fma_f64 v[163:164], v[163:164], v[14:15], v[169:170]
	v_fma_f64 v[161:162], v[161:162], v[14:15], -v[16:17]
	scratch_load_b128 v[14:17], off, off offset:480
	v_add_f64_e32 v[165:166], v[165:166], v[173:174]
	v_add_f64_e32 v[167:168], v[167:168], v[171:172]
	v_fma_f64 v[171:172], v[4:5], v[18:19], v[175:176]
	v_fma_f64 v[173:174], v[2:3], v[18:19], -v[20:21]
	ds_load_b128 v[2:5], v1 offset:1200
	s_wait_loadcnt_dscnt 0x901
	v_mul_f64_e32 v[169:170], v[153:154], v[24:25]
	v_mul_f64_e32 v[24:25], v[155:156], v[24:25]
	scratch_load_b128 v[18:21], off, off offset:496
	s_wait_loadcnt_dscnt 0x900
	v_mul_f64_e32 v[175:176], v[2:3], v[28:29]
	v_mul_f64_e32 v[28:29], v[4:5], v[28:29]
	v_add_f64_e32 v[165:166], v[165:166], v[161:162]
	v_add_f64_e32 v[167:168], v[167:168], v[163:164]
	ds_load_b128 v[161:164], v1 offset:1216
	v_fma_f64 v[155:156], v[155:156], v[22:23], v[169:170]
	v_fma_f64 v[153:154], v[153:154], v[22:23], -v[24:25]
	scratch_load_b128 v[22:25], off, off offset:512
	v_add_f64_e32 v[165:166], v[165:166], v[173:174]
	v_add_f64_e32 v[167:168], v[167:168], v[171:172]
	v_fma_f64 v[171:172], v[4:5], v[26:27], v[175:176]
	v_fma_f64 v[173:174], v[2:3], v[26:27], -v[28:29]
	ds_load_b128 v[2:5], v1 offset:1232
	s_wait_loadcnt_dscnt 0x901
	v_mul_f64_e32 v[169:170], v[161:162], v[32:33]
	v_mul_f64_e32 v[32:33], v[163:164], v[32:33]
	scratch_load_b128 v[26:29], off, off offset:528
	s_wait_loadcnt_dscnt 0x900
	v_mul_f64_e32 v[175:176], v[2:3], v[36:37]
	v_mul_f64_e32 v[36:37], v[4:5], v[36:37]
	v_add_f64_e32 v[165:166], v[165:166], v[153:154]
	v_add_f64_e32 v[167:168], v[167:168], v[155:156]
	ds_load_b128 v[153:156], v1 offset:1248
	v_fma_f64 v[163:164], v[163:164], v[30:31], v[169:170]
	v_fma_f64 v[161:162], v[161:162], v[30:31], -v[32:33]
	scratch_load_b128 v[30:33], off, off offset:544
	v_add_f64_e32 v[165:166], v[165:166], v[173:174]
	v_add_f64_e32 v[167:168], v[167:168], v[171:172]
	v_fma_f64 v[173:174], v[4:5], v[34:35], v[175:176]
	v_fma_f64 v[175:176], v[2:3], v[34:35], -v[36:37]
	ds_load_b128 v[2:5], v1 offset:1264
	s_wait_loadcnt_dscnt 0x801
	v_mul_f64_e32 v[169:170], v[153:154], v[159:160]
	v_mul_f64_e32 v[171:172], v[155:156], v[159:160]
	scratch_load_b128 v[34:37], off, off offset:560
	v_add_f64_e32 v[165:166], v[165:166], v[161:162]
	v_add_f64_e32 v[163:164], v[167:168], v[163:164]
	ds_load_b128 v[159:162], v1 offset:1280
	v_fma_f64 v[169:170], v[155:156], v[157:158], v[169:170]
	v_fma_f64 v[157:158], v[153:154], v[157:158], -v[171:172]
	scratch_load_b128 v[153:156], off, off offset:576
	s_wait_loadcnt_dscnt 0x901
	v_mul_f64_e32 v[167:168], v[2:3], v[40:41]
	v_mul_f64_e32 v[40:41], v[4:5], v[40:41]
	v_add_f64_e32 v[165:166], v[165:166], v[175:176]
	v_add_f64_e32 v[163:164], v[163:164], v[173:174]
	s_delay_alu instid0(VALU_DEP_4) | instskip(NEXT) | instid1(VALU_DEP_4)
	v_fma_f64 v[167:168], v[4:5], v[38:39], v[167:168]
	v_fma_f64 v[173:174], v[2:3], v[38:39], -v[40:41]
	ds_load_b128 v[2:5], v1 offset:1296
	s_wait_loadcnt_dscnt 0x801
	v_mul_f64_e32 v[171:172], v[159:160], v[8:9]
	v_mul_f64_e32 v[8:9], v[161:162], v[8:9]
	scratch_load_b128 v[38:41], off, off offset:592
	s_wait_loadcnt_dscnt 0x800
	v_mul_f64_e32 v[175:176], v[2:3], v[12:13]
	v_add_f64_e32 v[157:158], v[165:166], v[157:158]
	v_add_f64_e32 v[169:170], v[163:164], v[169:170]
	v_mul_f64_e32 v[12:13], v[4:5], v[12:13]
	ds_load_b128 v[163:166], v1 offset:1312
	v_fma_f64 v[161:162], v[161:162], v[6:7], v[171:172]
	v_fma_f64 v[159:160], v[159:160], v[6:7], -v[8:9]
	scratch_load_b128 v[6:9], off, off offset:608
	v_fma_f64 v[171:172], v[4:5], v[10:11], v[175:176]
	v_add_f64_e32 v[157:158], v[157:158], v[173:174]
	v_add_f64_e32 v[167:168], v[169:170], v[167:168]
	v_fma_f64 v[173:174], v[2:3], v[10:11], -v[12:13]
	ds_load_b128 v[2:5], v1 offset:1328
	s_wait_loadcnt_dscnt 0x801
	v_mul_f64_e32 v[169:170], v[163:164], v[16:17]
	v_mul_f64_e32 v[16:17], v[165:166], v[16:17]
	scratch_load_b128 v[10:13], off, off offset:624
	v_add_f64_e32 v[175:176], v[157:158], v[159:160]
	v_add_f64_e32 v[161:162], v[167:168], v[161:162]
	s_wait_loadcnt_dscnt 0x800
	v_mul_f64_e32 v[167:168], v[2:3], v[20:21]
	v_mul_f64_e32 v[20:21], v[4:5], v[20:21]
	v_fma_f64 v[165:166], v[165:166], v[14:15], v[169:170]
	v_fma_f64 v[163:164], v[163:164], v[14:15], -v[16:17]
	ds_load_b128 v[157:160], v1 offset:1344
	scratch_load_b128 v[14:17], off, off offset:640
	v_add_f64_e32 v[169:170], v[175:176], v[173:174]
	v_add_f64_e32 v[161:162], v[161:162], v[171:172]
	v_fma_f64 v[167:168], v[4:5], v[18:19], v[167:168]
	v_fma_f64 v[173:174], v[2:3], v[18:19], -v[20:21]
	ds_load_b128 v[2:5], v1 offset:1360
	s_wait_loadcnt_dscnt 0x801
	v_mul_f64_e32 v[171:172], v[157:158], v[24:25]
	v_mul_f64_e32 v[24:25], v[159:160], v[24:25]
	scratch_load_b128 v[18:21], off, off offset:656
	s_wait_loadcnt_dscnt 0x800
	v_mul_f64_e32 v[175:176], v[2:3], v[28:29]
	v_mul_f64_e32 v[28:29], v[4:5], v[28:29]
	v_add_f64_e32 v[169:170], v[169:170], v[163:164]
	v_add_f64_e32 v[165:166], v[161:162], v[165:166]
	ds_load_b128 v[161:164], v1 offset:1376
	v_fma_f64 v[159:160], v[159:160], v[22:23], v[171:172]
	v_fma_f64 v[157:158], v[157:158], v[22:23], -v[24:25]
	scratch_load_b128 v[22:25], off, off offset:672
	v_fma_f64 v[171:172], v[4:5], v[26:27], v[175:176]
	v_add_f64_e32 v[169:170], v[169:170], v[173:174]
	v_add_f64_e32 v[165:166], v[165:166], v[167:168]
	v_fma_f64 v[173:174], v[2:3], v[26:27], -v[28:29]
	ds_load_b128 v[2:5], v1 offset:1392
	s_wait_loadcnt_dscnt 0x801
	v_mul_f64_e32 v[167:168], v[161:162], v[32:33]
	v_mul_f64_e32 v[32:33], v[163:164], v[32:33]
	scratch_load_b128 v[26:29], off, off offset:688
	s_wait_loadcnt_dscnt 0x800
	v_mul_f64_e32 v[175:176], v[2:3], v[36:37]
	v_mul_f64_e32 v[36:37], v[4:5], v[36:37]
	v_add_f64_e32 v[169:170], v[169:170], v[157:158]
	v_add_f64_e32 v[165:166], v[165:166], v[159:160]
	ds_load_b128 v[157:160], v1 offset:1408
	v_fma_f64 v[163:164], v[163:164], v[30:31], v[167:168]
	v_fma_f64 v[161:162], v[161:162], v[30:31], -v[32:33]
	scratch_load_b128 v[30:33], off, off offset:704
	v_add_f64_e32 v[167:168], v[169:170], v[173:174]
	v_add_f64_e32 v[165:166], v[165:166], v[171:172]
	v_fma_f64 v[171:172], v[4:5], v[34:35], v[175:176]
	v_fma_f64 v[173:174], v[2:3], v[34:35], -v[36:37]
	ds_load_b128 v[2:5], v1 offset:1424
	s_wait_loadcnt_dscnt 0x801
	v_mul_f64_e32 v[169:170], v[157:158], v[155:156]
	v_mul_f64_e32 v[155:156], v[159:160], v[155:156]
	scratch_load_b128 v[34:37], off, off offset:720
	s_wait_loadcnt_dscnt 0x800
	v_mul_f64_e32 v[175:176], v[2:3], v[40:41]
	v_mul_f64_e32 v[40:41], v[4:5], v[40:41]
	v_add_f64_e32 v[167:168], v[167:168], v[161:162]
	v_add_f64_e32 v[165:166], v[165:166], v[163:164]
	ds_load_b128 v[161:164], v1 offset:1440
	v_fma_f64 v[159:160], v[159:160], v[153:154], v[169:170]
	v_fma_f64 v[157:158], v[157:158], v[153:154], -v[155:156]
	scratch_load_b128 v[153:156], off, off offset:736
	v_add_f64_e32 v[167:168], v[167:168], v[173:174]
	v_add_f64_e32 v[165:166], v[165:166], v[171:172]
	v_fma_f64 v[171:172], v[4:5], v[38:39], v[175:176]
	;; [unrolled: 18-line block ×5, first 2 shown]
	v_fma_f64 v[173:174], v[2:3], v[26:27], -v[28:29]
	ds_load_b128 v[2:5], v1 offset:1552
	s_wait_loadcnt_dscnt 0x801
	v_mul_f64_e32 v[169:170], v[157:158], v[32:33]
	v_mul_f64_e32 v[32:33], v[159:160], v[32:33]
	scratch_load_b128 v[26:29], off, off offset:848
	s_wait_loadcnt_dscnt 0x800
	v_mul_f64_e32 v[175:176], v[2:3], v[36:37]
	v_mul_f64_e32 v[36:37], v[4:5], v[36:37]
	v_add_f64_e32 v[167:168], v[167:168], v[161:162]
	v_add_f64_e32 v[165:166], v[165:166], v[163:164]
	ds_load_b128 v[161:164], v1 offset:1568
	v_fma_f64 v[159:160], v[159:160], v[30:31], v[169:170]
	v_fma_f64 v[30:31], v[157:158], v[30:31], -v[32:33]
	v_add_f64_e32 v[32:33], v[167:168], v[173:174]
	v_add_f64_e32 v[157:158], v[165:166], v[171:172]
	s_wait_loadcnt_dscnt 0x700
	v_mul_f64_e32 v[165:166], v[161:162], v[155:156]
	v_mul_f64_e32 v[155:156], v[163:164], v[155:156]
	v_fma_f64 v[167:168], v[4:5], v[34:35], v[175:176]
	v_fma_f64 v[34:35], v[2:3], v[34:35], -v[36:37]
	v_add_f64_e32 v[36:37], v[32:33], v[30:31]
	v_add_f64_e32 v[157:158], v[157:158], v[159:160]
	ds_load_b128 v[2:5], v1 offset:1584
	ds_load_b128 v[30:33], v1 offset:1600
	v_fma_f64 v[163:164], v[163:164], v[153:154], v[165:166]
	v_fma_f64 v[153:154], v[161:162], v[153:154], -v[155:156]
	s_wait_loadcnt_dscnt 0x601
	v_mul_f64_e32 v[159:160], v[2:3], v[40:41]
	v_mul_f64_e32 v[40:41], v[4:5], v[40:41]
	s_wait_loadcnt_dscnt 0x500
	v_mul_f64_e32 v[155:156], v[30:31], v[8:9]
	v_mul_f64_e32 v[8:9], v[32:33], v[8:9]
	v_add_f64_e32 v[34:35], v[36:37], v[34:35]
	v_add_f64_e32 v[36:37], v[157:158], v[167:168]
	v_fma_f64 v[157:158], v[4:5], v[38:39], v[159:160]
	v_fma_f64 v[38:39], v[2:3], v[38:39], -v[40:41]
	v_fma_f64 v[32:33], v[32:33], v[6:7], v[155:156]
	v_fma_f64 v[6:7], v[30:31], v[6:7], -v[8:9]
	v_add_f64_e32 v[40:41], v[34:35], v[153:154]
	v_add_f64_e32 v[153:154], v[36:37], v[163:164]
	ds_load_b128 v[2:5], v1 offset:1616
	ds_load_b128 v[34:37], v1 offset:1632
	s_wait_loadcnt_dscnt 0x401
	v_mul_f64_e32 v[159:160], v[2:3], v[12:13]
	v_mul_f64_e32 v[12:13], v[4:5], v[12:13]
	v_add_f64_e32 v[8:9], v[40:41], v[38:39]
	v_add_f64_e32 v[30:31], v[153:154], v[157:158]
	s_wait_loadcnt_dscnt 0x300
	v_mul_f64_e32 v[38:39], v[34:35], v[16:17]
	v_mul_f64_e32 v[16:17], v[36:37], v[16:17]
	v_fma_f64 v[40:41], v[4:5], v[10:11], v[159:160]
	v_fma_f64 v[10:11], v[2:3], v[10:11], -v[12:13]
	v_add_f64_e32 v[12:13], v[8:9], v[6:7]
	v_add_f64_e32 v[30:31], v[30:31], v[32:33]
	ds_load_b128 v[2:5], v1 offset:1648
	ds_load_b128 v[6:9], v1 offset:1664
	v_fma_f64 v[36:37], v[36:37], v[14:15], v[38:39]
	v_fma_f64 v[14:15], v[34:35], v[14:15], -v[16:17]
	s_wait_loadcnt_dscnt 0x201
	v_mul_f64_e32 v[32:33], v[2:3], v[20:21]
	v_mul_f64_e32 v[20:21], v[4:5], v[20:21]
	s_wait_loadcnt_dscnt 0x100
	v_mul_f64_e32 v[16:17], v[6:7], v[24:25]
	v_mul_f64_e32 v[24:25], v[8:9], v[24:25]
	v_add_f64_e32 v[10:11], v[12:13], v[10:11]
	v_add_f64_e32 v[12:13], v[30:31], v[40:41]
	v_fma_f64 v[30:31], v[4:5], v[18:19], v[32:33]
	v_fma_f64 v[18:19], v[2:3], v[18:19], -v[20:21]
	ds_load_b128 v[2:5], v1 offset:1680
	v_fma_f64 v[8:9], v[8:9], v[22:23], v[16:17]
	v_fma_f64 v[6:7], v[6:7], v[22:23], -v[24:25]
	v_add_f64_e32 v[10:11], v[10:11], v[14:15]
	v_add_f64_e32 v[12:13], v[12:13], v[36:37]
	s_wait_loadcnt_dscnt 0x0
	v_mul_f64_e32 v[14:15], v[2:3], v[28:29]
	v_mul_f64_e32 v[20:21], v[4:5], v[28:29]
	s_delay_alu instid0(VALU_DEP_4) | instskip(NEXT) | instid1(VALU_DEP_4)
	v_add_f64_e32 v[10:11], v[10:11], v[18:19]
	v_add_f64_e32 v[12:13], v[12:13], v[30:31]
	s_delay_alu instid0(VALU_DEP_4) | instskip(NEXT) | instid1(VALU_DEP_4)
	v_fma_f64 v[4:5], v[4:5], v[26:27], v[14:15]
	v_fma_f64 v[2:3], v[2:3], v[26:27], -v[20:21]
	s_delay_alu instid0(VALU_DEP_4) | instskip(NEXT) | instid1(VALU_DEP_4)
	v_add_f64_e32 v[6:7], v[10:11], v[6:7]
	v_add_f64_e32 v[8:9], v[12:13], v[8:9]
	s_delay_alu instid0(VALU_DEP_2) | instskip(NEXT) | instid1(VALU_DEP_2)
	v_add_f64_e32 v[2:3], v[6:7], v[2:3]
	v_add_f64_e32 v[4:5], v[8:9], v[4:5]
	s_delay_alu instid0(VALU_DEP_2) | instskip(NEXT) | instid1(VALU_DEP_2)
	v_add_f64_e64 v[2:3], v[42:43], -v[2:3]
	v_add_f64_e64 v[4:5], v[44:45], -v[4:5]
	scratch_store_b128 off, v[2:5], off offset:256
	v_cmpx_lt_u32_e32 14, v0
	s_cbranch_execz .LBB116_303
; %bb.302:
	scratch_load_b128 v[5:8], off, s52
	v_dual_mov_b32 v2, v1 :: v_dual_mov_b32 v3, v1
	v_mov_b32_e32 v4, v1
	scratch_store_b128 off, v[1:4], off offset:240
	s_wait_loadcnt 0x0
	ds_store_b128 v152, v[5:8]
.LBB116_303:
	s_wait_alu 0xfffe
	s_or_b32 exec_lo, exec_lo, s0
	s_wait_storecnt_dscnt 0x0
	s_barrier_signal -1
	s_barrier_wait -1
	global_inv scope:SCOPE_SE
	s_clause 0x8
	scratch_load_b128 v[2:5], off, off offset:256
	scratch_load_b128 v[6:9], off, off offset:272
	;; [unrolled: 1-line block ×9, first 2 shown]
	ds_load_b128 v[42:45], v1 offset:1088
	ds_load_b128 v[38:41], v1 offset:1104
	s_clause 0x1
	scratch_load_b128 v[153:156], off, off offset:240
	scratch_load_b128 v[157:160], off, off offset:400
	s_mov_b32 s0, exec_lo
	s_wait_loadcnt_dscnt 0xa01
	v_mul_f64_e32 v[161:162], v[44:45], v[4:5]
	v_mul_f64_e32 v[4:5], v[42:43], v[4:5]
	s_wait_loadcnt_dscnt 0x900
	v_mul_f64_e32 v[165:166], v[38:39], v[8:9]
	v_mul_f64_e32 v[8:9], v[40:41], v[8:9]
	s_delay_alu instid0(VALU_DEP_4) | instskip(NEXT) | instid1(VALU_DEP_4)
	v_fma_f64 v[167:168], v[42:43], v[2:3], -v[161:162]
	v_fma_f64 v[169:170], v[44:45], v[2:3], v[4:5]
	ds_load_b128 v[2:5], v1 offset:1120
	ds_load_b128 v[161:164], v1 offset:1136
	scratch_load_b128 v[42:45], off, off offset:416
	v_fma_f64 v[40:41], v[40:41], v[6:7], v[165:166]
	v_fma_f64 v[38:39], v[38:39], v[6:7], -v[8:9]
	scratch_load_b128 v[6:9], off, off offset:432
	s_wait_loadcnt_dscnt 0xa01
	v_mul_f64_e32 v[171:172], v[2:3], v[12:13]
	v_mul_f64_e32 v[12:13], v[4:5], v[12:13]
	v_add_f64_e32 v[165:166], 0, v[167:168]
	v_add_f64_e32 v[167:168], 0, v[169:170]
	s_wait_loadcnt_dscnt 0x900
	v_mul_f64_e32 v[169:170], v[161:162], v[16:17]
	v_mul_f64_e32 v[16:17], v[163:164], v[16:17]
	v_fma_f64 v[171:172], v[4:5], v[10:11], v[171:172]
	v_fma_f64 v[173:174], v[2:3], v[10:11], -v[12:13]
	ds_load_b128 v[2:5], v1 offset:1152
	scratch_load_b128 v[10:13], off, off offset:448
	v_add_f64_e32 v[165:166], v[165:166], v[38:39]
	v_add_f64_e32 v[167:168], v[167:168], v[40:41]
	ds_load_b128 v[38:41], v1 offset:1168
	v_fma_f64 v[163:164], v[163:164], v[14:15], v[169:170]
	v_fma_f64 v[161:162], v[161:162], v[14:15], -v[16:17]
	scratch_load_b128 v[14:17], off, off offset:464
	s_wait_loadcnt_dscnt 0xa01
	v_mul_f64_e32 v[175:176], v[2:3], v[20:21]
	v_mul_f64_e32 v[20:21], v[4:5], v[20:21]
	s_wait_loadcnt_dscnt 0x900
	v_mul_f64_e32 v[169:170], v[38:39], v[24:25]
	v_mul_f64_e32 v[24:25], v[40:41], v[24:25]
	v_add_f64_e32 v[165:166], v[165:166], v[173:174]
	v_add_f64_e32 v[167:168], v[167:168], v[171:172]
	v_fma_f64 v[171:172], v[4:5], v[18:19], v[175:176]
	v_fma_f64 v[173:174], v[2:3], v[18:19], -v[20:21]
	ds_load_b128 v[2:5], v1 offset:1184
	scratch_load_b128 v[18:21], off, off offset:480
	v_fma_f64 v[40:41], v[40:41], v[22:23], v[169:170]
	v_fma_f64 v[38:39], v[38:39], v[22:23], -v[24:25]
	scratch_load_b128 v[22:25], off, off offset:496
	v_add_f64_e32 v[165:166], v[165:166], v[161:162]
	v_add_f64_e32 v[167:168], v[167:168], v[163:164]
	ds_load_b128 v[161:164], v1 offset:1200
	s_wait_loadcnt_dscnt 0xa01
	v_mul_f64_e32 v[175:176], v[2:3], v[28:29]
	v_mul_f64_e32 v[28:29], v[4:5], v[28:29]
	s_wait_loadcnt_dscnt 0x900
	v_mul_f64_e32 v[169:170], v[161:162], v[32:33]
	v_mul_f64_e32 v[32:33], v[163:164], v[32:33]
	v_add_f64_e32 v[165:166], v[165:166], v[173:174]
	v_add_f64_e32 v[167:168], v[167:168], v[171:172]
	v_fma_f64 v[171:172], v[4:5], v[26:27], v[175:176]
	v_fma_f64 v[173:174], v[2:3], v[26:27], -v[28:29]
	ds_load_b128 v[2:5], v1 offset:1216
	scratch_load_b128 v[26:29], off, off offset:512
	v_fma_f64 v[163:164], v[163:164], v[30:31], v[169:170]
	v_fma_f64 v[161:162], v[161:162], v[30:31], -v[32:33]
	scratch_load_b128 v[30:33], off, off offset:528
	v_add_f64_e32 v[165:166], v[165:166], v[38:39]
	v_add_f64_e32 v[167:168], v[167:168], v[40:41]
	ds_load_b128 v[38:41], v1 offset:1232
	s_wait_loadcnt_dscnt 0xa01
	v_mul_f64_e32 v[175:176], v[2:3], v[36:37]
	v_mul_f64_e32 v[36:37], v[4:5], v[36:37]
	s_wait_loadcnt_dscnt 0x800
	v_mul_f64_e32 v[169:170], v[38:39], v[159:160]
	v_add_f64_e32 v[165:166], v[165:166], v[173:174]
	v_add_f64_e32 v[167:168], v[167:168], v[171:172]
	v_mul_f64_e32 v[171:172], v[40:41], v[159:160]
	v_fma_f64 v[173:174], v[4:5], v[34:35], v[175:176]
	v_fma_f64 v[175:176], v[2:3], v[34:35], -v[36:37]
	ds_load_b128 v[2:5], v1 offset:1248
	scratch_load_b128 v[34:37], off, off offset:544
	v_fma_f64 v[169:170], v[40:41], v[157:158], v[169:170]
	v_add_f64_e32 v[165:166], v[165:166], v[161:162]
	v_add_f64_e32 v[163:164], v[167:168], v[163:164]
	ds_load_b128 v[159:162], v1 offset:1264
	v_fma_f64 v[157:158], v[38:39], v[157:158], -v[171:172]
	scratch_load_b128 v[38:41], off, off offset:560
	s_wait_loadcnt_dscnt 0x901
	v_mul_f64_e32 v[167:168], v[2:3], v[44:45]
	v_mul_f64_e32 v[44:45], v[4:5], v[44:45]
	s_wait_loadcnt_dscnt 0x800
	v_mul_f64_e32 v[171:172], v[159:160], v[8:9]
	v_mul_f64_e32 v[8:9], v[161:162], v[8:9]
	v_add_f64_e32 v[165:166], v[165:166], v[175:176]
	v_add_f64_e32 v[163:164], v[163:164], v[173:174]
	v_fma_f64 v[167:168], v[4:5], v[42:43], v[167:168]
	v_fma_f64 v[173:174], v[2:3], v[42:43], -v[44:45]
	ds_load_b128 v[2:5], v1 offset:1280
	scratch_load_b128 v[42:45], off, off offset:576
	v_fma_f64 v[161:162], v[161:162], v[6:7], v[171:172]
	v_fma_f64 v[159:160], v[159:160], v[6:7], -v[8:9]
	scratch_load_b128 v[6:9], off, off offset:592
	v_add_f64_e32 v[157:158], v[165:166], v[157:158]
	v_add_f64_e32 v[169:170], v[163:164], v[169:170]
	ds_load_b128 v[163:166], v1 offset:1296
	s_wait_loadcnt_dscnt 0x901
	v_mul_f64_e32 v[175:176], v[2:3], v[12:13]
	v_mul_f64_e32 v[12:13], v[4:5], v[12:13]
	v_add_f64_e32 v[157:158], v[157:158], v[173:174]
	v_add_f64_e32 v[167:168], v[169:170], v[167:168]
	s_wait_loadcnt_dscnt 0x800
	v_mul_f64_e32 v[169:170], v[163:164], v[16:17]
	v_mul_f64_e32 v[16:17], v[165:166], v[16:17]
	v_fma_f64 v[171:172], v[4:5], v[10:11], v[175:176]
	v_fma_f64 v[173:174], v[2:3], v[10:11], -v[12:13]
	ds_load_b128 v[2:5], v1 offset:1312
	scratch_load_b128 v[10:13], off, off offset:608
	v_add_f64_e32 v[175:176], v[157:158], v[159:160]
	v_add_f64_e32 v[161:162], v[167:168], v[161:162]
	ds_load_b128 v[157:160], v1 offset:1328
	s_wait_loadcnt_dscnt 0x801
	v_mul_f64_e32 v[167:168], v[2:3], v[20:21]
	v_mul_f64_e32 v[20:21], v[4:5], v[20:21]
	v_fma_f64 v[165:166], v[165:166], v[14:15], v[169:170]
	v_fma_f64 v[163:164], v[163:164], v[14:15], -v[16:17]
	scratch_load_b128 v[14:17], off, off offset:624
	v_add_f64_e32 v[169:170], v[175:176], v[173:174]
	v_add_f64_e32 v[161:162], v[161:162], v[171:172]
	s_wait_loadcnt_dscnt 0x800
	v_mul_f64_e32 v[171:172], v[157:158], v[24:25]
	v_mul_f64_e32 v[24:25], v[159:160], v[24:25]
	v_fma_f64 v[167:168], v[4:5], v[18:19], v[167:168]
	v_fma_f64 v[173:174], v[2:3], v[18:19], -v[20:21]
	ds_load_b128 v[2:5], v1 offset:1344
	scratch_load_b128 v[18:21], off, off offset:640
	v_add_f64_e32 v[169:170], v[169:170], v[163:164]
	v_add_f64_e32 v[165:166], v[161:162], v[165:166]
	ds_load_b128 v[161:164], v1 offset:1360
	s_wait_loadcnt_dscnt 0x801
	v_mul_f64_e32 v[175:176], v[2:3], v[28:29]
	v_mul_f64_e32 v[28:29], v[4:5], v[28:29]
	v_fma_f64 v[159:160], v[159:160], v[22:23], v[171:172]
	v_fma_f64 v[157:158], v[157:158], v[22:23], -v[24:25]
	scratch_load_b128 v[22:25], off, off offset:656
	;; [unrolled: 18-line block ×4, first 2 shown]
	s_wait_loadcnt_dscnt 0x800
	v_mul_f64_e32 v[169:170], v[161:162], v[8:9]
	v_mul_f64_e32 v[8:9], v[163:164], v[8:9]
	v_add_f64_e32 v[167:168], v[167:168], v[173:174]
	v_add_f64_e32 v[165:166], v[165:166], v[171:172]
	v_fma_f64 v[171:172], v[4:5], v[42:43], v[175:176]
	v_fma_f64 v[173:174], v[2:3], v[42:43], -v[44:45]
	ds_load_b128 v[2:5], v1 offset:1440
	scratch_load_b128 v[42:45], off, off offset:736
	v_fma_f64 v[163:164], v[163:164], v[6:7], v[169:170]
	v_fma_f64 v[161:162], v[161:162], v[6:7], -v[8:9]
	scratch_load_b128 v[6:9], off, off offset:752
	v_add_f64_e32 v[167:168], v[167:168], v[157:158]
	v_add_f64_e32 v[165:166], v[165:166], v[159:160]
	ds_load_b128 v[157:160], v1 offset:1456
	s_wait_loadcnt_dscnt 0x901
	v_mul_f64_e32 v[175:176], v[2:3], v[12:13]
	v_mul_f64_e32 v[12:13], v[4:5], v[12:13]
	s_wait_loadcnt_dscnt 0x800
	v_mul_f64_e32 v[169:170], v[157:158], v[16:17]
	v_mul_f64_e32 v[16:17], v[159:160], v[16:17]
	v_add_f64_e32 v[167:168], v[167:168], v[173:174]
	v_add_f64_e32 v[165:166], v[165:166], v[171:172]
	v_fma_f64 v[171:172], v[4:5], v[10:11], v[175:176]
	v_fma_f64 v[173:174], v[2:3], v[10:11], -v[12:13]
	ds_load_b128 v[2:5], v1 offset:1472
	scratch_load_b128 v[10:13], off, off offset:768
	v_fma_f64 v[159:160], v[159:160], v[14:15], v[169:170]
	v_fma_f64 v[157:158], v[157:158], v[14:15], -v[16:17]
	scratch_load_b128 v[14:17], off, off offset:784
	v_add_f64_e32 v[167:168], v[167:168], v[161:162]
	v_add_f64_e32 v[165:166], v[165:166], v[163:164]
	ds_load_b128 v[161:164], v1 offset:1488
	s_wait_loadcnt_dscnt 0x901
	v_mul_f64_e32 v[175:176], v[2:3], v[20:21]
	v_mul_f64_e32 v[20:21], v[4:5], v[20:21]
	;; [unrolled: 18-line block ×4, first 2 shown]
	s_wait_loadcnt_dscnt 0x800
	v_mul_f64_e32 v[169:170], v[161:162], v[40:41]
	v_mul_f64_e32 v[40:41], v[163:164], v[40:41]
	v_add_f64_e32 v[167:168], v[167:168], v[173:174]
	v_add_f64_e32 v[165:166], v[165:166], v[171:172]
	v_fma_f64 v[171:172], v[4:5], v[34:35], v[175:176]
	v_fma_f64 v[173:174], v[2:3], v[34:35], -v[36:37]
	ds_load_b128 v[2:5], v1 offset:1568
	ds_load_b128 v[34:37], v1 offset:1584
	v_fma_f64 v[163:164], v[163:164], v[38:39], v[169:170]
	v_fma_f64 v[38:39], v[161:162], v[38:39], -v[40:41]
	v_add_f64_e32 v[157:158], v[167:168], v[157:158]
	v_add_f64_e32 v[159:160], v[165:166], v[159:160]
	s_wait_loadcnt_dscnt 0x701
	v_mul_f64_e32 v[165:166], v[2:3], v[44:45]
	v_mul_f64_e32 v[44:45], v[4:5], v[44:45]
	s_delay_alu instid0(VALU_DEP_4) | instskip(NEXT) | instid1(VALU_DEP_4)
	v_add_f64_e32 v[40:41], v[157:158], v[173:174]
	v_add_f64_e32 v[157:158], v[159:160], v[171:172]
	s_wait_loadcnt_dscnt 0x600
	v_mul_f64_e32 v[159:160], v[34:35], v[8:9]
	v_mul_f64_e32 v[8:9], v[36:37], v[8:9]
	v_fma_f64 v[161:162], v[4:5], v[42:43], v[165:166]
	v_fma_f64 v[42:43], v[2:3], v[42:43], -v[44:45]
	v_add_f64_e32 v[44:45], v[40:41], v[38:39]
	v_add_f64_e32 v[157:158], v[157:158], v[163:164]
	ds_load_b128 v[2:5], v1 offset:1600
	ds_load_b128 v[38:41], v1 offset:1616
	v_fma_f64 v[36:37], v[36:37], v[6:7], v[159:160]
	v_fma_f64 v[6:7], v[34:35], v[6:7], -v[8:9]
	s_wait_loadcnt_dscnt 0x501
	v_mul_f64_e32 v[163:164], v[2:3], v[12:13]
	v_mul_f64_e32 v[12:13], v[4:5], v[12:13]
	v_add_f64_e32 v[8:9], v[44:45], v[42:43]
	v_add_f64_e32 v[34:35], v[157:158], v[161:162]
	s_wait_loadcnt_dscnt 0x400
	v_mul_f64_e32 v[42:43], v[38:39], v[16:17]
	v_mul_f64_e32 v[16:17], v[40:41], v[16:17]
	v_fma_f64 v[44:45], v[4:5], v[10:11], v[163:164]
	v_fma_f64 v[10:11], v[2:3], v[10:11], -v[12:13]
	v_add_f64_e32 v[12:13], v[8:9], v[6:7]
	v_add_f64_e32 v[34:35], v[34:35], v[36:37]
	ds_load_b128 v[2:5], v1 offset:1632
	ds_load_b128 v[6:9], v1 offset:1648
	v_fma_f64 v[40:41], v[40:41], v[14:15], v[42:43]
	v_fma_f64 v[14:15], v[38:39], v[14:15], -v[16:17]
	s_wait_loadcnt_dscnt 0x301
	v_mul_f64_e32 v[36:37], v[2:3], v[20:21]
	v_mul_f64_e32 v[20:21], v[4:5], v[20:21]
	s_wait_loadcnt_dscnt 0x200
	v_mul_f64_e32 v[16:17], v[6:7], v[24:25]
	v_mul_f64_e32 v[24:25], v[8:9], v[24:25]
	v_add_f64_e32 v[10:11], v[12:13], v[10:11]
	v_add_f64_e32 v[12:13], v[34:35], v[44:45]
	v_fma_f64 v[34:35], v[4:5], v[18:19], v[36:37]
	v_fma_f64 v[18:19], v[2:3], v[18:19], -v[20:21]
	v_fma_f64 v[8:9], v[8:9], v[22:23], v[16:17]
	v_fma_f64 v[6:7], v[6:7], v[22:23], -v[24:25]
	v_add_f64_e32 v[14:15], v[10:11], v[14:15]
	v_add_f64_e32 v[20:21], v[12:13], v[40:41]
	ds_load_b128 v[2:5], v1 offset:1664
	ds_load_b128 v[10:13], v1 offset:1680
	s_wait_loadcnt_dscnt 0x101
	v_mul_f64_e32 v[36:37], v[2:3], v[28:29]
	v_mul_f64_e32 v[28:29], v[4:5], v[28:29]
	v_add_f64_e32 v[14:15], v[14:15], v[18:19]
	v_add_f64_e32 v[16:17], v[20:21], v[34:35]
	s_wait_loadcnt_dscnt 0x0
	v_mul_f64_e32 v[18:19], v[10:11], v[32:33]
	v_mul_f64_e32 v[20:21], v[12:13], v[32:33]
	v_fma_f64 v[4:5], v[4:5], v[26:27], v[36:37]
	v_fma_f64 v[1:2], v[2:3], v[26:27], -v[28:29]
	v_add_f64_e32 v[6:7], v[14:15], v[6:7]
	v_add_f64_e32 v[8:9], v[16:17], v[8:9]
	v_fma_f64 v[12:13], v[12:13], v[30:31], v[18:19]
	v_fma_f64 v[10:11], v[10:11], v[30:31], -v[20:21]
	s_delay_alu instid0(VALU_DEP_4) | instskip(NEXT) | instid1(VALU_DEP_4)
	v_add_f64_e32 v[1:2], v[6:7], v[1:2]
	v_add_f64_e32 v[3:4], v[8:9], v[4:5]
	s_delay_alu instid0(VALU_DEP_2) | instskip(NEXT) | instid1(VALU_DEP_2)
	v_add_f64_e32 v[1:2], v[1:2], v[10:11]
	v_add_f64_e32 v[3:4], v[3:4], v[12:13]
	s_delay_alu instid0(VALU_DEP_2) | instskip(NEXT) | instid1(VALU_DEP_2)
	v_add_f64_e64 v[1:2], v[153:154], -v[1:2]
	v_add_f64_e64 v[3:4], v[155:156], -v[3:4]
	scratch_store_b128 off, v[1:4], off offset:240
	v_cmpx_lt_u32_e32 13, v0
	s_cbranch_execz .LBB116_305
; %bb.304:
	scratch_load_b128 v[1:4], off, s53
	v_mov_b32_e32 v5, 0
	s_delay_alu instid0(VALU_DEP_1)
	v_dual_mov_b32 v6, v5 :: v_dual_mov_b32 v7, v5
	v_mov_b32_e32 v8, v5
	scratch_store_b128 off, v[5:8], off offset:224
	s_wait_loadcnt 0x0
	ds_store_b128 v152, v[1:4]
.LBB116_305:
	s_wait_alu 0xfffe
	s_or_b32 exec_lo, exec_lo, s0
	s_wait_storecnt_dscnt 0x0
	s_barrier_signal -1
	s_barrier_wait -1
	global_inv scope:SCOPE_SE
	s_clause 0x7
	scratch_load_b128 v[2:5], off, off offset:240
	scratch_load_b128 v[6:9], off, off offset:256
	;; [unrolled: 1-line block ×8, first 2 shown]
	v_mov_b32_e32 v1, 0
	s_mov_b32 s0, exec_lo
	ds_load_b128 v[38:41], v1 offset:1072
	s_clause 0x1
	scratch_load_b128 v[34:37], off, off offset:368
	scratch_load_b128 v[42:45], off, off offset:224
	ds_load_b128 v[153:156], v1 offset:1088
	scratch_load_b128 v[157:160], off, off offset:384
	s_wait_loadcnt_dscnt 0xa01
	v_mul_f64_e32 v[161:162], v[40:41], v[4:5]
	v_mul_f64_e32 v[4:5], v[38:39], v[4:5]
	s_delay_alu instid0(VALU_DEP_2) | instskip(NEXT) | instid1(VALU_DEP_2)
	v_fma_f64 v[167:168], v[38:39], v[2:3], -v[161:162]
	v_fma_f64 v[169:170], v[40:41], v[2:3], v[4:5]
	ds_load_b128 v[2:5], v1 offset:1104
	s_wait_loadcnt_dscnt 0x901
	v_mul_f64_e32 v[165:166], v[153:154], v[8:9]
	v_mul_f64_e32 v[8:9], v[155:156], v[8:9]
	scratch_load_b128 v[38:41], off, off offset:400
	ds_load_b128 v[161:164], v1 offset:1120
	s_wait_loadcnt_dscnt 0x901
	v_mul_f64_e32 v[171:172], v[2:3], v[12:13]
	v_mul_f64_e32 v[12:13], v[4:5], v[12:13]
	v_fma_f64 v[155:156], v[155:156], v[6:7], v[165:166]
	v_fma_f64 v[153:154], v[153:154], v[6:7], -v[8:9]
	v_add_f64_e32 v[165:166], 0, v[167:168]
	v_add_f64_e32 v[167:168], 0, v[169:170]
	scratch_load_b128 v[6:9], off, off offset:416
	v_fma_f64 v[171:172], v[4:5], v[10:11], v[171:172]
	v_fma_f64 v[173:174], v[2:3], v[10:11], -v[12:13]
	ds_load_b128 v[2:5], v1 offset:1136
	s_wait_loadcnt_dscnt 0x901
	v_mul_f64_e32 v[169:170], v[161:162], v[16:17]
	v_mul_f64_e32 v[16:17], v[163:164], v[16:17]
	scratch_load_b128 v[10:13], off, off offset:432
	v_add_f64_e32 v[165:166], v[165:166], v[153:154]
	v_add_f64_e32 v[167:168], v[167:168], v[155:156]
	s_wait_loadcnt_dscnt 0x900
	v_mul_f64_e32 v[175:176], v[2:3], v[20:21]
	v_mul_f64_e32 v[20:21], v[4:5], v[20:21]
	ds_load_b128 v[153:156], v1 offset:1152
	v_fma_f64 v[163:164], v[163:164], v[14:15], v[169:170]
	v_fma_f64 v[161:162], v[161:162], v[14:15], -v[16:17]
	scratch_load_b128 v[14:17], off, off offset:448
	v_add_f64_e32 v[165:166], v[165:166], v[173:174]
	v_add_f64_e32 v[167:168], v[167:168], v[171:172]
	v_fma_f64 v[171:172], v[4:5], v[18:19], v[175:176]
	v_fma_f64 v[173:174], v[2:3], v[18:19], -v[20:21]
	ds_load_b128 v[2:5], v1 offset:1168
	s_wait_loadcnt_dscnt 0x901
	v_mul_f64_e32 v[169:170], v[153:154], v[24:25]
	v_mul_f64_e32 v[24:25], v[155:156], v[24:25]
	scratch_load_b128 v[18:21], off, off offset:464
	s_wait_loadcnt_dscnt 0x900
	v_mul_f64_e32 v[175:176], v[2:3], v[28:29]
	v_mul_f64_e32 v[28:29], v[4:5], v[28:29]
	v_add_f64_e32 v[165:166], v[165:166], v[161:162]
	v_add_f64_e32 v[167:168], v[167:168], v[163:164]
	ds_load_b128 v[161:164], v1 offset:1184
	v_fma_f64 v[155:156], v[155:156], v[22:23], v[169:170]
	v_fma_f64 v[153:154], v[153:154], v[22:23], -v[24:25]
	scratch_load_b128 v[22:25], off, off offset:480
	v_add_f64_e32 v[165:166], v[165:166], v[173:174]
	v_add_f64_e32 v[167:168], v[167:168], v[171:172]
	v_fma_f64 v[171:172], v[4:5], v[26:27], v[175:176]
	v_fma_f64 v[173:174], v[2:3], v[26:27], -v[28:29]
	ds_load_b128 v[2:5], v1 offset:1200
	s_wait_loadcnt_dscnt 0x901
	v_mul_f64_e32 v[169:170], v[161:162], v[32:33]
	v_mul_f64_e32 v[32:33], v[163:164], v[32:33]
	scratch_load_b128 v[26:29], off, off offset:496
	s_wait_loadcnt_dscnt 0x900
	v_mul_f64_e32 v[175:176], v[2:3], v[36:37]
	v_mul_f64_e32 v[36:37], v[4:5], v[36:37]
	v_add_f64_e32 v[165:166], v[165:166], v[153:154]
	v_add_f64_e32 v[167:168], v[167:168], v[155:156]
	ds_load_b128 v[153:156], v1 offset:1216
	v_fma_f64 v[163:164], v[163:164], v[30:31], v[169:170]
	v_fma_f64 v[161:162], v[161:162], v[30:31], -v[32:33]
	scratch_load_b128 v[30:33], off, off offset:512
	v_add_f64_e32 v[165:166], v[165:166], v[173:174]
	v_add_f64_e32 v[167:168], v[167:168], v[171:172]
	v_fma_f64 v[173:174], v[4:5], v[34:35], v[175:176]
	v_fma_f64 v[175:176], v[2:3], v[34:35], -v[36:37]
	ds_load_b128 v[2:5], v1 offset:1232
	s_wait_loadcnt_dscnt 0x801
	v_mul_f64_e32 v[169:170], v[153:154], v[159:160]
	v_mul_f64_e32 v[171:172], v[155:156], v[159:160]
	scratch_load_b128 v[34:37], off, off offset:528
	v_add_f64_e32 v[165:166], v[165:166], v[161:162]
	v_add_f64_e32 v[163:164], v[167:168], v[163:164]
	ds_load_b128 v[159:162], v1 offset:1248
	v_fma_f64 v[169:170], v[155:156], v[157:158], v[169:170]
	v_fma_f64 v[157:158], v[153:154], v[157:158], -v[171:172]
	scratch_load_b128 v[153:156], off, off offset:544
	s_wait_loadcnt_dscnt 0x901
	v_mul_f64_e32 v[167:168], v[2:3], v[40:41]
	v_mul_f64_e32 v[40:41], v[4:5], v[40:41]
	v_add_f64_e32 v[165:166], v[165:166], v[175:176]
	v_add_f64_e32 v[163:164], v[163:164], v[173:174]
	s_delay_alu instid0(VALU_DEP_4) | instskip(NEXT) | instid1(VALU_DEP_4)
	v_fma_f64 v[167:168], v[4:5], v[38:39], v[167:168]
	v_fma_f64 v[173:174], v[2:3], v[38:39], -v[40:41]
	ds_load_b128 v[2:5], v1 offset:1264
	s_wait_loadcnt_dscnt 0x801
	v_mul_f64_e32 v[171:172], v[159:160], v[8:9]
	v_mul_f64_e32 v[8:9], v[161:162], v[8:9]
	scratch_load_b128 v[38:41], off, off offset:560
	s_wait_loadcnt_dscnt 0x800
	v_mul_f64_e32 v[175:176], v[2:3], v[12:13]
	v_add_f64_e32 v[157:158], v[165:166], v[157:158]
	v_add_f64_e32 v[169:170], v[163:164], v[169:170]
	v_mul_f64_e32 v[12:13], v[4:5], v[12:13]
	ds_load_b128 v[163:166], v1 offset:1280
	v_fma_f64 v[161:162], v[161:162], v[6:7], v[171:172]
	v_fma_f64 v[159:160], v[159:160], v[6:7], -v[8:9]
	scratch_load_b128 v[6:9], off, off offset:576
	v_fma_f64 v[171:172], v[4:5], v[10:11], v[175:176]
	v_add_f64_e32 v[157:158], v[157:158], v[173:174]
	v_add_f64_e32 v[167:168], v[169:170], v[167:168]
	v_fma_f64 v[173:174], v[2:3], v[10:11], -v[12:13]
	ds_load_b128 v[2:5], v1 offset:1296
	s_wait_loadcnt_dscnt 0x801
	v_mul_f64_e32 v[169:170], v[163:164], v[16:17]
	v_mul_f64_e32 v[16:17], v[165:166], v[16:17]
	scratch_load_b128 v[10:13], off, off offset:592
	v_add_f64_e32 v[175:176], v[157:158], v[159:160]
	v_add_f64_e32 v[161:162], v[167:168], v[161:162]
	s_wait_loadcnt_dscnt 0x800
	v_mul_f64_e32 v[167:168], v[2:3], v[20:21]
	v_mul_f64_e32 v[20:21], v[4:5], v[20:21]
	v_fma_f64 v[165:166], v[165:166], v[14:15], v[169:170]
	v_fma_f64 v[163:164], v[163:164], v[14:15], -v[16:17]
	ds_load_b128 v[157:160], v1 offset:1312
	scratch_load_b128 v[14:17], off, off offset:608
	v_add_f64_e32 v[169:170], v[175:176], v[173:174]
	v_add_f64_e32 v[161:162], v[161:162], v[171:172]
	v_fma_f64 v[167:168], v[4:5], v[18:19], v[167:168]
	v_fma_f64 v[173:174], v[2:3], v[18:19], -v[20:21]
	ds_load_b128 v[2:5], v1 offset:1328
	s_wait_loadcnt_dscnt 0x801
	v_mul_f64_e32 v[171:172], v[157:158], v[24:25]
	v_mul_f64_e32 v[24:25], v[159:160], v[24:25]
	scratch_load_b128 v[18:21], off, off offset:624
	s_wait_loadcnt_dscnt 0x800
	v_mul_f64_e32 v[175:176], v[2:3], v[28:29]
	v_mul_f64_e32 v[28:29], v[4:5], v[28:29]
	v_add_f64_e32 v[169:170], v[169:170], v[163:164]
	v_add_f64_e32 v[165:166], v[161:162], v[165:166]
	ds_load_b128 v[161:164], v1 offset:1344
	v_fma_f64 v[159:160], v[159:160], v[22:23], v[171:172]
	v_fma_f64 v[157:158], v[157:158], v[22:23], -v[24:25]
	scratch_load_b128 v[22:25], off, off offset:640
	v_fma_f64 v[171:172], v[4:5], v[26:27], v[175:176]
	v_add_f64_e32 v[169:170], v[169:170], v[173:174]
	v_add_f64_e32 v[165:166], v[165:166], v[167:168]
	v_fma_f64 v[173:174], v[2:3], v[26:27], -v[28:29]
	ds_load_b128 v[2:5], v1 offset:1360
	s_wait_loadcnt_dscnt 0x801
	v_mul_f64_e32 v[167:168], v[161:162], v[32:33]
	v_mul_f64_e32 v[32:33], v[163:164], v[32:33]
	scratch_load_b128 v[26:29], off, off offset:656
	s_wait_loadcnt_dscnt 0x800
	v_mul_f64_e32 v[175:176], v[2:3], v[36:37]
	v_mul_f64_e32 v[36:37], v[4:5], v[36:37]
	v_add_f64_e32 v[169:170], v[169:170], v[157:158]
	v_add_f64_e32 v[165:166], v[165:166], v[159:160]
	ds_load_b128 v[157:160], v1 offset:1376
	v_fma_f64 v[163:164], v[163:164], v[30:31], v[167:168]
	v_fma_f64 v[161:162], v[161:162], v[30:31], -v[32:33]
	scratch_load_b128 v[30:33], off, off offset:672
	v_add_f64_e32 v[167:168], v[169:170], v[173:174]
	v_add_f64_e32 v[165:166], v[165:166], v[171:172]
	v_fma_f64 v[171:172], v[4:5], v[34:35], v[175:176]
	v_fma_f64 v[173:174], v[2:3], v[34:35], -v[36:37]
	ds_load_b128 v[2:5], v1 offset:1392
	s_wait_loadcnt_dscnt 0x801
	v_mul_f64_e32 v[169:170], v[157:158], v[155:156]
	v_mul_f64_e32 v[155:156], v[159:160], v[155:156]
	scratch_load_b128 v[34:37], off, off offset:688
	s_wait_loadcnt_dscnt 0x800
	v_mul_f64_e32 v[175:176], v[2:3], v[40:41]
	v_mul_f64_e32 v[40:41], v[4:5], v[40:41]
	v_add_f64_e32 v[167:168], v[167:168], v[161:162]
	v_add_f64_e32 v[165:166], v[165:166], v[163:164]
	ds_load_b128 v[161:164], v1 offset:1408
	v_fma_f64 v[159:160], v[159:160], v[153:154], v[169:170]
	v_fma_f64 v[157:158], v[157:158], v[153:154], -v[155:156]
	scratch_load_b128 v[153:156], off, off offset:704
	v_add_f64_e32 v[167:168], v[167:168], v[173:174]
	v_add_f64_e32 v[165:166], v[165:166], v[171:172]
	v_fma_f64 v[171:172], v[4:5], v[38:39], v[175:176]
	;; [unrolled: 18-line block ×6, first 2 shown]
	v_fma_f64 v[175:176], v[2:3], v[34:35], -v[36:37]
	ds_load_b128 v[2:5], v1 offset:1552
	s_wait_loadcnt_dscnt 0x801
	v_mul_f64_e32 v[169:170], v[161:162], v[155:156]
	v_mul_f64_e32 v[171:172], v[163:164], v[155:156]
	scratch_load_b128 v[34:37], off, off offset:848
	v_add_f64_e32 v[167:168], v[167:168], v[157:158]
	v_add_f64_e32 v[159:160], v[165:166], v[159:160]
	s_wait_loadcnt_dscnt 0x800
	v_mul_f64_e32 v[165:166], v[2:3], v[40:41]
	v_mul_f64_e32 v[40:41], v[4:5], v[40:41]
	ds_load_b128 v[155:158], v1 offset:1568
	v_fma_f64 v[163:164], v[163:164], v[153:154], v[169:170]
	v_fma_f64 v[153:154], v[161:162], v[153:154], -v[171:172]
	v_add_f64_e32 v[161:162], v[167:168], v[175:176]
	v_add_f64_e32 v[159:160], v[159:160], v[173:174]
	s_wait_loadcnt_dscnt 0x700
	v_mul_f64_e32 v[167:168], v[155:156], v[8:9]
	v_mul_f64_e32 v[8:9], v[157:158], v[8:9]
	v_fma_f64 v[165:166], v[4:5], v[38:39], v[165:166]
	v_fma_f64 v[169:170], v[2:3], v[38:39], -v[40:41]
	ds_load_b128 v[2:5], v1 offset:1584
	ds_load_b128 v[38:41], v1 offset:1600
	v_add_f64_e32 v[153:154], v[161:162], v[153:154]
	v_add_f64_e32 v[159:160], v[159:160], v[163:164]
	s_wait_loadcnt_dscnt 0x601
	v_mul_f64_e32 v[161:162], v[2:3], v[12:13]
	v_mul_f64_e32 v[12:13], v[4:5], v[12:13]
	v_fma_f64 v[157:158], v[157:158], v[6:7], v[167:168]
	v_fma_f64 v[6:7], v[155:156], v[6:7], -v[8:9]
	s_wait_loadcnt_dscnt 0x500
	v_mul_f64_e32 v[155:156], v[38:39], v[16:17]
	v_mul_f64_e32 v[16:17], v[40:41], v[16:17]
	v_add_f64_e32 v[8:9], v[153:154], v[169:170]
	v_add_f64_e32 v[153:154], v[159:160], v[165:166]
	v_fma_f64 v[159:160], v[4:5], v[10:11], v[161:162]
	v_fma_f64 v[10:11], v[2:3], v[10:11], -v[12:13]
	v_fma_f64 v[40:41], v[40:41], v[14:15], v[155:156]
	v_fma_f64 v[14:15], v[38:39], v[14:15], -v[16:17]
	v_add_f64_e32 v[12:13], v[8:9], v[6:7]
	v_add_f64_e32 v[153:154], v[153:154], v[157:158]
	ds_load_b128 v[2:5], v1 offset:1616
	ds_load_b128 v[6:9], v1 offset:1632
	s_wait_loadcnt_dscnt 0x401
	v_mul_f64_e32 v[157:158], v[2:3], v[20:21]
	v_mul_f64_e32 v[20:21], v[4:5], v[20:21]
	s_wait_loadcnt_dscnt 0x300
	v_mul_f64_e32 v[16:17], v[6:7], v[24:25]
	v_mul_f64_e32 v[24:25], v[8:9], v[24:25]
	v_add_f64_e32 v[10:11], v[12:13], v[10:11]
	v_add_f64_e32 v[12:13], v[153:154], v[159:160]
	v_fma_f64 v[38:39], v[4:5], v[18:19], v[157:158]
	v_fma_f64 v[18:19], v[2:3], v[18:19], -v[20:21]
	v_fma_f64 v[8:9], v[8:9], v[22:23], v[16:17]
	v_fma_f64 v[6:7], v[6:7], v[22:23], -v[24:25]
	v_add_f64_e32 v[14:15], v[10:11], v[14:15]
	v_add_f64_e32 v[20:21], v[12:13], v[40:41]
	ds_load_b128 v[2:5], v1 offset:1648
	ds_load_b128 v[10:13], v1 offset:1664
	s_wait_loadcnt_dscnt 0x201
	v_mul_f64_e32 v[40:41], v[2:3], v[28:29]
	v_mul_f64_e32 v[28:29], v[4:5], v[28:29]
	v_add_f64_e32 v[14:15], v[14:15], v[18:19]
	v_add_f64_e32 v[16:17], v[20:21], v[38:39]
	s_wait_loadcnt_dscnt 0x100
	v_mul_f64_e32 v[18:19], v[10:11], v[32:33]
	v_mul_f64_e32 v[20:21], v[12:13], v[32:33]
	v_fma_f64 v[22:23], v[4:5], v[26:27], v[40:41]
	v_fma_f64 v[24:25], v[2:3], v[26:27], -v[28:29]
	ds_load_b128 v[2:5], v1 offset:1680
	v_add_f64_e32 v[6:7], v[14:15], v[6:7]
	v_add_f64_e32 v[8:9], v[16:17], v[8:9]
	v_fma_f64 v[12:13], v[12:13], v[30:31], v[18:19]
	v_fma_f64 v[10:11], v[10:11], v[30:31], -v[20:21]
	s_wait_loadcnt_dscnt 0x0
	v_mul_f64_e32 v[14:15], v[2:3], v[36:37]
	v_mul_f64_e32 v[16:17], v[4:5], v[36:37]
	v_add_f64_e32 v[6:7], v[6:7], v[24:25]
	v_add_f64_e32 v[8:9], v[8:9], v[22:23]
	s_delay_alu instid0(VALU_DEP_4) | instskip(NEXT) | instid1(VALU_DEP_4)
	v_fma_f64 v[4:5], v[4:5], v[34:35], v[14:15]
	v_fma_f64 v[2:3], v[2:3], v[34:35], -v[16:17]
	s_delay_alu instid0(VALU_DEP_4) | instskip(NEXT) | instid1(VALU_DEP_4)
	v_add_f64_e32 v[6:7], v[6:7], v[10:11]
	v_add_f64_e32 v[8:9], v[8:9], v[12:13]
	s_delay_alu instid0(VALU_DEP_2) | instskip(NEXT) | instid1(VALU_DEP_2)
	v_add_f64_e32 v[2:3], v[6:7], v[2:3]
	v_add_f64_e32 v[4:5], v[8:9], v[4:5]
	s_delay_alu instid0(VALU_DEP_2) | instskip(NEXT) | instid1(VALU_DEP_2)
	v_add_f64_e64 v[2:3], v[42:43], -v[2:3]
	v_add_f64_e64 v[4:5], v[44:45], -v[4:5]
	scratch_store_b128 off, v[2:5], off offset:224
	v_cmpx_lt_u32_e32 12, v0
	s_cbranch_execz .LBB116_307
; %bb.306:
	scratch_load_b128 v[5:8], off, s54
	v_dual_mov_b32 v2, v1 :: v_dual_mov_b32 v3, v1
	v_mov_b32_e32 v4, v1
	scratch_store_b128 off, v[1:4], off offset:208
	s_wait_loadcnt 0x0
	ds_store_b128 v152, v[5:8]
.LBB116_307:
	s_wait_alu 0xfffe
	s_or_b32 exec_lo, exec_lo, s0
	s_wait_storecnt_dscnt 0x0
	s_barrier_signal -1
	s_barrier_wait -1
	global_inv scope:SCOPE_SE
	s_clause 0x8
	scratch_load_b128 v[2:5], off, off offset:224
	scratch_load_b128 v[6:9], off, off offset:240
	;; [unrolled: 1-line block ×9, first 2 shown]
	ds_load_b128 v[42:45], v1 offset:1056
	ds_load_b128 v[38:41], v1 offset:1072
	s_clause 0x1
	scratch_load_b128 v[153:156], off, off offset:208
	scratch_load_b128 v[157:160], off, off offset:368
	s_mov_b32 s0, exec_lo
	s_wait_loadcnt_dscnt 0xa01
	v_mul_f64_e32 v[161:162], v[44:45], v[4:5]
	v_mul_f64_e32 v[4:5], v[42:43], v[4:5]
	s_wait_loadcnt_dscnt 0x900
	v_mul_f64_e32 v[165:166], v[38:39], v[8:9]
	v_mul_f64_e32 v[8:9], v[40:41], v[8:9]
	s_delay_alu instid0(VALU_DEP_4) | instskip(NEXT) | instid1(VALU_DEP_4)
	v_fma_f64 v[167:168], v[42:43], v[2:3], -v[161:162]
	v_fma_f64 v[169:170], v[44:45], v[2:3], v[4:5]
	ds_load_b128 v[2:5], v1 offset:1088
	ds_load_b128 v[161:164], v1 offset:1104
	scratch_load_b128 v[42:45], off, off offset:384
	v_fma_f64 v[40:41], v[40:41], v[6:7], v[165:166]
	v_fma_f64 v[38:39], v[38:39], v[6:7], -v[8:9]
	scratch_load_b128 v[6:9], off, off offset:400
	s_wait_loadcnt_dscnt 0xa01
	v_mul_f64_e32 v[171:172], v[2:3], v[12:13]
	v_mul_f64_e32 v[12:13], v[4:5], v[12:13]
	v_add_f64_e32 v[165:166], 0, v[167:168]
	v_add_f64_e32 v[167:168], 0, v[169:170]
	s_wait_loadcnt_dscnt 0x900
	v_mul_f64_e32 v[169:170], v[161:162], v[16:17]
	v_mul_f64_e32 v[16:17], v[163:164], v[16:17]
	v_fma_f64 v[171:172], v[4:5], v[10:11], v[171:172]
	v_fma_f64 v[173:174], v[2:3], v[10:11], -v[12:13]
	ds_load_b128 v[2:5], v1 offset:1120
	scratch_load_b128 v[10:13], off, off offset:416
	v_add_f64_e32 v[165:166], v[165:166], v[38:39]
	v_add_f64_e32 v[167:168], v[167:168], v[40:41]
	ds_load_b128 v[38:41], v1 offset:1136
	v_fma_f64 v[163:164], v[163:164], v[14:15], v[169:170]
	v_fma_f64 v[161:162], v[161:162], v[14:15], -v[16:17]
	scratch_load_b128 v[14:17], off, off offset:432
	s_wait_loadcnt_dscnt 0xa01
	v_mul_f64_e32 v[175:176], v[2:3], v[20:21]
	v_mul_f64_e32 v[20:21], v[4:5], v[20:21]
	s_wait_loadcnt_dscnt 0x900
	v_mul_f64_e32 v[169:170], v[38:39], v[24:25]
	v_mul_f64_e32 v[24:25], v[40:41], v[24:25]
	v_add_f64_e32 v[165:166], v[165:166], v[173:174]
	v_add_f64_e32 v[167:168], v[167:168], v[171:172]
	v_fma_f64 v[171:172], v[4:5], v[18:19], v[175:176]
	v_fma_f64 v[173:174], v[2:3], v[18:19], -v[20:21]
	ds_load_b128 v[2:5], v1 offset:1152
	scratch_load_b128 v[18:21], off, off offset:448
	v_fma_f64 v[40:41], v[40:41], v[22:23], v[169:170]
	v_fma_f64 v[38:39], v[38:39], v[22:23], -v[24:25]
	scratch_load_b128 v[22:25], off, off offset:464
	v_add_f64_e32 v[165:166], v[165:166], v[161:162]
	v_add_f64_e32 v[167:168], v[167:168], v[163:164]
	ds_load_b128 v[161:164], v1 offset:1168
	s_wait_loadcnt_dscnt 0xa01
	v_mul_f64_e32 v[175:176], v[2:3], v[28:29]
	v_mul_f64_e32 v[28:29], v[4:5], v[28:29]
	s_wait_loadcnt_dscnt 0x900
	v_mul_f64_e32 v[169:170], v[161:162], v[32:33]
	v_mul_f64_e32 v[32:33], v[163:164], v[32:33]
	v_add_f64_e32 v[165:166], v[165:166], v[173:174]
	v_add_f64_e32 v[167:168], v[167:168], v[171:172]
	v_fma_f64 v[171:172], v[4:5], v[26:27], v[175:176]
	v_fma_f64 v[173:174], v[2:3], v[26:27], -v[28:29]
	ds_load_b128 v[2:5], v1 offset:1184
	scratch_load_b128 v[26:29], off, off offset:480
	v_fma_f64 v[163:164], v[163:164], v[30:31], v[169:170]
	v_fma_f64 v[161:162], v[161:162], v[30:31], -v[32:33]
	scratch_load_b128 v[30:33], off, off offset:496
	v_add_f64_e32 v[165:166], v[165:166], v[38:39]
	v_add_f64_e32 v[167:168], v[167:168], v[40:41]
	ds_load_b128 v[38:41], v1 offset:1200
	s_wait_loadcnt_dscnt 0xa01
	v_mul_f64_e32 v[175:176], v[2:3], v[36:37]
	v_mul_f64_e32 v[36:37], v[4:5], v[36:37]
	s_wait_loadcnt_dscnt 0x800
	v_mul_f64_e32 v[169:170], v[38:39], v[159:160]
	v_add_f64_e32 v[165:166], v[165:166], v[173:174]
	v_add_f64_e32 v[167:168], v[167:168], v[171:172]
	v_mul_f64_e32 v[171:172], v[40:41], v[159:160]
	v_fma_f64 v[173:174], v[4:5], v[34:35], v[175:176]
	v_fma_f64 v[175:176], v[2:3], v[34:35], -v[36:37]
	ds_load_b128 v[2:5], v1 offset:1216
	scratch_load_b128 v[34:37], off, off offset:512
	v_fma_f64 v[169:170], v[40:41], v[157:158], v[169:170]
	v_add_f64_e32 v[165:166], v[165:166], v[161:162]
	v_add_f64_e32 v[163:164], v[167:168], v[163:164]
	ds_load_b128 v[159:162], v1 offset:1232
	v_fma_f64 v[157:158], v[38:39], v[157:158], -v[171:172]
	scratch_load_b128 v[38:41], off, off offset:528
	s_wait_loadcnt_dscnt 0x901
	v_mul_f64_e32 v[167:168], v[2:3], v[44:45]
	v_mul_f64_e32 v[44:45], v[4:5], v[44:45]
	s_wait_loadcnt_dscnt 0x800
	v_mul_f64_e32 v[171:172], v[159:160], v[8:9]
	v_mul_f64_e32 v[8:9], v[161:162], v[8:9]
	v_add_f64_e32 v[165:166], v[165:166], v[175:176]
	v_add_f64_e32 v[163:164], v[163:164], v[173:174]
	v_fma_f64 v[167:168], v[4:5], v[42:43], v[167:168]
	v_fma_f64 v[173:174], v[2:3], v[42:43], -v[44:45]
	ds_load_b128 v[2:5], v1 offset:1248
	scratch_load_b128 v[42:45], off, off offset:544
	v_fma_f64 v[161:162], v[161:162], v[6:7], v[171:172]
	v_fma_f64 v[159:160], v[159:160], v[6:7], -v[8:9]
	scratch_load_b128 v[6:9], off, off offset:560
	v_add_f64_e32 v[157:158], v[165:166], v[157:158]
	v_add_f64_e32 v[169:170], v[163:164], v[169:170]
	ds_load_b128 v[163:166], v1 offset:1264
	s_wait_loadcnt_dscnt 0x901
	v_mul_f64_e32 v[175:176], v[2:3], v[12:13]
	v_mul_f64_e32 v[12:13], v[4:5], v[12:13]
	v_add_f64_e32 v[157:158], v[157:158], v[173:174]
	v_add_f64_e32 v[167:168], v[169:170], v[167:168]
	s_wait_loadcnt_dscnt 0x800
	v_mul_f64_e32 v[169:170], v[163:164], v[16:17]
	v_mul_f64_e32 v[16:17], v[165:166], v[16:17]
	v_fma_f64 v[171:172], v[4:5], v[10:11], v[175:176]
	v_fma_f64 v[173:174], v[2:3], v[10:11], -v[12:13]
	ds_load_b128 v[2:5], v1 offset:1280
	scratch_load_b128 v[10:13], off, off offset:576
	v_add_f64_e32 v[175:176], v[157:158], v[159:160]
	v_add_f64_e32 v[161:162], v[167:168], v[161:162]
	ds_load_b128 v[157:160], v1 offset:1296
	s_wait_loadcnt_dscnt 0x801
	v_mul_f64_e32 v[167:168], v[2:3], v[20:21]
	v_mul_f64_e32 v[20:21], v[4:5], v[20:21]
	v_fma_f64 v[165:166], v[165:166], v[14:15], v[169:170]
	v_fma_f64 v[163:164], v[163:164], v[14:15], -v[16:17]
	scratch_load_b128 v[14:17], off, off offset:592
	v_add_f64_e32 v[169:170], v[175:176], v[173:174]
	v_add_f64_e32 v[161:162], v[161:162], v[171:172]
	s_wait_loadcnt_dscnt 0x800
	v_mul_f64_e32 v[171:172], v[157:158], v[24:25]
	v_mul_f64_e32 v[24:25], v[159:160], v[24:25]
	v_fma_f64 v[167:168], v[4:5], v[18:19], v[167:168]
	v_fma_f64 v[173:174], v[2:3], v[18:19], -v[20:21]
	ds_load_b128 v[2:5], v1 offset:1312
	scratch_load_b128 v[18:21], off, off offset:608
	v_add_f64_e32 v[169:170], v[169:170], v[163:164]
	v_add_f64_e32 v[165:166], v[161:162], v[165:166]
	ds_load_b128 v[161:164], v1 offset:1328
	s_wait_loadcnt_dscnt 0x801
	v_mul_f64_e32 v[175:176], v[2:3], v[28:29]
	v_mul_f64_e32 v[28:29], v[4:5], v[28:29]
	v_fma_f64 v[159:160], v[159:160], v[22:23], v[171:172]
	v_fma_f64 v[157:158], v[157:158], v[22:23], -v[24:25]
	scratch_load_b128 v[22:25], off, off offset:624
	;; [unrolled: 18-line block ×4, first 2 shown]
	s_wait_loadcnt_dscnt 0x800
	v_mul_f64_e32 v[169:170], v[161:162], v[8:9]
	v_mul_f64_e32 v[8:9], v[163:164], v[8:9]
	v_add_f64_e32 v[167:168], v[167:168], v[173:174]
	v_add_f64_e32 v[165:166], v[165:166], v[171:172]
	v_fma_f64 v[171:172], v[4:5], v[42:43], v[175:176]
	v_fma_f64 v[173:174], v[2:3], v[42:43], -v[44:45]
	ds_load_b128 v[2:5], v1 offset:1408
	scratch_load_b128 v[42:45], off, off offset:704
	v_fma_f64 v[163:164], v[163:164], v[6:7], v[169:170]
	v_fma_f64 v[161:162], v[161:162], v[6:7], -v[8:9]
	scratch_load_b128 v[6:9], off, off offset:720
	v_add_f64_e32 v[167:168], v[167:168], v[157:158]
	v_add_f64_e32 v[165:166], v[165:166], v[159:160]
	ds_load_b128 v[157:160], v1 offset:1424
	s_wait_loadcnt_dscnt 0x901
	v_mul_f64_e32 v[175:176], v[2:3], v[12:13]
	v_mul_f64_e32 v[12:13], v[4:5], v[12:13]
	s_wait_loadcnt_dscnt 0x800
	v_mul_f64_e32 v[169:170], v[157:158], v[16:17]
	v_mul_f64_e32 v[16:17], v[159:160], v[16:17]
	v_add_f64_e32 v[167:168], v[167:168], v[173:174]
	v_add_f64_e32 v[165:166], v[165:166], v[171:172]
	v_fma_f64 v[171:172], v[4:5], v[10:11], v[175:176]
	v_fma_f64 v[173:174], v[2:3], v[10:11], -v[12:13]
	ds_load_b128 v[2:5], v1 offset:1440
	scratch_load_b128 v[10:13], off, off offset:736
	v_fma_f64 v[159:160], v[159:160], v[14:15], v[169:170]
	v_fma_f64 v[157:158], v[157:158], v[14:15], -v[16:17]
	scratch_load_b128 v[14:17], off, off offset:752
	v_add_f64_e32 v[167:168], v[167:168], v[161:162]
	v_add_f64_e32 v[165:166], v[165:166], v[163:164]
	ds_load_b128 v[161:164], v1 offset:1456
	s_wait_loadcnt_dscnt 0x901
	v_mul_f64_e32 v[175:176], v[2:3], v[20:21]
	v_mul_f64_e32 v[20:21], v[4:5], v[20:21]
	;; [unrolled: 18-line block ×5, first 2 shown]
	s_wait_loadcnt_dscnt 0x800
	v_mul_f64_e32 v[169:170], v[157:158], v[8:9]
	v_mul_f64_e32 v[8:9], v[159:160], v[8:9]
	v_add_f64_e32 v[167:168], v[167:168], v[173:174]
	v_add_f64_e32 v[165:166], v[165:166], v[171:172]
	v_fma_f64 v[171:172], v[4:5], v[42:43], v[175:176]
	v_fma_f64 v[173:174], v[2:3], v[42:43], -v[44:45]
	ds_load_b128 v[2:5], v1 offset:1568
	ds_load_b128 v[42:45], v1 offset:1584
	v_fma_f64 v[159:160], v[159:160], v[6:7], v[169:170]
	v_fma_f64 v[6:7], v[157:158], v[6:7], -v[8:9]
	v_add_f64_e32 v[161:162], v[167:168], v[161:162]
	v_add_f64_e32 v[163:164], v[165:166], v[163:164]
	s_wait_loadcnt_dscnt 0x701
	v_mul_f64_e32 v[165:166], v[2:3], v[12:13]
	v_mul_f64_e32 v[12:13], v[4:5], v[12:13]
	s_delay_alu instid0(VALU_DEP_4) | instskip(NEXT) | instid1(VALU_DEP_4)
	v_add_f64_e32 v[8:9], v[161:162], v[173:174]
	v_add_f64_e32 v[157:158], v[163:164], v[171:172]
	s_wait_loadcnt_dscnt 0x600
	v_mul_f64_e32 v[161:162], v[42:43], v[16:17]
	v_mul_f64_e32 v[16:17], v[44:45], v[16:17]
	v_fma_f64 v[163:164], v[4:5], v[10:11], v[165:166]
	v_fma_f64 v[10:11], v[2:3], v[10:11], -v[12:13]
	v_add_f64_e32 v[12:13], v[8:9], v[6:7]
	v_add_f64_e32 v[157:158], v[157:158], v[159:160]
	ds_load_b128 v[2:5], v1 offset:1600
	ds_load_b128 v[6:9], v1 offset:1616
	v_fma_f64 v[44:45], v[44:45], v[14:15], v[161:162]
	v_fma_f64 v[14:15], v[42:43], v[14:15], -v[16:17]
	s_wait_loadcnt_dscnt 0x501
	v_mul_f64_e32 v[159:160], v[2:3], v[20:21]
	v_mul_f64_e32 v[20:21], v[4:5], v[20:21]
	s_wait_loadcnt_dscnt 0x400
	v_mul_f64_e32 v[16:17], v[6:7], v[24:25]
	v_mul_f64_e32 v[24:25], v[8:9], v[24:25]
	v_add_f64_e32 v[10:11], v[12:13], v[10:11]
	v_add_f64_e32 v[12:13], v[157:158], v[163:164]
	v_fma_f64 v[42:43], v[4:5], v[18:19], v[159:160]
	v_fma_f64 v[18:19], v[2:3], v[18:19], -v[20:21]
	v_fma_f64 v[8:9], v[8:9], v[22:23], v[16:17]
	v_fma_f64 v[6:7], v[6:7], v[22:23], -v[24:25]
	v_add_f64_e32 v[14:15], v[10:11], v[14:15]
	v_add_f64_e32 v[20:21], v[12:13], v[44:45]
	ds_load_b128 v[2:5], v1 offset:1632
	ds_load_b128 v[10:13], v1 offset:1648
	s_wait_loadcnt_dscnt 0x301
	v_mul_f64_e32 v[44:45], v[2:3], v[28:29]
	v_mul_f64_e32 v[28:29], v[4:5], v[28:29]
	v_add_f64_e32 v[14:15], v[14:15], v[18:19]
	v_add_f64_e32 v[16:17], v[20:21], v[42:43]
	s_wait_loadcnt_dscnt 0x200
	v_mul_f64_e32 v[18:19], v[10:11], v[32:33]
	v_mul_f64_e32 v[20:21], v[12:13], v[32:33]
	v_fma_f64 v[22:23], v[4:5], v[26:27], v[44:45]
	v_fma_f64 v[24:25], v[2:3], v[26:27], -v[28:29]
	v_add_f64_e32 v[14:15], v[14:15], v[6:7]
	v_add_f64_e32 v[16:17], v[16:17], v[8:9]
	ds_load_b128 v[2:5], v1 offset:1664
	ds_load_b128 v[6:9], v1 offset:1680
	v_fma_f64 v[12:13], v[12:13], v[30:31], v[18:19]
	v_fma_f64 v[10:11], v[10:11], v[30:31], -v[20:21]
	s_wait_loadcnt_dscnt 0x101
	v_mul_f64_e32 v[26:27], v[2:3], v[36:37]
	v_mul_f64_e32 v[28:29], v[4:5], v[36:37]
	s_wait_loadcnt_dscnt 0x0
	v_mul_f64_e32 v[18:19], v[6:7], v[40:41]
	v_mul_f64_e32 v[20:21], v[8:9], v[40:41]
	v_add_f64_e32 v[14:15], v[14:15], v[24:25]
	v_add_f64_e32 v[16:17], v[16:17], v[22:23]
	v_fma_f64 v[4:5], v[4:5], v[34:35], v[26:27]
	v_fma_f64 v[1:2], v[2:3], v[34:35], -v[28:29]
	v_fma_f64 v[8:9], v[8:9], v[38:39], v[18:19]
	v_fma_f64 v[6:7], v[6:7], v[38:39], -v[20:21]
	v_add_f64_e32 v[10:11], v[14:15], v[10:11]
	v_add_f64_e32 v[12:13], v[16:17], v[12:13]
	s_delay_alu instid0(VALU_DEP_2) | instskip(NEXT) | instid1(VALU_DEP_2)
	v_add_f64_e32 v[1:2], v[10:11], v[1:2]
	v_add_f64_e32 v[3:4], v[12:13], v[4:5]
	s_delay_alu instid0(VALU_DEP_2) | instskip(NEXT) | instid1(VALU_DEP_2)
	;; [unrolled: 3-line block ×3, first 2 shown]
	v_add_f64_e64 v[1:2], v[153:154], -v[1:2]
	v_add_f64_e64 v[3:4], v[155:156], -v[3:4]
	scratch_store_b128 off, v[1:4], off offset:208
	v_cmpx_lt_u32_e32 11, v0
	s_cbranch_execz .LBB116_309
; %bb.308:
	scratch_load_b128 v[1:4], off, s55
	v_mov_b32_e32 v5, 0
	s_delay_alu instid0(VALU_DEP_1)
	v_dual_mov_b32 v6, v5 :: v_dual_mov_b32 v7, v5
	v_mov_b32_e32 v8, v5
	scratch_store_b128 off, v[5:8], off offset:192
	s_wait_loadcnt 0x0
	ds_store_b128 v152, v[1:4]
.LBB116_309:
	s_wait_alu 0xfffe
	s_or_b32 exec_lo, exec_lo, s0
	s_wait_storecnt_dscnt 0x0
	s_barrier_signal -1
	s_barrier_wait -1
	global_inv scope:SCOPE_SE
	s_clause 0x7
	scratch_load_b128 v[2:5], off, off offset:208
	scratch_load_b128 v[6:9], off, off offset:224
	;; [unrolled: 1-line block ×8, first 2 shown]
	v_mov_b32_e32 v1, 0
	s_mov_b32 s0, exec_lo
	ds_load_b128 v[38:41], v1 offset:1040
	s_clause 0x1
	scratch_load_b128 v[34:37], off, off offset:336
	scratch_load_b128 v[42:45], off, off offset:192
	ds_load_b128 v[153:156], v1 offset:1056
	scratch_load_b128 v[157:160], off, off offset:352
	s_wait_loadcnt_dscnt 0xa01
	v_mul_f64_e32 v[161:162], v[40:41], v[4:5]
	v_mul_f64_e32 v[4:5], v[38:39], v[4:5]
	s_delay_alu instid0(VALU_DEP_2) | instskip(NEXT) | instid1(VALU_DEP_2)
	v_fma_f64 v[167:168], v[38:39], v[2:3], -v[161:162]
	v_fma_f64 v[169:170], v[40:41], v[2:3], v[4:5]
	ds_load_b128 v[2:5], v1 offset:1072
	s_wait_loadcnt_dscnt 0x901
	v_mul_f64_e32 v[165:166], v[153:154], v[8:9]
	v_mul_f64_e32 v[8:9], v[155:156], v[8:9]
	scratch_load_b128 v[38:41], off, off offset:368
	ds_load_b128 v[161:164], v1 offset:1088
	s_wait_loadcnt_dscnt 0x901
	v_mul_f64_e32 v[171:172], v[2:3], v[12:13]
	v_mul_f64_e32 v[12:13], v[4:5], v[12:13]
	v_fma_f64 v[155:156], v[155:156], v[6:7], v[165:166]
	v_fma_f64 v[153:154], v[153:154], v[6:7], -v[8:9]
	v_add_f64_e32 v[165:166], 0, v[167:168]
	v_add_f64_e32 v[167:168], 0, v[169:170]
	scratch_load_b128 v[6:9], off, off offset:384
	v_fma_f64 v[171:172], v[4:5], v[10:11], v[171:172]
	v_fma_f64 v[173:174], v[2:3], v[10:11], -v[12:13]
	ds_load_b128 v[2:5], v1 offset:1104
	s_wait_loadcnt_dscnt 0x901
	v_mul_f64_e32 v[169:170], v[161:162], v[16:17]
	v_mul_f64_e32 v[16:17], v[163:164], v[16:17]
	scratch_load_b128 v[10:13], off, off offset:400
	v_add_f64_e32 v[165:166], v[165:166], v[153:154]
	v_add_f64_e32 v[167:168], v[167:168], v[155:156]
	s_wait_loadcnt_dscnt 0x900
	v_mul_f64_e32 v[175:176], v[2:3], v[20:21]
	v_mul_f64_e32 v[20:21], v[4:5], v[20:21]
	ds_load_b128 v[153:156], v1 offset:1120
	v_fma_f64 v[163:164], v[163:164], v[14:15], v[169:170]
	v_fma_f64 v[161:162], v[161:162], v[14:15], -v[16:17]
	scratch_load_b128 v[14:17], off, off offset:416
	v_add_f64_e32 v[165:166], v[165:166], v[173:174]
	v_add_f64_e32 v[167:168], v[167:168], v[171:172]
	v_fma_f64 v[171:172], v[4:5], v[18:19], v[175:176]
	v_fma_f64 v[173:174], v[2:3], v[18:19], -v[20:21]
	ds_load_b128 v[2:5], v1 offset:1136
	s_wait_loadcnt_dscnt 0x901
	v_mul_f64_e32 v[169:170], v[153:154], v[24:25]
	v_mul_f64_e32 v[24:25], v[155:156], v[24:25]
	scratch_load_b128 v[18:21], off, off offset:432
	s_wait_loadcnt_dscnt 0x900
	v_mul_f64_e32 v[175:176], v[2:3], v[28:29]
	v_mul_f64_e32 v[28:29], v[4:5], v[28:29]
	v_add_f64_e32 v[165:166], v[165:166], v[161:162]
	v_add_f64_e32 v[167:168], v[167:168], v[163:164]
	ds_load_b128 v[161:164], v1 offset:1152
	v_fma_f64 v[155:156], v[155:156], v[22:23], v[169:170]
	v_fma_f64 v[153:154], v[153:154], v[22:23], -v[24:25]
	scratch_load_b128 v[22:25], off, off offset:448
	v_add_f64_e32 v[165:166], v[165:166], v[173:174]
	v_add_f64_e32 v[167:168], v[167:168], v[171:172]
	v_fma_f64 v[171:172], v[4:5], v[26:27], v[175:176]
	v_fma_f64 v[173:174], v[2:3], v[26:27], -v[28:29]
	ds_load_b128 v[2:5], v1 offset:1168
	s_wait_loadcnt_dscnt 0x901
	v_mul_f64_e32 v[169:170], v[161:162], v[32:33]
	v_mul_f64_e32 v[32:33], v[163:164], v[32:33]
	scratch_load_b128 v[26:29], off, off offset:464
	s_wait_loadcnt_dscnt 0x900
	v_mul_f64_e32 v[175:176], v[2:3], v[36:37]
	v_mul_f64_e32 v[36:37], v[4:5], v[36:37]
	v_add_f64_e32 v[165:166], v[165:166], v[153:154]
	v_add_f64_e32 v[167:168], v[167:168], v[155:156]
	ds_load_b128 v[153:156], v1 offset:1184
	v_fma_f64 v[163:164], v[163:164], v[30:31], v[169:170]
	v_fma_f64 v[161:162], v[161:162], v[30:31], -v[32:33]
	scratch_load_b128 v[30:33], off, off offset:480
	v_add_f64_e32 v[165:166], v[165:166], v[173:174]
	v_add_f64_e32 v[167:168], v[167:168], v[171:172]
	v_fma_f64 v[173:174], v[4:5], v[34:35], v[175:176]
	v_fma_f64 v[175:176], v[2:3], v[34:35], -v[36:37]
	ds_load_b128 v[2:5], v1 offset:1200
	s_wait_loadcnt_dscnt 0x801
	v_mul_f64_e32 v[169:170], v[153:154], v[159:160]
	v_mul_f64_e32 v[171:172], v[155:156], v[159:160]
	scratch_load_b128 v[34:37], off, off offset:496
	v_add_f64_e32 v[165:166], v[165:166], v[161:162]
	v_add_f64_e32 v[163:164], v[167:168], v[163:164]
	ds_load_b128 v[159:162], v1 offset:1216
	v_fma_f64 v[169:170], v[155:156], v[157:158], v[169:170]
	v_fma_f64 v[157:158], v[153:154], v[157:158], -v[171:172]
	scratch_load_b128 v[153:156], off, off offset:512
	s_wait_loadcnt_dscnt 0x901
	v_mul_f64_e32 v[167:168], v[2:3], v[40:41]
	v_mul_f64_e32 v[40:41], v[4:5], v[40:41]
	v_add_f64_e32 v[165:166], v[165:166], v[175:176]
	v_add_f64_e32 v[163:164], v[163:164], v[173:174]
	s_delay_alu instid0(VALU_DEP_4) | instskip(NEXT) | instid1(VALU_DEP_4)
	v_fma_f64 v[167:168], v[4:5], v[38:39], v[167:168]
	v_fma_f64 v[173:174], v[2:3], v[38:39], -v[40:41]
	ds_load_b128 v[2:5], v1 offset:1232
	s_wait_loadcnt_dscnt 0x801
	v_mul_f64_e32 v[171:172], v[159:160], v[8:9]
	v_mul_f64_e32 v[8:9], v[161:162], v[8:9]
	scratch_load_b128 v[38:41], off, off offset:528
	s_wait_loadcnt_dscnt 0x800
	v_mul_f64_e32 v[175:176], v[2:3], v[12:13]
	v_add_f64_e32 v[157:158], v[165:166], v[157:158]
	v_add_f64_e32 v[169:170], v[163:164], v[169:170]
	v_mul_f64_e32 v[12:13], v[4:5], v[12:13]
	ds_load_b128 v[163:166], v1 offset:1248
	v_fma_f64 v[161:162], v[161:162], v[6:7], v[171:172]
	v_fma_f64 v[159:160], v[159:160], v[6:7], -v[8:9]
	scratch_load_b128 v[6:9], off, off offset:544
	v_fma_f64 v[171:172], v[4:5], v[10:11], v[175:176]
	v_add_f64_e32 v[157:158], v[157:158], v[173:174]
	v_add_f64_e32 v[167:168], v[169:170], v[167:168]
	v_fma_f64 v[173:174], v[2:3], v[10:11], -v[12:13]
	ds_load_b128 v[2:5], v1 offset:1264
	s_wait_loadcnt_dscnt 0x801
	v_mul_f64_e32 v[169:170], v[163:164], v[16:17]
	v_mul_f64_e32 v[16:17], v[165:166], v[16:17]
	scratch_load_b128 v[10:13], off, off offset:560
	v_add_f64_e32 v[175:176], v[157:158], v[159:160]
	v_add_f64_e32 v[161:162], v[167:168], v[161:162]
	s_wait_loadcnt_dscnt 0x800
	v_mul_f64_e32 v[167:168], v[2:3], v[20:21]
	v_mul_f64_e32 v[20:21], v[4:5], v[20:21]
	v_fma_f64 v[165:166], v[165:166], v[14:15], v[169:170]
	v_fma_f64 v[163:164], v[163:164], v[14:15], -v[16:17]
	ds_load_b128 v[157:160], v1 offset:1280
	scratch_load_b128 v[14:17], off, off offset:576
	v_add_f64_e32 v[169:170], v[175:176], v[173:174]
	v_add_f64_e32 v[161:162], v[161:162], v[171:172]
	v_fma_f64 v[167:168], v[4:5], v[18:19], v[167:168]
	v_fma_f64 v[173:174], v[2:3], v[18:19], -v[20:21]
	ds_load_b128 v[2:5], v1 offset:1296
	s_wait_loadcnt_dscnt 0x801
	v_mul_f64_e32 v[171:172], v[157:158], v[24:25]
	v_mul_f64_e32 v[24:25], v[159:160], v[24:25]
	scratch_load_b128 v[18:21], off, off offset:592
	s_wait_loadcnt_dscnt 0x800
	v_mul_f64_e32 v[175:176], v[2:3], v[28:29]
	v_mul_f64_e32 v[28:29], v[4:5], v[28:29]
	v_add_f64_e32 v[169:170], v[169:170], v[163:164]
	v_add_f64_e32 v[165:166], v[161:162], v[165:166]
	ds_load_b128 v[161:164], v1 offset:1312
	v_fma_f64 v[159:160], v[159:160], v[22:23], v[171:172]
	v_fma_f64 v[157:158], v[157:158], v[22:23], -v[24:25]
	scratch_load_b128 v[22:25], off, off offset:608
	v_fma_f64 v[171:172], v[4:5], v[26:27], v[175:176]
	v_add_f64_e32 v[169:170], v[169:170], v[173:174]
	v_add_f64_e32 v[165:166], v[165:166], v[167:168]
	v_fma_f64 v[173:174], v[2:3], v[26:27], -v[28:29]
	ds_load_b128 v[2:5], v1 offset:1328
	s_wait_loadcnt_dscnt 0x801
	v_mul_f64_e32 v[167:168], v[161:162], v[32:33]
	v_mul_f64_e32 v[32:33], v[163:164], v[32:33]
	scratch_load_b128 v[26:29], off, off offset:624
	s_wait_loadcnt_dscnt 0x800
	v_mul_f64_e32 v[175:176], v[2:3], v[36:37]
	v_mul_f64_e32 v[36:37], v[4:5], v[36:37]
	v_add_f64_e32 v[169:170], v[169:170], v[157:158]
	v_add_f64_e32 v[165:166], v[165:166], v[159:160]
	ds_load_b128 v[157:160], v1 offset:1344
	v_fma_f64 v[163:164], v[163:164], v[30:31], v[167:168]
	v_fma_f64 v[161:162], v[161:162], v[30:31], -v[32:33]
	scratch_load_b128 v[30:33], off, off offset:640
	v_add_f64_e32 v[167:168], v[169:170], v[173:174]
	v_add_f64_e32 v[165:166], v[165:166], v[171:172]
	v_fma_f64 v[171:172], v[4:5], v[34:35], v[175:176]
	v_fma_f64 v[173:174], v[2:3], v[34:35], -v[36:37]
	ds_load_b128 v[2:5], v1 offset:1360
	s_wait_loadcnt_dscnt 0x801
	v_mul_f64_e32 v[169:170], v[157:158], v[155:156]
	v_mul_f64_e32 v[155:156], v[159:160], v[155:156]
	scratch_load_b128 v[34:37], off, off offset:656
	s_wait_loadcnt_dscnt 0x800
	v_mul_f64_e32 v[175:176], v[2:3], v[40:41]
	v_mul_f64_e32 v[40:41], v[4:5], v[40:41]
	v_add_f64_e32 v[167:168], v[167:168], v[161:162]
	v_add_f64_e32 v[165:166], v[165:166], v[163:164]
	ds_load_b128 v[161:164], v1 offset:1376
	v_fma_f64 v[159:160], v[159:160], v[153:154], v[169:170]
	v_fma_f64 v[157:158], v[157:158], v[153:154], -v[155:156]
	scratch_load_b128 v[153:156], off, off offset:672
	v_add_f64_e32 v[167:168], v[167:168], v[173:174]
	v_add_f64_e32 v[165:166], v[165:166], v[171:172]
	v_fma_f64 v[171:172], v[4:5], v[38:39], v[175:176]
	;; [unrolled: 18-line block ×6, first 2 shown]
	v_fma_f64 v[175:176], v[2:3], v[34:35], -v[36:37]
	ds_load_b128 v[2:5], v1 offset:1520
	s_wait_loadcnt_dscnt 0x801
	v_mul_f64_e32 v[169:170], v[161:162], v[155:156]
	v_mul_f64_e32 v[171:172], v[163:164], v[155:156]
	scratch_load_b128 v[34:37], off, off offset:816
	v_add_f64_e32 v[167:168], v[167:168], v[157:158]
	v_add_f64_e32 v[159:160], v[165:166], v[159:160]
	s_wait_loadcnt_dscnt 0x800
	v_mul_f64_e32 v[165:166], v[2:3], v[40:41]
	v_mul_f64_e32 v[40:41], v[4:5], v[40:41]
	ds_load_b128 v[155:158], v1 offset:1536
	v_fma_f64 v[163:164], v[163:164], v[153:154], v[169:170]
	v_fma_f64 v[153:154], v[161:162], v[153:154], -v[171:172]
	v_add_f64_e32 v[167:168], v[167:168], v[175:176]
	v_add_f64_e32 v[169:170], v[159:160], v[173:174]
	scratch_load_b128 v[159:162], off, off offset:832
	v_fma_f64 v[173:174], v[4:5], v[38:39], v[165:166]
	v_fma_f64 v[175:176], v[2:3], v[38:39], -v[40:41]
	ds_load_b128 v[2:5], v1 offset:1552
	s_wait_loadcnt_dscnt 0x801
	v_mul_f64_e32 v[171:172], v[155:156], v[8:9]
	v_mul_f64_e32 v[8:9], v[157:158], v[8:9]
	scratch_load_b128 v[38:41], off, off offset:848
	v_add_f64_e32 v[153:154], v[167:168], v[153:154]
	v_add_f64_e32 v[167:168], v[169:170], v[163:164]
	s_wait_loadcnt_dscnt 0x800
	v_mul_f64_e32 v[169:170], v[2:3], v[12:13]
	v_mul_f64_e32 v[12:13], v[4:5], v[12:13]
	ds_load_b128 v[163:166], v1 offset:1568
	v_fma_f64 v[157:158], v[157:158], v[6:7], v[171:172]
	v_fma_f64 v[6:7], v[155:156], v[6:7], -v[8:9]
	s_wait_loadcnt_dscnt 0x700
	v_mul_f64_e32 v[155:156], v[163:164], v[16:17]
	v_mul_f64_e32 v[16:17], v[165:166], v[16:17]
	v_add_f64_e32 v[8:9], v[153:154], v[175:176]
	v_add_f64_e32 v[153:154], v[167:168], v[173:174]
	v_fma_f64 v[167:168], v[4:5], v[10:11], v[169:170]
	v_fma_f64 v[10:11], v[2:3], v[10:11], -v[12:13]
	v_fma_f64 v[155:156], v[165:166], v[14:15], v[155:156]
	v_fma_f64 v[14:15], v[163:164], v[14:15], -v[16:17]
	v_add_f64_e32 v[12:13], v[8:9], v[6:7]
	v_add_f64_e32 v[153:154], v[153:154], v[157:158]
	ds_load_b128 v[2:5], v1 offset:1584
	ds_load_b128 v[6:9], v1 offset:1600
	s_wait_loadcnt_dscnt 0x601
	v_mul_f64_e32 v[157:158], v[2:3], v[20:21]
	v_mul_f64_e32 v[20:21], v[4:5], v[20:21]
	s_wait_loadcnt_dscnt 0x500
	v_mul_f64_e32 v[16:17], v[6:7], v[24:25]
	v_mul_f64_e32 v[24:25], v[8:9], v[24:25]
	v_add_f64_e32 v[10:11], v[12:13], v[10:11]
	v_add_f64_e32 v[12:13], v[153:154], v[167:168]
	v_fma_f64 v[153:154], v[4:5], v[18:19], v[157:158]
	v_fma_f64 v[18:19], v[2:3], v[18:19], -v[20:21]
	v_fma_f64 v[8:9], v[8:9], v[22:23], v[16:17]
	v_fma_f64 v[6:7], v[6:7], v[22:23], -v[24:25]
	v_add_f64_e32 v[14:15], v[10:11], v[14:15]
	v_add_f64_e32 v[20:21], v[12:13], v[155:156]
	ds_load_b128 v[2:5], v1 offset:1616
	ds_load_b128 v[10:13], v1 offset:1632
	s_wait_loadcnt_dscnt 0x401
	v_mul_f64_e32 v[155:156], v[2:3], v[28:29]
	v_mul_f64_e32 v[28:29], v[4:5], v[28:29]
	v_add_f64_e32 v[14:15], v[14:15], v[18:19]
	v_add_f64_e32 v[16:17], v[20:21], v[153:154]
	s_wait_loadcnt_dscnt 0x300
	v_mul_f64_e32 v[18:19], v[10:11], v[32:33]
	v_mul_f64_e32 v[20:21], v[12:13], v[32:33]
	v_fma_f64 v[22:23], v[4:5], v[26:27], v[155:156]
	v_fma_f64 v[24:25], v[2:3], v[26:27], -v[28:29]
	v_add_f64_e32 v[14:15], v[14:15], v[6:7]
	v_add_f64_e32 v[16:17], v[16:17], v[8:9]
	ds_load_b128 v[2:5], v1 offset:1648
	ds_load_b128 v[6:9], v1 offset:1664
	v_fma_f64 v[12:13], v[12:13], v[30:31], v[18:19]
	v_fma_f64 v[10:11], v[10:11], v[30:31], -v[20:21]
	s_wait_loadcnt_dscnt 0x201
	v_mul_f64_e32 v[26:27], v[2:3], v[36:37]
	v_mul_f64_e32 v[28:29], v[4:5], v[36:37]
	v_add_f64_e32 v[14:15], v[14:15], v[24:25]
	v_add_f64_e32 v[16:17], v[16:17], v[22:23]
	s_wait_loadcnt_dscnt 0x100
	v_mul_f64_e32 v[18:19], v[6:7], v[161:162]
	v_mul_f64_e32 v[20:21], v[8:9], v[161:162]
	v_fma_f64 v[22:23], v[4:5], v[34:35], v[26:27]
	v_fma_f64 v[24:25], v[2:3], v[34:35], -v[28:29]
	ds_load_b128 v[2:5], v1 offset:1680
	v_add_f64_e32 v[10:11], v[14:15], v[10:11]
	v_add_f64_e32 v[12:13], v[16:17], v[12:13]
	s_wait_loadcnt_dscnt 0x0
	v_mul_f64_e32 v[14:15], v[2:3], v[40:41]
	v_mul_f64_e32 v[16:17], v[4:5], v[40:41]
	v_fma_f64 v[8:9], v[8:9], v[159:160], v[18:19]
	v_fma_f64 v[6:7], v[6:7], v[159:160], -v[20:21]
	v_add_f64_e32 v[10:11], v[10:11], v[24:25]
	v_add_f64_e32 v[12:13], v[12:13], v[22:23]
	v_fma_f64 v[4:5], v[4:5], v[38:39], v[14:15]
	v_fma_f64 v[2:3], v[2:3], v[38:39], -v[16:17]
	s_delay_alu instid0(VALU_DEP_4) | instskip(NEXT) | instid1(VALU_DEP_4)
	v_add_f64_e32 v[6:7], v[10:11], v[6:7]
	v_add_f64_e32 v[8:9], v[12:13], v[8:9]
	s_delay_alu instid0(VALU_DEP_2) | instskip(NEXT) | instid1(VALU_DEP_2)
	v_add_f64_e32 v[2:3], v[6:7], v[2:3]
	v_add_f64_e32 v[4:5], v[8:9], v[4:5]
	s_delay_alu instid0(VALU_DEP_2) | instskip(NEXT) | instid1(VALU_DEP_2)
	v_add_f64_e64 v[2:3], v[42:43], -v[2:3]
	v_add_f64_e64 v[4:5], v[44:45], -v[4:5]
	scratch_store_b128 off, v[2:5], off offset:192
	v_cmpx_lt_u32_e32 10, v0
	s_cbranch_execz .LBB116_311
; %bb.310:
	scratch_load_b128 v[5:8], off, s56
	v_dual_mov_b32 v2, v1 :: v_dual_mov_b32 v3, v1
	v_mov_b32_e32 v4, v1
	scratch_store_b128 off, v[1:4], off offset:176
	s_wait_loadcnt 0x0
	ds_store_b128 v152, v[5:8]
.LBB116_311:
	s_wait_alu 0xfffe
	s_or_b32 exec_lo, exec_lo, s0
	s_wait_storecnt_dscnt 0x0
	s_barrier_signal -1
	s_barrier_wait -1
	global_inv scope:SCOPE_SE
	s_clause 0x8
	scratch_load_b128 v[2:5], off, off offset:192
	scratch_load_b128 v[6:9], off, off offset:208
	;; [unrolled: 1-line block ×9, first 2 shown]
	ds_load_b128 v[42:45], v1 offset:1024
	ds_load_b128 v[38:41], v1 offset:1040
	s_clause 0x1
	scratch_load_b128 v[153:156], off, off offset:176
	scratch_load_b128 v[157:160], off, off offset:336
	s_mov_b32 s0, exec_lo
	s_wait_loadcnt_dscnt 0xa01
	v_mul_f64_e32 v[161:162], v[44:45], v[4:5]
	v_mul_f64_e32 v[4:5], v[42:43], v[4:5]
	s_wait_loadcnt_dscnt 0x900
	v_mul_f64_e32 v[165:166], v[38:39], v[8:9]
	v_mul_f64_e32 v[8:9], v[40:41], v[8:9]
	s_delay_alu instid0(VALU_DEP_4) | instskip(NEXT) | instid1(VALU_DEP_4)
	v_fma_f64 v[167:168], v[42:43], v[2:3], -v[161:162]
	v_fma_f64 v[169:170], v[44:45], v[2:3], v[4:5]
	ds_load_b128 v[2:5], v1 offset:1056
	ds_load_b128 v[161:164], v1 offset:1072
	scratch_load_b128 v[42:45], off, off offset:352
	v_fma_f64 v[40:41], v[40:41], v[6:7], v[165:166]
	v_fma_f64 v[38:39], v[38:39], v[6:7], -v[8:9]
	scratch_load_b128 v[6:9], off, off offset:368
	s_wait_loadcnt_dscnt 0xa01
	v_mul_f64_e32 v[171:172], v[2:3], v[12:13]
	v_mul_f64_e32 v[12:13], v[4:5], v[12:13]
	v_add_f64_e32 v[165:166], 0, v[167:168]
	v_add_f64_e32 v[167:168], 0, v[169:170]
	s_wait_loadcnt_dscnt 0x900
	v_mul_f64_e32 v[169:170], v[161:162], v[16:17]
	v_mul_f64_e32 v[16:17], v[163:164], v[16:17]
	v_fma_f64 v[171:172], v[4:5], v[10:11], v[171:172]
	v_fma_f64 v[173:174], v[2:3], v[10:11], -v[12:13]
	ds_load_b128 v[2:5], v1 offset:1088
	scratch_load_b128 v[10:13], off, off offset:384
	v_add_f64_e32 v[165:166], v[165:166], v[38:39]
	v_add_f64_e32 v[167:168], v[167:168], v[40:41]
	ds_load_b128 v[38:41], v1 offset:1104
	v_fma_f64 v[163:164], v[163:164], v[14:15], v[169:170]
	v_fma_f64 v[161:162], v[161:162], v[14:15], -v[16:17]
	scratch_load_b128 v[14:17], off, off offset:400
	s_wait_loadcnt_dscnt 0xa01
	v_mul_f64_e32 v[175:176], v[2:3], v[20:21]
	v_mul_f64_e32 v[20:21], v[4:5], v[20:21]
	s_wait_loadcnt_dscnt 0x900
	v_mul_f64_e32 v[169:170], v[38:39], v[24:25]
	v_mul_f64_e32 v[24:25], v[40:41], v[24:25]
	v_add_f64_e32 v[165:166], v[165:166], v[173:174]
	v_add_f64_e32 v[167:168], v[167:168], v[171:172]
	v_fma_f64 v[171:172], v[4:5], v[18:19], v[175:176]
	v_fma_f64 v[173:174], v[2:3], v[18:19], -v[20:21]
	ds_load_b128 v[2:5], v1 offset:1120
	scratch_load_b128 v[18:21], off, off offset:416
	v_fma_f64 v[40:41], v[40:41], v[22:23], v[169:170]
	v_fma_f64 v[38:39], v[38:39], v[22:23], -v[24:25]
	scratch_load_b128 v[22:25], off, off offset:432
	v_add_f64_e32 v[165:166], v[165:166], v[161:162]
	v_add_f64_e32 v[167:168], v[167:168], v[163:164]
	ds_load_b128 v[161:164], v1 offset:1136
	s_wait_loadcnt_dscnt 0xa01
	v_mul_f64_e32 v[175:176], v[2:3], v[28:29]
	v_mul_f64_e32 v[28:29], v[4:5], v[28:29]
	s_wait_loadcnt_dscnt 0x900
	v_mul_f64_e32 v[169:170], v[161:162], v[32:33]
	v_mul_f64_e32 v[32:33], v[163:164], v[32:33]
	v_add_f64_e32 v[165:166], v[165:166], v[173:174]
	v_add_f64_e32 v[167:168], v[167:168], v[171:172]
	v_fma_f64 v[171:172], v[4:5], v[26:27], v[175:176]
	v_fma_f64 v[173:174], v[2:3], v[26:27], -v[28:29]
	ds_load_b128 v[2:5], v1 offset:1152
	scratch_load_b128 v[26:29], off, off offset:448
	v_fma_f64 v[163:164], v[163:164], v[30:31], v[169:170]
	v_fma_f64 v[161:162], v[161:162], v[30:31], -v[32:33]
	scratch_load_b128 v[30:33], off, off offset:464
	v_add_f64_e32 v[165:166], v[165:166], v[38:39]
	v_add_f64_e32 v[167:168], v[167:168], v[40:41]
	ds_load_b128 v[38:41], v1 offset:1168
	s_wait_loadcnt_dscnt 0xa01
	v_mul_f64_e32 v[175:176], v[2:3], v[36:37]
	v_mul_f64_e32 v[36:37], v[4:5], v[36:37]
	s_wait_loadcnt_dscnt 0x800
	v_mul_f64_e32 v[169:170], v[38:39], v[159:160]
	v_add_f64_e32 v[165:166], v[165:166], v[173:174]
	v_add_f64_e32 v[167:168], v[167:168], v[171:172]
	v_mul_f64_e32 v[171:172], v[40:41], v[159:160]
	v_fma_f64 v[173:174], v[4:5], v[34:35], v[175:176]
	v_fma_f64 v[175:176], v[2:3], v[34:35], -v[36:37]
	ds_load_b128 v[2:5], v1 offset:1184
	scratch_load_b128 v[34:37], off, off offset:480
	v_fma_f64 v[169:170], v[40:41], v[157:158], v[169:170]
	v_add_f64_e32 v[165:166], v[165:166], v[161:162]
	v_add_f64_e32 v[163:164], v[167:168], v[163:164]
	ds_load_b128 v[159:162], v1 offset:1200
	v_fma_f64 v[157:158], v[38:39], v[157:158], -v[171:172]
	scratch_load_b128 v[38:41], off, off offset:496
	s_wait_loadcnt_dscnt 0x901
	v_mul_f64_e32 v[167:168], v[2:3], v[44:45]
	v_mul_f64_e32 v[44:45], v[4:5], v[44:45]
	s_wait_loadcnt_dscnt 0x800
	v_mul_f64_e32 v[171:172], v[159:160], v[8:9]
	v_mul_f64_e32 v[8:9], v[161:162], v[8:9]
	v_add_f64_e32 v[165:166], v[165:166], v[175:176]
	v_add_f64_e32 v[163:164], v[163:164], v[173:174]
	v_fma_f64 v[167:168], v[4:5], v[42:43], v[167:168]
	v_fma_f64 v[173:174], v[2:3], v[42:43], -v[44:45]
	ds_load_b128 v[2:5], v1 offset:1216
	scratch_load_b128 v[42:45], off, off offset:512
	v_fma_f64 v[161:162], v[161:162], v[6:7], v[171:172]
	v_fma_f64 v[159:160], v[159:160], v[6:7], -v[8:9]
	scratch_load_b128 v[6:9], off, off offset:528
	v_add_f64_e32 v[157:158], v[165:166], v[157:158]
	v_add_f64_e32 v[169:170], v[163:164], v[169:170]
	ds_load_b128 v[163:166], v1 offset:1232
	s_wait_loadcnt_dscnt 0x901
	v_mul_f64_e32 v[175:176], v[2:3], v[12:13]
	v_mul_f64_e32 v[12:13], v[4:5], v[12:13]
	v_add_f64_e32 v[157:158], v[157:158], v[173:174]
	v_add_f64_e32 v[167:168], v[169:170], v[167:168]
	s_wait_loadcnt_dscnt 0x800
	v_mul_f64_e32 v[169:170], v[163:164], v[16:17]
	v_mul_f64_e32 v[16:17], v[165:166], v[16:17]
	v_fma_f64 v[171:172], v[4:5], v[10:11], v[175:176]
	v_fma_f64 v[173:174], v[2:3], v[10:11], -v[12:13]
	ds_load_b128 v[2:5], v1 offset:1248
	scratch_load_b128 v[10:13], off, off offset:544
	v_add_f64_e32 v[175:176], v[157:158], v[159:160]
	v_add_f64_e32 v[161:162], v[167:168], v[161:162]
	ds_load_b128 v[157:160], v1 offset:1264
	s_wait_loadcnt_dscnt 0x801
	v_mul_f64_e32 v[167:168], v[2:3], v[20:21]
	v_mul_f64_e32 v[20:21], v[4:5], v[20:21]
	v_fma_f64 v[165:166], v[165:166], v[14:15], v[169:170]
	v_fma_f64 v[163:164], v[163:164], v[14:15], -v[16:17]
	scratch_load_b128 v[14:17], off, off offset:560
	v_add_f64_e32 v[169:170], v[175:176], v[173:174]
	v_add_f64_e32 v[161:162], v[161:162], v[171:172]
	s_wait_loadcnt_dscnt 0x800
	v_mul_f64_e32 v[171:172], v[157:158], v[24:25]
	v_mul_f64_e32 v[24:25], v[159:160], v[24:25]
	v_fma_f64 v[167:168], v[4:5], v[18:19], v[167:168]
	v_fma_f64 v[173:174], v[2:3], v[18:19], -v[20:21]
	ds_load_b128 v[2:5], v1 offset:1280
	scratch_load_b128 v[18:21], off, off offset:576
	v_add_f64_e32 v[169:170], v[169:170], v[163:164]
	v_add_f64_e32 v[165:166], v[161:162], v[165:166]
	ds_load_b128 v[161:164], v1 offset:1296
	s_wait_loadcnt_dscnt 0x801
	v_mul_f64_e32 v[175:176], v[2:3], v[28:29]
	v_mul_f64_e32 v[28:29], v[4:5], v[28:29]
	v_fma_f64 v[159:160], v[159:160], v[22:23], v[171:172]
	v_fma_f64 v[157:158], v[157:158], v[22:23], -v[24:25]
	scratch_load_b128 v[22:25], off, off offset:592
	;; [unrolled: 18-line block ×4, first 2 shown]
	s_wait_loadcnt_dscnt 0x800
	v_mul_f64_e32 v[169:170], v[161:162], v[8:9]
	v_mul_f64_e32 v[8:9], v[163:164], v[8:9]
	v_add_f64_e32 v[167:168], v[167:168], v[173:174]
	v_add_f64_e32 v[165:166], v[165:166], v[171:172]
	v_fma_f64 v[171:172], v[4:5], v[42:43], v[175:176]
	v_fma_f64 v[173:174], v[2:3], v[42:43], -v[44:45]
	ds_load_b128 v[2:5], v1 offset:1376
	scratch_load_b128 v[42:45], off, off offset:672
	v_fma_f64 v[163:164], v[163:164], v[6:7], v[169:170]
	v_fma_f64 v[161:162], v[161:162], v[6:7], -v[8:9]
	scratch_load_b128 v[6:9], off, off offset:688
	v_add_f64_e32 v[167:168], v[167:168], v[157:158]
	v_add_f64_e32 v[165:166], v[165:166], v[159:160]
	ds_load_b128 v[157:160], v1 offset:1392
	s_wait_loadcnt_dscnt 0x901
	v_mul_f64_e32 v[175:176], v[2:3], v[12:13]
	v_mul_f64_e32 v[12:13], v[4:5], v[12:13]
	s_wait_loadcnt_dscnt 0x800
	v_mul_f64_e32 v[169:170], v[157:158], v[16:17]
	v_mul_f64_e32 v[16:17], v[159:160], v[16:17]
	v_add_f64_e32 v[167:168], v[167:168], v[173:174]
	v_add_f64_e32 v[165:166], v[165:166], v[171:172]
	v_fma_f64 v[171:172], v[4:5], v[10:11], v[175:176]
	v_fma_f64 v[173:174], v[2:3], v[10:11], -v[12:13]
	ds_load_b128 v[2:5], v1 offset:1408
	scratch_load_b128 v[10:13], off, off offset:704
	v_fma_f64 v[159:160], v[159:160], v[14:15], v[169:170]
	v_fma_f64 v[157:158], v[157:158], v[14:15], -v[16:17]
	scratch_load_b128 v[14:17], off, off offset:720
	v_add_f64_e32 v[167:168], v[167:168], v[161:162]
	v_add_f64_e32 v[165:166], v[165:166], v[163:164]
	ds_load_b128 v[161:164], v1 offset:1424
	s_wait_loadcnt_dscnt 0x901
	v_mul_f64_e32 v[175:176], v[2:3], v[20:21]
	v_mul_f64_e32 v[20:21], v[4:5], v[20:21]
	;; [unrolled: 18-line block ×6, first 2 shown]
	s_wait_loadcnt_dscnt 0x800
	v_mul_f64_e32 v[169:170], v[161:162], v[16:17]
	v_mul_f64_e32 v[16:17], v[163:164], v[16:17]
	v_add_f64_e32 v[167:168], v[167:168], v[173:174]
	v_add_f64_e32 v[165:166], v[165:166], v[171:172]
	v_fma_f64 v[171:172], v[4:5], v[10:11], v[175:176]
	v_fma_f64 v[173:174], v[2:3], v[10:11], -v[12:13]
	ds_load_b128 v[2:5], v1 offset:1568
	ds_load_b128 v[10:13], v1 offset:1584
	v_fma_f64 v[163:164], v[163:164], v[14:15], v[169:170]
	v_fma_f64 v[14:15], v[161:162], v[14:15], -v[16:17]
	v_add_f64_e32 v[157:158], v[167:168], v[157:158]
	v_add_f64_e32 v[159:160], v[165:166], v[159:160]
	s_wait_loadcnt_dscnt 0x701
	v_mul_f64_e32 v[165:166], v[2:3], v[20:21]
	v_mul_f64_e32 v[20:21], v[4:5], v[20:21]
	s_delay_alu instid0(VALU_DEP_4) | instskip(NEXT) | instid1(VALU_DEP_4)
	v_add_f64_e32 v[16:17], v[157:158], v[173:174]
	v_add_f64_e32 v[157:158], v[159:160], v[171:172]
	s_wait_loadcnt_dscnt 0x600
	v_mul_f64_e32 v[159:160], v[10:11], v[24:25]
	v_mul_f64_e32 v[24:25], v[12:13], v[24:25]
	v_fma_f64 v[161:162], v[4:5], v[18:19], v[165:166]
	v_fma_f64 v[18:19], v[2:3], v[18:19], -v[20:21]
	v_add_f64_e32 v[20:21], v[16:17], v[14:15]
	v_add_f64_e32 v[157:158], v[157:158], v[163:164]
	ds_load_b128 v[2:5], v1 offset:1600
	ds_load_b128 v[14:17], v1 offset:1616
	v_fma_f64 v[12:13], v[12:13], v[22:23], v[159:160]
	v_fma_f64 v[10:11], v[10:11], v[22:23], -v[24:25]
	s_wait_loadcnt_dscnt 0x501
	v_mul_f64_e32 v[163:164], v[2:3], v[28:29]
	v_mul_f64_e32 v[28:29], v[4:5], v[28:29]
	s_wait_loadcnt_dscnt 0x400
	v_mul_f64_e32 v[22:23], v[14:15], v[32:33]
	v_mul_f64_e32 v[24:25], v[16:17], v[32:33]
	v_add_f64_e32 v[18:19], v[20:21], v[18:19]
	v_add_f64_e32 v[20:21], v[157:158], v[161:162]
	v_fma_f64 v[32:33], v[4:5], v[26:27], v[163:164]
	v_fma_f64 v[26:27], v[2:3], v[26:27], -v[28:29]
	v_fma_f64 v[16:17], v[16:17], v[30:31], v[22:23]
	v_fma_f64 v[14:15], v[14:15], v[30:31], -v[24:25]
	v_add_f64_e32 v[18:19], v[18:19], v[10:11]
	v_add_f64_e32 v[20:21], v[20:21], v[12:13]
	ds_load_b128 v[2:5], v1 offset:1632
	ds_load_b128 v[10:13], v1 offset:1648
	s_wait_loadcnt_dscnt 0x301
	v_mul_f64_e32 v[28:29], v[2:3], v[36:37]
	v_mul_f64_e32 v[36:37], v[4:5], v[36:37]
	s_wait_loadcnt_dscnt 0x200
	v_mul_f64_e32 v[22:23], v[10:11], v[40:41]
	v_mul_f64_e32 v[24:25], v[12:13], v[40:41]
	v_add_f64_e32 v[18:19], v[18:19], v[26:27]
	v_add_f64_e32 v[20:21], v[20:21], v[32:33]
	v_fma_f64 v[26:27], v[4:5], v[34:35], v[28:29]
	v_fma_f64 v[28:29], v[2:3], v[34:35], -v[36:37]
	v_fma_f64 v[12:13], v[12:13], v[38:39], v[22:23]
	v_fma_f64 v[10:11], v[10:11], v[38:39], -v[24:25]
	v_add_f64_e32 v[18:19], v[18:19], v[14:15]
	v_add_f64_e32 v[20:21], v[20:21], v[16:17]
	ds_load_b128 v[2:5], v1 offset:1664
	ds_load_b128 v[14:17], v1 offset:1680
	s_wait_loadcnt_dscnt 0x101
	v_mul_f64_e32 v[30:31], v[2:3], v[44:45]
	v_mul_f64_e32 v[32:33], v[4:5], v[44:45]
	s_wait_loadcnt_dscnt 0x0
	v_mul_f64_e32 v[22:23], v[14:15], v[8:9]
	v_mul_f64_e32 v[8:9], v[16:17], v[8:9]
	v_add_f64_e32 v[18:19], v[18:19], v[28:29]
	v_add_f64_e32 v[20:21], v[20:21], v[26:27]
	v_fma_f64 v[4:5], v[4:5], v[42:43], v[30:31]
	v_fma_f64 v[1:2], v[2:3], v[42:43], -v[32:33]
	v_fma_f64 v[16:17], v[16:17], v[6:7], v[22:23]
	v_fma_f64 v[6:7], v[14:15], v[6:7], -v[8:9]
	v_add_f64_e32 v[10:11], v[18:19], v[10:11]
	v_add_f64_e32 v[12:13], v[20:21], v[12:13]
	s_delay_alu instid0(VALU_DEP_2) | instskip(NEXT) | instid1(VALU_DEP_2)
	v_add_f64_e32 v[1:2], v[10:11], v[1:2]
	v_add_f64_e32 v[3:4], v[12:13], v[4:5]
	s_delay_alu instid0(VALU_DEP_2) | instskip(NEXT) | instid1(VALU_DEP_2)
	;; [unrolled: 3-line block ×3, first 2 shown]
	v_add_f64_e64 v[1:2], v[153:154], -v[1:2]
	v_add_f64_e64 v[3:4], v[155:156], -v[3:4]
	scratch_store_b128 off, v[1:4], off offset:176
	v_cmpx_lt_u32_e32 9, v0
	s_cbranch_execz .LBB116_313
; %bb.312:
	scratch_load_b128 v[1:4], off, s57
	v_mov_b32_e32 v5, 0
	s_delay_alu instid0(VALU_DEP_1)
	v_dual_mov_b32 v6, v5 :: v_dual_mov_b32 v7, v5
	v_mov_b32_e32 v8, v5
	scratch_store_b128 off, v[5:8], off offset:160
	s_wait_loadcnt 0x0
	ds_store_b128 v152, v[1:4]
.LBB116_313:
	s_wait_alu 0xfffe
	s_or_b32 exec_lo, exec_lo, s0
	s_wait_storecnt_dscnt 0x0
	s_barrier_signal -1
	s_barrier_wait -1
	global_inv scope:SCOPE_SE
	s_clause 0x7
	scratch_load_b128 v[2:5], off, off offset:176
	scratch_load_b128 v[6:9], off, off offset:192
	;; [unrolled: 1-line block ×8, first 2 shown]
	v_mov_b32_e32 v1, 0
	s_mov_b32 s0, exec_lo
	ds_load_b128 v[38:41], v1 offset:1008
	s_clause 0x1
	scratch_load_b128 v[34:37], off, off offset:304
	scratch_load_b128 v[42:45], off, off offset:160
	ds_load_b128 v[153:156], v1 offset:1024
	scratch_load_b128 v[157:160], off, off offset:320
	s_wait_loadcnt_dscnt 0xa01
	v_mul_f64_e32 v[161:162], v[40:41], v[4:5]
	v_mul_f64_e32 v[4:5], v[38:39], v[4:5]
	s_delay_alu instid0(VALU_DEP_2) | instskip(NEXT) | instid1(VALU_DEP_2)
	v_fma_f64 v[167:168], v[38:39], v[2:3], -v[161:162]
	v_fma_f64 v[169:170], v[40:41], v[2:3], v[4:5]
	ds_load_b128 v[2:5], v1 offset:1040
	s_wait_loadcnt_dscnt 0x901
	v_mul_f64_e32 v[165:166], v[153:154], v[8:9]
	v_mul_f64_e32 v[8:9], v[155:156], v[8:9]
	scratch_load_b128 v[38:41], off, off offset:336
	ds_load_b128 v[161:164], v1 offset:1056
	s_wait_loadcnt_dscnt 0x901
	v_mul_f64_e32 v[171:172], v[2:3], v[12:13]
	v_mul_f64_e32 v[12:13], v[4:5], v[12:13]
	v_fma_f64 v[155:156], v[155:156], v[6:7], v[165:166]
	v_fma_f64 v[153:154], v[153:154], v[6:7], -v[8:9]
	v_add_f64_e32 v[165:166], 0, v[167:168]
	v_add_f64_e32 v[167:168], 0, v[169:170]
	scratch_load_b128 v[6:9], off, off offset:352
	v_fma_f64 v[171:172], v[4:5], v[10:11], v[171:172]
	v_fma_f64 v[173:174], v[2:3], v[10:11], -v[12:13]
	ds_load_b128 v[2:5], v1 offset:1072
	s_wait_loadcnt_dscnt 0x901
	v_mul_f64_e32 v[169:170], v[161:162], v[16:17]
	v_mul_f64_e32 v[16:17], v[163:164], v[16:17]
	scratch_load_b128 v[10:13], off, off offset:368
	v_add_f64_e32 v[165:166], v[165:166], v[153:154]
	v_add_f64_e32 v[167:168], v[167:168], v[155:156]
	s_wait_loadcnt_dscnt 0x900
	v_mul_f64_e32 v[175:176], v[2:3], v[20:21]
	v_mul_f64_e32 v[20:21], v[4:5], v[20:21]
	ds_load_b128 v[153:156], v1 offset:1088
	v_fma_f64 v[163:164], v[163:164], v[14:15], v[169:170]
	v_fma_f64 v[161:162], v[161:162], v[14:15], -v[16:17]
	scratch_load_b128 v[14:17], off, off offset:384
	v_add_f64_e32 v[165:166], v[165:166], v[173:174]
	v_add_f64_e32 v[167:168], v[167:168], v[171:172]
	v_fma_f64 v[171:172], v[4:5], v[18:19], v[175:176]
	v_fma_f64 v[173:174], v[2:3], v[18:19], -v[20:21]
	ds_load_b128 v[2:5], v1 offset:1104
	s_wait_loadcnt_dscnt 0x901
	v_mul_f64_e32 v[169:170], v[153:154], v[24:25]
	v_mul_f64_e32 v[24:25], v[155:156], v[24:25]
	scratch_load_b128 v[18:21], off, off offset:400
	s_wait_loadcnt_dscnt 0x900
	v_mul_f64_e32 v[175:176], v[2:3], v[28:29]
	v_mul_f64_e32 v[28:29], v[4:5], v[28:29]
	v_add_f64_e32 v[165:166], v[165:166], v[161:162]
	v_add_f64_e32 v[167:168], v[167:168], v[163:164]
	ds_load_b128 v[161:164], v1 offset:1120
	v_fma_f64 v[155:156], v[155:156], v[22:23], v[169:170]
	v_fma_f64 v[153:154], v[153:154], v[22:23], -v[24:25]
	scratch_load_b128 v[22:25], off, off offset:416
	v_add_f64_e32 v[165:166], v[165:166], v[173:174]
	v_add_f64_e32 v[167:168], v[167:168], v[171:172]
	v_fma_f64 v[171:172], v[4:5], v[26:27], v[175:176]
	v_fma_f64 v[173:174], v[2:3], v[26:27], -v[28:29]
	ds_load_b128 v[2:5], v1 offset:1136
	s_wait_loadcnt_dscnt 0x901
	v_mul_f64_e32 v[169:170], v[161:162], v[32:33]
	v_mul_f64_e32 v[32:33], v[163:164], v[32:33]
	scratch_load_b128 v[26:29], off, off offset:432
	s_wait_loadcnt_dscnt 0x900
	v_mul_f64_e32 v[175:176], v[2:3], v[36:37]
	v_mul_f64_e32 v[36:37], v[4:5], v[36:37]
	v_add_f64_e32 v[165:166], v[165:166], v[153:154]
	v_add_f64_e32 v[167:168], v[167:168], v[155:156]
	ds_load_b128 v[153:156], v1 offset:1152
	v_fma_f64 v[163:164], v[163:164], v[30:31], v[169:170]
	v_fma_f64 v[161:162], v[161:162], v[30:31], -v[32:33]
	scratch_load_b128 v[30:33], off, off offset:448
	v_add_f64_e32 v[165:166], v[165:166], v[173:174]
	v_add_f64_e32 v[167:168], v[167:168], v[171:172]
	v_fma_f64 v[173:174], v[4:5], v[34:35], v[175:176]
	v_fma_f64 v[175:176], v[2:3], v[34:35], -v[36:37]
	ds_load_b128 v[2:5], v1 offset:1168
	s_wait_loadcnt_dscnt 0x801
	v_mul_f64_e32 v[169:170], v[153:154], v[159:160]
	v_mul_f64_e32 v[171:172], v[155:156], v[159:160]
	scratch_load_b128 v[34:37], off, off offset:464
	v_add_f64_e32 v[165:166], v[165:166], v[161:162]
	v_add_f64_e32 v[163:164], v[167:168], v[163:164]
	ds_load_b128 v[159:162], v1 offset:1184
	v_fma_f64 v[169:170], v[155:156], v[157:158], v[169:170]
	v_fma_f64 v[157:158], v[153:154], v[157:158], -v[171:172]
	scratch_load_b128 v[153:156], off, off offset:480
	s_wait_loadcnt_dscnt 0x901
	v_mul_f64_e32 v[167:168], v[2:3], v[40:41]
	v_mul_f64_e32 v[40:41], v[4:5], v[40:41]
	v_add_f64_e32 v[165:166], v[165:166], v[175:176]
	v_add_f64_e32 v[163:164], v[163:164], v[173:174]
	s_delay_alu instid0(VALU_DEP_4) | instskip(NEXT) | instid1(VALU_DEP_4)
	v_fma_f64 v[167:168], v[4:5], v[38:39], v[167:168]
	v_fma_f64 v[173:174], v[2:3], v[38:39], -v[40:41]
	ds_load_b128 v[2:5], v1 offset:1200
	s_wait_loadcnt_dscnt 0x801
	v_mul_f64_e32 v[171:172], v[159:160], v[8:9]
	v_mul_f64_e32 v[8:9], v[161:162], v[8:9]
	scratch_load_b128 v[38:41], off, off offset:496
	s_wait_loadcnt_dscnt 0x800
	v_mul_f64_e32 v[175:176], v[2:3], v[12:13]
	v_add_f64_e32 v[157:158], v[165:166], v[157:158]
	v_add_f64_e32 v[169:170], v[163:164], v[169:170]
	v_mul_f64_e32 v[12:13], v[4:5], v[12:13]
	ds_load_b128 v[163:166], v1 offset:1216
	v_fma_f64 v[161:162], v[161:162], v[6:7], v[171:172]
	v_fma_f64 v[159:160], v[159:160], v[6:7], -v[8:9]
	scratch_load_b128 v[6:9], off, off offset:512
	v_fma_f64 v[171:172], v[4:5], v[10:11], v[175:176]
	v_add_f64_e32 v[157:158], v[157:158], v[173:174]
	v_add_f64_e32 v[167:168], v[169:170], v[167:168]
	v_fma_f64 v[173:174], v[2:3], v[10:11], -v[12:13]
	ds_load_b128 v[2:5], v1 offset:1232
	s_wait_loadcnt_dscnt 0x801
	v_mul_f64_e32 v[169:170], v[163:164], v[16:17]
	v_mul_f64_e32 v[16:17], v[165:166], v[16:17]
	scratch_load_b128 v[10:13], off, off offset:528
	v_add_f64_e32 v[175:176], v[157:158], v[159:160]
	v_add_f64_e32 v[161:162], v[167:168], v[161:162]
	s_wait_loadcnt_dscnt 0x800
	v_mul_f64_e32 v[167:168], v[2:3], v[20:21]
	v_mul_f64_e32 v[20:21], v[4:5], v[20:21]
	v_fma_f64 v[165:166], v[165:166], v[14:15], v[169:170]
	v_fma_f64 v[163:164], v[163:164], v[14:15], -v[16:17]
	ds_load_b128 v[157:160], v1 offset:1248
	scratch_load_b128 v[14:17], off, off offset:544
	v_add_f64_e32 v[169:170], v[175:176], v[173:174]
	v_add_f64_e32 v[161:162], v[161:162], v[171:172]
	v_fma_f64 v[167:168], v[4:5], v[18:19], v[167:168]
	v_fma_f64 v[173:174], v[2:3], v[18:19], -v[20:21]
	ds_load_b128 v[2:5], v1 offset:1264
	s_wait_loadcnt_dscnt 0x801
	v_mul_f64_e32 v[171:172], v[157:158], v[24:25]
	v_mul_f64_e32 v[24:25], v[159:160], v[24:25]
	scratch_load_b128 v[18:21], off, off offset:560
	s_wait_loadcnt_dscnt 0x800
	v_mul_f64_e32 v[175:176], v[2:3], v[28:29]
	v_mul_f64_e32 v[28:29], v[4:5], v[28:29]
	v_add_f64_e32 v[169:170], v[169:170], v[163:164]
	v_add_f64_e32 v[165:166], v[161:162], v[165:166]
	ds_load_b128 v[161:164], v1 offset:1280
	v_fma_f64 v[159:160], v[159:160], v[22:23], v[171:172]
	v_fma_f64 v[157:158], v[157:158], v[22:23], -v[24:25]
	scratch_load_b128 v[22:25], off, off offset:576
	v_fma_f64 v[171:172], v[4:5], v[26:27], v[175:176]
	v_add_f64_e32 v[169:170], v[169:170], v[173:174]
	v_add_f64_e32 v[165:166], v[165:166], v[167:168]
	v_fma_f64 v[173:174], v[2:3], v[26:27], -v[28:29]
	ds_load_b128 v[2:5], v1 offset:1296
	s_wait_loadcnt_dscnt 0x801
	v_mul_f64_e32 v[167:168], v[161:162], v[32:33]
	v_mul_f64_e32 v[32:33], v[163:164], v[32:33]
	scratch_load_b128 v[26:29], off, off offset:592
	s_wait_loadcnt_dscnt 0x800
	v_mul_f64_e32 v[175:176], v[2:3], v[36:37]
	v_mul_f64_e32 v[36:37], v[4:5], v[36:37]
	v_add_f64_e32 v[169:170], v[169:170], v[157:158]
	v_add_f64_e32 v[165:166], v[165:166], v[159:160]
	ds_load_b128 v[157:160], v1 offset:1312
	v_fma_f64 v[163:164], v[163:164], v[30:31], v[167:168]
	v_fma_f64 v[161:162], v[161:162], v[30:31], -v[32:33]
	scratch_load_b128 v[30:33], off, off offset:608
	v_add_f64_e32 v[167:168], v[169:170], v[173:174]
	v_add_f64_e32 v[165:166], v[165:166], v[171:172]
	v_fma_f64 v[171:172], v[4:5], v[34:35], v[175:176]
	v_fma_f64 v[173:174], v[2:3], v[34:35], -v[36:37]
	ds_load_b128 v[2:5], v1 offset:1328
	s_wait_loadcnt_dscnt 0x801
	v_mul_f64_e32 v[169:170], v[157:158], v[155:156]
	v_mul_f64_e32 v[155:156], v[159:160], v[155:156]
	scratch_load_b128 v[34:37], off, off offset:624
	s_wait_loadcnt_dscnt 0x800
	v_mul_f64_e32 v[175:176], v[2:3], v[40:41]
	v_mul_f64_e32 v[40:41], v[4:5], v[40:41]
	v_add_f64_e32 v[167:168], v[167:168], v[161:162]
	v_add_f64_e32 v[165:166], v[165:166], v[163:164]
	ds_load_b128 v[161:164], v1 offset:1344
	v_fma_f64 v[159:160], v[159:160], v[153:154], v[169:170]
	v_fma_f64 v[157:158], v[157:158], v[153:154], -v[155:156]
	scratch_load_b128 v[153:156], off, off offset:640
	v_add_f64_e32 v[167:168], v[167:168], v[173:174]
	v_add_f64_e32 v[165:166], v[165:166], v[171:172]
	v_fma_f64 v[171:172], v[4:5], v[38:39], v[175:176]
	;; [unrolled: 18-line block ×6, first 2 shown]
	v_fma_f64 v[175:176], v[2:3], v[34:35], -v[36:37]
	ds_load_b128 v[2:5], v1 offset:1488
	s_wait_loadcnt_dscnt 0x801
	v_mul_f64_e32 v[169:170], v[161:162], v[155:156]
	v_mul_f64_e32 v[171:172], v[163:164], v[155:156]
	scratch_load_b128 v[34:37], off, off offset:784
	v_add_f64_e32 v[167:168], v[167:168], v[157:158]
	v_add_f64_e32 v[159:160], v[165:166], v[159:160]
	s_wait_loadcnt_dscnt 0x800
	v_mul_f64_e32 v[165:166], v[2:3], v[40:41]
	v_mul_f64_e32 v[40:41], v[4:5], v[40:41]
	ds_load_b128 v[155:158], v1 offset:1504
	v_fma_f64 v[163:164], v[163:164], v[153:154], v[169:170]
	v_fma_f64 v[153:154], v[161:162], v[153:154], -v[171:172]
	v_add_f64_e32 v[167:168], v[167:168], v[175:176]
	v_add_f64_e32 v[169:170], v[159:160], v[173:174]
	scratch_load_b128 v[159:162], off, off offset:800
	v_fma_f64 v[173:174], v[4:5], v[38:39], v[165:166]
	v_fma_f64 v[175:176], v[2:3], v[38:39], -v[40:41]
	ds_load_b128 v[2:5], v1 offset:1520
	s_wait_loadcnt_dscnt 0x801
	v_mul_f64_e32 v[171:172], v[155:156], v[8:9]
	v_mul_f64_e32 v[8:9], v[157:158], v[8:9]
	scratch_load_b128 v[38:41], off, off offset:816
	v_add_f64_e32 v[153:154], v[167:168], v[153:154]
	v_add_f64_e32 v[167:168], v[169:170], v[163:164]
	s_wait_loadcnt_dscnt 0x800
	v_mul_f64_e32 v[169:170], v[2:3], v[12:13]
	v_mul_f64_e32 v[12:13], v[4:5], v[12:13]
	ds_load_b128 v[163:166], v1 offset:1536
	v_fma_f64 v[157:158], v[157:158], v[6:7], v[171:172]
	v_fma_f64 v[155:156], v[155:156], v[6:7], -v[8:9]
	scratch_load_b128 v[6:9], off, off offset:832
	v_add_f64_e32 v[153:154], v[153:154], v[175:176]
	v_add_f64_e32 v[167:168], v[167:168], v[173:174]
	v_fma_f64 v[169:170], v[4:5], v[10:11], v[169:170]
	v_fma_f64 v[173:174], v[2:3], v[10:11], -v[12:13]
	ds_load_b128 v[2:5], v1 offset:1552
	s_wait_loadcnt_dscnt 0x801
	v_mul_f64_e32 v[171:172], v[163:164], v[16:17]
	v_mul_f64_e32 v[16:17], v[165:166], v[16:17]
	scratch_load_b128 v[10:13], off, off offset:848
	v_add_f64_e32 v[175:176], v[153:154], v[155:156]
	v_add_f64_e32 v[157:158], v[167:168], v[157:158]
	s_wait_loadcnt_dscnt 0x800
	v_mul_f64_e32 v[167:168], v[2:3], v[20:21]
	v_mul_f64_e32 v[20:21], v[4:5], v[20:21]
	ds_load_b128 v[153:156], v1 offset:1568
	v_fma_f64 v[165:166], v[165:166], v[14:15], v[171:172]
	v_fma_f64 v[14:15], v[163:164], v[14:15], -v[16:17]
	s_wait_loadcnt_dscnt 0x700
	v_mul_f64_e32 v[163:164], v[153:154], v[24:25]
	v_mul_f64_e32 v[24:25], v[155:156], v[24:25]
	v_add_f64_e32 v[16:17], v[175:176], v[173:174]
	v_add_f64_e32 v[157:158], v[157:158], v[169:170]
	v_fma_f64 v[167:168], v[4:5], v[18:19], v[167:168]
	v_fma_f64 v[18:19], v[2:3], v[18:19], -v[20:21]
	v_fma_f64 v[155:156], v[155:156], v[22:23], v[163:164]
	v_fma_f64 v[22:23], v[153:154], v[22:23], -v[24:25]
	v_add_f64_e32 v[20:21], v[16:17], v[14:15]
	v_add_f64_e32 v[157:158], v[157:158], v[165:166]
	ds_load_b128 v[2:5], v1 offset:1584
	ds_load_b128 v[14:17], v1 offset:1600
	s_wait_loadcnt_dscnt 0x601
	v_mul_f64_e32 v[165:166], v[2:3], v[28:29]
	v_mul_f64_e32 v[28:29], v[4:5], v[28:29]
	s_wait_loadcnt_dscnt 0x500
	v_mul_f64_e32 v[24:25], v[14:15], v[32:33]
	v_mul_f64_e32 v[32:33], v[16:17], v[32:33]
	v_add_f64_e32 v[18:19], v[20:21], v[18:19]
	v_add_f64_e32 v[20:21], v[157:158], v[167:168]
	v_fma_f64 v[153:154], v[4:5], v[26:27], v[165:166]
	v_fma_f64 v[26:27], v[2:3], v[26:27], -v[28:29]
	v_fma_f64 v[16:17], v[16:17], v[30:31], v[24:25]
	v_fma_f64 v[14:15], v[14:15], v[30:31], -v[32:33]
	v_add_f64_e32 v[22:23], v[18:19], v[22:23]
	v_add_f64_e32 v[28:29], v[20:21], v[155:156]
	ds_load_b128 v[2:5], v1 offset:1616
	ds_load_b128 v[18:21], v1 offset:1632
	s_wait_loadcnt_dscnt 0x401
	v_mul_f64_e32 v[155:156], v[2:3], v[36:37]
	v_mul_f64_e32 v[36:37], v[4:5], v[36:37]
	v_add_f64_e32 v[22:23], v[22:23], v[26:27]
	v_add_f64_e32 v[24:25], v[28:29], v[153:154]
	s_wait_loadcnt_dscnt 0x300
	v_mul_f64_e32 v[26:27], v[18:19], v[161:162]
	v_mul_f64_e32 v[28:29], v[20:21], v[161:162]
	v_fma_f64 v[30:31], v[4:5], v[34:35], v[155:156]
	v_fma_f64 v[32:33], v[2:3], v[34:35], -v[36:37]
	v_add_f64_e32 v[22:23], v[22:23], v[14:15]
	v_add_f64_e32 v[24:25], v[24:25], v[16:17]
	ds_load_b128 v[2:5], v1 offset:1648
	ds_load_b128 v[14:17], v1 offset:1664
	v_fma_f64 v[20:21], v[20:21], v[159:160], v[26:27]
	v_fma_f64 v[18:19], v[18:19], v[159:160], -v[28:29]
	s_wait_loadcnt_dscnt 0x201
	v_mul_f64_e32 v[34:35], v[2:3], v[40:41]
	v_mul_f64_e32 v[36:37], v[4:5], v[40:41]
	s_wait_loadcnt_dscnt 0x100
	v_mul_f64_e32 v[26:27], v[14:15], v[8:9]
	v_mul_f64_e32 v[8:9], v[16:17], v[8:9]
	v_add_f64_e32 v[22:23], v[22:23], v[32:33]
	v_add_f64_e32 v[24:25], v[24:25], v[30:31]
	v_fma_f64 v[28:29], v[4:5], v[38:39], v[34:35]
	v_fma_f64 v[30:31], v[2:3], v[38:39], -v[36:37]
	ds_load_b128 v[2:5], v1 offset:1680
	v_fma_f64 v[16:17], v[16:17], v[6:7], v[26:27]
	v_fma_f64 v[6:7], v[14:15], v[6:7], -v[8:9]
	v_add_f64_e32 v[18:19], v[22:23], v[18:19]
	v_add_f64_e32 v[20:21], v[24:25], v[20:21]
	s_wait_loadcnt_dscnt 0x0
	v_mul_f64_e32 v[22:23], v[2:3], v[12:13]
	v_mul_f64_e32 v[12:13], v[4:5], v[12:13]
	s_delay_alu instid0(VALU_DEP_4) | instskip(NEXT) | instid1(VALU_DEP_4)
	v_add_f64_e32 v[8:9], v[18:19], v[30:31]
	v_add_f64_e32 v[14:15], v[20:21], v[28:29]
	s_delay_alu instid0(VALU_DEP_4) | instskip(NEXT) | instid1(VALU_DEP_4)
	v_fma_f64 v[4:5], v[4:5], v[10:11], v[22:23]
	v_fma_f64 v[2:3], v[2:3], v[10:11], -v[12:13]
	s_delay_alu instid0(VALU_DEP_4) | instskip(NEXT) | instid1(VALU_DEP_4)
	v_add_f64_e32 v[6:7], v[8:9], v[6:7]
	v_add_f64_e32 v[8:9], v[14:15], v[16:17]
	s_delay_alu instid0(VALU_DEP_2) | instskip(NEXT) | instid1(VALU_DEP_2)
	v_add_f64_e32 v[2:3], v[6:7], v[2:3]
	v_add_f64_e32 v[4:5], v[8:9], v[4:5]
	s_delay_alu instid0(VALU_DEP_2) | instskip(NEXT) | instid1(VALU_DEP_2)
	v_add_f64_e64 v[2:3], v[42:43], -v[2:3]
	v_add_f64_e64 v[4:5], v[44:45], -v[4:5]
	scratch_store_b128 off, v[2:5], off offset:160
	v_cmpx_lt_u32_e32 8, v0
	s_cbranch_execz .LBB116_315
; %bb.314:
	scratch_load_b128 v[5:8], off, s58
	v_dual_mov_b32 v2, v1 :: v_dual_mov_b32 v3, v1
	v_mov_b32_e32 v4, v1
	scratch_store_b128 off, v[1:4], off offset:144
	s_wait_loadcnt 0x0
	ds_store_b128 v152, v[5:8]
.LBB116_315:
	s_wait_alu 0xfffe
	s_or_b32 exec_lo, exec_lo, s0
	s_wait_storecnt_dscnt 0x0
	s_barrier_signal -1
	s_barrier_wait -1
	global_inv scope:SCOPE_SE
	s_clause 0x8
	scratch_load_b128 v[2:5], off, off offset:160
	scratch_load_b128 v[6:9], off, off offset:176
	;; [unrolled: 1-line block ×9, first 2 shown]
	ds_load_b128 v[42:45], v1 offset:992
	ds_load_b128 v[38:41], v1 offset:1008
	s_clause 0x1
	scratch_load_b128 v[153:156], off, off offset:144
	scratch_load_b128 v[157:160], off, off offset:304
	s_mov_b32 s0, exec_lo
	s_wait_loadcnt_dscnt 0xa01
	v_mul_f64_e32 v[161:162], v[44:45], v[4:5]
	v_mul_f64_e32 v[4:5], v[42:43], v[4:5]
	s_wait_loadcnt_dscnt 0x900
	v_mul_f64_e32 v[165:166], v[38:39], v[8:9]
	v_mul_f64_e32 v[8:9], v[40:41], v[8:9]
	s_delay_alu instid0(VALU_DEP_4) | instskip(NEXT) | instid1(VALU_DEP_4)
	v_fma_f64 v[167:168], v[42:43], v[2:3], -v[161:162]
	v_fma_f64 v[169:170], v[44:45], v[2:3], v[4:5]
	ds_load_b128 v[2:5], v1 offset:1024
	ds_load_b128 v[161:164], v1 offset:1040
	scratch_load_b128 v[42:45], off, off offset:320
	v_fma_f64 v[40:41], v[40:41], v[6:7], v[165:166]
	v_fma_f64 v[38:39], v[38:39], v[6:7], -v[8:9]
	scratch_load_b128 v[6:9], off, off offset:336
	s_wait_loadcnt_dscnt 0xa01
	v_mul_f64_e32 v[171:172], v[2:3], v[12:13]
	v_mul_f64_e32 v[12:13], v[4:5], v[12:13]
	v_add_f64_e32 v[165:166], 0, v[167:168]
	v_add_f64_e32 v[167:168], 0, v[169:170]
	s_wait_loadcnt_dscnt 0x900
	v_mul_f64_e32 v[169:170], v[161:162], v[16:17]
	v_mul_f64_e32 v[16:17], v[163:164], v[16:17]
	v_fma_f64 v[171:172], v[4:5], v[10:11], v[171:172]
	v_fma_f64 v[173:174], v[2:3], v[10:11], -v[12:13]
	ds_load_b128 v[2:5], v1 offset:1056
	scratch_load_b128 v[10:13], off, off offset:352
	v_add_f64_e32 v[165:166], v[165:166], v[38:39]
	v_add_f64_e32 v[167:168], v[167:168], v[40:41]
	ds_load_b128 v[38:41], v1 offset:1072
	v_fma_f64 v[163:164], v[163:164], v[14:15], v[169:170]
	v_fma_f64 v[161:162], v[161:162], v[14:15], -v[16:17]
	scratch_load_b128 v[14:17], off, off offset:368
	s_wait_loadcnt_dscnt 0xa01
	v_mul_f64_e32 v[175:176], v[2:3], v[20:21]
	v_mul_f64_e32 v[20:21], v[4:5], v[20:21]
	s_wait_loadcnt_dscnt 0x900
	v_mul_f64_e32 v[169:170], v[38:39], v[24:25]
	v_mul_f64_e32 v[24:25], v[40:41], v[24:25]
	v_add_f64_e32 v[165:166], v[165:166], v[173:174]
	v_add_f64_e32 v[167:168], v[167:168], v[171:172]
	v_fma_f64 v[171:172], v[4:5], v[18:19], v[175:176]
	v_fma_f64 v[173:174], v[2:3], v[18:19], -v[20:21]
	ds_load_b128 v[2:5], v1 offset:1088
	scratch_load_b128 v[18:21], off, off offset:384
	v_fma_f64 v[40:41], v[40:41], v[22:23], v[169:170]
	v_fma_f64 v[38:39], v[38:39], v[22:23], -v[24:25]
	scratch_load_b128 v[22:25], off, off offset:400
	v_add_f64_e32 v[165:166], v[165:166], v[161:162]
	v_add_f64_e32 v[167:168], v[167:168], v[163:164]
	ds_load_b128 v[161:164], v1 offset:1104
	s_wait_loadcnt_dscnt 0xa01
	v_mul_f64_e32 v[175:176], v[2:3], v[28:29]
	v_mul_f64_e32 v[28:29], v[4:5], v[28:29]
	s_wait_loadcnt_dscnt 0x900
	v_mul_f64_e32 v[169:170], v[161:162], v[32:33]
	v_mul_f64_e32 v[32:33], v[163:164], v[32:33]
	v_add_f64_e32 v[165:166], v[165:166], v[173:174]
	v_add_f64_e32 v[167:168], v[167:168], v[171:172]
	v_fma_f64 v[171:172], v[4:5], v[26:27], v[175:176]
	v_fma_f64 v[173:174], v[2:3], v[26:27], -v[28:29]
	ds_load_b128 v[2:5], v1 offset:1120
	scratch_load_b128 v[26:29], off, off offset:416
	v_fma_f64 v[163:164], v[163:164], v[30:31], v[169:170]
	v_fma_f64 v[161:162], v[161:162], v[30:31], -v[32:33]
	scratch_load_b128 v[30:33], off, off offset:432
	v_add_f64_e32 v[165:166], v[165:166], v[38:39]
	v_add_f64_e32 v[167:168], v[167:168], v[40:41]
	ds_load_b128 v[38:41], v1 offset:1136
	s_wait_loadcnt_dscnt 0xa01
	v_mul_f64_e32 v[175:176], v[2:3], v[36:37]
	v_mul_f64_e32 v[36:37], v[4:5], v[36:37]
	s_wait_loadcnt_dscnt 0x800
	v_mul_f64_e32 v[169:170], v[38:39], v[159:160]
	v_add_f64_e32 v[165:166], v[165:166], v[173:174]
	v_add_f64_e32 v[167:168], v[167:168], v[171:172]
	v_mul_f64_e32 v[171:172], v[40:41], v[159:160]
	v_fma_f64 v[173:174], v[4:5], v[34:35], v[175:176]
	v_fma_f64 v[175:176], v[2:3], v[34:35], -v[36:37]
	ds_load_b128 v[2:5], v1 offset:1152
	scratch_load_b128 v[34:37], off, off offset:448
	v_fma_f64 v[169:170], v[40:41], v[157:158], v[169:170]
	v_add_f64_e32 v[165:166], v[165:166], v[161:162]
	v_add_f64_e32 v[163:164], v[167:168], v[163:164]
	ds_load_b128 v[159:162], v1 offset:1168
	v_fma_f64 v[157:158], v[38:39], v[157:158], -v[171:172]
	scratch_load_b128 v[38:41], off, off offset:464
	s_wait_loadcnt_dscnt 0x901
	v_mul_f64_e32 v[167:168], v[2:3], v[44:45]
	v_mul_f64_e32 v[44:45], v[4:5], v[44:45]
	s_wait_loadcnt_dscnt 0x800
	v_mul_f64_e32 v[171:172], v[159:160], v[8:9]
	v_mul_f64_e32 v[8:9], v[161:162], v[8:9]
	v_add_f64_e32 v[165:166], v[165:166], v[175:176]
	v_add_f64_e32 v[163:164], v[163:164], v[173:174]
	v_fma_f64 v[167:168], v[4:5], v[42:43], v[167:168]
	v_fma_f64 v[173:174], v[2:3], v[42:43], -v[44:45]
	ds_load_b128 v[2:5], v1 offset:1184
	scratch_load_b128 v[42:45], off, off offset:480
	v_fma_f64 v[161:162], v[161:162], v[6:7], v[171:172]
	v_fma_f64 v[159:160], v[159:160], v[6:7], -v[8:9]
	scratch_load_b128 v[6:9], off, off offset:496
	v_add_f64_e32 v[157:158], v[165:166], v[157:158]
	v_add_f64_e32 v[169:170], v[163:164], v[169:170]
	ds_load_b128 v[163:166], v1 offset:1200
	s_wait_loadcnt_dscnt 0x901
	v_mul_f64_e32 v[175:176], v[2:3], v[12:13]
	v_mul_f64_e32 v[12:13], v[4:5], v[12:13]
	v_add_f64_e32 v[157:158], v[157:158], v[173:174]
	v_add_f64_e32 v[167:168], v[169:170], v[167:168]
	s_wait_loadcnt_dscnt 0x800
	v_mul_f64_e32 v[169:170], v[163:164], v[16:17]
	v_mul_f64_e32 v[16:17], v[165:166], v[16:17]
	v_fma_f64 v[171:172], v[4:5], v[10:11], v[175:176]
	v_fma_f64 v[173:174], v[2:3], v[10:11], -v[12:13]
	ds_load_b128 v[2:5], v1 offset:1216
	scratch_load_b128 v[10:13], off, off offset:512
	v_add_f64_e32 v[175:176], v[157:158], v[159:160]
	v_add_f64_e32 v[161:162], v[167:168], v[161:162]
	ds_load_b128 v[157:160], v1 offset:1232
	s_wait_loadcnt_dscnt 0x801
	v_mul_f64_e32 v[167:168], v[2:3], v[20:21]
	v_mul_f64_e32 v[20:21], v[4:5], v[20:21]
	v_fma_f64 v[165:166], v[165:166], v[14:15], v[169:170]
	v_fma_f64 v[163:164], v[163:164], v[14:15], -v[16:17]
	scratch_load_b128 v[14:17], off, off offset:528
	v_add_f64_e32 v[169:170], v[175:176], v[173:174]
	v_add_f64_e32 v[161:162], v[161:162], v[171:172]
	s_wait_loadcnt_dscnt 0x800
	v_mul_f64_e32 v[171:172], v[157:158], v[24:25]
	v_mul_f64_e32 v[24:25], v[159:160], v[24:25]
	v_fma_f64 v[167:168], v[4:5], v[18:19], v[167:168]
	v_fma_f64 v[173:174], v[2:3], v[18:19], -v[20:21]
	ds_load_b128 v[2:5], v1 offset:1248
	scratch_load_b128 v[18:21], off, off offset:544
	v_add_f64_e32 v[169:170], v[169:170], v[163:164]
	v_add_f64_e32 v[165:166], v[161:162], v[165:166]
	ds_load_b128 v[161:164], v1 offset:1264
	s_wait_loadcnt_dscnt 0x801
	v_mul_f64_e32 v[175:176], v[2:3], v[28:29]
	v_mul_f64_e32 v[28:29], v[4:5], v[28:29]
	v_fma_f64 v[159:160], v[159:160], v[22:23], v[171:172]
	v_fma_f64 v[157:158], v[157:158], v[22:23], -v[24:25]
	scratch_load_b128 v[22:25], off, off offset:560
	;; [unrolled: 18-line block ×4, first 2 shown]
	s_wait_loadcnt_dscnt 0x800
	v_mul_f64_e32 v[169:170], v[161:162], v[8:9]
	v_mul_f64_e32 v[8:9], v[163:164], v[8:9]
	v_add_f64_e32 v[167:168], v[167:168], v[173:174]
	v_add_f64_e32 v[165:166], v[165:166], v[171:172]
	v_fma_f64 v[171:172], v[4:5], v[42:43], v[175:176]
	v_fma_f64 v[173:174], v[2:3], v[42:43], -v[44:45]
	ds_load_b128 v[2:5], v1 offset:1344
	scratch_load_b128 v[42:45], off, off offset:640
	v_fma_f64 v[163:164], v[163:164], v[6:7], v[169:170]
	v_fma_f64 v[161:162], v[161:162], v[6:7], -v[8:9]
	scratch_load_b128 v[6:9], off, off offset:656
	v_add_f64_e32 v[167:168], v[167:168], v[157:158]
	v_add_f64_e32 v[165:166], v[165:166], v[159:160]
	ds_load_b128 v[157:160], v1 offset:1360
	s_wait_loadcnt_dscnt 0x901
	v_mul_f64_e32 v[175:176], v[2:3], v[12:13]
	v_mul_f64_e32 v[12:13], v[4:5], v[12:13]
	s_wait_loadcnt_dscnt 0x800
	v_mul_f64_e32 v[169:170], v[157:158], v[16:17]
	v_mul_f64_e32 v[16:17], v[159:160], v[16:17]
	v_add_f64_e32 v[167:168], v[167:168], v[173:174]
	v_add_f64_e32 v[165:166], v[165:166], v[171:172]
	v_fma_f64 v[171:172], v[4:5], v[10:11], v[175:176]
	v_fma_f64 v[173:174], v[2:3], v[10:11], -v[12:13]
	ds_load_b128 v[2:5], v1 offset:1376
	scratch_load_b128 v[10:13], off, off offset:672
	v_fma_f64 v[159:160], v[159:160], v[14:15], v[169:170]
	v_fma_f64 v[157:158], v[157:158], v[14:15], -v[16:17]
	scratch_load_b128 v[14:17], off, off offset:688
	v_add_f64_e32 v[167:168], v[167:168], v[161:162]
	v_add_f64_e32 v[165:166], v[165:166], v[163:164]
	ds_load_b128 v[161:164], v1 offset:1392
	s_wait_loadcnt_dscnt 0x901
	v_mul_f64_e32 v[175:176], v[2:3], v[20:21]
	v_mul_f64_e32 v[20:21], v[4:5], v[20:21]
	;; [unrolled: 18-line block ×7, first 2 shown]
	s_wait_loadcnt_dscnt 0x800
	v_mul_f64_e32 v[169:170], v[157:158], v[24:25]
	v_mul_f64_e32 v[24:25], v[159:160], v[24:25]
	v_add_f64_e32 v[167:168], v[167:168], v[173:174]
	v_add_f64_e32 v[165:166], v[165:166], v[171:172]
	v_fma_f64 v[171:172], v[4:5], v[18:19], v[175:176]
	v_fma_f64 v[173:174], v[2:3], v[18:19], -v[20:21]
	ds_load_b128 v[2:5], v1 offset:1568
	ds_load_b128 v[18:21], v1 offset:1584
	v_fma_f64 v[159:160], v[159:160], v[22:23], v[169:170]
	v_fma_f64 v[22:23], v[157:158], v[22:23], -v[24:25]
	v_add_f64_e32 v[161:162], v[167:168], v[161:162]
	v_add_f64_e32 v[163:164], v[165:166], v[163:164]
	s_wait_loadcnt_dscnt 0x701
	v_mul_f64_e32 v[165:166], v[2:3], v[28:29]
	v_mul_f64_e32 v[28:29], v[4:5], v[28:29]
	s_delay_alu instid0(VALU_DEP_4) | instskip(NEXT) | instid1(VALU_DEP_4)
	v_add_f64_e32 v[24:25], v[161:162], v[173:174]
	v_add_f64_e32 v[157:158], v[163:164], v[171:172]
	s_wait_loadcnt_dscnt 0x600
	v_mul_f64_e32 v[161:162], v[18:19], v[32:33]
	v_mul_f64_e32 v[32:33], v[20:21], v[32:33]
	v_fma_f64 v[163:164], v[4:5], v[26:27], v[165:166]
	v_fma_f64 v[26:27], v[2:3], v[26:27], -v[28:29]
	v_add_f64_e32 v[28:29], v[24:25], v[22:23]
	v_add_f64_e32 v[157:158], v[157:158], v[159:160]
	ds_load_b128 v[2:5], v1 offset:1600
	ds_load_b128 v[22:25], v1 offset:1616
	v_fma_f64 v[20:21], v[20:21], v[30:31], v[161:162]
	v_fma_f64 v[18:19], v[18:19], v[30:31], -v[32:33]
	s_wait_loadcnt_dscnt 0x501
	v_mul_f64_e32 v[159:160], v[2:3], v[36:37]
	v_mul_f64_e32 v[36:37], v[4:5], v[36:37]
	s_wait_loadcnt_dscnt 0x400
	v_mul_f64_e32 v[30:31], v[22:23], v[40:41]
	v_mul_f64_e32 v[32:33], v[24:25], v[40:41]
	v_add_f64_e32 v[26:27], v[28:29], v[26:27]
	v_add_f64_e32 v[28:29], v[157:158], v[163:164]
	v_fma_f64 v[40:41], v[4:5], v[34:35], v[159:160]
	v_fma_f64 v[34:35], v[2:3], v[34:35], -v[36:37]
	v_fma_f64 v[24:25], v[24:25], v[38:39], v[30:31]
	v_fma_f64 v[22:23], v[22:23], v[38:39], -v[32:33]
	v_add_f64_e32 v[26:27], v[26:27], v[18:19]
	v_add_f64_e32 v[28:29], v[28:29], v[20:21]
	ds_load_b128 v[2:5], v1 offset:1632
	ds_load_b128 v[18:21], v1 offset:1648
	s_wait_loadcnt_dscnt 0x301
	v_mul_f64_e32 v[36:37], v[2:3], v[44:45]
	v_mul_f64_e32 v[44:45], v[4:5], v[44:45]
	s_wait_loadcnt_dscnt 0x200
	v_mul_f64_e32 v[30:31], v[18:19], v[8:9]
	v_mul_f64_e32 v[8:9], v[20:21], v[8:9]
	v_add_f64_e32 v[26:27], v[26:27], v[34:35]
	v_add_f64_e32 v[28:29], v[28:29], v[40:41]
	v_fma_f64 v[32:33], v[4:5], v[42:43], v[36:37]
	v_fma_f64 v[34:35], v[2:3], v[42:43], -v[44:45]
	v_fma_f64 v[20:21], v[20:21], v[6:7], v[30:31]
	v_fma_f64 v[6:7], v[18:19], v[6:7], -v[8:9]
	v_add_f64_e32 v[26:27], v[26:27], v[22:23]
	v_add_f64_e32 v[28:29], v[28:29], v[24:25]
	ds_load_b128 v[2:5], v1 offset:1664
	ds_load_b128 v[22:25], v1 offset:1680
	s_wait_loadcnt_dscnt 0x101
	v_mul_f64_e32 v[36:37], v[2:3], v[12:13]
	v_mul_f64_e32 v[12:13], v[4:5], v[12:13]
	v_add_f64_e32 v[8:9], v[26:27], v[34:35]
	v_add_f64_e32 v[18:19], v[28:29], v[32:33]
	s_wait_loadcnt_dscnt 0x0
	v_mul_f64_e32 v[26:27], v[22:23], v[16:17]
	v_mul_f64_e32 v[16:17], v[24:25], v[16:17]
	v_fma_f64 v[4:5], v[4:5], v[10:11], v[36:37]
	v_fma_f64 v[1:2], v[2:3], v[10:11], -v[12:13]
	v_add_f64_e32 v[6:7], v[8:9], v[6:7]
	v_add_f64_e32 v[8:9], v[18:19], v[20:21]
	v_fma_f64 v[10:11], v[24:25], v[14:15], v[26:27]
	v_fma_f64 v[12:13], v[22:23], v[14:15], -v[16:17]
	s_delay_alu instid0(VALU_DEP_4) | instskip(NEXT) | instid1(VALU_DEP_4)
	v_add_f64_e32 v[1:2], v[6:7], v[1:2]
	v_add_f64_e32 v[3:4], v[8:9], v[4:5]
	s_delay_alu instid0(VALU_DEP_2) | instskip(NEXT) | instid1(VALU_DEP_2)
	v_add_f64_e32 v[1:2], v[1:2], v[12:13]
	v_add_f64_e32 v[3:4], v[3:4], v[10:11]
	s_delay_alu instid0(VALU_DEP_2) | instskip(NEXT) | instid1(VALU_DEP_2)
	v_add_f64_e64 v[1:2], v[153:154], -v[1:2]
	v_add_f64_e64 v[3:4], v[155:156], -v[3:4]
	scratch_store_b128 off, v[1:4], off offset:144
	v_cmpx_lt_u32_e32 7, v0
	s_cbranch_execz .LBB116_317
; %bb.316:
	scratch_load_b128 v[1:4], off, s59
	v_mov_b32_e32 v5, 0
	s_delay_alu instid0(VALU_DEP_1)
	v_dual_mov_b32 v6, v5 :: v_dual_mov_b32 v7, v5
	v_mov_b32_e32 v8, v5
	scratch_store_b128 off, v[5:8], off offset:128
	s_wait_loadcnt 0x0
	ds_store_b128 v152, v[1:4]
.LBB116_317:
	s_wait_alu 0xfffe
	s_or_b32 exec_lo, exec_lo, s0
	s_wait_storecnt_dscnt 0x0
	s_barrier_signal -1
	s_barrier_wait -1
	global_inv scope:SCOPE_SE
	s_clause 0x7
	scratch_load_b128 v[2:5], off, off offset:144
	scratch_load_b128 v[6:9], off, off offset:160
	;; [unrolled: 1-line block ×8, first 2 shown]
	v_mov_b32_e32 v1, 0
	s_mov_b32 s0, exec_lo
	ds_load_b128 v[38:41], v1 offset:976
	s_clause 0x1
	scratch_load_b128 v[34:37], off, off offset:272
	scratch_load_b128 v[42:45], off, off offset:128
	ds_load_b128 v[153:156], v1 offset:992
	scratch_load_b128 v[157:160], off, off offset:288
	s_wait_loadcnt_dscnt 0xa01
	v_mul_f64_e32 v[161:162], v[40:41], v[4:5]
	v_mul_f64_e32 v[4:5], v[38:39], v[4:5]
	s_delay_alu instid0(VALU_DEP_2) | instskip(NEXT) | instid1(VALU_DEP_2)
	v_fma_f64 v[167:168], v[38:39], v[2:3], -v[161:162]
	v_fma_f64 v[169:170], v[40:41], v[2:3], v[4:5]
	ds_load_b128 v[2:5], v1 offset:1008
	s_wait_loadcnt_dscnt 0x901
	v_mul_f64_e32 v[165:166], v[153:154], v[8:9]
	v_mul_f64_e32 v[8:9], v[155:156], v[8:9]
	scratch_load_b128 v[38:41], off, off offset:304
	ds_load_b128 v[161:164], v1 offset:1024
	s_wait_loadcnt_dscnt 0x901
	v_mul_f64_e32 v[171:172], v[2:3], v[12:13]
	v_mul_f64_e32 v[12:13], v[4:5], v[12:13]
	v_fma_f64 v[155:156], v[155:156], v[6:7], v[165:166]
	v_fma_f64 v[153:154], v[153:154], v[6:7], -v[8:9]
	v_add_f64_e32 v[165:166], 0, v[167:168]
	v_add_f64_e32 v[167:168], 0, v[169:170]
	scratch_load_b128 v[6:9], off, off offset:320
	v_fma_f64 v[171:172], v[4:5], v[10:11], v[171:172]
	v_fma_f64 v[173:174], v[2:3], v[10:11], -v[12:13]
	ds_load_b128 v[2:5], v1 offset:1040
	s_wait_loadcnt_dscnt 0x901
	v_mul_f64_e32 v[169:170], v[161:162], v[16:17]
	v_mul_f64_e32 v[16:17], v[163:164], v[16:17]
	scratch_load_b128 v[10:13], off, off offset:336
	v_add_f64_e32 v[165:166], v[165:166], v[153:154]
	v_add_f64_e32 v[167:168], v[167:168], v[155:156]
	s_wait_loadcnt_dscnt 0x900
	v_mul_f64_e32 v[175:176], v[2:3], v[20:21]
	v_mul_f64_e32 v[20:21], v[4:5], v[20:21]
	ds_load_b128 v[153:156], v1 offset:1056
	v_fma_f64 v[163:164], v[163:164], v[14:15], v[169:170]
	v_fma_f64 v[161:162], v[161:162], v[14:15], -v[16:17]
	scratch_load_b128 v[14:17], off, off offset:352
	v_add_f64_e32 v[165:166], v[165:166], v[173:174]
	v_add_f64_e32 v[167:168], v[167:168], v[171:172]
	v_fma_f64 v[171:172], v[4:5], v[18:19], v[175:176]
	v_fma_f64 v[173:174], v[2:3], v[18:19], -v[20:21]
	ds_load_b128 v[2:5], v1 offset:1072
	s_wait_loadcnt_dscnt 0x901
	v_mul_f64_e32 v[169:170], v[153:154], v[24:25]
	v_mul_f64_e32 v[24:25], v[155:156], v[24:25]
	scratch_load_b128 v[18:21], off, off offset:368
	s_wait_loadcnt_dscnt 0x900
	v_mul_f64_e32 v[175:176], v[2:3], v[28:29]
	v_mul_f64_e32 v[28:29], v[4:5], v[28:29]
	v_add_f64_e32 v[165:166], v[165:166], v[161:162]
	v_add_f64_e32 v[167:168], v[167:168], v[163:164]
	ds_load_b128 v[161:164], v1 offset:1088
	v_fma_f64 v[155:156], v[155:156], v[22:23], v[169:170]
	v_fma_f64 v[153:154], v[153:154], v[22:23], -v[24:25]
	scratch_load_b128 v[22:25], off, off offset:384
	v_add_f64_e32 v[165:166], v[165:166], v[173:174]
	v_add_f64_e32 v[167:168], v[167:168], v[171:172]
	v_fma_f64 v[171:172], v[4:5], v[26:27], v[175:176]
	v_fma_f64 v[173:174], v[2:3], v[26:27], -v[28:29]
	ds_load_b128 v[2:5], v1 offset:1104
	s_wait_loadcnt_dscnt 0x901
	v_mul_f64_e32 v[169:170], v[161:162], v[32:33]
	v_mul_f64_e32 v[32:33], v[163:164], v[32:33]
	scratch_load_b128 v[26:29], off, off offset:400
	s_wait_loadcnt_dscnt 0x900
	v_mul_f64_e32 v[175:176], v[2:3], v[36:37]
	v_mul_f64_e32 v[36:37], v[4:5], v[36:37]
	v_add_f64_e32 v[165:166], v[165:166], v[153:154]
	v_add_f64_e32 v[167:168], v[167:168], v[155:156]
	ds_load_b128 v[153:156], v1 offset:1120
	v_fma_f64 v[163:164], v[163:164], v[30:31], v[169:170]
	v_fma_f64 v[161:162], v[161:162], v[30:31], -v[32:33]
	scratch_load_b128 v[30:33], off, off offset:416
	v_add_f64_e32 v[165:166], v[165:166], v[173:174]
	v_add_f64_e32 v[167:168], v[167:168], v[171:172]
	v_fma_f64 v[173:174], v[4:5], v[34:35], v[175:176]
	v_fma_f64 v[175:176], v[2:3], v[34:35], -v[36:37]
	ds_load_b128 v[2:5], v1 offset:1136
	s_wait_loadcnt_dscnt 0x801
	v_mul_f64_e32 v[169:170], v[153:154], v[159:160]
	v_mul_f64_e32 v[171:172], v[155:156], v[159:160]
	scratch_load_b128 v[34:37], off, off offset:432
	v_add_f64_e32 v[165:166], v[165:166], v[161:162]
	v_add_f64_e32 v[163:164], v[167:168], v[163:164]
	ds_load_b128 v[159:162], v1 offset:1152
	v_fma_f64 v[169:170], v[155:156], v[157:158], v[169:170]
	v_fma_f64 v[157:158], v[153:154], v[157:158], -v[171:172]
	scratch_load_b128 v[153:156], off, off offset:448
	s_wait_loadcnt_dscnt 0x901
	v_mul_f64_e32 v[167:168], v[2:3], v[40:41]
	v_mul_f64_e32 v[40:41], v[4:5], v[40:41]
	v_add_f64_e32 v[165:166], v[165:166], v[175:176]
	v_add_f64_e32 v[163:164], v[163:164], v[173:174]
	s_delay_alu instid0(VALU_DEP_4) | instskip(NEXT) | instid1(VALU_DEP_4)
	v_fma_f64 v[167:168], v[4:5], v[38:39], v[167:168]
	v_fma_f64 v[173:174], v[2:3], v[38:39], -v[40:41]
	ds_load_b128 v[2:5], v1 offset:1168
	s_wait_loadcnt_dscnt 0x801
	v_mul_f64_e32 v[171:172], v[159:160], v[8:9]
	v_mul_f64_e32 v[8:9], v[161:162], v[8:9]
	scratch_load_b128 v[38:41], off, off offset:464
	s_wait_loadcnt_dscnt 0x800
	v_mul_f64_e32 v[175:176], v[2:3], v[12:13]
	v_add_f64_e32 v[157:158], v[165:166], v[157:158]
	v_add_f64_e32 v[169:170], v[163:164], v[169:170]
	v_mul_f64_e32 v[12:13], v[4:5], v[12:13]
	ds_load_b128 v[163:166], v1 offset:1184
	v_fma_f64 v[161:162], v[161:162], v[6:7], v[171:172]
	v_fma_f64 v[159:160], v[159:160], v[6:7], -v[8:9]
	scratch_load_b128 v[6:9], off, off offset:480
	v_fma_f64 v[171:172], v[4:5], v[10:11], v[175:176]
	v_add_f64_e32 v[157:158], v[157:158], v[173:174]
	v_add_f64_e32 v[167:168], v[169:170], v[167:168]
	v_fma_f64 v[173:174], v[2:3], v[10:11], -v[12:13]
	ds_load_b128 v[2:5], v1 offset:1200
	s_wait_loadcnt_dscnt 0x801
	v_mul_f64_e32 v[169:170], v[163:164], v[16:17]
	v_mul_f64_e32 v[16:17], v[165:166], v[16:17]
	scratch_load_b128 v[10:13], off, off offset:496
	v_add_f64_e32 v[175:176], v[157:158], v[159:160]
	v_add_f64_e32 v[161:162], v[167:168], v[161:162]
	s_wait_loadcnt_dscnt 0x800
	v_mul_f64_e32 v[167:168], v[2:3], v[20:21]
	v_mul_f64_e32 v[20:21], v[4:5], v[20:21]
	v_fma_f64 v[165:166], v[165:166], v[14:15], v[169:170]
	v_fma_f64 v[163:164], v[163:164], v[14:15], -v[16:17]
	ds_load_b128 v[157:160], v1 offset:1216
	scratch_load_b128 v[14:17], off, off offset:512
	v_add_f64_e32 v[169:170], v[175:176], v[173:174]
	v_add_f64_e32 v[161:162], v[161:162], v[171:172]
	v_fma_f64 v[167:168], v[4:5], v[18:19], v[167:168]
	v_fma_f64 v[173:174], v[2:3], v[18:19], -v[20:21]
	ds_load_b128 v[2:5], v1 offset:1232
	s_wait_loadcnt_dscnt 0x801
	v_mul_f64_e32 v[171:172], v[157:158], v[24:25]
	v_mul_f64_e32 v[24:25], v[159:160], v[24:25]
	scratch_load_b128 v[18:21], off, off offset:528
	s_wait_loadcnt_dscnt 0x800
	v_mul_f64_e32 v[175:176], v[2:3], v[28:29]
	v_mul_f64_e32 v[28:29], v[4:5], v[28:29]
	v_add_f64_e32 v[169:170], v[169:170], v[163:164]
	v_add_f64_e32 v[165:166], v[161:162], v[165:166]
	ds_load_b128 v[161:164], v1 offset:1248
	v_fma_f64 v[159:160], v[159:160], v[22:23], v[171:172]
	v_fma_f64 v[157:158], v[157:158], v[22:23], -v[24:25]
	scratch_load_b128 v[22:25], off, off offset:544
	v_fma_f64 v[171:172], v[4:5], v[26:27], v[175:176]
	v_add_f64_e32 v[169:170], v[169:170], v[173:174]
	v_add_f64_e32 v[165:166], v[165:166], v[167:168]
	v_fma_f64 v[173:174], v[2:3], v[26:27], -v[28:29]
	ds_load_b128 v[2:5], v1 offset:1264
	s_wait_loadcnt_dscnt 0x801
	v_mul_f64_e32 v[167:168], v[161:162], v[32:33]
	v_mul_f64_e32 v[32:33], v[163:164], v[32:33]
	scratch_load_b128 v[26:29], off, off offset:560
	s_wait_loadcnt_dscnt 0x800
	v_mul_f64_e32 v[175:176], v[2:3], v[36:37]
	v_mul_f64_e32 v[36:37], v[4:5], v[36:37]
	v_add_f64_e32 v[169:170], v[169:170], v[157:158]
	v_add_f64_e32 v[165:166], v[165:166], v[159:160]
	ds_load_b128 v[157:160], v1 offset:1280
	v_fma_f64 v[163:164], v[163:164], v[30:31], v[167:168]
	v_fma_f64 v[161:162], v[161:162], v[30:31], -v[32:33]
	scratch_load_b128 v[30:33], off, off offset:576
	v_add_f64_e32 v[167:168], v[169:170], v[173:174]
	v_add_f64_e32 v[165:166], v[165:166], v[171:172]
	v_fma_f64 v[171:172], v[4:5], v[34:35], v[175:176]
	v_fma_f64 v[173:174], v[2:3], v[34:35], -v[36:37]
	ds_load_b128 v[2:5], v1 offset:1296
	s_wait_loadcnt_dscnt 0x801
	v_mul_f64_e32 v[169:170], v[157:158], v[155:156]
	v_mul_f64_e32 v[155:156], v[159:160], v[155:156]
	scratch_load_b128 v[34:37], off, off offset:592
	s_wait_loadcnt_dscnt 0x800
	v_mul_f64_e32 v[175:176], v[2:3], v[40:41]
	v_mul_f64_e32 v[40:41], v[4:5], v[40:41]
	v_add_f64_e32 v[167:168], v[167:168], v[161:162]
	v_add_f64_e32 v[165:166], v[165:166], v[163:164]
	ds_load_b128 v[161:164], v1 offset:1312
	v_fma_f64 v[159:160], v[159:160], v[153:154], v[169:170]
	v_fma_f64 v[157:158], v[157:158], v[153:154], -v[155:156]
	scratch_load_b128 v[153:156], off, off offset:608
	v_add_f64_e32 v[167:168], v[167:168], v[173:174]
	v_add_f64_e32 v[165:166], v[165:166], v[171:172]
	v_fma_f64 v[171:172], v[4:5], v[38:39], v[175:176]
	;; [unrolled: 18-line block ×6, first 2 shown]
	v_fma_f64 v[175:176], v[2:3], v[34:35], -v[36:37]
	ds_load_b128 v[2:5], v1 offset:1456
	s_wait_loadcnt_dscnt 0x801
	v_mul_f64_e32 v[169:170], v[161:162], v[155:156]
	v_mul_f64_e32 v[171:172], v[163:164], v[155:156]
	scratch_load_b128 v[34:37], off, off offset:752
	v_add_f64_e32 v[167:168], v[167:168], v[157:158]
	v_add_f64_e32 v[159:160], v[165:166], v[159:160]
	s_wait_loadcnt_dscnt 0x800
	v_mul_f64_e32 v[165:166], v[2:3], v[40:41]
	v_mul_f64_e32 v[40:41], v[4:5], v[40:41]
	ds_load_b128 v[155:158], v1 offset:1472
	v_fma_f64 v[163:164], v[163:164], v[153:154], v[169:170]
	v_fma_f64 v[153:154], v[161:162], v[153:154], -v[171:172]
	v_add_f64_e32 v[167:168], v[167:168], v[175:176]
	v_add_f64_e32 v[169:170], v[159:160], v[173:174]
	scratch_load_b128 v[159:162], off, off offset:768
	v_fma_f64 v[173:174], v[4:5], v[38:39], v[165:166]
	v_fma_f64 v[175:176], v[2:3], v[38:39], -v[40:41]
	ds_load_b128 v[2:5], v1 offset:1488
	s_wait_loadcnt_dscnt 0x801
	v_mul_f64_e32 v[171:172], v[155:156], v[8:9]
	v_mul_f64_e32 v[8:9], v[157:158], v[8:9]
	scratch_load_b128 v[38:41], off, off offset:784
	v_add_f64_e32 v[153:154], v[167:168], v[153:154]
	v_add_f64_e32 v[167:168], v[169:170], v[163:164]
	s_wait_loadcnt_dscnt 0x800
	v_mul_f64_e32 v[169:170], v[2:3], v[12:13]
	v_mul_f64_e32 v[12:13], v[4:5], v[12:13]
	ds_load_b128 v[163:166], v1 offset:1504
	v_fma_f64 v[157:158], v[157:158], v[6:7], v[171:172]
	v_fma_f64 v[155:156], v[155:156], v[6:7], -v[8:9]
	scratch_load_b128 v[6:9], off, off offset:800
	v_add_f64_e32 v[153:154], v[153:154], v[175:176]
	v_add_f64_e32 v[167:168], v[167:168], v[173:174]
	v_fma_f64 v[169:170], v[4:5], v[10:11], v[169:170]
	v_fma_f64 v[173:174], v[2:3], v[10:11], -v[12:13]
	ds_load_b128 v[2:5], v1 offset:1520
	s_wait_loadcnt_dscnt 0x801
	v_mul_f64_e32 v[171:172], v[163:164], v[16:17]
	v_mul_f64_e32 v[16:17], v[165:166], v[16:17]
	scratch_load_b128 v[10:13], off, off offset:816
	v_add_f64_e32 v[175:176], v[153:154], v[155:156]
	v_add_f64_e32 v[157:158], v[167:168], v[157:158]
	s_wait_loadcnt_dscnt 0x800
	v_mul_f64_e32 v[167:168], v[2:3], v[20:21]
	v_mul_f64_e32 v[20:21], v[4:5], v[20:21]
	ds_load_b128 v[153:156], v1 offset:1536
	v_fma_f64 v[165:166], v[165:166], v[14:15], v[171:172]
	v_fma_f64 v[163:164], v[163:164], v[14:15], -v[16:17]
	scratch_load_b128 v[14:17], off, off offset:832
	v_add_f64_e32 v[171:172], v[175:176], v[173:174]
	v_add_f64_e32 v[157:158], v[157:158], v[169:170]
	v_fma_f64 v[167:168], v[4:5], v[18:19], v[167:168]
	v_fma_f64 v[173:174], v[2:3], v[18:19], -v[20:21]
	ds_load_b128 v[2:5], v1 offset:1552
	s_wait_loadcnt_dscnt 0x801
	v_mul_f64_e32 v[169:170], v[153:154], v[24:25]
	v_mul_f64_e32 v[24:25], v[155:156], v[24:25]
	scratch_load_b128 v[18:21], off, off offset:848
	s_wait_loadcnt_dscnt 0x800
	v_mul_f64_e32 v[175:176], v[2:3], v[28:29]
	v_mul_f64_e32 v[28:29], v[4:5], v[28:29]
	v_add_f64_e32 v[171:172], v[171:172], v[163:164]
	v_add_f64_e32 v[157:158], v[157:158], v[165:166]
	ds_load_b128 v[163:166], v1 offset:1568
	v_fma_f64 v[155:156], v[155:156], v[22:23], v[169:170]
	v_fma_f64 v[22:23], v[153:154], v[22:23], -v[24:25]
	v_add_f64_e32 v[24:25], v[171:172], v[173:174]
	v_add_f64_e32 v[153:154], v[157:158], v[167:168]
	s_wait_loadcnt_dscnt 0x700
	v_mul_f64_e32 v[157:158], v[163:164], v[32:33]
	v_mul_f64_e32 v[32:33], v[165:166], v[32:33]
	v_fma_f64 v[167:168], v[4:5], v[26:27], v[175:176]
	v_fma_f64 v[26:27], v[2:3], v[26:27], -v[28:29]
	v_add_f64_e32 v[28:29], v[24:25], v[22:23]
	v_add_f64_e32 v[153:154], v[153:154], v[155:156]
	ds_load_b128 v[2:5], v1 offset:1584
	ds_load_b128 v[22:25], v1 offset:1600
	v_fma_f64 v[157:158], v[165:166], v[30:31], v[157:158]
	v_fma_f64 v[30:31], v[163:164], v[30:31], -v[32:33]
	s_wait_loadcnt_dscnt 0x601
	v_mul_f64_e32 v[155:156], v[2:3], v[36:37]
	v_mul_f64_e32 v[36:37], v[4:5], v[36:37]
	v_add_f64_e32 v[26:27], v[28:29], v[26:27]
	v_add_f64_e32 v[28:29], v[153:154], v[167:168]
	s_wait_loadcnt_dscnt 0x500
	v_mul_f64_e32 v[32:33], v[22:23], v[161:162]
	v_mul_f64_e32 v[153:154], v[24:25], v[161:162]
	v_fma_f64 v[155:156], v[4:5], v[34:35], v[155:156]
	v_fma_f64 v[34:35], v[2:3], v[34:35], -v[36:37]
	v_add_f64_e32 v[30:31], v[26:27], v[30:31]
	v_add_f64_e32 v[36:37], v[28:29], v[157:158]
	ds_load_b128 v[2:5], v1 offset:1616
	ds_load_b128 v[26:29], v1 offset:1632
	v_fma_f64 v[24:25], v[24:25], v[159:160], v[32:33]
	v_fma_f64 v[22:23], v[22:23], v[159:160], -v[153:154]
	s_wait_loadcnt_dscnt 0x401
	v_mul_f64_e32 v[157:158], v[2:3], v[40:41]
	v_mul_f64_e32 v[40:41], v[4:5], v[40:41]
	;; [unrolled: 16-line block ×3, first 2 shown]
	v_add_f64_e32 v[8:9], v[30:31], v[38:39]
	v_add_f64_e32 v[26:27], v[32:33], v[36:37]
	s_wait_loadcnt_dscnt 0x100
	v_mul_f64_e32 v[30:31], v[22:23], v[16:17]
	v_mul_f64_e32 v[16:17], v[24:25], v[16:17]
	v_fma_f64 v[32:33], v[4:5], v[10:11], v[40:41]
	v_fma_f64 v[10:11], v[2:3], v[10:11], -v[12:13]
	ds_load_b128 v[2:5], v1 offset:1680
	v_add_f64_e32 v[6:7], v[8:9], v[6:7]
	v_add_f64_e32 v[8:9], v[26:27], v[28:29]
	v_fma_f64 v[24:25], v[24:25], v[14:15], v[30:31]
	v_fma_f64 v[14:15], v[22:23], v[14:15], -v[16:17]
	s_wait_loadcnt_dscnt 0x0
	v_mul_f64_e32 v[12:13], v[2:3], v[20:21]
	v_mul_f64_e32 v[20:21], v[4:5], v[20:21]
	v_add_f64_e32 v[6:7], v[6:7], v[10:11]
	v_add_f64_e32 v[8:9], v[8:9], v[32:33]
	s_delay_alu instid0(VALU_DEP_4) | instskip(NEXT) | instid1(VALU_DEP_4)
	v_fma_f64 v[4:5], v[4:5], v[18:19], v[12:13]
	v_fma_f64 v[2:3], v[2:3], v[18:19], -v[20:21]
	s_delay_alu instid0(VALU_DEP_4) | instskip(NEXT) | instid1(VALU_DEP_4)
	v_add_f64_e32 v[6:7], v[6:7], v[14:15]
	v_add_f64_e32 v[8:9], v[8:9], v[24:25]
	s_delay_alu instid0(VALU_DEP_2) | instskip(NEXT) | instid1(VALU_DEP_2)
	v_add_f64_e32 v[2:3], v[6:7], v[2:3]
	v_add_f64_e32 v[4:5], v[8:9], v[4:5]
	s_delay_alu instid0(VALU_DEP_2) | instskip(NEXT) | instid1(VALU_DEP_2)
	v_add_f64_e64 v[2:3], v[42:43], -v[2:3]
	v_add_f64_e64 v[4:5], v[44:45], -v[4:5]
	scratch_store_b128 off, v[2:5], off offset:128
	v_cmpx_lt_u32_e32 6, v0
	s_cbranch_execz .LBB116_319
; %bb.318:
	scratch_load_b128 v[5:8], off, s60
	v_dual_mov_b32 v2, v1 :: v_dual_mov_b32 v3, v1
	v_mov_b32_e32 v4, v1
	scratch_store_b128 off, v[1:4], off offset:112
	s_wait_loadcnt 0x0
	ds_store_b128 v152, v[5:8]
.LBB116_319:
	s_wait_alu 0xfffe
	s_or_b32 exec_lo, exec_lo, s0
	s_wait_storecnt_dscnt 0x0
	s_barrier_signal -1
	s_barrier_wait -1
	global_inv scope:SCOPE_SE
	s_clause 0x8
	scratch_load_b128 v[2:5], off, off offset:128
	scratch_load_b128 v[6:9], off, off offset:144
	;; [unrolled: 1-line block ×9, first 2 shown]
	ds_load_b128 v[42:45], v1 offset:960
	ds_load_b128 v[38:41], v1 offset:976
	s_clause 0x1
	scratch_load_b128 v[153:156], off, off offset:112
	scratch_load_b128 v[157:160], off, off offset:272
	s_mov_b32 s0, exec_lo
	s_wait_loadcnt_dscnt 0xa01
	v_mul_f64_e32 v[161:162], v[44:45], v[4:5]
	v_mul_f64_e32 v[4:5], v[42:43], v[4:5]
	s_wait_loadcnt_dscnt 0x900
	v_mul_f64_e32 v[165:166], v[38:39], v[8:9]
	v_mul_f64_e32 v[8:9], v[40:41], v[8:9]
	s_delay_alu instid0(VALU_DEP_4) | instskip(NEXT) | instid1(VALU_DEP_4)
	v_fma_f64 v[167:168], v[42:43], v[2:3], -v[161:162]
	v_fma_f64 v[169:170], v[44:45], v[2:3], v[4:5]
	ds_load_b128 v[2:5], v1 offset:992
	ds_load_b128 v[161:164], v1 offset:1008
	scratch_load_b128 v[42:45], off, off offset:288
	v_fma_f64 v[40:41], v[40:41], v[6:7], v[165:166]
	v_fma_f64 v[38:39], v[38:39], v[6:7], -v[8:9]
	scratch_load_b128 v[6:9], off, off offset:304
	s_wait_loadcnt_dscnt 0xa01
	v_mul_f64_e32 v[171:172], v[2:3], v[12:13]
	v_mul_f64_e32 v[12:13], v[4:5], v[12:13]
	v_add_f64_e32 v[165:166], 0, v[167:168]
	v_add_f64_e32 v[167:168], 0, v[169:170]
	s_wait_loadcnt_dscnt 0x900
	v_mul_f64_e32 v[169:170], v[161:162], v[16:17]
	v_mul_f64_e32 v[16:17], v[163:164], v[16:17]
	v_fma_f64 v[171:172], v[4:5], v[10:11], v[171:172]
	v_fma_f64 v[173:174], v[2:3], v[10:11], -v[12:13]
	ds_load_b128 v[2:5], v1 offset:1024
	scratch_load_b128 v[10:13], off, off offset:320
	v_add_f64_e32 v[165:166], v[165:166], v[38:39]
	v_add_f64_e32 v[167:168], v[167:168], v[40:41]
	ds_load_b128 v[38:41], v1 offset:1040
	v_fma_f64 v[163:164], v[163:164], v[14:15], v[169:170]
	v_fma_f64 v[161:162], v[161:162], v[14:15], -v[16:17]
	scratch_load_b128 v[14:17], off, off offset:336
	s_wait_loadcnt_dscnt 0xa01
	v_mul_f64_e32 v[175:176], v[2:3], v[20:21]
	v_mul_f64_e32 v[20:21], v[4:5], v[20:21]
	s_wait_loadcnt_dscnt 0x900
	v_mul_f64_e32 v[169:170], v[38:39], v[24:25]
	v_mul_f64_e32 v[24:25], v[40:41], v[24:25]
	v_add_f64_e32 v[165:166], v[165:166], v[173:174]
	v_add_f64_e32 v[167:168], v[167:168], v[171:172]
	v_fma_f64 v[171:172], v[4:5], v[18:19], v[175:176]
	v_fma_f64 v[173:174], v[2:3], v[18:19], -v[20:21]
	ds_load_b128 v[2:5], v1 offset:1056
	scratch_load_b128 v[18:21], off, off offset:352
	v_fma_f64 v[40:41], v[40:41], v[22:23], v[169:170]
	v_fma_f64 v[38:39], v[38:39], v[22:23], -v[24:25]
	scratch_load_b128 v[22:25], off, off offset:368
	v_add_f64_e32 v[165:166], v[165:166], v[161:162]
	v_add_f64_e32 v[167:168], v[167:168], v[163:164]
	ds_load_b128 v[161:164], v1 offset:1072
	s_wait_loadcnt_dscnt 0xa01
	v_mul_f64_e32 v[175:176], v[2:3], v[28:29]
	v_mul_f64_e32 v[28:29], v[4:5], v[28:29]
	s_wait_loadcnt_dscnt 0x900
	v_mul_f64_e32 v[169:170], v[161:162], v[32:33]
	v_mul_f64_e32 v[32:33], v[163:164], v[32:33]
	v_add_f64_e32 v[165:166], v[165:166], v[173:174]
	v_add_f64_e32 v[167:168], v[167:168], v[171:172]
	v_fma_f64 v[171:172], v[4:5], v[26:27], v[175:176]
	v_fma_f64 v[173:174], v[2:3], v[26:27], -v[28:29]
	ds_load_b128 v[2:5], v1 offset:1088
	scratch_load_b128 v[26:29], off, off offset:384
	v_fma_f64 v[163:164], v[163:164], v[30:31], v[169:170]
	v_fma_f64 v[161:162], v[161:162], v[30:31], -v[32:33]
	scratch_load_b128 v[30:33], off, off offset:400
	v_add_f64_e32 v[165:166], v[165:166], v[38:39]
	v_add_f64_e32 v[167:168], v[167:168], v[40:41]
	ds_load_b128 v[38:41], v1 offset:1104
	s_wait_loadcnt_dscnt 0xa01
	v_mul_f64_e32 v[175:176], v[2:3], v[36:37]
	v_mul_f64_e32 v[36:37], v[4:5], v[36:37]
	s_wait_loadcnt_dscnt 0x800
	v_mul_f64_e32 v[169:170], v[38:39], v[159:160]
	v_add_f64_e32 v[165:166], v[165:166], v[173:174]
	v_add_f64_e32 v[167:168], v[167:168], v[171:172]
	v_mul_f64_e32 v[171:172], v[40:41], v[159:160]
	v_fma_f64 v[173:174], v[4:5], v[34:35], v[175:176]
	v_fma_f64 v[175:176], v[2:3], v[34:35], -v[36:37]
	ds_load_b128 v[2:5], v1 offset:1120
	scratch_load_b128 v[34:37], off, off offset:416
	v_fma_f64 v[169:170], v[40:41], v[157:158], v[169:170]
	v_add_f64_e32 v[165:166], v[165:166], v[161:162]
	v_add_f64_e32 v[163:164], v[167:168], v[163:164]
	ds_load_b128 v[159:162], v1 offset:1136
	v_fma_f64 v[157:158], v[38:39], v[157:158], -v[171:172]
	scratch_load_b128 v[38:41], off, off offset:432
	s_wait_loadcnt_dscnt 0x901
	v_mul_f64_e32 v[167:168], v[2:3], v[44:45]
	v_mul_f64_e32 v[44:45], v[4:5], v[44:45]
	s_wait_loadcnt_dscnt 0x800
	v_mul_f64_e32 v[171:172], v[159:160], v[8:9]
	v_mul_f64_e32 v[8:9], v[161:162], v[8:9]
	v_add_f64_e32 v[165:166], v[165:166], v[175:176]
	v_add_f64_e32 v[163:164], v[163:164], v[173:174]
	v_fma_f64 v[167:168], v[4:5], v[42:43], v[167:168]
	v_fma_f64 v[173:174], v[2:3], v[42:43], -v[44:45]
	ds_load_b128 v[2:5], v1 offset:1152
	scratch_load_b128 v[42:45], off, off offset:448
	v_fma_f64 v[161:162], v[161:162], v[6:7], v[171:172]
	v_fma_f64 v[159:160], v[159:160], v[6:7], -v[8:9]
	scratch_load_b128 v[6:9], off, off offset:464
	v_add_f64_e32 v[157:158], v[165:166], v[157:158]
	v_add_f64_e32 v[169:170], v[163:164], v[169:170]
	ds_load_b128 v[163:166], v1 offset:1168
	s_wait_loadcnt_dscnt 0x901
	v_mul_f64_e32 v[175:176], v[2:3], v[12:13]
	v_mul_f64_e32 v[12:13], v[4:5], v[12:13]
	v_add_f64_e32 v[157:158], v[157:158], v[173:174]
	v_add_f64_e32 v[167:168], v[169:170], v[167:168]
	s_wait_loadcnt_dscnt 0x800
	v_mul_f64_e32 v[169:170], v[163:164], v[16:17]
	v_mul_f64_e32 v[16:17], v[165:166], v[16:17]
	v_fma_f64 v[171:172], v[4:5], v[10:11], v[175:176]
	v_fma_f64 v[173:174], v[2:3], v[10:11], -v[12:13]
	ds_load_b128 v[2:5], v1 offset:1184
	scratch_load_b128 v[10:13], off, off offset:480
	v_add_f64_e32 v[175:176], v[157:158], v[159:160]
	v_add_f64_e32 v[161:162], v[167:168], v[161:162]
	ds_load_b128 v[157:160], v1 offset:1200
	s_wait_loadcnt_dscnt 0x801
	v_mul_f64_e32 v[167:168], v[2:3], v[20:21]
	v_mul_f64_e32 v[20:21], v[4:5], v[20:21]
	v_fma_f64 v[165:166], v[165:166], v[14:15], v[169:170]
	v_fma_f64 v[163:164], v[163:164], v[14:15], -v[16:17]
	scratch_load_b128 v[14:17], off, off offset:496
	v_add_f64_e32 v[169:170], v[175:176], v[173:174]
	v_add_f64_e32 v[161:162], v[161:162], v[171:172]
	s_wait_loadcnt_dscnt 0x800
	v_mul_f64_e32 v[171:172], v[157:158], v[24:25]
	v_mul_f64_e32 v[24:25], v[159:160], v[24:25]
	v_fma_f64 v[167:168], v[4:5], v[18:19], v[167:168]
	v_fma_f64 v[173:174], v[2:3], v[18:19], -v[20:21]
	ds_load_b128 v[2:5], v1 offset:1216
	scratch_load_b128 v[18:21], off, off offset:512
	v_add_f64_e32 v[169:170], v[169:170], v[163:164]
	v_add_f64_e32 v[165:166], v[161:162], v[165:166]
	ds_load_b128 v[161:164], v1 offset:1232
	s_wait_loadcnt_dscnt 0x801
	v_mul_f64_e32 v[175:176], v[2:3], v[28:29]
	v_mul_f64_e32 v[28:29], v[4:5], v[28:29]
	v_fma_f64 v[159:160], v[159:160], v[22:23], v[171:172]
	v_fma_f64 v[157:158], v[157:158], v[22:23], -v[24:25]
	scratch_load_b128 v[22:25], off, off offset:528
	;; [unrolled: 18-line block ×4, first 2 shown]
	s_wait_loadcnt_dscnt 0x800
	v_mul_f64_e32 v[169:170], v[161:162], v[8:9]
	v_mul_f64_e32 v[8:9], v[163:164], v[8:9]
	v_add_f64_e32 v[167:168], v[167:168], v[173:174]
	v_add_f64_e32 v[165:166], v[165:166], v[171:172]
	v_fma_f64 v[171:172], v[4:5], v[42:43], v[175:176]
	v_fma_f64 v[173:174], v[2:3], v[42:43], -v[44:45]
	ds_load_b128 v[2:5], v1 offset:1312
	scratch_load_b128 v[42:45], off, off offset:608
	v_fma_f64 v[163:164], v[163:164], v[6:7], v[169:170]
	v_fma_f64 v[161:162], v[161:162], v[6:7], -v[8:9]
	scratch_load_b128 v[6:9], off, off offset:624
	v_add_f64_e32 v[167:168], v[167:168], v[157:158]
	v_add_f64_e32 v[165:166], v[165:166], v[159:160]
	ds_load_b128 v[157:160], v1 offset:1328
	s_wait_loadcnt_dscnt 0x901
	v_mul_f64_e32 v[175:176], v[2:3], v[12:13]
	v_mul_f64_e32 v[12:13], v[4:5], v[12:13]
	s_wait_loadcnt_dscnt 0x800
	v_mul_f64_e32 v[169:170], v[157:158], v[16:17]
	v_mul_f64_e32 v[16:17], v[159:160], v[16:17]
	v_add_f64_e32 v[167:168], v[167:168], v[173:174]
	v_add_f64_e32 v[165:166], v[165:166], v[171:172]
	v_fma_f64 v[171:172], v[4:5], v[10:11], v[175:176]
	v_fma_f64 v[173:174], v[2:3], v[10:11], -v[12:13]
	ds_load_b128 v[2:5], v1 offset:1344
	scratch_load_b128 v[10:13], off, off offset:640
	v_fma_f64 v[159:160], v[159:160], v[14:15], v[169:170]
	v_fma_f64 v[157:158], v[157:158], v[14:15], -v[16:17]
	scratch_load_b128 v[14:17], off, off offset:656
	v_add_f64_e32 v[167:168], v[167:168], v[161:162]
	v_add_f64_e32 v[165:166], v[165:166], v[163:164]
	ds_load_b128 v[161:164], v1 offset:1360
	s_wait_loadcnt_dscnt 0x901
	v_mul_f64_e32 v[175:176], v[2:3], v[20:21]
	v_mul_f64_e32 v[20:21], v[4:5], v[20:21]
	;; [unrolled: 18-line block ×8, first 2 shown]
	s_wait_loadcnt_dscnt 0x800
	v_mul_f64_e32 v[169:170], v[161:162], v[32:33]
	v_mul_f64_e32 v[32:33], v[163:164], v[32:33]
	v_add_f64_e32 v[167:168], v[167:168], v[173:174]
	v_add_f64_e32 v[165:166], v[165:166], v[171:172]
	v_fma_f64 v[171:172], v[4:5], v[26:27], v[175:176]
	v_fma_f64 v[173:174], v[2:3], v[26:27], -v[28:29]
	ds_load_b128 v[2:5], v1 offset:1568
	ds_load_b128 v[26:29], v1 offset:1584
	v_fma_f64 v[163:164], v[163:164], v[30:31], v[169:170]
	v_fma_f64 v[30:31], v[161:162], v[30:31], -v[32:33]
	v_add_f64_e32 v[157:158], v[167:168], v[157:158]
	v_add_f64_e32 v[159:160], v[165:166], v[159:160]
	s_wait_loadcnt_dscnt 0x701
	v_mul_f64_e32 v[165:166], v[2:3], v[36:37]
	v_mul_f64_e32 v[36:37], v[4:5], v[36:37]
	s_delay_alu instid0(VALU_DEP_4) | instskip(NEXT) | instid1(VALU_DEP_4)
	v_add_f64_e32 v[32:33], v[157:158], v[173:174]
	v_add_f64_e32 v[157:158], v[159:160], v[171:172]
	s_wait_loadcnt_dscnt 0x600
	v_mul_f64_e32 v[159:160], v[26:27], v[40:41]
	v_mul_f64_e32 v[40:41], v[28:29], v[40:41]
	v_fma_f64 v[161:162], v[4:5], v[34:35], v[165:166]
	v_fma_f64 v[34:35], v[2:3], v[34:35], -v[36:37]
	v_add_f64_e32 v[36:37], v[32:33], v[30:31]
	v_add_f64_e32 v[157:158], v[157:158], v[163:164]
	ds_load_b128 v[2:5], v1 offset:1600
	ds_load_b128 v[30:33], v1 offset:1616
	v_fma_f64 v[28:29], v[28:29], v[38:39], v[159:160]
	v_fma_f64 v[26:27], v[26:27], v[38:39], -v[40:41]
	s_wait_loadcnt_dscnt 0x501
	v_mul_f64_e32 v[163:164], v[2:3], v[44:45]
	v_mul_f64_e32 v[44:45], v[4:5], v[44:45]
	s_wait_loadcnt_dscnt 0x400
	v_mul_f64_e32 v[38:39], v[30:31], v[8:9]
	v_mul_f64_e32 v[8:9], v[32:33], v[8:9]
	v_add_f64_e32 v[34:35], v[36:37], v[34:35]
	v_add_f64_e32 v[36:37], v[157:158], v[161:162]
	v_fma_f64 v[40:41], v[4:5], v[42:43], v[163:164]
	v_fma_f64 v[42:43], v[2:3], v[42:43], -v[44:45]
	v_fma_f64 v[32:33], v[32:33], v[6:7], v[38:39]
	v_fma_f64 v[6:7], v[30:31], v[6:7], -v[8:9]
	v_add_f64_e32 v[34:35], v[34:35], v[26:27]
	v_add_f64_e32 v[36:37], v[36:37], v[28:29]
	ds_load_b128 v[2:5], v1 offset:1632
	ds_load_b128 v[26:29], v1 offset:1648
	s_wait_loadcnt_dscnt 0x301
	v_mul_f64_e32 v[44:45], v[2:3], v[12:13]
	v_mul_f64_e32 v[12:13], v[4:5], v[12:13]
	v_add_f64_e32 v[8:9], v[34:35], v[42:43]
	v_add_f64_e32 v[30:31], v[36:37], v[40:41]
	s_wait_loadcnt_dscnt 0x200
	v_mul_f64_e32 v[34:35], v[26:27], v[16:17]
	v_mul_f64_e32 v[16:17], v[28:29], v[16:17]
	v_fma_f64 v[36:37], v[4:5], v[10:11], v[44:45]
	v_fma_f64 v[10:11], v[2:3], v[10:11], -v[12:13]
	v_add_f64_e32 v[12:13], v[8:9], v[6:7]
	v_add_f64_e32 v[30:31], v[30:31], v[32:33]
	ds_load_b128 v[2:5], v1 offset:1664
	ds_load_b128 v[6:9], v1 offset:1680
	v_fma_f64 v[28:29], v[28:29], v[14:15], v[34:35]
	v_fma_f64 v[14:15], v[26:27], v[14:15], -v[16:17]
	s_wait_loadcnt_dscnt 0x101
	v_mul_f64_e32 v[32:33], v[2:3], v[20:21]
	v_mul_f64_e32 v[20:21], v[4:5], v[20:21]
	s_wait_loadcnt_dscnt 0x0
	v_mul_f64_e32 v[16:17], v[6:7], v[24:25]
	v_mul_f64_e32 v[24:25], v[8:9], v[24:25]
	v_add_f64_e32 v[10:11], v[12:13], v[10:11]
	v_add_f64_e32 v[12:13], v[30:31], v[36:37]
	v_fma_f64 v[4:5], v[4:5], v[18:19], v[32:33]
	v_fma_f64 v[1:2], v[2:3], v[18:19], -v[20:21]
	v_fma_f64 v[8:9], v[8:9], v[22:23], v[16:17]
	v_fma_f64 v[6:7], v[6:7], v[22:23], -v[24:25]
	v_add_f64_e32 v[10:11], v[10:11], v[14:15]
	v_add_f64_e32 v[12:13], v[12:13], v[28:29]
	s_delay_alu instid0(VALU_DEP_2) | instskip(NEXT) | instid1(VALU_DEP_2)
	v_add_f64_e32 v[1:2], v[10:11], v[1:2]
	v_add_f64_e32 v[3:4], v[12:13], v[4:5]
	s_delay_alu instid0(VALU_DEP_2) | instskip(NEXT) | instid1(VALU_DEP_2)
	;; [unrolled: 3-line block ×3, first 2 shown]
	v_add_f64_e64 v[1:2], v[153:154], -v[1:2]
	v_add_f64_e64 v[3:4], v[155:156], -v[3:4]
	scratch_store_b128 off, v[1:4], off offset:112
	v_cmpx_lt_u32_e32 5, v0
	s_cbranch_execz .LBB116_321
; %bb.320:
	scratch_load_b128 v[1:4], off, s61
	v_mov_b32_e32 v5, 0
	s_delay_alu instid0(VALU_DEP_1)
	v_dual_mov_b32 v6, v5 :: v_dual_mov_b32 v7, v5
	v_mov_b32_e32 v8, v5
	scratch_store_b128 off, v[5:8], off offset:96
	s_wait_loadcnt 0x0
	ds_store_b128 v152, v[1:4]
.LBB116_321:
	s_wait_alu 0xfffe
	s_or_b32 exec_lo, exec_lo, s0
	s_wait_storecnt_dscnt 0x0
	s_barrier_signal -1
	s_barrier_wait -1
	global_inv scope:SCOPE_SE
	s_clause 0x7
	scratch_load_b128 v[2:5], off, off offset:112
	scratch_load_b128 v[6:9], off, off offset:128
	;; [unrolled: 1-line block ×8, first 2 shown]
	v_mov_b32_e32 v1, 0
	s_mov_b32 s0, exec_lo
	ds_load_b128 v[38:41], v1 offset:944
	s_clause 0x1
	scratch_load_b128 v[34:37], off, off offset:240
	scratch_load_b128 v[42:45], off, off offset:96
	ds_load_b128 v[153:156], v1 offset:960
	scratch_load_b128 v[157:160], off, off offset:256
	s_wait_loadcnt_dscnt 0xa01
	v_mul_f64_e32 v[161:162], v[40:41], v[4:5]
	v_mul_f64_e32 v[4:5], v[38:39], v[4:5]
	s_delay_alu instid0(VALU_DEP_2) | instskip(NEXT) | instid1(VALU_DEP_2)
	v_fma_f64 v[167:168], v[38:39], v[2:3], -v[161:162]
	v_fma_f64 v[169:170], v[40:41], v[2:3], v[4:5]
	ds_load_b128 v[2:5], v1 offset:976
	s_wait_loadcnt_dscnt 0x901
	v_mul_f64_e32 v[165:166], v[153:154], v[8:9]
	v_mul_f64_e32 v[8:9], v[155:156], v[8:9]
	scratch_load_b128 v[38:41], off, off offset:272
	ds_load_b128 v[161:164], v1 offset:992
	s_wait_loadcnt_dscnt 0x901
	v_mul_f64_e32 v[171:172], v[2:3], v[12:13]
	v_mul_f64_e32 v[12:13], v[4:5], v[12:13]
	v_fma_f64 v[155:156], v[155:156], v[6:7], v[165:166]
	v_fma_f64 v[153:154], v[153:154], v[6:7], -v[8:9]
	v_add_f64_e32 v[165:166], 0, v[167:168]
	v_add_f64_e32 v[167:168], 0, v[169:170]
	scratch_load_b128 v[6:9], off, off offset:288
	v_fma_f64 v[171:172], v[4:5], v[10:11], v[171:172]
	v_fma_f64 v[173:174], v[2:3], v[10:11], -v[12:13]
	ds_load_b128 v[2:5], v1 offset:1008
	s_wait_loadcnt_dscnt 0x901
	v_mul_f64_e32 v[169:170], v[161:162], v[16:17]
	v_mul_f64_e32 v[16:17], v[163:164], v[16:17]
	scratch_load_b128 v[10:13], off, off offset:304
	v_add_f64_e32 v[165:166], v[165:166], v[153:154]
	v_add_f64_e32 v[167:168], v[167:168], v[155:156]
	s_wait_loadcnt_dscnt 0x900
	v_mul_f64_e32 v[175:176], v[2:3], v[20:21]
	v_mul_f64_e32 v[20:21], v[4:5], v[20:21]
	ds_load_b128 v[153:156], v1 offset:1024
	v_fma_f64 v[163:164], v[163:164], v[14:15], v[169:170]
	v_fma_f64 v[161:162], v[161:162], v[14:15], -v[16:17]
	scratch_load_b128 v[14:17], off, off offset:320
	v_add_f64_e32 v[165:166], v[165:166], v[173:174]
	v_add_f64_e32 v[167:168], v[167:168], v[171:172]
	v_fma_f64 v[171:172], v[4:5], v[18:19], v[175:176]
	v_fma_f64 v[173:174], v[2:3], v[18:19], -v[20:21]
	ds_load_b128 v[2:5], v1 offset:1040
	s_wait_loadcnt_dscnt 0x901
	v_mul_f64_e32 v[169:170], v[153:154], v[24:25]
	v_mul_f64_e32 v[24:25], v[155:156], v[24:25]
	scratch_load_b128 v[18:21], off, off offset:336
	s_wait_loadcnt_dscnt 0x900
	v_mul_f64_e32 v[175:176], v[2:3], v[28:29]
	v_mul_f64_e32 v[28:29], v[4:5], v[28:29]
	v_add_f64_e32 v[165:166], v[165:166], v[161:162]
	v_add_f64_e32 v[167:168], v[167:168], v[163:164]
	ds_load_b128 v[161:164], v1 offset:1056
	v_fma_f64 v[155:156], v[155:156], v[22:23], v[169:170]
	v_fma_f64 v[153:154], v[153:154], v[22:23], -v[24:25]
	scratch_load_b128 v[22:25], off, off offset:352
	v_add_f64_e32 v[165:166], v[165:166], v[173:174]
	v_add_f64_e32 v[167:168], v[167:168], v[171:172]
	v_fma_f64 v[171:172], v[4:5], v[26:27], v[175:176]
	v_fma_f64 v[173:174], v[2:3], v[26:27], -v[28:29]
	ds_load_b128 v[2:5], v1 offset:1072
	s_wait_loadcnt_dscnt 0x901
	v_mul_f64_e32 v[169:170], v[161:162], v[32:33]
	v_mul_f64_e32 v[32:33], v[163:164], v[32:33]
	scratch_load_b128 v[26:29], off, off offset:368
	s_wait_loadcnt_dscnt 0x900
	v_mul_f64_e32 v[175:176], v[2:3], v[36:37]
	v_mul_f64_e32 v[36:37], v[4:5], v[36:37]
	v_add_f64_e32 v[165:166], v[165:166], v[153:154]
	v_add_f64_e32 v[167:168], v[167:168], v[155:156]
	ds_load_b128 v[153:156], v1 offset:1088
	v_fma_f64 v[163:164], v[163:164], v[30:31], v[169:170]
	v_fma_f64 v[161:162], v[161:162], v[30:31], -v[32:33]
	scratch_load_b128 v[30:33], off, off offset:384
	v_add_f64_e32 v[165:166], v[165:166], v[173:174]
	v_add_f64_e32 v[167:168], v[167:168], v[171:172]
	v_fma_f64 v[173:174], v[4:5], v[34:35], v[175:176]
	v_fma_f64 v[175:176], v[2:3], v[34:35], -v[36:37]
	ds_load_b128 v[2:5], v1 offset:1104
	s_wait_loadcnt_dscnt 0x801
	v_mul_f64_e32 v[169:170], v[153:154], v[159:160]
	v_mul_f64_e32 v[171:172], v[155:156], v[159:160]
	scratch_load_b128 v[34:37], off, off offset:400
	v_add_f64_e32 v[165:166], v[165:166], v[161:162]
	v_add_f64_e32 v[163:164], v[167:168], v[163:164]
	ds_load_b128 v[159:162], v1 offset:1120
	v_fma_f64 v[169:170], v[155:156], v[157:158], v[169:170]
	v_fma_f64 v[157:158], v[153:154], v[157:158], -v[171:172]
	scratch_load_b128 v[153:156], off, off offset:416
	s_wait_loadcnt_dscnt 0x901
	v_mul_f64_e32 v[167:168], v[2:3], v[40:41]
	v_mul_f64_e32 v[40:41], v[4:5], v[40:41]
	v_add_f64_e32 v[165:166], v[165:166], v[175:176]
	v_add_f64_e32 v[163:164], v[163:164], v[173:174]
	s_delay_alu instid0(VALU_DEP_4) | instskip(NEXT) | instid1(VALU_DEP_4)
	v_fma_f64 v[167:168], v[4:5], v[38:39], v[167:168]
	v_fma_f64 v[173:174], v[2:3], v[38:39], -v[40:41]
	ds_load_b128 v[2:5], v1 offset:1136
	s_wait_loadcnt_dscnt 0x801
	v_mul_f64_e32 v[171:172], v[159:160], v[8:9]
	v_mul_f64_e32 v[8:9], v[161:162], v[8:9]
	scratch_load_b128 v[38:41], off, off offset:432
	s_wait_loadcnt_dscnt 0x800
	v_mul_f64_e32 v[175:176], v[2:3], v[12:13]
	v_add_f64_e32 v[157:158], v[165:166], v[157:158]
	v_add_f64_e32 v[169:170], v[163:164], v[169:170]
	v_mul_f64_e32 v[12:13], v[4:5], v[12:13]
	ds_load_b128 v[163:166], v1 offset:1152
	v_fma_f64 v[161:162], v[161:162], v[6:7], v[171:172]
	v_fma_f64 v[159:160], v[159:160], v[6:7], -v[8:9]
	scratch_load_b128 v[6:9], off, off offset:448
	v_fma_f64 v[171:172], v[4:5], v[10:11], v[175:176]
	v_add_f64_e32 v[157:158], v[157:158], v[173:174]
	v_add_f64_e32 v[167:168], v[169:170], v[167:168]
	v_fma_f64 v[173:174], v[2:3], v[10:11], -v[12:13]
	ds_load_b128 v[2:5], v1 offset:1168
	s_wait_loadcnt_dscnt 0x801
	v_mul_f64_e32 v[169:170], v[163:164], v[16:17]
	v_mul_f64_e32 v[16:17], v[165:166], v[16:17]
	scratch_load_b128 v[10:13], off, off offset:464
	v_add_f64_e32 v[175:176], v[157:158], v[159:160]
	v_add_f64_e32 v[161:162], v[167:168], v[161:162]
	s_wait_loadcnt_dscnt 0x800
	v_mul_f64_e32 v[167:168], v[2:3], v[20:21]
	v_mul_f64_e32 v[20:21], v[4:5], v[20:21]
	v_fma_f64 v[165:166], v[165:166], v[14:15], v[169:170]
	v_fma_f64 v[163:164], v[163:164], v[14:15], -v[16:17]
	ds_load_b128 v[157:160], v1 offset:1184
	scratch_load_b128 v[14:17], off, off offset:480
	v_add_f64_e32 v[169:170], v[175:176], v[173:174]
	v_add_f64_e32 v[161:162], v[161:162], v[171:172]
	v_fma_f64 v[167:168], v[4:5], v[18:19], v[167:168]
	v_fma_f64 v[173:174], v[2:3], v[18:19], -v[20:21]
	ds_load_b128 v[2:5], v1 offset:1200
	s_wait_loadcnt_dscnt 0x801
	v_mul_f64_e32 v[171:172], v[157:158], v[24:25]
	v_mul_f64_e32 v[24:25], v[159:160], v[24:25]
	scratch_load_b128 v[18:21], off, off offset:496
	s_wait_loadcnt_dscnt 0x800
	v_mul_f64_e32 v[175:176], v[2:3], v[28:29]
	v_mul_f64_e32 v[28:29], v[4:5], v[28:29]
	v_add_f64_e32 v[169:170], v[169:170], v[163:164]
	v_add_f64_e32 v[165:166], v[161:162], v[165:166]
	ds_load_b128 v[161:164], v1 offset:1216
	v_fma_f64 v[159:160], v[159:160], v[22:23], v[171:172]
	v_fma_f64 v[157:158], v[157:158], v[22:23], -v[24:25]
	scratch_load_b128 v[22:25], off, off offset:512
	v_fma_f64 v[171:172], v[4:5], v[26:27], v[175:176]
	v_add_f64_e32 v[169:170], v[169:170], v[173:174]
	v_add_f64_e32 v[165:166], v[165:166], v[167:168]
	v_fma_f64 v[173:174], v[2:3], v[26:27], -v[28:29]
	ds_load_b128 v[2:5], v1 offset:1232
	s_wait_loadcnt_dscnt 0x801
	v_mul_f64_e32 v[167:168], v[161:162], v[32:33]
	v_mul_f64_e32 v[32:33], v[163:164], v[32:33]
	scratch_load_b128 v[26:29], off, off offset:528
	s_wait_loadcnt_dscnt 0x800
	v_mul_f64_e32 v[175:176], v[2:3], v[36:37]
	v_mul_f64_e32 v[36:37], v[4:5], v[36:37]
	v_add_f64_e32 v[169:170], v[169:170], v[157:158]
	v_add_f64_e32 v[165:166], v[165:166], v[159:160]
	ds_load_b128 v[157:160], v1 offset:1248
	v_fma_f64 v[163:164], v[163:164], v[30:31], v[167:168]
	v_fma_f64 v[161:162], v[161:162], v[30:31], -v[32:33]
	scratch_load_b128 v[30:33], off, off offset:544
	v_add_f64_e32 v[167:168], v[169:170], v[173:174]
	v_add_f64_e32 v[165:166], v[165:166], v[171:172]
	v_fma_f64 v[171:172], v[4:5], v[34:35], v[175:176]
	v_fma_f64 v[173:174], v[2:3], v[34:35], -v[36:37]
	ds_load_b128 v[2:5], v1 offset:1264
	s_wait_loadcnt_dscnt 0x801
	v_mul_f64_e32 v[169:170], v[157:158], v[155:156]
	v_mul_f64_e32 v[155:156], v[159:160], v[155:156]
	scratch_load_b128 v[34:37], off, off offset:560
	s_wait_loadcnt_dscnt 0x800
	v_mul_f64_e32 v[175:176], v[2:3], v[40:41]
	v_mul_f64_e32 v[40:41], v[4:5], v[40:41]
	v_add_f64_e32 v[167:168], v[167:168], v[161:162]
	v_add_f64_e32 v[165:166], v[165:166], v[163:164]
	ds_load_b128 v[161:164], v1 offset:1280
	v_fma_f64 v[159:160], v[159:160], v[153:154], v[169:170]
	v_fma_f64 v[157:158], v[157:158], v[153:154], -v[155:156]
	scratch_load_b128 v[153:156], off, off offset:576
	v_add_f64_e32 v[167:168], v[167:168], v[173:174]
	v_add_f64_e32 v[165:166], v[165:166], v[171:172]
	v_fma_f64 v[171:172], v[4:5], v[38:39], v[175:176]
	;; [unrolled: 18-line block ×6, first 2 shown]
	v_fma_f64 v[175:176], v[2:3], v[34:35], -v[36:37]
	ds_load_b128 v[2:5], v1 offset:1424
	s_wait_loadcnt_dscnt 0x801
	v_mul_f64_e32 v[169:170], v[161:162], v[155:156]
	v_mul_f64_e32 v[171:172], v[163:164], v[155:156]
	scratch_load_b128 v[34:37], off, off offset:720
	v_add_f64_e32 v[167:168], v[167:168], v[157:158]
	v_add_f64_e32 v[159:160], v[165:166], v[159:160]
	s_wait_loadcnt_dscnt 0x800
	v_mul_f64_e32 v[165:166], v[2:3], v[40:41]
	v_mul_f64_e32 v[40:41], v[4:5], v[40:41]
	ds_load_b128 v[155:158], v1 offset:1440
	v_fma_f64 v[163:164], v[163:164], v[153:154], v[169:170]
	v_fma_f64 v[153:154], v[161:162], v[153:154], -v[171:172]
	v_add_f64_e32 v[167:168], v[167:168], v[175:176]
	v_add_f64_e32 v[169:170], v[159:160], v[173:174]
	scratch_load_b128 v[159:162], off, off offset:736
	v_fma_f64 v[173:174], v[4:5], v[38:39], v[165:166]
	v_fma_f64 v[175:176], v[2:3], v[38:39], -v[40:41]
	ds_load_b128 v[2:5], v1 offset:1456
	s_wait_loadcnt_dscnt 0x801
	v_mul_f64_e32 v[171:172], v[155:156], v[8:9]
	v_mul_f64_e32 v[8:9], v[157:158], v[8:9]
	scratch_load_b128 v[38:41], off, off offset:752
	v_add_f64_e32 v[153:154], v[167:168], v[153:154]
	v_add_f64_e32 v[167:168], v[169:170], v[163:164]
	s_wait_loadcnt_dscnt 0x800
	v_mul_f64_e32 v[169:170], v[2:3], v[12:13]
	v_mul_f64_e32 v[12:13], v[4:5], v[12:13]
	ds_load_b128 v[163:166], v1 offset:1472
	v_fma_f64 v[157:158], v[157:158], v[6:7], v[171:172]
	v_fma_f64 v[155:156], v[155:156], v[6:7], -v[8:9]
	scratch_load_b128 v[6:9], off, off offset:768
	v_add_f64_e32 v[153:154], v[153:154], v[175:176]
	v_add_f64_e32 v[167:168], v[167:168], v[173:174]
	v_fma_f64 v[169:170], v[4:5], v[10:11], v[169:170]
	v_fma_f64 v[173:174], v[2:3], v[10:11], -v[12:13]
	ds_load_b128 v[2:5], v1 offset:1488
	s_wait_loadcnt_dscnt 0x801
	v_mul_f64_e32 v[171:172], v[163:164], v[16:17]
	v_mul_f64_e32 v[16:17], v[165:166], v[16:17]
	scratch_load_b128 v[10:13], off, off offset:784
	v_add_f64_e32 v[175:176], v[153:154], v[155:156]
	v_add_f64_e32 v[157:158], v[167:168], v[157:158]
	s_wait_loadcnt_dscnt 0x800
	v_mul_f64_e32 v[167:168], v[2:3], v[20:21]
	v_mul_f64_e32 v[20:21], v[4:5], v[20:21]
	ds_load_b128 v[153:156], v1 offset:1504
	v_fma_f64 v[165:166], v[165:166], v[14:15], v[171:172]
	v_fma_f64 v[163:164], v[163:164], v[14:15], -v[16:17]
	scratch_load_b128 v[14:17], off, off offset:800
	v_add_f64_e32 v[171:172], v[175:176], v[173:174]
	v_add_f64_e32 v[157:158], v[157:158], v[169:170]
	v_fma_f64 v[167:168], v[4:5], v[18:19], v[167:168]
	v_fma_f64 v[173:174], v[2:3], v[18:19], -v[20:21]
	ds_load_b128 v[2:5], v1 offset:1520
	s_wait_loadcnt_dscnt 0x801
	v_mul_f64_e32 v[169:170], v[153:154], v[24:25]
	v_mul_f64_e32 v[24:25], v[155:156], v[24:25]
	scratch_load_b128 v[18:21], off, off offset:816
	s_wait_loadcnt_dscnt 0x800
	v_mul_f64_e32 v[175:176], v[2:3], v[28:29]
	v_mul_f64_e32 v[28:29], v[4:5], v[28:29]
	v_add_f64_e32 v[171:172], v[171:172], v[163:164]
	v_add_f64_e32 v[157:158], v[157:158], v[165:166]
	ds_load_b128 v[163:166], v1 offset:1536
	v_fma_f64 v[155:156], v[155:156], v[22:23], v[169:170]
	v_fma_f64 v[153:154], v[153:154], v[22:23], -v[24:25]
	scratch_load_b128 v[22:25], off, off offset:832
	v_add_f64_e32 v[169:170], v[171:172], v[173:174]
	v_add_f64_e32 v[157:158], v[157:158], v[167:168]
	v_fma_f64 v[171:172], v[4:5], v[26:27], v[175:176]
	v_fma_f64 v[173:174], v[2:3], v[26:27], -v[28:29]
	ds_load_b128 v[2:5], v1 offset:1552
	s_wait_loadcnt_dscnt 0x801
	v_mul_f64_e32 v[167:168], v[163:164], v[32:33]
	v_mul_f64_e32 v[32:33], v[165:166], v[32:33]
	scratch_load_b128 v[26:29], off, off offset:848
	s_wait_loadcnt_dscnt 0x800
	v_mul_f64_e32 v[175:176], v[2:3], v[36:37]
	v_mul_f64_e32 v[36:37], v[4:5], v[36:37]
	v_add_f64_e32 v[169:170], v[169:170], v[153:154]
	v_add_f64_e32 v[157:158], v[157:158], v[155:156]
	ds_load_b128 v[153:156], v1 offset:1568
	v_fma_f64 v[165:166], v[165:166], v[30:31], v[167:168]
	v_fma_f64 v[30:31], v[163:164], v[30:31], -v[32:33]
	v_fma_f64 v[167:168], v[4:5], v[34:35], v[175:176]
	v_fma_f64 v[34:35], v[2:3], v[34:35], -v[36:37]
	v_add_f64_e32 v[32:33], v[169:170], v[173:174]
	v_add_f64_e32 v[157:158], v[157:158], v[171:172]
	s_wait_loadcnt_dscnt 0x700
	v_mul_f64_e32 v[163:164], v[153:154], v[161:162]
	v_mul_f64_e32 v[161:162], v[155:156], v[161:162]
	s_delay_alu instid0(VALU_DEP_4) | instskip(NEXT) | instid1(VALU_DEP_4)
	v_add_f64_e32 v[36:37], v[32:33], v[30:31]
	v_add_f64_e32 v[157:158], v[157:158], v[165:166]
	ds_load_b128 v[2:5], v1 offset:1584
	ds_load_b128 v[30:33], v1 offset:1600
	v_fma_f64 v[155:156], v[155:156], v[159:160], v[163:164]
	v_fma_f64 v[153:154], v[153:154], v[159:160], -v[161:162]
	s_wait_loadcnt_dscnt 0x601
	v_mul_f64_e32 v[165:166], v[2:3], v[40:41]
	v_mul_f64_e32 v[40:41], v[4:5], v[40:41]
	v_add_f64_e32 v[34:35], v[36:37], v[34:35]
	v_add_f64_e32 v[36:37], v[157:158], v[167:168]
	s_wait_loadcnt_dscnt 0x500
	v_mul_f64_e32 v[157:158], v[30:31], v[8:9]
	v_mul_f64_e32 v[8:9], v[32:33], v[8:9]
	v_fma_f64 v[159:160], v[4:5], v[38:39], v[165:166]
	v_fma_f64 v[38:39], v[2:3], v[38:39], -v[40:41]
	v_add_f64_e32 v[40:41], v[34:35], v[153:154]
	v_add_f64_e32 v[153:154], v[36:37], v[155:156]
	ds_load_b128 v[2:5], v1 offset:1616
	ds_load_b128 v[34:37], v1 offset:1632
	v_fma_f64 v[32:33], v[32:33], v[6:7], v[157:158]
	v_fma_f64 v[6:7], v[30:31], v[6:7], -v[8:9]
	s_wait_loadcnt_dscnt 0x401
	v_mul_f64_e32 v[155:156], v[2:3], v[12:13]
	v_mul_f64_e32 v[12:13], v[4:5], v[12:13]
	v_add_f64_e32 v[8:9], v[40:41], v[38:39]
	v_add_f64_e32 v[30:31], v[153:154], v[159:160]
	s_wait_loadcnt_dscnt 0x300
	v_mul_f64_e32 v[38:39], v[34:35], v[16:17]
	v_mul_f64_e32 v[16:17], v[36:37], v[16:17]
	v_fma_f64 v[40:41], v[4:5], v[10:11], v[155:156]
	v_fma_f64 v[10:11], v[2:3], v[10:11], -v[12:13]
	v_add_f64_e32 v[12:13], v[8:9], v[6:7]
	v_add_f64_e32 v[30:31], v[30:31], v[32:33]
	ds_load_b128 v[2:5], v1 offset:1648
	ds_load_b128 v[6:9], v1 offset:1664
	v_fma_f64 v[36:37], v[36:37], v[14:15], v[38:39]
	v_fma_f64 v[14:15], v[34:35], v[14:15], -v[16:17]
	s_wait_loadcnt_dscnt 0x201
	v_mul_f64_e32 v[32:33], v[2:3], v[20:21]
	v_mul_f64_e32 v[20:21], v[4:5], v[20:21]
	s_wait_loadcnt_dscnt 0x100
	v_mul_f64_e32 v[16:17], v[6:7], v[24:25]
	v_mul_f64_e32 v[24:25], v[8:9], v[24:25]
	v_add_f64_e32 v[10:11], v[12:13], v[10:11]
	v_add_f64_e32 v[12:13], v[30:31], v[40:41]
	v_fma_f64 v[30:31], v[4:5], v[18:19], v[32:33]
	v_fma_f64 v[18:19], v[2:3], v[18:19], -v[20:21]
	ds_load_b128 v[2:5], v1 offset:1680
	v_fma_f64 v[8:9], v[8:9], v[22:23], v[16:17]
	v_fma_f64 v[6:7], v[6:7], v[22:23], -v[24:25]
	v_add_f64_e32 v[10:11], v[10:11], v[14:15]
	v_add_f64_e32 v[12:13], v[12:13], v[36:37]
	s_wait_loadcnt_dscnt 0x0
	v_mul_f64_e32 v[14:15], v[2:3], v[28:29]
	v_mul_f64_e32 v[20:21], v[4:5], v[28:29]
	s_delay_alu instid0(VALU_DEP_4) | instskip(NEXT) | instid1(VALU_DEP_4)
	v_add_f64_e32 v[10:11], v[10:11], v[18:19]
	v_add_f64_e32 v[12:13], v[12:13], v[30:31]
	s_delay_alu instid0(VALU_DEP_4) | instskip(NEXT) | instid1(VALU_DEP_4)
	v_fma_f64 v[4:5], v[4:5], v[26:27], v[14:15]
	v_fma_f64 v[2:3], v[2:3], v[26:27], -v[20:21]
	s_delay_alu instid0(VALU_DEP_4) | instskip(NEXT) | instid1(VALU_DEP_4)
	v_add_f64_e32 v[6:7], v[10:11], v[6:7]
	v_add_f64_e32 v[8:9], v[12:13], v[8:9]
	s_delay_alu instid0(VALU_DEP_2) | instskip(NEXT) | instid1(VALU_DEP_2)
	v_add_f64_e32 v[2:3], v[6:7], v[2:3]
	v_add_f64_e32 v[4:5], v[8:9], v[4:5]
	s_delay_alu instid0(VALU_DEP_2) | instskip(NEXT) | instid1(VALU_DEP_2)
	v_add_f64_e64 v[2:3], v[42:43], -v[2:3]
	v_add_f64_e64 v[4:5], v[44:45], -v[4:5]
	scratch_store_b128 off, v[2:5], off offset:96
	v_cmpx_lt_u32_e32 4, v0
	s_cbranch_execz .LBB116_323
; %bb.322:
	scratch_load_b128 v[5:8], off, s4
	v_dual_mov_b32 v2, v1 :: v_dual_mov_b32 v3, v1
	v_mov_b32_e32 v4, v1
	scratch_store_b128 off, v[1:4], off offset:80
	s_wait_loadcnt 0x0
	ds_store_b128 v152, v[5:8]
.LBB116_323:
	s_wait_alu 0xfffe
	s_or_b32 exec_lo, exec_lo, s0
	s_wait_storecnt_dscnt 0x0
	s_barrier_signal -1
	s_barrier_wait -1
	global_inv scope:SCOPE_SE
	s_clause 0x8
	scratch_load_b128 v[2:5], off, off offset:96
	scratch_load_b128 v[6:9], off, off offset:112
	;; [unrolled: 1-line block ×9, first 2 shown]
	ds_load_b128 v[42:45], v1 offset:928
	ds_load_b128 v[38:41], v1 offset:944
	s_clause 0x1
	scratch_load_b128 v[153:156], off, off offset:80
	scratch_load_b128 v[157:160], off, off offset:240
	s_mov_b32 s0, exec_lo
	s_wait_loadcnt_dscnt 0xa01
	v_mul_f64_e32 v[161:162], v[44:45], v[4:5]
	v_mul_f64_e32 v[4:5], v[42:43], v[4:5]
	s_wait_loadcnt_dscnt 0x900
	v_mul_f64_e32 v[165:166], v[38:39], v[8:9]
	v_mul_f64_e32 v[8:9], v[40:41], v[8:9]
	s_delay_alu instid0(VALU_DEP_4) | instskip(NEXT) | instid1(VALU_DEP_4)
	v_fma_f64 v[167:168], v[42:43], v[2:3], -v[161:162]
	v_fma_f64 v[169:170], v[44:45], v[2:3], v[4:5]
	ds_load_b128 v[2:5], v1 offset:960
	ds_load_b128 v[161:164], v1 offset:976
	scratch_load_b128 v[42:45], off, off offset:256
	v_fma_f64 v[40:41], v[40:41], v[6:7], v[165:166]
	v_fma_f64 v[38:39], v[38:39], v[6:7], -v[8:9]
	scratch_load_b128 v[6:9], off, off offset:272
	s_wait_loadcnt_dscnt 0xa01
	v_mul_f64_e32 v[171:172], v[2:3], v[12:13]
	v_mul_f64_e32 v[12:13], v[4:5], v[12:13]
	v_add_f64_e32 v[165:166], 0, v[167:168]
	v_add_f64_e32 v[167:168], 0, v[169:170]
	s_wait_loadcnt_dscnt 0x900
	v_mul_f64_e32 v[169:170], v[161:162], v[16:17]
	v_mul_f64_e32 v[16:17], v[163:164], v[16:17]
	v_fma_f64 v[171:172], v[4:5], v[10:11], v[171:172]
	v_fma_f64 v[173:174], v[2:3], v[10:11], -v[12:13]
	ds_load_b128 v[2:5], v1 offset:992
	scratch_load_b128 v[10:13], off, off offset:288
	v_add_f64_e32 v[165:166], v[165:166], v[38:39]
	v_add_f64_e32 v[167:168], v[167:168], v[40:41]
	ds_load_b128 v[38:41], v1 offset:1008
	v_fma_f64 v[163:164], v[163:164], v[14:15], v[169:170]
	v_fma_f64 v[161:162], v[161:162], v[14:15], -v[16:17]
	scratch_load_b128 v[14:17], off, off offset:304
	s_wait_loadcnt_dscnt 0xa01
	v_mul_f64_e32 v[175:176], v[2:3], v[20:21]
	v_mul_f64_e32 v[20:21], v[4:5], v[20:21]
	s_wait_loadcnt_dscnt 0x900
	v_mul_f64_e32 v[169:170], v[38:39], v[24:25]
	v_mul_f64_e32 v[24:25], v[40:41], v[24:25]
	v_add_f64_e32 v[165:166], v[165:166], v[173:174]
	v_add_f64_e32 v[167:168], v[167:168], v[171:172]
	v_fma_f64 v[171:172], v[4:5], v[18:19], v[175:176]
	v_fma_f64 v[173:174], v[2:3], v[18:19], -v[20:21]
	ds_load_b128 v[2:5], v1 offset:1024
	scratch_load_b128 v[18:21], off, off offset:320
	v_fma_f64 v[40:41], v[40:41], v[22:23], v[169:170]
	v_fma_f64 v[38:39], v[38:39], v[22:23], -v[24:25]
	scratch_load_b128 v[22:25], off, off offset:336
	v_add_f64_e32 v[165:166], v[165:166], v[161:162]
	v_add_f64_e32 v[167:168], v[167:168], v[163:164]
	ds_load_b128 v[161:164], v1 offset:1040
	s_wait_loadcnt_dscnt 0xa01
	v_mul_f64_e32 v[175:176], v[2:3], v[28:29]
	v_mul_f64_e32 v[28:29], v[4:5], v[28:29]
	s_wait_loadcnt_dscnt 0x900
	v_mul_f64_e32 v[169:170], v[161:162], v[32:33]
	v_mul_f64_e32 v[32:33], v[163:164], v[32:33]
	v_add_f64_e32 v[165:166], v[165:166], v[173:174]
	v_add_f64_e32 v[167:168], v[167:168], v[171:172]
	v_fma_f64 v[171:172], v[4:5], v[26:27], v[175:176]
	v_fma_f64 v[173:174], v[2:3], v[26:27], -v[28:29]
	ds_load_b128 v[2:5], v1 offset:1056
	scratch_load_b128 v[26:29], off, off offset:352
	v_fma_f64 v[163:164], v[163:164], v[30:31], v[169:170]
	v_fma_f64 v[161:162], v[161:162], v[30:31], -v[32:33]
	scratch_load_b128 v[30:33], off, off offset:368
	v_add_f64_e32 v[165:166], v[165:166], v[38:39]
	v_add_f64_e32 v[167:168], v[167:168], v[40:41]
	ds_load_b128 v[38:41], v1 offset:1072
	s_wait_loadcnt_dscnt 0xa01
	v_mul_f64_e32 v[175:176], v[2:3], v[36:37]
	v_mul_f64_e32 v[36:37], v[4:5], v[36:37]
	s_wait_loadcnt_dscnt 0x800
	v_mul_f64_e32 v[169:170], v[38:39], v[159:160]
	v_add_f64_e32 v[165:166], v[165:166], v[173:174]
	v_add_f64_e32 v[167:168], v[167:168], v[171:172]
	v_mul_f64_e32 v[171:172], v[40:41], v[159:160]
	v_fma_f64 v[173:174], v[4:5], v[34:35], v[175:176]
	v_fma_f64 v[175:176], v[2:3], v[34:35], -v[36:37]
	ds_load_b128 v[2:5], v1 offset:1088
	scratch_load_b128 v[34:37], off, off offset:384
	v_fma_f64 v[169:170], v[40:41], v[157:158], v[169:170]
	v_add_f64_e32 v[165:166], v[165:166], v[161:162]
	v_add_f64_e32 v[163:164], v[167:168], v[163:164]
	ds_load_b128 v[159:162], v1 offset:1104
	v_fma_f64 v[157:158], v[38:39], v[157:158], -v[171:172]
	scratch_load_b128 v[38:41], off, off offset:400
	s_wait_loadcnt_dscnt 0x901
	v_mul_f64_e32 v[167:168], v[2:3], v[44:45]
	v_mul_f64_e32 v[44:45], v[4:5], v[44:45]
	s_wait_loadcnt_dscnt 0x800
	v_mul_f64_e32 v[171:172], v[159:160], v[8:9]
	v_mul_f64_e32 v[8:9], v[161:162], v[8:9]
	v_add_f64_e32 v[165:166], v[165:166], v[175:176]
	v_add_f64_e32 v[163:164], v[163:164], v[173:174]
	v_fma_f64 v[167:168], v[4:5], v[42:43], v[167:168]
	v_fma_f64 v[173:174], v[2:3], v[42:43], -v[44:45]
	ds_load_b128 v[2:5], v1 offset:1120
	scratch_load_b128 v[42:45], off, off offset:416
	v_fma_f64 v[161:162], v[161:162], v[6:7], v[171:172]
	v_fma_f64 v[159:160], v[159:160], v[6:7], -v[8:9]
	scratch_load_b128 v[6:9], off, off offset:432
	v_add_f64_e32 v[157:158], v[165:166], v[157:158]
	v_add_f64_e32 v[169:170], v[163:164], v[169:170]
	ds_load_b128 v[163:166], v1 offset:1136
	s_wait_loadcnt_dscnt 0x901
	v_mul_f64_e32 v[175:176], v[2:3], v[12:13]
	v_mul_f64_e32 v[12:13], v[4:5], v[12:13]
	v_add_f64_e32 v[157:158], v[157:158], v[173:174]
	v_add_f64_e32 v[167:168], v[169:170], v[167:168]
	s_wait_loadcnt_dscnt 0x800
	v_mul_f64_e32 v[169:170], v[163:164], v[16:17]
	v_mul_f64_e32 v[16:17], v[165:166], v[16:17]
	v_fma_f64 v[171:172], v[4:5], v[10:11], v[175:176]
	v_fma_f64 v[173:174], v[2:3], v[10:11], -v[12:13]
	ds_load_b128 v[2:5], v1 offset:1152
	scratch_load_b128 v[10:13], off, off offset:448
	v_add_f64_e32 v[175:176], v[157:158], v[159:160]
	v_add_f64_e32 v[161:162], v[167:168], v[161:162]
	ds_load_b128 v[157:160], v1 offset:1168
	s_wait_loadcnt_dscnt 0x801
	v_mul_f64_e32 v[167:168], v[2:3], v[20:21]
	v_mul_f64_e32 v[20:21], v[4:5], v[20:21]
	v_fma_f64 v[165:166], v[165:166], v[14:15], v[169:170]
	v_fma_f64 v[163:164], v[163:164], v[14:15], -v[16:17]
	scratch_load_b128 v[14:17], off, off offset:464
	v_add_f64_e32 v[169:170], v[175:176], v[173:174]
	v_add_f64_e32 v[161:162], v[161:162], v[171:172]
	s_wait_loadcnt_dscnt 0x800
	v_mul_f64_e32 v[171:172], v[157:158], v[24:25]
	v_mul_f64_e32 v[24:25], v[159:160], v[24:25]
	v_fma_f64 v[167:168], v[4:5], v[18:19], v[167:168]
	v_fma_f64 v[173:174], v[2:3], v[18:19], -v[20:21]
	ds_load_b128 v[2:5], v1 offset:1184
	scratch_load_b128 v[18:21], off, off offset:480
	v_add_f64_e32 v[169:170], v[169:170], v[163:164]
	v_add_f64_e32 v[165:166], v[161:162], v[165:166]
	ds_load_b128 v[161:164], v1 offset:1200
	s_wait_loadcnt_dscnt 0x801
	v_mul_f64_e32 v[175:176], v[2:3], v[28:29]
	v_mul_f64_e32 v[28:29], v[4:5], v[28:29]
	v_fma_f64 v[159:160], v[159:160], v[22:23], v[171:172]
	v_fma_f64 v[157:158], v[157:158], v[22:23], -v[24:25]
	scratch_load_b128 v[22:25], off, off offset:496
	;; [unrolled: 18-line block ×4, first 2 shown]
	s_wait_loadcnt_dscnt 0x800
	v_mul_f64_e32 v[169:170], v[161:162], v[8:9]
	v_mul_f64_e32 v[8:9], v[163:164], v[8:9]
	v_add_f64_e32 v[167:168], v[167:168], v[173:174]
	v_add_f64_e32 v[165:166], v[165:166], v[171:172]
	v_fma_f64 v[171:172], v[4:5], v[42:43], v[175:176]
	v_fma_f64 v[173:174], v[2:3], v[42:43], -v[44:45]
	ds_load_b128 v[2:5], v1 offset:1280
	scratch_load_b128 v[42:45], off, off offset:576
	v_fma_f64 v[163:164], v[163:164], v[6:7], v[169:170]
	v_fma_f64 v[161:162], v[161:162], v[6:7], -v[8:9]
	scratch_load_b128 v[6:9], off, off offset:592
	v_add_f64_e32 v[167:168], v[167:168], v[157:158]
	v_add_f64_e32 v[165:166], v[165:166], v[159:160]
	ds_load_b128 v[157:160], v1 offset:1296
	s_wait_loadcnt_dscnt 0x901
	v_mul_f64_e32 v[175:176], v[2:3], v[12:13]
	v_mul_f64_e32 v[12:13], v[4:5], v[12:13]
	s_wait_loadcnt_dscnt 0x800
	v_mul_f64_e32 v[169:170], v[157:158], v[16:17]
	v_mul_f64_e32 v[16:17], v[159:160], v[16:17]
	v_add_f64_e32 v[167:168], v[167:168], v[173:174]
	v_add_f64_e32 v[165:166], v[165:166], v[171:172]
	v_fma_f64 v[171:172], v[4:5], v[10:11], v[175:176]
	v_fma_f64 v[173:174], v[2:3], v[10:11], -v[12:13]
	ds_load_b128 v[2:5], v1 offset:1312
	scratch_load_b128 v[10:13], off, off offset:608
	v_fma_f64 v[159:160], v[159:160], v[14:15], v[169:170]
	v_fma_f64 v[157:158], v[157:158], v[14:15], -v[16:17]
	scratch_load_b128 v[14:17], off, off offset:624
	v_add_f64_e32 v[167:168], v[167:168], v[161:162]
	v_add_f64_e32 v[165:166], v[165:166], v[163:164]
	ds_load_b128 v[161:164], v1 offset:1328
	s_wait_loadcnt_dscnt 0x901
	v_mul_f64_e32 v[175:176], v[2:3], v[20:21]
	v_mul_f64_e32 v[20:21], v[4:5], v[20:21]
	;; [unrolled: 18-line block ×9, first 2 shown]
	s_wait_loadcnt_dscnt 0x800
	v_mul_f64_e32 v[169:170], v[157:158], v[40:41]
	v_mul_f64_e32 v[40:41], v[159:160], v[40:41]
	v_add_f64_e32 v[167:168], v[167:168], v[173:174]
	v_add_f64_e32 v[165:166], v[165:166], v[171:172]
	v_fma_f64 v[171:172], v[4:5], v[34:35], v[175:176]
	v_fma_f64 v[173:174], v[2:3], v[34:35], -v[36:37]
	ds_load_b128 v[2:5], v1 offset:1568
	ds_load_b128 v[34:37], v1 offset:1584
	v_fma_f64 v[159:160], v[159:160], v[38:39], v[169:170]
	v_fma_f64 v[38:39], v[157:158], v[38:39], -v[40:41]
	v_add_f64_e32 v[161:162], v[167:168], v[161:162]
	v_add_f64_e32 v[163:164], v[165:166], v[163:164]
	s_wait_loadcnt_dscnt 0x701
	v_mul_f64_e32 v[165:166], v[2:3], v[44:45]
	v_mul_f64_e32 v[44:45], v[4:5], v[44:45]
	s_delay_alu instid0(VALU_DEP_4) | instskip(NEXT) | instid1(VALU_DEP_4)
	v_add_f64_e32 v[40:41], v[161:162], v[173:174]
	v_add_f64_e32 v[157:158], v[163:164], v[171:172]
	s_wait_loadcnt_dscnt 0x600
	v_mul_f64_e32 v[161:162], v[34:35], v[8:9]
	v_mul_f64_e32 v[8:9], v[36:37], v[8:9]
	v_fma_f64 v[163:164], v[4:5], v[42:43], v[165:166]
	v_fma_f64 v[42:43], v[2:3], v[42:43], -v[44:45]
	v_add_f64_e32 v[44:45], v[40:41], v[38:39]
	v_add_f64_e32 v[157:158], v[157:158], v[159:160]
	ds_load_b128 v[2:5], v1 offset:1600
	ds_load_b128 v[38:41], v1 offset:1616
	v_fma_f64 v[36:37], v[36:37], v[6:7], v[161:162]
	v_fma_f64 v[6:7], v[34:35], v[6:7], -v[8:9]
	s_wait_loadcnt_dscnt 0x501
	v_mul_f64_e32 v[159:160], v[2:3], v[12:13]
	v_mul_f64_e32 v[12:13], v[4:5], v[12:13]
	v_add_f64_e32 v[8:9], v[44:45], v[42:43]
	v_add_f64_e32 v[34:35], v[157:158], v[163:164]
	s_wait_loadcnt_dscnt 0x400
	v_mul_f64_e32 v[42:43], v[38:39], v[16:17]
	v_mul_f64_e32 v[16:17], v[40:41], v[16:17]
	v_fma_f64 v[44:45], v[4:5], v[10:11], v[159:160]
	v_fma_f64 v[10:11], v[2:3], v[10:11], -v[12:13]
	v_add_f64_e32 v[12:13], v[8:9], v[6:7]
	v_add_f64_e32 v[34:35], v[34:35], v[36:37]
	ds_load_b128 v[2:5], v1 offset:1632
	ds_load_b128 v[6:9], v1 offset:1648
	v_fma_f64 v[40:41], v[40:41], v[14:15], v[42:43]
	v_fma_f64 v[14:15], v[38:39], v[14:15], -v[16:17]
	s_wait_loadcnt_dscnt 0x301
	v_mul_f64_e32 v[36:37], v[2:3], v[20:21]
	v_mul_f64_e32 v[20:21], v[4:5], v[20:21]
	s_wait_loadcnt_dscnt 0x200
	v_mul_f64_e32 v[16:17], v[6:7], v[24:25]
	v_mul_f64_e32 v[24:25], v[8:9], v[24:25]
	v_add_f64_e32 v[10:11], v[12:13], v[10:11]
	v_add_f64_e32 v[12:13], v[34:35], v[44:45]
	v_fma_f64 v[34:35], v[4:5], v[18:19], v[36:37]
	v_fma_f64 v[18:19], v[2:3], v[18:19], -v[20:21]
	v_fma_f64 v[8:9], v[8:9], v[22:23], v[16:17]
	v_fma_f64 v[6:7], v[6:7], v[22:23], -v[24:25]
	v_add_f64_e32 v[14:15], v[10:11], v[14:15]
	v_add_f64_e32 v[20:21], v[12:13], v[40:41]
	ds_load_b128 v[2:5], v1 offset:1664
	ds_load_b128 v[10:13], v1 offset:1680
	s_wait_loadcnt_dscnt 0x101
	v_mul_f64_e32 v[36:37], v[2:3], v[28:29]
	v_mul_f64_e32 v[28:29], v[4:5], v[28:29]
	v_add_f64_e32 v[14:15], v[14:15], v[18:19]
	v_add_f64_e32 v[16:17], v[20:21], v[34:35]
	s_wait_loadcnt_dscnt 0x0
	v_mul_f64_e32 v[18:19], v[10:11], v[32:33]
	v_mul_f64_e32 v[20:21], v[12:13], v[32:33]
	v_fma_f64 v[4:5], v[4:5], v[26:27], v[36:37]
	v_fma_f64 v[1:2], v[2:3], v[26:27], -v[28:29]
	v_add_f64_e32 v[6:7], v[14:15], v[6:7]
	v_add_f64_e32 v[8:9], v[16:17], v[8:9]
	v_fma_f64 v[12:13], v[12:13], v[30:31], v[18:19]
	v_fma_f64 v[10:11], v[10:11], v[30:31], -v[20:21]
	s_delay_alu instid0(VALU_DEP_4) | instskip(NEXT) | instid1(VALU_DEP_4)
	v_add_f64_e32 v[1:2], v[6:7], v[1:2]
	v_add_f64_e32 v[3:4], v[8:9], v[4:5]
	s_delay_alu instid0(VALU_DEP_2) | instskip(NEXT) | instid1(VALU_DEP_2)
	v_add_f64_e32 v[1:2], v[1:2], v[10:11]
	v_add_f64_e32 v[3:4], v[3:4], v[12:13]
	s_delay_alu instid0(VALU_DEP_2) | instskip(NEXT) | instid1(VALU_DEP_2)
	v_add_f64_e64 v[1:2], v[153:154], -v[1:2]
	v_add_f64_e64 v[3:4], v[155:156], -v[3:4]
	scratch_store_b128 off, v[1:4], off offset:80
	v_cmpx_lt_u32_e32 3, v0
	s_cbranch_execz .LBB116_325
; %bb.324:
	scratch_load_b128 v[1:4], off, s10
	v_mov_b32_e32 v5, 0
	s_delay_alu instid0(VALU_DEP_1)
	v_dual_mov_b32 v6, v5 :: v_dual_mov_b32 v7, v5
	v_mov_b32_e32 v8, v5
	scratch_store_b128 off, v[5:8], off offset:64
	s_wait_loadcnt 0x0
	ds_store_b128 v152, v[1:4]
.LBB116_325:
	s_wait_alu 0xfffe
	s_or_b32 exec_lo, exec_lo, s0
	s_wait_storecnt_dscnt 0x0
	s_barrier_signal -1
	s_barrier_wait -1
	global_inv scope:SCOPE_SE
	s_clause 0x7
	scratch_load_b128 v[2:5], off, off offset:80
	scratch_load_b128 v[6:9], off, off offset:96
	;; [unrolled: 1-line block ×8, first 2 shown]
	v_mov_b32_e32 v1, 0
	s_mov_b32 s0, exec_lo
	ds_load_b128 v[38:41], v1 offset:912
	s_clause 0x1
	scratch_load_b128 v[34:37], off, off offset:208
	scratch_load_b128 v[42:45], off, off offset:64
	ds_load_b128 v[153:156], v1 offset:928
	scratch_load_b128 v[157:160], off, off offset:224
	s_wait_loadcnt_dscnt 0xa01
	v_mul_f64_e32 v[161:162], v[40:41], v[4:5]
	v_mul_f64_e32 v[4:5], v[38:39], v[4:5]
	s_delay_alu instid0(VALU_DEP_2) | instskip(NEXT) | instid1(VALU_DEP_2)
	v_fma_f64 v[167:168], v[38:39], v[2:3], -v[161:162]
	v_fma_f64 v[169:170], v[40:41], v[2:3], v[4:5]
	ds_load_b128 v[2:5], v1 offset:944
	s_wait_loadcnt_dscnt 0x901
	v_mul_f64_e32 v[165:166], v[153:154], v[8:9]
	v_mul_f64_e32 v[8:9], v[155:156], v[8:9]
	scratch_load_b128 v[38:41], off, off offset:240
	ds_load_b128 v[161:164], v1 offset:960
	s_wait_loadcnt_dscnt 0x901
	v_mul_f64_e32 v[171:172], v[2:3], v[12:13]
	v_mul_f64_e32 v[12:13], v[4:5], v[12:13]
	v_fma_f64 v[155:156], v[155:156], v[6:7], v[165:166]
	v_fma_f64 v[153:154], v[153:154], v[6:7], -v[8:9]
	v_add_f64_e32 v[165:166], 0, v[167:168]
	v_add_f64_e32 v[167:168], 0, v[169:170]
	scratch_load_b128 v[6:9], off, off offset:256
	v_fma_f64 v[171:172], v[4:5], v[10:11], v[171:172]
	v_fma_f64 v[173:174], v[2:3], v[10:11], -v[12:13]
	ds_load_b128 v[2:5], v1 offset:976
	s_wait_loadcnt_dscnt 0x901
	v_mul_f64_e32 v[169:170], v[161:162], v[16:17]
	v_mul_f64_e32 v[16:17], v[163:164], v[16:17]
	scratch_load_b128 v[10:13], off, off offset:272
	v_add_f64_e32 v[165:166], v[165:166], v[153:154]
	v_add_f64_e32 v[167:168], v[167:168], v[155:156]
	s_wait_loadcnt_dscnt 0x900
	v_mul_f64_e32 v[175:176], v[2:3], v[20:21]
	v_mul_f64_e32 v[20:21], v[4:5], v[20:21]
	ds_load_b128 v[153:156], v1 offset:992
	v_fma_f64 v[163:164], v[163:164], v[14:15], v[169:170]
	v_fma_f64 v[161:162], v[161:162], v[14:15], -v[16:17]
	scratch_load_b128 v[14:17], off, off offset:288
	v_add_f64_e32 v[165:166], v[165:166], v[173:174]
	v_add_f64_e32 v[167:168], v[167:168], v[171:172]
	v_fma_f64 v[171:172], v[4:5], v[18:19], v[175:176]
	v_fma_f64 v[173:174], v[2:3], v[18:19], -v[20:21]
	ds_load_b128 v[2:5], v1 offset:1008
	s_wait_loadcnt_dscnt 0x901
	v_mul_f64_e32 v[169:170], v[153:154], v[24:25]
	v_mul_f64_e32 v[24:25], v[155:156], v[24:25]
	scratch_load_b128 v[18:21], off, off offset:304
	s_wait_loadcnt_dscnt 0x900
	v_mul_f64_e32 v[175:176], v[2:3], v[28:29]
	v_mul_f64_e32 v[28:29], v[4:5], v[28:29]
	v_add_f64_e32 v[165:166], v[165:166], v[161:162]
	v_add_f64_e32 v[167:168], v[167:168], v[163:164]
	ds_load_b128 v[161:164], v1 offset:1024
	v_fma_f64 v[155:156], v[155:156], v[22:23], v[169:170]
	v_fma_f64 v[153:154], v[153:154], v[22:23], -v[24:25]
	scratch_load_b128 v[22:25], off, off offset:320
	v_add_f64_e32 v[165:166], v[165:166], v[173:174]
	v_add_f64_e32 v[167:168], v[167:168], v[171:172]
	v_fma_f64 v[171:172], v[4:5], v[26:27], v[175:176]
	v_fma_f64 v[173:174], v[2:3], v[26:27], -v[28:29]
	ds_load_b128 v[2:5], v1 offset:1040
	s_wait_loadcnt_dscnt 0x901
	v_mul_f64_e32 v[169:170], v[161:162], v[32:33]
	v_mul_f64_e32 v[32:33], v[163:164], v[32:33]
	scratch_load_b128 v[26:29], off, off offset:336
	s_wait_loadcnt_dscnt 0x900
	v_mul_f64_e32 v[175:176], v[2:3], v[36:37]
	v_mul_f64_e32 v[36:37], v[4:5], v[36:37]
	v_add_f64_e32 v[165:166], v[165:166], v[153:154]
	v_add_f64_e32 v[167:168], v[167:168], v[155:156]
	ds_load_b128 v[153:156], v1 offset:1056
	v_fma_f64 v[163:164], v[163:164], v[30:31], v[169:170]
	v_fma_f64 v[161:162], v[161:162], v[30:31], -v[32:33]
	scratch_load_b128 v[30:33], off, off offset:352
	v_add_f64_e32 v[165:166], v[165:166], v[173:174]
	v_add_f64_e32 v[167:168], v[167:168], v[171:172]
	v_fma_f64 v[173:174], v[4:5], v[34:35], v[175:176]
	v_fma_f64 v[175:176], v[2:3], v[34:35], -v[36:37]
	ds_load_b128 v[2:5], v1 offset:1072
	s_wait_loadcnt_dscnt 0x801
	v_mul_f64_e32 v[169:170], v[153:154], v[159:160]
	v_mul_f64_e32 v[171:172], v[155:156], v[159:160]
	scratch_load_b128 v[34:37], off, off offset:368
	v_add_f64_e32 v[165:166], v[165:166], v[161:162]
	v_add_f64_e32 v[163:164], v[167:168], v[163:164]
	ds_load_b128 v[159:162], v1 offset:1088
	v_fma_f64 v[169:170], v[155:156], v[157:158], v[169:170]
	v_fma_f64 v[157:158], v[153:154], v[157:158], -v[171:172]
	scratch_load_b128 v[153:156], off, off offset:384
	s_wait_loadcnt_dscnt 0x901
	v_mul_f64_e32 v[167:168], v[2:3], v[40:41]
	v_mul_f64_e32 v[40:41], v[4:5], v[40:41]
	v_add_f64_e32 v[165:166], v[165:166], v[175:176]
	v_add_f64_e32 v[163:164], v[163:164], v[173:174]
	s_delay_alu instid0(VALU_DEP_4) | instskip(NEXT) | instid1(VALU_DEP_4)
	v_fma_f64 v[167:168], v[4:5], v[38:39], v[167:168]
	v_fma_f64 v[173:174], v[2:3], v[38:39], -v[40:41]
	ds_load_b128 v[2:5], v1 offset:1104
	s_wait_loadcnt_dscnt 0x801
	v_mul_f64_e32 v[171:172], v[159:160], v[8:9]
	v_mul_f64_e32 v[8:9], v[161:162], v[8:9]
	scratch_load_b128 v[38:41], off, off offset:400
	s_wait_loadcnt_dscnt 0x800
	v_mul_f64_e32 v[175:176], v[2:3], v[12:13]
	v_add_f64_e32 v[157:158], v[165:166], v[157:158]
	v_add_f64_e32 v[169:170], v[163:164], v[169:170]
	v_mul_f64_e32 v[12:13], v[4:5], v[12:13]
	ds_load_b128 v[163:166], v1 offset:1120
	v_fma_f64 v[161:162], v[161:162], v[6:7], v[171:172]
	v_fma_f64 v[159:160], v[159:160], v[6:7], -v[8:9]
	scratch_load_b128 v[6:9], off, off offset:416
	v_fma_f64 v[171:172], v[4:5], v[10:11], v[175:176]
	v_add_f64_e32 v[157:158], v[157:158], v[173:174]
	v_add_f64_e32 v[167:168], v[169:170], v[167:168]
	v_fma_f64 v[173:174], v[2:3], v[10:11], -v[12:13]
	ds_load_b128 v[2:5], v1 offset:1136
	s_wait_loadcnt_dscnt 0x801
	v_mul_f64_e32 v[169:170], v[163:164], v[16:17]
	v_mul_f64_e32 v[16:17], v[165:166], v[16:17]
	scratch_load_b128 v[10:13], off, off offset:432
	v_add_f64_e32 v[175:176], v[157:158], v[159:160]
	v_add_f64_e32 v[161:162], v[167:168], v[161:162]
	s_wait_loadcnt_dscnt 0x800
	v_mul_f64_e32 v[167:168], v[2:3], v[20:21]
	v_mul_f64_e32 v[20:21], v[4:5], v[20:21]
	v_fma_f64 v[165:166], v[165:166], v[14:15], v[169:170]
	v_fma_f64 v[163:164], v[163:164], v[14:15], -v[16:17]
	ds_load_b128 v[157:160], v1 offset:1152
	scratch_load_b128 v[14:17], off, off offset:448
	v_add_f64_e32 v[169:170], v[175:176], v[173:174]
	v_add_f64_e32 v[161:162], v[161:162], v[171:172]
	v_fma_f64 v[167:168], v[4:5], v[18:19], v[167:168]
	v_fma_f64 v[173:174], v[2:3], v[18:19], -v[20:21]
	ds_load_b128 v[2:5], v1 offset:1168
	s_wait_loadcnt_dscnt 0x801
	v_mul_f64_e32 v[171:172], v[157:158], v[24:25]
	v_mul_f64_e32 v[24:25], v[159:160], v[24:25]
	scratch_load_b128 v[18:21], off, off offset:464
	s_wait_loadcnt_dscnt 0x800
	v_mul_f64_e32 v[175:176], v[2:3], v[28:29]
	v_mul_f64_e32 v[28:29], v[4:5], v[28:29]
	v_add_f64_e32 v[169:170], v[169:170], v[163:164]
	v_add_f64_e32 v[165:166], v[161:162], v[165:166]
	ds_load_b128 v[161:164], v1 offset:1184
	v_fma_f64 v[159:160], v[159:160], v[22:23], v[171:172]
	v_fma_f64 v[157:158], v[157:158], v[22:23], -v[24:25]
	scratch_load_b128 v[22:25], off, off offset:480
	v_fma_f64 v[171:172], v[4:5], v[26:27], v[175:176]
	v_add_f64_e32 v[169:170], v[169:170], v[173:174]
	v_add_f64_e32 v[165:166], v[165:166], v[167:168]
	v_fma_f64 v[173:174], v[2:3], v[26:27], -v[28:29]
	ds_load_b128 v[2:5], v1 offset:1200
	s_wait_loadcnt_dscnt 0x801
	v_mul_f64_e32 v[167:168], v[161:162], v[32:33]
	v_mul_f64_e32 v[32:33], v[163:164], v[32:33]
	scratch_load_b128 v[26:29], off, off offset:496
	s_wait_loadcnt_dscnt 0x800
	v_mul_f64_e32 v[175:176], v[2:3], v[36:37]
	v_mul_f64_e32 v[36:37], v[4:5], v[36:37]
	v_add_f64_e32 v[169:170], v[169:170], v[157:158]
	v_add_f64_e32 v[165:166], v[165:166], v[159:160]
	ds_load_b128 v[157:160], v1 offset:1216
	v_fma_f64 v[163:164], v[163:164], v[30:31], v[167:168]
	v_fma_f64 v[161:162], v[161:162], v[30:31], -v[32:33]
	scratch_load_b128 v[30:33], off, off offset:512
	v_add_f64_e32 v[167:168], v[169:170], v[173:174]
	v_add_f64_e32 v[165:166], v[165:166], v[171:172]
	v_fma_f64 v[171:172], v[4:5], v[34:35], v[175:176]
	v_fma_f64 v[173:174], v[2:3], v[34:35], -v[36:37]
	ds_load_b128 v[2:5], v1 offset:1232
	s_wait_loadcnt_dscnt 0x801
	v_mul_f64_e32 v[169:170], v[157:158], v[155:156]
	v_mul_f64_e32 v[155:156], v[159:160], v[155:156]
	scratch_load_b128 v[34:37], off, off offset:528
	s_wait_loadcnt_dscnt 0x800
	v_mul_f64_e32 v[175:176], v[2:3], v[40:41]
	v_mul_f64_e32 v[40:41], v[4:5], v[40:41]
	v_add_f64_e32 v[167:168], v[167:168], v[161:162]
	v_add_f64_e32 v[165:166], v[165:166], v[163:164]
	ds_load_b128 v[161:164], v1 offset:1248
	v_fma_f64 v[159:160], v[159:160], v[153:154], v[169:170]
	v_fma_f64 v[157:158], v[157:158], v[153:154], -v[155:156]
	scratch_load_b128 v[153:156], off, off offset:544
	v_add_f64_e32 v[167:168], v[167:168], v[173:174]
	v_add_f64_e32 v[165:166], v[165:166], v[171:172]
	v_fma_f64 v[171:172], v[4:5], v[38:39], v[175:176]
	;; [unrolled: 18-line block ×6, first 2 shown]
	v_fma_f64 v[175:176], v[2:3], v[34:35], -v[36:37]
	ds_load_b128 v[2:5], v1 offset:1392
	s_wait_loadcnt_dscnt 0x801
	v_mul_f64_e32 v[169:170], v[161:162], v[155:156]
	v_mul_f64_e32 v[171:172], v[163:164], v[155:156]
	scratch_load_b128 v[34:37], off, off offset:688
	v_add_f64_e32 v[167:168], v[167:168], v[157:158]
	v_add_f64_e32 v[159:160], v[165:166], v[159:160]
	s_wait_loadcnt_dscnt 0x800
	v_mul_f64_e32 v[165:166], v[2:3], v[40:41]
	v_mul_f64_e32 v[40:41], v[4:5], v[40:41]
	ds_load_b128 v[155:158], v1 offset:1408
	v_fma_f64 v[163:164], v[163:164], v[153:154], v[169:170]
	v_fma_f64 v[153:154], v[161:162], v[153:154], -v[171:172]
	v_add_f64_e32 v[167:168], v[167:168], v[175:176]
	v_add_f64_e32 v[169:170], v[159:160], v[173:174]
	scratch_load_b128 v[159:162], off, off offset:704
	v_fma_f64 v[173:174], v[4:5], v[38:39], v[165:166]
	v_fma_f64 v[175:176], v[2:3], v[38:39], -v[40:41]
	ds_load_b128 v[2:5], v1 offset:1424
	s_wait_loadcnt_dscnt 0x801
	v_mul_f64_e32 v[171:172], v[155:156], v[8:9]
	v_mul_f64_e32 v[8:9], v[157:158], v[8:9]
	scratch_load_b128 v[38:41], off, off offset:720
	v_add_f64_e32 v[153:154], v[167:168], v[153:154]
	v_add_f64_e32 v[167:168], v[169:170], v[163:164]
	s_wait_loadcnt_dscnt 0x800
	v_mul_f64_e32 v[169:170], v[2:3], v[12:13]
	v_mul_f64_e32 v[12:13], v[4:5], v[12:13]
	ds_load_b128 v[163:166], v1 offset:1440
	v_fma_f64 v[157:158], v[157:158], v[6:7], v[171:172]
	v_fma_f64 v[155:156], v[155:156], v[6:7], -v[8:9]
	scratch_load_b128 v[6:9], off, off offset:736
	v_add_f64_e32 v[153:154], v[153:154], v[175:176]
	v_add_f64_e32 v[167:168], v[167:168], v[173:174]
	v_fma_f64 v[169:170], v[4:5], v[10:11], v[169:170]
	v_fma_f64 v[173:174], v[2:3], v[10:11], -v[12:13]
	ds_load_b128 v[2:5], v1 offset:1456
	s_wait_loadcnt_dscnt 0x801
	v_mul_f64_e32 v[171:172], v[163:164], v[16:17]
	v_mul_f64_e32 v[16:17], v[165:166], v[16:17]
	scratch_load_b128 v[10:13], off, off offset:752
	v_add_f64_e32 v[175:176], v[153:154], v[155:156]
	v_add_f64_e32 v[157:158], v[167:168], v[157:158]
	s_wait_loadcnt_dscnt 0x800
	v_mul_f64_e32 v[167:168], v[2:3], v[20:21]
	v_mul_f64_e32 v[20:21], v[4:5], v[20:21]
	ds_load_b128 v[153:156], v1 offset:1472
	v_fma_f64 v[165:166], v[165:166], v[14:15], v[171:172]
	v_fma_f64 v[163:164], v[163:164], v[14:15], -v[16:17]
	scratch_load_b128 v[14:17], off, off offset:768
	v_add_f64_e32 v[171:172], v[175:176], v[173:174]
	v_add_f64_e32 v[157:158], v[157:158], v[169:170]
	v_fma_f64 v[167:168], v[4:5], v[18:19], v[167:168]
	v_fma_f64 v[173:174], v[2:3], v[18:19], -v[20:21]
	ds_load_b128 v[2:5], v1 offset:1488
	s_wait_loadcnt_dscnt 0x801
	v_mul_f64_e32 v[169:170], v[153:154], v[24:25]
	v_mul_f64_e32 v[24:25], v[155:156], v[24:25]
	scratch_load_b128 v[18:21], off, off offset:784
	s_wait_loadcnt_dscnt 0x800
	v_mul_f64_e32 v[175:176], v[2:3], v[28:29]
	v_mul_f64_e32 v[28:29], v[4:5], v[28:29]
	v_add_f64_e32 v[171:172], v[171:172], v[163:164]
	v_add_f64_e32 v[157:158], v[157:158], v[165:166]
	ds_load_b128 v[163:166], v1 offset:1504
	v_fma_f64 v[155:156], v[155:156], v[22:23], v[169:170]
	v_fma_f64 v[153:154], v[153:154], v[22:23], -v[24:25]
	scratch_load_b128 v[22:25], off, off offset:800
	v_add_f64_e32 v[169:170], v[171:172], v[173:174]
	v_add_f64_e32 v[157:158], v[157:158], v[167:168]
	v_fma_f64 v[171:172], v[4:5], v[26:27], v[175:176]
	v_fma_f64 v[173:174], v[2:3], v[26:27], -v[28:29]
	ds_load_b128 v[2:5], v1 offset:1520
	s_wait_loadcnt_dscnt 0x801
	v_mul_f64_e32 v[167:168], v[163:164], v[32:33]
	v_mul_f64_e32 v[32:33], v[165:166], v[32:33]
	scratch_load_b128 v[26:29], off, off offset:816
	s_wait_loadcnt_dscnt 0x800
	v_mul_f64_e32 v[175:176], v[2:3], v[36:37]
	v_mul_f64_e32 v[36:37], v[4:5], v[36:37]
	v_add_f64_e32 v[169:170], v[169:170], v[153:154]
	v_add_f64_e32 v[157:158], v[157:158], v[155:156]
	ds_load_b128 v[153:156], v1 offset:1536
	v_fma_f64 v[165:166], v[165:166], v[30:31], v[167:168]
	v_fma_f64 v[163:164], v[163:164], v[30:31], -v[32:33]
	scratch_load_b128 v[30:33], off, off offset:832
	v_add_f64_e32 v[167:168], v[169:170], v[173:174]
	v_add_f64_e32 v[157:158], v[157:158], v[171:172]
	v_fma_f64 v[173:174], v[4:5], v[34:35], v[175:176]
	v_fma_f64 v[175:176], v[2:3], v[34:35], -v[36:37]
	ds_load_b128 v[2:5], v1 offset:1552
	scratch_load_b128 v[34:37], off, off offset:848
	s_wait_loadcnt_dscnt 0x901
	v_mul_f64_e32 v[169:170], v[153:154], v[161:162]
	v_mul_f64_e32 v[171:172], v[155:156], v[161:162]
	v_add_f64_e32 v[167:168], v[167:168], v[163:164]
	v_add_f64_e32 v[157:158], v[157:158], v[165:166]
	s_wait_loadcnt_dscnt 0x800
	v_mul_f64_e32 v[165:166], v[2:3], v[40:41]
	v_mul_f64_e32 v[40:41], v[4:5], v[40:41]
	ds_load_b128 v[161:164], v1 offset:1568
	v_fma_f64 v[155:156], v[155:156], v[159:160], v[169:170]
	v_fma_f64 v[153:154], v[153:154], v[159:160], -v[171:172]
	v_add_f64_e32 v[159:160], v[167:168], v[175:176]
	v_add_f64_e32 v[157:158], v[157:158], v[173:174]
	s_wait_loadcnt_dscnt 0x700
	v_mul_f64_e32 v[167:168], v[161:162], v[8:9]
	v_mul_f64_e32 v[8:9], v[163:164], v[8:9]
	v_fma_f64 v[165:166], v[4:5], v[38:39], v[165:166]
	v_fma_f64 v[169:170], v[2:3], v[38:39], -v[40:41]
	ds_load_b128 v[2:5], v1 offset:1584
	ds_load_b128 v[38:41], v1 offset:1600
	v_add_f64_e32 v[153:154], v[159:160], v[153:154]
	v_add_f64_e32 v[155:156], v[157:158], v[155:156]
	s_wait_loadcnt_dscnt 0x601
	v_mul_f64_e32 v[157:158], v[2:3], v[12:13]
	v_mul_f64_e32 v[12:13], v[4:5], v[12:13]
	v_fma_f64 v[159:160], v[163:164], v[6:7], v[167:168]
	v_fma_f64 v[6:7], v[161:162], v[6:7], -v[8:9]
	v_add_f64_e32 v[8:9], v[153:154], v[169:170]
	v_add_f64_e32 v[153:154], v[155:156], v[165:166]
	s_wait_loadcnt_dscnt 0x500
	v_mul_f64_e32 v[155:156], v[38:39], v[16:17]
	v_mul_f64_e32 v[16:17], v[40:41], v[16:17]
	v_fma_f64 v[157:158], v[4:5], v[10:11], v[157:158]
	v_fma_f64 v[10:11], v[2:3], v[10:11], -v[12:13]
	v_add_f64_e32 v[12:13], v[8:9], v[6:7]
	v_add_f64_e32 v[153:154], v[153:154], v[159:160]
	ds_load_b128 v[2:5], v1 offset:1616
	ds_load_b128 v[6:9], v1 offset:1632
	v_fma_f64 v[40:41], v[40:41], v[14:15], v[155:156]
	v_fma_f64 v[14:15], v[38:39], v[14:15], -v[16:17]
	s_wait_loadcnt_dscnt 0x401
	v_mul_f64_e32 v[159:160], v[2:3], v[20:21]
	v_mul_f64_e32 v[20:21], v[4:5], v[20:21]
	s_wait_loadcnt_dscnt 0x300
	v_mul_f64_e32 v[16:17], v[6:7], v[24:25]
	v_mul_f64_e32 v[24:25], v[8:9], v[24:25]
	v_add_f64_e32 v[10:11], v[12:13], v[10:11]
	v_add_f64_e32 v[12:13], v[153:154], v[157:158]
	v_fma_f64 v[38:39], v[4:5], v[18:19], v[159:160]
	v_fma_f64 v[18:19], v[2:3], v[18:19], -v[20:21]
	v_fma_f64 v[8:9], v[8:9], v[22:23], v[16:17]
	v_fma_f64 v[6:7], v[6:7], v[22:23], -v[24:25]
	v_add_f64_e32 v[14:15], v[10:11], v[14:15]
	v_add_f64_e32 v[20:21], v[12:13], v[40:41]
	ds_load_b128 v[2:5], v1 offset:1648
	ds_load_b128 v[10:13], v1 offset:1664
	s_wait_loadcnt_dscnt 0x201
	v_mul_f64_e32 v[40:41], v[2:3], v[28:29]
	v_mul_f64_e32 v[28:29], v[4:5], v[28:29]
	v_add_f64_e32 v[14:15], v[14:15], v[18:19]
	v_add_f64_e32 v[16:17], v[20:21], v[38:39]
	s_wait_loadcnt_dscnt 0x100
	v_mul_f64_e32 v[18:19], v[10:11], v[32:33]
	v_mul_f64_e32 v[20:21], v[12:13], v[32:33]
	v_fma_f64 v[22:23], v[4:5], v[26:27], v[40:41]
	v_fma_f64 v[24:25], v[2:3], v[26:27], -v[28:29]
	ds_load_b128 v[2:5], v1 offset:1680
	v_add_f64_e32 v[6:7], v[14:15], v[6:7]
	v_add_f64_e32 v[8:9], v[16:17], v[8:9]
	v_fma_f64 v[12:13], v[12:13], v[30:31], v[18:19]
	v_fma_f64 v[10:11], v[10:11], v[30:31], -v[20:21]
	s_wait_loadcnt_dscnt 0x0
	v_mul_f64_e32 v[14:15], v[2:3], v[36:37]
	v_mul_f64_e32 v[16:17], v[4:5], v[36:37]
	v_add_f64_e32 v[6:7], v[6:7], v[24:25]
	v_add_f64_e32 v[8:9], v[8:9], v[22:23]
	s_delay_alu instid0(VALU_DEP_4) | instskip(NEXT) | instid1(VALU_DEP_4)
	v_fma_f64 v[4:5], v[4:5], v[34:35], v[14:15]
	v_fma_f64 v[2:3], v[2:3], v[34:35], -v[16:17]
	s_delay_alu instid0(VALU_DEP_4) | instskip(NEXT) | instid1(VALU_DEP_4)
	v_add_f64_e32 v[6:7], v[6:7], v[10:11]
	v_add_f64_e32 v[8:9], v[8:9], v[12:13]
	s_delay_alu instid0(VALU_DEP_2) | instskip(NEXT) | instid1(VALU_DEP_2)
	v_add_f64_e32 v[2:3], v[6:7], v[2:3]
	v_add_f64_e32 v[4:5], v[8:9], v[4:5]
	s_delay_alu instid0(VALU_DEP_2) | instskip(NEXT) | instid1(VALU_DEP_2)
	v_add_f64_e64 v[2:3], v[42:43], -v[2:3]
	v_add_f64_e64 v[4:5], v[44:45], -v[4:5]
	scratch_store_b128 off, v[2:5], off offset:64
	v_cmpx_lt_u32_e32 2, v0
	s_cbranch_execz .LBB116_327
; %bb.326:
	scratch_load_b128 v[5:8], off, s13
	v_dual_mov_b32 v2, v1 :: v_dual_mov_b32 v3, v1
	v_mov_b32_e32 v4, v1
	scratch_store_b128 off, v[1:4], off offset:48
	s_wait_loadcnt 0x0
	ds_store_b128 v152, v[5:8]
.LBB116_327:
	s_wait_alu 0xfffe
	s_or_b32 exec_lo, exec_lo, s0
	s_wait_storecnt_dscnt 0x0
	s_barrier_signal -1
	s_barrier_wait -1
	global_inv scope:SCOPE_SE
	s_clause 0x8
	scratch_load_b128 v[2:5], off, off offset:64
	scratch_load_b128 v[6:9], off, off offset:80
	;; [unrolled: 1-line block ×9, first 2 shown]
	ds_load_b128 v[42:45], v1 offset:896
	ds_load_b128 v[38:41], v1 offset:912
	s_clause 0x1
	scratch_load_b128 v[153:156], off, off offset:48
	scratch_load_b128 v[157:160], off, off offset:208
	s_mov_b32 s0, exec_lo
	s_wait_loadcnt_dscnt 0xa01
	v_mul_f64_e32 v[161:162], v[44:45], v[4:5]
	v_mul_f64_e32 v[4:5], v[42:43], v[4:5]
	s_wait_loadcnt_dscnt 0x900
	v_mul_f64_e32 v[165:166], v[38:39], v[8:9]
	v_mul_f64_e32 v[8:9], v[40:41], v[8:9]
	s_delay_alu instid0(VALU_DEP_4) | instskip(NEXT) | instid1(VALU_DEP_4)
	v_fma_f64 v[167:168], v[42:43], v[2:3], -v[161:162]
	v_fma_f64 v[169:170], v[44:45], v[2:3], v[4:5]
	ds_load_b128 v[2:5], v1 offset:928
	ds_load_b128 v[161:164], v1 offset:944
	scratch_load_b128 v[42:45], off, off offset:224
	v_fma_f64 v[40:41], v[40:41], v[6:7], v[165:166]
	v_fma_f64 v[38:39], v[38:39], v[6:7], -v[8:9]
	scratch_load_b128 v[6:9], off, off offset:240
	s_wait_loadcnt_dscnt 0xa01
	v_mul_f64_e32 v[171:172], v[2:3], v[12:13]
	v_mul_f64_e32 v[12:13], v[4:5], v[12:13]
	v_add_f64_e32 v[165:166], 0, v[167:168]
	v_add_f64_e32 v[167:168], 0, v[169:170]
	s_wait_loadcnt_dscnt 0x900
	v_mul_f64_e32 v[169:170], v[161:162], v[16:17]
	v_mul_f64_e32 v[16:17], v[163:164], v[16:17]
	v_fma_f64 v[171:172], v[4:5], v[10:11], v[171:172]
	v_fma_f64 v[173:174], v[2:3], v[10:11], -v[12:13]
	ds_load_b128 v[2:5], v1 offset:960
	scratch_load_b128 v[10:13], off, off offset:256
	v_add_f64_e32 v[165:166], v[165:166], v[38:39]
	v_add_f64_e32 v[167:168], v[167:168], v[40:41]
	ds_load_b128 v[38:41], v1 offset:976
	v_fma_f64 v[163:164], v[163:164], v[14:15], v[169:170]
	v_fma_f64 v[161:162], v[161:162], v[14:15], -v[16:17]
	scratch_load_b128 v[14:17], off, off offset:272
	s_wait_loadcnt_dscnt 0xa01
	v_mul_f64_e32 v[175:176], v[2:3], v[20:21]
	v_mul_f64_e32 v[20:21], v[4:5], v[20:21]
	s_wait_loadcnt_dscnt 0x900
	v_mul_f64_e32 v[169:170], v[38:39], v[24:25]
	v_mul_f64_e32 v[24:25], v[40:41], v[24:25]
	v_add_f64_e32 v[165:166], v[165:166], v[173:174]
	v_add_f64_e32 v[167:168], v[167:168], v[171:172]
	v_fma_f64 v[171:172], v[4:5], v[18:19], v[175:176]
	v_fma_f64 v[173:174], v[2:3], v[18:19], -v[20:21]
	ds_load_b128 v[2:5], v1 offset:992
	scratch_load_b128 v[18:21], off, off offset:288
	v_fma_f64 v[40:41], v[40:41], v[22:23], v[169:170]
	v_fma_f64 v[38:39], v[38:39], v[22:23], -v[24:25]
	scratch_load_b128 v[22:25], off, off offset:304
	v_add_f64_e32 v[165:166], v[165:166], v[161:162]
	v_add_f64_e32 v[167:168], v[167:168], v[163:164]
	ds_load_b128 v[161:164], v1 offset:1008
	s_wait_loadcnt_dscnt 0xa01
	v_mul_f64_e32 v[175:176], v[2:3], v[28:29]
	v_mul_f64_e32 v[28:29], v[4:5], v[28:29]
	s_wait_loadcnt_dscnt 0x900
	v_mul_f64_e32 v[169:170], v[161:162], v[32:33]
	v_mul_f64_e32 v[32:33], v[163:164], v[32:33]
	v_add_f64_e32 v[165:166], v[165:166], v[173:174]
	v_add_f64_e32 v[167:168], v[167:168], v[171:172]
	v_fma_f64 v[171:172], v[4:5], v[26:27], v[175:176]
	v_fma_f64 v[173:174], v[2:3], v[26:27], -v[28:29]
	ds_load_b128 v[2:5], v1 offset:1024
	scratch_load_b128 v[26:29], off, off offset:320
	v_fma_f64 v[163:164], v[163:164], v[30:31], v[169:170]
	v_fma_f64 v[161:162], v[161:162], v[30:31], -v[32:33]
	scratch_load_b128 v[30:33], off, off offset:336
	v_add_f64_e32 v[165:166], v[165:166], v[38:39]
	v_add_f64_e32 v[167:168], v[167:168], v[40:41]
	ds_load_b128 v[38:41], v1 offset:1040
	s_wait_loadcnt_dscnt 0xa01
	v_mul_f64_e32 v[175:176], v[2:3], v[36:37]
	v_mul_f64_e32 v[36:37], v[4:5], v[36:37]
	s_wait_loadcnt_dscnt 0x800
	v_mul_f64_e32 v[169:170], v[38:39], v[159:160]
	v_add_f64_e32 v[165:166], v[165:166], v[173:174]
	v_add_f64_e32 v[167:168], v[167:168], v[171:172]
	v_mul_f64_e32 v[171:172], v[40:41], v[159:160]
	v_fma_f64 v[173:174], v[4:5], v[34:35], v[175:176]
	v_fma_f64 v[175:176], v[2:3], v[34:35], -v[36:37]
	ds_load_b128 v[2:5], v1 offset:1056
	scratch_load_b128 v[34:37], off, off offset:352
	v_fma_f64 v[169:170], v[40:41], v[157:158], v[169:170]
	v_add_f64_e32 v[165:166], v[165:166], v[161:162]
	v_add_f64_e32 v[163:164], v[167:168], v[163:164]
	ds_load_b128 v[159:162], v1 offset:1072
	v_fma_f64 v[157:158], v[38:39], v[157:158], -v[171:172]
	scratch_load_b128 v[38:41], off, off offset:368
	s_wait_loadcnt_dscnt 0x901
	v_mul_f64_e32 v[167:168], v[2:3], v[44:45]
	v_mul_f64_e32 v[44:45], v[4:5], v[44:45]
	s_wait_loadcnt_dscnt 0x800
	v_mul_f64_e32 v[171:172], v[159:160], v[8:9]
	v_mul_f64_e32 v[8:9], v[161:162], v[8:9]
	v_add_f64_e32 v[165:166], v[165:166], v[175:176]
	v_add_f64_e32 v[163:164], v[163:164], v[173:174]
	v_fma_f64 v[167:168], v[4:5], v[42:43], v[167:168]
	v_fma_f64 v[173:174], v[2:3], v[42:43], -v[44:45]
	ds_load_b128 v[2:5], v1 offset:1088
	scratch_load_b128 v[42:45], off, off offset:384
	v_fma_f64 v[161:162], v[161:162], v[6:7], v[171:172]
	v_fma_f64 v[159:160], v[159:160], v[6:7], -v[8:9]
	scratch_load_b128 v[6:9], off, off offset:400
	v_add_f64_e32 v[157:158], v[165:166], v[157:158]
	v_add_f64_e32 v[169:170], v[163:164], v[169:170]
	ds_load_b128 v[163:166], v1 offset:1104
	s_wait_loadcnt_dscnt 0x901
	v_mul_f64_e32 v[175:176], v[2:3], v[12:13]
	v_mul_f64_e32 v[12:13], v[4:5], v[12:13]
	v_add_f64_e32 v[157:158], v[157:158], v[173:174]
	v_add_f64_e32 v[167:168], v[169:170], v[167:168]
	s_wait_loadcnt_dscnt 0x800
	v_mul_f64_e32 v[169:170], v[163:164], v[16:17]
	v_mul_f64_e32 v[16:17], v[165:166], v[16:17]
	v_fma_f64 v[171:172], v[4:5], v[10:11], v[175:176]
	v_fma_f64 v[173:174], v[2:3], v[10:11], -v[12:13]
	ds_load_b128 v[2:5], v1 offset:1120
	scratch_load_b128 v[10:13], off, off offset:416
	v_add_f64_e32 v[175:176], v[157:158], v[159:160]
	v_add_f64_e32 v[161:162], v[167:168], v[161:162]
	ds_load_b128 v[157:160], v1 offset:1136
	s_wait_loadcnt_dscnt 0x801
	v_mul_f64_e32 v[167:168], v[2:3], v[20:21]
	v_mul_f64_e32 v[20:21], v[4:5], v[20:21]
	v_fma_f64 v[165:166], v[165:166], v[14:15], v[169:170]
	v_fma_f64 v[163:164], v[163:164], v[14:15], -v[16:17]
	scratch_load_b128 v[14:17], off, off offset:432
	v_add_f64_e32 v[169:170], v[175:176], v[173:174]
	v_add_f64_e32 v[161:162], v[161:162], v[171:172]
	s_wait_loadcnt_dscnt 0x800
	v_mul_f64_e32 v[171:172], v[157:158], v[24:25]
	v_mul_f64_e32 v[24:25], v[159:160], v[24:25]
	v_fma_f64 v[167:168], v[4:5], v[18:19], v[167:168]
	v_fma_f64 v[173:174], v[2:3], v[18:19], -v[20:21]
	ds_load_b128 v[2:5], v1 offset:1152
	scratch_load_b128 v[18:21], off, off offset:448
	v_add_f64_e32 v[169:170], v[169:170], v[163:164]
	v_add_f64_e32 v[165:166], v[161:162], v[165:166]
	ds_load_b128 v[161:164], v1 offset:1168
	s_wait_loadcnt_dscnt 0x801
	v_mul_f64_e32 v[175:176], v[2:3], v[28:29]
	v_mul_f64_e32 v[28:29], v[4:5], v[28:29]
	v_fma_f64 v[159:160], v[159:160], v[22:23], v[171:172]
	v_fma_f64 v[157:158], v[157:158], v[22:23], -v[24:25]
	scratch_load_b128 v[22:25], off, off offset:464
	;; [unrolled: 18-line block ×4, first 2 shown]
	s_wait_loadcnt_dscnt 0x800
	v_mul_f64_e32 v[169:170], v[161:162], v[8:9]
	v_mul_f64_e32 v[8:9], v[163:164], v[8:9]
	v_add_f64_e32 v[167:168], v[167:168], v[173:174]
	v_add_f64_e32 v[165:166], v[165:166], v[171:172]
	v_fma_f64 v[171:172], v[4:5], v[42:43], v[175:176]
	v_fma_f64 v[173:174], v[2:3], v[42:43], -v[44:45]
	ds_load_b128 v[2:5], v1 offset:1248
	scratch_load_b128 v[42:45], off, off offset:544
	v_fma_f64 v[163:164], v[163:164], v[6:7], v[169:170]
	v_fma_f64 v[161:162], v[161:162], v[6:7], -v[8:9]
	scratch_load_b128 v[6:9], off, off offset:560
	v_add_f64_e32 v[167:168], v[167:168], v[157:158]
	v_add_f64_e32 v[165:166], v[165:166], v[159:160]
	ds_load_b128 v[157:160], v1 offset:1264
	s_wait_loadcnt_dscnt 0x901
	v_mul_f64_e32 v[175:176], v[2:3], v[12:13]
	v_mul_f64_e32 v[12:13], v[4:5], v[12:13]
	s_wait_loadcnt_dscnt 0x800
	v_mul_f64_e32 v[169:170], v[157:158], v[16:17]
	v_mul_f64_e32 v[16:17], v[159:160], v[16:17]
	v_add_f64_e32 v[167:168], v[167:168], v[173:174]
	v_add_f64_e32 v[165:166], v[165:166], v[171:172]
	v_fma_f64 v[171:172], v[4:5], v[10:11], v[175:176]
	v_fma_f64 v[173:174], v[2:3], v[10:11], -v[12:13]
	ds_load_b128 v[2:5], v1 offset:1280
	scratch_load_b128 v[10:13], off, off offset:576
	v_fma_f64 v[159:160], v[159:160], v[14:15], v[169:170]
	v_fma_f64 v[157:158], v[157:158], v[14:15], -v[16:17]
	scratch_load_b128 v[14:17], off, off offset:592
	v_add_f64_e32 v[167:168], v[167:168], v[161:162]
	v_add_f64_e32 v[165:166], v[165:166], v[163:164]
	ds_load_b128 v[161:164], v1 offset:1296
	s_wait_loadcnt_dscnt 0x901
	v_mul_f64_e32 v[175:176], v[2:3], v[20:21]
	v_mul_f64_e32 v[20:21], v[4:5], v[20:21]
	;; [unrolled: 18-line block ×10, first 2 shown]
	s_wait_loadcnt_dscnt 0x800
	v_mul_f64_e32 v[169:170], v[161:162], v[8:9]
	v_mul_f64_e32 v[8:9], v[163:164], v[8:9]
	v_add_f64_e32 v[167:168], v[167:168], v[173:174]
	v_add_f64_e32 v[165:166], v[165:166], v[171:172]
	v_fma_f64 v[171:172], v[4:5], v[42:43], v[175:176]
	v_fma_f64 v[173:174], v[2:3], v[42:43], -v[44:45]
	ds_load_b128 v[2:5], v1 offset:1568
	ds_load_b128 v[42:45], v1 offset:1584
	v_fma_f64 v[163:164], v[163:164], v[6:7], v[169:170]
	v_fma_f64 v[6:7], v[161:162], v[6:7], -v[8:9]
	v_add_f64_e32 v[157:158], v[167:168], v[157:158]
	v_add_f64_e32 v[159:160], v[165:166], v[159:160]
	s_wait_loadcnt_dscnt 0x701
	v_mul_f64_e32 v[165:166], v[2:3], v[12:13]
	v_mul_f64_e32 v[12:13], v[4:5], v[12:13]
	s_delay_alu instid0(VALU_DEP_4) | instskip(NEXT) | instid1(VALU_DEP_4)
	v_add_f64_e32 v[8:9], v[157:158], v[173:174]
	v_add_f64_e32 v[157:158], v[159:160], v[171:172]
	s_wait_loadcnt_dscnt 0x600
	v_mul_f64_e32 v[159:160], v[42:43], v[16:17]
	v_mul_f64_e32 v[16:17], v[44:45], v[16:17]
	v_fma_f64 v[161:162], v[4:5], v[10:11], v[165:166]
	v_fma_f64 v[10:11], v[2:3], v[10:11], -v[12:13]
	v_add_f64_e32 v[12:13], v[8:9], v[6:7]
	v_add_f64_e32 v[157:158], v[157:158], v[163:164]
	ds_load_b128 v[2:5], v1 offset:1600
	ds_load_b128 v[6:9], v1 offset:1616
	v_fma_f64 v[44:45], v[44:45], v[14:15], v[159:160]
	v_fma_f64 v[14:15], v[42:43], v[14:15], -v[16:17]
	s_wait_loadcnt_dscnt 0x501
	v_mul_f64_e32 v[163:164], v[2:3], v[20:21]
	v_mul_f64_e32 v[20:21], v[4:5], v[20:21]
	s_wait_loadcnt_dscnt 0x400
	v_mul_f64_e32 v[16:17], v[6:7], v[24:25]
	v_mul_f64_e32 v[24:25], v[8:9], v[24:25]
	v_add_f64_e32 v[10:11], v[12:13], v[10:11]
	v_add_f64_e32 v[12:13], v[157:158], v[161:162]
	v_fma_f64 v[42:43], v[4:5], v[18:19], v[163:164]
	v_fma_f64 v[18:19], v[2:3], v[18:19], -v[20:21]
	v_fma_f64 v[8:9], v[8:9], v[22:23], v[16:17]
	v_fma_f64 v[6:7], v[6:7], v[22:23], -v[24:25]
	v_add_f64_e32 v[14:15], v[10:11], v[14:15]
	v_add_f64_e32 v[20:21], v[12:13], v[44:45]
	ds_load_b128 v[2:5], v1 offset:1632
	ds_load_b128 v[10:13], v1 offset:1648
	s_wait_loadcnt_dscnt 0x301
	v_mul_f64_e32 v[44:45], v[2:3], v[28:29]
	v_mul_f64_e32 v[28:29], v[4:5], v[28:29]
	v_add_f64_e32 v[14:15], v[14:15], v[18:19]
	v_add_f64_e32 v[16:17], v[20:21], v[42:43]
	s_wait_loadcnt_dscnt 0x200
	v_mul_f64_e32 v[18:19], v[10:11], v[32:33]
	v_mul_f64_e32 v[20:21], v[12:13], v[32:33]
	v_fma_f64 v[22:23], v[4:5], v[26:27], v[44:45]
	v_fma_f64 v[24:25], v[2:3], v[26:27], -v[28:29]
	v_add_f64_e32 v[14:15], v[14:15], v[6:7]
	v_add_f64_e32 v[16:17], v[16:17], v[8:9]
	ds_load_b128 v[2:5], v1 offset:1664
	ds_load_b128 v[6:9], v1 offset:1680
	v_fma_f64 v[12:13], v[12:13], v[30:31], v[18:19]
	v_fma_f64 v[10:11], v[10:11], v[30:31], -v[20:21]
	s_wait_loadcnt_dscnt 0x101
	v_mul_f64_e32 v[26:27], v[2:3], v[36:37]
	v_mul_f64_e32 v[28:29], v[4:5], v[36:37]
	s_wait_loadcnt_dscnt 0x0
	v_mul_f64_e32 v[18:19], v[6:7], v[40:41]
	v_mul_f64_e32 v[20:21], v[8:9], v[40:41]
	v_add_f64_e32 v[14:15], v[14:15], v[24:25]
	v_add_f64_e32 v[16:17], v[16:17], v[22:23]
	v_fma_f64 v[4:5], v[4:5], v[34:35], v[26:27]
	v_fma_f64 v[1:2], v[2:3], v[34:35], -v[28:29]
	v_fma_f64 v[8:9], v[8:9], v[38:39], v[18:19]
	v_fma_f64 v[6:7], v[6:7], v[38:39], -v[20:21]
	v_add_f64_e32 v[10:11], v[14:15], v[10:11]
	v_add_f64_e32 v[12:13], v[16:17], v[12:13]
	s_delay_alu instid0(VALU_DEP_2) | instskip(NEXT) | instid1(VALU_DEP_2)
	v_add_f64_e32 v[1:2], v[10:11], v[1:2]
	v_add_f64_e32 v[3:4], v[12:13], v[4:5]
	s_delay_alu instid0(VALU_DEP_2) | instskip(NEXT) | instid1(VALU_DEP_2)
	;; [unrolled: 3-line block ×3, first 2 shown]
	v_add_f64_e64 v[1:2], v[153:154], -v[1:2]
	v_add_f64_e64 v[3:4], v[155:156], -v[3:4]
	scratch_store_b128 off, v[1:4], off offset:48
	v_cmpx_lt_u32_e32 1, v0
	s_cbranch_execz .LBB116_329
; %bb.328:
	scratch_load_b128 v[1:4], off, s15
	v_mov_b32_e32 v5, 0
	s_delay_alu instid0(VALU_DEP_1)
	v_dual_mov_b32 v6, v5 :: v_dual_mov_b32 v7, v5
	v_mov_b32_e32 v8, v5
	scratch_store_b128 off, v[5:8], off offset:32
	s_wait_loadcnt 0x0
	ds_store_b128 v152, v[1:4]
.LBB116_329:
	s_wait_alu 0xfffe
	s_or_b32 exec_lo, exec_lo, s0
	s_wait_storecnt_dscnt 0x0
	s_barrier_signal -1
	s_barrier_wait -1
	global_inv scope:SCOPE_SE
	s_clause 0x7
	scratch_load_b128 v[2:5], off, off offset:48
	scratch_load_b128 v[6:9], off, off offset:64
	;; [unrolled: 1-line block ×8, first 2 shown]
	v_mov_b32_e32 v1, 0
	s_mov_b32 s0, exec_lo
	ds_load_b128 v[38:41], v1 offset:880
	s_clause 0x1
	scratch_load_b128 v[34:37], off, off offset:176
	scratch_load_b128 v[42:45], off, off offset:32
	ds_load_b128 v[153:156], v1 offset:896
	scratch_load_b128 v[157:160], off, off offset:192
	s_wait_loadcnt_dscnt 0xa01
	v_mul_f64_e32 v[161:162], v[40:41], v[4:5]
	v_mul_f64_e32 v[4:5], v[38:39], v[4:5]
	s_delay_alu instid0(VALU_DEP_2) | instskip(NEXT) | instid1(VALU_DEP_2)
	v_fma_f64 v[167:168], v[38:39], v[2:3], -v[161:162]
	v_fma_f64 v[169:170], v[40:41], v[2:3], v[4:5]
	ds_load_b128 v[2:5], v1 offset:912
	s_wait_loadcnt_dscnt 0x901
	v_mul_f64_e32 v[165:166], v[153:154], v[8:9]
	v_mul_f64_e32 v[8:9], v[155:156], v[8:9]
	scratch_load_b128 v[38:41], off, off offset:208
	ds_load_b128 v[161:164], v1 offset:928
	s_wait_loadcnt_dscnt 0x901
	v_mul_f64_e32 v[171:172], v[2:3], v[12:13]
	v_mul_f64_e32 v[12:13], v[4:5], v[12:13]
	v_fma_f64 v[155:156], v[155:156], v[6:7], v[165:166]
	v_fma_f64 v[153:154], v[153:154], v[6:7], -v[8:9]
	v_add_f64_e32 v[165:166], 0, v[167:168]
	v_add_f64_e32 v[167:168], 0, v[169:170]
	scratch_load_b128 v[6:9], off, off offset:224
	v_fma_f64 v[171:172], v[4:5], v[10:11], v[171:172]
	v_fma_f64 v[173:174], v[2:3], v[10:11], -v[12:13]
	ds_load_b128 v[2:5], v1 offset:944
	s_wait_loadcnt_dscnt 0x901
	v_mul_f64_e32 v[169:170], v[161:162], v[16:17]
	v_mul_f64_e32 v[16:17], v[163:164], v[16:17]
	scratch_load_b128 v[10:13], off, off offset:240
	v_add_f64_e32 v[165:166], v[165:166], v[153:154]
	v_add_f64_e32 v[167:168], v[167:168], v[155:156]
	s_wait_loadcnt_dscnt 0x900
	v_mul_f64_e32 v[175:176], v[2:3], v[20:21]
	v_mul_f64_e32 v[20:21], v[4:5], v[20:21]
	ds_load_b128 v[153:156], v1 offset:960
	v_fma_f64 v[163:164], v[163:164], v[14:15], v[169:170]
	v_fma_f64 v[161:162], v[161:162], v[14:15], -v[16:17]
	scratch_load_b128 v[14:17], off, off offset:256
	v_add_f64_e32 v[165:166], v[165:166], v[173:174]
	v_add_f64_e32 v[167:168], v[167:168], v[171:172]
	v_fma_f64 v[171:172], v[4:5], v[18:19], v[175:176]
	v_fma_f64 v[173:174], v[2:3], v[18:19], -v[20:21]
	ds_load_b128 v[2:5], v1 offset:976
	s_wait_loadcnt_dscnt 0x901
	v_mul_f64_e32 v[169:170], v[153:154], v[24:25]
	v_mul_f64_e32 v[24:25], v[155:156], v[24:25]
	scratch_load_b128 v[18:21], off, off offset:272
	s_wait_loadcnt_dscnt 0x900
	v_mul_f64_e32 v[175:176], v[2:3], v[28:29]
	v_mul_f64_e32 v[28:29], v[4:5], v[28:29]
	v_add_f64_e32 v[165:166], v[165:166], v[161:162]
	v_add_f64_e32 v[167:168], v[167:168], v[163:164]
	ds_load_b128 v[161:164], v1 offset:992
	v_fma_f64 v[155:156], v[155:156], v[22:23], v[169:170]
	v_fma_f64 v[153:154], v[153:154], v[22:23], -v[24:25]
	scratch_load_b128 v[22:25], off, off offset:288
	v_add_f64_e32 v[165:166], v[165:166], v[173:174]
	v_add_f64_e32 v[167:168], v[167:168], v[171:172]
	v_fma_f64 v[171:172], v[4:5], v[26:27], v[175:176]
	v_fma_f64 v[173:174], v[2:3], v[26:27], -v[28:29]
	ds_load_b128 v[2:5], v1 offset:1008
	s_wait_loadcnt_dscnt 0x901
	v_mul_f64_e32 v[169:170], v[161:162], v[32:33]
	v_mul_f64_e32 v[32:33], v[163:164], v[32:33]
	scratch_load_b128 v[26:29], off, off offset:304
	s_wait_loadcnt_dscnt 0x900
	v_mul_f64_e32 v[175:176], v[2:3], v[36:37]
	v_mul_f64_e32 v[36:37], v[4:5], v[36:37]
	v_add_f64_e32 v[165:166], v[165:166], v[153:154]
	v_add_f64_e32 v[167:168], v[167:168], v[155:156]
	ds_load_b128 v[153:156], v1 offset:1024
	v_fma_f64 v[163:164], v[163:164], v[30:31], v[169:170]
	v_fma_f64 v[161:162], v[161:162], v[30:31], -v[32:33]
	scratch_load_b128 v[30:33], off, off offset:320
	v_add_f64_e32 v[165:166], v[165:166], v[173:174]
	v_add_f64_e32 v[167:168], v[167:168], v[171:172]
	v_fma_f64 v[173:174], v[4:5], v[34:35], v[175:176]
	v_fma_f64 v[175:176], v[2:3], v[34:35], -v[36:37]
	ds_load_b128 v[2:5], v1 offset:1040
	s_wait_loadcnt_dscnt 0x801
	v_mul_f64_e32 v[169:170], v[153:154], v[159:160]
	v_mul_f64_e32 v[171:172], v[155:156], v[159:160]
	scratch_load_b128 v[34:37], off, off offset:336
	v_add_f64_e32 v[165:166], v[165:166], v[161:162]
	v_add_f64_e32 v[163:164], v[167:168], v[163:164]
	ds_load_b128 v[159:162], v1 offset:1056
	v_fma_f64 v[169:170], v[155:156], v[157:158], v[169:170]
	v_fma_f64 v[157:158], v[153:154], v[157:158], -v[171:172]
	scratch_load_b128 v[153:156], off, off offset:352
	s_wait_loadcnt_dscnt 0x901
	v_mul_f64_e32 v[167:168], v[2:3], v[40:41]
	v_mul_f64_e32 v[40:41], v[4:5], v[40:41]
	v_add_f64_e32 v[165:166], v[165:166], v[175:176]
	v_add_f64_e32 v[163:164], v[163:164], v[173:174]
	s_delay_alu instid0(VALU_DEP_4) | instskip(NEXT) | instid1(VALU_DEP_4)
	v_fma_f64 v[167:168], v[4:5], v[38:39], v[167:168]
	v_fma_f64 v[173:174], v[2:3], v[38:39], -v[40:41]
	ds_load_b128 v[2:5], v1 offset:1072
	s_wait_loadcnt_dscnt 0x801
	v_mul_f64_e32 v[171:172], v[159:160], v[8:9]
	v_mul_f64_e32 v[8:9], v[161:162], v[8:9]
	scratch_load_b128 v[38:41], off, off offset:368
	s_wait_loadcnt_dscnt 0x800
	v_mul_f64_e32 v[175:176], v[2:3], v[12:13]
	v_add_f64_e32 v[157:158], v[165:166], v[157:158]
	v_add_f64_e32 v[169:170], v[163:164], v[169:170]
	v_mul_f64_e32 v[12:13], v[4:5], v[12:13]
	ds_load_b128 v[163:166], v1 offset:1088
	v_fma_f64 v[161:162], v[161:162], v[6:7], v[171:172]
	v_fma_f64 v[159:160], v[159:160], v[6:7], -v[8:9]
	scratch_load_b128 v[6:9], off, off offset:384
	v_fma_f64 v[171:172], v[4:5], v[10:11], v[175:176]
	v_add_f64_e32 v[157:158], v[157:158], v[173:174]
	v_add_f64_e32 v[167:168], v[169:170], v[167:168]
	v_fma_f64 v[173:174], v[2:3], v[10:11], -v[12:13]
	ds_load_b128 v[2:5], v1 offset:1104
	s_wait_loadcnt_dscnt 0x801
	v_mul_f64_e32 v[169:170], v[163:164], v[16:17]
	v_mul_f64_e32 v[16:17], v[165:166], v[16:17]
	scratch_load_b128 v[10:13], off, off offset:400
	v_add_f64_e32 v[175:176], v[157:158], v[159:160]
	v_add_f64_e32 v[161:162], v[167:168], v[161:162]
	s_wait_loadcnt_dscnt 0x800
	v_mul_f64_e32 v[167:168], v[2:3], v[20:21]
	v_mul_f64_e32 v[20:21], v[4:5], v[20:21]
	v_fma_f64 v[165:166], v[165:166], v[14:15], v[169:170]
	v_fma_f64 v[163:164], v[163:164], v[14:15], -v[16:17]
	ds_load_b128 v[157:160], v1 offset:1120
	scratch_load_b128 v[14:17], off, off offset:416
	v_add_f64_e32 v[169:170], v[175:176], v[173:174]
	v_add_f64_e32 v[161:162], v[161:162], v[171:172]
	v_fma_f64 v[167:168], v[4:5], v[18:19], v[167:168]
	v_fma_f64 v[173:174], v[2:3], v[18:19], -v[20:21]
	ds_load_b128 v[2:5], v1 offset:1136
	s_wait_loadcnt_dscnt 0x801
	v_mul_f64_e32 v[171:172], v[157:158], v[24:25]
	v_mul_f64_e32 v[24:25], v[159:160], v[24:25]
	scratch_load_b128 v[18:21], off, off offset:432
	s_wait_loadcnt_dscnt 0x800
	v_mul_f64_e32 v[175:176], v[2:3], v[28:29]
	v_mul_f64_e32 v[28:29], v[4:5], v[28:29]
	v_add_f64_e32 v[169:170], v[169:170], v[163:164]
	v_add_f64_e32 v[165:166], v[161:162], v[165:166]
	ds_load_b128 v[161:164], v1 offset:1152
	v_fma_f64 v[159:160], v[159:160], v[22:23], v[171:172]
	v_fma_f64 v[157:158], v[157:158], v[22:23], -v[24:25]
	scratch_load_b128 v[22:25], off, off offset:448
	v_fma_f64 v[171:172], v[4:5], v[26:27], v[175:176]
	v_add_f64_e32 v[169:170], v[169:170], v[173:174]
	v_add_f64_e32 v[165:166], v[165:166], v[167:168]
	v_fma_f64 v[173:174], v[2:3], v[26:27], -v[28:29]
	ds_load_b128 v[2:5], v1 offset:1168
	s_wait_loadcnt_dscnt 0x801
	v_mul_f64_e32 v[167:168], v[161:162], v[32:33]
	v_mul_f64_e32 v[32:33], v[163:164], v[32:33]
	scratch_load_b128 v[26:29], off, off offset:464
	s_wait_loadcnt_dscnt 0x800
	v_mul_f64_e32 v[175:176], v[2:3], v[36:37]
	v_mul_f64_e32 v[36:37], v[4:5], v[36:37]
	v_add_f64_e32 v[169:170], v[169:170], v[157:158]
	v_add_f64_e32 v[165:166], v[165:166], v[159:160]
	ds_load_b128 v[157:160], v1 offset:1184
	v_fma_f64 v[163:164], v[163:164], v[30:31], v[167:168]
	v_fma_f64 v[161:162], v[161:162], v[30:31], -v[32:33]
	scratch_load_b128 v[30:33], off, off offset:480
	v_add_f64_e32 v[167:168], v[169:170], v[173:174]
	v_add_f64_e32 v[165:166], v[165:166], v[171:172]
	v_fma_f64 v[171:172], v[4:5], v[34:35], v[175:176]
	v_fma_f64 v[173:174], v[2:3], v[34:35], -v[36:37]
	ds_load_b128 v[2:5], v1 offset:1200
	s_wait_loadcnt_dscnt 0x801
	v_mul_f64_e32 v[169:170], v[157:158], v[155:156]
	v_mul_f64_e32 v[155:156], v[159:160], v[155:156]
	scratch_load_b128 v[34:37], off, off offset:496
	s_wait_loadcnt_dscnt 0x800
	v_mul_f64_e32 v[175:176], v[2:3], v[40:41]
	v_mul_f64_e32 v[40:41], v[4:5], v[40:41]
	v_add_f64_e32 v[167:168], v[167:168], v[161:162]
	v_add_f64_e32 v[165:166], v[165:166], v[163:164]
	ds_load_b128 v[161:164], v1 offset:1216
	v_fma_f64 v[159:160], v[159:160], v[153:154], v[169:170]
	v_fma_f64 v[157:158], v[157:158], v[153:154], -v[155:156]
	scratch_load_b128 v[153:156], off, off offset:512
	v_add_f64_e32 v[167:168], v[167:168], v[173:174]
	v_add_f64_e32 v[165:166], v[165:166], v[171:172]
	v_fma_f64 v[171:172], v[4:5], v[38:39], v[175:176]
	;; [unrolled: 18-line block ×6, first 2 shown]
	v_fma_f64 v[175:176], v[2:3], v[34:35], -v[36:37]
	ds_load_b128 v[2:5], v1 offset:1360
	s_wait_loadcnt_dscnt 0x801
	v_mul_f64_e32 v[169:170], v[161:162], v[155:156]
	v_mul_f64_e32 v[171:172], v[163:164], v[155:156]
	scratch_load_b128 v[34:37], off, off offset:656
	v_add_f64_e32 v[167:168], v[167:168], v[157:158]
	v_add_f64_e32 v[159:160], v[165:166], v[159:160]
	s_wait_loadcnt_dscnt 0x800
	v_mul_f64_e32 v[165:166], v[2:3], v[40:41]
	v_mul_f64_e32 v[40:41], v[4:5], v[40:41]
	ds_load_b128 v[155:158], v1 offset:1376
	v_fma_f64 v[163:164], v[163:164], v[153:154], v[169:170]
	v_fma_f64 v[153:154], v[161:162], v[153:154], -v[171:172]
	v_add_f64_e32 v[167:168], v[167:168], v[175:176]
	v_add_f64_e32 v[169:170], v[159:160], v[173:174]
	scratch_load_b128 v[159:162], off, off offset:672
	v_fma_f64 v[173:174], v[4:5], v[38:39], v[165:166]
	v_fma_f64 v[175:176], v[2:3], v[38:39], -v[40:41]
	ds_load_b128 v[2:5], v1 offset:1392
	s_wait_loadcnt_dscnt 0x801
	v_mul_f64_e32 v[171:172], v[155:156], v[8:9]
	v_mul_f64_e32 v[8:9], v[157:158], v[8:9]
	scratch_load_b128 v[38:41], off, off offset:688
	v_add_f64_e32 v[153:154], v[167:168], v[153:154]
	v_add_f64_e32 v[167:168], v[169:170], v[163:164]
	s_wait_loadcnt_dscnt 0x800
	v_mul_f64_e32 v[169:170], v[2:3], v[12:13]
	v_mul_f64_e32 v[12:13], v[4:5], v[12:13]
	ds_load_b128 v[163:166], v1 offset:1408
	v_fma_f64 v[157:158], v[157:158], v[6:7], v[171:172]
	v_fma_f64 v[155:156], v[155:156], v[6:7], -v[8:9]
	scratch_load_b128 v[6:9], off, off offset:704
	v_add_f64_e32 v[153:154], v[153:154], v[175:176]
	v_add_f64_e32 v[167:168], v[167:168], v[173:174]
	v_fma_f64 v[169:170], v[4:5], v[10:11], v[169:170]
	v_fma_f64 v[173:174], v[2:3], v[10:11], -v[12:13]
	ds_load_b128 v[2:5], v1 offset:1424
	s_wait_loadcnt_dscnt 0x801
	v_mul_f64_e32 v[171:172], v[163:164], v[16:17]
	v_mul_f64_e32 v[16:17], v[165:166], v[16:17]
	scratch_load_b128 v[10:13], off, off offset:720
	v_add_f64_e32 v[175:176], v[153:154], v[155:156]
	v_add_f64_e32 v[157:158], v[167:168], v[157:158]
	s_wait_loadcnt_dscnt 0x800
	v_mul_f64_e32 v[167:168], v[2:3], v[20:21]
	v_mul_f64_e32 v[20:21], v[4:5], v[20:21]
	ds_load_b128 v[153:156], v1 offset:1440
	v_fma_f64 v[165:166], v[165:166], v[14:15], v[171:172]
	v_fma_f64 v[163:164], v[163:164], v[14:15], -v[16:17]
	scratch_load_b128 v[14:17], off, off offset:736
	v_add_f64_e32 v[171:172], v[175:176], v[173:174]
	v_add_f64_e32 v[157:158], v[157:158], v[169:170]
	v_fma_f64 v[167:168], v[4:5], v[18:19], v[167:168]
	v_fma_f64 v[173:174], v[2:3], v[18:19], -v[20:21]
	ds_load_b128 v[2:5], v1 offset:1456
	s_wait_loadcnt_dscnt 0x801
	v_mul_f64_e32 v[169:170], v[153:154], v[24:25]
	v_mul_f64_e32 v[24:25], v[155:156], v[24:25]
	scratch_load_b128 v[18:21], off, off offset:752
	s_wait_loadcnt_dscnt 0x800
	v_mul_f64_e32 v[175:176], v[2:3], v[28:29]
	v_mul_f64_e32 v[28:29], v[4:5], v[28:29]
	v_add_f64_e32 v[171:172], v[171:172], v[163:164]
	v_add_f64_e32 v[157:158], v[157:158], v[165:166]
	ds_load_b128 v[163:166], v1 offset:1472
	v_fma_f64 v[155:156], v[155:156], v[22:23], v[169:170]
	v_fma_f64 v[153:154], v[153:154], v[22:23], -v[24:25]
	scratch_load_b128 v[22:25], off, off offset:768
	v_add_f64_e32 v[169:170], v[171:172], v[173:174]
	v_add_f64_e32 v[157:158], v[157:158], v[167:168]
	v_fma_f64 v[171:172], v[4:5], v[26:27], v[175:176]
	v_fma_f64 v[173:174], v[2:3], v[26:27], -v[28:29]
	ds_load_b128 v[2:5], v1 offset:1488
	s_wait_loadcnt_dscnt 0x801
	v_mul_f64_e32 v[167:168], v[163:164], v[32:33]
	v_mul_f64_e32 v[32:33], v[165:166], v[32:33]
	scratch_load_b128 v[26:29], off, off offset:784
	s_wait_loadcnt_dscnt 0x800
	v_mul_f64_e32 v[175:176], v[2:3], v[36:37]
	v_mul_f64_e32 v[36:37], v[4:5], v[36:37]
	v_add_f64_e32 v[169:170], v[169:170], v[153:154]
	v_add_f64_e32 v[157:158], v[157:158], v[155:156]
	ds_load_b128 v[153:156], v1 offset:1504
	v_fma_f64 v[165:166], v[165:166], v[30:31], v[167:168]
	v_fma_f64 v[163:164], v[163:164], v[30:31], -v[32:33]
	scratch_load_b128 v[30:33], off, off offset:800
	v_add_f64_e32 v[167:168], v[169:170], v[173:174]
	v_add_f64_e32 v[157:158], v[157:158], v[171:172]
	v_fma_f64 v[173:174], v[4:5], v[34:35], v[175:176]
	v_fma_f64 v[175:176], v[2:3], v[34:35], -v[36:37]
	ds_load_b128 v[2:5], v1 offset:1520
	scratch_load_b128 v[34:37], off, off offset:816
	s_wait_loadcnt_dscnt 0x901
	v_mul_f64_e32 v[169:170], v[153:154], v[161:162]
	v_mul_f64_e32 v[171:172], v[155:156], v[161:162]
	v_add_f64_e32 v[167:168], v[167:168], v[163:164]
	v_add_f64_e32 v[157:158], v[157:158], v[165:166]
	s_wait_loadcnt_dscnt 0x800
	v_mul_f64_e32 v[165:166], v[2:3], v[40:41]
	v_mul_f64_e32 v[40:41], v[4:5], v[40:41]
	ds_load_b128 v[161:164], v1 offset:1536
	v_fma_f64 v[169:170], v[155:156], v[159:160], v[169:170]
	v_fma_f64 v[159:160], v[153:154], v[159:160], -v[171:172]
	scratch_load_b128 v[153:156], off, off offset:832
	v_add_f64_e32 v[167:168], v[167:168], v[175:176]
	v_add_f64_e32 v[157:158], v[157:158], v[173:174]
	v_fma_f64 v[165:166], v[4:5], v[38:39], v[165:166]
	v_fma_f64 v[173:174], v[2:3], v[38:39], -v[40:41]
	ds_load_b128 v[2:5], v1 offset:1552
	s_wait_loadcnt_dscnt 0x801
	v_mul_f64_e32 v[171:172], v[161:162], v[8:9]
	v_mul_f64_e32 v[8:9], v[163:164], v[8:9]
	scratch_load_b128 v[38:41], off, off offset:848
	s_wait_loadcnt_dscnt 0x800
	v_mul_f64_e32 v[175:176], v[2:3], v[12:13]
	v_mul_f64_e32 v[12:13], v[4:5], v[12:13]
	v_add_f64_e32 v[167:168], v[167:168], v[159:160]
	v_add_f64_e32 v[169:170], v[157:158], v[169:170]
	ds_load_b128 v[157:160], v1 offset:1568
	v_fma_f64 v[163:164], v[163:164], v[6:7], v[171:172]
	v_fma_f64 v[6:7], v[161:162], v[6:7], -v[8:9]
	v_add_f64_e32 v[8:9], v[167:168], v[173:174]
	v_add_f64_e32 v[161:162], v[169:170], v[165:166]
	s_wait_loadcnt_dscnt 0x700
	v_mul_f64_e32 v[165:166], v[157:158], v[16:17]
	v_mul_f64_e32 v[16:17], v[159:160], v[16:17]
	v_fma_f64 v[167:168], v[4:5], v[10:11], v[175:176]
	v_fma_f64 v[10:11], v[2:3], v[10:11], -v[12:13]
	v_add_f64_e32 v[12:13], v[8:9], v[6:7]
	v_add_f64_e32 v[161:162], v[161:162], v[163:164]
	ds_load_b128 v[2:5], v1 offset:1584
	ds_load_b128 v[6:9], v1 offset:1600
	v_fma_f64 v[159:160], v[159:160], v[14:15], v[165:166]
	v_fma_f64 v[14:15], v[157:158], v[14:15], -v[16:17]
	s_wait_loadcnt_dscnt 0x601
	v_mul_f64_e32 v[163:164], v[2:3], v[20:21]
	v_mul_f64_e32 v[20:21], v[4:5], v[20:21]
	s_wait_loadcnt_dscnt 0x500
	v_mul_f64_e32 v[16:17], v[6:7], v[24:25]
	v_mul_f64_e32 v[24:25], v[8:9], v[24:25]
	v_add_f64_e32 v[10:11], v[12:13], v[10:11]
	v_add_f64_e32 v[12:13], v[161:162], v[167:168]
	v_fma_f64 v[157:158], v[4:5], v[18:19], v[163:164]
	v_fma_f64 v[18:19], v[2:3], v[18:19], -v[20:21]
	v_fma_f64 v[8:9], v[8:9], v[22:23], v[16:17]
	v_fma_f64 v[6:7], v[6:7], v[22:23], -v[24:25]
	v_add_f64_e32 v[14:15], v[10:11], v[14:15]
	v_add_f64_e32 v[20:21], v[12:13], v[159:160]
	ds_load_b128 v[2:5], v1 offset:1616
	ds_load_b128 v[10:13], v1 offset:1632
	s_wait_loadcnt_dscnt 0x401
	v_mul_f64_e32 v[159:160], v[2:3], v[28:29]
	v_mul_f64_e32 v[28:29], v[4:5], v[28:29]
	v_add_f64_e32 v[14:15], v[14:15], v[18:19]
	v_add_f64_e32 v[16:17], v[20:21], v[157:158]
	s_wait_loadcnt_dscnt 0x300
	v_mul_f64_e32 v[18:19], v[10:11], v[32:33]
	v_mul_f64_e32 v[20:21], v[12:13], v[32:33]
	v_fma_f64 v[22:23], v[4:5], v[26:27], v[159:160]
	v_fma_f64 v[24:25], v[2:3], v[26:27], -v[28:29]
	v_add_f64_e32 v[14:15], v[14:15], v[6:7]
	v_add_f64_e32 v[16:17], v[16:17], v[8:9]
	ds_load_b128 v[2:5], v1 offset:1648
	ds_load_b128 v[6:9], v1 offset:1664
	v_fma_f64 v[12:13], v[12:13], v[30:31], v[18:19]
	v_fma_f64 v[10:11], v[10:11], v[30:31], -v[20:21]
	s_wait_loadcnt_dscnt 0x201
	v_mul_f64_e32 v[26:27], v[2:3], v[36:37]
	v_mul_f64_e32 v[28:29], v[4:5], v[36:37]
	s_wait_loadcnt_dscnt 0x100
	v_mul_f64_e32 v[18:19], v[6:7], v[155:156]
	v_mul_f64_e32 v[20:21], v[8:9], v[155:156]
	v_add_f64_e32 v[14:15], v[14:15], v[24:25]
	v_add_f64_e32 v[16:17], v[16:17], v[22:23]
	v_fma_f64 v[22:23], v[4:5], v[34:35], v[26:27]
	v_fma_f64 v[24:25], v[2:3], v[34:35], -v[28:29]
	ds_load_b128 v[2:5], v1 offset:1680
	v_fma_f64 v[8:9], v[8:9], v[153:154], v[18:19]
	v_fma_f64 v[6:7], v[6:7], v[153:154], -v[20:21]
	v_add_f64_e32 v[10:11], v[14:15], v[10:11]
	v_add_f64_e32 v[12:13], v[16:17], v[12:13]
	s_wait_loadcnt_dscnt 0x0
	v_mul_f64_e32 v[14:15], v[2:3], v[40:41]
	v_mul_f64_e32 v[16:17], v[4:5], v[40:41]
	s_delay_alu instid0(VALU_DEP_4) | instskip(NEXT) | instid1(VALU_DEP_4)
	v_add_f64_e32 v[10:11], v[10:11], v[24:25]
	v_add_f64_e32 v[12:13], v[12:13], v[22:23]
	s_delay_alu instid0(VALU_DEP_4) | instskip(NEXT) | instid1(VALU_DEP_4)
	v_fma_f64 v[4:5], v[4:5], v[38:39], v[14:15]
	v_fma_f64 v[2:3], v[2:3], v[38:39], -v[16:17]
	s_delay_alu instid0(VALU_DEP_4) | instskip(NEXT) | instid1(VALU_DEP_4)
	v_add_f64_e32 v[6:7], v[10:11], v[6:7]
	v_add_f64_e32 v[8:9], v[12:13], v[8:9]
	s_delay_alu instid0(VALU_DEP_2) | instskip(NEXT) | instid1(VALU_DEP_2)
	v_add_f64_e32 v[2:3], v[6:7], v[2:3]
	v_add_f64_e32 v[4:5], v[8:9], v[4:5]
	s_delay_alu instid0(VALU_DEP_2) | instskip(NEXT) | instid1(VALU_DEP_2)
	v_add_f64_e64 v[2:3], v[42:43], -v[2:3]
	v_add_f64_e64 v[4:5], v[44:45], -v[4:5]
	scratch_store_b128 off, v[2:5], off offset:32
	v_cmpx_ne_u32_e32 0, v0
	s_cbranch_execz .LBB116_331
; %bb.330:
	scratch_load_b128 v[5:8], off, off offset:16
	v_dual_mov_b32 v2, v1 :: v_dual_mov_b32 v3, v1
	v_mov_b32_e32 v4, v1
	scratch_store_b128 off, v[1:4], off offset:16
	s_wait_loadcnt 0x0
	ds_store_b128 v152, v[5:8]
.LBB116_331:
	s_wait_alu 0xfffe
	s_or_b32 exec_lo, exec_lo, s0
	s_wait_storecnt_dscnt 0x0
	s_barrier_signal -1
	s_barrier_wait -1
	global_inv scope:SCOPE_SE
	s_clause 0x8
	scratch_load_b128 v[2:5], off, off offset:32
	scratch_load_b128 v[6:9], off, off offset:48
	;; [unrolled: 1-line block ×9, first 2 shown]
	ds_load_b128 v[42:45], v1 offset:864
	ds_load_b128 v[38:41], v1 offset:880
	s_clause 0x1
	scratch_load_b128 v[152:155], off, off offset:16
	scratch_load_b128 v[156:159], off, off offset:176
	s_and_b32 vcc_lo, exec_lo, s12
	s_wait_loadcnt_dscnt 0xa01
	v_mul_f64_e32 v[160:161], v[44:45], v[4:5]
	v_mul_f64_e32 v[4:5], v[42:43], v[4:5]
	s_wait_loadcnt_dscnt 0x900
	v_mul_f64_e32 v[164:165], v[38:39], v[8:9]
	v_mul_f64_e32 v[8:9], v[40:41], v[8:9]
	s_delay_alu instid0(VALU_DEP_4) | instskip(NEXT) | instid1(VALU_DEP_4)
	v_fma_f64 v[166:167], v[42:43], v[2:3], -v[160:161]
	v_fma_f64 v[168:169], v[44:45], v[2:3], v[4:5]
	ds_load_b128 v[2:5], v1 offset:896
	ds_load_b128 v[160:163], v1 offset:912
	scratch_load_b128 v[42:45], off, off offset:192
	v_fma_f64 v[40:41], v[40:41], v[6:7], v[164:165]
	v_fma_f64 v[38:39], v[38:39], v[6:7], -v[8:9]
	scratch_load_b128 v[6:9], off, off offset:208
	s_wait_loadcnt_dscnt 0xa01
	v_mul_f64_e32 v[170:171], v[2:3], v[12:13]
	v_mul_f64_e32 v[12:13], v[4:5], v[12:13]
	v_add_f64_e32 v[164:165], 0, v[166:167]
	v_add_f64_e32 v[166:167], 0, v[168:169]
	s_wait_loadcnt_dscnt 0x900
	v_mul_f64_e32 v[168:169], v[160:161], v[16:17]
	v_mul_f64_e32 v[16:17], v[162:163], v[16:17]
	v_fma_f64 v[170:171], v[4:5], v[10:11], v[170:171]
	v_fma_f64 v[172:173], v[2:3], v[10:11], -v[12:13]
	ds_load_b128 v[2:5], v1 offset:928
	scratch_load_b128 v[10:13], off, off offset:224
	v_add_f64_e32 v[164:165], v[164:165], v[38:39]
	v_add_f64_e32 v[166:167], v[166:167], v[40:41]
	ds_load_b128 v[38:41], v1 offset:944
	v_fma_f64 v[162:163], v[162:163], v[14:15], v[168:169]
	v_fma_f64 v[160:161], v[160:161], v[14:15], -v[16:17]
	scratch_load_b128 v[14:17], off, off offset:240
	s_wait_loadcnt_dscnt 0xa01
	v_mul_f64_e32 v[174:175], v[2:3], v[20:21]
	v_mul_f64_e32 v[20:21], v[4:5], v[20:21]
	s_wait_loadcnt_dscnt 0x900
	v_mul_f64_e32 v[168:169], v[38:39], v[24:25]
	v_mul_f64_e32 v[24:25], v[40:41], v[24:25]
	v_add_f64_e32 v[164:165], v[164:165], v[172:173]
	v_add_f64_e32 v[166:167], v[166:167], v[170:171]
	v_fma_f64 v[170:171], v[4:5], v[18:19], v[174:175]
	v_fma_f64 v[172:173], v[2:3], v[18:19], -v[20:21]
	ds_load_b128 v[2:5], v1 offset:960
	scratch_load_b128 v[18:21], off, off offset:256
	v_fma_f64 v[40:41], v[40:41], v[22:23], v[168:169]
	v_fma_f64 v[38:39], v[38:39], v[22:23], -v[24:25]
	scratch_load_b128 v[22:25], off, off offset:272
	v_add_f64_e32 v[164:165], v[164:165], v[160:161]
	v_add_f64_e32 v[166:167], v[166:167], v[162:163]
	ds_load_b128 v[160:163], v1 offset:976
	s_wait_loadcnt_dscnt 0xa01
	v_mul_f64_e32 v[174:175], v[2:3], v[28:29]
	v_mul_f64_e32 v[28:29], v[4:5], v[28:29]
	s_wait_loadcnt_dscnt 0x900
	v_mul_f64_e32 v[168:169], v[160:161], v[32:33]
	v_mul_f64_e32 v[32:33], v[162:163], v[32:33]
	v_add_f64_e32 v[164:165], v[164:165], v[172:173]
	v_add_f64_e32 v[166:167], v[166:167], v[170:171]
	v_fma_f64 v[170:171], v[4:5], v[26:27], v[174:175]
	v_fma_f64 v[172:173], v[2:3], v[26:27], -v[28:29]
	ds_load_b128 v[2:5], v1 offset:992
	scratch_load_b128 v[26:29], off, off offset:288
	v_fma_f64 v[162:163], v[162:163], v[30:31], v[168:169]
	v_fma_f64 v[160:161], v[160:161], v[30:31], -v[32:33]
	scratch_load_b128 v[30:33], off, off offset:304
	v_add_f64_e32 v[164:165], v[164:165], v[38:39]
	v_add_f64_e32 v[166:167], v[166:167], v[40:41]
	ds_load_b128 v[38:41], v1 offset:1008
	s_wait_loadcnt_dscnt 0xa01
	v_mul_f64_e32 v[174:175], v[2:3], v[36:37]
	v_mul_f64_e32 v[36:37], v[4:5], v[36:37]
	s_wait_loadcnt_dscnt 0x800
	v_mul_f64_e32 v[168:169], v[38:39], v[158:159]
	v_add_f64_e32 v[164:165], v[164:165], v[172:173]
	v_add_f64_e32 v[166:167], v[166:167], v[170:171]
	v_mul_f64_e32 v[170:171], v[40:41], v[158:159]
	v_fma_f64 v[172:173], v[4:5], v[34:35], v[174:175]
	v_fma_f64 v[174:175], v[2:3], v[34:35], -v[36:37]
	ds_load_b128 v[2:5], v1 offset:1024
	scratch_load_b128 v[34:37], off, off offset:320
	v_fma_f64 v[168:169], v[40:41], v[156:157], v[168:169]
	v_add_f64_e32 v[164:165], v[164:165], v[160:161]
	v_add_f64_e32 v[162:163], v[166:167], v[162:163]
	ds_load_b128 v[158:161], v1 offset:1040
	v_fma_f64 v[156:157], v[38:39], v[156:157], -v[170:171]
	scratch_load_b128 v[38:41], off, off offset:336
	s_wait_loadcnt_dscnt 0x901
	v_mul_f64_e32 v[166:167], v[2:3], v[44:45]
	v_mul_f64_e32 v[44:45], v[4:5], v[44:45]
	s_wait_loadcnt_dscnt 0x800
	v_mul_f64_e32 v[170:171], v[158:159], v[8:9]
	v_mul_f64_e32 v[8:9], v[160:161], v[8:9]
	v_add_f64_e32 v[164:165], v[164:165], v[174:175]
	v_add_f64_e32 v[162:163], v[162:163], v[172:173]
	v_fma_f64 v[166:167], v[4:5], v[42:43], v[166:167]
	v_fma_f64 v[172:173], v[2:3], v[42:43], -v[44:45]
	ds_load_b128 v[2:5], v1 offset:1056
	scratch_load_b128 v[42:45], off, off offset:352
	v_fma_f64 v[160:161], v[160:161], v[6:7], v[170:171]
	v_fma_f64 v[158:159], v[158:159], v[6:7], -v[8:9]
	scratch_load_b128 v[6:9], off, off offset:368
	v_add_f64_e32 v[156:157], v[164:165], v[156:157]
	v_add_f64_e32 v[168:169], v[162:163], v[168:169]
	ds_load_b128 v[162:165], v1 offset:1072
	s_wait_loadcnt_dscnt 0x901
	v_mul_f64_e32 v[174:175], v[2:3], v[12:13]
	v_mul_f64_e32 v[12:13], v[4:5], v[12:13]
	v_add_f64_e32 v[156:157], v[156:157], v[172:173]
	v_add_f64_e32 v[166:167], v[168:169], v[166:167]
	s_wait_loadcnt_dscnt 0x800
	v_mul_f64_e32 v[168:169], v[162:163], v[16:17]
	v_mul_f64_e32 v[16:17], v[164:165], v[16:17]
	v_fma_f64 v[170:171], v[4:5], v[10:11], v[174:175]
	v_fma_f64 v[172:173], v[2:3], v[10:11], -v[12:13]
	ds_load_b128 v[2:5], v1 offset:1088
	scratch_load_b128 v[10:13], off, off offset:384
	v_add_f64_e32 v[174:175], v[156:157], v[158:159]
	v_add_f64_e32 v[160:161], v[166:167], v[160:161]
	ds_load_b128 v[156:159], v1 offset:1104
	s_wait_loadcnt_dscnt 0x801
	v_mul_f64_e32 v[166:167], v[2:3], v[20:21]
	v_mul_f64_e32 v[20:21], v[4:5], v[20:21]
	v_fma_f64 v[164:165], v[164:165], v[14:15], v[168:169]
	v_fma_f64 v[162:163], v[162:163], v[14:15], -v[16:17]
	scratch_load_b128 v[14:17], off, off offset:400
	v_add_f64_e32 v[168:169], v[174:175], v[172:173]
	v_add_f64_e32 v[160:161], v[160:161], v[170:171]
	s_wait_loadcnt_dscnt 0x800
	v_mul_f64_e32 v[170:171], v[156:157], v[24:25]
	v_mul_f64_e32 v[24:25], v[158:159], v[24:25]
	v_fma_f64 v[166:167], v[4:5], v[18:19], v[166:167]
	v_fma_f64 v[172:173], v[2:3], v[18:19], -v[20:21]
	ds_load_b128 v[2:5], v1 offset:1120
	scratch_load_b128 v[18:21], off, off offset:416
	v_add_f64_e32 v[168:169], v[168:169], v[162:163]
	v_add_f64_e32 v[164:165], v[160:161], v[164:165]
	ds_load_b128 v[160:163], v1 offset:1136
	s_wait_loadcnt_dscnt 0x801
	v_mul_f64_e32 v[174:175], v[2:3], v[28:29]
	v_mul_f64_e32 v[28:29], v[4:5], v[28:29]
	v_fma_f64 v[158:159], v[158:159], v[22:23], v[170:171]
	v_fma_f64 v[156:157], v[156:157], v[22:23], -v[24:25]
	scratch_load_b128 v[22:25], off, off offset:432
	;; [unrolled: 18-line block ×4, first 2 shown]
	s_wait_loadcnt_dscnt 0x800
	v_mul_f64_e32 v[168:169], v[160:161], v[8:9]
	v_mul_f64_e32 v[8:9], v[162:163], v[8:9]
	v_add_f64_e32 v[166:167], v[166:167], v[172:173]
	v_add_f64_e32 v[164:165], v[164:165], v[170:171]
	v_fma_f64 v[170:171], v[4:5], v[42:43], v[174:175]
	v_fma_f64 v[172:173], v[2:3], v[42:43], -v[44:45]
	ds_load_b128 v[2:5], v1 offset:1216
	scratch_load_b128 v[42:45], off, off offset:512
	v_fma_f64 v[162:163], v[162:163], v[6:7], v[168:169]
	v_fma_f64 v[160:161], v[160:161], v[6:7], -v[8:9]
	scratch_load_b128 v[6:9], off, off offset:528
	v_add_f64_e32 v[166:167], v[166:167], v[156:157]
	v_add_f64_e32 v[164:165], v[164:165], v[158:159]
	ds_load_b128 v[156:159], v1 offset:1232
	s_wait_loadcnt_dscnt 0x901
	v_mul_f64_e32 v[174:175], v[2:3], v[12:13]
	v_mul_f64_e32 v[12:13], v[4:5], v[12:13]
	s_wait_loadcnt_dscnt 0x800
	v_mul_f64_e32 v[168:169], v[156:157], v[16:17]
	v_mul_f64_e32 v[16:17], v[158:159], v[16:17]
	v_add_f64_e32 v[166:167], v[166:167], v[172:173]
	v_add_f64_e32 v[164:165], v[164:165], v[170:171]
	v_fma_f64 v[170:171], v[4:5], v[10:11], v[174:175]
	v_fma_f64 v[172:173], v[2:3], v[10:11], -v[12:13]
	ds_load_b128 v[2:5], v1 offset:1248
	scratch_load_b128 v[10:13], off, off offset:544
	v_fma_f64 v[158:159], v[158:159], v[14:15], v[168:169]
	v_fma_f64 v[156:157], v[156:157], v[14:15], -v[16:17]
	scratch_load_b128 v[14:17], off, off offset:560
	v_add_f64_e32 v[166:167], v[166:167], v[160:161]
	v_add_f64_e32 v[164:165], v[164:165], v[162:163]
	ds_load_b128 v[160:163], v1 offset:1264
	s_wait_loadcnt_dscnt 0x901
	v_mul_f64_e32 v[174:175], v[2:3], v[20:21]
	v_mul_f64_e32 v[20:21], v[4:5], v[20:21]
	;; [unrolled: 18-line block ×11, first 2 shown]
	s_wait_loadcnt_dscnt 0x800
	v_mul_f64_e32 v[168:169], v[156:157], v[16:17]
	v_mul_f64_e32 v[16:17], v[158:159], v[16:17]
	v_add_f64_e32 v[166:167], v[166:167], v[172:173]
	v_add_f64_e32 v[164:165], v[164:165], v[170:171]
	v_fma_f64 v[170:171], v[4:5], v[10:11], v[174:175]
	v_fma_f64 v[172:173], v[2:3], v[10:11], -v[12:13]
	ds_load_b128 v[2:5], v1 offset:1568
	ds_load_b128 v[10:13], v1 offset:1584
	v_fma_f64 v[158:159], v[158:159], v[14:15], v[168:169]
	v_fma_f64 v[14:15], v[156:157], v[14:15], -v[16:17]
	v_add_f64_e32 v[160:161], v[166:167], v[160:161]
	v_add_f64_e32 v[162:163], v[164:165], v[162:163]
	s_wait_loadcnt_dscnt 0x701
	v_mul_f64_e32 v[164:165], v[2:3], v[20:21]
	v_mul_f64_e32 v[20:21], v[4:5], v[20:21]
	s_delay_alu instid0(VALU_DEP_4) | instskip(NEXT) | instid1(VALU_DEP_4)
	v_add_f64_e32 v[16:17], v[160:161], v[172:173]
	v_add_f64_e32 v[156:157], v[162:163], v[170:171]
	s_wait_loadcnt_dscnt 0x600
	v_mul_f64_e32 v[160:161], v[10:11], v[24:25]
	v_mul_f64_e32 v[24:25], v[12:13], v[24:25]
	v_fma_f64 v[162:163], v[4:5], v[18:19], v[164:165]
	v_fma_f64 v[18:19], v[2:3], v[18:19], -v[20:21]
	v_add_f64_e32 v[20:21], v[16:17], v[14:15]
	v_add_f64_e32 v[156:157], v[156:157], v[158:159]
	ds_load_b128 v[2:5], v1 offset:1600
	ds_load_b128 v[14:17], v1 offset:1616
	v_fma_f64 v[12:13], v[12:13], v[22:23], v[160:161]
	v_fma_f64 v[10:11], v[10:11], v[22:23], -v[24:25]
	s_wait_loadcnt_dscnt 0x501
	v_mul_f64_e32 v[158:159], v[2:3], v[28:29]
	v_mul_f64_e32 v[28:29], v[4:5], v[28:29]
	s_wait_loadcnt_dscnt 0x400
	v_mul_f64_e32 v[22:23], v[14:15], v[32:33]
	v_mul_f64_e32 v[24:25], v[16:17], v[32:33]
	v_add_f64_e32 v[18:19], v[20:21], v[18:19]
	v_add_f64_e32 v[20:21], v[156:157], v[162:163]
	v_fma_f64 v[32:33], v[4:5], v[26:27], v[158:159]
	v_fma_f64 v[26:27], v[2:3], v[26:27], -v[28:29]
	v_fma_f64 v[16:17], v[16:17], v[30:31], v[22:23]
	v_fma_f64 v[14:15], v[14:15], v[30:31], -v[24:25]
	v_add_f64_e32 v[18:19], v[18:19], v[10:11]
	v_add_f64_e32 v[20:21], v[20:21], v[12:13]
	ds_load_b128 v[2:5], v1 offset:1632
	ds_load_b128 v[10:13], v1 offset:1648
	s_wait_loadcnt_dscnt 0x301
	v_mul_f64_e32 v[28:29], v[2:3], v[36:37]
	v_mul_f64_e32 v[36:37], v[4:5], v[36:37]
	s_wait_loadcnt_dscnt 0x200
	v_mul_f64_e32 v[22:23], v[10:11], v[40:41]
	v_mul_f64_e32 v[24:25], v[12:13], v[40:41]
	v_add_f64_e32 v[18:19], v[18:19], v[26:27]
	v_add_f64_e32 v[20:21], v[20:21], v[32:33]
	v_fma_f64 v[26:27], v[4:5], v[34:35], v[28:29]
	v_fma_f64 v[28:29], v[2:3], v[34:35], -v[36:37]
	v_fma_f64 v[12:13], v[12:13], v[38:39], v[22:23]
	v_fma_f64 v[10:11], v[10:11], v[38:39], -v[24:25]
	v_add_f64_e32 v[18:19], v[18:19], v[14:15]
	v_add_f64_e32 v[20:21], v[20:21], v[16:17]
	ds_load_b128 v[2:5], v1 offset:1664
	ds_load_b128 v[14:17], v1 offset:1680
	s_wait_loadcnt_dscnt 0x101
	v_mul_f64_e32 v[0:1], v[2:3], v[44:45]
	v_mul_f64_e32 v[30:31], v[4:5], v[44:45]
	s_wait_loadcnt_dscnt 0x0
	v_mul_f64_e32 v[22:23], v[14:15], v[8:9]
	v_mul_f64_e32 v[8:9], v[16:17], v[8:9]
	v_add_f64_e32 v[18:19], v[18:19], v[28:29]
	v_add_f64_e32 v[20:21], v[20:21], v[26:27]
	v_fma_f64 v[0:1], v[4:5], v[42:43], v[0:1]
	v_fma_f64 v[2:3], v[2:3], v[42:43], -v[30:31]
	s_delay_alu instid0(VALU_DEP_4) | instskip(NEXT) | instid1(VALU_DEP_4)
	v_add_f64_e32 v[4:5], v[18:19], v[10:11]
	v_add_f64_e32 v[10:11], v[20:21], v[12:13]
	v_fma_f64 v[12:13], v[16:17], v[6:7], v[22:23]
	v_fma_f64 v[6:7], v[14:15], v[6:7], -v[8:9]
	s_delay_alu instid0(VALU_DEP_4) | instskip(NEXT) | instid1(VALU_DEP_4)
	v_add_f64_e32 v[2:3], v[4:5], v[2:3]
	v_add_f64_e32 v[0:1], v[10:11], v[0:1]
	s_delay_alu instid0(VALU_DEP_2) | instskip(NEXT) | instid1(VALU_DEP_2)
	v_add_f64_e32 v[2:3], v[2:3], v[6:7]
	v_add_f64_e32 v[4:5], v[0:1], v[12:13]
	s_delay_alu instid0(VALU_DEP_2) | instskip(NEXT) | instid1(VALU_DEP_2)
	v_add_f64_e64 v[0:1], v[152:153], -v[2:3]
	v_add_f64_e64 v[2:3], v[154:155], -v[4:5]
	scratch_store_b128 off, v[0:3], off offset:16
	s_wait_alu 0xfffe
	s_cbranch_vccz .LBB116_436
; %bb.332:
	v_mov_b32_e32 v0, 0
	global_load_b32 v1, v0, s[2:3] offset:204
	s_wait_loadcnt 0x0
	v_cmp_ne_u32_e32 vcc_lo, 52, v1
	s_cbranch_vccz .LBB116_334
; %bb.333:
	v_lshlrev_b32_e32 v1, 4, v1
	s_delay_alu instid0(VALU_DEP_1)
	v_add_nc_u32_e32 v9, 16, v1
	s_clause 0x1
	scratch_load_b128 v[1:4], v9, off offset:-16
	scratch_load_b128 v[5:8], off, s11
	s_wait_loadcnt 0x1
	scratch_store_b128 off, v[1:4], s11
	s_wait_loadcnt 0x0
	scratch_store_b128 v9, v[5:8], off offset:-16
.LBB116_334:
	global_load_b32 v0, v0, s[2:3] offset:200
	s_wait_loadcnt 0x0
	v_cmp_eq_u32_e32 vcc_lo, 51, v0
	s_cbranch_vccnz .LBB116_336
; %bb.335:
	v_lshlrev_b32_e32 v0, 4, v0
	s_delay_alu instid0(VALU_DEP_1)
	v_add_nc_u32_e32 v8, 16, v0
	s_clause 0x1
	scratch_load_b128 v[0:3], v8, off offset:-16
	scratch_load_b128 v[4:7], off, s14
	s_wait_loadcnt 0x1
	scratch_store_b128 off, v[0:3], s14
	s_wait_loadcnt 0x0
	scratch_store_b128 v8, v[4:7], off offset:-16
.LBB116_336:
	v_mov_b32_e32 v0, 0
	global_load_b32 v1, v0, s[2:3] offset:196
	s_wait_loadcnt 0x0
	v_cmp_eq_u32_e32 vcc_lo, 50, v1
	s_cbranch_vccnz .LBB116_338
; %bb.337:
	v_lshlrev_b32_e32 v1, 4, v1
	s_delay_alu instid0(VALU_DEP_1)
	v_add_nc_u32_e32 v9, 16, v1
	s_clause 0x1
	scratch_load_b128 v[1:4], v9, off offset:-16
	scratch_load_b128 v[5:8], off, s16
	s_wait_loadcnt 0x1
	scratch_store_b128 off, v[1:4], s16
	s_wait_loadcnt 0x0
	scratch_store_b128 v9, v[5:8], off offset:-16
.LBB116_338:
	global_load_b32 v0, v0, s[2:3] offset:192
	s_wait_loadcnt 0x0
	v_cmp_eq_u32_e32 vcc_lo, 49, v0
	s_cbranch_vccnz .LBB116_340
; %bb.339:
	v_lshlrev_b32_e32 v0, 4, v0
	s_delay_alu instid0(VALU_DEP_1)
	v_add_nc_u32_e32 v8, 16, v0
	s_clause 0x1
	scratch_load_b128 v[0:3], v8, off offset:-16
	scratch_load_b128 v[4:7], off, s17
	s_wait_loadcnt 0x1
	scratch_store_b128 off, v[0:3], s17
	s_wait_loadcnt 0x0
	scratch_store_b128 v8, v[4:7], off offset:-16
.LBB116_340:
	v_mov_b32_e32 v0, 0
	global_load_b32 v1, v0, s[2:3] offset:188
	s_wait_loadcnt 0x0
	v_cmp_eq_u32_e32 vcc_lo, 48, v1
	s_cbranch_vccnz .LBB116_342
; %bb.341:
	v_lshlrev_b32_e32 v1, 4, v1
	s_delay_alu instid0(VALU_DEP_1)
	v_add_nc_u32_e32 v9, 16, v1
	s_clause 0x1
	scratch_load_b128 v[1:4], v9, off offset:-16
	scratch_load_b128 v[5:8], off, s18
	s_wait_loadcnt 0x1
	scratch_store_b128 off, v[1:4], s18
	s_wait_loadcnt 0x0
	scratch_store_b128 v9, v[5:8], off offset:-16
.LBB116_342:
	;; [unrolled: 33-line block ×25, first 2 shown]
	global_load_b32 v0, v0, s[2:3]
	s_wait_loadcnt 0x0
	v_cmp_eq_u32_e32 vcc_lo, 1, v0
	s_cbranch_vccnz .LBB116_436
; %bb.435:
	v_lshlrev_b32_e32 v0, 4, v0
	s_delay_alu instid0(VALU_DEP_1)
	v_add_nc_u32_e32 v8, 16, v0
	scratch_load_b128 v[0:3], v8, off offset:-16
	scratch_load_b128 v[4:7], off, off offset:16
	s_wait_loadcnt 0x1
	scratch_store_b128 off, v[0:3], off offset:16
	s_wait_loadcnt 0x0
	scratch_store_b128 v8, v[4:7], off offset:-16
.LBB116_436:
	scratch_load_b128 v[0:3], off, off offset:16
	s_wait_loadcnt 0x0
	flat_store_b128 v[46:47], v[0:3]
	scratch_load_b128 v[0:3], off, s15
	s_wait_loadcnt 0x0
	flat_store_b128 v[48:49], v[0:3]
	scratch_load_b128 v[0:3], off, s13
	;; [unrolled: 3-line block ×52, first 2 shown]
	s_wait_loadcnt 0x0
	flat_store_b128 v[150:151], v[0:3]
	s_nop 0
	s_sendmsg sendmsg(MSG_DEALLOC_VGPRS)
	s_endpgm
	.section	.rodata,"a",@progbits
	.p2align	6, 0x0
	.amdhsa_kernel _ZN9rocsolver6v33100L18getri_kernel_smallILi53E19rocblas_complex_numIdEPKPS3_EEvT1_iilPiilS8_bb
		.amdhsa_group_segment_fixed_size 1704
		.amdhsa_private_segment_fixed_size 880
		.amdhsa_kernarg_size 60
		.amdhsa_user_sgpr_count 2
		.amdhsa_user_sgpr_dispatch_ptr 0
		.amdhsa_user_sgpr_queue_ptr 0
		.amdhsa_user_sgpr_kernarg_segment_ptr 1
		.amdhsa_user_sgpr_dispatch_id 0
		.amdhsa_user_sgpr_private_segment_size 0
		.amdhsa_wavefront_size32 1
		.amdhsa_uses_dynamic_stack 0
		.amdhsa_enable_private_segment 1
		.amdhsa_system_sgpr_workgroup_id_x 1
		.amdhsa_system_sgpr_workgroup_id_y 0
		.amdhsa_system_sgpr_workgroup_id_z 0
		.amdhsa_system_sgpr_workgroup_info 0
		.amdhsa_system_vgpr_workitem_id 0
		.amdhsa_next_free_vgpr 179
		.amdhsa_next_free_sgpr 86
		.amdhsa_reserve_vcc 1
		.amdhsa_float_round_mode_32 0
		.amdhsa_float_round_mode_16_64 0
		.amdhsa_float_denorm_mode_32 3
		.amdhsa_float_denorm_mode_16_64 3
		.amdhsa_fp16_overflow 0
		.amdhsa_workgroup_processor_mode 1
		.amdhsa_memory_ordered 1
		.amdhsa_forward_progress 1
		.amdhsa_inst_pref_size 255
		.amdhsa_round_robin_scheduling 0
		.amdhsa_exception_fp_ieee_invalid_op 0
		.amdhsa_exception_fp_denorm_src 0
		.amdhsa_exception_fp_ieee_div_zero 0
		.amdhsa_exception_fp_ieee_overflow 0
		.amdhsa_exception_fp_ieee_underflow 0
		.amdhsa_exception_fp_ieee_inexact 0
		.amdhsa_exception_int_div_zero 0
	.end_amdhsa_kernel
	.section	.text._ZN9rocsolver6v33100L18getri_kernel_smallILi53E19rocblas_complex_numIdEPKPS3_EEvT1_iilPiilS8_bb,"axG",@progbits,_ZN9rocsolver6v33100L18getri_kernel_smallILi53E19rocblas_complex_numIdEPKPS3_EEvT1_iilPiilS8_bb,comdat
.Lfunc_end116:
	.size	_ZN9rocsolver6v33100L18getri_kernel_smallILi53E19rocblas_complex_numIdEPKPS3_EEvT1_iilPiilS8_bb, .Lfunc_end116-_ZN9rocsolver6v33100L18getri_kernel_smallILi53E19rocblas_complex_numIdEPKPS3_EEvT1_iilPiilS8_bb
                                        ; -- End function
	.set _ZN9rocsolver6v33100L18getri_kernel_smallILi53E19rocblas_complex_numIdEPKPS3_EEvT1_iilPiilS8_bb.num_vgpr, 179
	.set _ZN9rocsolver6v33100L18getri_kernel_smallILi53E19rocblas_complex_numIdEPKPS3_EEvT1_iilPiilS8_bb.num_agpr, 0
	.set _ZN9rocsolver6v33100L18getri_kernel_smallILi53E19rocblas_complex_numIdEPKPS3_EEvT1_iilPiilS8_bb.numbered_sgpr, 86
	.set _ZN9rocsolver6v33100L18getri_kernel_smallILi53E19rocblas_complex_numIdEPKPS3_EEvT1_iilPiilS8_bb.num_named_barrier, 0
	.set _ZN9rocsolver6v33100L18getri_kernel_smallILi53E19rocblas_complex_numIdEPKPS3_EEvT1_iilPiilS8_bb.private_seg_size, 880
	.set _ZN9rocsolver6v33100L18getri_kernel_smallILi53E19rocblas_complex_numIdEPKPS3_EEvT1_iilPiilS8_bb.uses_vcc, 1
	.set _ZN9rocsolver6v33100L18getri_kernel_smallILi53E19rocblas_complex_numIdEPKPS3_EEvT1_iilPiilS8_bb.uses_flat_scratch, 1
	.set _ZN9rocsolver6v33100L18getri_kernel_smallILi53E19rocblas_complex_numIdEPKPS3_EEvT1_iilPiilS8_bb.has_dyn_sized_stack, 0
	.set _ZN9rocsolver6v33100L18getri_kernel_smallILi53E19rocblas_complex_numIdEPKPS3_EEvT1_iilPiilS8_bb.has_recursion, 0
	.set _ZN9rocsolver6v33100L18getri_kernel_smallILi53E19rocblas_complex_numIdEPKPS3_EEvT1_iilPiilS8_bb.has_indirect_call, 0
	.section	.AMDGPU.csdata,"",@progbits
; Kernel info:
; codeLenInByte = 112896
; TotalNumSgprs: 88
; NumVgprs: 179
; ScratchSize: 880
; MemoryBound: 0
; FloatMode: 240
; IeeeMode: 1
; LDSByteSize: 1704 bytes/workgroup (compile time only)
; SGPRBlocks: 0
; VGPRBlocks: 22
; NumSGPRsForWavesPerEU: 88
; NumVGPRsForWavesPerEU: 179
; Occupancy: 8
; WaveLimiterHint : 1
; COMPUTE_PGM_RSRC2:SCRATCH_EN: 1
; COMPUTE_PGM_RSRC2:USER_SGPR: 2
; COMPUTE_PGM_RSRC2:TRAP_HANDLER: 0
; COMPUTE_PGM_RSRC2:TGID_X_EN: 1
; COMPUTE_PGM_RSRC2:TGID_Y_EN: 0
; COMPUTE_PGM_RSRC2:TGID_Z_EN: 0
; COMPUTE_PGM_RSRC2:TIDIG_COMP_CNT: 0
	.section	.text._ZN9rocsolver6v33100L18getri_kernel_smallILi54E19rocblas_complex_numIdEPKPS3_EEvT1_iilPiilS8_bb,"axG",@progbits,_ZN9rocsolver6v33100L18getri_kernel_smallILi54E19rocblas_complex_numIdEPKPS3_EEvT1_iilPiilS8_bb,comdat
	.globl	_ZN9rocsolver6v33100L18getri_kernel_smallILi54E19rocblas_complex_numIdEPKPS3_EEvT1_iilPiilS8_bb ; -- Begin function _ZN9rocsolver6v33100L18getri_kernel_smallILi54E19rocblas_complex_numIdEPKPS3_EEvT1_iilPiilS8_bb
	.p2align	8
	.type	_ZN9rocsolver6v33100L18getri_kernel_smallILi54E19rocblas_complex_numIdEPKPS3_EEvT1_iilPiilS8_bb,@function
_ZN9rocsolver6v33100L18getri_kernel_smallILi54E19rocblas_complex_numIdEPKPS3_EEvT1_iilPiilS8_bb: ; @_ZN9rocsolver6v33100L18getri_kernel_smallILi54E19rocblas_complex_numIdEPKPS3_EEvT1_iilPiilS8_bb
; %bb.0:
	s_mov_b32 s2, exec_lo
	v_cmpx_gt_u32_e32 54, v0
	s_cbranch_execz .LBB117_230
; %bb.1:
	s_clause 0x1
	s_load_b32 s13, s[0:1], 0x38
	s_load_b64 s[2:3], s[0:1], 0x0
	s_mov_b32 s8, ttmp9
	s_load_b128 s[4:7], s[0:1], 0x28
	s_wait_kmcnt 0x0
	s_bitcmp1_b32 s13, 8
	s_cselect_b32 s12, -1, 0
	s_ashr_i32 s9, ttmp9, 31
	s_delay_alu instid0(SALU_CYCLE_1) | instskip(NEXT) | instid1(SALU_CYCLE_1)
	s_lshl_b64 s[10:11], s[8:9], 3
	s_add_nc_u64 s[2:3], s[2:3], s[10:11]
	s_load_b64 s[10:11], s[2:3], 0x0
	s_bfe_u32 s2, s13, 0x10008
	s_delay_alu instid0(SALU_CYCLE_1)
	s_cmp_eq_u32 s2, 0
                                        ; implicit-def: $sgpr2_sgpr3
	s_cbranch_scc1 .LBB117_3
; %bb.2:
	s_load_b96 s[16:18], s[0:1], 0x18
	s_mul_u64 s[2:3], s[4:5], s[8:9]
	s_delay_alu instid0(SALU_CYCLE_1)
	s_lshl_b64 s[2:3], s[2:3], 2
	s_wait_kmcnt 0x0
	s_ashr_i32 s5, s18, 31
	s_mov_b32 s4, s18
	s_add_nc_u64 s[2:3], s[16:17], s[2:3]
	s_lshl_b64 s[4:5], s[4:5], 2
	s_delay_alu instid0(SALU_CYCLE_1)
	s_add_nc_u64 s[2:3], s[2:3], s[4:5]
.LBB117_3:
	s_clause 0x1
	s_load_b64 s[4:5], s[0:1], 0x8
	s_load_b32 s63, s[0:1], 0x38
	v_lshlrev_b32_e32 v13, 4, v0
	s_movk_i32 s14, 0x90
	s_movk_i32 s16, 0xa0
	;; [unrolled: 1-line block ×17, first 2 shown]
	s_wait_kmcnt 0x0
	s_ashr_i32 s1, s4, 31
	s_mov_b32 s0, s4
	v_add3_u32 v5, s5, s5, v0
	s_lshl_b64 s[0:1], s[0:1], 4
	s_movk_i32 s33, 0x1a0
	s_add_nc_u64 s[0:1], s[10:11], s[0:1]
	s_ashr_i32 s11, s5, 31
	v_add_co_u32 v46, s4, s0, v13
	s_wait_alu 0xf1ff
	v_add_co_ci_u32_e64 v47, null, s1, 0, s4
	s_mov_b32 s10, s5
	v_ashrrev_i32_e32 v6, 31, v5
	s_lshl_b64 s[10:11], s[10:11], 4
	flat_load_b128 v[1:4], v[46:47]
	v_add_co_u32 v48, vcc_lo, v46, s10
	s_delay_alu instid0(VALU_DEP_1)
	v_add_co_ci_u32_e64 v49, null, s11, v47, vcc_lo
	v_lshlrev_b64_e32 v[6:7], 4, v[5:6]
	v_add_nc_u32_e32 v5, s5, v5
	s_movk_i32 s11, 0x80
	s_movk_i32 s34, 0x1b0
	s_movk_i32 s35, 0x1c0
	s_movk_i32 s36, 0x1d0
	v_add_co_u32 v50, vcc_lo, s0, v6
	s_wait_alu 0xfffd
	v_add_co_ci_u32_e64 v51, null, s1, v7, vcc_lo
	v_ashrrev_i32_e32 v6, 31, v5
	s_movk_i32 s37, 0x1e0
	s_movk_i32 s64, 0x1f0
	s_movk_i32 s65, 0x200
	s_movk_i32 s66, 0x210
	v_lshlrev_b64_e32 v[6:7], 4, v[5:6]
	v_add_nc_u32_e32 v5, s5, v5
	s_movk_i32 s67, 0x220
	s_movk_i32 s68, 0x230
	s_movk_i32 s69, 0x240
	s_movk_i32 s70, 0x250
	v_add_co_u32 v52, vcc_lo, s0, v6
	s_wait_alu 0xfffd
	v_add_co_ci_u32_e64 v53, null, s1, v7, vcc_lo
	v_ashrrev_i32_e32 v6, 31, v5
	s_movk_i32 s71, 0x260
	s_movk_i32 s72, 0x270
	s_movk_i32 s73, 0x280
	s_movk_i32 s74, 0x290
	;; [unrolled: 14-line block ×3, first 2 shown]
	v_lshlrev_b64_e32 v[6:7], 4, v[5:6]
	v_add_nc_u32_e32 v5, s5, v5
	s_movk_i32 s83, 0x320
	s_movk_i32 s84, 0x330
	;; [unrolled: 1-line block ×4, first 2 shown]
	v_add_co_u32 v56, vcc_lo, s0, v6
	s_wait_alu 0xfffd
	v_add_co_ci_u32_e64 v57, null, s1, v7, vcc_lo
	v_ashrrev_i32_e32 v6, 31, v5
	s_wait_alu 0xfffe
	s_add_co_i32 s59, s11, 16
	s_add_co_i32 s58, s14, 16
	s_add_co_i32 s57, s16, 16
	s_add_co_i32 s56, s17, 16
	v_lshlrev_b64_e32 v[6:7], 4, v[5:6]
	v_add_nc_u32_e32 v5, s5, v5
	s_add_co_i32 s55, s18, 16
	s_add_co_i32 s54, s19, 16
	s_add_co_i32 s53, s20, 16
	s_add_co_i32 s52, s21, 16
	v_add_co_u32 v58, vcc_lo, s0, v6
	s_wait_alu 0xfffd
	v_add_co_ci_u32_e64 v59, null, s1, v7, vcc_lo
	v_ashrrev_i32_e32 v6, 31, v5
	s_add_co_i32 s51, s22, 16
	s_add_co_i32 s50, s23, 16
	s_add_co_i32 s49, s24, 16
	s_add_co_i32 s48, s25, 16
	v_lshlrev_b64_e32 v[6:7], 4, v[5:6]
	v_add_nc_u32_e32 v5, s5, v5
	s_add_co_i32 s47, s26, 16
	s_add_co_i32 s46, s27, 16
	s_add_co_i32 s45, s28, 16
	s_add_co_i32 s44, s29, 16
	v_add_co_u32 v60, vcc_lo, s0, v6
	s_wait_alu 0xfffd
	v_add_co_ci_u32_e64 v61, null, s1, v7, vcc_lo
	v_ashrrev_i32_e32 v6, 31, v5
	;; [unrolled: 14-line block ×5, first 2 shown]
	s_add_co_i32 s18, s81, 16
	s_add_co_i32 s17, s82, 16
	;; [unrolled: 1-line block ×4, first 2 shown]
	v_lshlrev_b64_e32 v[6:7], 4, v[5:6]
	v_add_nc_u32_e32 v5, s5, v5
	s_add_co_i32 s11, s85, 16
	s_mov_b32 s15, 32
	s_mov_b32 s13, 48
	;; [unrolled: 1-line block ×3, first 2 shown]
	v_add_co_u32 v68, vcc_lo, s0, v6
	s_wait_alu 0xfffd
	v_add_co_ci_u32_e64 v69, null, s1, v7, vcc_lo
	v_ashrrev_i32_e32 v6, 31, v5
	s_movk_i32 s4, 0x50
	s_delay_alu instid0(VALU_DEP_1) | instskip(SKIP_1) | instid1(VALU_DEP_2)
	v_lshlrev_b64_e32 v[6:7], 4, v[5:6]
	v_add_nc_u32_e32 v5, s5, v5
	v_add_co_u32 v70, vcc_lo, s0, v6
	s_wait_alu 0xfffd
	s_delay_alu instid0(VALU_DEP_3) | instskip(NEXT) | instid1(VALU_DEP_3)
	v_add_co_ci_u32_e64 v71, null, s1, v7, vcc_lo
	v_ashrrev_i32_e32 v6, 31, v5
	s_delay_alu instid0(VALU_DEP_1) | instskip(SKIP_1) | instid1(VALU_DEP_2)
	v_lshlrev_b64_e32 v[6:7], 4, v[5:6]
	v_add_nc_u32_e32 v5, s5, v5
	v_add_co_u32 v72, vcc_lo, s0, v6
	s_wait_alu 0xfffd
	s_delay_alu instid0(VALU_DEP_3) | instskip(NEXT) | instid1(VALU_DEP_3)
	v_add_co_ci_u32_e64 v73, null, s1, v7, vcc_lo
	v_ashrrev_i32_e32 v6, 31, v5
	;; [unrolled: 8-line block ×11, first 2 shown]
	s_delay_alu instid0(VALU_DEP_1)
	v_lshlrev_b64_e32 v[6:7], 4, v[5:6]
	s_wait_loadcnt_dscnt 0x0
	scratch_store_b128 off, v[1:4], off offset:16
	flat_load_b128 v[1:4], v[48:49]
	v_add_nc_u32_e32 v5, s5, v5
	v_add_co_u32 v92, vcc_lo, s0, v6
	s_wait_alu 0xfffd
	v_add_co_ci_u32_e64 v93, null, s1, v7, vcc_lo
	s_delay_alu instid0(VALU_DEP_3) | instskip(NEXT) | instid1(VALU_DEP_1)
	v_ashrrev_i32_e32 v6, 31, v5
	v_lshlrev_b64_e32 v[6:7], 4, v[5:6]
	v_add_nc_u32_e32 v5, s5, v5
	s_delay_alu instid0(VALU_DEP_2) | instskip(SKIP_1) | instid1(VALU_DEP_3)
	v_add_co_u32 v94, vcc_lo, s0, v6
	s_wait_alu 0xfffd
	v_add_co_ci_u32_e64 v95, null, s1, v7, vcc_lo
	s_delay_alu instid0(VALU_DEP_3) | instskip(NEXT) | instid1(VALU_DEP_1)
	v_ashrrev_i32_e32 v6, 31, v5
	v_lshlrev_b64_e32 v[6:7], 4, v[5:6]
	v_add_nc_u32_e32 v5, s5, v5
	s_delay_alu instid0(VALU_DEP_2) | instskip(SKIP_1) | instid1(VALU_DEP_3)
	;; [unrolled: 8-line block ×20, first 2 shown]
	v_add_co_u32 v132, vcc_lo, s0, v6
	s_wait_alu 0xfffd
	v_add_co_ci_u32_e64 v133, null, s1, v7, vcc_lo
	s_delay_alu instid0(VALU_DEP_3) | instskip(NEXT) | instid1(VALU_DEP_1)
	v_ashrrev_i32_e32 v6, 31, v5
	v_lshlrev_b64_e32 v[6:7], 4, v[5:6]
	v_add_nc_u32_e32 v5, s5, v5
	s_delay_alu instid0(VALU_DEP_2)
	v_add_co_u32 v134, vcc_lo, s0, v6
	s_wait_loadcnt_dscnt 0x0
	scratch_store_b128 off, v[1:4], off offset:32
	flat_load_b128 v[1:4], v[50:51]
	s_wait_alu 0xfffd
	v_add_co_ci_u32_e64 v135, null, s1, v7, vcc_lo
	v_ashrrev_i32_e32 v6, 31, v5
	s_delay_alu instid0(VALU_DEP_1) | instskip(SKIP_1) | instid1(VALU_DEP_2)
	v_lshlrev_b64_e32 v[6:7], 4, v[5:6]
	v_add_nc_u32_e32 v5, s5, v5
	v_add_co_u32 v136, vcc_lo, s0, v6
	s_wait_alu 0xfffd
	s_delay_alu instid0(VALU_DEP_3) | instskip(NEXT) | instid1(VALU_DEP_3)
	v_add_co_ci_u32_e64 v137, null, s1, v7, vcc_lo
	v_ashrrev_i32_e32 v6, 31, v5
	s_delay_alu instid0(VALU_DEP_1) | instskip(SKIP_1) | instid1(VALU_DEP_2)
	v_lshlrev_b64_e32 v[6:7], 4, v[5:6]
	v_add_nc_u32_e32 v5, s5, v5
	v_add_co_u32 v138, vcc_lo, s0, v6
	s_wait_alu 0xfffd
	s_delay_alu instid0(VALU_DEP_3) | instskip(NEXT) | instid1(VALU_DEP_3)
	v_add_co_ci_u32_e64 v139, null, s1, v7, vcc_lo
	v_ashrrev_i32_e32 v6, 31, v5
	s_delay_alu instid0(VALU_DEP_1) | instskip(SKIP_1) | instid1(VALU_DEP_2)
	v_lshlrev_b64_e32 v[6:7], 4, v[5:6]
	v_add_nc_u32_e32 v5, s5, v5
	v_add_co_u32 v140, vcc_lo, s0, v6
	s_wait_alu 0xfffd
	s_delay_alu instid0(VALU_DEP_3) | instskip(NEXT) | instid1(VALU_DEP_3)
	v_add_co_ci_u32_e64 v141, null, s1, v7, vcc_lo
	v_ashrrev_i32_e32 v6, 31, v5
	s_delay_alu instid0(VALU_DEP_1) | instskip(SKIP_1) | instid1(VALU_DEP_2)
	v_lshlrev_b64_e32 v[6:7], 4, v[5:6]
	v_add_nc_u32_e32 v5, s5, v5
	v_add_co_u32 v142, vcc_lo, s0, v6
	s_wait_alu 0xfffd
	s_delay_alu instid0(VALU_DEP_3) | instskip(NEXT) | instid1(VALU_DEP_3)
	v_add_co_ci_u32_e64 v143, null, s1, v7, vcc_lo
	v_ashrrev_i32_e32 v6, 31, v5
	s_delay_alu instid0(VALU_DEP_1) | instskip(SKIP_1) | instid1(VALU_DEP_2)
	v_lshlrev_b64_e32 v[6:7], 4, v[5:6]
	v_add_nc_u32_e32 v5, s5, v5
	v_add_co_u32 v144, vcc_lo, s0, v6
	s_wait_alu 0xfffd
	s_delay_alu instid0(VALU_DEP_3) | instskip(NEXT) | instid1(VALU_DEP_3)
	v_add_co_ci_u32_e64 v145, null, s1, v7, vcc_lo
	v_ashrrev_i32_e32 v6, 31, v5
	s_delay_alu instid0(VALU_DEP_1) | instskip(SKIP_1) | instid1(VALU_DEP_2)
	v_lshlrev_b64_e32 v[6:7], 4, v[5:6]
	v_add_nc_u32_e32 v5, s5, v5
	v_add_co_u32 v146, vcc_lo, s0, v6
	s_wait_alu 0xfffd
	s_delay_alu instid0(VALU_DEP_3) | instskip(NEXT) | instid1(VALU_DEP_3)
	v_add_co_ci_u32_e64 v147, null, s1, v7, vcc_lo
	v_ashrrev_i32_e32 v6, 31, v5
	s_delay_alu instid0(VALU_DEP_1) | instskip(SKIP_1) | instid1(VALU_DEP_2)
	v_lshlrev_b64_e32 v[6:7], 4, v[5:6]
	v_add_nc_u32_e32 v5, s5, v5
	v_add_co_u32 v148, vcc_lo, s0, v6
	s_wait_alu 0xfffd
	s_delay_alu instid0(VALU_DEP_3) | instskip(NEXT) | instid1(VALU_DEP_3)
	v_add_co_ci_u32_e64 v149, null, s1, v7, vcc_lo
	v_ashrrev_i32_e32 v6, 31, v5
	s_delay_alu instid0(VALU_DEP_1)
	v_lshlrev_b64_e32 v[6:7], 4, v[5:6]
	v_add_nc_u32_e32 v5, s5, v5
	s_movk_i32 s5, 0x70
	s_wait_alu 0xfffe
	s_add_co_i32 s60, s5, 16
	s_add_co_i32 s5, s86, 16
	v_add_co_u32 v150, vcc_lo, s0, v6
	s_wait_alu 0xfffd
	v_add_co_ci_u32_e64 v151, null, s1, v7, vcc_lo
	v_ashrrev_i32_e32 v6, 31, v5
	s_delay_alu instid0(VALU_DEP_1) | instskip(NEXT) | instid1(VALU_DEP_1)
	v_lshlrev_b64_e32 v[5:6], 4, v[5:6]
	v_add_co_u32 v152, vcc_lo, s0, v5
	s_wait_alu 0xfffd
	s_delay_alu instid0(VALU_DEP_2)
	v_add_co_ci_u32_e64 v153, null, s1, v6, vcc_lo
	s_movk_i32 s0, 0x50
	s_movk_i32 s1, 0x60
	s_wait_alu 0xfffe
	s_add_co_i32 s62, s0, 16
	s_add_co_i32 s61, s1, 16
	s_bitcmp0_b32 s63, 0
	s_mov_b32 s1, -1
	s_wait_loadcnt_dscnt 0x0
	scratch_store_b128 off, v[1:4], off offset:48
	flat_load_b128 v[1:4], v[52:53]
	s_wait_loadcnt_dscnt 0x0
	scratch_store_b128 off, v[1:4], off offset:64
	flat_load_b128 v[1:4], v[54:55]
	;; [unrolled: 3-line block ×51, first 2 shown]
	s_wait_loadcnt_dscnt 0x0
	scratch_store_b128 off, v[1:4], off offset:864
	s_cbranch_scc1 .LBB117_228
; %bb.4:
	v_cmp_eq_u32_e64 s0, 0, v0
	s_and_saveexec_b32 s1, s0
; %bb.5:
	v_mov_b32_e32 v1, 0
	ds_store_b32 v1, v1 offset:1728
; %bb.6:
	s_wait_alu 0xfffe
	s_or_b32 exec_lo, exec_lo, s1
	s_wait_storecnt_dscnt 0x0
	s_barrier_signal -1
	s_barrier_wait -1
	global_inv scope:SCOPE_SE
	scratch_load_b128 v[1:4], v13, off offset:16
	s_wait_loadcnt 0x0
	v_cmp_eq_f64_e32 vcc_lo, 0, v[1:2]
	v_cmp_eq_f64_e64 s1, 0, v[3:4]
	s_and_b32 s1, vcc_lo, s1
	s_wait_alu 0xfffe
	s_and_saveexec_b32 s63, s1
	s_cbranch_execz .LBB117_10
; %bb.7:
	v_mov_b32_e32 v1, 0
	s_mov_b32 s64, 0
	ds_load_b32 v2, v1 offset:1728
	s_wait_dscnt 0x0
	v_readfirstlane_b32 s1, v2
	v_add_nc_u32_e32 v2, 1, v0
	s_cmp_eq_u32 s1, 0
	s_delay_alu instid0(VALU_DEP_1) | instskip(SKIP_1) | instid1(SALU_CYCLE_1)
	v_cmp_gt_i32_e32 vcc_lo, s1, v2
	s_cselect_b32 s65, -1, 0
	s_or_b32 s65, s65, vcc_lo
	s_delay_alu instid0(SALU_CYCLE_1)
	s_and_b32 exec_lo, exec_lo, s65
	s_cbranch_execz .LBB117_10
; %bb.8:
	v_mov_b32_e32 v3, s1
.LBB117_9:                              ; =>This Inner Loop Header: Depth=1
	ds_cmpstore_rtn_b32 v3, v1, v2, v3 offset:1728
	s_wait_dscnt 0x0
	v_cmp_ne_u32_e32 vcc_lo, 0, v3
	v_cmp_le_i32_e64 s1, v3, v2
	s_and_b32 s1, vcc_lo, s1
	s_wait_alu 0xfffe
	s_and_b32 s1, exec_lo, s1
	s_wait_alu 0xfffe
	s_or_b32 s64, s1, s64
	s_delay_alu instid0(SALU_CYCLE_1)
	s_and_not1_b32 exec_lo, exec_lo, s64
	s_cbranch_execnz .LBB117_9
.LBB117_10:
	s_or_b32 exec_lo, exec_lo, s63
	v_mov_b32_e32 v1, 0
	s_barrier_signal -1
	s_barrier_wait -1
	global_inv scope:SCOPE_SE
	ds_load_b32 v2, v1 offset:1728
	s_and_saveexec_b32 s1, s0
	s_cbranch_execz .LBB117_12
; %bb.11:
	s_lshl_b64 s[64:65], s[8:9], 2
	s_delay_alu instid0(SALU_CYCLE_1)
	s_add_nc_u64 s[64:65], s[6:7], s[64:65]
	s_wait_dscnt 0x0
	global_store_b32 v1, v2, s[64:65]
.LBB117_12:
	s_wait_alu 0xfffe
	s_or_b32 exec_lo, exec_lo, s1
	s_wait_dscnt 0x0
	v_cmp_ne_u32_e32 vcc_lo, 0, v2
	s_mov_b32 s1, 0
	s_cbranch_vccnz .LBB117_228
; %bb.13:
	v_add_nc_u32_e32 v14, 16, v13
                                        ; implicit-def: $vgpr1_vgpr2
                                        ; implicit-def: $vgpr9_vgpr10
	scratch_load_b128 v[5:8], v14, off
	s_wait_loadcnt 0x0
	v_cmp_ngt_f64_e64 s1, |v[5:6]|, |v[7:8]|
	s_wait_alu 0xfffe
	s_and_saveexec_b32 s63, s1
	s_delay_alu instid0(SALU_CYCLE_1)
	s_xor_b32 s1, exec_lo, s63
	s_cbranch_execz .LBB117_15
; %bb.14:
	v_div_scale_f64 v[1:2], null, v[7:8], v[7:8], v[5:6]
	v_div_scale_f64 v[11:12], vcc_lo, v[5:6], v[7:8], v[5:6]
	s_delay_alu instid0(VALU_DEP_2) | instskip(NEXT) | instid1(TRANS32_DEP_1)
	v_rcp_f64_e32 v[3:4], v[1:2]
	v_fma_f64 v[9:10], -v[1:2], v[3:4], 1.0
	s_delay_alu instid0(VALU_DEP_1) | instskip(NEXT) | instid1(VALU_DEP_1)
	v_fma_f64 v[3:4], v[3:4], v[9:10], v[3:4]
	v_fma_f64 v[9:10], -v[1:2], v[3:4], 1.0
	s_delay_alu instid0(VALU_DEP_1) | instskip(NEXT) | instid1(VALU_DEP_1)
	v_fma_f64 v[3:4], v[3:4], v[9:10], v[3:4]
	v_mul_f64_e32 v[9:10], v[11:12], v[3:4]
	s_delay_alu instid0(VALU_DEP_1) | instskip(SKIP_1) | instid1(VALU_DEP_1)
	v_fma_f64 v[1:2], -v[1:2], v[9:10], v[11:12]
	s_wait_alu 0xfffd
	v_div_fmas_f64 v[1:2], v[1:2], v[3:4], v[9:10]
	s_delay_alu instid0(VALU_DEP_1) | instskip(NEXT) | instid1(VALU_DEP_1)
	v_div_fixup_f64 v[1:2], v[1:2], v[7:8], v[5:6]
	v_fma_f64 v[3:4], v[5:6], v[1:2], v[7:8]
	s_delay_alu instid0(VALU_DEP_1) | instskip(SKIP_1) | instid1(VALU_DEP_2)
	v_div_scale_f64 v[5:6], null, v[3:4], v[3:4], 1.0
	v_div_scale_f64 v[11:12], vcc_lo, 1.0, v[3:4], 1.0
	v_rcp_f64_e32 v[7:8], v[5:6]
	s_delay_alu instid0(TRANS32_DEP_1) | instskip(NEXT) | instid1(VALU_DEP_1)
	v_fma_f64 v[9:10], -v[5:6], v[7:8], 1.0
	v_fma_f64 v[7:8], v[7:8], v[9:10], v[7:8]
	s_delay_alu instid0(VALU_DEP_1) | instskip(NEXT) | instid1(VALU_DEP_1)
	v_fma_f64 v[9:10], -v[5:6], v[7:8], 1.0
	v_fma_f64 v[7:8], v[7:8], v[9:10], v[7:8]
	s_delay_alu instid0(VALU_DEP_1) | instskip(NEXT) | instid1(VALU_DEP_1)
	v_mul_f64_e32 v[9:10], v[11:12], v[7:8]
	v_fma_f64 v[5:6], -v[5:6], v[9:10], v[11:12]
	s_wait_alu 0xfffd
	s_delay_alu instid0(VALU_DEP_1) | instskip(NEXT) | instid1(VALU_DEP_1)
	v_div_fmas_f64 v[5:6], v[5:6], v[7:8], v[9:10]
	v_div_fixup_f64 v[3:4], v[5:6], v[3:4], 1.0
                                        ; implicit-def: $vgpr5_vgpr6
	s_delay_alu instid0(VALU_DEP_1) | instskip(SKIP_1) | instid1(VALU_DEP_2)
	v_mul_f64_e32 v[1:2], v[1:2], v[3:4]
	v_xor_b32_e32 v4, 0x80000000, v4
	v_xor_b32_e32 v10, 0x80000000, v2
	s_delay_alu instid0(VALU_DEP_3)
	v_mov_b32_e32 v9, v1
.LBB117_15:
	s_wait_alu 0xfffe
	s_and_not1_saveexec_b32 s1, s1
	s_cbranch_execz .LBB117_17
; %bb.16:
	v_div_scale_f64 v[1:2], null, v[5:6], v[5:6], v[7:8]
	v_div_scale_f64 v[11:12], vcc_lo, v[7:8], v[5:6], v[7:8]
	s_delay_alu instid0(VALU_DEP_2) | instskip(NEXT) | instid1(TRANS32_DEP_1)
	v_rcp_f64_e32 v[3:4], v[1:2]
	v_fma_f64 v[9:10], -v[1:2], v[3:4], 1.0
	s_delay_alu instid0(VALU_DEP_1) | instskip(NEXT) | instid1(VALU_DEP_1)
	v_fma_f64 v[3:4], v[3:4], v[9:10], v[3:4]
	v_fma_f64 v[9:10], -v[1:2], v[3:4], 1.0
	s_delay_alu instid0(VALU_DEP_1) | instskip(NEXT) | instid1(VALU_DEP_1)
	v_fma_f64 v[3:4], v[3:4], v[9:10], v[3:4]
	v_mul_f64_e32 v[9:10], v[11:12], v[3:4]
	s_delay_alu instid0(VALU_DEP_1) | instskip(SKIP_1) | instid1(VALU_DEP_1)
	v_fma_f64 v[1:2], -v[1:2], v[9:10], v[11:12]
	s_wait_alu 0xfffd
	v_div_fmas_f64 v[1:2], v[1:2], v[3:4], v[9:10]
	s_delay_alu instid0(VALU_DEP_1) | instskip(NEXT) | instid1(VALU_DEP_1)
	v_div_fixup_f64 v[3:4], v[1:2], v[5:6], v[7:8]
	v_fma_f64 v[1:2], v[7:8], v[3:4], v[5:6]
	s_delay_alu instid0(VALU_DEP_1) | instskip(NEXT) | instid1(VALU_DEP_1)
	v_div_scale_f64 v[5:6], null, v[1:2], v[1:2], 1.0
	v_rcp_f64_e32 v[7:8], v[5:6]
	s_delay_alu instid0(TRANS32_DEP_1) | instskip(NEXT) | instid1(VALU_DEP_1)
	v_fma_f64 v[9:10], -v[5:6], v[7:8], 1.0
	v_fma_f64 v[7:8], v[7:8], v[9:10], v[7:8]
	s_delay_alu instid0(VALU_DEP_1) | instskip(NEXT) | instid1(VALU_DEP_1)
	v_fma_f64 v[9:10], -v[5:6], v[7:8], 1.0
	v_fma_f64 v[7:8], v[7:8], v[9:10], v[7:8]
	v_div_scale_f64 v[9:10], vcc_lo, 1.0, v[1:2], 1.0
	s_delay_alu instid0(VALU_DEP_1) | instskip(NEXT) | instid1(VALU_DEP_1)
	v_mul_f64_e32 v[11:12], v[9:10], v[7:8]
	v_fma_f64 v[5:6], -v[5:6], v[11:12], v[9:10]
	s_wait_alu 0xfffd
	s_delay_alu instid0(VALU_DEP_1) | instskip(NEXT) | instid1(VALU_DEP_1)
	v_div_fmas_f64 v[5:6], v[5:6], v[7:8], v[11:12]
	v_div_fixup_f64 v[1:2], v[5:6], v[1:2], 1.0
	s_delay_alu instid0(VALU_DEP_1)
	v_mul_f64_e64 v[3:4], v[3:4], -v[1:2]
	v_xor_b32_e32 v10, 0x80000000, v2
	v_mov_b32_e32 v9, v1
.LBB117_17:
	s_wait_alu 0xfffe
	s_or_b32 exec_lo, exec_lo, s1
	scratch_store_b128 v14, v[1:4], off
	scratch_load_b128 v[15:18], off, s15
	v_xor_b32_e32 v12, 0x80000000, v4
	v_mov_b32_e32 v11, v3
	v_add_nc_u32_e32 v5, 0x360, v13
	ds_store_b128 v13, v[9:12]
	s_wait_loadcnt 0x0
	ds_store_b128 v13, v[15:18] offset:864
	s_wait_storecnt_dscnt 0x0
	s_barrier_signal -1
	s_barrier_wait -1
	global_inv scope:SCOPE_SE
	s_and_saveexec_b32 s1, s0
	s_cbranch_execz .LBB117_19
; %bb.18:
	scratch_load_b128 v[1:4], v14, off
	ds_load_b128 v[6:9], v5
	v_mov_b32_e32 v10, 0
	ds_load_b128 v[15:18], v10 offset:16
	s_wait_loadcnt_dscnt 0x1
	v_mul_f64_e32 v[10:11], v[6:7], v[3:4]
	v_mul_f64_e32 v[3:4], v[8:9], v[3:4]
	s_delay_alu instid0(VALU_DEP_2) | instskip(NEXT) | instid1(VALU_DEP_2)
	v_fma_f64 v[8:9], v[8:9], v[1:2], v[10:11]
	v_fma_f64 v[1:2], v[6:7], v[1:2], -v[3:4]
	s_delay_alu instid0(VALU_DEP_2) | instskip(NEXT) | instid1(VALU_DEP_2)
	v_add_f64_e32 v[3:4], 0, v[8:9]
	v_add_f64_e32 v[1:2], 0, v[1:2]
	s_wait_dscnt 0x0
	s_delay_alu instid0(VALU_DEP_2) | instskip(NEXT) | instid1(VALU_DEP_2)
	v_mul_f64_e32 v[6:7], v[3:4], v[17:18]
	v_mul_f64_e32 v[8:9], v[1:2], v[17:18]
	s_delay_alu instid0(VALU_DEP_2) | instskip(NEXT) | instid1(VALU_DEP_2)
	v_fma_f64 v[1:2], v[1:2], v[15:16], -v[6:7]
	v_fma_f64 v[3:4], v[3:4], v[15:16], v[8:9]
	scratch_store_b128 off, v[1:4], off offset:32
.LBB117_19:
	s_wait_alu 0xfffe
	s_or_b32 exec_lo, exec_lo, s1
	s_wait_loadcnt 0x0
	s_wait_storecnt 0x0
	s_barrier_signal -1
	s_barrier_wait -1
	global_inv scope:SCOPE_SE
	scratch_load_b128 v[1:4], off, s13
	s_mov_b32 s1, exec_lo
	s_wait_loadcnt 0x0
	ds_store_b128 v5, v[1:4]
	s_wait_dscnt 0x0
	s_barrier_signal -1
	s_barrier_wait -1
	global_inv scope:SCOPE_SE
	v_cmpx_gt_u32_e32 2, v0
	s_cbranch_execz .LBB117_23
; %bb.20:
	scratch_load_b128 v[1:4], v14, off
	ds_load_b128 v[6:9], v5
	s_wait_loadcnt_dscnt 0x0
	v_mul_f64_e32 v[10:11], v[8:9], v[3:4]
	v_mul_f64_e32 v[3:4], v[6:7], v[3:4]
	s_delay_alu instid0(VALU_DEP_2) | instskip(NEXT) | instid1(VALU_DEP_2)
	v_fma_f64 v[6:7], v[6:7], v[1:2], -v[10:11]
	v_fma_f64 v[3:4], v[8:9], v[1:2], v[3:4]
	s_delay_alu instid0(VALU_DEP_2) | instskip(NEXT) | instid1(VALU_DEP_2)
	v_add_f64_e32 v[1:2], 0, v[6:7]
	v_add_f64_e32 v[3:4], 0, v[3:4]
	s_and_saveexec_b32 s63, s0
	s_cbranch_execz .LBB117_22
; %bb.21:
	scratch_load_b128 v[6:9], off, off offset:32
	v_mov_b32_e32 v10, 0
	ds_load_b128 v[15:18], v10 offset:880
	s_wait_loadcnt_dscnt 0x0
	v_mul_f64_e32 v[10:11], v[15:16], v[8:9]
	v_mul_f64_e32 v[8:9], v[17:18], v[8:9]
	s_delay_alu instid0(VALU_DEP_2) | instskip(NEXT) | instid1(VALU_DEP_2)
	v_fma_f64 v[10:11], v[17:18], v[6:7], v[10:11]
	v_fma_f64 v[6:7], v[15:16], v[6:7], -v[8:9]
	s_delay_alu instid0(VALU_DEP_2) | instskip(NEXT) | instid1(VALU_DEP_2)
	v_add_f64_e32 v[3:4], v[3:4], v[10:11]
	v_add_f64_e32 v[1:2], v[1:2], v[6:7]
.LBB117_22:
	s_or_b32 exec_lo, exec_lo, s63
	v_mov_b32_e32 v6, 0
	ds_load_b128 v[6:9], v6 offset:32
	s_wait_dscnt 0x0
	v_mul_f64_e32 v[10:11], v[3:4], v[8:9]
	v_mul_f64_e32 v[8:9], v[1:2], v[8:9]
	s_delay_alu instid0(VALU_DEP_2) | instskip(NEXT) | instid1(VALU_DEP_2)
	v_fma_f64 v[1:2], v[1:2], v[6:7], -v[10:11]
	v_fma_f64 v[3:4], v[3:4], v[6:7], v[8:9]
	scratch_store_b128 off, v[1:4], off offset:48
.LBB117_23:
	s_wait_alu 0xfffe
	s_or_b32 exec_lo, exec_lo, s1
	s_wait_loadcnt 0x0
	s_wait_storecnt 0x0
	s_barrier_signal -1
	s_barrier_wait -1
	global_inv scope:SCOPE_SE
	scratch_load_b128 v[1:4], off, s10
	v_add_nc_u32_e32 v6, -1, v0
	s_mov_b32 s0, exec_lo
	s_wait_loadcnt 0x0
	ds_store_b128 v5, v[1:4]
	s_wait_dscnt 0x0
	s_barrier_signal -1
	s_barrier_wait -1
	global_inv scope:SCOPE_SE
	v_cmpx_gt_u32_e32 3, v0
	s_cbranch_execz .LBB117_27
; %bb.24:
	v_dual_mov_b32 v1, 0 :: v_dual_add_nc_u32 v8, 0x360, v13
	v_mov_b32_e32 v3, 0
	v_dual_mov_b32 v2, 0 :: v_dual_add_nc_u32 v7, -1, v0
	v_mov_b32_e32 v4, 0
	v_or_b32_e32 v9, 8, v14
	s_mov_b32 s1, 0
.LBB117_25:                             ; =>This Inner Loop Header: Depth=1
	scratch_load_b128 v[15:18], v9, off offset:-8
	ds_load_b128 v[19:22], v8
	v_add_nc_u32_e32 v7, 1, v7
	v_add_nc_u32_e32 v8, 16, v8
	v_add_nc_u32_e32 v9, 16, v9
	s_delay_alu instid0(VALU_DEP_3)
	v_cmp_lt_u32_e32 vcc_lo, 1, v7
	s_wait_alu 0xfffe
	s_or_b32 s1, vcc_lo, s1
	s_wait_loadcnt_dscnt 0x0
	v_mul_f64_e32 v[10:11], v[21:22], v[17:18]
	v_mul_f64_e32 v[17:18], v[19:20], v[17:18]
	s_delay_alu instid0(VALU_DEP_2) | instskip(NEXT) | instid1(VALU_DEP_2)
	v_fma_f64 v[10:11], v[19:20], v[15:16], -v[10:11]
	v_fma_f64 v[15:16], v[21:22], v[15:16], v[17:18]
	s_delay_alu instid0(VALU_DEP_2) | instskip(NEXT) | instid1(VALU_DEP_2)
	v_add_f64_e32 v[3:4], v[3:4], v[10:11]
	v_add_f64_e32 v[1:2], v[1:2], v[15:16]
	s_wait_alu 0xfffe
	s_and_not1_b32 exec_lo, exec_lo, s1
	s_cbranch_execnz .LBB117_25
; %bb.26:
	s_or_b32 exec_lo, exec_lo, s1
	v_mov_b32_e32 v7, 0
	ds_load_b128 v[7:10], v7 offset:48
	s_wait_dscnt 0x0
	v_mul_f64_e32 v[11:12], v[1:2], v[9:10]
	v_mul_f64_e32 v[15:16], v[3:4], v[9:10]
	s_delay_alu instid0(VALU_DEP_2) | instskip(NEXT) | instid1(VALU_DEP_2)
	v_fma_f64 v[9:10], v[3:4], v[7:8], -v[11:12]
	v_fma_f64 v[11:12], v[1:2], v[7:8], v[15:16]
	scratch_store_b128 off, v[9:12], off offset:64
.LBB117_27:
	s_wait_alu 0xfffe
	s_or_b32 exec_lo, exec_lo, s0
	s_wait_loadcnt 0x0
	s_wait_storecnt 0x0
	s_barrier_signal -1
	s_barrier_wait -1
	global_inv scope:SCOPE_SE
	scratch_load_b128 v[1:4], off, s4
	s_mov_b32 s0, exec_lo
	s_wait_loadcnt 0x0
	ds_store_b128 v5, v[1:4]
	s_wait_dscnt 0x0
	s_barrier_signal -1
	s_barrier_wait -1
	global_inv scope:SCOPE_SE
	v_cmpx_gt_u32_e32 4, v0
	s_cbranch_execz .LBB117_31
; %bb.28:
	v_dual_mov_b32 v1, 0 :: v_dual_add_nc_u32 v8, 0x360, v13
	v_mov_b32_e32 v3, 0
	v_dual_mov_b32 v2, 0 :: v_dual_add_nc_u32 v7, -1, v0
	v_mov_b32_e32 v4, 0
	v_or_b32_e32 v9, 8, v14
	s_mov_b32 s1, 0
.LBB117_29:                             ; =>This Inner Loop Header: Depth=1
	scratch_load_b128 v[15:18], v9, off offset:-8
	ds_load_b128 v[19:22], v8
	v_add_nc_u32_e32 v7, 1, v7
	v_add_nc_u32_e32 v8, 16, v8
	v_add_nc_u32_e32 v9, 16, v9
	s_delay_alu instid0(VALU_DEP_3)
	v_cmp_lt_u32_e32 vcc_lo, 2, v7
	s_wait_alu 0xfffe
	s_or_b32 s1, vcc_lo, s1
	s_wait_loadcnt_dscnt 0x0
	v_mul_f64_e32 v[10:11], v[21:22], v[17:18]
	v_mul_f64_e32 v[17:18], v[19:20], v[17:18]
	s_delay_alu instid0(VALU_DEP_2) | instskip(NEXT) | instid1(VALU_DEP_2)
	v_fma_f64 v[10:11], v[19:20], v[15:16], -v[10:11]
	v_fma_f64 v[15:16], v[21:22], v[15:16], v[17:18]
	s_delay_alu instid0(VALU_DEP_2) | instskip(NEXT) | instid1(VALU_DEP_2)
	v_add_f64_e32 v[3:4], v[3:4], v[10:11]
	v_add_f64_e32 v[1:2], v[1:2], v[15:16]
	s_wait_alu 0xfffe
	s_and_not1_b32 exec_lo, exec_lo, s1
	s_cbranch_execnz .LBB117_29
; %bb.30:
	s_or_b32 exec_lo, exec_lo, s1
	v_mov_b32_e32 v7, 0
	ds_load_b128 v[7:10], v7 offset:64
	s_wait_dscnt 0x0
	v_mul_f64_e32 v[11:12], v[1:2], v[9:10]
	v_mul_f64_e32 v[15:16], v[3:4], v[9:10]
	s_delay_alu instid0(VALU_DEP_2) | instskip(NEXT) | instid1(VALU_DEP_2)
	v_fma_f64 v[9:10], v[3:4], v[7:8], -v[11:12]
	v_fma_f64 v[11:12], v[1:2], v[7:8], v[15:16]
	scratch_store_b128 off, v[9:12], off offset:80
.LBB117_31:
	s_wait_alu 0xfffe
	s_or_b32 exec_lo, exec_lo, s0
	s_wait_loadcnt 0x0
	s_wait_storecnt 0x0
	s_barrier_signal -1
	s_barrier_wait -1
	global_inv scope:SCOPE_SE
	scratch_load_b128 v[1:4], off, s62
	;; [unrolled: 58-line block ×19, first 2 shown]
	s_mov_b32 s0, exec_lo
	s_wait_loadcnt 0x0
	ds_store_b128 v5, v[1:4]
	s_wait_dscnt 0x0
	s_barrier_signal -1
	s_barrier_wait -1
	global_inv scope:SCOPE_SE
	v_cmpx_gt_u32_e32 22, v0
	s_cbranch_execz .LBB117_103
; %bb.100:
	v_dual_mov_b32 v1, 0 :: v_dual_add_nc_u32 v8, 0x360, v13
	v_mov_b32_e32 v3, 0
	v_dual_mov_b32 v2, 0 :: v_dual_add_nc_u32 v7, -1, v0
	v_mov_b32_e32 v4, 0
	v_or_b32_e32 v9, 8, v14
	s_mov_b32 s1, 0
.LBB117_101:                            ; =>This Inner Loop Header: Depth=1
	scratch_load_b128 v[15:18], v9, off offset:-8
	ds_load_b128 v[19:22], v8
	v_add_nc_u32_e32 v7, 1, v7
	v_add_nc_u32_e32 v8, 16, v8
	v_add_nc_u32_e32 v9, 16, v9
	s_delay_alu instid0(VALU_DEP_3)
	v_cmp_lt_u32_e32 vcc_lo, 20, v7
	s_wait_alu 0xfffe
	s_or_b32 s1, vcc_lo, s1
	s_wait_loadcnt_dscnt 0x0
	v_mul_f64_e32 v[10:11], v[21:22], v[17:18]
	v_mul_f64_e32 v[17:18], v[19:20], v[17:18]
	s_delay_alu instid0(VALU_DEP_2) | instskip(NEXT) | instid1(VALU_DEP_2)
	v_fma_f64 v[10:11], v[19:20], v[15:16], -v[10:11]
	v_fma_f64 v[15:16], v[21:22], v[15:16], v[17:18]
	s_delay_alu instid0(VALU_DEP_2) | instskip(NEXT) | instid1(VALU_DEP_2)
	v_add_f64_e32 v[3:4], v[3:4], v[10:11]
	v_add_f64_e32 v[1:2], v[1:2], v[15:16]
	s_wait_alu 0xfffe
	s_and_not1_b32 exec_lo, exec_lo, s1
	s_cbranch_execnz .LBB117_101
; %bb.102:
	s_or_b32 exec_lo, exec_lo, s1
	v_mov_b32_e32 v7, 0
	ds_load_b128 v[7:10], v7 offset:352
	s_wait_dscnt 0x0
	v_mul_f64_e32 v[11:12], v[1:2], v[9:10]
	v_mul_f64_e32 v[15:16], v[3:4], v[9:10]
	s_delay_alu instid0(VALU_DEP_2) | instskip(NEXT) | instid1(VALU_DEP_2)
	v_fma_f64 v[9:10], v[3:4], v[7:8], -v[11:12]
	v_fma_f64 v[11:12], v[1:2], v[7:8], v[15:16]
	scratch_store_b128 off, v[9:12], off offset:368
.LBB117_103:
	s_wait_alu 0xfffe
	s_or_b32 exec_lo, exec_lo, s0
	s_wait_loadcnt 0x0
	s_wait_storecnt 0x0
	s_barrier_signal -1
	s_barrier_wait -1
	global_inv scope:SCOPE_SE
	scratch_load_b128 v[1:4], off, s44
	s_mov_b32 s0, exec_lo
	s_wait_loadcnt 0x0
	ds_store_b128 v5, v[1:4]
	s_wait_dscnt 0x0
	s_barrier_signal -1
	s_barrier_wait -1
	global_inv scope:SCOPE_SE
	v_cmpx_gt_u32_e32 23, v0
	s_cbranch_execz .LBB117_107
; %bb.104:
	v_dual_mov_b32 v1, 0 :: v_dual_add_nc_u32 v8, 0x360, v13
	v_mov_b32_e32 v3, 0
	v_dual_mov_b32 v2, 0 :: v_dual_add_nc_u32 v7, -1, v0
	v_mov_b32_e32 v4, 0
	v_or_b32_e32 v9, 8, v14
	s_mov_b32 s1, 0
.LBB117_105:                            ; =>This Inner Loop Header: Depth=1
	scratch_load_b128 v[15:18], v9, off offset:-8
	ds_load_b128 v[19:22], v8
	v_add_nc_u32_e32 v7, 1, v7
	v_add_nc_u32_e32 v8, 16, v8
	v_add_nc_u32_e32 v9, 16, v9
	s_delay_alu instid0(VALU_DEP_3)
	v_cmp_lt_u32_e32 vcc_lo, 21, v7
	s_wait_alu 0xfffe
	s_or_b32 s1, vcc_lo, s1
	s_wait_loadcnt_dscnt 0x0
	v_mul_f64_e32 v[10:11], v[21:22], v[17:18]
	v_mul_f64_e32 v[17:18], v[19:20], v[17:18]
	s_delay_alu instid0(VALU_DEP_2) | instskip(NEXT) | instid1(VALU_DEP_2)
	v_fma_f64 v[10:11], v[19:20], v[15:16], -v[10:11]
	v_fma_f64 v[15:16], v[21:22], v[15:16], v[17:18]
	s_delay_alu instid0(VALU_DEP_2) | instskip(NEXT) | instid1(VALU_DEP_2)
	v_add_f64_e32 v[3:4], v[3:4], v[10:11]
	v_add_f64_e32 v[1:2], v[1:2], v[15:16]
	s_wait_alu 0xfffe
	s_and_not1_b32 exec_lo, exec_lo, s1
	s_cbranch_execnz .LBB117_105
; %bb.106:
	s_or_b32 exec_lo, exec_lo, s1
	v_mov_b32_e32 v7, 0
	ds_load_b128 v[7:10], v7 offset:368
	s_wait_dscnt 0x0
	v_mul_f64_e32 v[11:12], v[1:2], v[9:10]
	v_mul_f64_e32 v[15:16], v[3:4], v[9:10]
	s_delay_alu instid0(VALU_DEP_2) | instskip(NEXT) | instid1(VALU_DEP_2)
	v_fma_f64 v[9:10], v[3:4], v[7:8], -v[11:12]
	v_fma_f64 v[11:12], v[1:2], v[7:8], v[15:16]
	scratch_store_b128 off, v[9:12], off offset:384
.LBB117_107:
	s_wait_alu 0xfffe
	s_or_b32 exec_lo, exec_lo, s0
	s_wait_loadcnt 0x0
	s_wait_storecnt 0x0
	s_barrier_signal -1
	s_barrier_wait -1
	global_inv scope:SCOPE_SE
	scratch_load_b128 v[1:4], off, s43
	;; [unrolled: 58-line block ×31, first 2 shown]
	s_mov_b32 s0, exec_lo
	s_wait_loadcnt 0x0
	ds_store_b128 v5, v[1:4]
	s_wait_dscnt 0x0
	s_barrier_signal -1
	s_barrier_wait -1
	global_inv scope:SCOPE_SE
	v_cmpx_ne_u32_e32 53, v0
	s_cbranch_execz .LBB117_227
; %bb.224:
	v_mov_b32_e32 v1, 0
	v_dual_mov_b32 v2, 0 :: v_dual_mov_b32 v3, 0
	v_mov_b32_e32 v4, 0
	v_or_b32_e32 v7, 8, v14
	s_mov_b32 s1, 0
.LBB117_225:                            ; =>This Inner Loop Header: Depth=1
	scratch_load_b128 v[8:11], v7, off offset:-8
	ds_load_b128 v[12:15], v5
	v_add_nc_u32_e32 v6, 1, v6
	v_add_nc_u32_e32 v5, 16, v5
	;; [unrolled: 1-line block ×3, first 2 shown]
	s_delay_alu instid0(VALU_DEP_3)
	v_cmp_lt_u32_e32 vcc_lo, 51, v6
	s_wait_alu 0xfffe
	s_or_b32 s1, vcc_lo, s1
	s_wait_loadcnt_dscnt 0x0
	v_mul_f64_e32 v[16:17], v[14:15], v[10:11]
	v_mul_f64_e32 v[10:11], v[12:13], v[10:11]
	s_delay_alu instid0(VALU_DEP_2) | instskip(NEXT) | instid1(VALU_DEP_2)
	v_fma_f64 v[12:13], v[12:13], v[8:9], -v[16:17]
	v_fma_f64 v[8:9], v[14:15], v[8:9], v[10:11]
	s_delay_alu instid0(VALU_DEP_2) | instskip(NEXT) | instid1(VALU_DEP_2)
	v_add_f64_e32 v[3:4], v[3:4], v[12:13]
	v_add_f64_e32 v[1:2], v[1:2], v[8:9]
	s_wait_alu 0xfffe
	s_and_not1_b32 exec_lo, exec_lo, s1
	s_cbranch_execnz .LBB117_225
; %bb.226:
	s_or_b32 exec_lo, exec_lo, s1
	v_mov_b32_e32 v5, 0
	ds_load_b128 v[5:8], v5 offset:848
	s_wait_dscnt 0x0
	v_mul_f64_e32 v[9:10], v[1:2], v[7:8]
	v_mul_f64_e32 v[7:8], v[3:4], v[7:8]
	s_delay_alu instid0(VALU_DEP_2) | instskip(NEXT) | instid1(VALU_DEP_2)
	v_fma_f64 v[3:4], v[3:4], v[5:6], -v[9:10]
	v_fma_f64 v[5:6], v[1:2], v[5:6], v[7:8]
	scratch_store_b128 off, v[3:6], off offset:864
.LBB117_227:
	s_wait_alu 0xfffe
	s_or_b32 exec_lo, exec_lo, s0
	s_mov_b32 s1, -1
	s_wait_loadcnt 0x0
	s_wait_storecnt 0x0
	s_barrier_signal -1
	s_barrier_wait -1
	global_inv scope:SCOPE_SE
.LBB117_228:
	s_wait_alu 0xfffe
	s_and_b32 vcc_lo, exec_lo, s1
	s_wait_alu 0xfffe
	s_cbranch_vccz .LBB117_230
; %bb.229:
	v_mov_b32_e32 v1, 0
	s_lshl_b64 s[0:1], s[8:9], 2
	s_wait_alu 0xfffe
	s_add_nc_u64 s[0:1], s[6:7], s[0:1]
	global_load_b32 v1, v1, s[0:1]
	s_wait_loadcnt 0x0
	v_cmp_ne_u32_e32 vcc_lo, 0, v1
	s_cbranch_vccz .LBB117_231
.LBB117_230:
	s_nop 0
	s_sendmsg sendmsg(MSG_DEALLOC_VGPRS)
	s_endpgm
.LBB117_231:
	v_lshl_add_u32 v154, v0, 4, 0x360
	s_mov_b32 s0, exec_lo
	v_cmpx_eq_u32_e32 53, v0
	s_cbranch_execz .LBB117_233
; %bb.232:
	scratch_load_b128 v[1:4], off, s11
	v_mov_b32_e32 v5, 0
	s_delay_alu instid0(VALU_DEP_1)
	v_dual_mov_b32 v6, v5 :: v_dual_mov_b32 v7, v5
	v_mov_b32_e32 v8, v5
	scratch_store_b128 off, v[5:8], off offset:848
	s_wait_loadcnt 0x0
	ds_store_b128 v154, v[1:4]
.LBB117_233:
	s_wait_alu 0xfffe
	s_or_b32 exec_lo, exec_lo, s0
	s_wait_storecnt_dscnt 0x0
	s_barrier_signal -1
	s_barrier_wait -1
	global_inv scope:SCOPE_SE
	s_clause 0x1
	scratch_load_b128 v[2:5], off, off offset:864
	scratch_load_b128 v[6:9], off, off offset:848
	v_mov_b32_e32 v1, 0
	s_mov_b32 s0, exec_lo
	ds_load_b128 v[10:13], v1 offset:1712
	s_wait_loadcnt_dscnt 0x100
	v_mul_f64_e32 v[14:15], v[12:13], v[4:5]
	v_mul_f64_e32 v[4:5], v[10:11], v[4:5]
	s_delay_alu instid0(VALU_DEP_2) | instskip(NEXT) | instid1(VALU_DEP_2)
	v_fma_f64 v[10:11], v[10:11], v[2:3], -v[14:15]
	v_fma_f64 v[2:3], v[12:13], v[2:3], v[4:5]
	s_delay_alu instid0(VALU_DEP_2) | instskip(NEXT) | instid1(VALU_DEP_2)
	v_add_f64_e32 v[4:5], 0, v[10:11]
	v_add_f64_e32 v[10:11], 0, v[2:3]
	s_wait_loadcnt 0x0
	s_delay_alu instid0(VALU_DEP_2) | instskip(NEXT) | instid1(VALU_DEP_2)
	v_add_f64_e64 v[2:3], v[6:7], -v[4:5]
	v_add_f64_e64 v[4:5], v[8:9], -v[10:11]
	scratch_store_b128 off, v[2:5], off offset:848
	v_cmpx_lt_u32_e32 51, v0
	s_cbranch_execz .LBB117_235
; %bb.234:
	scratch_load_b128 v[5:8], off, s14
	v_dual_mov_b32 v2, v1 :: v_dual_mov_b32 v3, v1
	v_mov_b32_e32 v4, v1
	scratch_store_b128 off, v[1:4], off offset:832
	s_wait_loadcnt 0x0
	ds_store_b128 v154, v[5:8]
.LBB117_235:
	s_wait_alu 0xfffe
	s_or_b32 exec_lo, exec_lo, s0
	s_wait_storecnt_dscnt 0x0
	s_barrier_signal -1
	s_barrier_wait -1
	global_inv scope:SCOPE_SE
	s_clause 0x2
	scratch_load_b128 v[2:5], off, off offset:848
	scratch_load_b128 v[6:9], off, off offset:864
	scratch_load_b128 v[10:13], off, off offset:832
	ds_load_b128 v[14:17], v1 offset:1696
	ds_load_b128 v[18:21], v1 offset:1712
	s_mov_b32 s0, exec_lo
	s_wait_loadcnt_dscnt 0x201
	v_mul_f64_e32 v[22:23], v[16:17], v[4:5]
	v_mul_f64_e32 v[4:5], v[14:15], v[4:5]
	s_wait_loadcnt_dscnt 0x100
	v_mul_f64_e32 v[24:25], v[18:19], v[8:9]
	v_mul_f64_e32 v[8:9], v[20:21], v[8:9]
	s_delay_alu instid0(VALU_DEP_4) | instskip(NEXT) | instid1(VALU_DEP_4)
	v_fma_f64 v[14:15], v[14:15], v[2:3], -v[22:23]
	v_fma_f64 v[1:2], v[16:17], v[2:3], v[4:5]
	s_delay_alu instid0(VALU_DEP_4) | instskip(NEXT) | instid1(VALU_DEP_4)
	v_fma_f64 v[3:4], v[20:21], v[6:7], v[24:25]
	v_fma_f64 v[5:6], v[18:19], v[6:7], -v[8:9]
	s_delay_alu instid0(VALU_DEP_4) | instskip(NEXT) | instid1(VALU_DEP_4)
	v_add_f64_e32 v[7:8], 0, v[14:15]
	v_add_f64_e32 v[1:2], 0, v[1:2]
	s_delay_alu instid0(VALU_DEP_2) | instskip(NEXT) | instid1(VALU_DEP_2)
	v_add_f64_e32 v[5:6], v[7:8], v[5:6]
	v_add_f64_e32 v[3:4], v[1:2], v[3:4]
	s_wait_loadcnt 0x0
	s_delay_alu instid0(VALU_DEP_2) | instskip(NEXT) | instid1(VALU_DEP_2)
	v_add_f64_e64 v[1:2], v[10:11], -v[5:6]
	v_add_f64_e64 v[3:4], v[12:13], -v[3:4]
	scratch_store_b128 off, v[1:4], off offset:832
	v_cmpx_lt_u32_e32 50, v0
	s_cbranch_execz .LBB117_237
; %bb.236:
	scratch_load_b128 v[1:4], off, s16
	v_mov_b32_e32 v5, 0
	s_delay_alu instid0(VALU_DEP_1)
	v_dual_mov_b32 v6, v5 :: v_dual_mov_b32 v7, v5
	v_mov_b32_e32 v8, v5
	scratch_store_b128 off, v[5:8], off offset:816
	s_wait_loadcnt 0x0
	ds_store_b128 v154, v[1:4]
.LBB117_237:
	s_wait_alu 0xfffe
	s_or_b32 exec_lo, exec_lo, s0
	s_wait_storecnt_dscnt 0x0
	s_barrier_signal -1
	s_barrier_wait -1
	global_inv scope:SCOPE_SE
	s_clause 0x3
	scratch_load_b128 v[2:5], off, off offset:832
	scratch_load_b128 v[6:9], off, off offset:848
	;; [unrolled: 1-line block ×4, first 2 shown]
	v_mov_b32_e32 v1, 0
	ds_load_b128 v[18:21], v1 offset:1680
	ds_load_b128 v[22:25], v1 offset:1696
	s_mov_b32 s0, exec_lo
	s_wait_loadcnt_dscnt 0x301
	v_mul_f64_e32 v[26:27], v[20:21], v[4:5]
	v_mul_f64_e32 v[4:5], v[18:19], v[4:5]
	s_wait_loadcnt_dscnt 0x200
	v_mul_f64_e32 v[28:29], v[22:23], v[8:9]
	v_mul_f64_e32 v[8:9], v[24:25], v[8:9]
	s_delay_alu instid0(VALU_DEP_4) | instskip(NEXT) | instid1(VALU_DEP_4)
	v_fma_f64 v[18:19], v[18:19], v[2:3], -v[26:27]
	v_fma_f64 v[20:21], v[20:21], v[2:3], v[4:5]
	ds_load_b128 v[2:5], v1 offset:1712
	v_fma_f64 v[24:25], v[24:25], v[6:7], v[28:29]
	v_fma_f64 v[6:7], v[22:23], v[6:7], -v[8:9]
	s_wait_loadcnt_dscnt 0x100
	v_mul_f64_e32 v[26:27], v[2:3], v[12:13]
	v_mul_f64_e32 v[12:13], v[4:5], v[12:13]
	v_add_f64_e32 v[8:9], 0, v[18:19]
	v_add_f64_e32 v[18:19], 0, v[20:21]
	s_delay_alu instid0(VALU_DEP_4) | instskip(NEXT) | instid1(VALU_DEP_4)
	v_fma_f64 v[4:5], v[4:5], v[10:11], v[26:27]
	v_fma_f64 v[2:3], v[2:3], v[10:11], -v[12:13]
	s_delay_alu instid0(VALU_DEP_4) | instskip(NEXT) | instid1(VALU_DEP_4)
	v_add_f64_e32 v[6:7], v[8:9], v[6:7]
	v_add_f64_e32 v[8:9], v[18:19], v[24:25]
	s_delay_alu instid0(VALU_DEP_2) | instskip(NEXT) | instid1(VALU_DEP_2)
	v_add_f64_e32 v[2:3], v[6:7], v[2:3]
	v_add_f64_e32 v[4:5], v[8:9], v[4:5]
	s_wait_loadcnt 0x0
	s_delay_alu instid0(VALU_DEP_2) | instskip(NEXT) | instid1(VALU_DEP_2)
	v_add_f64_e64 v[2:3], v[14:15], -v[2:3]
	v_add_f64_e64 v[4:5], v[16:17], -v[4:5]
	scratch_store_b128 off, v[2:5], off offset:816
	v_cmpx_lt_u32_e32 49, v0
	s_cbranch_execz .LBB117_239
; %bb.238:
	scratch_load_b128 v[5:8], off, s17
	v_dual_mov_b32 v2, v1 :: v_dual_mov_b32 v3, v1
	v_mov_b32_e32 v4, v1
	scratch_store_b128 off, v[1:4], off offset:800
	s_wait_loadcnt 0x0
	ds_store_b128 v154, v[5:8]
.LBB117_239:
	s_wait_alu 0xfffe
	s_or_b32 exec_lo, exec_lo, s0
	s_wait_storecnt_dscnt 0x0
	s_barrier_signal -1
	s_barrier_wait -1
	global_inv scope:SCOPE_SE
	s_clause 0x4
	scratch_load_b128 v[2:5], off, off offset:816
	scratch_load_b128 v[6:9], off, off offset:832
	scratch_load_b128 v[10:13], off, off offset:848
	scratch_load_b128 v[14:17], off, off offset:864
	scratch_load_b128 v[18:21], off, off offset:800
	ds_load_b128 v[22:25], v1 offset:1664
	ds_load_b128 v[26:29], v1 offset:1680
	s_mov_b32 s0, exec_lo
	s_wait_loadcnt_dscnt 0x401
	v_mul_f64_e32 v[30:31], v[24:25], v[4:5]
	v_mul_f64_e32 v[4:5], v[22:23], v[4:5]
	s_wait_loadcnt_dscnt 0x300
	v_mul_f64_e32 v[32:33], v[26:27], v[8:9]
	v_mul_f64_e32 v[8:9], v[28:29], v[8:9]
	s_delay_alu instid0(VALU_DEP_4) | instskip(NEXT) | instid1(VALU_DEP_4)
	v_fma_f64 v[30:31], v[22:23], v[2:3], -v[30:31]
	v_fma_f64 v[34:35], v[24:25], v[2:3], v[4:5]
	ds_load_b128 v[2:5], v1 offset:1696
	ds_load_b128 v[22:25], v1 offset:1712
	v_fma_f64 v[28:29], v[28:29], v[6:7], v[32:33]
	v_fma_f64 v[6:7], v[26:27], v[6:7], -v[8:9]
	s_wait_loadcnt_dscnt 0x201
	v_mul_f64_e32 v[36:37], v[2:3], v[12:13]
	v_mul_f64_e32 v[12:13], v[4:5], v[12:13]
	v_add_f64_e32 v[8:9], 0, v[30:31]
	v_add_f64_e32 v[26:27], 0, v[34:35]
	s_wait_loadcnt_dscnt 0x100
	v_mul_f64_e32 v[30:31], v[22:23], v[16:17]
	v_mul_f64_e32 v[16:17], v[24:25], v[16:17]
	v_fma_f64 v[4:5], v[4:5], v[10:11], v[36:37]
	v_fma_f64 v[1:2], v[2:3], v[10:11], -v[12:13]
	v_add_f64_e32 v[6:7], v[8:9], v[6:7]
	v_add_f64_e32 v[8:9], v[26:27], v[28:29]
	v_fma_f64 v[10:11], v[24:25], v[14:15], v[30:31]
	v_fma_f64 v[12:13], v[22:23], v[14:15], -v[16:17]
	s_delay_alu instid0(VALU_DEP_4) | instskip(NEXT) | instid1(VALU_DEP_4)
	v_add_f64_e32 v[1:2], v[6:7], v[1:2]
	v_add_f64_e32 v[3:4], v[8:9], v[4:5]
	s_delay_alu instid0(VALU_DEP_2) | instskip(NEXT) | instid1(VALU_DEP_2)
	v_add_f64_e32 v[1:2], v[1:2], v[12:13]
	v_add_f64_e32 v[3:4], v[3:4], v[10:11]
	s_wait_loadcnt 0x0
	s_delay_alu instid0(VALU_DEP_2) | instskip(NEXT) | instid1(VALU_DEP_2)
	v_add_f64_e64 v[1:2], v[18:19], -v[1:2]
	v_add_f64_e64 v[3:4], v[20:21], -v[3:4]
	scratch_store_b128 off, v[1:4], off offset:800
	v_cmpx_lt_u32_e32 48, v0
	s_cbranch_execz .LBB117_241
; %bb.240:
	scratch_load_b128 v[1:4], off, s18
	v_mov_b32_e32 v5, 0
	s_delay_alu instid0(VALU_DEP_1)
	v_dual_mov_b32 v6, v5 :: v_dual_mov_b32 v7, v5
	v_mov_b32_e32 v8, v5
	scratch_store_b128 off, v[5:8], off offset:784
	s_wait_loadcnt 0x0
	ds_store_b128 v154, v[1:4]
.LBB117_241:
	s_wait_alu 0xfffe
	s_or_b32 exec_lo, exec_lo, s0
	s_wait_storecnt_dscnt 0x0
	s_barrier_signal -1
	s_barrier_wait -1
	global_inv scope:SCOPE_SE
	s_clause 0x5
	scratch_load_b128 v[2:5], off, off offset:800
	scratch_load_b128 v[6:9], off, off offset:816
	;; [unrolled: 1-line block ×6, first 2 shown]
	v_mov_b32_e32 v1, 0
	ds_load_b128 v[26:29], v1 offset:1648
	ds_load_b128 v[30:33], v1 offset:1664
	s_mov_b32 s0, exec_lo
	s_wait_loadcnt_dscnt 0x501
	v_mul_f64_e32 v[34:35], v[28:29], v[4:5]
	v_mul_f64_e32 v[4:5], v[26:27], v[4:5]
	s_wait_loadcnt_dscnt 0x400
	v_mul_f64_e32 v[36:37], v[30:31], v[8:9]
	v_mul_f64_e32 v[8:9], v[32:33], v[8:9]
	s_delay_alu instid0(VALU_DEP_4) | instskip(NEXT) | instid1(VALU_DEP_4)
	v_fma_f64 v[34:35], v[26:27], v[2:3], -v[34:35]
	v_fma_f64 v[38:39], v[28:29], v[2:3], v[4:5]
	ds_load_b128 v[2:5], v1 offset:1680
	ds_load_b128 v[26:29], v1 offset:1696
	v_fma_f64 v[32:33], v[32:33], v[6:7], v[36:37]
	v_fma_f64 v[6:7], v[30:31], v[6:7], -v[8:9]
	s_wait_loadcnt_dscnt 0x301
	v_mul_f64_e32 v[40:41], v[2:3], v[12:13]
	v_mul_f64_e32 v[12:13], v[4:5], v[12:13]
	v_add_f64_e32 v[8:9], 0, v[34:35]
	v_add_f64_e32 v[30:31], 0, v[38:39]
	s_wait_loadcnt_dscnt 0x200
	v_mul_f64_e32 v[34:35], v[26:27], v[16:17]
	v_mul_f64_e32 v[16:17], v[28:29], v[16:17]
	v_fma_f64 v[36:37], v[4:5], v[10:11], v[40:41]
	v_fma_f64 v[10:11], v[2:3], v[10:11], -v[12:13]
	ds_load_b128 v[2:5], v1 offset:1712
	v_add_f64_e32 v[6:7], v[8:9], v[6:7]
	v_add_f64_e32 v[8:9], v[30:31], v[32:33]
	v_fma_f64 v[28:29], v[28:29], v[14:15], v[34:35]
	v_fma_f64 v[14:15], v[26:27], v[14:15], -v[16:17]
	s_wait_loadcnt_dscnt 0x100
	v_mul_f64_e32 v[12:13], v[2:3], v[20:21]
	v_mul_f64_e32 v[20:21], v[4:5], v[20:21]
	v_add_f64_e32 v[6:7], v[6:7], v[10:11]
	v_add_f64_e32 v[8:9], v[8:9], v[36:37]
	s_delay_alu instid0(VALU_DEP_4) | instskip(NEXT) | instid1(VALU_DEP_4)
	v_fma_f64 v[4:5], v[4:5], v[18:19], v[12:13]
	v_fma_f64 v[2:3], v[2:3], v[18:19], -v[20:21]
	s_delay_alu instid0(VALU_DEP_4) | instskip(NEXT) | instid1(VALU_DEP_4)
	v_add_f64_e32 v[6:7], v[6:7], v[14:15]
	v_add_f64_e32 v[8:9], v[8:9], v[28:29]
	s_delay_alu instid0(VALU_DEP_2) | instskip(NEXT) | instid1(VALU_DEP_2)
	v_add_f64_e32 v[2:3], v[6:7], v[2:3]
	v_add_f64_e32 v[4:5], v[8:9], v[4:5]
	s_wait_loadcnt 0x0
	s_delay_alu instid0(VALU_DEP_2) | instskip(NEXT) | instid1(VALU_DEP_2)
	v_add_f64_e64 v[2:3], v[22:23], -v[2:3]
	v_add_f64_e64 v[4:5], v[24:25], -v[4:5]
	scratch_store_b128 off, v[2:5], off offset:784
	v_cmpx_lt_u32_e32 47, v0
	s_cbranch_execz .LBB117_243
; %bb.242:
	scratch_load_b128 v[5:8], off, s19
	v_dual_mov_b32 v2, v1 :: v_dual_mov_b32 v3, v1
	v_mov_b32_e32 v4, v1
	scratch_store_b128 off, v[1:4], off offset:768
	s_wait_loadcnt 0x0
	ds_store_b128 v154, v[5:8]
.LBB117_243:
	s_wait_alu 0xfffe
	s_or_b32 exec_lo, exec_lo, s0
	s_wait_storecnt_dscnt 0x0
	s_barrier_signal -1
	s_barrier_wait -1
	global_inv scope:SCOPE_SE
	s_clause 0x5
	scratch_load_b128 v[2:5], off, off offset:784
	scratch_load_b128 v[6:9], off, off offset:800
	;; [unrolled: 1-line block ×6, first 2 shown]
	ds_load_b128 v[26:29], v1 offset:1632
	ds_load_b128 v[34:37], v1 offset:1648
	scratch_load_b128 v[30:33], off, off offset:768
	s_mov_b32 s0, exec_lo
	s_wait_loadcnt_dscnt 0x601
	v_mul_f64_e32 v[38:39], v[28:29], v[4:5]
	v_mul_f64_e32 v[4:5], v[26:27], v[4:5]
	s_wait_loadcnt_dscnt 0x500
	v_mul_f64_e32 v[40:41], v[34:35], v[8:9]
	v_mul_f64_e32 v[8:9], v[36:37], v[8:9]
	s_delay_alu instid0(VALU_DEP_4) | instskip(NEXT) | instid1(VALU_DEP_4)
	v_fma_f64 v[38:39], v[26:27], v[2:3], -v[38:39]
	v_fma_f64 v[42:43], v[28:29], v[2:3], v[4:5]
	ds_load_b128 v[2:5], v1 offset:1664
	ds_load_b128 v[26:29], v1 offset:1680
	v_fma_f64 v[36:37], v[36:37], v[6:7], v[40:41]
	v_fma_f64 v[6:7], v[34:35], v[6:7], -v[8:9]
	s_wait_loadcnt_dscnt 0x401
	v_mul_f64_e32 v[44:45], v[2:3], v[12:13]
	v_mul_f64_e32 v[12:13], v[4:5], v[12:13]
	v_add_f64_e32 v[8:9], 0, v[38:39]
	v_add_f64_e32 v[34:35], 0, v[42:43]
	s_wait_loadcnt_dscnt 0x300
	v_mul_f64_e32 v[38:39], v[26:27], v[16:17]
	v_mul_f64_e32 v[16:17], v[28:29], v[16:17]
	v_fma_f64 v[40:41], v[4:5], v[10:11], v[44:45]
	v_fma_f64 v[10:11], v[2:3], v[10:11], -v[12:13]
	v_add_f64_e32 v[12:13], v[8:9], v[6:7]
	v_add_f64_e32 v[34:35], v[34:35], v[36:37]
	ds_load_b128 v[2:5], v1 offset:1696
	ds_load_b128 v[6:9], v1 offset:1712
	v_fma_f64 v[28:29], v[28:29], v[14:15], v[38:39]
	v_fma_f64 v[14:15], v[26:27], v[14:15], -v[16:17]
	s_wait_loadcnt_dscnt 0x201
	v_mul_f64_e32 v[36:37], v[2:3], v[20:21]
	v_mul_f64_e32 v[20:21], v[4:5], v[20:21]
	s_wait_loadcnt_dscnt 0x100
	v_mul_f64_e32 v[16:17], v[6:7], v[24:25]
	v_mul_f64_e32 v[24:25], v[8:9], v[24:25]
	v_add_f64_e32 v[10:11], v[12:13], v[10:11]
	v_add_f64_e32 v[12:13], v[34:35], v[40:41]
	v_fma_f64 v[4:5], v[4:5], v[18:19], v[36:37]
	v_fma_f64 v[1:2], v[2:3], v[18:19], -v[20:21]
	v_fma_f64 v[8:9], v[8:9], v[22:23], v[16:17]
	v_fma_f64 v[6:7], v[6:7], v[22:23], -v[24:25]
	v_add_f64_e32 v[10:11], v[10:11], v[14:15]
	v_add_f64_e32 v[12:13], v[12:13], v[28:29]
	s_delay_alu instid0(VALU_DEP_2) | instskip(NEXT) | instid1(VALU_DEP_2)
	v_add_f64_e32 v[1:2], v[10:11], v[1:2]
	v_add_f64_e32 v[3:4], v[12:13], v[4:5]
	s_delay_alu instid0(VALU_DEP_2) | instskip(NEXT) | instid1(VALU_DEP_2)
	v_add_f64_e32 v[1:2], v[1:2], v[6:7]
	v_add_f64_e32 v[3:4], v[3:4], v[8:9]
	s_wait_loadcnt 0x0
	s_delay_alu instid0(VALU_DEP_2) | instskip(NEXT) | instid1(VALU_DEP_2)
	v_add_f64_e64 v[1:2], v[30:31], -v[1:2]
	v_add_f64_e64 v[3:4], v[32:33], -v[3:4]
	scratch_store_b128 off, v[1:4], off offset:768
	v_cmpx_lt_u32_e32 46, v0
	s_cbranch_execz .LBB117_245
; %bb.244:
	scratch_load_b128 v[1:4], off, s20
	v_mov_b32_e32 v5, 0
	s_delay_alu instid0(VALU_DEP_1)
	v_dual_mov_b32 v6, v5 :: v_dual_mov_b32 v7, v5
	v_mov_b32_e32 v8, v5
	scratch_store_b128 off, v[5:8], off offset:752
	s_wait_loadcnt 0x0
	ds_store_b128 v154, v[1:4]
.LBB117_245:
	s_wait_alu 0xfffe
	s_or_b32 exec_lo, exec_lo, s0
	s_wait_storecnt_dscnt 0x0
	s_barrier_signal -1
	s_barrier_wait -1
	global_inv scope:SCOPE_SE
	s_clause 0x6
	scratch_load_b128 v[2:5], off, off offset:768
	scratch_load_b128 v[6:9], off, off offset:784
	;; [unrolled: 1-line block ×7, first 2 shown]
	v_mov_b32_e32 v1, 0
	scratch_load_b128 v[34:37], off, off offset:752
	s_mov_b32 s0, exec_lo
	ds_load_b128 v[30:33], v1 offset:1616
	ds_load_b128 v[38:41], v1 offset:1632
	s_wait_loadcnt_dscnt 0x701
	v_mul_f64_e32 v[42:43], v[32:33], v[4:5]
	v_mul_f64_e32 v[4:5], v[30:31], v[4:5]
	s_wait_loadcnt_dscnt 0x600
	v_mul_f64_e32 v[44:45], v[38:39], v[8:9]
	v_mul_f64_e32 v[8:9], v[40:41], v[8:9]
	s_delay_alu instid0(VALU_DEP_4) | instskip(NEXT) | instid1(VALU_DEP_4)
	v_fma_f64 v[42:43], v[30:31], v[2:3], -v[42:43]
	v_fma_f64 v[155:156], v[32:33], v[2:3], v[4:5]
	ds_load_b128 v[2:5], v1 offset:1648
	ds_load_b128 v[30:33], v1 offset:1664
	v_fma_f64 v[40:41], v[40:41], v[6:7], v[44:45]
	v_fma_f64 v[6:7], v[38:39], v[6:7], -v[8:9]
	s_wait_loadcnt_dscnt 0x501
	v_mul_f64_e32 v[157:158], v[2:3], v[12:13]
	v_mul_f64_e32 v[12:13], v[4:5], v[12:13]
	v_add_f64_e32 v[8:9], 0, v[42:43]
	v_add_f64_e32 v[38:39], 0, v[155:156]
	s_wait_loadcnt_dscnt 0x400
	v_mul_f64_e32 v[42:43], v[30:31], v[16:17]
	v_mul_f64_e32 v[16:17], v[32:33], v[16:17]
	v_fma_f64 v[44:45], v[4:5], v[10:11], v[157:158]
	v_fma_f64 v[10:11], v[2:3], v[10:11], -v[12:13]
	v_add_f64_e32 v[12:13], v[8:9], v[6:7]
	v_add_f64_e32 v[38:39], v[38:39], v[40:41]
	ds_load_b128 v[2:5], v1 offset:1680
	ds_load_b128 v[6:9], v1 offset:1696
	v_fma_f64 v[32:33], v[32:33], v[14:15], v[42:43]
	v_fma_f64 v[14:15], v[30:31], v[14:15], -v[16:17]
	s_wait_loadcnt_dscnt 0x301
	v_mul_f64_e32 v[40:41], v[2:3], v[20:21]
	v_mul_f64_e32 v[20:21], v[4:5], v[20:21]
	s_wait_loadcnt_dscnt 0x200
	v_mul_f64_e32 v[16:17], v[6:7], v[24:25]
	v_mul_f64_e32 v[24:25], v[8:9], v[24:25]
	v_add_f64_e32 v[10:11], v[12:13], v[10:11]
	v_add_f64_e32 v[12:13], v[38:39], v[44:45]
	v_fma_f64 v[30:31], v[4:5], v[18:19], v[40:41]
	v_fma_f64 v[18:19], v[2:3], v[18:19], -v[20:21]
	ds_load_b128 v[2:5], v1 offset:1712
	v_fma_f64 v[8:9], v[8:9], v[22:23], v[16:17]
	v_fma_f64 v[6:7], v[6:7], v[22:23], -v[24:25]
	v_add_f64_e32 v[10:11], v[10:11], v[14:15]
	v_add_f64_e32 v[12:13], v[12:13], v[32:33]
	s_wait_loadcnt_dscnt 0x100
	v_mul_f64_e32 v[14:15], v[2:3], v[28:29]
	v_mul_f64_e32 v[20:21], v[4:5], v[28:29]
	s_delay_alu instid0(VALU_DEP_4) | instskip(NEXT) | instid1(VALU_DEP_4)
	v_add_f64_e32 v[10:11], v[10:11], v[18:19]
	v_add_f64_e32 v[12:13], v[12:13], v[30:31]
	s_delay_alu instid0(VALU_DEP_4) | instskip(NEXT) | instid1(VALU_DEP_4)
	v_fma_f64 v[4:5], v[4:5], v[26:27], v[14:15]
	v_fma_f64 v[2:3], v[2:3], v[26:27], -v[20:21]
	s_delay_alu instid0(VALU_DEP_4) | instskip(NEXT) | instid1(VALU_DEP_4)
	v_add_f64_e32 v[6:7], v[10:11], v[6:7]
	v_add_f64_e32 v[8:9], v[12:13], v[8:9]
	s_delay_alu instid0(VALU_DEP_2) | instskip(NEXT) | instid1(VALU_DEP_2)
	v_add_f64_e32 v[2:3], v[6:7], v[2:3]
	v_add_f64_e32 v[4:5], v[8:9], v[4:5]
	s_wait_loadcnt 0x0
	s_delay_alu instid0(VALU_DEP_2) | instskip(NEXT) | instid1(VALU_DEP_2)
	v_add_f64_e64 v[2:3], v[34:35], -v[2:3]
	v_add_f64_e64 v[4:5], v[36:37], -v[4:5]
	scratch_store_b128 off, v[2:5], off offset:752
	v_cmpx_lt_u32_e32 45, v0
	s_cbranch_execz .LBB117_247
; %bb.246:
	scratch_load_b128 v[5:8], off, s21
	v_dual_mov_b32 v2, v1 :: v_dual_mov_b32 v3, v1
	v_mov_b32_e32 v4, v1
	scratch_store_b128 off, v[1:4], off offset:736
	s_wait_loadcnt 0x0
	ds_store_b128 v154, v[5:8]
.LBB117_247:
	s_wait_alu 0xfffe
	s_or_b32 exec_lo, exec_lo, s0
	s_wait_storecnt_dscnt 0x0
	s_barrier_signal -1
	s_barrier_wait -1
	global_inv scope:SCOPE_SE
	s_clause 0x7
	scratch_load_b128 v[2:5], off, off offset:752
	scratch_load_b128 v[6:9], off, off offset:768
	;; [unrolled: 1-line block ×8, first 2 shown]
	ds_load_b128 v[34:37], v1 offset:1600
	ds_load_b128 v[38:41], v1 offset:1616
	scratch_load_b128 v[42:45], off, off offset:736
	s_mov_b32 s0, exec_lo
	s_wait_loadcnt_dscnt 0x801
	v_mul_f64_e32 v[155:156], v[36:37], v[4:5]
	v_mul_f64_e32 v[4:5], v[34:35], v[4:5]
	s_wait_loadcnt_dscnt 0x700
	v_mul_f64_e32 v[157:158], v[38:39], v[8:9]
	v_mul_f64_e32 v[8:9], v[40:41], v[8:9]
	s_delay_alu instid0(VALU_DEP_4) | instskip(NEXT) | instid1(VALU_DEP_4)
	v_fma_f64 v[155:156], v[34:35], v[2:3], -v[155:156]
	v_fma_f64 v[159:160], v[36:37], v[2:3], v[4:5]
	ds_load_b128 v[2:5], v1 offset:1632
	ds_load_b128 v[34:37], v1 offset:1648
	v_fma_f64 v[40:41], v[40:41], v[6:7], v[157:158]
	v_fma_f64 v[6:7], v[38:39], v[6:7], -v[8:9]
	s_wait_loadcnt_dscnt 0x601
	v_mul_f64_e32 v[161:162], v[2:3], v[12:13]
	v_mul_f64_e32 v[12:13], v[4:5], v[12:13]
	v_add_f64_e32 v[8:9], 0, v[155:156]
	v_add_f64_e32 v[38:39], 0, v[159:160]
	s_wait_loadcnt_dscnt 0x500
	v_mul_f64_e32 v[155:156], v[34:35], v[16:17]
	v_mul_f64_e32 v[16:17], v[36:37], v[16:17]
	v_fma_f64 v[157:158], v[4:5], v[10:11], v[161:162]
	v_fma_f64 v[10:11], v[2:3], v[10:11], -v[12:13]
	v_add_f64_e32 v[12:13], v[8:9], v[6:7]
	v_add_f64_e32 v[38:39], v[38:39], v[40:41]
	ds_load_b128 v[2:5], v1 offset:1664
	ds_load_b128 v[6:9], v1 offset:1680
	v_fma_f64 v[36:37], v[36:37], v[14:15], v[155:156]
	v_fma_f64 v[14:15], v[34:35], v[14:15], -v[16:17]
	s_wait_loadcnt_dscnt 0x401
	v_mul_f64_e32 v[40:41], v[2:3], v[20:21]
	v_mul_f64_e32 v[20:21], v[4:5], v[20:21]
	s_wait_loadcnt_dscnt 0x300
	v_mul_f64_e32 v[16:17], v[6:7], v[24:25]
	v_mul_f64_e32 v[24:25], v[8:9], v[24:25]
	v_add_f64_e32 v[10:11], v[12:13], v[10:11]
	v_add_f64_e32 v[12:13], v[38:39], v[157:158]
	v_fma_f64 v[34:35], v[4:5], v[18:19], v[40:41]
	v_fma_f64 v[18:19], v[2:3], v[18:19], -v[20:21]
	v_fma_f64 v[8:9], v[8:9], v[22:23], v[16:17]
	v_fma_f64 v[6:7], v[6:7], v[22:23], -v[24:25]
	v_add_f64_e32 v[14:15], v[10:11], v[14:15]
	v_add_f64_e32 v[20:21], v[12:13], v[36:37]
	ds_load_b128 v[2:5], v1 offset:1696
	ds_load_b128 v[10:13], v1 offset:1712
	s_wait_loadcnt_dscnt 0x201
	v_mul_f64_e32 v[36:37], v[2:3], v[28:29]
	v_mul_f64_e32 v[28:29], v[4:5], v[28:29]
	v_add_f64_e32 v[14:15], v[14:15], v[18:19]
	v_add_f64_e32 v[16:17], v[20:21], v[34:35]
	s_wait_loadcnt_dscnt 0x100
	v_mul_f64_e32 v[18:19], v[10:11], v[32:33]
	v_mul_f64_e32 v[20:21], v[12:13], v[32:33]
	v_fma_f64 v[4:5], v[4:5], v[26:27], v[36:37]
	v_fma_f64 v[1:2], v[2:3], v[26:27], -v[28:29]
	v_add_f64_e32 v[6:7], v[14:15], v[6:7]
	v_add_f64_e32 v[8:9], v[16:17], v[8:9]
	v_fma_f64 v[12:13], v[12:13], v[30:31], v[18:19]
	v_fma_f64 v[10:11], v[10:11], v[30:31], -v[20:21]
	s_delay_alu instid0(VALU_DEP_4) | instskip(NEXT) | instid1(VALU_DEP_4)
	v_add_f64_e32 v[1:2], v[6:7], v[1:2]
	v_add_f64_e32 v[3:4], v[8:9], v[4:5]
	s_delay_alu instid0(VALU_DEP_2) | instskip(NEXT) | instid1(VALU_DEP_2)
	v_add_f64_e32 v[1:2], v[1:2], v[10:11]
	v_add_f64_e32 v[3:4], v[3:4], v[12:13]
	s_wait_loadcnt 0x0
	s_delay_alu instid0(VALU_DEP_2) | instskip(NEXT) | instid1(VALU_DEP_2)
	v_add_f64_e64 v[1:2], v[42:43], -v[1:2]
	v_add_f64_e64 v[3:4], v[44:45], -v[3:4]
	scratch_store_b128 off, v[1:4], off offset:736
	v_cmpx_lt_u32_e32 44, v0
	s_cbranch_execz .LBB117_249
; %bb.248:
	scratch_load_b128 v[1:4], off, s22
	v_mov_b32_e32 v5, 0
	s_delay_alu instid0(VALU_DEP_1)
	v_dual_mov_b32 v6, v5 :: v_dual_mov_b32 v7, v5
	v_mov_b32_e32 v8, v5
	scratch_store_b128 off, v[5:8], off offset:720
	s_wait_loadcnt 0x0
	ds_store_b128 v154, v[1:4]
.LBB117_249:
	s_wait_alu 0xfffe
	s_or_b32 exec_lo, exec_lo, s0
	s_wait_storecnt_dscnt 0x0
	s_barrier_signal -1
	s_barrier_wait -1
	global_inv scope:SCOPE_SE
	s_clause 0x7
	scratch_load_b128 v[2:5], off, off offset:736
	scratch_load_b128 v[6:9], off, off offset:752
	;; [unrolled: 1-line block ×8, first 2 shown]
	v_mov_b32_e32 v1, 0
	scratch_load_b128 v[38:41], off, off offset:864
	s_mov_b32 s0, exec_lo
	ds_load_b128 v[34:37], v1 offset:1584
	ds_load_b128 v[42:45], v1 offset:1600
	s_wait_loadcnt_dscnt 0x801
	v_mul_f64_e32 v[155:156], v[36:37], v[4:5]
	v_mul_f64_e32 v[4:5], v[34:35], v[4:5]
	s_wait_loadcnt_dscnt 0x700
	v_mul_f64_e32 v[157:158], v[42:43], v[8:9]
	v_mul_f64_e32 v[8:9], v[44:45], v[8:9]
	s_delay_alu instid0(VALU_DEP_4) | instskip(NEXT) | instid1(VALU_DEP_4)
	v_fma_f64 v[34:35], v[34:35], v[2:3], -v[155:156]
	v_fma_f64 v[36:37], v[36:37], v[2:3], v[4:5]
	ds_load_b128 v[2:5], v1 offset:1616
	v_fma_f64 v[44:45], v[44:45], v[6:7], v[157:158]
	v_fma_f64 v[42:43], v[42:43], v[6:7], -v[8:9]
	ds_load_b128 v[6:9], v1 offset:1632
	s_wait_loadcnt_dscnt 0x601
	v_mul_f64_e32 v[155:156], v[2:3], v[12:13]
	v_mul_f64_e32 v[12:13], v[4:5], v[12:13]
	s_wait_loadcnt_dscnt 0x500
	v_mul_f64_e32 v[161:162], v[6:7], v[16:17]
	v_mul_f64_e32 v[16:17], v[8:9], v[16:17]
	v_add_f64_e32 v[157:158], 0, v[34:35]
	v_add_f64_e32 v[159:160], 0, v[36:37]
	scratch_load_b128 v[34:37], off, off offset:720
	v_fma_f64 v[155:156], v[4:5], v[10:11], v[155:156]
	v_fma_f64 v[10:11], v[2:3], v[10:11], -v[12:13]
	ds_load_b128 v[2:5], v1 offset:1648
	v_add_f64_e32 v[12:13], v[157:158], v[42:43]
	v_add_f64_e32 v[42:43], v[159:160], v[44:45]
	v_fma_f64 v[157:158], v[8:9], v[14:15], v[161:162]
	v_fma_f64 v[14:15], v[6:7], v[14:15], -v[16:17]
	ds_load_b128 v[6:9], v1 offset:1664
	s_wait_loadcnt_dscnt 0x501
	v_mul_f64_e32 v[44:45], v[2:3], v[20:21]
	v_mul_f64_e32 v[20:21], v[4:5], v[20:21]
	s_wait_loadcnt_dscnt 0x400
	v_mul_f64_e32 v[16:17], v[6:7], v[24:25]
	v_mul_f64_e32 v[24:25], v[8:9], v[24:25]
	v_add_f64_e32 v[10:11], v[12:13], v[10:11]
	v_add_f64_e32 v[12:13], v[42:43], v[155:156]
	v_fma_f64 v[42:43], v[4:5], v[18:19], v[44:45]
	v_fma_f64 v[18:19], v[2:3], v[18:19], -v[20:21]
	ds_load_b128 v[2:5], v1 offset:1680
	v_fma_f64 v[16:17], v[8:9], v[22:23], v[16:17]
	v_fma_f64 v[22:23], v[6:7], v[22:23], -v[24:25]
	ds_load_b128 v[6:9], v1 offset:1696
	s_wait_loadcnt_dscnt 0x301
	v_mul_f64_e32 v[20:21], v[4:5], v[28:29]
	v_add_f64_e32 v[10:11], v[10:11], v[14:15]
	v_add_f64_e32 v[12:13], v[12:13], v[157:158]
	v_mul_f64_e32 v[14:15], v[2:3], v[28:29]
	s_wait_loadcnt_dscnt 0x200
	v_mul_f64_e32 v[24:25], v[8:9], v[32:33]
	v_fma_f64 v[20:21], v[2:3], v[26:27], -v[20:21]
	v_add_f64_e32 v[10:11], v[10:11], v[18:19]
	v_add_f64_e32 v[12:13], v[12:13], v[42:43]
	v_mul_f64_e32 v[18:19], v[6:7], v[32:33]
	v_fma_f64 v[14:15], v[4:5], v[26:27], v[14:15]
	ds_load_b128 v[2:5], v1 offset:1712
	v_fma_f64 v[6:7], v[6:7], v[30:31], -v[24:25]
	v_add_f64_e32 v[10:11], v[10:11], v[22:23]
	v_add_f64_e32 v[12:13], v[12:13], v[16:17]
	s_wait_loadcnt_dscnt 0x100
	v_mul_f64_e32 v[16:17], v[2:3], v[40:41]
	v_mul_f64_e32 v[22:23], v[4:5], v[40:41]
	v_fma_f64 v[8:9], v[8:9], v[30:31], v[18:19]
	v_add_f64_e32 v[10:11], v[10:11], v[20:21]
	v_add_f64_e32 v[12:13], v[12:13], v[14:15]
	v_fma_f64 v[4:5], v[4:5], v[38:39], v[16:17]
	v_fma_f64 v[2:3], v[2:3], v[38:39], -v[22:23]
	s_delay_alu instid0(VALU_DEP_4) | instskip(NEXT) | instid1(VALU_DEP_4)
	v_add_f64_e32 v[6:7], v[10:11], v[6:7]
	v_add_f64_e32 v[8:9], v[12:13], v[8:9]
	s_delay_alu instid0(VALU_DEP_2) | instskip(NEXT) | instid1(VALU_DEP_2)
	v_add_f64_e32 v[2:3], v[6:7], v[2:3]
	v_add_f64_e32 v[4:5], v[8:9], v[4:5]
	s_wait_loadcnt 0x0
	s_delay_alu instid0(VALU_DEP_2) | instskip(NEXT) | instid1(VALU_DEP_2)
	v_add_f64_e64 v[2:3], v[34:35], -v[2:3]
	v_add_f64_e64 v[4:5], v[36:37], -v[4:5]
	scratch_store_b128 off, v[2:5], off offset:720
	v_cmpx_lt_u32_e32 43, v0
	s_cbranch_execz .LBB117_251
; %bb.250:
	scratch_load_b128 v[5:8], off, s23
	v_dual_mov_b32 v2, v1 :: v_dual_mov_b32 v3, v1
	v_mov_b32_e32 v4, v1
	scratch_store_b128 off, v[1:4], off offset:704
	s_wait_loadcnt 0x0
	ds_store_b128 v154, v[5:8]
.LBB117_251:
	s_wait_alu 0xfffe
	s_or_b32 exec_lo, exec_lo, s0
	s_wait_storecnt_dscnt 0x0
	s_barrier_signal -1
	s_barrier_wait -1
	global_inv scope:SCOPE_SE
	s_clause 0x7
	scratch_load_b128 v[2:5], off, off offset:720
	scratch_load_b128 v[6:9], off, off offset:736
	;; [unrolled: 1-line block ×8, first 2 shown]
	ds_load_b128 v[34:37], v1 offset:1568
	ds_load_b128 v[42:45], v1 offset:1584
	s_clause 0x1
	scratch_load_b128 v[38:41], off, off offset:848
	scratch_load_b128 v[155:158], off, off offset:864
	s_mov_b32 s0, exec_lo
	s_wait_loadcnt_dscnt 0x901
	v_mul_f64_e32 v[159:160], v[36:37], v[4:5]
	v_mul_f64_e32 v[4:5], v[34:35], v[4:5]
	s_wait_loadcnt_dscnt 0x800
	v_mul_f64_e32 v[161:162], v[42:43], v[8:9]
	v_mul_f64_e32 v[8:9], v[44:45], v[8:9]
	s_delay_alu instid0(VALU_DEP_4) | instskip(NEXT) | instid1(VALU_DEP_4)
	v_fma_f64 v[34:35], v[34:35], v[2:3], -v[159:160]
	v_fma_f64 v[36:37], v[36:37], v[2:3], v[4:5]
	ds_load_b128 v[2:5], v1 offset:1600
	v_fma_f64 v[44:45], v[44:45], v[6:7], v[161:162]
	v_fma_f64 v[42:43], v[42:43], v[6:7], -v[8:9]
	ds_load_b128 v[6:9], v1 offset:1616
	s_wait_loadcnt_dscnt 0x701
	v_mul_f64_e32 v[159:160], v[2:3], v[12:13]
	v_mul_f64_e32 v[12:13], v[4:5], v[12:13]
	s_wait_loadcnt_dscnt 0x600
	v_mul_f64_e32 v[161:162], v[6:7], v[16:17]
	v_mul_f64_e32 v[16:17], v[8:9], v[16:17]
	v_add_f64_e32 v[34:35], 0, v[34:35]
	v_add_f64_e32 v[36:37], 0, v[36:37]
	v_fma_f64 v[159:160], v[4:5], v[10:11], v[159:160]
	v_fma_f64 v[163:164], v[2:3], v[10:11], -v[12:13]
	ds_load_b128 v[2:5], v1 offset:1632
	scratch_load_b128 v[10:13], off, off offset:704
	v_add_f64_e32 v[34:35], v[34:35], v[42:43]
	v_add_f64_e32 v[36:37], v[36:37], v[44:45]
	v_fma_f64 v[44:45], v[8:9], v[14:15], v[161:162]
	v_fma_f64 v[14:15], v[6:7], v[14:15], -v[16:17]
	ds_load_b128 v[6:9], v1 offset:1648
	s_wait_loadcnt_dscnt 0x601
	v_mul_f64_e32 v[42:43], v[2:3], v[20:21]
	v_mul_f64_e32 v[20:21], v[4:5], v[20:21]
	v_add_f64_e32 v[16:17], v[34:35], v[163:164]
	v_add_f64_e32 v[34:35], v[36:37], v[159:160]
	s_wait_loadcnt_dscnt 0x500
	v_mul_f64_e32 v[36:37], v[6:7], v[24:25]
	v_mul_f64_e32 v[24:25], v[8:9], v[24:25]
	v_fma_f64 v[42:43], v[4:5], v[18:19], v[42:43]
	v_fma_f64 v[18:19], v[2:3], v[18:19], -v[20:21]
	ds_load_b128 v[2:5], v1 offset:1664
	v_add_f64_e32 v[14:15], v[16:17], v[14:15]
	v_add_f64_e32 v[16:17], v[34:35], v[44:45]
	v_fma_f64 v[34:35], v[8:9], v[22:23], v[36:37]
	v_fma_f64 v[22:23], v[6:7], v[22:23], -v[24:25]
	ds_load_b128 v[6:9], v1 offset:1680
	s_wait_loadcnt_dscnt 0x401
	v_mul_f64_e32 v[20:21], v[2:3], v[28:29]
	v_mul_f64_e32 v[28:29], v[4:5], v[28:29]
	s_wait_loadcnt_dscnt 0x300
	v_mul_f64_e32 v[24:25], v[8:9], v[32:33]
	v_add_f64_e32 v[14:15], v[14:15], v[18:19]
	v_add_f64_e32 v[16:17], v[16:17], v[42:43]
	v_mul_f64_e32 v[18:19], v[6:7], v[32:33]
	v_fma_f64 v[20:21], v[4:5], v[26:27], v[20:21]
	v_fma_f64 v[26:27], v[2:3], v[26:27], -v[28:29]
	ds_load_b128 v[2:5], v1 offset:1696
	v_fma_f64 v[24:25], v[6:7], v[30:31], -v[24:25]
	v_add_f64_e32 v[14:15], v[14:15], v[22:23]
	v_add_f64_e32 v[16:17], v[16:17], v[34:35]
	v_fma_f64 v[18:19], v[8:9], v[30:31], v[18:19]
	ds_load_b128 v[6:9], v1 offset:1712
	s_wait_loadcnt_dscnt 0x201
	v_mul_f64_e32 v[22:23], v[2:3], v[40:41]
	v_mul_f64_e32 v[28:29], v[4:5], v[40:41]
	v_add_f64_e32 v[14:15], v[14:15], v[26:27]
	v_add_f64_e32 v[16:17], v[16:17], v[20:21]
	s_wait_loadcnt_dscnt 0x100
	v_mul_f64_e32 v[20:21], v[6:7], v[157:158]
	v_mul_f64_e32 v[26:27], v[8:9], v[157:158]
	v_fma_f64 v[4:5], v[4:5], v[38:39], v[22:23]
	v_fma_f64 v[1:2], v[2:3], v[38:39], -v[28:29]
	v_add_f64_e32 v[14:15], v[14:15], v[24:25]
	v_add_f64_e32 v[16:17], v[16:17], v[18:19]
	v_fma_f64 v[8:9], v[8:9], v[155:156], v[20:21]
	v_fma_f64 v[6:7], v[6:7], v[155:156], -v[26:27]
	s_delay_alu instid0(VALU_DEP_4) | instskip(NEXT) | instid1(VALU_DEP_4)
	v_add_f64_e32 v[1:2], v[14:15], v[1:2]
	v_add_f64_e32 v[3:4], v[16:17], v[4:5]
	s_delay_alu instid0(VALU_DEP_2) | instskip(NEXT) | instid1(VALU_DEP_2)
	v_add_f64_e32 v[1:2], v[1:2], v[6:7]
	v_add_f64_e32 v[3:4], v[3:4], v[8:9]
	s_wait_loadcnt 0x0
	s_delay_alu instid0(VALU_DEP_2) | instskip(NEXT) | instid1(VALU_DEP_2)
	v_add_f64_e64 v[1:2], v[10:11], -v[1:2]
	v_add_f64_e64 v[3:4], v[12:13], -v[3:4]
	scratch_store_b128 off, v[1:4], off offset:704
	v_cmpx_lt_u32_e32 42, v0
	s_cbranch_execz .LBB117_253
; %bb.252:
	scratch_load_b128 v[1:4], off, s24
	v_mov_b32_e32 v5, 0
	s_delay_alu instid0(VALU_DEP_1)
	v_dual_mov_b32 v6, v5 :: v_dual_mov_b32 v7, v5
	v_mov_b32_e32 v8, v5
	scratch_store_b128 off, v[5:8], off offset:688
	s_wait_loadcnt 0x0
	ds_store_b128 v154, v[1:4]
.LBB117_253:
	s_wait_alu 0xfffe
	s_or_b32 exec_lo, exec_lo, s0
	s_wait_storecnt_dscnt 0x0
	s_barrier_signal -1
	s_barrier_wait -1
	global_inv scope:SCOPE_SE
	s_clause 0x7
	scratch_load_b128 v[2:5], off, off offset:704
	scratch_load_b128 v[6:9], off, off offset:720
	;; [unrolled: 1-line block ×8, first 2 shown]
	v_mov_b32_e32 v1, 0
	s_clause 0x1
	scratch_load_b128 v[38:41], off, off offset:832
	scratch_load_b128 v[155:158], off, off offset:848
	s_mov_b32 s0, exec_lo
	ds_load_b128 v[34:37], v1 offset:1552
	ds_load_b128 v[42:45], v1 offset:1568
	s_wait_loadcnt_dscnt 0x901
	v_mul_f64_e32 v[159:160], v[36:37], v[4:5]
	v_mul_f64_e32 v[4:5], v[34:35], v[4:5]
	s_wait_loadcnt_dscnt 0x800
	v_mul_f64_e32 v[161:162], v[42:43], v[8:9]
	v_mul_f64_e32 v[8:9], v[44:45], v[8:9]
	s_delay_alu instid0(VALU_DEP_4) | instskip(NEXT) | instid1(VALU_DEP_4)
	v_fma_f64 v[159:160], v[34:35], v[2:3], -v[159:160]
	v_fma_f64 v[163:164], v[36:37], v[2:3], v[4:5]
	ds_load_b128 v[2:5], v1 offset:1584
	scratch_load_b128 v[34:37], off, off offset:864
	v_fma_f64 v[44:45], v[44:45], v[6:7], v[161:162]
	v_fma_f64 v[42:43], v[42:43], v[6:7], -v[8:9]
	ds_load_b128 v[6:9], v1 offset:1600
	s_wait_loadcnt_dscnt 0x801
	v_mul_f64_e32 v[165:166], v[2:3], v[12:13]
	v_mul_f64_e32 v[12:13], v[4:5], v[12:13]
	v_add_f64_e32 v[159:160], 0, v[159:160]
	v_add_f64_e32 v[161:162], 0, v[163:164]
	s_wait_loadcnt_dscnt 0x700
	v_mul_f64_e32 v[163:164], v[6:7], v[16:17]
	v_mul_f64_e32 v[16:17], v[8:9], v[16:17]
	v_fma_f64 v[165:166], v[4:5], v[10:11], v[165:166]
	v_fma_f64 v[10:11], v[2:3], v[10:11], -v[12:13]
	ds_load_b128 v[2:5], v1 offset:1616
	v_add_f64_e32 v[12:13], v[159:160], v[42:43]
	v_add_f64_e32 v[42:43], v[161:162], v[44:45]
	v_fma_f64 v[159:160], v[8:9], v[14:15], v[163:164]
	v_fma_f64 v[14:15], v[6:7], v[14:15], -v[16:17]
	ds_load_b128 v[6:9], v1 offset:1632
	s_wait_loadcnt_dscnt 0x601
	v_mul_f64_e32 v[44:45], v[2:3], v[20:21]
	v_mul_f64_e32 v[20:21], v[4:5], v[20:21]
	s_wait_loadcnt_dscnt 0x500
	v_mul_f64_e32 v[161:162], v[6:7], v[24:25]
	v_mul_f64_e32 v[24:25], v[8:9], v[24:25]
	v_add_f64_e32 v[16:17], v[12:13], v[10:11]
	v_add_f64_e32 v[42:43], v[42:43], v[165:166]
	scratch_load_b128 v[10:13], off, off offset:688
	v_fma_f64 v[44:45], v[4:5], v[18:19], v[44:45]
	v_fma_f64 v[18:19], v[2:3], v[18:19], -v[20:21]
	ds_load_b128 v[2:5], v1 offset:1648
	v_add_f64_e32 v[14:15], v[16:17], v[14:15]
	v_add_f64_e32 v[16:17], v[42:43], v[159:160]
	v_fma_f64 v[42:43], v[8:9], v[22:23], v[161:162]
	v_fma_f64 v[22:23], v[6:7], v[22:23], -v[24:25]
	ds_load_b128 v[6:9], v1 offset:1664
	s_wait_loadcnt_dscnt 0x501
	v_mul_f64_e32 v[20:21], v[2:3], v[28:29]
	v_mul_f64_e32 v[28:29], v[4:5], v[28:29]
	s_wait_loadcnt_dscnt 0x400
	v_mul_f64_e32 v[24:25], v[8:9], v[32:33]
	v_add_f64_e32 v[14:15], v[14:15], v[18:19]
	v_add_f64_e32 v[16:17], v[16:17], v[44:45]
	v_mul_f64_e32 v[18:19], v[6:7], v[32:33]
	v_fma_f64 v[20:21], v[4:5], v[26:27], v[20:21]
	v_fma_f64 v[26:27], v[2:3], v[26:27], -v[28:29]
	ds_load_b128 v[2:5], v1 offset:1680
	v_fma_f64 v[24:25], v[6:7], v[30:31], -v[24:25]
	v_add_f64_e32 v[14:15], v[14:15], v[22:23]
	v_add_f64_e32 v[16:17], v[16:17], v[42:43]
	v_fma_f64 v[18:19], v[8:9], v[30:31], v[18:19]
	ds_load_b128 v[6:9], v1 offset:1696
	s_wait_loadcnt_dscnt 0x301
	v_mul_f64_e32 v[22:23], v[2:3], v[40:41]
	v_mul_f64_e32 v[28:29], v[4:5], v[40:41]
	v_add_f64_e32 v[14:15], v[14:15], v[26:27]
	v_add_f64_e32 v[16:17], v[16:17], v[20:21]
	s_wait_loadcnt_dscnt 0x200
	v_mul_f64_e32 v[20:21], v[6:7], v[157:158]
	v_mul_f64_e32 v[26:27], v[8:9], v[157:158]
	v_fma_f64 v[22:23], v[4:5], v[38:39], v[22:23]
	v_fma_f64 v[28:29], v[2:3], v[38:39], -v[28:29]
	ds_load_b128 v[2:5], v1 offset:1712
	v_add_f64_e32 v[14:15], v[14:15], v[24:25]
	v_add_f64_e32 v[16:17], v[16:17], v[18:19]
	v_fma_f64 v[8:9], v[8:9], v[155:156], v[20:21]
	v_fma_f64 v[6:7], v[6:7], v[155:156], -v[26:27]
	s_wait_loadcnt_dscnt 0x100
	v_mul_f64_e32 v[18:19], v[2:3], v[36:37]
	v_mul_f64_e32 v[24:25], v[4:5], v[36:37]
	v_add_f64_e32 v[14:15], v[14:15], v[28:29]
	v_add_f64_e32 v[16:17], v[16:17], v[22:23]
	s_delay_alu instid0(VALU_DEP_4) | instskip(NEXT) | instid1(VALU_DEP_4)
	v_fma_f64 v[4:5], v[4:5], v[34:35], v[18:19]
	v_fma_f64 v[2:3], v[2:3], v[34:35], -v[24:25]
	s_delay_alu instid0(VALU_DEP_4) | instskip(NEXT) | instid1(VALU_DEP_4)
	v_add_f64_e32 v[6:7], v[14:15], v[6:7]
	v_add_f64_e32 v[8:9], v[16:17], v[8:9]
	s_delay_alu instid0(VALU_DEP_2) | instskip(NEXT) | instid1(VALU_DEP_2)
	v_add_f64_e32 v[2:3], v[6:7], v[2:3]
	v_add_f64_e32 v[4:5], v[8:9], v[4:5]
	s_wait_loadcnt 0x0
	s_delay_alu instid0(VALU_DEP_2) | instskip(NEXT) | instid1(VALU_DEP_2)
	v_add_f64_e64 v[2:3], v[10:11], -v[2:3]
	v_add_f64_e64 v[4:5], v[12:13], -v[4:5]
	scratch_store_b128 off, v[2:5], off offset:688
	v_cmpx_lt_u32_e32 41, v0
	s_cbranch_execz .LBB117_255
; %bb.254:
	scratch_load_b128 v[5:8], off, s25
	v_dual_mov_b32 v2, v1 :: v_dual_mov_b32 v3, v1
	v_mov_b32_e32 v4, v1
	scratch_store_b128 off, v[1:4], off offset:672
	s_wait_loadcnt 0x0
	ds_store_b128 v154, v[5:8]
.LBB117_255:
	s_wait_alu 0xfffe
	s_or_b32 exec_lo, exec_lo, s0
	s_wait_storecnt_dscnt 0x0
	s_barrier_signal -1
	s_barrier_wait -1
	global_inv scope:SCOPE_SE
	s_clause 0x8
	scratch_load_b128 v[2:5], off, off offset:688
	scratch_load_b128 v[6:9], off, off offset:704
	;; [unrolled: 1-line block ×9, first 2 shown]
	ds_load_b128 v[38:41], v1 offset:1536
	ds_load_b128 v[42:45], v1 offset:1552
	s_clause 0x1
	scratch_load_b128 v[155:158], off, off offset:672
	scratch_load_b128 v[159:162], off, off offset:832
	s_mov_b32 s0, exec_lo
	s_wait_loadcnt_dscnt 0xa01
	v_mul_f64_e32 v[163:164], v[40:41], v[4:5]
	v_mul_f64_e32 v[4:5], v[38:39], v[4:5]
	s_wait_loadcnt_dscnt 0x900
	v_mul_f64_e32 v[167:168], v[42:43], v[8:9]
	v_mul_f64_e32 v[8:9], v[44:45], v[8:9]
	s_delay_alu instid0(VALU_DEP_4) | instskip(NEXT) | instid1(VALU_DEP_4)
	v_fma_f64 v[169:170], v[38:39], v[2:3], -v[163:164]
	v_fma_f64 v[171:172], v[40:41], v[2:3], v[4:5]
	ds_load_b128 v[2:5], v1 offset:1568
	ds_load_b128 v[163:166], v1 offset:1584
	scratch_load_b128 v[38:41], off, off offset:848
	v_fma_f64 v[44:45], v[44:45], v[6:7], v[167:168]
	v_fma_f64 v[42:43], v[42:43], v[6:7], -v[8:9]
	scratch_load_b128 v[6:9], off, off offset:864
	s_wait_loadcnt_dscnt 0xa01
	v_mul_f64_e32 v[173:174], v[2:3], v[12:13]
	v_mul_f64_e32 v[12:13], v[4:5], v[12:13]
	v_add_f64_e32 v[167:168], 0, v[169:170]
	v_add_f64_e32 v[169:170], 0, v[171:172]
	s_wait_loadcnt_dscnt 0x900
	v_mul_f64_e32 v[171:172], v[163:164], v[16:17]
	v_mul_f64_e32 v[16:17], v[165:166], v[16:17]
	v_fma_f64 v[173:174], v[4:5], v[10:11], v[173:174]
	v_fma_f64 v[175:176], v[2:3], v[10:11], -v[12:13]
	ds_load_b128 v[2:5], v1 offset:1600
	ds_load_b128 v[10:13], v1 offset:1616
	v_add_f64_e32 v[42:43], v[167:168], v[42:43]
	v_add_f64_e32 v[44:45], v[169:170], v[44:45]
	v_fma_f64 v[165:166], v[165:166], v[14:15], v[171:172]
	v_fma_f64 v[14:15], v[163:164], v[14:15], -v[16:17]
	s_wait_loadcnt_dscnt 0x801
	v_mul_f64_e32 v[167:168], v[2:3], v[20:21]
	v_mul_f64_e32 v[20:21], v[4:5], v[20:21]
	v_add_f64_e32 v[16:17], v[42:43], v[175:176]
	v_add_f64_e32 v[42:43], v[44:45], v[173:174]
	s_wait_loadcnt_dscnt 0x700
	v_mul_f64_e32 v[44:45], v[10:11], v[24:25]
	v_mul_f64_e32 v[24:25], v[12:13], v[24:25]
	v_fma_f64 v[163:164], v[4:5], v[18:19], v[167:168]
	v_fma_f64 v[18:19], v[2:3], v[18:19], -v[20:21]
	v_add_f64_e32 v[20:21], v[16:17], v[14:15]
	v_add_f64_e32 v[42:43], v[42:43], v[165:166]
	ds_load_b128 v[2:5], v1 offset:1632
	ds_load_b128 v[14:17], v1 offset:1648
	v_fma_f64 v[12:13], v[12:13], v[22:23], v[44:45]
	v_fma_f64 v[10:11], v[10:11], v[22:23], -v[24:25]
	s_wait_loadcnt_dscnt 0x601
	v_mul_f64_e32 v[165:166], v[2:3], v[28:29]
	v_mul_f64_e32 v[28:29], v[4:5], v[28:29]
	s_wait_loadcnt_dscnt 0x500
	v_mul_f64_e32 v[22:23], v[14:15], v[32:33]
	v_mul_f64_e32 v[24:25], v[16:17], v[32:33]
	v_add_f64_e32 v[18:19], v[20:21], v[18:19]
	v_add_f64_e32 v[20:21], v[42:43], v[163:164]
	v_fma_f64 v[32:33], v[4:5], v[26:27], v[165:166]
	v_fma_f64 v[26:27], v[2:3], v[26:27], -v[28:29]
	v_fma_f64 v[16:17], v[16:17], v[30:31], v[22:23]
	v_fma_f64 v[14:15], v[14:15], v[30:31], -v[24:25]
	v_add_f64_e32 v[18:19], v[18:19], v[10:11]
	v_add_f64_e32 v[20:21], v[20:21], v[12:13]
	ds_load_b128 v[2:5], v1 offset:1664
	ds_load_b128 v[10:13], v1 offset:1680
	s_wait_loadcnt_dscnt 0x401
	v_mul_f64_e32 v[28:29], v[2:3], v[36:37]
	v_mul_f64_e32 v[36:37], v[4:5], v[36:37]
	s_wait_loadcnt_dscnt 0x200
	v_mul_f64_e32 v[22:23], v[10:11], v[161:162]
	v_mul_f64_e32 v[24:25], v[12:13], v[161:162]
	v_add_f64_e32 v[18:19], v[18:19], v[26:27]
	v_add_f64_e32 v[20:21], v[20:21], v[32:33]
	v_fma_f64 v[26:27], v[4:5], v[34:35], v[28:29]
	v_fma_f64 v[28:29], v[2:3], v[34:35], -v[36:37]
	v_fma_f64 v[12:13], v[12:13], v[159:160], v[22:23]
	v_fma_f64 v[10:11], v[10:11], v[159:160], -v[24:25]
	v_add_f64_e32 v[18:19], v[18:19], v[14:15]
	v_add_f64_e32 v[20:21], v[20:21], v[16:17]
	ds_load_b128 v[2:5], v1 offset:1696
	ds_load_b128 v[14:17], v1 offset:1712
	s_wait_loadcnt_dscnt 0x101
	v_mul_f64_e32 v[30:31], v[2:3], v[40:41]
	v_mul_f64_e32 v[32:33], v[4:5], v[40:41]
	s_wait_loadcnt_dscnt 0x0
	v_mul_f64_e32 v[22:23], v[14:15], v[8:9]
	v_mul_f64_e32 v[8:9], v[16:17], v[8:9]
	v_add_f64_e32 v[18:19], v[18:19], v[28:29]
	v_add_f64_e32 v[20:21], v[20:21], v[26:27]
	v_fma_f64 v[4:5], v[4:5], v[38:39], v[30:31]
	v_fma_f64 v[1:2], v[2:3], v[38:39], -v[32:33]
	v_fma_f64 v[16:17], v[16:17], v[6:7], v[22:23]
	v_fma_f64 v[6:7], v[14:15], v[6:7], -v[8:9]
	v_add_f64_e32 v[10:11], v[18:19], v[10:11]
	v_add_f64_e32 v[12:13], v[20:21], v[12:13]
	s_delay_alu instid0(VALU_DEP_2) | instskip(NEXT) | instid1(VALU_DEP_2)
	v_add_f64_e32 v[1:2], v[10:11], v[1:2]
	v_add_f64_e32 v[3:4], v[12:13], v[4:5]
	s_delay_alu instid0(VALU_DEP_2) | instskip(NEXT) | instid1(VALU_DEP_2)
	;; [unrolled: 3-line block ×3, first 2 shown]
	v_add_f64_e64 v[1:2], v[155:156], -v[1:2]
	v_add_f64_e64 v[3:4], v[157:158], -v[3:4]
	scratch_store_b128 off, v[1:4], off offset:672
	v_cmpx_lt_u32_e32 40, v0
	s_cbranch_execz .LBB117_257
; %bb.256:
	scratch_load_b128 v[1:4], off, s26
	v_mov_b32_e32 v5, 0
	s_delay_alu instid0(VALU_DEP_1)
	v_dual_mov_b32 v6, v5 :: v_dual_mov_b32 v7, v5
	v_mov_b32_e32 v8, v5
	scratch_store_b128 off, v[5:8], off offset:656
	s_wait_loadcnt 0x0
	ds_store_b128 v154, v[1:4]
.LBB117_257:
	s_wait_alu 0xfffe
	s_or_b32 exec_lo, exec_lo, s0
	s_wait_storecnt_dscnt 0x0
	s_barrier_signal -1
	s_barrier_wait -1
	global_inv scope:SCOPE_SE
	s_clause 0x7
	scratch_load_b128 v[2:5], off, off offset:672
	scratch_load_b128 v[6:9], off, off offset:688
	scratch_load_b128 v[10:13], off, off offset:704
	scratch_load_b128 v[14:17], off, off offset:720
	scratch_load_b128 v[18:21], off, off offset:736
	scratch_load_b128 v[22:25], off, off offset:752
	scratch_load_b128 v[26:29], off, off offset:768
	scratch_load_b128 v[30:33], off, off offset:784
	v_mov_b32_e32 v1, 0
	s_mov_b32 s0, exec_lo
	ds_load_b128 v[34:37], v1 offset:1520
	s_clause 0x1
	scratch_load_b128 v[38:41], off, off offset:800
	scratch_load_b128 v[42:45], off, off offset:656
	ds_load_b128 v[155:158], v1 offset:1536
	scratch_load_b128 v[159:162], off, off offset:816
	s_wait_loadcnt_dscnt 0xa01
	v_mul_f64_e32 v[163:164], v[36:37], v[4:5]
	v_mul_f64_e32 v[4:5], v[34:35], v[4:5]
	s_delay_alu instid0(VALU_DEP_2) | instskip(NEXT) | instid1(VALU_DEP_2)
	v_fma_f64 v[169:170], v[34:35], v[2:3], -v[163:164]
	v_fma_f64 v[171:172], v[36:37], v[2:3], v[4:5]
	ds_load_b128 v[2:5], v1 offset:1552
	s_wait_loadcnt_dscnt 0x901
	v_mul_f64_e32 v[167:168], v[155:156], v[8:9]
	v_mul_f64_e32 v[8:9], v[157:158], v[8:9]
	scratch_load_b128 v[34:37], off, off offset:832
	ds_load_b128 v[163:166], v1 offset:1568
	s_wait_loadcnt_dscnt 0x901
	v_mul_f64_e32 v[173:174], v[2:3], v[12:13]
	v_mul_f64_e32 v[12:13], v[4:5], v[12:13]
	v_fma_f64 v[157:158], v[157:158], v[6:7], v[167:168]
	v_fma_f64 v[155:156], v[155:156], v[6:7], -v[8:9]
	v_add_f64_e32 v[167:168], 0, v[169:170]
	v_add_f64_e32 v[169:170], 0, v[171:172]
	scratch_load_b128 v[6:9], off, off offset:848
	v_fma_f64 v[173:174], v[4:5], v[10:11], v[173:174]
	v_fma_f64 v[175:176], v[2:3], v[10:11], -v[12:13]
	ds_load_b128 v[2:5], v1 offset:1584
	s_wait_loadcnt_dscnt 0x901
	v_mul_f64_e32 v[171:172], v[163:164], v[16:17]
	v_mul_f64_e32 v[16:17], v[165:166], v[16:17]
	scratch_load_b128 v[10:13], off, off offset:864
	v_add_f64_e32 v[167:168], v[167:168], v[155:156]
	v_add_f64_e32 v[169:170], v[169:170], v[157:158]
	s_wait_loadcnt_dscnt 0x900
	v_mul_f64_e32 v[177:178], v[2:3], v[20:21]
	v_mul_f64_e32 v[20:21], v[4:5], v[20:21]
	ds_load_b128 v[155:158], v1 offset:1600
	v_fma_f64 v[165:166], v[165:166], v[14:15], v[171:172]
	v_fma_f64 v[14:15], v[163:164], v[14:15], -v[16:17]
	v_add_f64_e32 v[16:17], v[167:168], v[175:176]
	v_add_f64_e32 v[163:164], v[169:170], v[173:174]
	s_wait_loadcnt_dscnt 0x800
	v_mul_f64_e32 v[167:168], v[155:156], v[24:25]
	v_mul_f64_e32 v[24:25], v[157:158], v[24:25]
	v_fma_f64 v[169:170], v[4:5], v[18:19], v[177:178]
	v_fma_f64 v[18:19], v[2:3], v[18:19], -v[20:21]
	v_add_f64_e32 v[20:21], v[16:17], v[14:15]
	v_add_f64_e32 v[163:164], v[163:164], v[165:166]
	ds_load_b128 v[2:5], v1 offset:1616
	ds_load_b128 v[14:17], v1 offset:1632
	v_fma_f64 v[157:158], v[157:158], v[22:23], v[167:168]
	v_fma_f64 v[22:23], v[155:156], v[22:23], -v[24:25]
	s_wait_loadcnt_dscnt 0x701
	v_mul_f64_e32 v[165:166], v[2:3], v[28:29]
	v_mul_f64_e32 v[28:29], v[4:5], v[28:29]
	s_wait_loadcnt_dscnt 0x600
	v_mul_f64_e32 v[24:25], v[14:15], v[32:33]
	v_mul_f64_e32 v[32:33], v[16:17], v[32:33]
	v_add_f64_e32 v[18:19], v[20:21], v[18:19]
	v_add_f64_e32 v[20:21], v[163:164], v[169:170]
	v_fma_f64 v[155:156], v[4:5], v[26:27], v[165:166]
	v_fma_f64 v[26:27], v[2:3], v[26:27], -v[28:29]
	v_fma_f64 v[16:17], v[16:17], v[30:31], v[24:25]
	v_fma_f64 v[14:15], v[14:15], v[30:31], -v[32:33]
	v_add_f64_e32 v[22:23], v[18:19], v[22:23]
	v_add_f64_e32 v[28:29], v[20:21], v[157:158]
	ds_load_b128 v[2:5], v1 offset:1648
	ds_load_b128 v[18:21], v1 offset:1664
	s_wait_loadcnt_dscnt 0x501
	v_mul_f64_e32 v[157:158], v[2:3], v[40:41]
	v_mul_f64_e32 v[40:41], v[4:5], v[40:41]
	v_add_f64_e32 v[22:23], v[22:23], v[26:27]
	v_add_f64_e32 v[24:25], v[28:29], v[155:156]
	s_wait_loadcnt_dscnt 0x300
	v_mul_f64_e32 v[26:27], v[18:19], v[161:162]
	v_mul_f64_e32 v[28:29], v[20:21], v[161:162]
	v_fma_f64 v[30:31], v[4:5], v[38:39], v[157:158]
	v_fma_f64 v[32:33], v[2:3], v[38:39], -v[40:41]
	v_add_f64_e32 v[22:23], v[22:23], v[14:15]
	v_add_f64_e32 v[24:25], v[24:25], v[16:17]
	ds_load_b128 v[2:5], v1 offset:1680
	ds_load_b128 v[14:17], v1 offset:1696
	v_fma_f64 v[20:21], v[20:21], v[159:160], v[26:27]
	v_fma_f64 v[18:19], v[18:19], v[159:160], -v[28:29]
	s_wait_loadcnt_dscnt 0x201
	v_mul_f64_e32 v[38:39], v[2:3], v[36:37]
	v_mul_f64_e32 v[36:37], v[4:5], v[36:37]
	v_add_f64_e32 v[22:23], v[22:23], v[32:33]
	v_add_f64_e32 v[24:25], v[24:25], v[30:31]
	s_wait_loadcnt_dscnt 0x100
	v_mul_f64_e32 v[26:27], v[14:15], v[8:9]
	v_mul_f64_e32 v[8:9], v[16:17], v[8:9]
	v_fma_f64 v[28:29], v[4:5], v[34:35], v[38:39]
	v_fma_f64 v[30:31], v[2:3], v[34:35], -v[36:37]
	ds_load_b128 v[2:5], v1 offset:1712
	v_add_f64_e32 v[18:19], v[22:23], v[18:19]
	v_add_f64_e32 v[20:21], v[24:25], v[20:21]
	s_wait_loadcnt_dscnt 0x0
	v_mul_f64_e32 v[22:23], v[2:3], v[12:13]
	v_mul_f64_e32 v[12:13], v[4:5], v[12:13]
	v_fma_f64 v[16:17], v[16:17], v[6:7], v[26:27]
	v_fma_f64 v[6:7], v[14:15], v[6:7], -v[8:9]
	v_add_f64_e32 v[8:9], v[18:19], v[30:31]
	v_add_f64_e32 v[14:15], v[20:21], v[28:29]
	v_fma_f64 v[4:5], v[4:5], v[10:11], v[22:23]
	v_fma_f64 v[2:3], v[2:3], v[10:11], -v[12:13]
	s_delay_alu instid0(VALU_DEP_4) | instskip(NEXT) | instid1(VALU_DEP_4)
	v_add_f64_e32 v[6:7], v[8:9], v[6:7]
	v_add_f64_e32 v[8:9], v[14:15], v[16:17]
	s_delay_alu instid0(VALU_DEP_2) | instskip(NEXT) | instid1(VALU_DEP_2)
	v_add_f64_e32 v[2:3], v[6:7], v[2:3]
	v_add_f64_e32 v[4:5], v[8:9], v[4:5]
	s_delay_alu instid0(VALU_DEP_2) | instskip(NEXT) | instid1(VALU_DEP_2)
	v_add_f64_e64 v[2:3], v[42:43], -v[2:3]
	v_add_f64_e64 v[4:5], v[44:45], -v[4:5]
	scratch_store_b128 off, v[2:5], off offset:656
	v_cmpx_lt_u32_e32 39, v0
	s_cbranch_execz .LBB117_259
; %bb.258:
	scratch_load_b128 v[5:8], off, s27
	v_dual_mov_b32 v2, v1 :: v_dual_mov_b32 v3, v1
	v_mov_b32_e32 v4, v1
	scratch_store_b128 off, v[1:4], off offset:640
	s_wait_loadcnt 0x0
	ds_store_b128 v154, v[5:8]
.LBB117_259:
	s_wait_alu 0xfffe
	s_or_b32 exec_lo, exec_lo, s0
	s_wait_storecnt_dscnt 0x0
	s_barrier_signal -1
	s_barrier_wait -1
	global_inv scope:SCOPE_SE
	s_clause 0x8
	scratch_load_b128 v[2:5], off, off offset:656
	scratch_load_b128 v[6:9], off, off offset:672
	;; [unrolled: 1-line block ×9, first 2 shown]
	ds_load_b128 v[38:41], v1 offset:1504
	ds_load_b128 v[42:45], v1 offset:1520
	s_clause 0x1
	scratch_load_b128 v[155:158], off, off offset:640
	scratch_load_b128 v[159:162], off, off offset:800
	s_mov_b32 s0, exec_lo
	s_wait_loadcnt_dscnt 0xa01
	v_mul_f64_e32 v[163:164], v[40:41], v[4:5]
	v_mul_f64_e32 v[4:5], v[38:39], v[4:5]
	s_wait_loadcnt_dscnt 0x900
	v_mul_f64_e32 v[167:168], v[42:43], v[8:9]
	v_mul_f64_e32 v[8:9], v[44:45], v[8:9]
	s_delay_alu instid0(VALU_DEP_4) | instskip(NEXT) | instid1(VALU_DEP_4)
	v_fma_f64 v[169:170], v[38:39], v[2:3], -v[163:164]
	v_fma_f64 v[171:172], v[40:41], v[2:3], v[4:5]
	ds_load_b128 v[2:5], v1 offset:1536
	ds_load_b128 v[163:166], v1 offset:1552
	scratch_load_b128 v[38:41], off, off offset:816
	v_fma_f64 v[44:45], v[44:45], v[6:7], v[167:168]
	v_fma_f64 v[42:43], v[42:43], v[6:7], -v[8:9]
	scratch_load_b128 v[6:9], off, off offset:832
	s_wait_loadcnt_dscnt 0xa01
	v_mul_f64_e32 v[173:174], v[2:3], v[12:13]
	v_mul_f64_e32 v[12:13], v[4:5], v[12:13]
	v_add_f64_e32 v[167:168], 0, v[169:170]
	v_add_f64_e32 v[169:170], 0, v[171:172]
	s_wait_loadcnt_dscnt 0x900
	v_mul_f64_e32 v[171:172], v[163:164], v[16:17]
	v_mul_f64_e32 v[16:17], v[165:166], v[16:17]
	v_fma_f64 v[173:174], v[4:5], v[10:11], v[173:174]
	v_fma_f64 v[175:176], v[2:3], v[10:11], -v[12:13]
	ds_load_b128 v[2:5], v1 offset:1568
	scratch_load_b128 v[10:13], off, off offset:848
	v_add_f64_e32 v[167:168], v[167:168], v[42:43]
	v_add_f64_e32 v[169:170], v[169:170], v[44:45]
	ds_load_b128 v[42:45], v1 offset:1584
	v_fma_f64 v[165:166], v[165:166], v[14:15], v[171:172]
	v_fma_f64 v[163:164], v[163:164], v[14:15], -v[16:17]
	scratch_load_b128 v[14:17], off, off offset:864
	s_wait_loadcnt_dscnt 0xa01
	v_mul_f64_e32 v[177:178], v[2:3], v[20:21]
	v_mul_f64_e32 v[20:21], v[4:5], v[20:21]
	s_wait_loadcnt_dscnt 0x900
	v_mul_f64_e32 v[171:172], v[42:43], v[24:25]
	v_mul_f64_e32 v[24:25], v[44:45], v[24:25]
	v_add_f64_e32 v[167:168], v[167:168], v[175:176]
	v_add_f64_e32 v[169:170], v[169:170], v[173:174]
	v_fma_f64 v[173:174], v[4:5], v[18:19], v[177:178]
	v_fma_f64 v[175:176], v[2:3], v[18:19], -v[20:21]
	ds_load_b128 v[2:5], v1 offset:1600
	ds_load_b128 v[18:21], v1 offset:1616
	v_fma_f64 v[44:45], v[44:45], v[22:23], v[171:172]
	v_fma_f64 v[22:23], v[42:43], v[22:23], -v[24:25]
	v_add_f64_e32 v[163:164], v[167:168], v[163:164]
	v_add_f64_e32 v[165:166], v[169:170], v[165:166]
	s_wait_loadcnt_dscnt 0x801
	v_mul_f64_e32 v[167:168], v[2:3], v[28:29]
	v_mul_f64_e32 v[28:29], v[4:5], v[28:29]
	s_delay_alu instid0(VALU_DEP_4) | instskip(NEXT) | instid1(VALU_DEP_4)
	v_add_f64_e32 v[24:25], v[163:164], v[175:176]
	v_add_f64_e32 v[42:43], v[165:166], v[173:174]
	s_wait_loadcnt_dscnt 0x700
	v_mul_f64_e32 v[163:164], v[18:19], v[32:33]
	v_mul_f64_e32 v[32:33], v[20:21], v[32:33]
	v_fma_f64 v[165:166], v[4:5], v[26:27], v[167:168]
	v_fma_f64 v[26:27], v[2:3], v[26:27], -v[28:29]
	v_add_f64_e32 v[28:29], v[24:25], v[22:23]
	v_add_f64_e32 v[42:43], v[42:43], v[44:45]
	ds_load_b128 v[2:5], v1 offset:1632
	ds_load_b128 v[22:25], v1 offset:1648
	v_fma_f64 v[20:21], v[20:21], v[30:31], v[163:164]
	v_fma_f64 v[18:19], v[18:19], v[30:31], -v[32:33]
	s_wait_loadcnt_dscnt 0x601
	v_mul_f64_e32 v[44:45], v[2:3], v[36:37]
	v_mul_f64_e32 v[36:37], v[4:5], v[36:37]
	s_wait_loadcnt_dscnt 0x400
	v_mul_f64_e32 v[30:31], v[22:23], v[161:162]
	v_mul_f64_e32 v[32:33], v[24:25], v[161:162]
	v_add_f64_e32 v[26:27], v[28:29], v[26:27]
	v_add_f64_e32 v[28:29], v[42:43], v[165:166]
	v_fma_f64 v[42:43], v[4:5], v[34:35], v[44:45]
	v_fma_f64 v[34:35], v[2:3], v[34:35], -v[36:37]
	v_fma_f64 v[24:25], v[24:25], v[159:160], v[30:31]
	v_fma_f64 v[22:23], v[22:23], v[159:160], -v[32:33]
	v_add_f64_e32 v[26:27], v[26:27], v[18:19]
	v_add_f64_e32 v[28:29], v[28:29], v[20:21]
	ds_load_b128 v[2:5], v1 offset:1664
	ds_load_b128 v[18:21], v1 offset:1680
	s_wait_loadcnt_dscnt 0x301
	v_mul_f64_e32 v[36:37], v[2:3], v[40:41]
	v_mul_f64_e32 v[40:41], v[4:5], v[40:41]
	s_wait_loadcnt_dscnt 0x200
	v_mul_f64_e32 v[30:31], v[18:19], v[8:9]
	v_mul_f64_e32 v[8:9], v[20:21], v[8:9]
	v_add_f64_e32 v[26:27], v[26:27], v[34:35]
	v_add_f64_e32 v[28:29], v[28:29], v[42:43]
	v_fma_f64 v[32:33], v[4:5], v[38:39], v[36:37]
	v_fma_f64 v[34:35], v[2:3], v[38:39], -v[40:41]
	v_fma_f64 v[20:21], v[20:21], v[6:7], v[30:31]
	v_fma_f64 v[6:7], v[18:19], v[6:7], -v[8:9]
	v_add_f64_e32 v[26:27], v[26:27], v[22:23]
	v_add_f64_e32 v[28:29], v[28:29], v[24:25]
	ds_load_b128 v[2:5], v1 offset:1696
	ds_load_b128 v[22:25], v1 offset:1712
	s_wait_loadcnt_dscnt 0x101
	v_mul_f64_e32 v[36:37], v[2:3], v[12:13]
	v_mul_f64_e32 v[12:13], v[4:5], v[12:13]
	v_add_f64_e32 v[8:9], v[26:27], v[34:35]
	v_add_f64_e32 v[18:19], v[28:29], v[32:33]
	s_wait_loadcnt_dscnt 0x0
	v_mul_f64_e32 v[26:27], v[22:23], v[16:17]
	v_mul_f64_e32 v[16:17], v[24:25], v[16:17]
	v_fma_f64 v[4:5], v[4:5], v[10:11], v[36:37]
	v_fma_f64 v[1:2], v[2:3], v[10:11], -v[12:13]
	v_add_f64_e32 v[6:7], v[8:9], v[6:7]
	v_add_f64_e32 v[8:9], v[18:19], v[20:21]
	v_fma_f64 v[10:11], v[24:25], v[14:15], v[26:27]
	v_fma_f64 v[12:13], v[22:23], v[14:15], -v[16:17]
	s_delay_alu instid0(VALU_DEP_4) | instskip(NEXT) | instid1(VALU_DEP_4)
	v_add_f64_e32 v[1:2], v[6:7], v[1:2]
	v_add_f64_e32 v[3:4], v[8:9], v[4:5]
	s_delay_alu instid0(VALU_DEP_2) | instskip(NEXT) | instid1(VALU_DEP_2)
	v_add_f64_e32 v[1:2], v[1:2], v[12:13]
	v_add_f64_e32 v[3:4], v[3:4], v[10:11]
	s_delay_alu instid0(VALU_DEP_2) | instskip(NEXT) | instid1(VALU_DEP_2)
	v_add_f64_e64 v[1:2], v[155:156], -v[1:2]
	v_add_f64_e64 v[3:4], v[157:158], -v[3:4]
	scratch_store_b128 off, v[1:4], off offset:640
	v_cmpx_lt_u32_e32 38, v0
	s_cbranch_execz .LBB117_261
; %bb.260:
	scratch_load_b128 v[1:4], off, s28
	v_mov_b32_e32 v5, 0
	s_delay_alu instid0(VALU_DEP_1)
	v_dual_mov_b32 v6, v5 :: v_dual_mov_b32 v7, v5
	v_mov_b32_e32 v8, v5
	scratch_store_b128 off, v[5:8], off offset:624
	s_wait_loadcnt 0x0
	ds_store_b128 v154, v[1:4]
.LBB117_261:
	s_wait_alu 0xfffe
	s_or_b32 exec_lo, exec_lo, s0
	s_wait_storecnt_dscnt 0x0
	s_barrier_signal -1
	s_barrier_wait -1
	global_inv scope:SCOPE_SE
	s_clause 0x7
	scratch_load_b128 v[2:5], off, off offset:640
	scratch_load_b128 v[6:9], off, off offset:656
	;; [unrolled: 1-line block ×8, first 2 shown]
	v_mov_b32_e32 v1, 0
	s_mov_b32 s0, exec_lo
	ds_load_b128 v[34:37], v1 offset:1488
	s_clause 0x1
	scratch_load_b128 v[38:41], off, off offset:768
	scratch_load_b128 v[42:45], off, off offset:624
	ds_load_b128 v[155:158], v1 offset:1504
	scratch_load_b128 v[159:162], off, off offset:784
	s_wait_loadcnt_dscnt 0xa01
	v_mul_f64_e32 v[163:164], v[36:37], v[4:5]
	v_mul_f64_e32 v[4:5], v[34:35], v[4:5]
	s_delay_alu instid0(VALU_DEP_2) | instskip(NEXT) | instid1(VALU_DEP_2)
	v_fma_f64 v[169:170], v[34:35], v[2:3], -v[163:164]
	v_fma_f64 v[171:172], v[36:37], v[2:3], v[4:5]
	ds_load_b128 v[2:5], v1 offset:1520
	s_wait_loadcnt_dscnt 0x901
	v_mul_f64_e32 v[167:168], v[155:156], v[8:9]
	v_mul_f64_e32 v[8:9], v[157:158], v[8:9]
	scratch_load_b128 v[34:37], off, off offset:800
	ds_load_b128 v[163:166], v1 offset:1536
	s_wait_loadcnt_dscnt 0x901
	v_mul_f64_e32 v[173:174], v[2:3], v[12:13]
	v_mul_f64_e32 v[12:13], v[4:5], v[12:13]
	v_fma_f64 v[157:158], v[157:158], v[6:7], v[167:168]
	v_fma_f64 v[155:156], v[155:156], v[6:7], -v[8:9]
	v_add_f64_e32 v[167:168], 0, v[169:170]
	v_add_f64_e32 v[169:170], 0, v[171:172]
	scratch_load_b128 v[6:9], off, off offset:816
	v_fma_f64 v[173:174], v[4:5], v[10:11], v[173:174]
	v_fma_f64 v[175:176], v[2:3], v[10:11], -v[12:13]
	ds_load_b128 v[2:5], v1 offset:1552
	s_wait_loadcnt_dscnt 0x901
	v_mul_f64_e32 v[171:172], v[163:164], v[16:17]
	v_mul_f64_e32 v[16:17], v[165:166], v[16:17]
	scratch_load_b128 v[10:13], off, off offset:832
	v_add_f64_e32 v[167:168], v[167:168], v[155:156]
	v_add_f64_e32 v[169:170], v[169:170], v[157:158]
	s_wait_loadcnt_dscnt 0x900
	v_mul_f64_e32 v[177:178], v[2:3], v[20:21]
	v_mul_f64_e32 v[20:21], v[4:5], v[20:21]
	ds_load_b128 v[155:158], v1 offset:1568
	v_fma_f64 v[165:166], v[165:166], v[14:15], v[171:172]
	v_fma_f64 v[163:164], v[163:164], v[14:15], -v[16:17]
	scratch_load_b128 v[14:17], off, off offset:848
	v_add_f64_e32 v[167:168], v[167:168], v[175:176]
	v_add_f64_e32 v[169:170], v[169:170], v[173:174]
	v_fma_f64 v[173:174], v[4:5], v[18:19], v[177:178]
	v_fma_f64 v[175:176], v[2:3], v[18:19], -v[20:21]
	ds_load_b128 v[2:5], v1 offset:1584
	s_wait_loadcnt_dscnt 0x901
	v_mul_f64_e32 v[171:172], v[155:156], v[24:25]
	v_mul_f64_e32 v[24:25], v[157:158], v[24:25]
	scratch_load_b128 v[18:21], off, off offset:864
	s_wait_loadcnt_dscnt 0x900
	v_mul_f64_e32 v[177:178], v[2:3], v[28:29]
	v_mul_f64_e32 v[28:29], v[4:5], v[28:29]
	v_add_f64_e32 v[167:168], v[167:168], v[163:164]
	v_add_f64_e32 v[169:170], v[169:170], v[165:166]
	ds_load_b128 v[163:166], v1 offset:1600
	v_fma_f64 v[157:158], v[157:158], v[22:23], v[171:172]
	v_fma_f64 v[22:23], v[155:156], v[22:23], -v[24:25]
	v_add_f64_e32 v[24:25], v[167:168], v[175:176]
	v_add_f64_e32 v[155:156], v[169:170], v[173:174]
	s_wait_loadcnt_dscnt 0x800
	v_mul_f64_e32 v[167:168], v[163:164], v[32:33]
	v_mul_f64_e32 v[32:33], v[165:166], v[32:33]
	v_fma_f64 v[169:170], v[4:5], v[26:27], v[177:178]
	v_fma_f64 v[26:27], v[2:3], v[26:27], -v[28:29]
	v_add_f64_e32 v[28:29], v[24:25], v[22:23]
	v_add_f64_e32 v[155:156], v[155:156], v[157:158]
	ds_load_b128 v[2:5], v1 offset:1616
	ds_load_b128 v[22:25], v1 offset:1632
	v_fma_f64 v[165:166], v[165:166], v[30:31], v[167:168]
	v_fma_f64 v[30:31], v[163:164], v[30:31], -v[32:33]
	s_wait_loadcnt_dscnt 0x701
	v_mul_f64_e32 v[157:158], v[2:3], v[40:41]
	v_mul_f64_e32 v[40:41], v[4:5], v[40:41]
	s_wait_loadcnt_dscnt 0x500
	v_mul_f64_e32 v[32:33], v[22:23], v[161:162]
	v_add_f64_e32 v[26:27], v[28:29], v[26:27]
	v_add_f64_e32 v[28:29], v[155:156], v[169:170]
	v_mul_f64_e32 v[155:156], v[24:25], v[161:162]
	v_fma_f64 v[157:158], v[4:5], v[38:39], v[157:158]
	v_fma_f64 v[38:39], v[2:3], v[38:39], -v[40:41]
	v_fma_f64 v[24:25], v[24:25], v[159:160], v[32:33]
	v_add_f64_e32 v[30:31], v[26:27], v[30:31]
	v_add_f64_e32 v[40:41], v[28:29], v[165:166]
	ds_load_b128 v[2:5], v1 offset:1648
	ds_load_b128 v[26:29], v1 offset:1664
	v_fma_f64 v[22:23], v[22:23], v[159:160], -v[155:156]
	s_wait_loadcnt_dscnt 0x401
	v_mul_f64_e32 v[161:162], v[2:3], v[36:37]
	v_mul_f64_e32 v[36:37], v[4:5], v[36:37]
	v_add_f64_e32 v[30:31], v[30:31], v[38:39]
	v_add_f64_e32 v[32:33], v[40:41], v[157:158]
	s_wait_loadcnt_dscnt 0x300
	v_mul_f64_e32 v[38:39], v[26:27], v[8:9]
	v_mul_f64_e32 v[8:9], v[28:29], v[8:9]
	v_fma_f64 v[40:41], v[4:5], v[34:35], v[161:162]
	v_fma_f64 v[34:35], v[2:3], v[34:35], -v[36:37]
	v_add_f64_e32 v[30:31], v[30:31], v[22:23]
	v_add_f64_e32 v[32:33], v[32:33], v[24:25]
	ds_load_b128 v[2:5], v1 offset:1680
	ds_load_b128 v[22:25], v1 offset:1696
	v_fma_f64 v[28:29], v[28:29], v[6:7], v[38:39]
	v_fma_f64 v[6:7], v[26:27], v[6:7], -v[8:9]
	s_wait_loadcnt_dscnt 0x201
	v_mul_f64_e32 v[36:37], v[2:3], v[12:13]
	v_mul_f64_e32 v[12:13], v[4:5], v[12:13]
	v_add_f64_e32 v[8:9], v[30:31], v[34:35]
	v_add_f64_e32 v[26:27], v[32:33], v[40:41]
	s_wait_loadcnt_dscnt 0x100
	v_mul_f64_e32 v[30:31], v[22:23], v[16:17]
	v_mul_f64_e32 v[16:17], v[24:25], v[16:17]
	v_fma_f64 v[32:33], v[4:5], v[10:11], v[36:37]
	v_fma_f64 v[10:11], v[2:3], v[10:11], -v[12:13]
	ds_load_b128 v[2:5], v1 offset:1712
	v_add_f64_e32 v[6:7], v[8:9], v[6:7]
	v_add_f64_e32 v[8:9], v[26:27], v[28:29]
	v_fma_f64 v[24:25], v[24:25], v[14:15], v[30:31]
	v_fma_f64 v[14:15], v[22:23], v[14:15], -v[16:17]
	s_wait_loadcnt_dscnt 0x0
	v_mul_f64_e32 v[12:13], v[2:3], v[20:21]
	v_mul_f64_e32 v[20:21], v[4:5], v[20:21]
	v_add_f64_e32 v[6:7], v[6:7], v[10:11]
	v_add_f64_e32 v[8:9], v[8:9], v[32:33]
	s_delay_alu instid0(VALU_DEP_4) | instskip(NEXT) | instid1(VALU_DEP_4)
	v_fma_f64 v[4:5], v[4:5], v[18:19], v[12:13]
	v_fma_f64 v[2:3], v[2:3], v[18:19], -v[20:21]
	s_delay_alu instid0(VALU_DEP_4) | instskip(NEXT) | instid1(VALU_DEP_4)
	v_add_f64_e32 v[6:7], v[6:7], v[14:15]
	v_add_f64_e32 v[8:9], v[8:9], v[24:25]
	s_delay_alu instid0(VALU_DEP_2) | instskip(NEXT) | instid1(VALU_DEP_2)
	v_add_f64_e32 v[2:3], v[6:7], v[2:3]
	v_add_f64_e32 v[4:5], v[8:9], v[4:5]
	s_delay_alu instid0(VALU_DEP_2) | instskip(NEXT) | instid1(VALU_DEP_2)
	v_add_f64_e64 v[2:3], v[42:43], -v[2:3]
	v_add_f64_e64 v[4:5], v[44:45], -v[4:5]
	scratch_store_b128 off, v[2:5], off offset:624
	v_cmpx_lt_u32_e32 37, v0
	s_cbranch_execz .LBB117_263
; %bb.262:
	scratch_load_b128 v[5:8], off, s29
	v_dual_mov_b32 v2, v1 :: v_dual_mov_b32 v3, v1
	v_mov_b32_e32 v4, v1
	scratch_store_b128 off, v[1:4], off offset:608
	s_wait_loadcnt 0x0
	ds_store_b128 v154, v[5:8]
.LBB117_263:
	s_wait_alu 0xfffe
	s_or_b32 exec_lo, exec_lo, s0
	s_wait_storecnt_dscnt 0x0
	s_barrier_signal -1
	s_barrier_wait -1
	global_inv scope:SCOPE_SE
	s_clause 0x8
	scratch_load_b128 v[2:5], off, off offset:624
	scratch_load_b128 v[6:9], off, off offset:640
	;; [unrolled: 1-line block ×9, first 2 shown]
	ds_load_b128 v[38:41], v1 offset:1472
	ds_load_b128 v[42:45], v1 offset:1488
	s_clause 0x1
	scratch_load_b128 v[155:158], off, off offset:608
	scratch_load_b128 v[159:162], off, off offset:768
	s_mov_b32 s0, exec_lo
	s_wait_loadcnt_dscnt 0xa01
	v_mul_f64_e32 v[163:164], v[40:41], v[4:5]
	v_mul_f64_e32 v[4:5], v[38:39], v[4:5]
	s_wait_loadcnt_dscnt 0x900
	v_mul_f64_e32 v[167:168], v[42:43], v[8:9]
	v_mul_f64_e32 v[8:9], v[44:45], v[8:9]
	s_delay_alu instid0(VALU_DEP_4) | instskip(NEXT) | instid1(VALU_DEP_4)
	v_fma_f64 v[169:170], v[38:39], v[2:3], -v[163:164]
	v_fma_f64 v[171:172], v[40:41], v[2:3], v[4:5]
	ds_load_b128 v[2:5], v1 offset:1504
	ds_load_b128 v[163:166], v1 offset:1520
	scratch_load_b128 v[38:41], off, off offset:784
	v_fma_f64 v[44:45], v[44:45], v[6:7], v[167:168]
	v_fma_f64 v[42:43], v[42:43], v[6:7], -v[8:9]
	scratch_load_b128 v[6:9], off, off offset:800
	s_wait_loadcnt_dscnt 0xa01
	v_mul_f64_e32 v[173:174], v[2:3], v[12:13]
	v_mul_f64_e32 v[12:13], v[4:5], v[12:13]
	v_add_f64_e32 v[167:168], 0, v[169:170]
	v_add_f64_e32 v[169:170], 0, v[171:172]
	s_wait_loadcnt_dscnt 0x900
	v_mul_f64_e32 v[171:172], v[163:164], v[16:17]
	v_mul_f64_e32 v[16:17], v[165:166], v[16:17]
	v_fma_f64 v[173:174], v[4:5], v[10:11], v[173:174]
	v_fma_f64 v[175:176], v[2:3], v[10:11], -v[12:13]
	ds_load_b128 v[2:5], v1 offset:1536
	scratch_load_b128 v[10:13], off, off offset:816
	v_add_f64_e32 v[167:168], v[167:168], v[42:43]
	v_add_f64_e32 v[169:170], v[169:170], v[44:45]
	ds_load_b128 v[42:45], v1 offset:1552
	v_fma_f64 v[165:166], v[165:166], v[14:15], v[171:172]
	v_fma_f64 v[163:164], v[163:164], v[14:15], -v[16:17]
	scratch_load_b128 v[14:17], off, off offset:832
	s_wait_loadcnt_dscnt 0xa01
	v_mul_f64_e32 v[177:178], v[2:3], v[20:21]
	v_mul_f64_e32 v[20:21], v[4:5], v[20:21]
	s_wait_loadcnt_dscnt 0x900
	v_mul_f64_e32 v[171:172], v[42:43], v[24:25]
	v_mul_f64_e32 v[24:25], v[44:45], v[24:25]
	v_add_f64_e32 v[167:168], v[167:168], v[175:176]
	v_add_f64_e32 v[169:170], v[169:170], v[173:174]
	v_fma_f64 v[173:174], v[4:5], v[18:19], v[177:178]
	v_fma_f64 v[175:176], v[2:3], v[18:19], -v[20:21]
	ds_load_b128 v[2:5], v1 offset:1568
	scratch_load_b128 v[18:21], off, off offset:848
	v_fma_f64 v[44:45], v[44:45], v[22:23], v[171:172]
	v_fma_f64 v[42:43], v[42:43], v[22:23], -v[24:25]
	scratch_load_b128 v[22:25], off, off offset:864
	v_add_f64_e32 v[167:168], v[167:168], v[163:164]
	v_add_f64_e32 v[169:170], v[169:170], v[165:166]
	ds_load_b128 v[163:166], v1 offset:1584
	s_wait_loadcnt_dscnt 0xa01
	v_mul_f64_e32 v[177:178], v[2:3], v[28:29]
	v_mul_f64_e32 v[28:29], v[4:5], v[28:29]
	s_wait_loadcnt_dscnt 0x900
	v_mul_f64_e32 v[171:172], v[163:164], v[32:33]
	v_mul_f64_e32 v[32:33], v[165:166], v[32:33]
	v_add_f64_e32 v[167:168], v[167:168], v[175:176]
	v_add_f64_e32 v[169:170], v[169:170], v[173:174]
	v_fma_f64 v[173:174], v[4:5], v[26:27], v[177:178]
	v_fma_f64 v[175:176], v[2:3], v[26:27], -v[28:29]
	ds_load_b128 v[2:5], v1 offset:1600
	ds_load_b128 v[26:29], v1 offset:1616
	v_fma_f64 v[165:166], v[165:166], v[30:31], v[171:172]
	v_fma_f64 v[30:31], v[163:164], v[30:31], -v[32:33]
	v_add_f64_e32 v[42:43], v[167:168], v[42:43]
	v_add_f64_e32 v[44:45], v[169:170], v[44:45]
	s_wait_loadcnt_dscnt 0x801
	v_mul_f64_e32 v[167:168], v[2:3], v[36:37]
	v_mul_f64_e32 v[36:37], v[4:5], v[36:37]
	s_delay_alu instid0(VALU_DEP_4) | instskip(NEXT) | instid1(VALU_DEP_4)
	v_add_f64_e32 v[32:33], v[42:43], v[175:176]
	v_add_f64_e32 v[42:43], v[44:45], v[173:174]
	s_wait_loadcnt_dscnt 0x600
	v_mul_f64_e32 v[44:45], v[26:27], v[161:162]
	v_mul_f64_e32 v[161:162], v[28:29], v[161:162]
	v_fma_f64 v[163:164], v[4:5], v[34:35], v[167:168]
	v_fma_f64 v[34:35], v[2:3], v[34:35], -v[36:37]
	v_add_f64_e32 v[36:37], v[32:33], v[30:31]
	v_add_f64_e32 v[42:43], v[42:43], v[165:166]
	ds_load_b128 v[2:5], v1 offset:1632
	ds_load_b128 v[30:33], v1 offset:1648
	v_fma_f64 v[28:29], v[28:29], v[159:160], v[44:45]
	v_fma_f64 v[26:27], v[26:27], v[159:160], -v[161:162]
	s_wait_loadcnt_dscnt 0x501
	v_mul_f64_e32 v[165:166], v[2:3], v[40:41]
	v_mul_f64_e32 v[40:41], v[4:5], v[40:41]
	v_add_f64_e32 v[34:35], v[36:37], v[34:35]
	v_add_f64_e32 v[36:37], v[42:43], v[163:164]
	s_wait_loadcnt_dscnt 0x400
	v_mul_f64_e32 v[42:43], v[30:31], v[8:9]
	v_mul_f64_e32 v[8:9], v[32:33], v[8:9]
	v_fma_f64 v[44:45], v[4:5], v[38:39], v[165:166]
	v_fma_f64 v[38:39], v[2:3], v[38:39], -v[40:41]
	v_add_f64_e32 v[34:35], v[34:35], v[26:27]
	v_add_f64_e32 v[36:37], v[36:37], v[28:29]
	ds_load_b128 v[2:5], v1 offset:1664
	ds_load_b128 v[26:29], v1 offset:1680
	v_fma_f64 v[32:33], v[32:33], v[6:7], v[42:43]
	v_fma_f64 v[6:7], v[30:31], v[6:7], -v[8:9]
	s_wait_loadcnt_dscnt 0x301
	v_mul_f64_e32 v[40:41], v[2:3], v[12:13]
	v_mul_f64_e32 v[12:13], v[4:5], v[12:13]
	;; [unrolled: 16-line block ×3, first 2 shown]
	s_wait_loadcnt_dscnt 0x0
	v_mul_f64_e32 v[16:17], v[6:7], v[24:25]
	v_mul_f64_e32 v[24:25], v[8:9], v[24:25]
	v_add_f64_e32 v[10:11], v[12:13], v[10:11]
	v_add_f64_e32 v[12:13], v[30:31], v[36:37]
	v_fma_f64 v[4:5], v[4:5], v[18:19], v[32:33]
	v_fma_f64 v[1:2], v[2:3], v[18:19], -v[20:21]
	v_fma_f64 v[8:9], v[8:9], v[22:23], v[16:17]
	v_fma_f64 v[6:7], v[6:7], v[22:23], -v[24:25]
	v_add_f64_e32 v[10:11], v[10:11], v[14:15]
	v_add_f64_e32 v[12:13], v[12:13], v[28:29]
	s_delay_alu instid0(VALU_DEP_2) | instskip(NEXT) | instid1(VALU_DEP_2)
	v_add_f64_e32 v[1:2], v[10:11], v[1:2]
	v_add_f64_e32 v[3:4], v[12:13], v[4:5]
	s_delay_alu instid0(VALU_DEP_2) | instskip(NEXT) | instid1(VALU_DEP_2)
	;; [unrolled: 3-line block ×3, first 2 shown]
	v_add_f64_e64 v[1:2], v[155:156], -v[1:2]
	v_add_f64_e64 v[3:4], v[157:158], -v[3:4]
	scratch_store_b128 off, v[1:4], off offset:608
	v_cmpx_lt_u32_e32 36, v0
	s_cbranch_execz .LBB117_265
; %bb.264:
	scratch_load_b128 v[1:4], off, s30
	v_mov_b32_e32 v5, 0
	s_delay_alu instid0(VALU_DEP_1)
	v_dual_mov_b32 v6, v5 :: v_dual_mov_b32 v7, v5
	v_mov_b32_e32 v8, v5
	scratch_store_b128 off, v[5:8], off offset:592
	s_wait_loadcnt 0x0
	ds_store_b128 v154, v[1:4]
.LBB117_265:
	s_wait_alu 0xfffe
	s_or_b32 exec_lo, exec_lo, s0
	s_wait_storecnt_dscnt 0x0
	s_barrier_signal -1
	s_barrier_wait -1
	global_inv scope:SCOPE_SE
	s_clause 0x7
	scratch_load_b128 v[2:5], off, off offset:608
	scratch_load_b128 v[6:9], off, off offset:624
	;; [unrolled: 1-line block ×8, first 2 shown]
	v_mov_b32_e32 v1, 0
	s_mov_b32 s0, exec_lo
	ds_load_b128 v[34:37], v1 offset:1456
	s_clause 0x1
	scratch_load_b128 v[38:41], off, off offset:736
	scratch_load_b128 v[42:45], off, off offset:592
	ds_load_b128 v[155:158], v1 offset:1472
	scratch_load_b128 v[159:162], off, off offset:752
	s_wait_loadcnt_dscnt 0xa01
	v_mul_f64_e32 v[163:164], v[36:37], v[4:5]
	v_mul_f64_e32 v[4:5], v[34:35], v[4:5]
	s_delay_alu instid0(VALU_DEP_2) | instskip(NEXT) | instid1(VALU_DEP_2)
	v_fma_f64 v[169:170], v[34:35], v[2:3], -v[163:164]
	v_fma_f64 v[171:172], v[36:37], v[2:3], v[4:5]
	ds_load_b128 v[2:5], v1 offset:1488
	s_wait_loadcnt_dscnt 0x901
	v_mul_f64_e32 v[167:168], v[155:156], v[8:9]
	v_mul_f64_e32 v[8:9], v[157:158], v[8:9]
	scratch_load_b128 v[34:37], off, off offset:768
	ds_load_b128 v[163:166], v1 offset:1504
	s_wait_loadcnt_dscnt 0x901
	v_mul_f64_e32 v[173:174], v[2:3], v[12:13]
	v_mul_f64_e32 v[12:13], v[4:5], v[12:13]
	v_fma_f64 v[157:158], v[157:158], v[6:7], v[167:168]
	v_fma_f64 v[155:156], v[155:156], v[6:7], -v[8:9]
	v_add_f64_e32 v[167:168], 0, v[169:170]
	v_add_f64_e32 v[169:170], 0, v[171:172]
	scratch_load_b128 v[6:9], off, off offset:784
	v_fma_f64 v[173:174], v[4:5], v[10:11], v[173:174]
	v_fma_f64 v[175:176], v[2:3], v[10:11], -v[12:13]
	ds_load_b128 v[2:5], v1 offset:1520
	s_wait_loadcnt_dscnt 0x901
	v_mul_f64_e32 v[171:172], v[163:164], v[16:17]
	v_mul_f64_e32 v[16:17], v[165:166], v[16:17]
	scratch_load_b128 v[10:13], off, off offset:800
	v_add_f64_e32 v[167:168], v[167:168], v[155:156]
	v_add_f64_e32 v[169:170], v[169:170], v[157:158]
	s_wait_loadcnt_dscnt 0x900
	v_mul_f64_e32 v[177:178], v[2:3], v[20:21]
	v_mul_f64_e32 v[20:21], v[4:5], v[20:21]
	ds_load_b128 v[155:158], v1 offset:1536
	v_fma_f64 v[165:166], v[165:166], v[14:15], v[171:172]
	v_fma_f64 v[163:164], v[163:164], v[14:15], -v[16:17]
	scratch_load_b128 v[14:17], off, off offset:816
	v_add_f64_e32 v[167:168], v[167:168], v[175:176]
	v_add_f64_e32 v[169:170], v[169:170], v[173:174]
	v_fma_f64 v[173:174], v[4:5], v[18:19], v[177:178]
	v_fma_f64 v[175:176], v[2:3], v[18:19], -v[20:21]
	ds_load_b128 v[2:5], v1 offset:1552
	s_wait_loadcnt_dscnt 0x901
	v_mul_f64_e32 v[171:172], v[155:156], v[24:25]
	v_mul_f64_e32 v[24:25], v[157:158], v[24:25]
	scratch_load_b128 v[18:21], off, off offset:832
	s_wait_loadcnt_dscnt 0x900
	v_mul_f64_e32 v[177:178], v[2:3], v[28:29]
	v_mul_f64_e32 v[28:29], v[4:5], v[28:29]
	v_add_f64_e32 v[167:168], v[167:168], v[163:164]
	v_add_f64_e32 v[169:170], v[169:170], v[165:166]
	ds_load_b128 v[163:166], v1 offset:1568
	v_fma_f64 v[157:158], v[157:158], v[22:23], v[171:172]
	v_fma_f64 v[155:156], v[155:156], v[22:23], -v[24:25]
	scratch_load_b128 v[22:25], off, off offset:848
	v_add_f64_e32 v[167:168], v[167:168], v[175:176]
	v_add_f64_e32 v[169:170], v[169:170], v[173:174]
	v_fma_f64 v[173:174], v[4:5], v[26:27], v[177:178]
	v_fma_f64 v[175:176], v[2:3], v[26:27], -v[28:29]
	ds_load_b128 v[2:5], v1 offset:1584
	s_wait_loadcnt_dscnt 0x901
	v_mul_f64_e32 v[171:172], v[163:164], v[32:33]
	v_mul_f64_e32 v[32:33], v[165:166], v[32:33]
	scratch_load_b128 v[26:29], off, off offset:864
	s_wait_loadcnt_dscnt 0x900
	v_mul_f64_e32 v[177:178], v[2:3], v[40:41]
	v_mul_f64_e32 v[40:41], v[4:5], v[40:41]
	v_add_f64_e32 v[167:168], v[167:168], v[155:156]
	v_add_f64_e32 v[169:170], v[169:170], v[157:158]
	ds_load_b128 v[155:158], v1 offset:1600
	v_fma_f64 v[165:166], v[165:166], v[30:31], v[171:172]
	v_fma_f64 v[30:31], v[163:164], v[30:31], -v[32:33]
	v_add_f64_e32 v[32:33], v[167:168], v[175:176]
	v_add_f64_e32 v[163:164], v[169:170], v[173:174]
	s_wait_loadcnt_dscnt 0x700
	v_mul_f64_e32 v[167:168], v[155:156], v[161:162]
	v_mul_f64_e32 v[161:162], v[157:158], v[161:162]
	v_fma_f64 v[169:170], v[4:5], v[38:39], v[177:178]
	v_fma_f64 v[38:39], v[2:3], v[38:39], -v[40:41]
	v_add_f64_e32 v[40:41], v[32:33], v[30:31]
	v_add_f64_e32 v[163:164], v[163:164], v[165:166]
	ds_load_b128 v[2:5], v1 offset:1616
	ds_load_b128 v[30:33], v1 offset:1632
	v_fma_f64 v[157:158], v[157:158], v[159:160], v[167:168]
	v_fma_f64 v[155:156], v[155:156], v[159:160], -v[161:162]
	s_wait_loadcnt_dscnt 0x601
	v_mul_f64_e32 v[165:166], v[2:3], v[36:37]
	v_mul_f64_e32 v[36:37], v[4:5], v[36:37]
	v_add_f64_e32 v[38:39], v[40:41], v[38:39]
	v_add_f64_e32 v[40:41], v[163:164], v[169:170]
	s_wait_loadcnt_dscnt 0x500
	v_mul_f64_e32 v[159:160], v[30:31], v[8:9]
	v_mul_f64_e32 v[8:9], v[32:33], v[8:9]
	v_fma_f64 v[161:162], v[4:5], v[34:35], v[165:166]
	v_fma_f64 v[163:164], v[2:3], v[34:35], -v[36:37]
	ds_load_b128 v[2:5], v1 offset:1648
	ds_load_b128 v[34:37], v1 offset:1664
	v_add_f64_e32 v[38:39], v[38:39], v[155:156]
	v_add_f64_e32 v[40:41], v[40:41], v[157:158]
	s_wait_loadcnt_dscnt 0x401
	v_mul_f64_e32 v[155:156], v[2:3], v[12:13]
	v_mul_f64_e32 v[12:13], v[4:5], v[12:13]
	v_fma_f64 v[32:33], v[32:33], v[6:7], v[159:160]
	v_fma_f64 v[6:7], v[30:31], v[6:7], -v[8:9]
	v_add_f64_e32 v[8:9], v[38:39], v[163:164]
	v_add_f64_e32 v[30:31], v[40:41], v[161:162]
	s_wait_loadcnt_dscnt 0x300
	v_mul_f64_e32 v[38:39], v[34:35], v[16:17]
	v_mul_f64_e32 v[16:17], v[36:37], v[16:17]
	v_fma_f64 v[40:41], v[4:5], v[10:11], v[155:156]
	v_fma_f64 v[10:11], v[2:3], v[10:11], -v[12:13]
	v_add_f64_e32 v[12:13], v[8:9], v[6:7]
	v_add_f64_e32 v[30:31], v[30:31], v[32:33]
	ds_load_b128 v[2:5], v1 offset:1680
	ds_load_b128 v[6:9], v1 offset:1696
	v_fma_f64 v[36:37], v[36:37], v[14:15], v[38:39]
	v_fma_f64 v[14:15], v[34:35], v[14:15], -v[16:17]
	s_wait_loadcnt_dscnt 0x201
	v_mul_f64_e32 v[32:33], v[2:3], v[20:21]
	v_mul_f64_e32 v[20:21], v[4:5], v[20:21]
	s_wait_loadcnt_dscnt 0x100
	v_mul_f64_e32 v[16:17], v[6:7], v[24:25]
	v_mul_f64_e32 v[24:25], v[8:9], v[24:25]
	v_add_f64_e32 v[10:11], v[12:13], v[10:11]
	v_add_f64_e32 v[12:13], v[30:31], v[40:41]
	v_fma_f64 v[30:31], v[4:5], v[18:19], v[32:33]
	v_fma_f64 v[18:19], v[2:3], v[18:19], -v[20:21]
	ds_load_b128 v[2:5], v1 offset:1712
	v_fma_f64 v[8:9], v[8:9], v[22:23], v[16:17]
	v_fma_f64 v[6:7], v[6:7], v[22:23], -v[24:25]
	v_add_f64_e32 v[10:11], v[10:11], v[14:15]
	v_add_f64_e32 v[12:13], v[12:13], v[36:37]
	s_wait_loadcnt_dscnt 0x0
	v_mul_f64_e32 v[14:15], v[2:3], v[28:29]
	v_mul_f64_e32 v[20:21], v[4:5], v[28:29]
	s_delay_alu instid0(VALU_DEP_4) | instskip(NEXT) | instid1(VALU_DEP_4)
	v_add_f64_e32 v[10:11], v[10:11], v[18:19]
	v_add_f64_e32 v[12:13], v[12:13], v[30:31]
	s_delay_alu instid0(VALU_DEP_4) | instskip(NEXT) | instid1(VALU_DEP_4)
	v_fma_f64 v[4:5], v[4:5], v[26:27], v[14:15]
	v_fma_f64 v[2:3], v[2:3], v[26:27], -v[20:21]
	s_delay_alu instid0(VALU_DEP_4) | instskip(NEXT) | instid1(VALU_DEP_4)
	v_add_f64_e32 v[6:7], v[10:11], v[6:7]
	v_add_f64_e32 v[8:9], v[12:13], v[8:9]
	s_delay_alu instid0(VALU_DEP_2) | instskip(NEXT) | instid1(VALU_DEP_2)
	v_add_f64_e32 v[2:3], v[6:7], v[2:3]
	v_add_f64_e32 v[4:5], v[8:9], v[4:5]
	s_delay_alu instid0(VALU_DEP_2) | instskip(NEXT) | instid1(VALU_DEP_2)
	v_add_f64_e64 v[2:3], v[42:43], -v[2:3]
	v_add_f64_e64 v[4:5], v[44:45], -v[4:5]
	scratch_store_b128 off, v[2:5], off offset:592
	v_cmpx_lt_u32_e32 35, v0
	s_cbranch_execz .LBB117_267
; %bb.266:
	scratch_load_b128 v[5:8], off, s31
	v_dual_mov_b32 v2, v1 :: v_dual_mov_b32 v3, v1
	v_mov_b32_e32 v4, v1
	scratch_store_b128 off, v[1:4], off offset:576
	s_wait_loadcnt 0x0
	ds_store_b128 v154, v[5:8]
.LBB117_267:
	s_wait_alu 0xfffe
	s_or_b32 exec_lo, exec_lo, s0
	s_wait_storecnt_dscnt 0x0
	s_barrier_signal -1
	s_barrier_wait -1
	global_inv scope:SCOPE_SE
	s_clause 0x8
	scratch_load_b128 v[2:5], off, off offset:592
	scratch_load_b128 v[6:9], off, off offset:608
	;; [unrolled: 1-line block ×9, first 2 shown]
	ds_load_b128 v[38:41], v1 offset:1440
	ds_load_b128 v[42:45], v1 offset:1456
	s_clause 0x1
	scratch_load_b128 v[155:158], off, off offset:576
	scratch_load_b128 v[159:162], off, off offset:736
	s_mov_b32 s0, exec_lo
	s_wait_loadcnt_dscnt 0xa01
	v_mul_f64_e32 v[163:164], v[40:41], v[4:5]
	v_mul_f64_e32 v[4:5], v[38:39], v[4:5]
	s_wait_loadcnt_dscnt 0x900
	v_mul_f64_e32 v[167:168], v[42:43], v[8:9]
	v_mul_f64_e32 v[8:9], v[44:45], v[8:9]
	s_delay_alu instid0(VALU_DEP_4) | instskip(NEXT) | instid1(VALU_DEP_4)
	v_fma_f64 v[169:170], v[38:39], v[2:3], -v[163:164]
	v_fma_f64 v[171:172], v[40:41], v[2:3], v[4:5]
	ds_load_b128 v[2:5], v1 offset:1472
	ds_load_b128 v[163:166], v1 offset:1488
	scratch_load_b128 v[38:41], off, off offset:752
	v_fma_f64 v[44:45], v[44:45], v[6:7], v[167:168]
	v_fma_f64 v[42:43], v[42:43], v[6:7], -v[8:9]
	scratch_load_b128 v[6:9], off, off offset:768
	s_wait_loadcnt_dscnt 0xa01
	v_mul_f64_e32 v[173:174], v[2:3], v[12:13]
	v_mul_f64_e32 v[12:13], v[4:5], v[12:13]
	v_add_f64_e32 v[167:168], 0, v[169:170]
	v_add_f64_e32 v[169:170], 0, v[171:172]
	s_wait_loadcnt_dscnt 0x900
	v_mul_f64_e32 v[171:172], v[163:164], v[16:17]
	v_mul_f64_e32 v[16:17], v[165:166], v[16:17]
	v_fma_f64 v[173:174], v[4:5], v[10:11], v[173:174]
	v_fma_f64 v[175:176], v[2:3], v[10:11], -v[12:13]
	ds_load_b128 v[2:5], v1 offset:1504
	scratch_load_b128 v[10:13], off, off offset:784
	v_add_f64_e32 v[167:168], v[167:168], v[42:43]
	v_add_f64_e32 v[169:170], v[169:170], v[44:45]
	ds_load_b128 v[42:45], v1 offset:1520
	v_fma_f64 v[165:166], v[165:166], v[14:15], v[171:172]
	v_fma_f64 v[163:164], v[163:164], v[14:15], -v[16:17]
	scratch_load_b128 v[14:17], off, off offset:800
	s_wait_loadcnt_dscnt 0xa01
	v_mul_f64_e32 v[177:178], v[2:3], v[20:21]
	v_mul_f64_e32 v[20:21], v[4:5], v[20:21]
	s_wait_loadcnt_dscnt 0x900
	v_mul_f64_e32 v[171:172], v[42:43], v[24:25]
	v_mul_f64_e32 v[24:25], v[44:45], v[24:25]
	v_add_f64_e32 v[167:168], v[167:168], v[175:176]
	v_add_f64_e32 v[169:170], v[169:170], v[173:174]
	v_fma_f64 v[173:174], v[4:5], v[18:19], v[177:178]
	v_fma_f64 v[175:176], v[2:3], v[18:19], -v[20:21]
	ds_load_b128 v[2:5], v1 offset:1536
	scratch_load_b128 v[18:21], off, off offset:816
	v_fma_f64 v[44:45], v[44:45], v[22:23], v[171:172]
	v_fma_f64 v[42:43], v[42:43], v[22:23], -v[24:25]
	scratch_load_b128 v[22:25], off, off offset:832
	v_add_f64_e32 v[167:168], v[167:168], v[163:164]
	v_add_f64_e32 v[169:170], v[169:170], v[165:166]
	ds_load_b128 v[163:166], v1 offset:1552
	s_wait_loadcnt_dscnt 0xa01
	v_mul_f64_e32 v[177:178], v[2:3], v[28:29]
	v_mul_f64_e32 v[28:29], v[4:5], v[28:29]
	s_wait_loadcnt_dscnt 0x900
	v_mul_f64_e32 v[171:172], v[163:164], v[32:33]
	v_mul_f64_e32 v[32:33], v[165:166], v[32:33]
	v_add_f64_e32 v[167:168], v[167:168], v[175:176]
	v_add_f64_e32 v[169:170], v[169:170], v[173:174]
	v_fma_f64 v[173:174], v[4:5], v[26:27], v[177:178]
	v_fma_f64 v[175:176], v[2:3], v[26:27], -v[28:29]
	ds_load_b128 v[2:5], v1 offset:1568
	scratch_load_b128 v[26:29], off, off offset:848
	v_fma_f64 v[165:166], v[165:166], v[30:31], v[171:172]
	v_fma_f64 v[163:164], v[163:164], v[30:31], -v[32:33]
	scratch_load_b128 v[30:33], off, off offset:864
	v_add_f64_e32 v[167:168], v[167:168], v[42:43]
	v_add_f64_e32 v[169:170], v[169:170], v[44:45]
	ds_load_b128 v[42:45], v1 offset:1584
	s_wait_loadcnt_dscnt 0xa01
	v_mul_f64_e32 v[177:178], v[2:3], v[36:37]
	v_mul_f64_e32 v[36:37], v[4:5], v[36:37]
	s_wait_loadcnt_dscnt 0x800
	v_mul_f64_e32 v[171:172], v[42:43], v[161:162]
	v_mul_f64_e32 v[161:162], v[44:45], v[161:162]
	v_add_f64_e32 v[167:168], v[167:168], v[175:176]
	v_add_f64_e32 v[169:170], v[169:170], v[173:174]
	v_fma_f64 v[173:174], v[4:5], v[34:35], v[177:178]
	v_fma_f64 v[175:176], v[2:3], v[34:35], -v[36:37]
	ds_load_b128 v[2:5], v1 offset:1600
	ds_load_b128 v[34:37], v1 offset:1616
	v_fma_f64 v[44:45], v[44:45], v[159:160], v[171:172]
	v_fma_f64 v[42:43], v[42:43], v[159:160], -v[161:162]
	v_add_f64_e32 v[163:164], v[167:168], v[163:164]
	v_add_f64_e32 v[165:166], v[169:170], v[165:166]
	s_wait_loadcnt_dscnt 0x701
	v_mul_f64_e32 v[167:168], v[2:3], v[40:41]
	v_mul_f64_e32 v[40:41], v[4:5], v[40:41]
	s_delay_alu instid0(VALU_DEP_4) | instskip(NEXT) | instid1(VALU_DEP_4)
	v_add_f64_e32 v[159:160], v[163:164], v[175:176]
	v_add_f64_e32 v[161:162], v[165:166], v[173:174]
	s_wait_loadcnt_dscnt 0x600
	v_mul_f64_e32 v[163:164], v[34:35], v[8:9]
	v_mul_f64_e32 v[8:9], v[36:37], v[8:9]
	v_fma_f64 v[165:166], v[4:5], v[38:39], v[167:168]
	v_fma_f64 v[167:168], v[2:3], v[38:39], -v[40:41]
	ds_load_b128 v[2:5], v1 offset:1632
	ds_load_b128 v[38:41], v1 offset:1648
	v_add_f64_e32 v[42:43], v[159:160], v[42:43]
	v_add_f64_e32 v[44:45], v[161:162], v[44:45]
	v_fma_f64 v[36:37], v[36:37], v[6:7], v[163:164]
	s_wait_loadcnt_dscnt 0x501
	v_mul_f64_e32 v[159:160], v[2:3], v[12:13]
	v_mul_f64_e32 v[12:13], v[4:5], v[12:13]
	v_fma_f64 v[6:7], v[34:35], v[6:7], -v[8:9]
	v_add_f64_e32 v[8:9], v[42:43], v[167:168]
	v_add_f64_e32 v[34:35], v[44:45], v[165:166]
	s_wait_loadcnt_dscnt 0x400
	v_mul_f64_e32 v[42:43], v[38:39], v[16:17]
	v_mul_f64_e32 v[16:17], v[40:41], v[16:17]
	v_fma_f64 v[44:45], v[4:5], v[10:11], v[159:160]
	v_fma_f64 v[10:11], v[2:3], v[10:11], -v[12:13]
	v_add_f64_e32 v[12:13], v[8:9], v[6:7]
	v_add_f64_e32 v[34:35], v[34:35], v[36:37]
	ds_load_b128 v[2:5], v1 offset:1664
	ds_load_b128 v[6:9], v1 offset:1680
	v_fma_f64 v[40:41], v[40:41], v[14:15], v[42:43]
	v_fma_f64 v[14:15], v[38:39], v[14:15], -v[16:17]
	s_wait_loadcnt_dscnt 0x301
	v_mul_f64_e32 v[36:37], v[2:3], v[20:21]
	v_mul_f64_e32 v[20:21], v[4:5], v[20:21]
	s_wait_loadcnt_dscnt 0x200
	v_mul_f64_e32 v[16:17], v[6:7], v[24:25]
	v_mul_f64_e32 v[24:25], v[8:9], v[24:25]
	v_add_f64_e32 v[10:11], v[12:13], v[10:11]
	v_add_f64_e32 v[12:13], v[34:35], v[44:45]
	v_fma_f64 v[34:35], v[4:5], v[18:19], v[36:37]
	v_fma_f64 v[18:19], v[2:3], v[18:19], -v[20:21]
	v_fma_f64 v[8:9], v[8:9], v[22:23], v[16:17]
	v_fma_f64 v[6:7], v[6:7], v[22:23], -v[24:25]
	v_add_f64_e32 v[14:15], v[10:11], v[14:15]
	v_add_f64_e32 v[20:21], v[12:13], v[40:41]
	ds_load_b128 v[2:5], v1 offset:1696
	ds_load_b128 v[10:13], v1 offset:1712
	s_wait_loadcnt_dscnt 0x101
	v_mul_f64_e32 v[36:37], v[2:3], v[28:29]
	v_mul_f64_e32 v[28:29], v[4:5], v[28:29]
	v_add_f64_e32 v[14:15], v[14:15], v[18:19]
	v_add_f64_e32 v[16:17], v[20:21], v[34:35]
	s_wait_loadcnt_dscnt 0x0
	v_mul_f64_e32 v[18:19], v[10:11], v[32:33]
	v_mul_f64_e32 v[20:21], v[12:13], v[32:33]
	v_fma_f64 v[4:5], v[4:5], v[26:27], v[36:37]
	v_fma_f64 v[1:2], v[2:3], v[26:27], -v[28:29]
	v_add_f64_e32 v[6:7], v[14:15], v[6:7]
	v_add_f64_e32 v[8:9], v[16:17], v[8:9]
	v_fma_f64 v[12:13], v[12:13], v[30:31], v[18:19]
	v_fma_f64 v[10:11], v[10:11], v[30:31], -v[20:21]
	s_delay_alu instid0(VALU_DEP_4) | instskip(NEXT) | instid1(VALU_DEP_4)
	v_add_f64_e32 v[1:2], v[6:7], v[1:2]
	v_add_f64_e32 v[3:4], v[8:9], v[4:5]
	s_delay_alu instid0(VALU_DEP_2) | instskip(NEXT) | instid1(VALU_DEP_2)
	v_add_f64_e32 v[1:2], v[1:2], v[10:11]
	v_add_f64_e32 v[3:4], v[3:4], v[12:13]
	s_delay_alu instid0(VALU_DEP_2) | instskip(NEXT) | instid1(VALU_DEP_2)
	v_add_f64_e64 v[1:2], v[155:156], -v[1:2]
	v_add_f64_e64 v[3:4], v[157:158], -v[3:4]
	scratch_store_b128 off, v[1:4], off offset:576
	v_cmpx_lt_u32_e32 34, v0
	s_cbranch_execz .LBB117_269
; %bb.268:
	scratch_load_b128 v[1:4], off, s33
	v_mov_b32_e32 v5, 0
	s_delay_alu instid0(VALU_DEP_1)
	v_dual_mov_b32 v6, v5 :: v_dual_mov_b32 v7, v5
	v_mov_b32_e32 v8, v5
	scratch_store_b128 off, v[5:8], off offset:560
	s_wait_loadcnt 0x0
	ds_store_b128 v154, v[1:4]
.LBB117_269:
	s_wait_alu 0xfffe
	s_or_b32 exec_lo, exec_lo, s0
	s_wait_storecnt_dscnt 0x0
	s_barrier_signal -1
	s_barrier_wait -1
	global_inv scope:SCOPE_SE
	s_clause 0x7
	scratch_load_b128 v[2:5], off, off offset:576
	scratch_load_b128 v[6:9], off, off offset:592
	scratch_load_b128 v[10:13], off, off offset:608
	scratch_load_b128 v[14:17], off, off offset:624
	scratch_load_b128 v[18:21], off, off offset:640
	scratch_load_b128 v[22:25], off, off offset:656
	scratch_load_b128 v[26:29], off, off offset:672
	scratch_load_b128 v[30:33], off, off offset:688
	v_mov_b32_e32 v1, 0
	s_mov_b32 s0, exec_lo
	ds_load_b128 v[34:37], v1 offset:1424
	s_clause 0x1
	scratch_load_b128 v[38:41], off, off offset:704
	scratch_load_b128 v[42:45], off, off offset:560
	ds_load_b128 v[155:158], v1 offset:1440
	scratch_load_b128 v[159:162], off, off offset:720
	s_wait_loadcnt_dscnt 0xa01
	v_mul_f64_e32 v[163:164], v[36:37], v[4:5]
	v_mul_f64_e32 v[4:5], v[34:35], v[4:5]
	s_delay_alu instid0(VALU_DEP_2) | instskip(NEXT) | instid1(VALU_DEP_2)
	v_fma_f64 v[169:170], v[34:35], v[2:3], -v[163:164]
	v_fma_f64 v[171:172], v[36:37], v[2:3], v[4:5]
	ds_load_b128 v[2:5], v1 offset:1456
	s_wait_loadcnt_dscnt 0x901
	v_mul_f64_e32 v[167:168], v[155:156], v[8:9]
	v_mul_f64_e32 v[8:9], v[157:158], v[8:9]
	scratch_load_b128 v[34:37], off, off offset:736
	ds_load_b128 v[163:166], v1 offset:1472
	s_wait_loadcnt_dscnt 0x901
	v_mul_f64_e32 v[173:174], v[2:3], v[12:13]
	v_mul_f64_e32 v[12:13], v[4:5], v[12:13]
	v_fma_f64 v[157:158], v[157:158], v[6:7], v[167:168]
	v_fma_f64 v[155:156], v[155:156], v[6:7], -v[8:9]
	v_add_f64_e32 v[167:168], 0, v[169:170]
	v_add_f64_e32 v[169:170], 0, v[171:172]
	scratch_load_b128 v[6:9], off, off offset:752
	v_fma_f64 v[173:174], v[4:5], v[10:11], v[173:174]
	v_fma_f64 v[175:176], v[2:3], v[10:11], -v[12:13]
	ds_load_b128 v[2:5], v1 offset:1488
	s_wait_loadcnt_dscnt 0x901
	v_mul_f64_e32 v[171:172], v[163:164], v[16:17]
	v_mul_f64_e32 v[16:17], v[165:166], v[16:17]
	scratch_load_b128 v[10:13], off, off offset:768
	v_add_f64_e32 v[167:168], v[167:168], v[155:156]
	v_add_f64_e32 v[169:170], v[169:170], v[157:158]
	s_wait_loadcnt_dscnt 0x900
	v_mul_f64_e32 v[177:178], v[2:3], v[20:21]
	v_mul_f64_e32 v[20:21], v[4:5], v[20:21]
	ds_load_b128 v[155:158], v1 offset:1504
	v_fma_f64 v[165:166], v[165:166], v[14:15], v[171:172]
	v_fma_f64 v[163:164], v[163:164], v[14:15], -v[16:17]
	scratch_load_b128 v[14:17], off, off offset:784
	v_add_f64_e32 v[167:168], v[167:168], v[175:176]
	v_add_f64_e32 v[169:170], v[169:170], v[173:174]
	v_fma_f64 v[173:174], v[4:5], v[18:19], v[177:178]
	v_fma_f64 v[175:176], v[2:3], v[18:19], -v[20:21]
	ds_load_b128 v[2:5], v1 offset:1520
	s_wait_loadcnt_dscnt 0x901
	v_mul_f64_e32 v[171:172], v[155:156], v[24:25]
	v_mul_f64_e32 v[24:25], v[157:158], v[24:25]
	scratch_load_b128 v[18:21], off, off offset:800
	s_wait_loadcnt_dscnt 0x900
	v_mul_f64_e32 v[177:178], v[2:3], v[28:29]
	v_mul_f64_e32 v[28:29], v[4:5], v[28:29]
	v_add_f64_e32 v[167:168], v[167:168], v[163:164]
	v_add_f64_e32 v[169:170], v[169:170], v[165:166]
	ds_load_b128 v[163:166], v1 offset:1536
	v_fma_f64 v[157:158], v[157:158], v[22:23], v[171:172]
	v_fma_f64 v[155:156], v[155:156], v[22:23], -v[24:25]
	scratch_load_b128 v[22:25], off, off offset:816
	v_add_f64_e32 v[167:168], v[167:168], v[175:176]
	v_add_f64_e32 v[169:170], v[169:170], v[173:174]
	v_fma_f64 v[173:174], v[4:5], v[26:27], v[177:178]
	v_fma_f64 v[175:176], v[2:3], v[26:27], -v[28:29]
	ds_load_b128 v[2:5], v1 offset:1552
	s_wait_loadcnt_dscnt 0x901
	v_mul_f64_e32 v[171:172], v[163:164], v[32:33]
	v_mul_f64_e32 v[32:33], v[165:166], v[32:33]
	scratch_load_b128 v[26:29], off, off offset:832
	s_wait_loadcnt_dscnt 0x900
	v_mul_f64_e32 v[177:178], v[2:3], v[40:41]
	v_mul_f64_e32 v[40:41], v[4:5], v[40:41]
	v_add_f64_e32 v[167:168], v[167:168], v[155:156]
	v_add_f64_e32 v[169:170], v[169:170], v[157:158]
	ds_load_b128 v[155:158], v1 offset:1568
	v_fma_f64 v[165:166], v[165:166], v[30:31], v[171:172]
	v_fma_f64 v[163:164], v[163:164], v[30:31], -v[32:33]
	scratch_load_b128 v[30:33], off, off offset:848
	v_add_f64_e32 v[167:168], v[167:168], v[175:176]
	v_add_f64_e32 v[169:170], v[169:170], v[173:174]
	v_fma_f64 v[175:176], v[4:5], v[38:39], v[177:178]
	v_fma_f64 v[177:178], v[2:3], v[38:39], -v[40:41]
	ds_load_b128 v[2:5], v1 offset:1584
	s_wait_loadcnt_dscnt 0x801
	v_mul_f64_e32 v[171:172], v[155:156], v[161:162]
	v_mul_f64_e32 v[173:174], v[157:158], v[161:162]
	scratch_load_b128 v[38:41], off, off offset:864
	v_add_f64_e32 v[167:168], v[167:168], v[163:164]
	v_add_f64_e32 v[165:166], v[169:170], v[165:166]
	ds_load_b128 v[161:164], v1 offset:1600
	v_fma_f64 v[157:158], v[157:158], v[159:160], v[171:172]
	v_fma_f64 v[155:156], v[155:156], v[159:160], -v[173:174]
	s_wait_loadcnt_dscnt 0x801
	v_mul_f64_e32 v[169:170], v[2:3], v[36:37]
	v_mul_f64_e32 v[36:37], v[4:5], v[36:37]
	v_add_f64_e32 v[159:160], v[167:168], v[177:178]
	v_add_f64_e32 v[165:166], v[165:166], v[175:176]
	s_delay_alu instid0(VALU_DEP_4) | instskip(NEXT) | instid1(VALU_DEP_4)
	v_fma_f64 v[169:170], v[4:5], v[34:35], v[169:170]
	v_fma_f64 v[171:172], v[2:3], v[34:35], -v[36:37]
	s_wait_loadcnt_dscnt 0x700
	v_mul_f64_e32 v[167:168], v[161:162], v[8:9]
	v_mul_f64_e32 v[8:9], v[163:164], v[8:9]
	ds_load_b128 v[2:5], v1 offset:1616
	ds_load_b128 v[34:37], v1 offset:1632
	v_add_f64_e32 v[155:156], v[159:160], v[155:156]
	v_add_f64_e32 v[157:158], v[165:166], v[157:158]
	s_wait_loadcnt_dscnt 0x601
	v_mul_f64_e32 v[159:160], v[2:3], v[12:13]
	v_mul_f64_e32 v[12:13], v[4:5], v[12:13]
	v_fma_f64 v[163:164], v[163:164], v[6:7], v[167:168]
	v_fma_f64 v[6:7], v[161:162], v[6:7], -v[8:9]
	v_add_f64_e32 v[8:9], v[155:156], v[171:172]
	v_add_f64_e32 v[155:156], v[157:158], v[169:170]
	s_wait_loadcnt_dscnt 0x500
	v_mul_f64_e32 v[157:158], v[34:35], v[16:17]
	v_mul_f64_e32 v[16:17], v[36:37], v[16:17]
	v_fma_f64 v[159:160], v[4:5], v[10:11], v[159:160]
	v_fma_f64 v[10:11], v[2:3], v[10:11], -v[12:13]
	v_add_f64_e32 v[12:13], v[8:9], v[6:7]
	v_add_f64_e32 v[155:156], v[155:156], v[163:164]
	ds_load_b128 v[2:5], v1 offset:1648
	ds_load_b128 v[6:9], v1 offset:1664
	v_fma_f64 v[36:37], v[36:37], v[14:15], v[157:158]
	v_fma_f64 v[14:15], v[34:35], v[14:15], -v[16:17]
	s_wait_loadcnt_dscnt 0x401
	v_mul_f64_e32 v[161:162], v[2:3], v[20:21]
	v_mul_f64_e32 v[20:21], v[4:5], v[20:21]
	s_wait_loadcnt_dscnt 0x300
	v_mul_f64_e32 v[16:17], v[6:7], v[24:25]
	v_mul_f64_e32 v[24:25], v[8:9], v[24:25]
	v_add_f64_e32 v[10:11], v[12:13], v[10:11]
	v_add_f64_e32 v[12:13], v[155:156], v[159:160]
	v_fma_f64 v[34:35], v[4:5], v[18:19], v[161:162]
	v_fma_f64 v[18:19], v[2:3], v[18:19], -v[20:21]
	v_fma_f64 v[8:9], v[8:9], v[22:23], v[16:17]
	v_fma_f64 v[6:7], v[6:7], v[22:23], -v[24:25]
	v_add_f64_e32 v[14:15], v[10:11], v[14:15]
	v_add_f64_e32 v[20:21], v[12:13], v[36:37]
	ds_load_b128 v[2:5], v1 offset:1680
	ds_load_b128 v[10:13], v1 offset:1696
	s_wait_loadcnt_dscnt 0x201
	v_mul_f64_e32 v[36:37], v[2:3], v[28:29]
	v_mul_f64_e32 v[28:29], v[4:5], v[28:29]
	v_add_f64_e32 v[14:15], v[14:15], v[18:19]
	v_add_f64_e32 v[16:17], v[20:21], v[34:35]
	s_wait_loadcnt_dscnt 0x100
	v_mul_f64_e32 v[18:19], v[10:11], v[32:33]
	v_mul_f64_e32 v[20:21], v[12:13], v[32:33]
	v_fma_f64 v[22:23], v[4:5], v[26:27], v[36:37]
	v_fma_f64 v[24:25], v[2:3], v[26:27], -v[28:29]
	ds_load_b128 v[2:5], v1 offset:1712
	v_add_f64_e32 v[6:7], v[14:15], v[6:7]
	v_add_f64_e32 v[8:9], v[16:17], v[8:9]
	v_fma_f64 v[12:13], v[12:13], v[30:31], v[18:19]
	v_fma_f64 v[10:11], v[10:11], v[30:31], -v[20:21]
	s_wait_loadcnt_dscnt 0x0
	v_mul_f64_e32 v[14:15], v[2:3], v[40:41]
	v_mul_f64_e32 v[16:17], v[4:5], v[40:41]
	v_add_f64_e32 v[6:7], v[6:7], v[24:25]
	v_add_f64_e32 v[8:9], v[8:9], v[22:23]
	s_delay_alu instid0(VALU_DEP_4) | instskip(NEXT) | instid1(VALU_DEP_4)
	v_fma_f64 v[4:5], v[4:5], v[38:39], v[14:15]
	v_fma_f64 v[2:3], v[2:3], v[38:39], -v[16:17]
	s_delay_alu instid0(VALU_DEP_4) | instskip(NEXT) | instid1(VALU_DEP_4)
	v_add_f64_e32 v[6:7], v[6:7], v[10:11]
	v_add_f64_e32 v[8:9], v[8:9], v[12:13]
	s_delay_alu instid0(VALU_DEP_2) | instskip(NEXT) | instid1(VALU_DEP_2)
	v_add_f64_e32 v[2:3], v[6:7], v[2:3]
	v_add_f64_e32 v[4:5], v[8:9], v[4:5]
	s_delay_alu instid0(VALU_DEP_2) | instskip(NEXT) | instid1(VALU_DEP_2)
	v_add_f64_e64 v[2:3], v[42:43], -v[2:3]
	v_add_f64_e64 v[4:5], v[44:45], -v[4:5]
	scratch_store_b128 off, v[2:5], off offset:560
	v_cmpx_lt_u32_e32 33, v0
	s_cbranch_execz .LBB117_271
; %bb.270:
	scratch_load_b128 v[5:8], off, s34
	v_dual_mov_b32 v2, v1 :: v_dual_mov_b32 v3, v1
	v_mov_b32_e32 v4, v1
	scratch_store_b128 off, v[1:4], off offset:544
	s_wait_loadcnt 0x0
	ds_store_b128 v154, v[5:8]
.LBB117_271:
	s_wait_alu 0xfffe
	s_or_b32 exec_lo, exec_lo, s0
	s_wait_storecnt_dscnt 0x0
	s_barrier_signal -1
	s_barrier_wait -1
	global_inv scope:SCOPE_SE
	s_clause 0x8
	scratch_load_b128 v[2:5], off, off offset:560
	scratch_load_b128 v[6:9], off, off offset:576
	;; [unrolled: 1-line block ×9, first 2 shown]
	ds_load_b128 v[38:41], v1 offset:1408
	ds_load_b128 v[42:45], v1 offset:1424
	s_clause 0x1
	scratch_load_b128 v[155:158], off, off offset:544
	scratch_load_b128 v[159:162], off, off offset:704
	s_mov_b32 s0, exec_lo
	s_wait_loadcnt_dscnt 0xa01
	v_mul_f64_e32 v[163:164], v[40:41], v[4:5]
	v_mul_f64_e32 v[4:5], v[38:39], v[4:5]
	s_wait_loadcnt_dscnt 0x900
	v_mul_f64_e32 v[167:168], v[42:43], v[8:9]
	v_mul_f64_e32 v[8:9], v[44:45], v[8:9]
	s_delay_alu instid0(VALU_DEP_4) | instskip(NEXT) | instid1(VALU_DEP_4)
	v_fma_f64 v[169:170], v[38:39], v[2:3], -v[163:164]
	v_fma_f64 v[171:172], v[40:41], v[2:3], v[4:5]
	ds_load_b128 v[2:5], v1 offset:1440
	ds_load_b128 v[163:166], v1 offset:1456
	scratch_load_b128 v[38:41], off, off offset:720
	v_fma_f64 v[44:45], v[44:45], v[6:7], v[167:168]
	v_fma_f64 v[42:43], v[42:43], v[6:7], -v[8:9]
	scratch_load_b128 v[6:9], off, off offset:736
	s_wait_loadcnt_dscnt 0xa01
	v_mul_f64_e32 v[173:174], v[2:3], v[12:13]
	v_mul_f64_e32 v[12:13], v[4:5], v[12:13]
	v_add_f64_e32 v[167:168], 0, v[169:170]
	v_add_f64_e32 v[169:170], 0, v[171:172]
	s_wait_loadcnt_dscnt 0x900
	v_mul_f64_e32 v[171:172], v[163:164], v[16:17]
	v_mul_f64_e32 v[16:17], v[165:166], v[16:17]
	v_fma_f64 v[173:174], v[4:5], v[10:11], v[173:174]
	v_fma_f64 v[175:176], v[2:3], v[10:11], -v[12:13]
	ds_load_b128 v[2:5], v1 offset:1472
	scratch_load_b128 v[10:13], off, off offset:752
	v_add_f64_e32 v[167:168], v[167:168], v[42:43]
	v_add_f64_e32 v[169:170], v[169:170], v[44:45]
	ds_load_b128 v[42:45], v1 offset:1488
	v_fma_f64 v[165:166], v[165:166], v[14:15], v[171:172]
	v_fma_f64 v[163:164], v[163:164], v[14:15], -v[16:17]
	scratch_load_b128 v[14:17], off, off offset:768
	s_wait_loadcnt_dscnt 0xa01
	v_mul_f64_e32 v[177:178], v[2:3], v[20:21]
	v_mul_f64_e32 v[20:21], v[4:5], v[20:21]
	s_wait_loadcnt_dscnt 0x900
	v_mul_f64_e32 v[171:172], v[42:43], v[24:25]
	v_mul_f64_e32 v[24:25], v[44:45], v[24:25]
	v_add_f64_e32 v[167:168], v[167:168], v[175:176]
	v_add_f64_e32 v[169:170], v[169:170], v[173:174]
	v_fma_f64 v[173:174], v[4:5], v[18:19], v[177:178]
	v_fma_f64 v[175:176], v[2:3], v[18:19], -v[20:21]
	ds_load_b128 v[2:5], v1 offset:1504
	scratch_load_b128 v[18:21], off, off offset:784
	v_fma_f64 v[44:45], v[44:45], v[22:23], v[171:172]
	v_fma_f64 v[42:43], v[42:43], v[22:23], -v[24:25]
	scratch_load_b128 v[22:25], off, off offset:800
	v_add_f64_e32 v[167:168], v[167:168], v[163:164]
	v_add_f64_e32 v[169:170], v[169:170], v[165:166]
	ds_load_b128 v[163:166], v1 offset:1520
	s_wait_loadcnt_dscnt 0xa01
	v_mul_f64_e32 v[177:178], v[2:3], v[28:29]
	v_mul_f64_e32 v[28:29], v[4:5], v[28:29]
	s_wait_loadcnt_dscnt 0x900
	v_mul_f64_e32 v[171:172], v[163:164], v[32:33]
	v_mul_f64_e32 v[32:33], v[165:166], v[32:33]
	v_add_f64_e32 v[167:168], v[167:168], v[175:176]
	v_add_f64_e32 v[169:170], v[169:170], v[173:174]
	v_fma_f64 v[173:174], v[4:5], v[26:27], v[177:178]
	v_fma_f64 v[175:176], v[2:3], v[26:27], -v[28:29]
	ds_load_b128 v[2:5], v1 offset:1536
	scratch_load_b128 v[26:29], off, off offset:816
	v_fma_f64 v[165:166], v[165:166], v[30:31], v[171:172]
	v_fma_f64 v[163:164], v[163:164], v[30:31], -v[32:33]
	scratch_load_b128 v[30:33], off, off offset:832
	v_add_f64_e32 v[167:168], v[167:168], v[42:43]
	v_add_f64_e32 v[169:170], v[169:170], v[44:45]
	ds_load_b128 v[42:45], v1 offset:1552
	s_wait_loadcnt_dscnt 0xa01
	v_mul_f64_e32 v[177:178], v[2:3], v[36:37]
	v_mul_f64_e32 v[36:37], v[4:5], v[36:37]
	s_wait_loadcnt_dscnt 0x800
	v_mul_f64_e32 v[171:172], v[42:43], v[161:162]
	v_add_f64_e32 v[167:168], v[167:168], v[175:176]
	v_add_f64_e32 v[169:170], v[169:170], v[173:174]
	v_mul_f64_e32 v[173:174], v[44:45], v[161:162]
	v_fma_f64 v[175:176], v[4:5], v[34:35], v[177:178]
	v_fma_f64 v[177:178], v[2:3], v[34:35], -v[36:37]
	ds_load_b128 v[2:5], v1 offset:1568
	scratch_load_b128 v[34:37], off, off offset:848
	v_fma_f64 v[44:45], v[44:45], v[159:160], v[171:172]
	v_add_f64_e32 v[167:168], v[167:168], v[163:164]
	v_add_f64_e32 v[165:166], v[169:170], v[165:166]
	ds_load_b128 v[161:164], v1 offset:1584
	v_fma_f64 v[159:160], v[42:43], v[159:160], -v[173:174]
	s_wait_loadcnt_dscnt 0x801
	v_mul_f64_e32 v[169:170], v[2:3], v[40:41]
	v_mul_f64_e32 v[179:180], v[4:5], v[40:41]
	scratch_load_b128 v[40:43], off, off offset:864
	s_wait_loadcnt_dscnt 0x800
	v_mul_f64_e32 v[171:172], v[161:162], v[8:9]
	v_mul_f64_e32 v[8:9], v[163:164], v[8:9]
	v_add_f64_e32 v[167:168], v[167:168], v[177:178]
	v_add_f64_e32 v[165:166], v[165:166], v[175:176]
	v_fma_f64 v[169:170], v[4:5], v[38:39], v[169:170]
	v_fma_f64 v[38:39], v[2:3], v[38:39], -v[179:180]
	v_fma_f64 v[163:164], v[163:164], v[6:7], v[171:172]
	v_fma_f64 v[6:7], v[161:162], v[6:7], -v[8:9]
	v_add_f64_e32 v[159:160], v[167:168], v[159:160]
	v_add_f64_e32 v[44:45], v[165:166], v[44:45]
	ds_load_b128 v[2:5], v1 offset:1600
	ds_load_b128 v[165:168], v1 offset:1616
	s_wait_loadcnt_dscnt 0x701
	v_mul_f64_e32 v[173:174], v[2:3], v[12:13]
	v_mul_f64_e32 v[12:13], v[4:5], v[12:13]
	v_add_f64_e32 v[8:9], v[159:160], v[38:39]
	v_add_f64_e32 v[38:39], v[44:45], v[169:170]
	s_wait_loadcnt_dscnt 0x600
	v_mul_f64_e32 v[44:45], v[165:166], v[16:17]
	v_mul_f64_e32 v[16:17], v[167:168], v[16:17]
	v_fma_f64 v[159:160], v[4:5], v[10:11], v[173:174]
	v_fma_f64 v[10:11], v[2:3], v[10:11], -v[12:13]
	v_add_f64_e32 v[12:13], v[8:9], v[6:7]
	v_add_f64_e32 v[38:39], v[38:39], v[163:164]
	ds_load_b128 v[2:5], v1 offset:1632
	ds_load_b128 v[6:9], v1 offset:1648
	v_fma_f64 v[44:45], v[167:168], v[14:15], v[44:45]
	v_fma_f64 v[14:15], v[165:166], v[14:15], -v[16:17]
	s_wait_loadcnt_dscnt 0x501
	v_mul_f64_e32 v[161:162], v[2:3], v[20:21]
	v_mul_f64_e32 v[20:21], v[4:5], v[20:21]
	s_wait_loadcnt_dscnt 0x400
	v_mul_f64_e32 v[16:17], v[6:7], v[24:25]
	v_mul_f64_e32 v[24:25], v[8:9], v[24:25]
	v_add_f64_e32 v[10:11], v[12:13], v[10:11]
	v_add_f64_e32 v[12:13], v[38:39], v[159:160]
	v_fma_f64 v[38:39], v[4:5], v[18:19], v[161:162]
	v_fma_f64 v[18:19], v[2:3], v[18:19], -v[20:21]
	v_fma_f64 v[8:9], v[8:9], v[22:23], v[16:17]
	v_fma_f64 v[6:7], v[6:7], v[22:23], -v[24:25]
	v_add_f64_e32 v[14:15], v[10:11], v[14:15]
	v_add_f64_e32 v[20:21], v[12:13], v[44:45]
	ds_load_b128 v[2:5], v1 offset:1664
	ds_load_b128 v[10:13], v1 offset:1680
	s_wait_loadcnt_dscnt 0x301
	v_mul_f64_e32 v[44:45], v[2:3], v[28:29]
	v_mul_f64_e32 v[28:29], v[4:5], v[28:29]
	v_add_f64_e32 v[14:15], v[14:15], v[18:19]
	v_add_f64_e32 v[16:17], v[20:21], v[38:39]
	s_wait_loadcnt_dscnt 0x200
	v_mul_f64_e32 v[18:19], v[10:11], v[32:33]
	v_mul_f64_e32 v[20:21], v[12:13], v[32:33]
	v_fma_f64 v[22:23], v[4:5], v[26:27], v[44:45]
	v_fma_f64 v[24:25], v[2:3], v[26:27], -v[28:29]
	v_add_f64_e32 v[14:15], v[14:15], v[6:7]
	v_add_f64_e32 v[16:17], v[16:17], v[8:9]
	ds_load_b128 v[2:5], v1 offset:1696
	ds_load_b128 v[6:9], v1 offset:1712
	v_fma_f64 v[12:13], v[12:13], v[30:31], v[18:19]
	v_fma_f64 v[10:11], v[10:11], v[30:31], -v[20:21]
	s_wait_loadcnt_dscnt 0x101
	v_mul_f64_e32 v[26:27], v[2:3], v[36:37]
	v_mul_f64_e32 v[28:29], v[4:5], v[36:37]
	s_wait_loadcnt_dscnt 0x0
	v_mul_f64_e32 v[18:19], v[6:7], v[42:43]
	v_add_f64_e32 v[14:15], v[14:15], v[24:25]
	v_add_f64_e32 v[16:17], v[16:17], v[22:23]
	v_mul_f64_e32 v[20:21], v[8:9], v[42:43]
	v_fma_f64 v[4:5], v[4:5], v[34:35], v[26:27]
	v_fma_f64 v[1:2], v[2:3], v[34:35], -v[28:29]
	v_fma_f64 v[8:9], v[8:9], v[40:41], v[18:19]
	v_add_f64_e32 v[10:11], v[14:15], v[10:11]
	v_add_f64_e32 v[12:13], v[16:17], v[12:13]
	v_fma_f64 v[6:7], v[6:7], v[40:41], -v[20:21]
	s_delay_alu instid0(VALU_DEP_3) | instskip(NEXT) | instid1(VALU_DEP_3)
	v_add_f64_e32 v[1:2], v[10:11], v[1:2]
	v_add_f64_e32 v[3:4], v[12:13], v[4:5]
	s_delay_alu instid0(VALU_DEP_2) | instskip(NEXT) | instid1(VALU_DEP_2)
	v_add_f64_e32 v[1:2], v[1:2], v[6:7]
	v_add_f64_e32 v[3:4], v[3:4], v[8:9]
	s_delay_alu instid0(VALU_DEP_2) | instskip(NEXT) | instid1(VALU_DEP_2)
	v_add_f64_e64 v[1:2], v[155:156], -v[1:2]
	v_add_f64_e64 v[3:4], v[157:158], -v[3:4]
	scratch_store_b128 off, v[1:4], off offset:544
	v_cmpx_lt_u32_e32 32, v0
	s_cbranch_execz .LBB117_273
; %bb.272:
	scratch_load_b128 v[1:4], off, s35
	v_mov_b32_e32 v5, 0
	s_delay_alu instid0(VALU_DEP_1)
	v_dual_mov_b32 v6, v5 :: v_dual_mov_b32 v7, v5
	v_mov_b32_e32 v8, v5
	scratch_store_b128 off, v[5:8], off offset:528
	s_wait_loadcnt 0x0
	ds_store_b128 v154, v[1:4]
.LBB117_273:
	s_wait_alu 0xfffe
	s_or_b32 exec_lo, exec_lo, s0
	s_wait_storecnt_dscnt 0x0
	s_barrier_signal -1
	s_barrier_wait -1
	global_inv scope:SCOPE_SE
	s_clause 0x7
	scratch_load_b128 v[2:5], off, off offset:544
	scratch_load_b128 v[6:9], off, off offset:560
	;; [unrolled: 1-line block ×8, first 2 shown]
	v_mov_b32_e32 v1, 0
	s_mov_b32 s0, exec_lo
	ds_load_b128 v[34:37], v1 offset:1392
	s_clause 0x1
	scratch_load_b128 v[38:41], off, off offset:672
	scratch_load_b128 v[42:45], off, off offset:528
	ds_load_b128 v[155:158], v1 offset:1408
	scratch_load_b128 v[159:162], off, off offset:688
	s_wait_loadcnt_dscnt 0xa01
	v_mul_f64_e32 v[163:164], v[36:37], v[4:5]
	v_mul_f64_e32 v[4:5], v[34:35], v[4:5]
	s_delay_alu instid0(VALU_DEP_2) | instskip(NEXT) | instid1(VALU_DEP_2)
	v_fma_f64 v[169:170], v[34:35], v[2:3], -v[163:164]
	v_fma_f64 v[171:172], v[36:37], v[2:3], v[4:5]
	ds_load_b128 v[2:5], v1 offset:1424
	s_wait_loadcnt_dscnt 0x901
	v_mul_f64_e32 v[167:168], v[155:156], v[8:9]
	v_mul_f64_e32 v[8:9], v[157:158], v[8:9]
	scratch_load_b128 v[34:37], off, off offset:704
	ds_load_b128 v[163:166], v1 offset:1440
	s_wait_loadcnt_dscnt 0x901
	v_mul_f64_e32 v[173:174], v[2:3], v[12:13]
	v_mul_f64_e32 v[12:13], v[4:5], v[12:13]
	v_fma_f64 v[157:158], v[157:158], v[6:7], v[167:168]
	v_fma_f64 v[155:156], v[155:156], v[6:7], -v[8:9]
	v_add_f64_e32 v[167:168], 0, v[169:170]
	v_add_f64_e32 v[169:170], 0, v[171:172]
	scratch_load_b128 v[6:9], off, off offset:720
	v_fma_f64 v[173:174], v[4:5], v[10:11], v[173:174]
	v_fma_f64 v[175:176], v[2:3], v[10:11], -v[12:13]
	ds_load_b128 v[2:5], v1 offset:1456
	s_wait_loadcnt_dscnt 0x901
	v_mul_f64_e32 v[171:172], v[163:164], v[16:17]
	v_mul_f64_e32 v[16:17], v[165:166], v[16:17]
	scratch_load_b128 v[10:13], off, off offset:736
	v_add_f64_e32 v[167:168], v[167:168], v[155:156]
	v_add_f64_e32 v[169:170], v[169:170], v[157:158]
	s_wait_loadcnt_dscnt 0x900
	v_mul_f64_e32 v[177:178], v[2:3], v[20:21]
	v_mul_f64_e32 v[20:21], v[4:5], v[20:21]
	ds_load_b128 v[155:158], v1 offset:1472
	v_fma_f64 v[165:166], v[165:166], v[14:15], v[171:172]
	v_fma_f64 v[163:164], v[163:164], v[14:15], -v[16:17]
	scratch_load_b128 v[14:17], off, off offset:752
	v_add_f64_e32 v[167:168], v[167:168], v[175:176]
	v_add_f64_e32 v[169:170], v[169:170], v[173:174]
	v_fma_f64 v[173:174], v[4:5], v[18:19], v[177:178]
	v_fma_f64 v[175:176], v[2:3], v[18:19], -v[20:21]
	ds_load_b128 v[2:5], v1 offset:1488
	s_wait_loadcnt_dscnt 0x901
	v_mul_f64_e32 v[171:172], v[155:156], v[24:25]
	v_mul_f64_e32 v[24:25], v[157:158], v[24:25]
	scratch_load_b128 v[18:21], off, off offset:768
	s_wait_loadcnt_dscnt 0x900
	v_mul_f64_e32 v[177:178], v[2:3], v[28:29]
	v_mul_f64_e32 v[28:29], v[4:5], v[28:29]
	v_add_f64_e32 v[167:168], v[167:168], v[163:164]
	v_add_f64_e32 v[169:170], v[169:170], v[165:166]
	ds_load_b128 v[163:166], v1 offset:1504
	v_fma_f64 v[157:158], v[157:158], v[22:23], v[171:172]
	v_fma_f64 v[155:156], v[155:156], v[22:23], -v[24:25]
	scratch_load_b128 v[22:25], off, off offset:784
	v_add_f64_e32 v[167:168], v[167:168], v[175:176]
	v_add_f64_e32 v[169:170], v[169:170], v[173:174]
	v_fma_f64 v[173:174], v[4:5], v[26:27], v[177:178]
	v_fma_f64 v[175:176], v[2:3], v[26:27], -v[28:29]
	ds_load_b128 v[2:5], v1 offset:1520
	s_wait_loadcnt_dscnt 0x901
	v_mul_f64_e32 v[171:172], v[163:164], v[32:33]
	v_mul_f64_e32 v[32:33], v[165:166], v[32:33]
	scratch_load_b128 v[26:29], off, off offset:800
	s_wait_loadcnt_dscnt 0x900
	v_mul_f64_e32 v[177:178], v[2:3], v[40:41]
	v_mul_f64_e32 v[40:41], v[4:5], v[40:41]
	v_add_f64_e32 v[167:168], v[167:168], v[155:156]
	v_add_f64_e32 v[169:170], v[169:170], v[157:158]
	ds_load_b128 v[155:158], v1 offset:1536
	v_fma_f64 v[165:166], v[165:166], v[30:31], v[171:172]
	v_fma_f64 v[163:164], v[163:164], v[30:31], -v[32:33]
	scratch_load_b128 v[30:33], off, off offset:816
	v_add_f64_e32 v[167:168], v[167:168], v[175:176]
	v_add_f64_e32 v[169:170], v[169:170], v[173:174]
	v_fma_f64 v[175:176], v[4:5], v[38:39], v[177:178]
	v_fma_f64 v[177:178], v[2:3], v[38:39], -v[40:41]
	ds_load_b128 v[2:5], v1 offset:1552
	s_wait_loadcnt_dscnt 0x801
	v_mul_f64_e32 v[171:172], v[155:156], v[161:162]
	v_mul_f64_e32 v[173:174], v[157:158], v[161:162]
	scratch_load_b128 v[38:41], off, off offset:832
	v_add_f64_e32 v[167:168], v[167:168], v[163:164]
	v_add_f64_e32 v[165:166], v[169:170], v[165:166]
	ds_load_b128 v[161:164], v1 offset:1568
	v_fma_f64 v[171:172], v[157:158], v[159:160], v[171:172]
	v_fma_f64 v[159:160], v[155:156], v[159:160], -v[173:174]
	scratch_load_b128 v[155:158], off, off offset:848
	s_wait_loadcnt_dscnt 0x901
	v_mul_f64_e32 v[169:170], v[2:3], v[36:37]
	v_mul_f64_e32 v[36:37], v[4:5], v[36:37]
	v_add_f64_e32 v[167:168], v[167:168], v[177:178]
	v_add_f64_e32 v[165:166], v[165:166], v[175:176]
	s_delay_alu instid0(VALU_DEP_4) | instskip(NEXT) | instid1(VALU_DEP_4)
	v_fma_f64 v[169:170], v[4:5], v[34:35], v[169:170]
	v_fma_f64 v[175:176], v[2:3], v[34:35], -v[36:37]
	ds_load_b128 v[2:5], v1 offset:1584
	s_wait_loadcnt_dscnt 0x801
	v_mul_f64_e32 v[173:174], v[161:162], v[8:9]
	v_mul_f64_e32 v[8:9], v[163:164], v[8:9]
	scratch_load_b128 v[34:37], off, off offset:864
	s_wait_loadcnt_dscnt 0x800
	v_mul_f64_e32 v[177:178], v[2:3], v[12:13]
	v_add_f64_e32 v[159:160], v[167:168], v[159:160]
	v_add_f64_e32 v[171:172], v[165:166], v[171:172]
	v_mul_f64_e32 v[12:13], v[4:5], v[12:13]
	ds_load_b128 v[165:168], v1 offset:1600
	v_fma_f64 v[163:164], v[163:164], v[6:7], v[173:174]
	v_fma_f64 v[6:7], v[161:162], v[6:7], -v[8:9]
	s_wait_loadcnt_dscnt 0x700
	v_mul_f64_e32 v[161:162], v[165:166], v[16:17]
	v_add_f64_e32 v[8:9], v[159:160], v[175:176]
	v_add_f64_e32 v[159:160], v[171:172], v[169:170]
	v_mul_f64_e32 v[16:17], v[167:168], v[16:17]
	v_fma_f64 v[169:170], v[4:5], v[10:11], v[177:178]
	v_fma_f64 v[10:11], v[2:3], v[10:11], -v[12:13]
	v_fma_f64 v[161:162], v[167:168], v[14:15], v[161:162]
	v_add_f64_e32 v[12:13], v[8:9], v[6:7]
	v_add_f64_e32 v[159:160], v[159:160], v[163:164]
	ds_load_b128 v[2:5], v1 offset:1616
	ds_load_b128 v[6:9], v1 offset:1632
	v_fma_f64 v[14:15], v[165:166], v[14:15], -v[16:17]
	s_wait_loadcnt_dscnt 0x601
	v_mul_f64_e32 v[163:164], v[2:3], v[20:21]
	v_mul_f64_e32 v[20:21], v[4:5], v[20:21]
	s_wait_loadcnt_dscnt 0x500
	v_mul_f64_e32 v[16:17], v[6:7], v[24:25]
	v_mul_f64_e32 v[24:25], v[8:9], v[24:25]
	v_add_f64_e32 v[10:11], v[12:13], v[10:11]
	v_add_f64_e32 v[12:13], v[159:160], v[169:170]
	v_fma_f64 v[159:160], v[4:5], v[18:19], v[163:164]
	v_fma_f64 v[18:19], v[2:3], v[18:19], -v[20:21]
	v_fma_f64 v[8:9], v[8:9], v[22:23], v[16:17]
	v_fma_f64 v[6:7], v[6:7], v[22:23], -v[24:25]
	v_add_f64_e32 v[14:15], v[10:11], v[14:15]
	v_add_f64_e32 v[20:21], v[12:13], v[161:162]
	ds_load_b128 v[2:5], v1 offset:1648
	ds_load_b128 v[10:13], v1 offset:1664
	s_wait_loadcnt_dscnt 0x401
	v_mul_f64_e32 v[161:162], v[2:3], v[28:29]
	v_mul_f64_e32 v[28:29], v[4:5], v[28:29]
	v_add_f64_e32 v[14:15], v[14:15], v[18:19]
	v_add_f64_e32 v[16:17], v[20:21], v[159:160]
	s_wait_loadcnt_dscnt 0x300
	v_mul_f64_e32 v[18:19], v[10:11], v[32:33]
	v_mul_f64_e32 v[20:21], v[12:13], v[32:33]
	v_fma_f64 v[22:23], v[4:5], v[26:27], v[161:162]
	v_fma_f64 v[24:25], v[2:3], v[26:27], -v[28:29]
	v_add_f64_e32 v[14:15], v[14:15], v[6:7]
	v_add_f64_e32 v[16:17], v[16:17], v[8:9]
	ds_load_b128 v[2:5], v1 offset:1680
	ds_load_b128 v[6:9], v1 offset:1696
	v_fma_f64 v[12:13], v[12:13], v[30:31], v[18:19]
	v_fma_f64 v[10:11], v[10:11], v[30:31], -v[20:21]
	s_wait_loadcnt_dscnt 0x201
	v_mul_f64_e32 v[26:27], v[2:3], v[40:41]
	v_mul_f64_e32 v[28:29], v[4:5], v[40:41]
	s_wait_loadcnt_dscnt 0x100
	v_mul_f64_e32 v[18:19], v[6:7], v[157:158]
	v_mul_f64_e32 v[20:21], v[8:9], v[157:158]
	v_add_f64_e32 v[14:15], v[14:15], v[24:25]
	v_add_f64_e32 v[16:17], v[16:17], v[22:23]
	v_fma_f64 v[22:23], v[4:5], v[38:39], v[26:27]
	v_fma_f64 v[24:25], v[2:3], v[38:39], -v[28:29]
	ds_load_b128 v[2:5], v1 offset:1712
	v_fma_f64 v[8:9], v[8:9], v[155:156], v[18:19]
	v_fma_f64 v[6:7], v[6:7], v[155:156], -v[20:21]
	v_add_f64_e32 v[10:11], v[14:15], v[10:11]
	v_add_f64_e32 v[12:13], v[16:17], v[12:13]
	s_wait_loadcnt_dscnt 0x0
	v_mul_f64_e32 v[14:15], v[2:3], v[36:37]
	v_mul_f64_e32 v[16:17], v[4:5], v[36:37]
	s_delay_alu instid0(VALU_DEP_4) | instskip(NEXT) | instid1(VALU_DEP_4)
	v_add_f64_e32 v[10:11], v[10:11], v[24:25]
	v_add_f64_e32 v[12:13], v[12:13], v[22:23]
	s_delay_alu instid0(VALU_DEP_4) | instskip(NEXT) | instid1(VALU_DEP_4)
	v_fma_f64 v[4:5], v[4:5], v[34:35], v[14:15]
	v_fma_f64 v[2:3], v[2:3], v[34:35], -v[16:17]
	s_delay_alu instid0(VALU_DEP_4) | instskip(NEXT) | instid1(VALU_DEP_4)
	v_add_f64_e32 v[6:7], v[10:11], v[6:7]
	v_add_f64_e32 v[8:9], v[12:13], v[8:9]
	s_delay_alu instid0(VALU_DEP_2) | instskip(NEXT) | instid1(VALU_DEP_2)
	v_add_f64_e32 v[2:3], v[6:7], v[2:3]
	v_add_f64_e32 v[4:5], v[8:9], v[4:5]
	s_delay_alu instid0(VALU_DEP_2) | instskip(NEXT) | instid1(VALU_DEP_2)
	v_add_f64_e64 v[2:3], v[42:43], -v[2:3]
	v_add_f64_e64 v[4:5], v[44:45], -v[4:5]
	scratch_store_b128 off, v[2:5], off offset:528
	v_cmpx_lt_u32_e32 31, v0
	s_cbranch_execz .LBB117_275
; %bb.274:
	scratch_load_b128 v[5:8], off, s36
	v_dual_mov_b32 v2, v1 :: v_dual_mov_b32 v3, v1
	v_mov_b32_e32 v4, v1
	scratch_store_b128 off, v[1:4], off offset:512
	s_wait_loadcnt 0x0
	ds_store_b128 v154, v[5:8]
.LBB117_275:
	s_wait_alu 0xfffe
	s_or_b32 exec_lo, exec_lo, s0
	s_wait_storecnt_dscnt 0x0
	s_barrier_signal -1
	s_barrier_wait -1
	global_inv scope:SCOPE_SE
	s_clause 0x8
	scratch_load_b128 v[2:5], off, off offset:528
	scratch_load_b128 v[6:9], off, off offset:544
	;; [unrolled: 1-line block ×9, first 2 shown]
	ds_load_b128 v[38:41], v1 offset:1376
	ds_load_b128 v[42:45], v1 offset:1392
	s_clause 0x1
	scratch_load_b128 v[155:158], off, off offset:512
	scratch_load_b128 v[159:162], off, off offset:672
	s_mov_b32 s0, exec_lo
	s_wait_loadcnt_dscnt 0xa01
	v_mul_f64_e32 v[163:164], v[40:41], v[4:5]
	v_mul_f64_e32 v[4:5], v[38:39], v[4:5]
	s_wait_loadcnt_dscnt 0x900
	v_mul_f64_e32 v[167:168], v[42:43], v[8:9]
	v_mul_f64_e32 v[8:9], v[44:45], v[8:9]
	s_delay_alu instid0(VALU_DEP_4) | instskip(NEXT) | instid1(VALU_DEP_4)
	v_fma_f64 v[169:170], v[38:39], v[2:3], -v[163:164]
	v_fma_f64 v[171:172], v[40:41], v[2:3], v[4:5]
	ds_load_b128 v[2:5], v1 offset:1408
	ds_load_b128 v[163:166], v1 offset:1424
	scratch_load_b128 v[38:41], off, off offset:688
	v_fma_f64 v[44:45], v[44:45], v[6:7], v[167:168]
	v_fma_f64 v[42:43], v[42:43], v[6:7], -v[8:9]
	scratch_load_b128 v[6:9], off, off offset:704
	s_wait_loadcnt_dscnt 0xa01
	v_mul_f64_e32 v[173:174], v[2:3], v[12:13]
	v_mul_f64_e32 v[12:13], v[4:5], v[12:13]
	v_add_f64_e32 v[167:168], 0, v[169:170]
	v_add_f64_e32 v[169:170], 0, v[171:172]
	s_wait_loadcnt_dscnt 0x900
	v_mul_f64_e32 v[171:172], v[163:164], v[16:17]
	v_mul_f64_e32 v[16:17], v[165:166], v[16:17]
	v_fma_f64 v[173:174], v[4:5], v[10:11], v[173:174]
	v_fma_f64 v[175:176], v[2:3], v[10:11], -v[12:13]
	ds_load_b128 v[2:5], v1 offset:1440
	scratch_load_b128 v[10:13], off, off offset:720
	v_add_f64_e32 v[167:168], v[167:168], v[42:43]
	v_add_f64_e32 v[169:170], v[169:170], v[44:45]
	ds_load_b128 v[42:45], v1 offset:1456
	v_fma_f64 v[165:166], v[165:166], v[14:15], v[171:172]
	v_fma_f64 v[163:164], v[163:164], v[14:15], -v[16:17]
	scratch_load_b128 v[14:17], off, off offset:736
	s_wait_loadcnt_dscnt 0xa01
	v_mul_f64_e32 v[177:178], v[2:3], v[20:21]
	v_mul_f64_e32 v[20:21], v[4:5], v[20:21]
	s_wait_loadcnt_dscnt 0x900
	v_mul_f64_e32 v[171:172], v[42:43], v[24:25]
	v_mul_f64_e32 v[24:25], v[44:45], v[24:25]
	v_add_f64_e32 v[167:168], v[167:168], v[175:176]
	v_add_f64_e32 v[169:170], v[169:170], v[173:174]
	v_fma_f64 v[173:174], v[4:5], v[18:19], v[177:178]
	v_fma_f64 v[175:176], v[2:3], v[18:19], -v[20:21]
	ds_load_b128 v[2:5], v1 offset:1472
	scratch_load_b128 v[18:21], off, off offset:752
	v_fma_f64 v[44:45], v[44:45], v[22:23], v[171:172]
	v_fma_f64 v[42:43], v[42:43], v[22:23], -v[24:25]
	scratch_load_b128 v[22:25], off, off offset:768
	v_add_f64_e32 v[167:168], v[167:168], v[163:164]
	v_add_f64_e32 v[169:170], v[169:170], v[165:166]
	ds_load_b128 v[163:166], v1 offset:1488
	s_wait_loadcnt_dscnt 0xa01
	v_mul_f64_e32 v[177:178], v[2:3], v[28:29]
	v_mul_f64_e32 v[28:29], v[4:5], v[28:29]
	s_wait_loadcnt_dscnt 0x900
	v_mul_f64_e32 v[171:172], v[163:164], v[32:33]
	v_mul_f64_e32 v[32:33], v[165:166], v[32:33]
	v_add_f64_e32 v[167:168], v[167:168], v[175:176]
	v_add_f64_e32 v[169:170], v[169:170], v[173:174]
	v_fma_f64 v[173:174], v[4:5], v[26:27], v[177:178]
	v_fma_f64 v[175:176], v[2:3], v[26:27], -v[28:29]
	ds_load_b128 v[2:5], v1 offset:1504
	scratch_load_b128 v[26:29], off, off offset:784
	v_fma_f64 v[165:166], v[165:166], v[30:31], v[171:172]
	v_fma_f64 v[163:164], v[163:164], v[30:31], -v[32:33]
	scratch_load_b128 v[30:33], off, off offset:800
	v_add_f64_e32 v[167:168], v[167:168], v[42:43]
	v_add_f64_e32 v[169:170], v[169:170], v[44:45]
	ds_load_b128 v[42:45], v1 offset:1520
	s_wait_loadcnt_dscnt 0xa01
	v_mul_f64_e32 v[177:178], v[2:3], v[36:37]
	v_mul_f64_e32 v[36:37], v[4:5], v[36:37]
	s_wait_loadcnt_dscnt 0x800
	v_mul_f64_e32 v[171:172], v[42:43], v[161:162]
	v_add_f64_e32 v[167:168], v[167:168], v[175:176]
	v_add_f64_e32 v[169:170], v[169:170], v[173:174]
	v_mul_f64_e32 v[173:174], v[44:45], v[161:162]
	v_fma_f64 v[175:176], v[4:5], v[34:35], v[177:178]
	v_fma_f64 v[177:178], v[2:3], v[34:35], -v[36:37]
	ds_load_b128 v[2:5], v1 offset:1536
	scratch_load_b128 v[34:37], off, off offset:816
	v_fma_f64 v[44:45], v[44:45], v[159:160], v[171:172]
	v_add_f64_e32 v[167:168], v[167:168], v[163:164]
	v_add_f64_e32 v[165:166], v[169:170], v[165:166]
	ds_load_b128 v[161:164], v1 offset:1552
	v_fma_f64 v[159:160], v[42:43], v[159:160], -v[173:174]
	s_wait_loadcnt_dscnt 0x801
	v_mul_f64_e32 v[169:170], v[2:3], v[40:41]
	v_mul_f64_e32 v[179:180], v[4:5], v[40:41]
	scratch_load_b128 v[40:43], off, off offset:832
	s_wait_loadcnt_dscnt 0x800
	v_mul_f64_e32 v[173:174], v[161:162], v[8:9]
	v_mul_f64_e32 v[8:9], v[163:164], v[8:9]
	v_add_f64_e32 v[167:168], v[167:168], v[177:178]
	v_add_f64_e32 v[165:166], v[165:166], v[175:176]
	v_fma_f64 v[175:176], v[4:5], v[38:39], v[169:170]
	v_fma_f64 v[38:39], v[2:3], v[38:39], -v[179:180]
	ds_load_b128 v[2:5], v1 offset:1568
	ds_load_b128 v[169:172], v1 offset:1584
	v_fma_f64 v[163:164], v[163:164], v[6:7], v[173:174]
	v_fma_f64 v[161:162], v[161:162], v[6:7], -v[8:9]
	scratch_load_b128 v[6:9], off, off offset:864
	v_add_f64_e32 v[159:160], v[167:168], v[159:160]
	v_add_f64_e32 v[44:45], v[165:166], v[44:45]
	scratch_load_b128 v[165:168], off, off offset:848
	s_wait_loadcnt_dscnt 0x901
	v_mul_f64_e32 v[177:178], v[2:3], v[12:13]
	v_mul_f64_e32 v[12:13], v[4:5], v[12:13]
	v_add_f64_e32 v[38:39], v[159:160], v[38:39]
	v_add_f64_e32 v[44:45], v[44:45], v[175:176]
	s_wait_loadcnt_dscnt 0x800
	v_mul_f64_e32 v[159:160], v[169:170], v[16:17]
	v_mul_f64_e32 v[16:17], v[171:172], v[16:17]
	v_fma_f64 v[173:174], v[4:5], v[10:11], v[177:178]
	v_fma_f64 v[175:176], v[2:3], v[10:11], -v[12:13]
	ds_load_b128 v[2:5], v1 offset:1600
	ds_load_b128 v[10:13], v1 offset:1616
	v_add_f64_e32 v[38:39], v[38:39], v[161:162]
	v_add_f64_e32 v[44:45], v[44:45], v[163:164]
	s_wait_loadcnt_dscnt 0x701
	v_mul_f64_e32 v[161:162], v[2:3], v[20:21]
	v_mul_f64_e32 v[20:21], v[4:5], v[20:21]
	v_fma_f64 v[159:160], v[171:172], v[14:15], v[159:160]
	v_fma_f64 v[14:15], v[169:170], v[14:15], -v[16:17]
	v_add_f64_e32 v[16:17], v[38:39], v[175:176]
	v_add_f64_e32 v[38:39], v[44:45], v[173:174]
	s_wait_loadcnt_dscnt 0x600
	v_mul_f64_e32 v[44:45], v[10:11], v[24:25]
	v_mul_f64_e32 v[24:25], v[12:13], v[24:25]
	v_fma_f64 v[161:162], v[4:5], v[18:19], v[161:162]
	v_fma_f64 v[18:19], v[2:3], v[18:19], -v[20:21]
	v_add_f64_e32 v[20:21], v[16:17], v[14:15]
	v_add_f64_e32 v[38:39], v[38:39], v[159:160]
	ds_load_b128 v[2:5], v1 offset:1632
	ds_load_b128 v[14:17], v1 offset:1648
	v_fma_f64 v[12:13], v[12:13], v[22:23], v[44:45]
	v_fma_f64 v[10:11], v[10:11], v[22:23], -v[24:25]
	s_wait_loadcnt_dscnt 0x501
	v_mul_f64_e32 v[159:160], v[2:3], v[28:29]
	v_mul_f64_e32 v[28:29], v[4:5], v[28:29]
	s_wait_loadcnt_dscnt 0x400
	v_mul_f64_e32 v[22:23], v[14:15], v[32:33]
	v_mul_f64_e32 v[24:25], v[16:17], v[32:33]
	v_add_f64_e32 v[18:19], v[20:21], v[18:19]
	v_add_f64_e32 v[20:21], v[38:39], v[161:162]
	v_fma_f64 v[32:33], v[4:5], v[26:27], v[159:160]
	v_fma_f64 v[26:27], v[2:3], v[26:27], -v[28:29]
	v_fma_f64 v[16:17], v[16:17], v[30:31], v[22:23]
	v_fma_f64 v[14:15], v[14:15], v[30:31], -v[24:25]
	v_add_f64_e32 v[18:19], v[18:19], v[10:11]
	v_add_f64_e32 v[20:21], v[20:21], v[12:13]
	ds_load_b128 v[2:5], v1 offset:1664
	ds_load_b128 v[10:13], v1 offset:1680
	s_wait_loadcnt_dscnt 0x301
	v_mul_f64_e32 v[28:29], v[2:3], v[36:37]
	v_mul_f64_e32 v[36:37], v[4:5], v[36:37]
	s_wait_loadcnt_dscnt 0x200
	v_mul_f64_e32 v[22:23], v[10:11], v[42:43]
	v_add_f64_e32 v[18:19], v[18:19], v[26:27]
	v_add_f64_e32 v[20:21], v[20:21], v[32:33]
	v_mul_f64_e32 v[24:25], v[12:13], v[42:43]
	v_fma_f64 v[26:27], v[4:5], v[34:35], v[28:29]
	v_fma_f64 v[28:29], v[2:3], v[34:35], -v[36:37]
	v_fma_f64 v[12:13], v[12:13], v[40:41], v[22:23]
	v_add_f64_e32 v[18:19], v[18:19], v[14:15]
	v_add_f64_e32 v[20:21], v[20:21], v[16:17]
	ds_load_b128 v[2:5], v1 offset:1696
	ds_load_b128 v[14:17], v1 offset:1712
	v_fma_f64 v[10:11], v[10:11], v[40:41], -v[24:25]
	s_wait_loadcnt_dscnt 0x1
	v_mul_f64_e32 v[30:31], v[2:3], v[167:168]
	v_mul_f64_e32 v[32:33], v[4:5], v[167:168]
	s_wait_dscnt 0x0
	v_mul_f64_e32 v[22:23], v[14:15], v[8:9]
	v_mul_f64_e32 v[8:9], v[16:17], v[8:9]
	v_add_f64_e32 v[18:19], v[18:19], v[28:29]
	v_add_f64_e32 v[20:21], v[20:21], v[26:27]
	v_fma_f64 v[4:5], v[4:5], v[165:166], v[30:31]
	v_fma_f64 v[1:2], v[2:3], v[165:166], -v[32:33]
	v_fma_f64 v[16:17], v[16:17], v[6:7], v[22:23]
	v_fma_f64 v[6:7], v[14:15], v[6:7], -v[8:9]
	v_add_f64_e32 v[10:11], v[18:19], v[10:11]
	v_add_f64_e32 v[12:13], v[20:21], v[12:13]
	s_delay_alu instid0(VALU_DEP_2) | instskip(NEXT) | instid1(VALU_DEP_2)
	v_add_f64_e32 v[1:2], v[10:11], v[1:2]
	v_add_f64_e32 v[3:4], v[12:13], v[4:5]
	s_delay_alu instid0(VALU_DEP_2) | instskip(NEXT) | instid1(VALU_DEP_2)
	;; [unrolled: 3-line block ×3, first 2 shown]
	v_add_f64_e64 v[1:2], v[155:156], -v[1:2]
	v_add_f64_e64 v[3:4], v[157:158], -v[3:4]
	scratch_store_b128 off, v[1:4], off offset:512
	v_cmpx_lt_u32_e32 30, v0
	s_cbranch_execz .LBB117_277
; %bb.276:
	scratch_load_b128 v[1:4], off, s37
	v_mov_b32_e32 v5, 0
	s_delay_alu instid0(VALU_DEP_1)
	v_dual_mov_b32 v6, v5 :: v_dual_mov_b32 v7, v5
	v_mov_b32_e32 v8, v5
	scratch_store_b128 off, v[5:8], off offset:496
	s_wait_loadcnt 0x0
	ds_store_b128 v154, v[1:4]
.LBB117_277:
	s_wait_alu 0xfffe
	s_or_b32 exec_lo, exec_lo, s0
	s_wait_storecnt_dscnt 0x0
	s_barrier_signal -1
	s_barrier_wait -1
	global_inv scope:SCOPE_SE
	s_clause 0x7
	scratch_load_b128 v[2:5], off, off offset:512
	scratch_load_b128 v[6:9], off, off offset:528
	;; [unrolled: 1-line block ×8, first 2 shown]
	v_mov_b32_e32 v1, 0
	s_mov_b32 s0, exec_lo
	ds_load_b128 v[34:37], v1 offset:1360
	s_clause 0x1
	scratch_load_b128 v[38:41], off, off offset:640
	scratch_load_b128 v[42:45], off, off offset:496
	ds_load_b128 v[155:158], v1 offset:1376
	scratch_load_b128 v[159:162], off, off offset:656
	s_wait_loadcnt_dscnt 0xa01
	v_mul_f64_e32 v[163:164], v[36:37], v[4:5]
	v_mul_f64_e32 v[4:5], v[34:35], v[4:5]
	s_delay_alu instid0(VALU_DEP_2) | instskip(NEXT) | instid1(VALU_DEP_2)
	v_fma_f64 v[169:170], v[34:35], v[2:3], -v[163:164]
	v_fma_f64 v[171:172], v[36:37], v[2:3], v[4:5]
	ds_load_b128 v[2:5], v1 offset:1392
	s_wait_loadcnt_dscnt 0x901
	v_mul_f64_e32 v[167:168], v[155:156], v[8:9]
	v_mul_f64_e32 v[8:9], v[157:158], v[8:9]
	scratch_load_b128 v[34:37], off, off offset:672
	ds_load_b128 v[163:166], v1 offset:1408
	s_wait_loadcnt_dscnt 0x901
	v_mul_f64_e32 v[173:174], v[2:3], v[12:13]
	v_mul_f64_e32 v[12:13], v[4:5], v[12:13]
	v_fma_f64 v[157:158], v[157:158], v[6:7], v[167:168]
	v_fma_f64 v[155:156], v[155:156], v[6:7], -v[8:9]
	v_add_f64_e32 v[167:168], 0, v[169:170]
	v_add_f64_e32 v[169:170], 0, v[171:172]
	scratch_load_b128 v[6:9], off, off offset:688
	v_fma_f64 v[173:174], v[4:5], v[10:11], v[173:174]
	v_fma_f64 v[175:176], v[2:3], v[10:11], -v[12:13]
	ds_load_b128 v[2:5], v1 offset:1424
	s_wait_loadcnt_dscnt 0x901
	v_mul_f64_e32 v[171:172], v[163:164], v[16:17]
	v_mul_f64_e32 v[16:17], v[165:166], v[16:17]
	scratch_load_b128 v[10:13], off, off offset:704
	v_add_f64_e32 v[167:168], v[167:168], v[155:156]
	v_add_f64_e32 v[169:170], v[169:170], v[157:158]
	s_wait_loadcnt_dscnt 0x900
	v_mul_f64_e32 v[177:178], v[2:3], v[20:21]
	v_mul_f64_e32 v[20:21], v[4:5], v[20:21]
	ds_load_b128 v[155:158], v1 offset:1440
	v_fma_f64 v[165:166], v[165:166], v[14:15], v[171:172]
	v_fma_f64 v[163:164], v[163:164], v[14:15], -v[16:17]
	scratch_load_b128 v[14:17], off, off offset:720
	v_add_f64_e32 v[167:168], v[167:168], v[175:176]
	v_add_f64_e32 v[169:170], v[169:170], v[173:174]
	v_fma_f64 v[173:174], v[4:5], v[18:19], v[177:178]
	v_fma_f64 v[175:176], v[2:3], v[18:19], -v[20:21]
	ds_load_b128 v[2:5], v1 offset:1456
	s_wait_loadcnt_dscnt 0x901
	v_mul_f64_e32 v[171:172], v[155:156], v[24:25]
	v_mul_f64_e32 v[24:25], v[157:158], v[24:25]
	scratch_load_b128 v[18:21], off, off offset:736
	s_wait_loadcnt_dscnt 0x900
	v_mul_f64_e32 v[177:178], v[2:3], v[28:29]
	v_mul_f64_e32 v[28:29], v[4:5], v[28:29]
	v_add_f64_e32 v[167:168], v[167:168], v[163:164]
	v_add_f64_e32 v[169:170], v[169:170], v[165:166]
	ds_load_b128 v[163:166], v1 offset:1472
	v_fma_f64 v[157:158], v[157:158], v[22:23], v[171:172]
	v_fma_f64 v[155:156], v[155:156], v[22:23], -v[24:25]
	scratch_load_b128 v[22:25], off, off offset:752
	v_add_f64_e32 v[167:168], v[167:168], v[175:176]
	v_add_f64_e32 v[169:170], v[169:170], v[173:174]
	v_fma_f64 v[173:174], v[4:5], v[26:27], v[177:178]
	v_fma_f64 v[175:176], v[2:3], v[26:27], -v[28:29]
	ds_load_b128 v[2:5], v1 offset:1488
	s_wait_loadcnt_dscnt 0x901
	v_mul_f64_e32 v[171:172], v[163:164], v[32:33]
	v_mul_f64_e32 v[32:33], v[165:166], v[32:33]
	scratch_load_b128 v[26:29], off, off offset:768
	s_wait_loadcnt_dscnt 0x900
	v_mul_f64_e32 v[177:178], v[2:3], v[40:41]
	v_mul_f64_e32 v[40:41], v[4:5], v[40:41]
	v_add_f64_e32 v[167:168], v[167:168], v[155:156]
	v_add_f64_e32 v[169:170], v[169:170], v[157:158]
	ds_load_b128 v[155:158], v1 offset:1504
	v_fma_f64 v[165:166], v[165:166], v[30:31], v[171:172]
	v_fma_f64 v[163:164], v[163:164], v[30:31], -v[32:33]
	scratch_load_b128 v[30:33], off, off offset:784
	v_add_f64_e32 v[167:168], v[167:168], v[175:176]
	v_add_f64_e32 v[169:170], v[169:170], v[173:174]
	v_fma_f64 v[175:176], v[4:5], v[38:39], v[177:178]
	v_fma_f64 v[177:178], v[2:3], v[38:39], -v[40:41]
	ds_load_b128 v[2:5], v1 offset:1520
	s_wait_loadcnt_dscnt 0x801
	v_mul_f64_e32 v[171:172], v[155:156], v[161:162]
	v_mul_f64_e32 v[173:174], v[157:158], v[161:162]
	scratch_load_b128 v[38:41], off, off offset:800
	v_add_f64_e32 v[167:168], v[167:168], v[163:164]
	v_add_f64_e32 v[165:166], v[169:170], v[165:166]
	ds_load_b128 v[161:164], v1 offset:1536
	v_fma_f64 v[171:172], v[157:158], v[159:160], v[171:172]
	v_fma_f64 v[159:160], v[155:156], v[159:160], -v[173:174]
	scratch_load_b128 v[155:158], off, off offset:816
	s_wait_loadcnt_dscnt 0x901
	v_mul_f64_e32 v[169:170], v[2:3], v[36:37]
	v_mul_f64_e32 v[36:37], v[4:5], v[36:37]
	v_add_f64_e32 v[167:168], v[167:168], v[177:178]
	v_add_f64_e32 v[165:166], v[165:166], v[175:176]
	s_delay_alu instid0(VALU_DEP_4) | instskip(NEXT) | instid1(VALU_DEP_4)
	v_fma_f64 v[169:170], v[4:5], v[34:35], v[169:170]
	v_fma_f64 v[175:176], v[2:3], v[34:35], -v[36:37]
	ds_load_b128 v[2:5], v1 offset:1552
	s_wait_loadcnt_dscnt 0x801
	v_mul_f64_e32 v[173:174], v[161:162], v[8:9]
	v_mul_f64_e32 v[8:9], v[163:164], v[8:9]
	scratch_load_b128 v[34:37], off, off offset:832
	s_wait_loadcnt_dscnt 0x800
	v_mul_f64_e32 v[177:178], v[2:3], v[12:13]
	v_add_f64_e32 v[159:160], v[167:168], v[159:160]
	v_add_f64_e32 v[171:172], v[165:166], v[171:172]
	v_mul_f64_e32 v[12:13], v[4:5], v[12:13]
	ds_load_b128 v[165:168], v1 offset:1568
	v_fma_f64 v[163:164], v[163:164], v[6:7], v[173:174]
	v_fma_f64 v[161:162], v[161:162], v[6:7], -v[8:9]
	scratch_load_b128 v[6:9], off, off offset:848
	v_fma_f64 v[173:174], v[4:5], v[10:11], v[177:178]
	v_add_f64_e32 v[159:160], v[159:160], v[175:176]
	v_add_f64_e32 v[169:170], v[171:172], v[169:170]
	v_fma_f64 v[175:176], v[2:3], v[10:11], -v[12:13]
	ds_load_b128 v[2:5], v1 offset:1584
	s_wait_loadcnt_dscnt 0x801
	v_mul_f64_e32 v[171:172], v[165:166], v[16:17]
	v_mul_f64_e32 v[16:17], v[167:168], v[16:17]
	scratch_load_b128 v[10:13], off, off offset:864
	v_add_f64_e32 v[177:178], v[159:160], v[161:162]
	v_add_f64_e32 v[163:164], v[169:170], v[163:164]
	s_wait_loadcnt_dscnt 0x800
	v_mul_f64_e32 v[169:170], v[2:3], v[20:21]
	v_mul_f64_e32 v[20:21], v[4:5], v[20:21]
	v_fma_f64 v[167:168], v[167:168], v[14:15], v[171:172]
	v_fma_f64 v[14:15], v[165:166], v[14:15], -v[16:17]
	ds_load_b128 v[159:162], v1 offset:1600
	s_wait_loadcnt_dscnt 0x700
	v_mul_f64_e32 v[165:166], v[159:160], v[24:25]
	v_mul_f64_e32 v[24:25], v[161:162], v[24:25]
	v_add_f64_e32 v[16:17], v[177:178], v[175:176]
	v_add_f64_e32 v[163:164], v[163:164], v[173:174]
	v_fma_f64 v[169:170], v[4:5], v[18:19], v[169:170]
	v_fma_f64 v[18:19], v[2:3], v[18:19], -v[20:21]
	v_fma_f64 v[161:162], v[161:162], v[22:23], v[165:166]
	v_fma_f64 v[22:23], v[159:160], v[22:23], -v[24:25]
	v_add_f64_e32 v[20:21], v[16:17], v[14:15]
	v_add_f64_e32 v[163:164], v[163:164], v[167:168]
	ds_load_b128 v[2:5], v1 offset:1616
	ds_load_b128 v[14:17], v1 offset:1632
	s_wait_loadcnt_dscnt 0x601
	v_mul_f64_e32 v[167:168], v[2:3], v[28:29]
	v_mul_f64_e32 v[28:29], v[4:5], v[28:29]
	s_wait_loadcnt_dscnt 0x500
	v_mul_f64_e32 v[24:25], v[14:15], v[32:33]
	v_mul_f64_e32 v[32:33], v[16:17], v[32:33]
	v_add_f64_e32 v[18:19], v[20:21], v[18:19]
	v_add_f64_e32 v[20:21], v[163:164], v[169:170]
	v_fma_f64 v[159:160], v[4:5], v[26:27], v[167:168]
	v_fma_f64 v[26:27], v[2:3], v[26:27], -v[28:29]
	v_fma_f64 v[16:17], v[16:17], v[30:31], v[24:25]
	v_fma_f64 v[14:15], v[14:15], v[30:31], -v[32:33]
	v_add_f64_e32 v[22:23], v[18:19], v[22:23]
	v_add_f64_e32 v[28:29], v[20:21], v[161:162]
	ds_load_b128 v[2:5], v1 offset:1648
	ds_load_b128 v[18:21], v1 offset:1664
	s_wait_loadcnt_dscnt 0x401
	v_mul_f64_e32 v[161:162], v[2:3], v[40:41]
	v_mul_f64_e32 v[40:41], v[4:5], v[40:41]
	v_add_f64_e32 v[22:23], v[22:23], v[26:27]
	v_add_f64_e32 v[24:25], v[28:29], v[159:160]
	s_wait_loadcnt_dscnt 0x300
	v_mul_f64_e32 v[26:27], v[18:19], v[157:158]
	v_mul_f64_e32 v[28:29], v[20:21], v[157:158]
	v_fma_f64 v[30:31], v[4:5], v[38:39], v[161:162]
	v_fma_f64 v[32:33], v[2:3], v[38:39], -v[40:41]
	v_add_f64_e32 v[22:23], v[22:23], v[14:15]
	v_add_f64_e32 v[24:25], v[24:25], v[16:17]
	ds_load_b128 v[2:5], v1 offset:1680
	ds_load_b128 v[14:17], v1 offset:1696
	v_fma_f64 v[20:21], v[20:21], v[155:156], v[26:27]
	v_fma_f64 v[18:19], v[18:19], v[155:156], -v[28:29]
	s_wait_loadcnt_dscnt 0x201
	v_mul_f64_e32 v[38:39], v[2:3], v[36:37]
	v_mul_f64_e32 v[36:37], v[4:5], v[36:37]
	s_wait_loadcnt_dscnt 0x100
	v_mul_f64_e32 v[26:27], v[14:15], v[8:9]
	v_mul_f64_e32 v[8:9], v[16:17], v[8:9]
	v_add_f64_e32 v[22:23], v[22:23], v[32:33]
	v_add_f64_e32 v[24:25], v[24:25], v[30:31]
	v_fma_f64 v[28:29], v[4:5], v[34:35], v[38:39]
	v_fma_f64 v[30:31], v[2:3], v[34:35], -v[36:37]
	ds_load_b128 v[2:5], v1 offset:1712
	v_fma_f64 v[16:17], v[16:17], v[6:7], v[26:27]
	v_fma_f64 v[6:7], v[14:15], v[6:7], -v[8:9]
	v_add_f64_e32 v[18:19], v[22:23], v[18:19]
	v_add_f64_e32 v[20:21], v[24:25], v[20:21]
	s_wait_loadcnt_dscnt 0x0
	v_mul_f64_e32 v[22:23], v[2:3], v[12:13]
	v_mul_f64_e32 v[12:13], v[4:5], v[12:13]
	s_delay_alu instid0(VALU_DEP_4) | instskip(NEXT) | instid1(VALU_DEP_4)
	v_add_f64_e32 v[8:9], v[18:19], v[30:31]
	v_add_f64_e32 v[14:15], v[20:21], v[28:29]
	s_delay_alu instid0(VALU_DEP_4) | instskip(NEXT) | instid1(VALU_DEP_4)
	v_fma_f64 v[4:5], v[4:5], v[10:11], v[22:23]
	v_fma_f64 v[2:3], v[2:3], v[10:11], -v[12:13]
	s_delay_alu instid0(VALU_DEP_4) | instskip(NEXT) | instid1(VALU_DEP_4)
	v_add_f64_e32 v[6:7], v[8:9], v[6:7]
	v_add_f64_e32 v[8:9], v[14:15], v[16:17]
	s_delay_alu instid0(VALU_DEP_2) | instskip(NEXT) | instid1(VALU_DEP_2)
	v_add_f64_e32 v[2:3], v[6:7], v[2:3]
	v_add_f64_e32 v[4:5], v[8:9], v[4:5]
	s_delay_alu instid0(VALU_DEP_2) | instskip(NEXT) | instid1(VALU_DEP_2)
	v_add_f64_e64 v[2:3], v[42:43], -v[2:3]
	v_add_f64_e64 v[4:5], v[44:45], -v[4:5]
	scratch_store_b128 off, v[2:5], off offset:496
	v_cmpx_lt_u32_e32 29, v0
	s_cbranch_execz .LBB117_279
; %bb.278:
	scratch_load_b128 v[5:8], off, s38
	v_dual_mov_b32 v2, v1 :: v_dual_mov_b32 v3, v1
	v_mov_b32_e32 v4, v1
	scratch_store_b128 off, v[1:4], off offset:480
	s_wait_loadcnt 0x0
	ds_store_b128 v154, v[5:8]
.LBB117_279:
	s_wait_alu 0xfffe
	s_or_b32 exec_lo, exec_lo, s0
	s_wait_storecnt_dscnt 0x0
	s_barrier_signal -1
	s_barrier_wait -1
	global_inv scope:SCOPE_SE
	s_clause 0x8
	scratch_load_b128 v[2:5], off, off offset:496
	scratch_load_b128 v[6:9], off, off offset:512
	;; [unrolled: 1-line block ×9, first 2 shown]
	ds_load_b128 v[38:41], v1 offset:1344
	ds_load_b128 v[42:45], v1 offset:1360
	s_clause 0x1
	scratch_load_b128 v[155:158], off, off offset:480
	scratch_load_b128 v[159:162], off, off offset:640
	s_mov_b32 s0, exec_lo
	s_wait_loadcnt_dscnt 0xa01
	v_mul_f64_e32 v[163:164], v[40:41], v[4:5]
	v_mul_f64_e32 v[4:5], v[38:39], v[4:5]
	s_wait_loadcnt_dscnt 0x900
	v_mul_f64_e32 v[167:168], v[42:43], v[8:9]
	v_mul_f64_e32 v[8:9], v[44:45], v[8:9]
	s_delay_alu instid0(VALU_DEP_4) | instskip(NEXT) | instid1(VALU_DEP_4)
	v_fma_f64 v[169:170], v[38:39], v[2:3], -v[163:164]
	v_fma_f64 v[171:172], v[40:41], v[2:3], v[4:5]
	ds_load_b128 v[2:5], v1 offset:1376
	ds_load_b128 v[163:166], v1 offset:1392
	scratch_load_b128 v[38:41], off, off offset:656
	v_fma_f64 v[44:45], v[44:45], v[6:7], v[167:168]
	v_fma_f64 v[42:43], v[42:43], v[6:7], -v[8:9]
	scratch_load_b128 v[6:9], off, off offset:672
	s_wait_loadcnt_dscnt 0xa01
	v_mul_f64_e32 v[173:174], v[2:3], v[12:13]
	v_mul_f64_e32 v[12:13], v[4:5], v[12:13]
	v_add_f64_e32 v[167:168], 0, v[169:170]
	v_add_f64_e32 v[169:170], 0, v[171:172]
	s_wait_loadcnt_dscnt 0x900
	v_mul_f64_e32 v[171:172], v[163:164], v[16:17]
	v_mul_f64_e32 v[16:17], v[165:166], v[16:17]
	v_fma_f64 v[173:174], v[4:5], v[10:11], v[173:174]
	v_fma_f64 v[175:176], v[2:3], v[10:11], -v[12:13]
	ds_load_b128 v[2:5], v1 offset:1408
	scratch_load_b128 v[10:13], off, off offset:688
	v_add_f64_e32 v[167:168], v[167:168], v[42:43]
	v_add_f64_e32 v[169:170], v[169:170], v[44:45]
	ds_load_b128 v[42:45], v1 offset:1424
	v_fma_f64 v[165:166], v[165:166], v[14:15], v[171:172]
	v_fma_f64 v[163:164], v[163:164], v[14:15], -v[16:17]
	scratch_load_b128 v[14:17], off, off offset:704
	s_wait_loadcnt_dscnt 0xa01
	v_mul_f64_e32 v[177:178], v[2:3], v[20:21]
	v_mul_f64_e32 v[20:21], v[4:5], v[20:21]
	s_wait_loadcnt_dscnt 0x900
	v_mul_f64_e32 v[171:172], v[42:43], v[24:25]
	v_mul_f64_e32 v[24:25], v[44:45], v[24:25]
	v_add_f64_e32 v[167:168], v[167:168], v[175:176]
	v_add_f64_e32 v[169:170], v[169:170], v[173:174]
	v_fma_f64 v[173:174], v[4:5], v[18:19], v[177:178]
	v_fma_f64 v[175:176], v[2:3], v[18:19], -v[20:21]
	ds_load_b128 v[2:5], v1 offset:1440
	scratch_load_b128 v[18:21], off, off offset:720
	v_fma_f64 v[44:45], v[44:45], v[22:23], v[171:172]
	v_fma_f64 v[42:43], v[42:43], v[22:23], -v[24:25]
	scratch_load_b128 v[22:25], off, off offset:736
	v_add_f64_e32 v[167:168], v[167:168], v[163:164]
	v_add_f64_e32 v[169:170], v[169:170], v[165:166]
	ds_load_b128 v[163:166], v1 offset:1456
	s_wait_loadcnt_dscnt 0xa01
	v_mul_f64_e32 v[177:178], v[2:3], v[28:29]
	v_mul_f64_e32 v[28:29], v[4:5], v[28:29]
	s_wait_loadcnt_dscnt 0x900
	v_mul_f64_e32 v[171:172], v[163:164], v[32:33]
	v_mul_f64_e32 v[32:33], v[165:166], v[32:33]
	v_add_f64_e32 v[167:168], v[167:168], v[175:176]
	v_add_f64_e32 v[169:170], v[169:170], v[173:174]
	v_fma_f64 v[173:174], v[4:5], v[26:27], v[177:178]
	v_fma_f64 v[175:176], v[2:3], v[26:27], -v[28:29]
	ds_load_b128 v[2:5], v1 offset:1472
	scratch_load_b128 v[26:29], off, off offset:752
	v_fma_f64 v[165:166], v[165:166], v[30:31], v[171:172]
	v_fma_f64 v[163:164], v[163:164], v[30:31], -v[32:33]
	scratch_load_b128 v[30:33], off, off offset:768
	v_add_f64_e32 v[167:168], v[167:168], v[42:43]
	v_add_f64_e32 v[169:170], v[169:170], v[44:45]
	ds_load_b128 v[42:45], v1 offset:1488
	s_wait_loadcnt_dscnt 0xa01
	v_mul_f64_e32 v[177:178], v[2:3], v[36:37]
	v_mul_f64_e32 v[36:37], v[4:5], v[36:37]
	s_wait_loadcnt_dscnt 0x800
	v_mul_f64_e32 v[171:172], v[42:43], v[161:162]
	v_add_f64_e32 v[167:168], v[167:168], v[175:176]
	v_add_f64_e32 v[169:170], v[169:170], v[173:174]
	v_mul_f64_e32 v[173:174], v[44:45], v[161:162]
	v_fma_f64 v[175:176], v[4:5], v[34:35], v[177:178]
	v_fma_f64 v[177:178], v[2:3], v[34:35], -v[36:37]
	ds_load_b128 v[2:5], v1 offset:1504
	scratch_load_b128 v[34:37], off, off offset:784
	v_fma_f64 v[44:45], v[44:45], v[159:160], v[171:172]
	v_add_f64_e32 v[167:168], v[167:168], v[163:164]
	v_add_f64_e32 v[165:166], v[169:170], v[165:166]
	ds_load_b128 v[161:164], v1 offset:1520
	v_fma_f64 v[159:160], v[42:43], v[159:160], -v[173:174]
	s_wait_loadcnt_dscnt 0x801
	v_mul_f64_e32 v[169:170], v[2:3], v[40:41]
	v_mul_f64_e32 v[179:180], v[4:5], v[40:41]
	scratch_load_b128 v[40:43], off, off offset:800
	s_wait_loadcnt_dscnt 0x800
	v_mul_f64_e32 v[173:174], v[161:162], v[8:9]
	v_mul_f64_e32 v[8:9], v[163:164], v[8:9]
	v_add_f64_e32 v[167:168], v[167:168], v[177:178]
	v_add_f64_e32 v[165:166], v[165:166], v[175:176]
	v_fma_f64 v[175:176], v[4:5], v[38:39], v[169:170]
	v_fma_f64 v[38:39], v[2:3], v[38:39], -v[179:180]
	ds_load_b128 v[2:5], v1 offset:1536
	ds_load_b128 v[169:172], v1 offset:1552
	v_fma_f64 v[163:164], v[163:164], v[6:7], v[173:174]
	v_fma_f64 v[161:162], v[161:162], v[6:7], -v[8:9]
	scratch_load_b128 v[6:9], off, off offset:832
	v_add_f64_e32 v[159:160], v[167:168], v[159:160]
	v_add_f64_e32 v[44:45], v[165:166], v[44:45]
	scratch_load_b128 v[165:168], off, off offset:816
	s_wait_loadcnt_dscnt 0x901
	v_mul_f64_e32 v[177:178], v[2:3], v[12:13]
	v_mul_f64_e32 v[12:13], v[4:5], v[12:13]
	s_wait_loadcnt_dscnt 0x800
	v_mul_f64_e32 v[173:174], v[169:170], v[16:17]
	v_mul_f64_e32 v[16:17], v[171:172], v[16:17]
	v_add_f64_e32 v[38:39], v[159:160], v[38:39]
	v_add_f64_e32 v[44:45], v[44:45], v[175:176]
	v_fma_f64 v[175:176], v[4:5], v[10:11], v[177:178]
	v_fma_f64 v[177:178], v[2:3], v[10:11], -v[12:13]
	ds_load_b128 v[2:5], v1 offset:1568
	scratch_load_b128 v[10:13], off, off offset:848
	v_fma_f64 v[171:172], v[171:172], v[14:15], v[173:174]
	v_fma_f64 v[169:170], v[169:170], v[14:15], -v[16:17]
	scratch_load_b128 v[14:17], off, off offset:864
	v_add_f64_e32 v[38:39], v[38:39], v[161:162]
	v_add_f64_e32 v[44:45], v[44:45], v[163:164]
	ds_load_b128 v[159:162], v1 offset:1584
	s_wait_loadcnt_dscnt 0x901
	v_mul_f64_e32 v[163:164], v[2:3], v[20:21]
	v_mul_f64_e32 v[20:21], v[4:5], v[20:21]
	s_wait_loadcnt_dscnt 0x800
	v_mul_f64_e32 v[173:174], v[159:160], v[24:25]
	v_mul_f64_e32 v[24:25], v[161:162], v[24:25]
	v_add_f64_e32 v[38:39], v[38:39], v[177:178]
	v_add_f64_e32 v[44:45], v[44:45], v[175:176]
	v_fma_f64 v[163:164], v[4:5], v[18:19], v[163:164]
	v_fma_f64 v[175:176], v[2:3], v[18:19], -v[20:21]
	ds_load_b128 v[2:5], v1 offset:1600
	ds_load_b128 v[18:21], v1 offset:1616
	v_fma_f64 v[161:162], v[161:162], v[22:23], v[173:174]
	v_fma_f64 v[22:23], v[159:160], v[22:23], -v[24:25]
	v_add_f64_e32 v[38:39], v[38:39], v[169:170]
	v_add_f64_e32 v[44:45], v[44:45], v[171:172]
	s_wait_loadcnt_dscnt 0x701
	v_mul_f64_e32 v[169:170], v[2:3], v[28:29]
	v_mul_f64_e32 v[28:29], v[4:5], v[28:29]
	s_delay_alu instid0(VALU_DEP_4) | instskip(NEXT) | instid1(VALU_DEP_4)
	v_add_f64_e32 v[24:25], v[38:39], v[175:176]
	v_add_f64_e32 v[38:39], v[44:45], v[163:164]
	s_wait_loadcnt_dscnt 0x600
	v_mul_f64_e32 v[44:45], v[18:19], v[32:33]
	v_mul_f64_e32 v[32:33], v[20:21], v[32:33]
	v_fma_f64 v[159:160], v[4:5], v[26:27], v[169:170]
	v_fma_f64 v[26:27], v[2:3], v[26:27], -v[28:29]
	v_add_f64_e32 v[28:29], v[24:25], v[22:23]
	v_add_f64_e32 v[38:39], v[38:39], v[161:162]
	ds_load_b128 v[2:5], v1 offset:1632
	ds_load_b128 v[22:25], v1 offset:1648
	v_fma_f64 v[20:21], v[20:21], v[30:31], v[44:45]
	v_fma_f64 v[18:19], v[18:19], v[30:31], -v[32:33]
	s_wait_loadcnt_dscnt 0x501
	v_mul_f64_e32 v[161:162], v[2:3], v[36:37]
	v_mul_f64_e32 v[36:37], v[4:5], v[36:37]
	s_wait_loadcnt_dscnt 0x400
	v_mul_f64_e32 v[30:31], v[22:23], v[42:43]
	v_add_f64_e32 v[26:27], v[28:29], v[26:27]
	v_add_f64_e32 v[28:29], v[38:39], v[159:160]
	v_mul_f64_e32 v[32:33], v[24:25], v[42:43]
	v_fma_f64 v[38:39], v[4:5], v[34:35], v[161:162]
	v_fma_f64 v[34:35], v[2:3], v[34:35], -v[36:37]
	v_fma_f64 v[24:25], v[24:25], v[40:41], v[30:31]
	v_add_f64_e32 v[26:27], v[26:27], v[18:19]
	v_add_f64_e32 v[28:29], v[28:29], v[20:21]
	ds_load_b128 v[2:5], v1 offset:1664
	ds_load_b128 v[18:21], v1 offset:1680
	v_fma_f64 v[22:23], v[22:23], v[40:41], -v[32:33]
	s_wait_loadcnt_dscnt 0x201
	v_mul_f64_e32 v[36:37], v[2:3], v[167:168]
	v_mul_f64_e32 v[42:43], v[4:5], v[167:168]
	s_wait_dscnt 0x0
	v_mul_f64_e32 v[30:31], v[18:19], v[8:9]
	v_mul_f64_e32 v[8:9], v[20:21], v[8:9]
	v_add_f64_e32 v[26:27], v[26:27], v[34:35]
	v_add_f64_e32 v[28:29], v[28:29], v[38:39]
	v_fma_f64 v[32:33], v[4:5], v[165:166], v[36:37]
	v_fma_f64 v[34:35], v[2:3], v[165:166], -v[42:43]
	v_fma_f64 v[20:21], v[20:21], v[6:7], v[30:31]
	v_fma_f64 v[6:7], v[18:19], v[6:7], -v[8:9]
	v_add_f64_e32 v[26:27], v[26:27], v[22:23]
	v_add_f64_e32 v[28:29], v[28:29], v[24:25]
	ds_load_b128 v[2:5], v1 offset:1696
	ds_load_b128 v[22:25], v1 offset:1712
	s_wait_loadcnt_dscnt 0x101
	v_mul_f64_e32 v[36:37], v[2:3], v[12:13]
	v_mul_f64_e32 v[12:13], v[4:5], v[12:13]
	v_add_f64_e32 v[8:9], v[26:27], v[34:35]
	v_add_f64_e32 v[18:19], v[28:29], v[32:33]
	s_wait_loadcnt_dscnt 0x0
	v_mul_f64_e32 v[26:27], v[22:23], v[16:17]
	v_mul_f64_e32 v[16:17], v[24:25], v[16:17]
	v_fma_f64 v[4:5], v[4:5], v[10:11], v[36:37]
	v_fma_f64 v[1:2], v[2:3], v[10:11], -v[12:13]
	v_add_f64_e32 v[6:7], v[8:9], v[6:7]
	v_add_f64_e32 v[8:9], v[18:19], v[20:21]
	v_fma_f64 v[10:11], v[24:25], v[14:15], v[26:27]
	v_fma_f64 v[12:13], v[22:23], v[14:15], -v[16:17]
	s_delay_alu instid0(VALU_DEP_4) | instskip(NEXT) | instid1(VALU_DEP_4)
	v_add_f64_e32 v[1:2], v[6:7], v[1:2]
	v_add_f64_e32 v[3:4], v[8:9], v[4:5]
	s_delay_alu instid0(VALU_DEP_2) | instskip(NEXT) | instid1(VALU_DEP_2)
	v_add_f64_e32 v[1:2], v[1:2], v[12:13]
	v_add_f64_e32 v[3:4], v[3:4], v[10:11]
	s_delay_alu instid0(VALU_DEP_2) | instskip(NEXT) | instid1(VALU_DEP_2)
	v_add_f64_e64 v[1:2], v[155:156], -v[1:2]
	v_add_f64_e64 v[3:4], v[157:158], -v[3:4]
	scratch_store_b128 off, v[1:4], off offset:480
	v_cmpx_lt_u32_e32 28, v0
	s_cbranch_execz .LBB117_281
; %bb.280:
	scratch_load_b128 v[1:4], off, s39
	v_mov_b32_e32 v5, 0
	s_delay_alu instid0(VALU_DEP_1)
	v_dual_mov_b32 v6, v5 :: v_dual_mov_b32 v7, v5
	v_mov_b32_e32 v8, v5
	scratch_store_b128 off, v[5:8], off offset:464
	s_wait_loadcnt 0x0
	ds_store_b128 v154, v[1:4]
.LBB117_281:
	s_wait_alu 0xfffe
	s_or_b32 exec_lo, exec_lo, s0
	s_wait_storecnt_dscnt 0x0
	s_barrier_signal -1
	s_barrier_wait -1
	global_inv scope:SCOPE_SE
	s_clause 0x7
	scratch_load_b128 v[2:5], off, off offset:480
	scratch_load_b128 v[6:9], off, off offset:496
	;; [unrolled: 1-line block ×8, first 2 shown]
	v_mov_b32_e32 v1, 0
	s_mov_b32 s0, exec_lo
	ds_load_b128 v[34:37], v1 offset:1328
	s_clause 0x1
	scratch_load_b128 v[38:41], off, off offset:608
	scratch_load_b128 v[42:45], off, off offset:464
	ds_load_b128 v[155:158], v1 offset:1344
	scratch_load_b128 v[159:162], off, off offset:624
	s_wait_loadcnt_dscnt 0xa01
	v_mul_f64_e32 v[163:164], v[36:37], v[4:5]
	v_mul_f64_e32 v[4:5], v[34:35], v[4:5]
	s_delay_alu instid0(VALU_DEP_2) | instskip(NEXT) | instid1(VALU_DEP_2)
	v_fma_f64 v[169:170], v[34:35], v[2:3], -v[163:164]
	v_fma_f64 v[171:172], v[36:37], v[2:3], v[4:5]
	ds_load_b128 v[2:5], v1 offset:1360
	s_wait_loadcnt_dscnt 0x901
	v_mul_f64_e32 v[167:168], v[155:156], v[8:9]
	v_mul_f64_e32 v[8:9], v[157:158], v[8:9]
	scratch_load_b128 v[34:37], off, off offset:640
	ds_load_b128 v[163:166], v1 offset:1376
	s_wait_loadcnt_dscnt 0x901
	v_mul_f64_e32 v[173:174], v[2:3], v[12:13]
	v_mul_f64_e32 v[12:13], v[4:5], v[12:13]
	v_fma_f64 v[157:158], v[157:158], v[6:7], v[167:168]
	v_fma_f64 v[155:156], v[155:156], v[6:7], -v[8:9]
	v_add_f64_e32 v[167:168], 0, v[169:170]
	v_add_f64_e32 v[169:170], 0, v[171:172]
	scratch_load_b128 v[6:9], off, off offset:656
	v_fma_f64 v[173:174], v[4:5], v[10:11], v[173:174]
	v_fma_f64 v[175:176], v[2:3], v[10:11], -v[12:13]
	ds_load_b128 v[2:5], v1 offset:1392
	s_wait_loadcnt_dscnt 0x901
	v_mul_f64_e32 v[171:172], v[163:164], v[16:17]
	v_mul_f64_e32 v[16:17], v[165:166], v[16:17]
	scratch_load_b128 v[10:13], off, off offset:672
	v_add_f64_e32 v[167:168], v[167:168], v[155:156]
	v_add_f64_e32 v[169:170], v[169:170], v[157:158]
	s_wait_loadcnt_dscnt 0x900
	v_mul_f64_e32 v[177:178], v[2:3], v[20:21]
	v_mul_f64_e32 v[20:21], v[4:5], v[20:21]
	ds_load_b128 v[155:158], v1 offset:1408
	v_fma_f64 v[165:166], v[165:166], v[14:15], v[171:172]
	v_fma_f64 v[163:164], v[163:164], v[14:15], -v[16:17]
	scratch_load_b128 v[14:17], off, off offset:688
	v_add_f64_e32 v[167:168], v[167:168], v[175:176]
	v_add_f64_e32 v[169:170], v[169:170], v[173:174]
	v_fma_f64 v[173:174], v[4:5], v[18:19], v[177:178]
	v_fma_f64 v[175:176], v[2:3], v[18:19], -v[20:21]
	ds_load_b128 v[2:5], v1 offset:1424
	s_wait_loadcnt_dscnt 0x901
	v_mul_f64_e32 v[171:172], v[155:156], v[24:25]
	v_mul_f64_e32 v[24:25], v[157:158], v[24:25]
	scratch_load_b128 v[18:21], off, off offset:704
	s_wait_loadcnt_dscnt 0x900
	v_mul_f64_e32 v[177:178], v[2:3], v[28:29]
	v_mul_f64_e32 v[28:29], v[4:5], v[28:29]
	v_add_f64_e32 v[167:168], v[167:168], v[163:164]
	v_add_f64_e32 v[169:170], v[169:170], v[165:166]
	ds_load_b128 v[163:166], v1 offset:1440
	v_fma_f64 v[157:158], v[157:158], v[22:23], v[171:172]
	v_fma_f64 v[155:156], v[155:156], v[22:23], -v[24:25]
	scratch_load_b128 v[22:25], off, off offset:720
	v_add_f64_e32 v[167:168], v[167:168], v[175:176]
	v_add_f64_e32 v[169:170], v[169:170], v[173:174]
	v_fma_f64 v[173:174], v[4:5], v[26:27], v[177:178]
	v_fma_f64 v[175:176], v[2:3], v[26:27], -v[28:29]
	ds_load_b128 v[2:5], v1 offset:1456
	s_wait_loadcnt_dscnt 0x901
	v_mul_f64_e32 v[171:172], v[163:164], v[32:33]
	v_mul_f64_e32 v[32:33], v[165:166], v[32:33]
	scratch_load_b128 v[26:29], off, off offset:736
	s_wait_loadcnt_dscnt 0x900
	v_mul_f64_e32 v[177:178], v[2:3], v[40:41]
	v_mul_f64_e32 v[40:41], v[4:5], v[40:41]
	v_add_f64_e32 v[167:168], v[167:168], v[155:156]
	v_add_f64_e32 v[169:170], v[169:170], v[157:158]
	ds_load_b128 v[155:158], v1 offset:1472
	v_fma_f64 v[165:166], v[165:166], v[30:31], v[171:172]
	v_fma_f64 v[163:164], v[163:164], v[30:31], -v[32:33]
	scratch_load_b128 v[30:33], off, off offset:752
	v_add_f64_e32 v[167:168], v[167:168], v[175:176]
	v_add_f64_e32 v[169:170], v[169:170], v[173:174]
	v_fma_f64 v[175:176], v[4:5], v[38:39], v[177:178]
	v_fma_f64 v[177:178], v[2:3], v[38:39], -v[40:41]
	ds_load_b128 v[2:5], v1 offset:1488
	s_wait_loadcnt_dscnt 0x801
	v_mul_f64_e32 v[171:172], v[155:156], v[161:162]
	v_mul_f64_e32 v[173:174], v[157:158], v[161:162]
	scratch_load_b128 v[38:41], off, off offset:768
	v_add_f64_e32 v[167:168], v[167:168], v[163:164]
	v_add_f64_e32 v[165:166], v[169:170], v[165:166]
	ds_load_b128 v[161:164], v1 offset:1504
	v_fma_f64 v[171:172], v[157:158], v[159:160], v[171:172]
	v_fma_f64 v[159:160], v[155:156], v[159:160], -v[173:174]
	scratch_load_b128 v[155:158], off, off offset:784
	s_wait_loadcnt_dscnt 0x901
	v_mul_f64_e32 v[169:170], v[2:3], v[36:37]
	v_mul_f64_e32 v[36:37], v[4:5], v[36:37]
	v_add_f64_e32 v[167:168], v[167:168], v[177:178]
	v_add_f64_e32 v[165:166], v[165:166], v[175:176]
	s_delay_alu instid0(VALU_DEP_4) | instskip(NEXT) | instid1(VALU_DEP_4)
	v_fma_f64 v[169:170], v[4:5], v[34:35], v[169:170]
	v_fma_f64 v[175:176], v[2:3], v[34:35], -v[36:37]
	ds_load_b128 v[2:5], v1 offset:1520
	s_wait_loadcnt_dscnt 0x801
	v_mul_f64_e32 v[173:174], v[161:162], v[8:9]
	v_mul_f64_e32 v[8:9], v[163:164], v[8:9]
	scratch_load_b128 v[34:37], off, off offset:800
	s_wait_loadcnt_dscnt 0x800
	v_mul_f64_e32 v[177:178], v[2:3], v[12:13]
	v_add_f64_e32 v[159:160], v[167:168], v[159:160]
	v_add_f64_e32 v[171:172], v[165:166], v[171:172]
	v_mul_f64_e32 v[12:13], v[4:5], v[12:13]
	ds_load_b128 v[165:168], v1 offset:1536
	v_fma_f64 v[163:164], v[163:164], v[6:7], v[173:174]
	v_fma_f64 v[161:162], v[161:162], v[6:7], -v[8:9]
	scratch_load_b128 v[6:9], off, off offset:816
	v_fma_f64 v[173:174], v[4:5], v[10:11], v[177:178]
	v_add_f64_e32 v[159:160], v[159:160], v[175:176]
	v_add_f64_e32 v[169:170], v[171:172], v[169:170]
	v_fma_f64 v[175:176], v[2:3], v[10:11], -v[12:13]
	ds_load_b128 v[2:5], v1 offset:1552
	s_wait_loadcnt_dscnt 0x801
	v_mul_f64_e32 v[171:172], v[165:166], v[16:17]
	v_mul_f64_e32 v[16:17], v[167:168], v[16:17]
	scratch_load_b128 v[10:13], off, off offset:832
	v_add_f64_e32 v[177:178], v[159:160], v[161:162]
	v_add_f64_e32 v[163:164], v[169:170], v[163:164]
	s_wait_loadcnt_dscnt 0x800
	v_mul_f64_e32 v[169:170], v[2:3], v[20:21]
	v_mul_f64_e32 v[20:21], v[4:5], v[20:21]
	v_fma_f64 v[167:168], v[167:168], v[14:15], v[171:172]
	v_fma_f64 v[165:166], v[165:166], v[14:15], -v[16:17]
	ds_load_b128 v[159:162], v1 offset:1568
	scratch_load_b128 v[14:17], off, off offset:848
	v_add_f64_e32 v[171:172], v[177:178], v[175:176]
	v_add_f64_e32 v[163:164], v[163:164], v[173:174]
	v_fma_f64 v[169:170], v[4:5], v[18:19], v[169:170]
	v_fma_f64 v[175:176], v[2:3], v[18:19], -v[20:21]
	ds_load_b128 v[2:5], v1 offset:1584
	s_wait_loadcnt_dscnt 0x801
	v_mul_f64_e32 v[173:174], v[159:160], v[24:25]
	v_mul_f64_e32 v[24:25], v[161:162], v[24:25]
	scratch_load_b128 v[18:21], off, off offset:864
	s_wait_loadcnt_dscnt 0x800
	v_mul_f64_e32 v[177:178], v[2:3], v[28:29]
	v_mul_f64_e32 v[28:29], v[4:5], v[28:29]
	v_add_f64_e32 v[171:172], v[171:172], v[165:166]
	v_add_f64_e32 v[167:168], v[163:164], v[167:168]
	ds_load_b128 v[163:166], v1 offset:1600
	v_fma_f64 v[161:162], v[161:162], v[22:23], v[173:174]
	v_fma_f64 v[22:23], v[159:160], v[22:23], -v[24:25]
	v_add_f64_e32 v[24:25], v[171:172], v[175:176]
	v_add_f64_e32 v[159:160], v[167:168], v[169:170]
	s_wait_loadcnt_dscnt 0x700
	v_mul_f64_e32 v[167:168], v[163:164], v[32:33]
	v_mul_f64_e32 v[32:33], v[165:166], v[32:33]
	v_fma_f64 v[169:170], v[4:5], v[26:27], v[177:178]
	v_fma_f64 v[26:27], v[2:3], v[26:27], -v[28:29]
	v_add_f64_e32 v[28:29], v[24:25], v[22:23]
	v_add_f64_e32 v[159:160], v[159:160], v[161:162]
	ds_load_b128 v[2:5], v1 offset:1616
	ds_load_b128 v[22:25], v1 offset:1632
	v_fma_f64 v[165:166], v[165:166], v[30:31], v[167:168]
	v_fma_f64 v[30:31], v[163:164], v[30:31], -v[32:33]
	s_wait_loadcnt_dscnt 0x601
	v_mul_f64_e32 v[161:162], v[2:3], v[40:41]
	v_mul_f64_e32 v[40:41], v[4:5], v[40:41]
	s_wait_loadcnt_dscnt 0x500
	v_mul_f64_e32 v[32:33], v[22:23], v[157:158]
	v_mul_f64_e32 v[157:158], v[24:25], v[157:158]
	v_add_f64_e32 v[26:27], v[28:29], v[26:27]
	v_add_f64_e32 v[28:29], v[159:160], v[169:170]
	v_fma_f64 v[159:160], v[4:5], v[38:39], v[161:162]
	v_fma_f64 v[38:39], v[2:3], v[38:39], -v[40:41]
	v_fma_f64 v[24:25], v[24:25], v[155:156], v[32:33]
	v_fma_f64 v[22:23], v[22:23], v[155:156], -v[157:158]
	v_add_f64_e32 v[30:31], v[26:27], v[30:31]
	v_add_f64_e32 v[40:41], v[28:29], v[165:166]
	ds_load_b128 v[2:5], v1 offset:1648
	ds_load_b128 v[26:29], v1 offset:1664
	s_wait_loadcnt_dscnt 0x401
	v_mul_f64_e32 v[161:162], v[2:3], v[36:37]
	v_mul_f64_e32 v[36:37], v[4:5], v[36:37]
	v_add_f64_e32 v[30:31], v[30:31], v[38:39]
	v_add_f64_e32 v[32:33], v[40:41], v[159:160]
	s_wait_loadcnt_dscnt 0x300
	v_mul_f64_e32 v[38:39], v[26:27], v[8:9]
	v_mul_f64_e32 v[8:9], v[28:29], v[8:9]
	v_fma_f64 v[40:41], v[4:5], v[34:35], v[161:162]
	v_fma_f64 v[34:35], v[2:3], v[34:35], -v[36:37]
	v_add_f64_e32 v[30:31], v[30:31], v[22:23]
	v_add_f64_e32 v[32:33], v[32:33], v[24:25]
	ds_load_b128 v[2:5], v1 offset:1680
	ds_load_b128 v[22:25], v1 offset:1696
	v_fma_f64 v[28:29], v[28:29], v[6:7], v[38:39]
	v_fma_f64 v[6:7], v[26:27], v[6:7], -v[8:9]
	s_wait_loadcnt_dscnt 0x201
	v_mul_f64_e32 v[36:37], v[2:3], v[12:13]
	v_mul_f64_e32 v[12:13], v[4:5], v[12:13]
	v_add_f64_e32 v[8:9], v[30:31], v[34:35]
	v_add_f64_e32 v[26:27], v[32:33], v[40:41]
	s_wait_loadcnt_dscnt 0x100
	v_mul_f64_e32 v[30:31], v[22:23], v[16:17]
	v_mul_f64_e32 v[16:17], v[24:25], v[16:17]
	v_fma_f64 v[32:33], v[4:5], v[10:11], v[36:37]
	v_fma_f64 v[10:11], v[2:3], v[10:11], -v[12:13]
	ds_load_b128 v[2:5], v1 offset:1712
	v_add_f64_e32 v[6:7], v[8:9], v[6:7]
	v_add_f64_e32 v[8:9], v[26:27], v[28:29]
	v_fma_f64 v[24:25], v[24:25], v[14:15], v[30:31]
	v_fma_f64 v[14:15], v[22:23], v[14:15], -v[16:17]
	s_wait_loadcnt_dscnt 0x0
	v_mul_f64_e32 v[12:13], v[2:3], v[20:21]
	v_mul_f64_e32 v[20:21], v[4:5], v[20:21]
	v_add_f64_e32 v[6:7], v[6:7], v[10:11]
	v_add_f64_e32 v[8:9], v[8:9], v[32:33]
	s_delay_alu instid0(VALU_DEP_4) | instskip(NEXT) | instid1(VALU_DEP_4)
	v_fma_f64 v[4:5], v[4:5], v[18:19], v[12:13]
	v_fma_f64 v[2:3], v[2:3], v[18:19], -v[20:21]
	s_delay_alu instid0(VALU_DEP_4) | instskip(NEXT) | instid1(VALU_DEP_4)
	v_add_f64_e32 v[6:7], v[6:7], v[14:15]
	v_add_f64_e32 v[8:9], v[8:9], v[24:25]
	s_delay_alu instid0(VALU_DEP_2) | instskip(NEXT) | instid1(VALU_DEP_2)
	v_add_f64_e32 v[2:3], v[6:7], v[2:3]
	v_add_f64_e32 v[4:5], v[8:9], v[4:5]
	s_delay_alu instid0(VALU_DEP_2) | instskip(NEXT) | instid1(VALU_DEP_2)
	v_add_f64_e64 v[2:3], v[42:43], -v[2:3]
	v_add_f64_e64 v[4:5], v[44:45], -v[4:5]
	scratch_store_b128 off, v[2:5], off offset:464
	v_cmpx_lt_u32_e32 27, v0
	s_cbranch_execz .LBB117_283
; %bb.282:
	scratch_load_b128 v[5:8], off, s40
	v_dual_mov_b32 v2, v1 :: v_dual_mov_b32 v3, v1
	v_mov_b32_e32 v4, v1
	scratch_store_b128 off, v[1:4], off offset:448
	s_wait_loadcnt 0x0
	ds_store_b128 v154, v[5:8]
.LBB117_283:
	s_wait_alu 0xfffe
	s_or_b32 exec_lo, exec_lo, s0
	s_wait_storecnt_dscnt 0x0
	s_barrier_signal -1
	s_barrier_wait -1
	global_inv scope:SCOPE_SE
	s_clause 0x8
	scratch_load_b128 v[2:5], off, off offset:464
	scratch_load_b128 v[6:9], off, off offset:480
	;; [unrolled: 1-line block ×9, first 2 shown]
	ds_load_b128 v[38:41], v1 offset:1312
	ds_load_b128 v[42:45], v1 offset:1328
	s_clause 0x1
	scratch_load_b128 v[155:158], off, off offset:448
	scratch_load_b128 v[159:162], off, off offset:608
	s_mov_b32 s0, exec_lo
	s_wait_loadcnt_dscnt 0xa01
	v_mul_f64_e32 v[163:164], v[40:41], v[4:5]
	v_mul_f64_e32 v[4:5], v[38:39], v[4:5]
	s_wait_loadcnt_dscnt 0x900
	v_mul_f64_e32 v[167:168], v[42:43], v[8:9]
	v_mul_f64_e32 v[8:9], v[44:45], v[8:9]
	s_delay_alu instid0(VALU_DEP_4) | instskip(NEXT) | instid1(VALU_DEP_4)
	v_fma_f64 v[169:170], v[38:39], v[2:3], -v[163:164]
	v_fma_f64 v[171:172], v[40:41], v[2:3], v[4:5]
	ds_load_b128 v[2:5], v1 offset:1344
	ds_load_b128 v[163:166], v1 offset:1360
	scratch_load_b128 v[38:41], off, off offset:624
	v_fma_f64 v[44:45], v[44:45], v[6:7], v[167:168]
	v_fma_f64 v[42:43], v[42:43], v[6:7], -v[8:9]
	scratch_load_b128 v[6:9], off, off offset:640
	s_wait_loadcnt_dscnt 0xa01
	v_mul_f64_e32 v[173:174], v[2:3], v[12:13]
	v_mul_f64_e32 v[12:13], v[4:5], v[12:13]
	v_add_f64_e32 v[167:168], 0, v[169:170]
	v_add_f64_e32 v[169:170], 0, v[171:172]
	s_wait_loadcnt_dscnt 0x900
	v_mul_f64_e32 v[171:172], v[163:164], v[16:17]
	v_mul_f64_e32 v[16:17], v[165:166], v[16:17]
	v_fma_f64 v[173:174], v[4:5], v[10:11], v[173:174]
	v_fma_f64 v[175:176], v[2:3], v[10:11], -v[12:13]
	ds_load_b128 v[2:5], v1 offset:1376
	scratch_load_b128 v[10:13], off, off offset:656
	v_add_f64_e32 v[167:168], v[167:168], v[42:43]
	v_add_f64_e32 v[169:170], v[169:170], v[44:45]
	ds_load_b128 v[42:45], v1 offset:1392
	v_fma_f64 v[165:166], v[165:166], v[14:15], v[171:172]
	v_fma_f64 v[163:164], v[163:164], v[14:15], -v[16:17]
	scratch_load_b128 v[14:17], off, off offset:672
	s_wait_loadcnt_dscnt 0xa01
	v_mul_f64_e32 v[177:178], v[2:3], v[20:21]
	v_mul_f64_e32 v[20:21], v[4:5], v[20:21]
	s_wait_loadcnt_dscnt 0x900
	v_mul_f64_e32 v[171:172], v[42:43], v[24:25]
	v_mul_f64_e32 v[24:25], v[44:45], v[24:25]
	v_add_f64_e32 v[167:168], v[167:168], v[175:176]
	v_add_f64_e32 v[169:170], v[169:170], v[173:174]
	v_fma_f64 v[173:174], v[4:5], v[18:19], v[177:178]
	v_fma_f64 v[175:176], v[2:3], v[18:19], -v[20:21]
	ds_load_b128 v[2:5], v1 offset:1408
	scratch_load_b128 v[18:21], off, off offset:688
	v_fma_f64 v[44:45], v[44:45], v[22:23], v[171:172]
	v_fma_f64 v[42:43], v[42:43], v[22:23], -v[24:25]
	scratch_load_b128 v[22:25], off, off offset:704
	v_add_f64_e32 v[167:168], v[167:168], v[163:164]
	v_add_f64_e32 v[169:170], v[169:170], v[165:166]
	ds_load_b128 v[163:166], v1 offset:1424
	s_wait_loadcnt_dscnt 0xa01
	v_mul_f64_e32 v[177:178], v[2:3], v[28:29]
	v_mul_f64_e32 v[28:29], v[4:5], v[28:29]
	s_wait_loadcnt_dscnt 0x900
	v_mul_f64_e32 v[171:172], v[163:164], v[32:33]
	v_mul_f64_e32 v[32:33], v[165:166], v[32:33]
	v_add_f64_e32 v[167:168], v[167:168], v[175:176]
	v_add_f64_e32 v[169:170], v[169:170], v[173:174]
	v_fma_f64 v[173:174], v[4:5], v[26:27], v[177:178]
	v_fma_f64 v[175:176], v[2:3], v[26:27], -v[28:29]
	ds_load_b128 v[2:5], v1 offset:1440
	scratch_load_b128 v[26:29], off, off offset:720
	v_fma_f64 v[165:166], v[165:166], v[30:31], v[171:172]
	v_fma_f64 v[163:164], v[163:164], v[30:31], -v[32:33]
	scratch_load_b128 v[30:33], off, off offset:736
	v_add_f64_e32 v[167:168], v[167:168], v[42:43]
	v_add_f64_e32 v[169:170], v[169:170], v[44:45]
	ds_load_b128 v[42:45], v1 offset:1456
	s_wait_loadcnt_dscnt 0xa01
	v_mul_f64_e32 v[177:178], v[2:3], v[36:37]
	v_mul_f64_e32 v[36:37], v[4:5], v[36:37]
	s_wait_loadcnt_dscnt 0x800
	v_mul_f64_e32 v[171:172], v[42:43], v[161:162]
	v_add_f64_e32 v[167:168], v[167:168], v[175:176]
	v_add_f64_e32 v[169:170], v[169:170], v[173:174]
	v_mul_f64_e32 v[173:174], v[44:45], v[161:162]
	v_fma_f64 v[175:176], v[4:5], v[34:35], v[177:178]
	v_fma_f64 v[177:178], v[2:3], v[34:35], -v[36:37]
	ds_load_b128 v[2:5], v1 offset:1472
	scratch_load_b128 v[34:37], off, off offset:752
	v_fma_f64 v[44:45], v[44:45], v[159:160], v[171:172]
	v_add_f64_e32 v[167:168], v[167:168], v[163:164]
	v_add_f64_e32 v[165:166], v[169:170], v[165:166]
	ds_load_b128 v[161:164], v1 offset:1488
	v_fma_f64 v[159:160], v[42:43], v[159:160], -v[173:174]
	s_wait_loadcnt_dscnt 0x801
	v_mul_f64_e32 v[169:170], v[2:3], v[40:41]
	v_mul_f64_e32 v[179:180], v[4:5], v[40:41]
	scratch_load_b128 v[40:43], off, off offset:768
	s_wait_loadcnt_dscnt 0x800
	v_mul_f64_e32 v[173:174], v[161:162], v[8:9]
	v_mul_f64_e32 v[8:9], v[163:164], v[8:9]
	v_add_f64_e32 v[167:168], v[167:168], v[177:178]
	v_add_f64_e32 v[165:166], v[165:166], v[175:176]
	v_fma_f64 v[175:176], v[4:5], v[38:39], v[169:170]
	v_fma_f64 v[38:39], v[2:3], v[38:39], -v[179:180]
	ds_load_b128 v[2:5], v1 offset:1504
	ds_load_b128 v[169:172], v1 offset:1520
	v_fma_f64 v[163:164], v[163:164], v[6:7], v[173:174]
	v_fma_f64 v[161:162], v[161:162], v[6:7], -v[8:9]
	scratch_load_b128 v[6:9], off, off offset:800
	v_add_f64_e32 v[159:160], v[167:168], v[159:160]
	v_add_f64_e32 v[44:45], v[165:166], v[44:45]
	scratch_load_b128 v[165:168], off, off offset:784
	s_wait_loadcnt_dscnt 0x901
	v_mul_f64_e32 v[177:178], v[2:3], v[12:13]
	v_mul_f64_e32 v[12:13], v[4:5], v[12:13]
	s_wait_loadcnt_dscnt 0x800
	v_mul_f64_e32 v[173:174], v[169:170], v[16:17]
	v_mul_f64_e32 v[16:17], v[171:172], v[16:17]
	v_add_f64_e32 v[38:39], v[159:160], v[38:39]
	v_add_f64_e32 v[44:45], v[44:45], v[175:176]
	v_fma_f64 v[175:176], v[4:5], v[10:11], v[177:178]
	v_fma_f64 v[177:178], v[2:3], v[10:11], -v[12:13]
	ds_load_b128 v[2:5], v1 offset:1536
	scratch_load_b128 v[10:13], off, off offset:816
	v_fma_f64 v[171:172], v[171:172], v[14:15], v[173:174]
	v_fma_f64 v[169:170], v[169:170], v[14:15], -v[16:17]
	scratch_load_b128 v[14:17], off, off offset:832
	v_add_f64_e32 v[38:39], v[38:39], v[161:162]
	v_add_f64_e32 v[44:45], v[44:45], v[163:164]
	ds_load_b128 v[159:162], v1 offset:1552
	s_wait_loadcnt_dscnt 0x901
	v_mul_f64_e32 v[163:164], v[2:3], v[20:21]
	v_mul_f64_e32 v[20:21], v[4:5], v[20:21]
	s_wait_loadcnt_dscnt 0x800
	v_mul_f64_e32 v[173:174], v[159:160], v[24:25]
	v_mul_f64_e32 v[24:25], v[161:162], v[24:25]
	v_add_f64_e32 v[38:39], v[38:39], v[177:178]
	v_add_f64_e32 v[44:45], v[44:45], v[175:176]
	v_fma_f64 v[163:164], v[4:5], v[18:19], v[163:164]
	v_fma_f64 v[175:176], v[2:3], v[18:19], -v[20:21]
	ds_load_b128 v[2:5], v1 offset:1568
	scratch_load_b128 v[18:21], off, off offset:848
	v_fma_f64 v[161:162], v[161:162], v[22:23], v[173:174]
	v_fma_f64 v[159:160], v[159:160], v[22:23], -v[24:25]
	scratch_load_b128 v[22:25], off, off offset:864
	v_add_f64_e32 v[38:39], v[38:39], v[169:170]
	v_add_f64_e32 v[44:45], v[44:45], v[171:172]
	ds_load_b128 v[169:172], v1 offset:1584
	s_wait_loadcnt_dscnt 0x901
	v_mul_f64_e32 v[177:178], v[2:3], v[28:29]
	v_mul_f64_e32 v[28:29], v[4:5], v[28:29]
	v_add_f64_e32 v[38:39], v[38:39], v[175:176]
	v_add_f64_e32 v[44:45], v[44:45], v[163:164]
	s_wait_loadcnt_dscnt 0x800
	v_mul_f64_e32 v[163:164], v[169:170], v[32:33]
	v_mul_f64_e32 v[32:33], v[171:172], v[32:33]
	v_fma_f64 v[173:174], v[4:5], v[26:27], v[177:178]
	v_fma_f64 v[175:176], v[2:3], v[26:27], -v[28:29]
	ds_load_b128 v[2:5], v1 offset:1600
	ds_load_b128 v[26:29], v1 offset:1616
	v_add_f64_e32 v[38:39], v[38:39], v[159:160]
	v_add_f64_e32 v[44:45], v[44:45], v[161:162]
	s_wait_loadcnt_dscnt 0x701
	v_mul_f64_e32 v[159:160], v[2:3], v[36:37]
	v_mul_f64_e32 v[36:37], v[4:5], v[36:37]
	v_fma_f64 v[161:162], v[171:172], v[30:31], v[163:164]
	v_fma_f64 v[30:31], v[169:170], v[30:31], -v[32:33]
	v_add_f64_e32 v[32:33], v[38:39], v[175:176]
	v_add_f64_e32 v[38:39], v[44:45], v[173:174]
	s_wait_loadcnt_dscnt 0x600
	v_mul_f64_e32 v[44:45], v[26:27], v[42:43]
	v_mul_f64_e32 v[42:43], v[28:29], v[42:43]
	v_fma_f64 v[159:160], v[4:5], v[34:35], v[159:160]
	v_fma_f64 v[34:35], v[2:3], v[34:35], -v[36:37]
	v_add_f64_e32 v[36:37], v[32:33], v[30:31]
	v_add_f64_e32 v[38:39], v[38:39], v[161:162]
	ds_load_b128 v[2:5], v1 offset:1632
	ds_load_b128 v[30:33], v1 offset:1648
	v_fma_f64 v[28:29], v[28:29], v[40:41], v[44:45]
	v_fma_f64 v[26:27], v[26:27], v[40:41], -v[42:43]
	s_wait_loadcnt_dscnt 0x401
	v_mul_f64_e32 v[161:162], v[2:3], v[167:168]
	v_mul_f64_e32 v[163:164], v[4:5], v[167:168]
	v_add_f64_e32 v[34:35], v[36:37], v[34:35]
	v_add_f64_e32 v[36:37], v[38:39], v[159:160]
	s_wait_dscnt 0x0
	v_mul_f64_e32 v[38:39], v[30:31], v[8:9]
	v_mul_f64_e32 v[8:9], v[32:33], v[8:9]
	v_fma_f64 v[40:41], v[4:5], v[165:166], v[161:162]
	v_fma_f64 v[42:43], v[2:3], v[165:166], -v[163:164]
	v_add_f64_e32 v[34:35], v[34:35], v[26:27]
	v_add_f64_e32 v[36:37], v[36:37], v[28:29]
	ds_load_b128 v[2:5], v1 offset:1664
	ds_load_b128 v[26:29], v1 offset:1680
	v_fma_f64 v[32:33], v[32:33], v[6:7], v[38:39]
	v_fma_f64 v[6:7], v[30:31], v[6:7], -v[8:9]
	s_wait_loadcnt_dscnt 0x301
	v_mul_f64_e32 v[44:45], v[2:3], v[12:13]
	v_mul_f64_e32 v[12:13], v[4:5], v[12:13]
	v_add_f64_e32 v[8:9], v[34:35], v[42:43]
	v_add_f64_e32 v[30:31], v[36:37], v[40:41]
	s_wait_loadcnt_dscnt 0x200
	v_mul_f64_e32 v[34:35], v[26:27], v[16:17]
	v_mul_f64_e32 v[16:17], v[28:29], v[16:17]
	v_fma_f64 v[36:37], v[4:5], v[10:11], v[44:45]
	v_fma_f64 v[10:11], v[2:3], v[10:11], -v[12:13]
	v_add_f64_e32 v[12:13], v[8:9], v[6:7]
	v_add_f64_e32 v[30:31], v[30:31], v[32:33]
	ds_load_b128 v[2:5], v1 offset:1696
	ds_load_b128 v[6:9], v1 offset:1712
	v_fma_f64 v[28:29], v[28:29], v[14:15], v[34:35]
	v_fma_f64 v[14:15], v[26:27], v[14:15], -v[16:17]
	s_wait_loadcnt_dscnt 0x101
	v_mul_f64_e32 v[32:33], v[2:3], v[20:21]
	v_mul_f64_e32 v[20:21], v[4:5], v[20:21]
	s_wait_loadcnt_dscnt 0x0
	v_mul_f64_e32 v[16:17], v[6:7], v[24:25]
	v_mul_f64_e32 v[24:25], v[8:9], v[24:25]
	v_add_f64_e32 v[10:11], v[12:13], v[10:11]
	v_add_f64_e32 v[12:13], v[30:31], v[36:37]
	v_fma_f64 v[4:5], v[4:5], v[18:19], v[32:33]
	v_fma_f64 v[1:2], v[2:3], v[18:19], -v[20:21]
	v_fma_f64 v[8:9], v[8:9], v[22:23], v[16:17]
	v_fma_f64 v[6:7], v[6:7], v[22:23], -v[24:25]
	v_add_f64_e32 v[10:11], v[10:11], v[14:15]
	v_add_f64_e32 v[12:13], v[12:13], v[28:29]
	s_delay_alu instid0(VALU_DEP_2) | instskip(NEXT) | instid1(VALU_DEP_2)
	v_add_f64_e32 v[1:2], v[10:11], v[1:2]
	v_add_f64_e32 v[3:4], v[12:13], v[4:5]
	s_delay_alu instid0(VALU_DEP_2) | instskip(NEXT) | instid1(VALU_DEP_2)
	v_add_f64_e32 v[1:2], v[1:2], v[6:7]
	v_add_f64_e32 v[3:4], v[3:4], v[8:9]
	s_delay_alu instid0(VALU_DEP_2) | instskip(NEXT) | instid1(VALU_DEP_2)
	v_add_f64_e64 v[1:2], v[155:156], -v[1:2]
	v_add_f64_e64 v[3:4], v[157:158], -v[3:4]
	scratch_store_b128 off, v[1:4], off offset:448
	v_cmpx_lt_u32_e32 26, v0
	s_cbranch_execz .LBB117_285
; %bb.284:
	scratch_load_b128 v[1:4], off, s41
	v_mov_b32_e32 v5, 0
	s_delay_alu instid0(VALU_DEP_1)
	v_dual_mov_b32 v6, v5 :: v_dual_mov_b32 v7, v5
	v_mov_b32_e32 v8, v5
	scratch_store_b128 off, v[5:8], off offset:432
	s_wait_loadcnt 0x0
	ds_store_b128 v154, v[1:4]
.LBB117_285:
	s_wait_alu 0xfffe
	s_or_b32 exec_lo, exec_lo, s0
	s_wait_storecnt_dscnt 0x0
	s_barrier_signal -1
	s_barrier_wait -1
	global_inv scope:SCOPE_SE
	s_clause 0x7
	scratch_load_b128 v[2:5], off, off offset:448
	scratch_load_b128 v[6:9], off, off offset:464
	;; [unrolled: 1-line block ×8, first 2 shown]
	v_mov_b32_e32 v1, 0
	s_mov_b32 s0, exec_lo
	ds_load_b128 v[34:37], v1 offset:1296
	s_clause 0x1
	scratch_load_b128 v[38:41], off, off offset:576
	scratch_load_b128 v[42:45], off, off offset:432
	ds_load_b128 v[155:158], v1 offset:1312
	scratch_load_b128 v[159:162], off, off offset:592
	s_wait_loadcnt_dscnt 0xa01
	v_mul_f64_e32 v[163:164], v[36:37], v[4:5]
	v_mul_f64_e32 v[4:5], v[34:35], v[4:5]
	s_delay_alu instid0(VALU_DEP_2) | instskip(NEXT) | instid1(VALU_DEP_2)
	v_fma_f64 v[169:170], v[34:35], v[2:3], -v[163:164]
	v_fma_f64 v[171:172], v[36:37], v[2:3], v[4:5]
	ds_load_b128 v[2:5], v1 offset:1328
	s_wait_loadcnt_dscnt 0x901
	v_mul_f64_e32 v[167:168], v[155:156], v[8:9]
	v_mul_f64_e32 v[8:9], v[157:158], v[8:9]
	scratch_load_b128 v[34:37], off, off offset:608
	ds_load_b128 v[163:166], v1 offset:1344
	s_wait_loadcnt_dscnt 0x901
	v_mul_f64_e32 v[173:174], v[2:3], v[12:13]
	v_mul_f64_e32 v[12:13], v[4:5], v[12:13]
	v_fma_f64 v[157:158], v[157:158], v[6:7], v[167:168]
	v_fma_f64 v[155:156], v[155:156], v[6:7], -v[8:9]
	v_add_f64_e32 v[167:168], 0, v[169:170]
	v_add_f64_e32 v[169:170], 0, v[171:172]
	scratch_load_b128 v[6:9], off, off offset:624
	v_fma_f64 v[173:174], v[4:5], v[10:11], v[173:174]
	v_fma_f64 v[175:176], v[2:3], v[10:11], -v[12:13]
	ds_load_b128 v[2:5], v1 offset:1360
	s_wait_loadcnt_dscnt 0x901
	v_mul_f64_e32 v[171:172], v[163:164], v[16:17]
	v_mul_f64_e32 v[16:17], v[165:166], v[16:17]
	scratch_load_b128 v[10:13], off, off offset:640
	v_add_f64_e32 v[167:168], v[167:168], v[155:156]
	v_add_f64_e32 v[169:170], v[169:170], v[157:158]
	s_wait_loadcnt_dscnt 0x900
	v_mul_f64_e32 v[177:178], v[2:3], v[20:21]
	v_mul_f64_e32 v[20:21], v[4:5], v[20:21]
	ds_load_b128 v[155:158], v1 offset:1376
	v_fma_f64 v[165:166], v[165:166], v[14:15], v[171:172]
	v_fma_f64 v[163:164], v[163:164], v[14:15], -v[16:17]
	scratch_load_b128 v[14:17], off, off offset:656
	v_add_f64_e32 v[167:168], v[167:168], v[175:176]
	v_add_f64_e32 v[169:170], v[169:170], v[173:174]
	v_fma_f64 v[173:174], v[4:5], v[18:19], v[177:178]
	v_fma_f64 v[175:176], v[2:3], v[18:19], -v[20:21]
	ds_load_b128 v[2:5], v1 offset:1392
	s_wait_loadcnt_dscnt 0x901
	v_mul_f64_e32 v[171:172], v[155:156], v[24:25]
	v_mul_f64_e32 v[24:25], v[157:158], v[24:25]
	scratch_load_b128 v[18:21], off, off offset:672
	s_wait_loadcnt_dscnt 0x900
	v_mul_f64_e32 v[177:178], v[2:3], v[28:29]
	v_mul_f64_e32 v[28:29], v[4:5], v[28:29]
	v_add_f64_e32 v[167:168], v[167:168], v[163:164]
	v_add_f64_e32 v[169:170], v[169:170], v[165:166]
	ds_load_b128 v[163:166], v1 offset:1408
	v_fma_f64 v[157:158], v[157:158], v[22:23], v[171:172]
	v_fma_f64 v[155:156], v[155:156], v[22:23], -v[24:25]
	scratch_load_b128 v[22:25], off, off offset:688
	v_add_f64_e32 v[167:168], v[167:168], v[175:176]
	v_add_f64_e32 v[169:170], v[169:170], v[173:174]
	v_fma_f64 v[173:174], v[4:5], v[26:27], v[177:178]
	v_fma_f64 v[175:176], v[2:3], v[26:27], -v[28:29]
	ds_load_b128 v[2:5], v1 offset:1424
	s_wait_loadcnt_dscnt 0x901
	v_mul_f64_e32 v[171:172], v[163:164], v[32:33]
	v_mul_f64_e32 v[32:33], v[165:166], v[32:33]
	scratch_load_b128 v[26:29], off, off offset:704
	s_wait_loadcnt_dscnt 0x900
	v_mul_f64_e32 v[177:178], v[2:3], v[40:41]
	v_mul_f64_e32 v[40:41], v[4:5], v[40:41]
	v_add_f64_e32 v[167:168], v[167:168], v[155:156]
	v_add_f64_e32 v[169:170], v[169:170], v[157:158]
	ds_load_b128 v[155:158], v1 offset:1440
	v_fma_f64 v[165:166], v[165:166], v[30:31], v[171:172]
	v_fma_f64 v[163:164], v[163:164], v[30:31], -v[32:33]
	scratch_load_b128 v[30:33], off, off offset:720
	v_add_f64_e32 v[167:168], v[167:168], v[175:176]
	v_add_f64_e32 v[169:170], v[169:170], v[173:174]
	v_fma_f64 v[175:176], v[4:5], v[38:39], v[177:178]
	v_fma_f64 v[177:178], v[2:3], v[38:39], -v[40:41]
	ds_load_b128 v[2:5], v1 offset:1456
	s_wait_loadcnt_dscnt 0x801
	v_mul_f64_e32 v[171:172], v[155:156], v[161:162]
	v_mul_f64_e32 v[173:174], v[157:158], v[161:162]
	scratch_load_b128 v[38:41], off, off offset:736
	v_add_f64_e32 v[167:168], v[167:168], v[163:164]
	v_add_f64_e32 v[165:166], v[169:170], v[165:166]
	ds_load_b128 v[161:164], v1 offset:1472
	v_fma_f64 v[171:172], v[157:158], v[159:160], v[171:172]
	v_fma_f64 v[159:160], v[155:156], v[159:160], -v[173:174]
	scratch_load_b128 v[155:158], off, off offset:752
	s_wait_loadcnt_dscnt 0x901
	v_mul_f64_e32 v[169:170], v[2:3], v[36:37]
	v_mul_f64_e32 v[36:37], v[4:5], v[36:37]
	v_add_f64_e32 v[167:168], v[167:168], v[177:178]
	v_add_f64_e32 v[165:166], v[165:166], v[175:176]
	s_delay_alu instid0(VALU_DEP_4) | instskip(NEXT) | instid1(VALU_DEP_4)
	v_fma_f64 v[169:170], v[4:5], v[34:35], v[169:170]
	v_fma_f64 v[175:176], v[2:3], v[34:35], -v[36:37]
	ds_load_b128 v[2:5], v1 offset:1488
	s_wait_loadcnt_dscnt 0x801
	v_mul_f64_e32 v[173:174], v[161:162], v[8:9]
	v_mul_f64_e32 v[8:9], v[163:164], v[8:9]
	scratch_load_b128 v[34:37], off, off offset:768
	s_wait_loadcnt_dscnt 0x800
	v_mul_f64_e32 v[177:178], v[2:3], v[12:13]
	v_add_f64_e32 v[159:160], v[167:168], v[159:160]
	v_add_f64_e32 v[171:172], v[165:166], v[171:172]
	v_mul_f64_e32 v[12:13], v[4:5], v[12:13]
	ds_load_b128 v[165:168], v1 offset:1504
	v_fma_f64 v[163:164], v[163:164], v[6:7], v[173:174]
	v_fma_f64 v[161:162], v[161:162], v[6:7], -v[8:9]
	scratch_load_b128 v[6:9], off, off offset:784
	v_fma_f64 v[173:174], v[4:5], v[10:11], v[177:178]
	v_add_f64_e32 v[159:160], v[159:160], v[175:176]
	v_add_f64_e32 v[169:170], v[171:172], v[169:170]
	v_fma_f64 v[175:176], v[2:3], v[10:11], -v[12:13]
	ds_load_b128 v[2:5], v1 offset:1520
	s_wait_loadcnt_dscnt 0x801
	v_mul_f64_e32 v[171:172], v[165:166], v[16:17]
	v_mul_f64_e32 v[16:17], v[167:168], v[16:17]
	scratch_load_b128 v[10:13], off, off offset:800
	v_add_f64_e32 v[177:178], v[159:160], v[161:162]
	v_add_f64_e32 v[163:164], v[169:170], v[163:164]
	s_wait_loadcnt_dscnt 0x800
	v_mul_f64_e32 v[169:170], v[2:3], v[20:21]
	v_mul_f64_e32 v[20:21], v[4:5], v[20:21]
	v_fma_f64 v[167:168], v[167:168], v[14:15], v[171:172]
	v_fma_f64 v[165:166], v[165:166], v[14:15], -v[16:17]
	ds_load_b128 v[159:162], v1 offset:1536
	scratch_load_b128 v[14:17], off, off offset:816
	v_add_f64_e32 v[171:172], v[177:178], v[175:176]
	v_add_f64_e32 v[163:164], v[163:164], v[173:174]
	v_fma_f64 v[169:170], v[4:5], v[18:19], v[169:170]
	v_fma_f64 v[175:176], v[2:3], v[18:19], -v[20:21]
	ds_load_b128 v[2:5], v1 offset:1552
	s_wait_loadcnt_dscnt 0x801
	v_mul_f64_e32 v[173:174], v[159:160], v[24:25]
	v_mul_f64_e32 v[24:25], v[161:162], v[24:25]
	scratch_load_b128 v[18:21], off, off offset:832
	s_wait_loadcnt_dscnt 0x800
	v_mul_f64_e32 v[177:178], v[2:3], v[28:29]
	v_mul_f64_e32 v[28:29], v[4:5], v[28:29]
	v_add_f64_e32 v[171:172], v[171:172], v[165:166]
	v_add_f64_e32 v[167:168], v[163:164], v[167:168]
	ds_load_b128 v[163:166], v1 offset:1568
	v_fma_f64 v[161:162], v[161:162], v[22:23], v[173:174]
	v_fma_f64 v[159:160], v[159:160], v[22:23], -v[24:25]
	scratch_load_b128 v[22:25], off, off offset:848
	v_fma_f64 v[173:174], v[4:5], v[26:27], v[177:178]
	v_add_f64_e32 v[171:172], v[171:172], v[175:176]
	v_add_f64_e32 v[167:168], v[167:168], v[169:170]
	v_fma_f64 v[175:176], v[2:3], v[26:27], -v[28:29]
	ds_load_b128 v[2:5], v1 offset:1584
	s_wait_loadcnt_dscnt 0x801
	v_mul_f64_e32 v[169:170], v[163:164], v[32:33]
	v_mul_f64_e32 v[32:33], v[165:166], v[32:33]
	scratch_load_b128 v[26:29], off, off offset:864
	s_wait_loadcnt_dscnt 0x800
	v_mul_f64_e32 v[177:178], v[2:3], v[40:41]
	v_mul_f64_e32 v[40:41], v[4:5], v[40:41]
	v_add_f64_e32 v[171:172], v[171:172], v[159:160]
	v_add_f64_e32 v[167:168], v[167:168], v[161:162]
	ds_load_b128 v[159:162], v1 offset:1600
	v_fma_f64 v[165:166], v[165:166], v[30:31], v[169:170]
	v_fma_f64 v[30:31], v[163:164], v[30:31], -v[32:33]
	v_fma_f64 v[169:170], v[4:5], v[38:39], v[177:178]
	v_fma_f64 v[38:39], v[2:3], v[38:39], -v[40:41]
	v_add_f64_e32 v[32:33], v[171:172], v[175:176]
	v_add_f64_e32 v[163:164], v[167:168], v[173:174]
	s_wait_loadcnt_dscnt 0x700
	v_mul_f64_e32 v[167:168], v[159:160], v[157:158]
	v_mul_f64_e32 v[157:158], v[161:162], v[157:158]
	s_delay_alu instid0(VALU_DEP_4) | instskip(NEXT) | instid1(VALU_DEP_4)
	v_add_f64_e32 v[40:41], v[32:33], v[30:31]
	v_add_f64_e32 v[163:164], v[163:164], v[165:166]
	ds_load_b128 v[2:5], v1 offset:1616
	ds_load_b128 v[30:33], v1 offset:1632
	v_fma_f64 v[161:162], v[161:162], v[155:156], v[167:168]
	v_fma_f64 v[155:156], v[159:160], v[155:156], -v[157:158]
	s_wait_loadcnt_dscnt 0x601
	v_mul_f64_e32 v[165:166], v[2:3], v[36:37]
	v_mul_f64_e32 v[36:37], v[4:5], v[36:37]
	s_wait_loadcnt_dscnt 0x500
	v_mul_f64_e32 v[157:158], v[30:31], v[8:9]
	v_mul_f64_e32 v[8:9], v[32:33], v[8:9]
	v_add_f64_e32 v[38:39], v[40:41], v[38:39]
	v_add_f64_e32 v[40:41], v[163:164], v[169:170]
	v_fma_f64 v[159:160], v[4:5], v[34:35], v[165:166]
	v_fma_f64 v[163:164], v[2:3], v[34:35], -v[36:37]
	ds_load_b128 v[2:5], v1 offset:1648
	ds_load_b128 v[34:37], v1 offset:1664
	v_fma_f64 v[32:33], v[32:33], v[6:7], v[157:158]
	v_fma_f64 v[6:7], v[30:31], v[6:7], -v[8:9]
	v_add_f64_e32 v[38:39], v[38:39], v[155:156]
	v_add_f64_e32 v[40:41], v[40:41], v[161:162]
	s_wait_loadcnt_dscnt 0x401
	v_mul_f64_e32 v[155:156], v[2:3], v[12:13]
	v_mul_f64_e32 v[12:13], v[4:5], v[12:13]
	s_delay_alu instid0(VALU_DEP_4) | instskip(NEXT) | instid1(VALU_DEP_4)
	v_add_f64_e32 v[8:9], v[38:39], v[163:164]
	v_add_f64_e32 v[30:31], v[40:41], v[159:160]
	s_wait_loadcnt_dscnt 0x300
	v_mul_f64_e32 v[38:39], v[34:35], v[16:17]
	v_mul_f64_e32 v[16:17], v[36:37], v[16:17]
	v_fma_f64 v[40:41], v[4:5], v[10:11], v[155:156]
	v_fma_f64 v[10:11], v[2:3], v[10:11], -v[12:13]
	v_add_f64_e32 v[12:13], v[8:9], v[6:7]
	v_add_f64_e32 v[30:31], v[30:31], v[32:33]
	ds_load_b128 v[2:5], v1 offset:1680
	ds_load_b128 v[6:9], v1 offset:1696
	v_fma_f64 v[36:37], v[36:37], v[14:15], v[38:39]
	v_fma_f64 v[14:15], v[34:35], v[14:15], -v[16:17]
	s_wait_loadcnt_dscnt 0x201
	v_mul_f64_e32 v[32:33], v[2:3], v[20:21]
	v_mul_f64_e32 v[20:21], v[4:5], v[20:21]
	s_wait_loadcnt_dscnt 0x100
	v_mul_f64_e32 v[16:17], v[6:7], v[24:25]
	v_mul_f64_e32 v[24:25], v[8:9], v[24:25]
	v_add_f64_e32 v[10:11], v[12:13], v[10:11]
	v_add_f64_e32 v[12:13], v[30:31], v[40:41]
	v_fma_f64 v[30:31], v[4:5], v[18:19], v[32:33]
	v_fma_f64 v[18:19], v[2:3], v[18:19], -v[20:21]
	ds_load_b128 v[2:5], v1 offset:1712
	v_fma_f64 v[8:9], v[8:9], v[22:23], v[16:17]
	v_fma_f64 v[6:7], v[6:7], v[22:23], -v[24:25]
	v_add_f64_e32 v[10:11], v[10:11], v[14:15]
	v_add_f64_e32 v[12:13], v[12:13], v[36:37]
	s_wait_loadcnt_dscnt 0x0
	v_mul_f64_e32 v[14:15], v[2:3], v[28:29]
	v_mul_f64_e32 v[20:21], v[4:5], v[28:29]
	s_delay_alu instid0(VALU_DEP_4) | instskip(NEXT) | instid1(VALU_DEP_4)
	v_add_f64_e32 v[10:11], v[10:11], v[18:19]
	v_add_f64_e32 v[12:13], v[12:13], v[30:31]
	s_delay_alu instid0(VALU_DEP_4) | instskip(NEXT) | instid1(VALU_DEP_4)
	v_fma_f64 v[4:5], v[4:5], v[26:27], v[14:15]
	v_fma_f64 v[2:3], v[2:3], v[26:27], -v[20:21]
	s_delay_alu instid0(VALU_DEP_4) | instskip(NEXT) | instid1(VALU_DEP_4)
	v_add_f64_e32 v[6:7], v[10:11], v[6:7]
	v_add_f64_e32 v[8:9], v[12:13], v[8:9]
	s_delay_alu instid0(VALU_DEP_2) | instskip(NEXT) | instid1(VALU_DEP_2)
	v_add_f64_e32 v[2:3], v[6:7], v[2:3]
	v_add_f64_e32 v[4:5], v[8:9], v[4:5]
	s_delay_alu instid0(VALU_DEP_2) | instskip(NEXT) | instid1(VALU_DEP_2)
	v_add_f64_e64 v[2:3], v[42:43], -v[2:3]
	v_add_f64_e64 v[4:5], v[44:45], -v[4:5]
	scratch_store_b128 off, v[2:5], off offset:432
	v_cmpx_lt_u32_e32 25, v0
	s_cbranch_execz .LBB117_287
; %bb.286:
	scratch_load_b128 v[5:8], off, s42
	v_dual_mov_b32 v2, v1 :: v_dual_mov_b32 v3, v1
	v_mov_b32_e32 v4, v1
	scratch_store_b128 off, v[1:4], off offset:416
	s_wait_loadcnt 0x0
	ds_store_b128 v154, v[5:8]
.LBB117_287:
	s_wait_alu 0xfffe
	s_or_b32 exec_lo, exec_lo, s0
	s_wait_storecnt_dscnt 0x0
	s_barrier_signal -1
	s_barrier_wait -1
	global_inv scope:SCOPE_SE
	s_clause 0x8
	scratch_load_b128 v[2:5], off, off offset:432
	scratch_load_b128 v[6:9], off, off offset:448
	;; [unrolled: 1-line block ×9, first 2 shown]
	ds_load_b128 v[38:41], v1 offset:1280
	ds_load_b128 v[42:45], v1 offset:1296
	s_clause 0x1
	scratch_load_b128 v[155:158], off, off offset:416
	scratch_load_b128 v[159:162], off, off offset:576
	s_mov_b32 s0, exec_lo
	s_wait_loadcnt_dscnt 0xa01
	v_mul_f64_e32 v[163:164], v[40:41], v[4:5]
	v_mul_f64_e32 v[4:5], v[38:39], v[4:5]
	s_wait_loadcnt_dscnt 0x900
	v_mul_f64_e32 v[167:168], v[42:43], v[8:9]
	v_mul_f64_e32 v[8:9], v[44:45], v[8:9]
	s_delay_alu instid0(VALU_DEP_4) | instskip(NEXT) | instid1(VALU_DEP_4)
	v_fma_f64 v[169:170], v[38:39], v[2:3], -v[163:164]
	v_fma_f64 v[171:172], v[40:41], v[2:3], v[4:5]
	ds_load_b128 v[2:5], v1 offset:1312
	ds_load_b128 v[163:166], v1 offset:1328
	scratch_load_b128 v[38:41], off, off offset:592
	v_fma_f64 v[44:45], v[44:45], v[6:7], v[167:168]
	v_fma_f64 v[42:43], v[42:43], v[6:7], -v[8:9]
	scratch_load_b128 v[6:9], off, off offset:608
	s_wait_loadcnt_dscnt 0xa01
	v_mul_f64_e32 v[173:174], v[2:3], v[12:13]
	v_mul_f64_e32 v[12:13], v[4:5], v[12:13]
	v_add_f64_e32 v[167:168], 0, v[169:170]
	v_add_f64_e32 v[169:170], 0, v[171:172]
	s_wait_loadcnt_dscnt 0x900
	v_mul_f64_e32 v[171:172], v[163:164], v[16:17]
	v_mul_f64_e32 v[16:17], v[165:166], v[16:17]
	v_fma_f64 v[173:174], v[4:5], v[10:11], v[173:174]
	v_fma_f64 v[175:176], v[2:3], v[10:11], -v[12:13]
	ds_load_b128 v[2:5], v1 offset:1344
	scratch_load_b128 v[10:13], off, off offset:624
	v_add_f64_e32 v[167:168], v[167:168], v[42:43]
	v_add_f64_e32 v[169:170], v[169:170], v[44:45]
	ds_load_b128 v[42:45], v1 offset:1360
	v_fma_f64 v[165:166], v[165:166], v[14:15], v[171:172]
	v_fma_f64 v[163:164], v[163:164], v[14:15], -v[16:17]
	scratch_load_b128 v[14:17], off, off offset:640
	s_wait_loadcnt_dscnt 0xa01
	v_mul_f64_e32 v[177:178], v[2:3], v[20:21]
	v_mul_f64_e32 v[20:21], v[4:5], v[20:21]
	s_wait_loadcnt_dscnt 0x900
	v_mul_f64_e32 v[171:172], v[42:43], v[24:25]
	v_mul_f64_e32 v[24:25], v[44:45], v[24:25]
	v_add_f64_e32 v[167:168], v[167:168], v[175:176]
	v_add_f64_e32 v[169:170], v[169:170], v[173:174]
	v_fma_f64 v[173:174], v[4:5], v[18:19], v[177:178]
	v_fma_f64 v[175:176], v[2:3], v[18:19], -v[20:21]
	ds_load_b128 v[2:5], v1 offset:1376
	scratch_load_b128 v[18:21], off, off offset:656
	v_fma_f64 v[44:45], v[44:45], v[22:23], v[171:172]
	v_fma_f64 v[42:43], v[42:43], v[22:23], -v[24:25]
	scratch_load_b128 v[22:25], off, off offset:672
	v_add_f64_e32 v[167:168], v[167:168], v[163:164]
	v_add_f64_e32 v[169:170], v[169:170], v[165:166]
	ds_load_b128 v[163:166], v1 offset:1392
	s_wait_loadcnt_dscnt 0xa01
	v_mul_f64_e32 v[177:178], v[2:3], v[28:29]
	v_mul_f64_e32 v[28:29], v[4:5], v[28:29]
	s_wait_loadcnt_dscnt 0x900
	v_mul_f64_e32 v[171:172], v[163:164], v[32:33]
	v_mul_f64_e32 v[32:33], v[165:166], v[32:33]
	v_add_f64_e32 v[167:168], v[167:168], v[175:176]
	v_add_f64_e32 v[169:170], v[169:170], v[173:174]
	v_fma_f64 v[173:174], v[4:5], v[26:27], v[177:178]
	v_fma_f64 v[175:176], v[2:3], v[26:27], -v[28:29]
	ds_load_b128 v[2:5], v1 offset:1408
	scratch_load_b128 v[26:29], off, off offset:688
	v_fma_f64 v[165:166], v[165:166], v[30:31], v[171:172]
	v_fma_f64 v[163:164], v[163:164], v[30:31], -v[32:33]
	scratch_load_b128 v[30:33], off, off offset:704
	v_add_f64_e32 v[167:168], v[167:168], v[42:43]
	v_add_f64_e32 v[169:170], v[169:170], v[44:45]
	ds_load_b128 v[42:45], v1 offset:1424
	s_wait_loadcnt_dscnt 0xa01
	v_mul_f64_e32 v[177:178], v[2:3], v[36:37]
	v_mul_f64_e32 v[36:37], v[4:5], v[36:37]
	s_wait_loadcnt_dscnt 0x800
	v_mul_f64_e32 v[171:172], v[42:43], v[161:162]
	v_add_f64_e32 v[167:168], v[167:168], v[175:176]
	v_add_f64_e32 v[169:170], v[169:170], v[173:174]
	v_mul_f64_e32 v[173:174], v[44:45], v[161:162]
	v_fma_f64 v[175:176], v[4:5], v[34:35], v[177:178]
	v_fma_f64 v[177:178], v[2:3], v[34:35], -v[36:37]
	ds_load_b128 v[2:5], v1 offset:1440
	scratch_load_b128 v[34:37], off, off offset:720
	v_fma_f64 v[44:45], v[44:45], v[159:160], v[171:172]
	v_add_f64_e32 v[167:168], v[167:168], v[163:164]
	v_add_f64_e32 v[165:166], v[169:170], v[165:166]
	ds_load_b128 v[161:164], v1 offset:1456
	v_fma_f64 v[159:160], v[42:43], v[159:160], -v[173:174]
	s_wait_loadcnt_dscnt 0x801
	v_mul_f64_e32 v[169:170], v[2:3], v[40:41]
	v_mul_f64_e32 v[179:180], v[4:5], v[40:41]
	scratch_load_b128 v[40:43], off, off offset:736
	s_wait_loadcnt_dscnt 0x800
	v_mul_f64_e32 v[173:174], v[161:162], v[8:9]
	v_mul_f64_e32 v[8:9], v[163:164], v[8:9]
	v_add_f64_e32 v[167:168], v[167:168], v[177:178]
	v_add_f64_e32 v[165:166], v[165:166], v[175:176]
	v_fma_f64 v[175:176], v[4:5], v[38:39], v[169:170]
	v_fma_f64 v[38:39], v[2:3], v[38:39], -v[179:180]
	ds_load_b128 v[2:5], v1 offset:1472
	ds_load_b128 v[169:172], v1 offset:1488
	v_fma_f64 v[163:164], v[163:164], v[6:7], v[173:174]
	v_fma_f64 v[161:162], v[161:162], v[6:7], -v[8:9]
	scratch_load_b128 v[6:9], off, off offset:768
	v_add_f64_e32 v[159:160], v[167:168], v[159:160]
	v_add_f64_e32 v[44:45], v[165:166], v[44:45]
	scratch_load_b128 v[165:168], off, off offset:752
	s_wait_loadcnt_dscnt 0x901
	v_mul_f64_e32 v[177:178], v[2:3], v[12:13]
	v_mul_f64_e32 v[12:13], v[4:5], v[12:13]
	s_wait_loadcnt_dscnt 0x800
	v_mul_f64_e32 v[173:174], v[169:170], v[16:17]
	v_mul_f64_e32 v[16:17], v[171:172], v[16:17]
	v_add_f64_e32 v[38:39], v[159:160], v[38:39]
	v_add_f64_e32 v[44:45], v[44:45], v[175:176]
	v_fma_f64 v[175:176], v[4:5], v[10:11], v[177:178]
	v_fma_f64 v[177:178], v[2:3], v[10:11], -v[12:13]
	ds_load_b128 v[2:5], v1 offset:1504
	scratch_load_b128 v[10:13], off, off offset:784
	v_fma_f64 v[171:172], v[171:172], v[14:15], v[173:174]
	v_fma_f64 v[169:170], v[169:170], v[14:15], -v[16:17]
	scratch_load_b128 v[14:17], off, off offset:800
	v_add_f64_e32 v[38:39], v[38:39], v[161:162]
	v_add_f64_e32 v[44:45], v[44:45], v[163:164]
	ds_load_b128 v[159:162], v1 offset:1520
	s_wait_loadcnt_dscnt 0x901
	v_mul_f64_e32 v[163:164], v[2:3], v[20:21]
	v_mul_f64_e32 v[20:21], v[4:5], v[20:21]
	s_wait_loadcnt_dscnt 0x800
	v_mul_f64_e32 v[173:174], v[159:160], v[24:25]
	v_mul_f64_e32 v[24:25], v[161:162], v[24:25]
	v_add_f64_e32 v[38:39], v[38:39], v[177:178]
	v_add_f64_e32 v[44:45], v[44:45], v[175:176]
	v_fma_f64 v[163:164], v[4:5], v[18:19], v[163:164]
	v_fma_f64 v[175:176], v[2:3], v[18:19], -v[20:21]
	ds_load_b128 v[2:5], v1 offset:1536
	scratch_load_b128 v[18:21], off, off offset:816
	v_fma_f64 v[161:162], v[161:162], v[22:23], v[173:174]
	v_fma_f64 v[159:160], v[159:160], v[22:23], -v[24:25]
	scratch_load_b128 v[22:25], off, off offset:832
	v_add_f64_e32 v[38:39], v[38:39], v[169:170]
	v_add_f64_e32 v[44:45], v[44:45], v[171:172]
	ds_load_b128 v[169:172], v1 offset:1552
	s_wait_loadcnt_dscnt 0x901
	v_mul_f64_e32 v[177:178], v[2:3], v[28:29]
	v_mul_f64_e32 v[28:29], v[4:5], v[28:29]
	v_add_f64_e32 v[38:39], v[38:39], v[175:176]
	v_add_f64_e32 v[44:45], v[44:45], v[163:164]
	s_wait_loadcnt_dscnt 0x800
	v_mul_f64_e32 v[163:164], v[169:170], v[32:33]
	v_mul_f64_e32 v[32:33], v[171:172], v[32:33]
	v_fma_f64 v[173:174], v[4:5], v[26:27], v[177:178]
	v_fma_f64 v[175:176], v[2:3], v[26:27], -v[28:29]
	ds_load_b128 v[2:5], v1 offset:1568
	scratch_load_b128 v[26:29], off, off offset:848
	v_add_f64_e32 v[38:39], v[38:39], v[159:160]
	v_add_f64_e32 v[44:45], v[44:45], v[161:162]
	ds_load_b128 v[159:162], v1 offset:1584
	s_wait_loadcnt_dscnt 0x801
	v_mul_f64_e32 v[177:178], v[2:3], v[36:37]
	v_mul_f64_e32 v[36:37], v[4:5], v[36:37]
	v_fma_f64 v[163:164], v[171:172], v[30:31], v[163:164]
	v_fma_f64 v[169:170], v[169:170], v[30:31], -v[32:33]
	scratch_load_b128 v[30:33], off, off offset:864
	s_wait_loadcnt_dscnt 0x800
	v_mul_f64_e32 v[171:172], v[159:160], v[42:43]
	v_add_f64_e32 v[38:39], v[38:39], v[175:176]
	v_add_f64_e32 v[44:45], v[44:45], v[173:174]
	v_mul_f64_e32 v[42:43], v[161:162], v[42:43]
	v_fma_f64 v[173:174], v[4:5], v[34:35], v[177:178]
	v_fma_f64 v[175:176], v[2:3], v[34:35], -v[36:37]
	ds_load_b128 v[2:5], v1 offset:1600
	ds_load_b128 v[34:37], v1 offset:1616
	v_fma_f64 v[161:162], v[161:162], v[40:41], v[171:172]
	v_add_f64_e32 v[38:39], v[38:39], v[169:170]
	v_add_f64_e32 v[44:45], v[44:45], v[163:164]
	v_fma_f64 v[40:41], v[159:160], v[40:41], -v[42:43]
	s_wait_loadcnt_dscnt 0x601
	v_mul_f64_e32 v[163:164], v[2:3], v[167:168]
	v_mul_f64_e32 v[167:168], v[4:5], v[167:168]
	v_add_f64_e32 v[38:39], v[38:39], v[175:176]
	v_add_f64_e32 v[42:43], v[44:45], v[173:174]
	s_wait_dscnt 0x0
	v_mul_f64_e32 v[44:45], v[34:35], v[8:9]
	v_mul_f64_e32 v[8:9], v[36:37], v[8:9]
	v_fma_f64 v[159:160], v[4:5], v[165:166], v[163:164]
	v_fma_f64 v[163:164], v[2:3], v[165:166], -v[167:168]
	v_add_f64_e32 v[165:166], v[38:39], v[40:41]
	v_add_f64_e32 v[42:43], v[42:43], v[161:162]
	ds_load_b128 v[2:5], v1 offset:1632
	ds_load_b128 v[38:41], v1 offset:1648
	v_fma_f64 v[36:37], v[36:37], v[6:7], v[44:45]
	v_fma_f64 v[6:7], v[34:35], v[6:7], -v[8:9]
	s_wait_loadcnt_dscnt 0x501
	v_mul_f64_e32 v[161:162], v[2:3], v[12:13]
	v_mul_f64_e32 v[12:13], v[4:5], v[12:13]
	v_add_f64_e32 v[8:9], v[165:166], v[163:164]
	v_add_f64_e32 v[34:35], v[42:43], v[159:160]
	s_wait_loadcnt_dscnt 0x400
	v_mul_f64_e32 v[42:43], v[38:39], v[16:17]
	v_mul_f64_e32 v[16:17], v[40:41], v[16:17]
	v_fma_f64 v[44:45], v[4:5], v[10:11], v[161:162]
	v_fma_f64 v[10:11], v[2:3], v[10:11], -v[12:13]
	v_add_f64_e32 v[12:13], v[8:9], v[6:7]
	v_add_f64_e32 v[34:35], v[34:35], v[36:37]
	ds_load_b128 v[2:5], v1 offset:1664
	ds_load_b128 v[6:9], v1 offset:1680
	v_fma_f64 v[40:41], v[40:41], v[14:15], v[42:43]
	v_fma_f64 v[14:15], v[38:39], v[14:15], -v[16:17]
	s_wait_loadcnt_dscnt 0x301
	v_mul_f64_e32 v[36:37], v[2:3], v[20:21]
	v_mul_f64_e32 v[20:21], v[4:5], v[20:21]
	s_wait_loadcnt_dscnt 0x200
	v_mul_f64_e32 v[16:17], v[6:7], v[24:25]
	v_mul_f64_e32 v[24:25], v[8:9], v[24:25]
	v_add_f64_e32 v[10:11], v[12:13], v[10:11]
	v_add_f64_e32 v[12:13], v[34:35], v[44:45]
	v_fma_f64 v[34:35], v[4:5], v[18:19], v[36:37]
	v_fma_f64 v[18:19], v[2:3], v[18:19], -v[20:21]
	v_fma_f64 v[8:9], v[8:9], v[22:23], v[16:17]
	v_fma_f64 v[6:7], v[6:7], v[22:23], -v[24:25]
	v_add_f64_e32 v[14:15], v[10:11], v[14:15]
	v_add_f64_e32 v[20:21], v[12:13], v[40:41]
	ds_load_b128 v[2:5], v1 offset:1696
	ds_load_b128 v[10:13], v1 offset:1712
	s_wait_loadcnt_dscnt 0x101
	v_mul_f64_e32 v[36:37], v[2:3], v[28:29]
	v_mul_f64_e32 v[28:29], v[4:5], v[28:29]
	v_add_f64_e32 v[14:15], v[14:15], v[18:19]
	v_add_f64_e32 v[16:17], v[20:21], v[34:35]
	s_wait_loadcnt_dscnt 0x0
	v_mul_f64_e32 v[18:19], v[10:11], v[32:33]
	v_mul_f64_e32 v[20:21], v[12:13], v[32:33]
	v_fma_f64 v[4:5], v[4:5], v[26:27], v[36:37]
	v_fma_f64 v[1:2], v[2:3], v[26:27], -v[28:29]
	v_add_f64_e32 v[6:7], v[14:15], v[6:7]
	v_add_f64_e32 v[8:9], v[16:17], v[8:9]
	v_fma_f64 v[12:13], v[12:13], v[30:31], v[18:19]
	v_fma_f64 v[10:11], v[10:11], v[30:31], -v[20:21]
	s_delay_alu instid0(VALU_DEP_4) | instskip(NEXT) | instid1(VALU_DEP_4)
	v_add_f64_e32 v[1:2], v[6:7], v[1:2]
	v_add_f64_e32 v[3:4], v[8:9], v[4:5]
	s_delay_alu instid0(VALU_DEP_2) | instskip(NEXT) | instid1(VALU_DEP_2)
	v_add_f64_e32 v[1:2], v[1:2], v[10:11]
	v_add_f64_e32 v[3:4], v[3:4], v[12:13]
	s_delay_alu instid0(VALU_DEP_2) | instskip(NEXT) | instid1(VALU_DEP_2)
	v_add_f64_e64 v[1:2], v[155:156], -v[1:2]
	v_add_f64_e64 v[3:4], v[157:158], -v[3:4]
	scratch_store_b128 off, v[1:4], off offset:416
	v_cmpx_lt_u32_e32 24, v0
	s_cbranch_execz .LBB117_289
; %bb.288:
	scratch_load_b128 v[1:4], off, s43
	v_mov_b32_e32 v5, 0
	s_delay_alu instid0(VALU_DEP_1)
	v_dual_mov_b32 v6, v5 :: v_dual_mov_b32 v7, v5
	v_mov_b32_e32 v8, v5
	scratch_store_b128 off, v[5:8], off offset:400
	s_wait_loadcnt 0x0
	ds_store_b128 v154, v[1:4]
.LBB117_289:
	s_wait_alu 0xfffe
	s_or_b32 exec_lo, exec_lo, s0
	s_wait_storecnt_dscnt 0x0
	s_barrier_signal -1
	s_barrier_wait -1
	global_inv scope:SCOPE_SE
	s_clause 0x7
	scratch_load_b128 v[2:5], off, off offset:416
	scratch_load_b128 v[6:9], off, off offset:432
	;; [unrolled: 1-line block ×8, first 2 shown]
	v_mov_b32_e32 v1, 0
	s_mov_b32 s0, exec_lo
	ds_load_b128 v[34:37], v1 offset:1264
	s_clause 0x1
	scratch_load_b128 v[38:41], off, off offset:544
	scratch_load_b128 v[42:45], off, off offset:400
	ds_load_b128 v[155:158], v1 offset:1280
	scratch_load_b128 v[159:162], off, off offset:560
	s_wait_loadcnt_dscnt 0xa01
	v_mul_f64_e32 v[163:164], v[36:37], v[4:5]
	v_mul_f64_e32 v[4:5], v[34:35], v[4:5]
	s_delay_alu instid0(VALU_DEP_2) | instskip(NEXT) | instid1(VALU_DEP_2)
	v_fma_f64 v[169:170], v[34:35], v[2:3], -v[163:164]
	v_fma_f64 v[171:172], v[36:37], v[2:3], v[4:5]
	ds_load_b128 v[2:5], v1 offset:1296
	s_wait_loadcnt_dscnt 0x901
	v_mul_f64_e32 v[167:168], v[155:156], v[8:9]
	v_mul_f64_e32 v[8:9], v[157:158], v[8:9]
	scratch_load_b128 v[34:37], off, off offset:576
	ds_load_b128 v[163:166], v1 offset:1312
	s_wait_loadcnt_dscnt 0x901
	v_mul_f64_e32 v[173:174], v[2:3], v[12:13]
	v_mul_f64_e32 v[12:13], v[4:5], v[12:13]
	v_fma_f64 v[157:158], v[157:158], v[6:7], v[167:168]
	v_fma_f64 v[155:156], v[155:156], v[6:7], -v[8:9]
	v_add_f64_e32 v[167:168], 0, v[169:170]
	v_add_f64_e32 v[169:170], 0, v[171:172]
	scratch_load_b128 v[6:9], off, off offset:592
	v_fma_f64 v[173:174], v[4:5], v[10:11], v[173:174]
	v_fma_f64 v[175:176], v[2:3], v[10:11], -v[12:13]
	ds_load_b128 v[2:5], v1 offset:1328
	s_wait_loadcnt_dscnt 0x901
	v_mul_f64_e32 v[171:172], v[163:164], v[16:17]
	v_mul_f64_e32 v[16:17], v[165:166], v[16:17]
	scratch_load_b128 v[10:13], off, off offset:608
	v_add_f64_e32 v[167:168], v[167:168], v[155:156]
	v_add_f64_e32 v[169:170], v[169:170], v[157:158]
	s_wait_loadcnt_dscnt 0x900
	v_mul_f64_e32 v[177:178], v[2:3], v[20:21]
	v_mul_f64_e32 v[20:21], v[4:5], v[20:21]
	ds_load_b128 v[155:158], v1 offset:1344
	v_fma_f64 v[165:166], v[165:166], v[14:15], v[171:172]
	v_fma_f64 v[163:164], v[163:164], v[14:15], -v[16:17]
	scratch_load_b128 v[14:17], off, off offset:624
	v_add_f64_e32 v[167:168], v[167:168], v[175:176]
	v_add_f64_e32 v[169:170], v[169:170], v[173:174]
	v_fma_f64 v[173:174], v[4:5], v[18:19], v[177:178]
	v_fma_f64 v[175:176], v[2:3], v[18:19], -v[20:21]
	ds_load_b128 v[2:5], v1 offset:1360
	s_wait_loadcnt_dscnt 0x901
	v_mul_f64_e32 v[171:172], v[155:156], v[24:25]
	v_mul_f64_e32 v[24:25], v[157:158], v[24:25]
	scratch_load_b128 v[18:21], off, off offset:640
	s_wait_loadcnt_dscnt 0x900
	v_mul_f64_e32 v[177:178], v[2:3], v[28:29]
	v_mul_f64_e32 v[28:29], v[4:5], v[28:29]
	v_add_f64_e32 v[167:168], v[167:168], v[163:164]
	v_add_f64_e32 v[169:170], v[169:170], v[165:166]
	ds_load_b128 v[163:166], v1 offset:1376
	v_fma_f64 v[157:158], v[157:158], v[22:23], v[171:172]
	v_fma_f64 v[155:156], v[155:156], v[22:23], -v[24:25]
	scratch_load_b128 v[22:25], off, off offset:656
	v_add_f64_e32 v[167:168], v[167:168], v[175:176]
	v_add_f64_e32 v[169:170], v[169:170], v[173:174]
	v_fma_f64 v[173:174], v[4:5], v[26:27], v[177:178]
	v_fma_f64 v[175:176], v[2:3], v[26:27], -v[28:29]
	ds_load_b128 v[2:5], v1 offset:1392
	s_wait_loadcnt_dscnt 0x901
	v_mul_f64_e32 v[171:172], v[163:164], v[32:33]
	v_mul_f64_e32 v[32:33], v[165:166], v[32:33]
	scratch_load_b128 v[26:29], off, off offset:672
	s_wait_loadcnt_dscnt 0x900
	v_mul_f64_e32 v[177:178], v[2:3], v[40:41]
	v_mul_f64_e32 v[40:41], v[4:5], v[40:41]
	v_add_f64_e32 v[167:168], v[167:168], v[155:156]
	v_add_f64_e32 v[169:170], v[169:170], v[157:158]
	ds_load_b128 v[155:158], v1 offset:1408
	v_fma_f64 v[165:166], v[165:166], v[30:31], v[171:172]
	v_fma_f64 v[163:164], v[163:164], v[30:31], -v[32:33]
	scratch_load_b128 v[30:33], off, off offset:688
	v_add_f64_e32 v[167:168], v[167:168], v[175:176]
	v_add_f64_e32 v[169:170], v[169:170], v[173:174]
	v_fma_f64 v[175:176], v[4:5], v[38:39], v[177:178]
	v_fma_f64 v[177:178], v[2:3], v[38:39], -v[40:41]
	ds_load_b128 v[2:5], v1 offset:1424
	s_wait_loadcnt_dscnt 0x801
	v_mul_f64_e32 v[171:172], v[155:156], v[161:162]
	v_mul_f64_e32 v[173:174], v[157:158], v[161:162]
	scratch_load_b128 v[38:41], off, off offset:704
	v_add_f64_e32 v[167:168], v[167:168], v[163:164]
	v_add_f64_e32 v[165:166], v[169:170], v[165:166]
	ds_load_b128 v[161:164], v1 offset:1440
	v_fma_f64 v[171:172], v[157:158], v[159:160], v[171:172]
	v_fma_f64 v[159:160], v[155:156], v[159:160], -v[173:174]
	scratch_load_b128 v[155:158], off, off offset:720
	s_wait_loadcnt_dscnt 0x901
	v_mul_f64_e32 v[169:170], v[2:3], v[36:37]
	v_mul_f64_e32 v[36:37], v[4:5], v[36:37]
	v_add_f64_e32 v[167:168], v[167:168], v[177:178]
	v_add_f64_e32 v[165:166], v[165:166], v[175:176]
	s_delay_alu instid0(VALU_DEP_4) | instskip(NEXT) | instid1(VALU_DEP_4)
	v_fma_f64 v[169:170], v[4:5], v[34:35], v[169:170]
	v_fma_f64 v[175:176], v[2:3], v[34:35], -v[36:37]
	ds_load_b128 v[2:5], v1 offset:1456
	s_wait_loadcnt_dscnt 0x801
	v_mul_f64_e32 v[173:174], v[161:162], v[8:9]
	v_mul_f64_e32 v[8:9], v[163:164], v[8:9]
	scratch_load_b128 v[34:37], off, off offset:736
	s_wait_loadcnt_dscnt 0x800
	v_mul_f64_e32 v[177:178], v[2:3], v[12:13]
	v_add_f64_e32 v[159:160], v[167:168], v[159:160]
	v_add_f64_e32 v[171:172], v[165:166], v[171:172]
	v_mul_f64_e32 v[12:13], v[4:5], v[12:13]
	ds_load_b128 v[165:168], v1 offset:1472
	v_fma_f64 v[163:164], v[163:164], v[6:7], v[173:174]
	v_fma_f64 v[161:162], v[161:162], v[6:7], -v[8:9]
	scratch_load_b128 v[6:9], off, off offset:752
	v_fma_f64 v[173:174], v[4:5], v[10:11], v[177:178]
	v_add_f64_e32 v[159:160], v[159:160], v[175:176]
	v_add_f64_e32 v[169:170], v[171:172], v[169:170]
	v_fma_f64 v[175:176], v[2:3], v[10:11], -v[12:13]
	ds_load_b128 v[2:5], v1 offset:1488
	s_wait_loadcnt_dscnt 0x801
	v_mul_f64_e32 v[171:172], v[165:166], v[16:17]
	v_mul_f64_e32 v[16:17], v[167:168], v[16:17]
	scratch_load_b128 v[10:13], off, off offset:768
	v_add_f64_e32 v[177:178], v[159:160], v[161:162]
	v_add_f64_e32 v[163:164], v[169:170], v[163:164]
	s_wait_loadcnt_dscnt 0x800
	v_mul_f64_e32 v[169:170], v[2:3], v[20:21]
	v_mul_f64_e32 v[20:21], v[4:5], v[20:21]
	v_fma_f64 v[167:168], v[167:168], v[14:15], v[171:172]
	v_fma_f64 v[165:166], v[165:166], v[14:15], -v[16:17]
	ds_load_b128 v[159:162], v1 offset:1504
	scratch_load_b128 v[14:17], off, off offset:784
	v_add_f64_e32 v[171:172], v[177:178], v[175:176]
	v_add_f64_e32 v[163:164], v[163:164], v[173:174]
	v_fma_f64 v[169:170], v[4:5], v[18:19], v[169:170]
	v_fma_f64 v[175:176], v[2:3], v[18:19], -v[20:21]
	ds_load_b128 v[2:5], v1 offset:1520
	s_wait_loadcnt_dscnt 0x801
	v_mul_f64_e32 v[173:174], v[159:160], v[24:25]
	v_mul_f64_e32 v[24:25], v[161:162], v[24:25]
	scratch_load_b128 v[18:21], off, off offset:800
	s_wait_loadcnt_dscnt 0x800
	v_mul_f64_e32 v[177:178], v[2:3], v[28:29]
	v_mul_f64_e32 v[28:29], v[4:5], v[28:29]
	v_add_f64_e32 v[171:172], v[171:172], v[165:166]
	v_add_f64_e32 v[167:168], v[163:164], v[167:168]
	ds_load_b128 v[163:166], v1 offset:1536
	v_fma_f64 v[161:162], v[161:162], v[22:23], v[173:174]
	v_fma_f64 v[159:160], v[159:160], v[22:23], -v[24:25]
	scratch_load_b128 v[22:25], off, off offset:816
	v_fma_f64 v[173:174], v[4:5], v[26:27], v[177:178]
	v_add_f64_e32 v[171:172], v[171:172], v[175:176]
	v_add_f64_e32 v[167:168], v[167:168], v[169:170]
	v_fma_f64 v[175:176], v[2:3], v[26:27], -v[28:29]
	ds_load_b128 v[2:5], v1 offset:1552
	s_wait_loadcnt_dscnt 0x801
	v_mul_f64_e32 v[169:170], v[163:164], v[32:33]
	v_mul_f64_e32 v[32:33], v[165:166], v[32:33]
	scratch_load_b128 v[26:29], off, off offset:832
	s_wait_loadcnt_dscnt 0x800
	v_mul_f64_e32 v[177:178], v[2:3], v[40:41]
	v_mul_f64_e32 v[40:41], v[4:5], v[40:41]
	v_add_f64_e32 v[171:172], v[171:172], v[159:160]
	v_add_f64_e32 v[167:168], v[167:168], v[161:162]
	ds_load_b128 v[159:162], v1 offset:1568
	v_fma_f64 v[165:166], v[165:166], v[30:31], v[169:170]
	v_fma_f64 v[163:164], v[163:164], v[30:31], -v[32:33]
	scratch_load_b128 v[30:33], off, off offset:848
	v_add_f64_e32 v[169:170], v[171:172], v[175:176]
	v_add_f64_e32 v[167:168], v[167:168], v[173:174]
	v_fma_f64 v[173:174], v[4:5], v[38:39], v[177:178]
	v_fma_f64 v[175:176], v[2:3], v[38:39], -v[40:41]
	ds_load_b128 v[2:5], v1 offset:1584
	s_wait_loadcnt_dscnt 0x801
	v_mul_f64_e32 v[171:172], v[159:160], v[157:158]
	v_mul_f64_e32 v[157:158], v[161:162], v[157:158]
	scratch_load_b128 v[38:41], off, off offset:864
	s_wait_loadcnt_dscnt 0x800
	v_mul_f64_e32 v[177:178], v[2:3], v[36:37]
	v_mul_f64_e32 v[36:37], v[4:5], v[36:37]
	v_add_f64_e32 v[169:170], v[169:170], v[163:164]
	v_add_f64_e32 v[167:168], v[167:168], v[165:166]
	ds_load_b128 v[163:166], v1 offset:1600
	v_fma_f64 v[161:162], v[161:162], v[155:156], v[171:172]
	v_fma_f64 v[155:156], v[159:160], v[155:156], -v[157:158]
	v_fma_f64 v[171:172], v[2:3], v[34:35], -v[36:37]
	v_add_f64_e32 v[157:158], v[169:170], v[175:176]
	v_add_f64_e32 v[159:160], v[167:168], v[173:174]
	s_wait_loadcnt_dscnt 0x700
	v_mul_f64_e32 v[167:168], v[163:164], v[8:9]
	v_mul_f64_e32 v[8:9], v[165:166], v[8:9]
	v_fma_f64 v[169:170], v[4:5], v[34:35], v[177:178]
	ds_load_b128 v[2:5], v1 offset:1616
	ds_load_b128 v[34:37], v1 offset:1632
	v_add_f64_e32 v[155:156], v[157:158], v[155:156]
	v_add_f64_e32 v[157:158], v[159:160], v[161:162]
	s_wait_loadcnt_dscnt 0x601
	v_mul_f64_e32 v[159:160], v[2:3], v[12:13]
	v_mul_f64_e32 v[12:13], v[4:5], v[12:13]
	v_fma_f64 v[161:162], v[165:166], v[6:7], v[167:168]
	v_fma_f64 v[6:7], v[163:164], v[6:7], -v[8:9]
	v_add_f64_e32 v[8:9], v[155:156], v[171:172]
	v_add_f64_e32 v[155:156], v[157:158], v[169:170]
	s_wait_loadcnt_dscnt 0x500
	v_mul_f64_e32 v[157:158], v[34:35], v[16:17]
	v_mul_f64_e32 v[16:17], v[36:37], v[16:17]
	v_fma_f64 v[159:160], v[4:5], v[10:11], v[159:160]
	v_fma_f64 v[10:11], v[2:3], v[10:11], -v[12:13]
	v_add_f64_e32 v[12:13], v[8:9], v[6:7]
	v_add_f64_e32 v[155:156], v[155:156], v[161:162]
	ds_load_b128 v[2:5], v1 offset:1648
	ds_load_b128 v[6:9], v1 offset:1664
	v_fma_f64 v[36:37], v[36:37], v[14:15], v[157:158]
	v_fma_f64 v[14:15], v[34:35], v[14:15], -v[16:17]
	s_wait_loadcnt_dscnt 0x401
	v_mul_f64_e32 v[161:162], v[2:3], v[20:21]
	v_mul_f64_e32 v[20:21], v[4:5], v[20:21]
	s_wait_loadcnt_dscnt 0x300
	v_mul_f64_e32 v[16:17], v[6:7], v[24:25]
	v_mul_f64_e32 v[24:25], v[8:9], v[24:25]
	v_add_f64_e32 v[10:11], v[12:13], v[10:11]
	v_add_f64_e32 v[12:13], v[155:156], v[159:160]
	v_fma_f64 v[34:35], v[4:5], v[18:19], v[161:162]
	v_fma_f64 v[18:19], v[2:3], v[18:19], -v[20:21]
	v_fma_f64 v[8:9], v[8:9], v[22:23], v[16:17]
	v_fma_f64 v[6:7], v[6:7], v[22:23], -v[24:25]
	v_add_f64_e32 v[14:15], v[10:11], v[14:15]
	v_add_f64_e32 v[20:21], v[12:13], v[36:37]
	ds_load_b128 v[2:5], v1 offset:1680
	ds_load_b128 v[10:13], v1 offset:1696
	s_wait_loadcnt_dscnt 0x201
	v_mul_f64_e32 v[36:37], v[2:3], v[28:29]
	v_mul_f64_e32 v[28:29], v[4:5], v[28:29]
	v_add_f64_e32 v[14:15], v[14:15], v[18:19]
	v_add_f64_e32 v[16:17], v[20:21], v[34:35]
	s_wait_loadcnt_dscnt 0x100
	v_mul_f64_e32 v[18:19], v[10:11], v[32:33]
	v_mul_f64_e32 v[20:21], v[12:13], v[32:33]
	v_fma_f64 v[22:23], v[4:5], v[26:27], v[36:37]
	v_fma_f64 v[24:25], v[2:3], v[26:27], -v[28:29]
	ds_load_b128 v[2:5], v1 offset:1712
	v_add_f64_e32 v[6:7], v[14:15], v[6:7]
	v_add_f64_e32 v[8:9], v[16:17], v[8:9]
	v_fma_f64 v[12:13], v[12:13], v[30:31], v[18:19]
	v_fma_f64 v[10:11], v[10:11], v[30:31], -v[20:21]
	s_wait_loadcnt_dscnt 0x0
	v_mul_f64_e32 v[14:15], v[2:3], v[40:41]
	v_mul_f64_e32 v[16:17], v[4:5], v[40:41]
	v_add_f64_e32 v[6:7], v[6:7], v[24:25]
	v_add_f64_e32 v[8:9], v[8:9], v[22:23]
	s_delay_alu instid0(VALU_DEP_4) | instskip(NEXT) | instid1(VALU_DEP_4)
	v_fma_f64 v[4:5], v[4:5], v[38:39], v[14:15]
	v_fma_f64 v[2:3], v[2:3], v[38:39], -v[16:17]
	s_delay_alu instid0(VALU_DEP_4) | instskip(NEXT) | instid1(VALU_DEP_4)
	v_add_f64_e32 v[6:7], v[6:7], v[10:11]
	v_add_f64_e32 v[8:9], v[8:9], v[12:13]
	s_delay_alu instid0(VALU_DEP_2) | instskip(NEXT) | instid1(VALU_DEP_2)
	v_add_f64_e32 v[2:3], v[6:7], v[2:3]
	v_add_f64_e32 v[4:5], v[8:9], v[4:5]
	s_delay_alu instid0(VALU_DEP_2) | instskip(NEXT) | instid1(VALU_DEP_2)
	v_add_f64_e64 v[2:3], v[42:43], -v[2:3]
	v_add_f64_e64 v[4:5], v[44:45], -v[4:5]
	scratch_store_b128 off, v[2:5], off offset:400
	v_cmpx_lt_u32_e32 23, v0
	s_cbranch_execz .LBB117_291
; %bb.290:
	scratch_load_b128 v[5:8], off, s44
	v_dual_mov_b32 v2, v1 :: v_dual_mov_b32 v3, v1
	v_mov_b32_e32 v4, v1
	scratch_store_b128 off, v[1:4], off offset:384
	s_wait_loadcnt 0x0
	ds_store_b128 v154, v[5:8]
.LBB117_291:
	s_wait_alu 0xfffe
	s_or_b32 exec_lo, exec_lo, s0
	s_wait_storecnt_dscnt 0x0
	s_barrier_signal -1
	s_barrier_wait -1
	global_inv scope:SCOPE_SE
	s_clause 0x8
	scratch_load_b128 v[2:5], off, off offset:400
	scratch_load_b128 v[6:9], off, off offset:416
	scratch_load_b128 v[10:13], off, off offset:432
	scratch_load_b128 v[14:17], off, off offset:448
	scratch_load_b128 v[18:21], off, off offset:464
	scratch_load_b128 v[22:25], off, off offset:480
	scratch_load_b128 v[26:29], off, off offset:496
	scratch_load_b128 v[30:33], off, off offset:512
	scratch_load_b128 v[34:37], off, off offset:528
	ds_load_b128 v[38:41], v1 offset:1248
	ds_load_b128 v[42:45], v1 offset:1264
	s_clause 0x1
	scratch_load_b128 v[155:158], off, off offset:384
	scratch_load_b128 v[159:162], off, off offset:544
	s_mov_b32 s0, exec_lo
	s_wait_loadcnt_dscnt 0xa01
	v_mul_f64_e32 v[163:164], v[40:41], v[4:5]
	v_mul_f64_e32 v[4:5], v[38:39], v[4:5]
	s_wait_loadcnt_dscnt 0x900
	v_mul_f64_e32 v[167:168], v[42:43], v[8:9]
	v_mul_f64_e32 v[8:9], v[44:45], v[8:9]
	s_delay_alu instid0(VALU_DEP_4) | instskip(NEXT) | instid1(VALU_DEP_4)
	v_fma_f64 v[169:170], v[38:39], v[2:3], -v[163:164]
	v_fma_f64 v[171:172], v[40:41], v[2:3], v[4:5]
	ds_load_b128 v[2:5], v1 offset:1280
	ds_load_b128 v[163:166], v1 offset:1296
	scratch_load_b128 v[38:41], off, off offset:560
	v_fma_f64 v[44:45], v[44:45], v[6:7], v[167:168]
	v_fma_f64 v[42:43], v[42:43], v[6:7], -v[8:9]
	scratch_load_b128 v[6:9], off, off offset:576
	s_wait_loadcnt_dscnt 0xa01
	v_mul_f64_e32 v[173:174], v[2:3], v[12:13]
	v_mul_f64_e32 v[12:13], v[4:5], v[12:13]
	v_add_f64_e32 v[167:168], 0, v[169:170]
	v_add_f64_e32 v[169:170], 0, v[171:172]
	s_wait_loadcnt_dscnt 0x900
	v_mul_f64_e32 v[171:172], v[163:164], v[16:17]
	v_mul_f64_e32 v[16:17], v[165:166], v[16:17]
	v_fma_f64 v[173:174], v[4:5], v[10:11], v[173:174]
	v_fma_f64 v[175:176], v[2:3], v[10:11], -v[12:13]
	ds_load_b128 v[2:5], v1 offset:1312
	scratch_load_b128 v[10:13], off, off offset:592
	v_add_f64_e32 v[167:168], v[167:168], v[42:43]
	v_add_f64_e32 v[169:170], v[169:170], v[44:45]
	ds_load_b128 v[42:45], v1 offset:1328
	v_fma_f64 v[165:166], v[165:166], v[14:15], v[171:172]
	v_fma_f64 v[163:164], v[163:164], v[14:15], -v[16:17]
	scratch_load_b128 v[14:17], off, off offset:608
	s_wait_loadcnt_dscnt 0xa01
	v_mul_f64_e32 v[177:178], v[2:3], v[20:21]
	v_mul_f64_e32 v[20:21], v[4:5], v[20:21]
	s_wait_loadcnt_dscnt 0x900
	v_mul_f64_e32 v[171:172], v[42:43], v[24:25]
	v_mul_f64_e32 v[24:25], v[44:45], v[24:25]
	v_add_f64_e32 v[167:168], v[167:168], v[175:176]
	v_add_f64_e32 v[169:170], v[169:170], v[173:174]
	v_fma_f64 v[173:174], v[4:5], v[18:19], v[177:178]
	v_fma_f64 v[175:176], v[2:3], v[18:19], -v[20:21]
	ds_load_b128 v[2:5], v1 offset:1344
	scratch_load_b128 v[18:21], off, off offset:624
	v_fma_f64 v[44:45], v[44:45], v[22:23], v[171:172]
	v_fma_f64 v[42:43], v[42:43], v[22:23], -v[24:25]
	scratch_load_b128 v[22:25], off, off offset:640
	v_add_f64_e32 v[167:168], v[167:168], v[163:164]
	v_add_f64_e32 v[169:170], v[169:170], v[165:166]
	ds_load_b128 v[163:166], v1 offset:1360
	s_wait_loadcnt_dscnt 0xa01
	v_mul_f64_e32 v[177:178], v[2:3], v[28:29]
	v_mul_f64_e32 v[28:29], v[4:5], v[28:29]
	s_wait_loadcnt_dscnt 0x900
	v_mul_f64_e32 v[171:172], v[163:164], v[32:33]
	v_mul_f64_e32 v[32:33], v[165:166], v[32:33]
	v_add_f64_e32 v[167:168], v[167:168], v[175:176]
	v_add_f64_e32 v[169:170], v[169:170], v[173:174]
	v_fma_f64 v[173:174], v[4:5], v[26:27], v[177:178]
	v_fma_f64 v[175:176], v[2:3], v[26:27], -v[28:29]
	ds_load_b128 v[2:5], v1 offset:1376
	scratch_load_b128 v[26:29], off, off offset:656
	v_fma_f64 v[165:166], v[165:166], v[30:31], v[171:172]
	v_fma_f64 v[163:164], v[163:164], v[30:31], -v[32:33]
	scratch_load_b128 v[30:33], off, off offset:672
	v_add_f64_e32 v[167:168], v[167:168], v[42:43]
	v_add_f64_e32 v[169:170], v[169:170], v[44:45]
	ds_load_b128 v[42:45], v1 offset:1392
	s_wait_loadcnt_dscnt 0xa01
	v_mul_f64_e32 v[177:178], v[2:3], v[36:37]
	v_mul_f64_e32 v[36:37], v[4:5], v[36:37]
	s_wait_loadcnt_dscnt 0x800
	v_mul_f64_e32 v[171:172], v[42:43], v[161:162]
	v_add_f64_e32 v[167:168], v[167:168], v[175:176]
	v_add_f64_e32 v[169:170], v[169:170], v[173:174]
	v_mul_f64_e32 v[173:174], v[44:45], v[161:162]
	v_fma_f64 v[175:176], v[4:5], v[34:35], v[177:178]
	v_fma_f64 v[177:178], v[2:3], v[34:35], -v[36:37]
	ds_load_b128 v[2:5], v1 offset:1408
	scratch_load_b128 v[34:37], off, off offset:688
	v_fma_f64 v[44:45], v[44:45], v[159:160], v[171:172]
	v_add_f64_e32 v[167:168], v[167:168], v[163:164]
	v_add_f64_e32 v[165:166], v[169:170], v[165:166]
	ds_load_b128 v[161:164], v1 offset:1424
	v_fma_f64 v[159:160], v[42:43], v[159:160], -v[173:174]
	s_wait_loadcnt_dscnt 0x801
	v_mul_f64_e32 v[169:170], v[2:3], v[40:41]
	v_mul_f64_e32 v[179:180], v[4:5], v[40:41]
	scratch_load_b128 v[40:43], off, off offset:704
	s_wait_loadcnt_dscnt 0x800
	v_mul_f64_e32 v[173:174], v[161:162], v[8:9]
	v_mul_f64_e32 v[8:9], v[163:164], v[8:9]
	v_add_f64_e32 v[167:168], v[167:168], v[177:178]
	v_add_f64_e32 v[165:166], v[165:166], v[175:176]
	v_fma_f64 v[175:176], v[4:5], v[38:39], v[169:170]
	v_fma_f64 v[38:39], v[2:3], v[38:39], -v[179:180]
	ds_load_b128 v[2:5], v1 offset:1440
	ds_load_b128 v[169:172], v1 offset:1456
	v_fma_f64 v[163:164], v[163:164], v[6:7], v[173:174]
	v_fma_f64 v[161:162], v[161:162], v[6:7], -v[8:9]
	scratch_load_b128 v[6:9], off, off offset:736
	v_add_f64_e32 v[159:160], v[167:168], v[159:160]
	v_add_f64_e32 v[44:45], v[165:166], v[44:45]
	scratch_load_b128 v[165:168], off, off offset:720
	s_wait_loadcnt_dscnt 0x901
	v_mul_f64_e32 v[177:178], v[2:3], v[12:13]
	v_mul_f64_e32 v[12:13], v[4:5], v[12:13]
	s_wait_loadcnt_dscnt 0x800
	v_mul_f64_e32 v[173:174], v[169:170], v[16:17]
	v_mul_f64_e32 v[16:17], v[171:172], v[16:17]
	v_add_f64_e32 v[38:39], v[159:160], v[38:39]
	v_add_f64_e32 v[44:45], v[44:45], v[175:176]
	v_fma_f64 v[175:176], v[4:5], v[10:11], v[177:178]
	v_fma_f64 v[177:178], v[2:3], v[10:11], -v[12:13]
	ds_load_b128 v[2:5], v1 offset:1472
	scratch_load_b128 v[10:13], off, off offset:752
	v_fma_f64 v[171:172], v[171:172], v[14:15], v[173:174]
	v_fma_f64 v[169:170], v[169:170], v[14:15], -v[16:17]
	scratch_load_b128 v[14:17], off, off offset:768
	v_add_f64_e32 v[38:39], v[38:39], v[161:162]
	v_add_f64_e32 v[44:45], v[44:45], v[163:164]
	ds_load_b128 v[159:162], v1 offset:1488
	s_wait_loadcnt_dscnt 0x901
	v_mul_f64_e32 v[163:164], v[2:3], v[20:21]
	v_mul_f64_e32 v[20:21], v[4:5], v[20:21]
	s_wait_loadcnt_dscnt 0x800
	v_mul_f64_e32 v[173:174], v[159:160], v[24:25]
	v_mul_f64_e32 v[24:25], v[161:162], v[24:25]
	v_add_f64_e32 v[38:39], v[38:39], v[177:178]
	v_add_f64_e32 v[44:45], v[44:45], v[175:176]
	v_fma_f64 v[163:164], v[4:5], v[18:19], v[163:164]
	v_fma_f64 v[175:176], v[2:3], v[18:19], -v[20:21]
	ds_load_b128 v[2:5], v1 offset:1504
	scratch_load_b128 v[18:21], off, off offset:784
	v_fma_f64 v[161:162], v[161:162], v[22:23], v[173:174]
	v_fma_f64 v[159:160], v[159:160], v[22:23], -v[24:25]
	scratch_load_b128 v[22:25], off, off offset:800
	v_add_f64_e32 v[38:39], v[38:39], v[169:170]
	v_add_f64_e32 v[44:45], v[44:45], v[171:172]
	ds_load_b128 v[169:172], v1 offset:1520
	s_wait_loadcnt_dscnt 0x901
	v_mul_f64_e32 v[177:178], v[2:3], v[28:29]
	v_mul_f64_e32 v[28:29], v[4:5], v[28:29]
	v_add_f64_e32 v[38:39], v[38:39], v[175:176]
	v_add_f64_e32 v[44:45], v[44:45], v[163:164]
	s_wait_loadcnt_dscnt 0x800
	v_mul_f64_e32 v[163:164], v[169:170], v[32:33]
	v_mul_f64_e32 v[32:33], v[171:172], v[32:33]
	v_fma_f64 v[173:174], v[4:5], v[26:27], v[177:178]
	v_fma_f64 v[175:176], v[2:3], v[26:27], -v[28:29]
	ds_load_b128 v[2:5], v1 offset:1536
	scratch_load_b128 v[26:29], off, off offset:816
	v_add_f64_e32 v[38:39], v[38:39], v[159:160]
	v_add_f64_e32 v[44:45], v[44:45], v[161:162]
	ds_load_b128 v[159:162], v1 offset:1552
	s_wait_loadcnt_dscnt 0x801
	v_mul_f64_e32 v[177:178], v[2:3], v[36:37]
	v_mul_f64_e32 v[36:37], v[4:5], v[36:37]
	v_fma_f64 v[163:164], v[171:172], v[30:31], v[163:164]
	v_fma_f64 v[169:170], v[169:170], v[30:31], -v[32:33]
	scratch_load_b128 v[30:33], off, off offset:832
	s_wait_loadcnt_dscnt 0x800
	v_mul_f64_e32 v[171:172], v[159:160], v[42:43]
	v_add_f64_e32 v[38:39], v[38:39], v[175:176]
	v_add_f64_e32 v[44:45], v[44:45], v[173:174]
	v_mul_f64_e32 v[173:174], v[161:162], v[42:43]
	v_fma_f64 v[175:176], v[4:5], v[34:35], v[177:178]
	v_fma_f64 v[177:178], v[2:3], v[34:35], -v[36:37]
	ds_load_b128 v[2:5], v1 offset:1568
	scratch_load_b128 v[34:37], off, off offset:848
	v_fma_f64 v[161:162], v[161:162], v[40:41], v[171:172]
	v_add_f64_e32 v[38:39], v[38:39], v[169:170]
	v_add_f64_e32 v[163:164], v[44:45], v[163:164]
	ds_load_b128 v[42:45], v1 offset:1584
	v_fma_f64 v[159:160], v[159:160], v[40:41], -v[173:174]
	s_wait_loadcnt_dscnt 0x701
	v_mul_f64_e32 v[169:170], v[2:3], v[167:168]
	v_mul_f64_e32 v[167:168], v[4:5], v[167:168]
	s_wait_dscnt 0x0
	v_mul_f64_e32 v[173:174], v[42:43], v[8:9]
	v_mul_f64_e32 v[8:9], v[44:45], v[8:9]
	v_add_f64_e32 v[171:172], v[38:39], v[177:178]
	v_add_f64_e32 v[163:164], v[163:164], v[175:176]
	scratch_load_b128 v[38:41], off, off offset:864
	v_fma_f64 v[169:170], v[4:5], v[165:166], v[169:170]
	v_fma_f64 v[165:166], v[2:3], v[165:166], -v[167:168]
	v_fma_f64 v[44:45], v[44:45], v[6:7], v[173:174]
	v_fma_f64 v[6:7], v[42:43], v[6:7], -v[8:9]
	v_add_f64_e32 v[167:168], v[171:172], v[159:160]
	v_add_f64_e32 v[163:164], v[163:164], v[161:162]
	ds_load_b128 v[2:5], v1 offset:1600
	ds_load_b128 v[159:162], v1 offset:1616
	s_wait_loadcnt_dscnt 0x701
	v_mul_f64_e32 v[171:172], v[2:3], v[12:13]
	v_mul_f64_e32 v[12:13], v[4:5], v[12:13]
	v_add_f64_e32 v[8:9], v[167:168], v[165:166]
	v_add_f64_e32 v[42:43], v[163:164], v[169:170]
	s_wait_loadcnt_dscnt 0x600
	v_mul_f64_e32 v[163:164], v[159:160], v[16:17]
	v_mul_f64_e32 v[16:17], v[161:162], v[16:17]
	v_fma_f64 v[165:166], v[4:5], v[10:11], v[171:172]
	v_fma_f64 v[10:11], v[2:3], v[10:11], -v[12:13]
	v_add_f64_e32 v[12:13], v[8:9], v[6:7]
	v_add_f64_e32 v[42:43], v[42:43], v[44:45]
	ds_load_b128 v[2:5], v1 offset:1632
	ds_load_b128 v[6:9], v1 offset:1648
	v_fma_f64 v[161:162], v[161:162], v[14:15], v[163:164]
	v_fma_f64 v[14:15], v[159:160], v[14:15], -v[16:17]
	s_wait_loadcnt_dscnt 0x501
	v_mul_f64_e32 v[44:45], v[2:3], v[20:21]
	v_mul_f64_e32 v[20:21], v[4:5], v[20:21]
	s_wait_loadcnt_dscnt 0x400
	v_mul_f64_e32 v[16:17], v[6:7], v[24:25]
	v_mul_f64_e32 v[24:25], v[8:9], v[24:25]
	v_add_f64_e32 v[10:11], v[12:13], v[10:11]
	v_add_f64_e32 v[12:13], v[42:43], v[165:166]
	v_fma_f64 v[42:43], v[4:5], v[18:19], v[44:45]
	v_fma_f64 v[18:19], v[2:3], v[18:19], -v[20:21]
	v_fma_f64 v[8:9], v[8:9], v[22:23], v[16:17]
	v_fma_f64 v[6:7], v[6:7], v[22:23], -v[24:25]
	v_add_f64_e32 v[14:15], v[10:11], v[14:15]
	v_add_f64_e32 v[20:21], v[12:13], v[161:162]
	ds_load_b128 v[2:5], v1 offset:1664
	ds_load_b128 v[10:13], v1 offset:1680
	s_wait_loadcnt_dscnt 0x301
	v_mul_f64_e32 v[44:45], v[2:3], v[28:29]
	v_mul_f64_e32 v[28:29], v[4:5], v[28:29]
	v_add_f64_e32 v[14:15], v[14:15], v[18:19]
	v_add_f64_e32 v[16:17], v[20:21], v[42:43]
	s_wait_loadcnt_dscnt 0x200
	v_mul_f64_e32 v[18:19], v[10:11], v[32:33]
	v_mul_f64_e32 v[20:21], v[12:13], v[32:33]
	v_fma_f64 v[22:23], v[4:5], v[26:27], v[44:45]
	v_fma_f64 v[24:25], v[2:3], v[26:27], -v[28:29]
	v_add_f64_e32 v[14:15], v[14:15], v[6:7]
	v_add_f64_e32 v[16:17], v[16:17], v[8:9]
	ds_load_b128 v[2:5], v1 offset:1696
	ds_load_b128 v[6:9], v1 offset:1712
	v_fma_f64 v[12:13], v[12:13], v[30:31], v[18:19]
	v_fma_f64 v[10:11], v[10:11], v[30:31], -v[20:21]
	s_wait_loadcnt_dscnt 0x101
	v_mul_f64_e32 v[26:27], v[2:3], v[36:37]
	v_mul_f64_e32 v[28:29], v[4:5], v[36:37]
	v_add_f64_e32 v[14:15], v[14:15], v[24:25]
	v_add_f64_e32 v[16:17], v[16:17], v[22:23]
	s_wait_loadcnt_dscnt 0x0
	v_mul_f64_e32 v[18:19], v[6:7], v[40:41]
	v_mul_f64_e32 v[20:21], v[8:9], v[40:41]
	v_fma_f64 v[4:5], v[4:5], v[34:35], v[26:27]
	v_fma_f64 v[1:2], v[2:3], v[34:35], -v[28:29]
	v_add_f64_e32 v[10:11], v[14:15], v[10:11]
	v_add_f64_e32 v[12:13], v[16:17], v[12:13]
	v_fma_f64 v[8:9], v[8:9], v[38:39], v[18:19]
	v_fma_f64 v[6:7], v[6:7], v[38:39], -v[20:21]
	s_delay_alu instid0(VALU_DEP_4) | instskip(NEXT) | instid1(VALU_DEP_4)
	v_add_f64_e32 v[1:2], v[10:11], v[1:2]
	v_add_f64_e32 v[3:4], v[12:13], v[4:5]
	s_delay_alu instid0(VALU_DEP_2) | instskip(NEXT) | instid1(VALU_DEP_2)
	v_add_f64_e32 v[1:2], v[1:2], v[6:7]
	v_add_f64_e32 v[3:4], v[3:4], v[8:9]
	s_delay_alu instid0(VALU_DEP_2) | instskip(NEXT) | instid1(VALU_DEP_2)
	v_add_f64_e64 v[1:2], v[155:156], -v[1:2]
	v_add_f64_e64 v[3:4], v[157:158], -v[3:4]
	scratch_store_b128 off, v[1:4], off offset:384
	v_cmpx_lt_u32_e32 22, v0
	s_cbranch_execz .LBB117_293
; %bb.292:
	scratch_load_b128 v[1:4], off, s45
	v_mov_b32_e32 v5, 0
	s_delay_alu instid0(VALU_DEP_1)
	v_dual_mov_b32 v6, v5 :: v_dual_mov_b32 v7, v5
	v_mov_b32_e32 v8, v5
	scratch_store_b128 off, v[5:8], off offset:368
	s_wait_loadcnt 0x0
	ds_store_b128 v154, v[1:4]
.LBB117_293:
	s_wait_alu 0xfffe
	s_or_b32 exec_lo, exec_lo, s0
	s_wait_storecnt_dscnt 0x0
	s_barrier_signal -1
	s_barrier_wait -1
	global_inv scope:SCOPE_SE
	s_clause 0x7
	scratch_load_b128 v[2:5], off, off offset:384
	scratch_load_b128 v[6:9], off, off offset:400
	;; [unrolled: 1-line block ×8, first 2 shown]
	v_mov_b32_e32 v1, 0
	s_mov_b32 s0, exec_lo
	ds_load_b128 v[34:37], v1 offset:1232
	s_clause 0x1
	scratch_load_b128 v[38:41], off, off offset:512
	scratch_load_b128 v[42:45], off, off offset:368
	ds_load_b128 v[155:158], v1 offset:1248
	scratch_load_b128 v[159:162], off, off offset:528
	s_wait_loadcnt_dscnt 0xa01
	v_mul_f64_e32 v[163:164], v[36:37], v[4:5]
	v_mul_f64_e32 v[4:5], v[34:35], v[4:5]
	s_delay_alu instid0(VALU_DEP_2) | instskip(NEXT) | instid1(VALU_DEP_2)
	v_fma_f64 v[169:170], v[34:35], v[2:3], -v[163:164]
	v_fma_f64 v[171:172], v[36:37], v[2:3], v[4:5]
	ds_load_b128 v[2:5], v1 offset:1264
	s_wait_loadcnt_dscnt 0x901
	v_mul_f64_e32 v[167:168], v[155:156], v[8:9]
	v_mul_f64_e32 v[8:9], v[157:158], v[8:9]
	scratch_load_b128 v[34:37], off, off offset:544
	ds_load_b128 v[163:166], v1 offset:1280
	s_wait_loadcnt_dscnt 0x901
	v_mul_f64_e32 v[173:174], v[2:3], v[12:13]
	v_mul_f64_e32 v[12:13], v[4:5], v[12:13]
	v_fma_f64 v[157:158], v[157:158], v[6:7], v[167:168]
	v_fma_f64 v[155:156], v[155:156], v[6:7], -v[8:9]
	v_add_f64_e32 v[167:168], 0, v[169:170]
	v_add_f64_e32 v[169:170], 0, v[171:172]
	scratch_load_b128 v[6:9], off, off offset:560
	v_fma_f64 v[173:174], v[4:5], v[10:11], v[173:174]
	v_fma_f64 v[175:176], v[2:3], v[10:11], -v[12:13]
	ds_load_b128 v[2:5], v1 offset:1296
	s_wait_loadcnt_dscnt 0x901
	v_mul_f64_e32 v[171:172], v[163:164], v[16:17]
	v_mul_f64_e32 v[16:17], v[165:166], v[16:17]
	scratch_load_b128 v[10:13], off, off offset:576
	v_add_f64_e32 v[167:168], v[167:168], v[155:156]
	v_add_f64_e32 v[169:170], v[169:170], v[157:158]
	s_wait_loadcnt_dscnt 0x900
	v_mul_f64_e32 v[177:178], v[2:3], v[20:21]
	v_mul_f64_e32 v[20:21], v[4:5], v[20:21]
	ds_load_b128 v[155:158], v1 offset:1312
	v_fma_f64 v[165:166], v[165:166], v[14:15], v[171:172]
	v_fma_f64 v[163:164], v[163:164], v[14:15], -v[16:17]
	scratch_load_b128 v[14:17], off, off offset:592
	v_add_f64_e32 v[167:168], v[167:168], v[175:176]
	v_add_f64_e32 v[169:170], v[169:170], v[173:174]
	v_fma_f64 v[173:174], v[4:5], v[18:19], v[177:178]
	v_fma_f64 v[175:176], v[2:3], v[18:19], -v[20:21]
	ds_load_b128 v[2:5], v1 offset:1328
	s_wait_loadcnt_dscnt 0x901
	v_mul_f64_e32 v[171:172], v[155:156], v[24:25]
	v_mul_f64_e32 v[24:25], v[157:158], v[24:25]
	scratch_load_b128 v[18:21], off, off offset:608
	s_wait_loadcnt_dscnt 0x900
	v_mul_f64_e32 v[177:178], v[2:3], v[28:29]
	v_mul_f64_e32 v[28:29], v[4:5], v[28:29]
	v_add_f64_e32 v[167:168], v[167:168], v[163:164]
	v_add_f64_e32 v[169:170], v[169:170], v[165:166]
	ds_load_b128 v[163:166], v1 offset:1344
	v_fma_f64 v[157:158], v[157:158], v[22:23], v[171:172]
	v_fma_f64 v[155:156], v[155:156], v[22:23], -v[24:25]
	scratch_load_b128 v[22:25], off, off offset:624
	v_add_f64_e32 v[167:168], v[167:168], v[175:176]
	v_add_f64_e32 v[169:170], v[169:170], v[173:174]
	v_fma_f64 v[173:174], v[4:5], v[26:27], v[177:178]
	v_fma_f64 v[175:176], v[2:3], v[26:27], -v[28:29]
	ds_load_b128 v[2:5], v1 offset:1360
	s_wait_loadcnt_dscnt 0x901
	v_mul_f64_e32 v[171:172], v[163:164], v[32:33]
	v_mul_f64_e32 v[32:33], v[165:166], v[32:33]
	scratch_load_b128 v[26:29], off, off offset:640
	s_wait_loadcnt_dscnt 0x900
	v_mul_f64_e32 v[177:178], v[2:3], v[40:41]
	v_mul_f64_e32 v[40:41], v[4:5], v[40:41]
	v_add_f64_e32 v[167:168], v[167:168], v[155:156]
	v_add_f64_e32 v[169:170], v[169:170], v[157:158]
	ds_load_b128 v[155:158], v1 offset:1376
	v_fma_f64 v[165:166], v[165:166], v[30:31], v[171:172]
	v_fma_f64 v[163:164], v[163:164], v[30:31], -v[32:33]
	scratch_load_b128 v[30:33], off, off offset:656
	v_add_f64_e32 v[167:168], v[167:168], v[175:176]
	v_add_f64_e32 v[169:170], v[169:170], v[173:174]
	v_fma_f64 v[175:176], v[4:5], v[38:39], v[177:178]
	v_fma_f64 v[177:178], v[2:3], v[38:39], -v[40:41]
	ds_load_b128 v[2:5], v1 offset:1392
	s_wait_loadcnt_dscnt 0x801
	v_mul_f64_e32 v[171:172], v[155:156], v[161:162]
	v_mul_f64_e32 v[173:174], v[157:158], v[161:162]
	scratch_load_b128 v[38:41], off, off offset:672
	v_add_f64_e32 v[167:168], v[167:168], v[163:164]
	v_add_f64_e32 v[165:166], v[169:170], v[165:166]
	ds_load_b128 v[161:164], v1 offset:1408
	v_fma_f64 v[171:172], v[157:158], v[159:160], v[171:172]
	v_fma_f64 v[159:160], v[155:156], v[159:160], -v[173:174]
	scratch_load_b128 v[155:158], off, off offset:688
	s_wait_loadcnt_dscnt 0x901
	v_mul_f64_e32 v[169:170], v[2:3], v[36:37]
	v_mul_f64_e32 v[36:37], v[4:5], v[36:37]
	v_add_f64_e32 v[167:168], v[167:168], v[177:178]
	v_add_f64_e32 v[165:166], v[165:166], v[175:176]
	s_delay_alu instid0(VALU_DEP_4) | instskip(NEXT) | instid1(VALU_DEP_4)
	v_fma_f64 v[169:170], v[4:5], v[34:35], v[169:170]
	v_fma_f64 v[175:176], v[2:3], v[34:35], -v[36:37]
	ds_load_b128 v[2:5], v1 offset:1424
	s_wait_loadcnt_dscnt 0x801
	v_mul_f64_e32 v[173:174], v[161:162], v[8:9]
	v_mul_f64_e32 v[8:9], v[163:164], v[8:9]
	scratch_load_b128 v[34:37], off, off offset:704
	s_wait_loadcnt_dscnt 0x800
	v_mul_f64_e32 v[177:178], v[2:3], v[12:13]
	v_add_f64_e32 v[159:160], v[167:168], v[159:160]
	v_add_f64_e32 v[171:172], v[165:166], v[171:172]
	v_mul_f64_e32 v[12:13], v[4:5], v[12:13]
	ds_load_b128 v[165:168], v1 offset:1440
	v_fma_f64 v[163:164], v[163:164], v[6:7], v[173:174]
	v_fma_f64 v[161:162], v[161:162], v[6:7], -v[8:9]
	scratch_load_b128 v[6:9], off, off offset:720
	v_fma_f64 v[173:174], v[4:5], v[10:11], v[177:178]
	v_add_f64_e32 v[159:160], v[159:160], v[175:176]
	v_add_f64_e32 v[169:170], v[171:172], v[169:170]
	v_fma_f64 v[175:176], v[2:3], v[10:11], -v[12:13]
	ds_load_b128 v[2:5], v1 offset:1456
	s_wait_loadcnt_dscnt 0x801
	v_mul_f64_e32 v[171:172], v[165:166], v[16:17]
	v_mul_f64_e32 v[16:17], v[167:168], v[16:17]
	scratch_load_b128 v[10:13], off, off offset:736
	v_add_f64_e32 v[177:178], v[159:160], v[161:162]
	v_add_f64_e32 v[163:164], v[169:170], v[163:164]
	s_wait_loadcnt_dscnt 0x800
	v_mul_f64_e32 v[169:170], v[2:3], v[20:21]
	v_mul_f64_e32 v[20:21], v[4:5], v[20:21]
	v_fma_f64 v[167:168], v[167:168], v[14:15], v[171:172]
	v_fma_f64 v[165:166], v[165:166], v[14:15], -v[16:17]
	ds_load_b128 v[159:162], v1 offset:1472
	scratch_load_b128 v[14:17], off, off offset:752
	v_add_f64_e32 v[171:172], v[177:178], v[175:176]
	v_add_f64_e32 v[163:164], v[163:164], v[173:174]
	v_fma_f64 v[169:170], v[4:5], v[18:19], v[169:170]
	v_fma_f64 v[175:176], v[2:3], v[18:19], -v[20:21]
	ds_load_b128 v[2:5], v1 offset:1488
	s_wait_loadcnt_dscnt 0x801
	v_mul_f64_e32 v[173:174], v[159:160], v[24:25]
	v_mul_f64_e32 v[24:25], v[161:162], v[24:25]
	scratch_load_b128 v[18:21], off, off offset:768
	s_wait_loadcnt_dscnt 0x800
	v_mul_f64_e32 v[177:178], v[2:3], v[28:29]
	v_mul_f64_e32 v[28:29], v[4:5], v[28:29]
	v_add_f64_e32 v[171:172], v[171:172], v[165:166]
	v_add_f64_e32 v[167:168], v[163:164], v[167:168]
	ds_load_b128 v[163:166], v1 offset:1504
	v_fma_f64 v[161:162], v[161:162], v[22:23], v[173:174]
	v_fma_f64 v[159:160], v[159:160], v[22:23], -v[24:25]
	scratch_load_b128 v[22:25], off, off offset:784
	v_fma_f64 v[173:174], v[4:5], v[26:27], v[177:178]
	v_add_f64_e32 v[171:172], v[171:172], v[175:176]
	v_add_f64_e32 v[167:168], v[167:168], v[169:170]
	v_fma_f64 v[175:176], v[2:3], v[26:27], -v[28:29]
	ds_load_b128 v[2:5], v1 offset:1520
	s_wait_loadcnt_dscnt 0x801
	v_mul_f64_e32 v[169:170], v[163:164], v[32:33]
	v_mul_f64_e32 v[32:33], v[165:166], v[32:33]
	scratch_load_b128 v[26:29], off, off offset:800
	s_wait_loadcnt_dscnt 0x800
	v_mul_f64_e32 v[177:178], v[2:3], v[40:41]
	v_mul_f64_e32 v[40:41], v[4:5], v[40:41]
	v_add_f64_e32 v[171:172], v[171:172], v[159:160]
	v_add_f64_e32 v[167:168], v[167:168], v[161:162]
	ds_load_b128 v[159:162], v1 offset:1536
	v_fma_f64 v[165:166], v[165:166], v[30:31], v[169:170]
	v_fma_f64 v[163:164], v[163:164], v[30:31], -v[32:33]
	scratch_load_b128 v[30:33], off, off offset:816
	v_add_f64_e32 v[169:170], v[171:172], v[175:176]
	v_add_f64_e32 v[167:168], v[167:168], v[173:174]
	v_fma_f64 v[173:174], v[4:5], v[38:39], v[177:178]
	v_fma_f64 v[175:176], v[2:3], v[38:39], -v[40:41]
	ds_load_b128 v[2:5], v1 offset:1552
	s_wait_loadcnt_dscnt 0x801
	v_mul_f64_e32 v[171:172], v[159:160], v[157:158]
	v_mul_f64_e32 v[157:158], v[161:162], v[157:158]
	scratch_load_b128 v[38:41], off, off offset:832
	s_wait_loadcnt_dscnt 0x800
	v_mul_f64_e32 v[177:178], v[2:3], v[36:37]
	v_mul_f64_e32 v[36:37], v[4:5], v[36:37]
	v_add_f64_e32 v[169:170], v[169:170], v[163:164]
	v_add_f64_e32 v[167:168], v[167:168], v[165:166]
	ds_load_b128 v[163:166], v1 offset:1568
	v_fma_f64 v[161:162], v[161:162], v[155:156], v[171:172]
	v_fma_f64 v[159:160], v[159:160], v[155:156], -v[157:158]
	scratch_load_b128 v[155:158], off, off offset:848
	v_add_f64_e32 v[169:170], v[169:170], v[175:176]
	v_add_f64_e32 v[167:168], v[167:168], v[173:174]
	v_fma_f64 v[173:174], v[4:5], v[34:35], v[177:178]
	v_fma_f64 v[175:176], v[2:3], v[34:35], -v[36:37]
	ds_load_b128 v[2:5], v1 offset:1584
	s_wait_loadcnt_dscnt 0x801
	v_mul_f64_e32 v[171:172], v[163:164], v[8:9]
	v_mul_f64_e32 v[8:9], v[165:166], v[8:9]
	scratch_load_b128 v[34:37], off, off offset:864
	s_wait_loadcnt_dscnt 0x800
	v_mul_f64_e32 v[177:178], v[2:3], v[12:13]
	v_mul_f64_e32 v[12:13], v[4:5], v[12:13]
	v_add_f64_e32 v[169:170], v[169:170], v[159:160]
	v_add_f64_e32 v[167:168], v[167:168], v[161:162]
	ds_load_b128 v[159:162], v1 offset:1600
	v_fma_f64 v[165:166], v[165:166], v[6:7], v[171:172]
	v_fma_f64 v[6:7], v[163:164], v[6:7], -v[8:9]
	v_add_f64_e32 v[8:9], v[169:170], v[175:176]
	v_add_f64_e32 v[163:164], v[167:168], v[173:174]
	s_wait_loadcnt_dscnt 0x700
	v_mul_f64_e32 v[167:168], v[159:160], v[16:17]
	v_mul_f64_e32 v[16:17], v[161:162], v[16:17]
	v_fma_f64 v[169:170], v[4:5], v[10:11], v[177:178]
	v_fma_f64 v[10:11], v[2:3], v[10:11], -v[12:13]
	v_add_f64_e32 v[12:13], v[8:9], v[6:7]
	v_add_f64_e32 v[163:164], v[163:164], v[165:166]
	ds_load_b128 v[2:5], v1 offset:1616
	ds_load_b128 v[6:9], v1 offset:1632
	v_fma_f64 v[161:162], v[161:162], v[14:15], v[167:168]
	v_fma_f64 v[14:15], v[159:160], v[14:15], -v[16:17]
	s_wait_loadcnt_dscnt 0x601
	v_mul_f64_e32 v[165:166], v[2:3], v[20:21]
	v_mul_f64_e32 v[20:21], v[4:5], v[20:21]
	s_wait_loadcnt_dscnt 0x500
	v_mul_f64_e32 v[16:17], v[6:7], v[24:25]
	v_mul_f64_e32 v[24:25], v[8:9], v[24:25]
	v_add_f64_e32 v[10:11], v[12:13], v[10:11]
	v_add_f64_e32 v[12:13], v[163:164], v[169:170]
	v_fma_f64 v[159:160], v[4:5], v[18:19], v[165:166]
	v_fma_f64 v[18:19], v[2:3], v[18:19], -v[20:21]
	v_fma_f64 v[8:9], v[8:9], v[22:23], v[16:17]
	v_fma_f64 v[6:7], v[6:7], v[22:23], -v[24:25]
	v_add_f64_e32 v[14:15], v[10:11], v[14:15]
	v_add_f64_e32 v[20:21], v[12:13], v[161:162]
	ds_load_b128 v[2:5], v1 offset:1648
	ds_load_b128 v[10:13], v1 offset:1664
	s_wait_loadcnt_dscnt 0x401
	v_mul_f64_e32 v[161:162], v[2:3], v[28:29]
	v_mul_f64_e32 v[28:29], v[4:5], v[28:29]
	v_add_f64_e32 v[14:15], v[14:15], v[18:19]
	v_add_f64_e32 v[16:17], v[20:21], v[159:160]
	s_wait_loadcnt_dscnt 0x300
	v_mul_f64_e32 v[18:19], v[10:11], v[32:33]
	v_mul_f64_e32 v[20:21], v[12:13], v[32:33]
	v_fma_f64 v[22:23], v[4:5], v[26:27], v[161:162]
	v_fma_f64 v[24:25], v[2:3], v[26:27], -v[28:29]
	v_add_f64_e32 v[14:15], v[14:15], v[6:7]
	v_add_f64_e32 v[16:17], v[16:17], v[8:9]
	ds_load_b128 v[2:5], v1 offset:1680
	ds_load_b128 v[6:9], v1 offset:1696
	v_fma_f64 v[12:13], v[12:13], v[30:31], v[18:19]
	v_fma_f64 v[10:11], v[10:11], v[30:31], -v[20:21]
	s_wait_loadcnt_dscnt 0x201
	v_mul_f64_e32 v[26:27], v[2:3], v[40:41]
	v_mul_f64_e32 v[28:29], v[4:5], v[40:41]
	s_wait_loadcnt_dscnt 0x100
	v_mul_f64_e32 v[18:19], v[6:7], v[157:158]
	v_mul_f64_e32 v[20:21], v[8:9], v[157:158]
	v_add_f64_e32 v[14:15], v[14:15], v[24:25]
	v_add_f64_e32 v[16:17], v[16:17], v[22:23]
	v_fma_f64 v[22:23], v[4:5], v[38:39], v[26:27]
	v_fma_f64 v[24:25], v[2:3], v[38:39], -v[28:29]
	ds_load_b128 v[2:5], v1 offset:1712
	v_fma_f64 v[8:9], v[8:9], v[155:156], v[18:19]
	v_fma_f64 v[6:7], v[6:7], v[155:156], -v[20:21]
	v_add_f64_e32 v[10:11], v[14:15], v[10:11]
	v_add_f64_e32 v[12:13], v[16:17], v[12:13]
	s_wait_loadcnt_dscnt 0x0
	v_mul_f64_e32 v[14:15], v[2:3], v[36:37]
	v_mul_f64_e32 v[16:17], v[4:5], v[36:37]
	s_delay_alu instid0(VALU_DEP_4) | instskip(NEXT) | instid1(VALU_DEP_4)
	v_add_f64_e32 v[10:11], v[10:11], v[24:25]
	v_add_f64_e32 v[12:13], v[12:13], v[22:23]
	s_delay_alu instid0(VALU_DEP_4) | instskip(NEXT) | instid1(VALU_DEP_4)
	v_fma_f64 v[4:5], v[4:5], v[34:35], v[14:15]
	v_fma_f64 v[2:3], v[2:3], v[34:35], -v[16:17]
	s_delay_alu instid0(VALU_DEP_4) | instskip(NEXT) | instid1(VALU_DEP_4)
	v_add_f64_e32 v[6:7], v[10:11], v[6:7]
	v_add_f64_e32 v[8:9], v[12:13], v[8:9]
	s_delay_alu instid0(VALU_DEP_2) | instskip(NEXT) | instid1(VALU_DEP_2)
	v_add_f64_e32 v[2:3], v[6:7], v[2:3]
	v_add_f64_e32 v[4:5], v[8:9], v[4:5]
	s_delay_alu instid0(VALU_DEP_2) | instskip(NEXT) | instid1(VALU_DEP_2)
	v_add_f64_e64 v[2:3], v[42:43], -v[2:3]
	v_add_f64_e64 v[4:5], v[44:45], -v[4:5]
	scratch_store_b128 off, v[2:5], off offset:368
	v_cmpx_lt_u32_e32 21, v0
	s_cbranch_execz .LBB117_295
; %bb.294:
	scratch_load_b128 v[5:8], off, s46
	v_dual_mov_b32 v2, v1 :: v_dual_mov_b32 v3, v1
	v_mov_b32_e32 v4, v1
	scratch_store_b128 off, v[1:4], off offset:352
	s_wait_loadcnt 0x0
	ds_store_b128 v154, v[5:8]
.LBB117_295:
	s_wait_alu 0xfffe
	s_or_b32 exec_lo, exec_lo, s0
	s_wait_storecnt_dscnt 0x0
	s_barrier_signal -1
	s_barrier_wait -1
	global_inv scope:SCOPE_SE
	s_clause 0x8
	scratch_load_b128 v[2:5], off, off offset:368
	scratch_load_b128 v[6:9], off, off offset:384
	;; [unrolled: 1-line block ×9, first 2 shown]
	ds_load_b128 v[38:41], v1 offset:1216
	ds_load_b128 v[42:45], v1 offset:1232
	s_clause 0x1
	scratch_load_b128 v[155:158], off, off offset:352
	scratch_load_b128 v[159:162], off, off offset:512
	s_mov_b32 s0, exec_lo
	s_wait_loadcnt_dscnt 0xa01
	v_mul_f64_e32 v[163:164], v[40:41], v[4:5]
	v_mul_f64_e32 v[4:5], v[38:39], v[4:5]
	s_wait_loadcnt_dscnt 0x900
	v_mul_f64_e32 v[167:168], v[42:43], v[8:9]
	v_mul_f64_e32 v[8:9], v[44:45], v[8:9]
	s_delay_alu instid0(VALU_DEP_4) | instskip(NEXT) | instid1(VALU_DEP_4)
	v_fma_f64 v[169:170], v[38:39], v[2:3], -v[163:164]
	v_fma_f64 v[171:172], v[40:41], v[2:3], v[4:5]
	ds_load_b128 v[2:5], v1 offset:1248
	ds_load_b128 v[163:166], v1 offset:1264
	scratch_load_b128 v[38:41], off, off offset:528
	v_fma_f64 v[44:45], v[44:45], v[6:7], v[167:168]
	v_fma_f64 v[42:43], v[42:43], v[6:7], -v[8:9]
	scratch_load_b128 v[6:9], off, off offset:544
	s_wait_loadcnt_dscnt 0xa01
	v_mul_f64_e32 v[173:174], v[2:3], v[12:13]
	v_mul_f64_e32 v[12:13], v[4:5], v[12:13]
	v_add_f64_e32 v[167:168], 0, v[169:170]
	v_add_f64_e32 v[169:170], 0, v[171:172]
	s_wait_loadcnt_dscnt 0x900
	v_mul_f64_e32 v[171:172], v[163:164], v[16:17]
	v_mul_f64_e32 v[16:17], v[165:166], v[16:17]
	v_fma_f64 v[173:174], v[4:5], v[10:11], v[173:174]
	v_fma_f64 v[175:176], v[2:3], v[10:11], -v[12:13]
	ds_load_b128 v[2:5], v1 offset:1280
	scratch_load_b128 v[10:13], off, off offset:560
	v_add_f64_e32 v[167:168], v[167:168], v[42:43]
	v_add_f64_e32 v[169:170], v[169:170], v[44:45]
	ds_load_b128 v[42:45], v1 offset:1296
	v_fma_f64 v[165:166], v[165:166], v[14:15], v[171:172]
	v_fma_f64 v[163:164], v[163:164], v[14:15], -v[16:17]
	scratch_load_b128 v[14:17], off, off offset:576
	s_wait_loadcnt_dscnt 0xa01
	v_mul_f64_e32 v[177:178], v[2:3], v[20:21]
	v_mul_f64_e32 v[20:21], v[4:5], v[20:21]
	s_wait_loadcnt_dscnt 0x900
	v_mul_f64_e32 v[171:172], v[42:43], v[24:25]
	v_mul_f64_e32 v[24:25], v[44:45], v[24:25]
	v_add_f64_e32 v[167:168], v[167:168], v[175:176]
	v_add_f64_e32 v[169:170], v[169:170], v[173:174]
	v_fma_f64 v[173:174], v[4:5], v[18:19], v[177:178]
	v_fma_f64 v[175:176], v[2:3], v[18:19], -v[20:21]
	ds_load_b128 v[2:5], v1 offset:1312
	scratch_load_b128 v[18:21], off, off offset:592
	v_fma_f64 v[44:45], v[44:45], v[22:23], v[171:172]
	v_fma_f64 v[42:43], v[42:43], v[22:23], -v[24:25]
	scratch_load_b128 v[22:25], off, off offset:608
	v_add_f64_e32 v[167:168], v[167:168], v[163:164]
	v_add_f64_e32 v[169:170], v[169:170], v[165:166]
	ds_load_b128 v[163:166], v1 offset:1328
	s_wait_loadcnt_dscnt 0xa01
	v_mul_f64_e32 v[177:178], v[2:3], v[28:29]
	v_mul_f64_e32 v[28:29], v[4:5], v[28:29]
	s_wait_loadcnt_dscnt 0x900
	v_mul_f64_e32 v[171:172], v[163:164], v[32:33]
	v_mul_f64_e32 v[32:33], v[165:166], v[32:33]
	v_add_f64_e32 v[167:168], v[167:168], v[175:176]
	v_add_f64_e32 v[169:170], v[169:170], v[173:174]
	v_fma_f64 v[173:174], v[4:5], v[26:27], v[177:178]
	v_fma_f64 v[175:176], v[2:3], v[26:27], -v[28:29]
	ds_load_b128 v[2:5], v1 offset:1344
	scratch_load_b128 v[26:29], off, off offset:624
	v_fma_f64 v[165:166], v[165:166], v[30:31], v[171:172]
	v_fma_f64 v[163:164], v[163:164], v[30:31], -v[32:33]
	scratch_load_b128 v[30:33], off, off offset:640
	v_add_f64_e32 v[167:168], v[167:168], v[42:43]
	v_add_f64_e32 v[169:170], v[169:170], v[44:45]
	ds_load_b128 v[42:45], v1 offset:1360
	s_wait_loadcnt_dscnt 0xa01
	v_mul_f64_e32 v[177:178], v[2:3], v[36:37]
	v_mul_f64_e32 v[36:37], v[4:5], v[36:37]
	s_wait_loadcnt_dscnt 0x800
	v_mul_f64_e32 v[171:172], v[42:43], v[161:162]
	v_add_f64_e32 v[167:168], v[167:168], v[175:176]
	v_add_f64_e32 v[169:170], v[169:170], v[173:174]
	v_mul_f64_e32 v[173:174], v[44:45], v[161:162]
	v_fma_f64 v[175:176], v[4:5], v[34:35], v[177:178]
	v_fma_f64 v[177:178], v[2:3], v[34:35], -v[36:37]
	ds_load_b128 v[2:5], v1 offset:1376
	scratch_load_b128 v[34:37], off, off offset:656
	v_fma_f64 v[44:45], v[44:45], v[159:160], v[171:172]
	v_add_f64_e32 v[167:168], v[167:168], v[163:164]
	v_add_f64_e32 v[165:166], v[169:170], v[165:166]
	ds_load_b128 v[161:164], v1 offset:1392
	v_fma_f64 v[159:160], v[42:43], v[159:160], -v[173:174]
	s_wait_loadcnt_dscnt 0x801
	v_mul_f64_e32 v[169:170], v[2:3], v[40:41]
	v_mul_f64_e32 v[179:180], v[4:5], v[40:41]
	scratch_load_b128 v[40:43], off, off offset:672
	s_wait_loadcnt_dscnt 0x800
	v_mul_f64_e32 v[173:174], v[161:162], v[8:9]
	v_mul_f64_e32 v[8:9], v[163:164], v[8:9]
	v_add_f64_e32 v[167:168], v[167:168], v[177:178]
	v_add_f64_e32 v[165:166], v[165:166], v[175:176]
	v_fma_f64 v[175:176], v[4:5], v[38:39], v[169:170]
	v_fma_f64 v[38:39], v[2:3], v[38:39], -v[179:180]
	ds_load_b128 v[2:5], v1 offset:1408
	ds_load_b128 v[169:172], v1 offset:1424
	v_fma_f64 v[163:164], v[163:164], v[6:7], v[173:174]
	v_fma_f64 v[161:162], v[161:162], v[6:7], -v[8:9]
	scratch_load_b128 v[6:9], off, off offset:704
	v_add_f64_e32 v[159:160], v[167:168], v[159:160]
	v_add_f64_e32 v[44:45], v[165:166], v[44:45]
	scratch_load_b128 v[165:168], off, off offset:688
	s_wait_loadcnt_dscnt 0x901
	v_mul_f64_e32 v[177:178], v[2:3], v[12:13]
	v_mul_f64_e32 v[12:13], v[4:5], v[12:13]
	s_wait_loadcnt_dscnt 0x800
	v_mul_f64_e32 v[173:174], v[169:170], v[16:17]
	v_mul_f64_e32 v[16:17], v[171:172], v[16:17]
	v_add_f64_e32 v[38:39], v[159:160], v[38:39]
	v_add_f64_e32 v[44:45], v[44:45], v[175:176]
	v_fma_f64 v[175:176], v[4:5], v[10:11], v[177:178]
	v_fma_f64 v[177:178], v[2:3], v[10:11], -v[12:13]
	ds_load_b128 v[2:5], v1 offset:1440
	scratch_load_b128 v[10:13], off, off offset:720
	v_fma_f64 v[171:172], v[171:172], v[14:15], v[173:174]
	v_fma_f64 v[169:170], v[169:170], v[14:15], -v[16:17]
	scratch_load_b128 v[14:17], off, off offset:736
	v_add_f64_e32 v[38:39], v[38:39], v[161:162]
	v_add_f64_e32 v[44:45], v[44:45], v[163:164]
	ds_load_b128 v[159:162], v1 offset:1456
	s_wait_loadcnt_dscnt 0x901
	v_mul_f64_e32 v[163:164], v[2:3], v[20:21]
	v_mul_f64_e32 v[20:21], v[4:5], v[20:21]
	s_wait_loadcnt_dscnt 0x800
	v_mul_f64_e32 v[173:174], v[159:160], v[24:25]
	v_mul_f64_e32 v[24:25], v[161:162], v[24:25]
	v_add_f64_e32 v[38:39], v[38:39], v[177:178]
	v_add_f64_e32 v[44:45], v[44:45], v[175:176]
	v_fma_f64 v[163:164], v[4:5], v[18:19], v[163:164]
	v_fma_f64 v[175:176], v[2:3], v[18:19], -v[20:21]
	ds_load_b128 v[2:5], v1 offset:1472
	scratch_load_b128 v[18:21], off, off offset:752
	v_fma_f64 v[161:162], v[161:162], v[22:23], v[173:174]
	v_fma_f64 v[159:160], v[159:160], v[22:23], -v[24:25]
	scratch_load_b128 v[22:25], off, off offset:768
	v_add_f64_e32 v[38:39], v[38:39], v[169:170]
	v_add_f64_e32 v[44:45], v[44:45], v[171:172]
	ds_load_b128 v[169:172], v1 offset:1488
	s_wait_loadcnt_dscnt 0x901
	v_mul_f64_e32 v[177:178], v[2:3], v[28:29]
	v_mul_f64_e32 v[28:29], v[4:5], v[28:29]
	v_add_f64_e32 v[38:39], v[38:39], v[175:176]
	v_add_f64_e32 v[44:45], v[44:45], v[163:164]
	s_wait_loadcnt_dscnt 0x800
	v_mul_f64_e32 v[163:164], v[169:170], v[32:33]
	v_mul_f64_e32 v[32:33], v[171:172], v[32:33]
	v_fma_f64 v[173:174], v[4:5], v[26:27], v[177:178]
	v_fma_f64 v[175:176], v[2:3], v[26:27], -v[28:29]
	ds_load_b128 v[2:5], v1 offset:1504
	scratch_load_b128 v[26:29], off, off offset:784
	v_add_f64_e32 v[38:39], v[38:39], v[159:160]
	v_add_f64_e32 v[44:45], v[44:45], v[161:162]
	ds_load_b128 v[159:162], v1 offset:1520
	s_wait_loadcnt_dscnt 0x801
	v_mul_f64_e32 v[177:178], v[2:3], v[36:37]
	v_mul_f64_e32 v[36:37], v[4:5], v[36:37]
	v_fma_f64 v[163:164], v[171:172], v[30:31], v[163:164]
	v_fma_f64 v[169:170], v[169:170], v[30:31], -v[32:33]
	scratch_load_b128 v[30:33], off, off offset:800
	s_wait_loadcnt_dscnt 0x800
	v_mul_f64_e32 v[171:172], v[159:160], v[42:43]
	v_add_f64_e32 v[38:39], v[38:39], v[175:176]
	v_add_f64_e32 v[44:45], v[44:45], v[173:174]
	v_mul_f64_e32 v[173:174], v[161:162], v[42:43]
	v_fma_f64 v[175:176], v[4:5], v[34:35], v[177:178]
	v_fma_f64 v[177:178], v[2:3], v[34:35], -v[36:37]
	ds_load_b128 v[2:5], v1 offset:1536
	scratch_load_b128 v[34:37], off, off offset:816
	v_fma_f64 v[161:162], v[161:162], v[40:41], v[171:172]
	v_add_f64_e32 v[38:39], v[38:39], v[169:170]
	v_add_f64_e32 v[163:164], v[44:45], v[163:164]
	ds_load_b128 v[42:45], v1 offset:1552
	v_fma_f64 v[159:160], v[159:160], v[40:41], -v[173:174]
	s_wait_loadcnt_dscnt 0x701
	v_mul_f64_e32 v[169:170], v[2:3], v[167:168]
	v_mul_f64_e32 v[167:168], v[4:5], v[167:168]
	s_wait_dscnt 0x0
	v_mul_f64_e32 v[173:174], v[42:43], v[8:9]
	v_mul_f64_e32 v[8:9], v[44:45], v[8:9]
	v_add_f64_e32 v[171:172], v[38:39], v[177:178]
	v_add_f64_e32 v[163:164], v[163:164], v[175:176]
	scratch_load_b128 v[38:41], off, off offset:832
	v_fma_f64 v[169:170], v[4:5], v[165:166], v[169:170]
	v_fma_f64 v[167:168], v[2:3], v[165:166], -v[167:168]
	ds_load_b128 v[2:5], v1 offset:1568
	v_fma_f64 v[44:45], v[44:45], v[6:7], v[173:174]
	v_fma_f64 v[42:43], v[42:43], v[6:7], -v[8:9]
	scratch_load_b128 v[6:9], off, off offset:864
	v_add_f64_e32 v[171:172], v[171:172], v[159:160]
	v_add_f64_e32 v[175:176], v[163:164], v[161:162]
	scratch_load_b128 v[159:162], off, off offset:848
	ds_load_b128 v[163:166], v1 offset:1584
	s_wait_loadcnt_dscnt 0x901
	v_mul_f64_e32 v[177:178], v[2:3], v[12:13]
	v_mul_f64_e32 v[12:13], v[4:5], v[12:13]
	v_add_f64_e32 v[167:168], v[171:172], v[167:168]
	v_add_f64_e32 v[169:170], v[175:176], v[169:170]
	s_wait_loadcnt_dscnt 0x800
	v_mul_f64_e32 v[171:172], v[163:164], v[16:17]
	v_mul_f64_e32 v[16:17], v[165:166], v[16:17]
	v_fma_f64 v[173:174], v[4:5], v[10:11], v[177:178]
	v_fma_f64 v[175:176], v[2:3], v[10:11], -v[12:13]
	ds_load_b128 v[2:5], v1 offset:1600
	ds_load_b128 v[10:13], v1 offset:1616
	v_add_f64_e32 v[42:43], v[167:168], v[42:43]
	v_add_f64_e32 v[44:45], v[169:170], v[44:45]
	s_wait_loadcnt_dscnt 0x701
	v_mul_f64_e32 v[167:168], v[2:3], v[20:21]
	v_mul_f64_e32 v[20:21], v[4:5], v[20:21]
	v_fma_f64 v[165:166], v[165:166], v[14:15], v[171:172]
	v_fma_f64 v[14:15], v[163:164], v[14:15], -v[16:17]
	v_add_f64_e32 v[16:17], v[42:43], v[175:176]
	v_add_f64_e32 v[42:43], v[44:45], v[173:174]
	s_wait_loadcnt_dscnt 0x600
	v_mul_f64_e32 v[44:45], v[10:11], v[24:25]
	v_mul_f64_e32 v[24:25], v[12:13], v[24:25]
	v_fma_f64 v[163:164], v[4:5], v[18:19], v[167:168]
	v_fma_f64 v[18:19], v[2:3], v[18:19], -v[20:21]
	v_add_f64_e32 v[20:21], v[16:17], v[14:15]
	v_add_f64_e32 v[42:43], v[42:43], v[165:166]
	ds_load_b128 v[2:5], v1 offset:1632
	ds_load_b128 v[14:17], v1 offset:1648
	v_fma_f64 v[12:13], v[12:13], v[22:23], v[44:45]
	v_fma_f64 v[10:11], v[10:11], v[22:23], -v[24:25]
	s_wait_loadcnt_dscnt 0x501
	v_mul_f64_e32 v[165:166], v[2:3], v[28:29]
	v_mul_f64_e32 v[28:29], v[4:5], v[28:29]
	s_wait_loadcnt_dscnt 0x400
	v_mul_f64_e32 v[22:23], v[14:15], v[32:33]
	v_mul_f64_e32 v[24:25], v[16:17], v[32:33]
	v_add_f64_e32 v[18:19], v[20:21], v[18:19]
	v_add_f64_e32 v[20:21], v[42:43], v[163:164]
	v_fma_f64 v[32:33], v[4:5], v[26:27], v[165:166]
	v_fma_f64 v[26:27], v[2:3], v[26:27], -v[28:29]
	v_fma_f64 v[16:17], v[16:17], v[30:31], v[22:23]
	v_fma_f64 v[14:15], v[14:15], v[30:31], -v[24:25]
	v_add_f64_e32 v[18:19], v[18:19], v[10:11]
	v_add_f64_e32 v[20:21], v[20:21], v[12:13]
	ds_load_b128 v[2:5], v1 offset:1664
	ds_load_b128 v[10:13], v1 offset:1680
	s_wait_loadcnt_dscnt 0x301
	v_mul_f64_e32 v[28:29], v[2:3], v[36:37]
	v_mul_f64_e32 v[36:37], v[4:5], v[36:37]
	v_add_f64_e32 v[18:19], v[18:19], v[26:27]
	v_add_f64_e32 v[20:21], v[20:21], v[32:33]
	s_wait_loadcnt_dscnt 0x200
	v_mul_f64_e32 v[22:23], v[10:11], v[40:41]
	v_mul_f64_e32 v[24:25], v[12:13], v[40:41]
	v_fma_f64 v[26:27], v[4:5], v[34:35], v[28:29]
	v_fma_f64 v[28:29], v[2:3], v[34:35], -v[36:37]
	v_add_f64_e32 v[18:19], v[18:19], v[14:15]
	v_add_f64_e32 v[20:21], v[20:21], v[16:17]
	ds_load_b128 v[2:5], v1 offset:1696
	ds_load_b128 v[14:17], v1 offset:1712
	v_fma_f64 v[12:13], v[12:13], v[38:39], v[22:23]
	v_fma_f64 v[10:11], v[10:11], v[38:39], -v[24:25]
	s_wait_loadcnt_dscnt 0x1
	v_mul_f64_e32 v[30:31], v[2:3], v[161:162]
	v_mul_f64_e32 v[32:33], v[4:5], v[161:162]
	s_wait_dscnt 0x0
	v_mul_f64_e32 v[22:23], v[14:15], v[8:9]
	v_mul_f64_e32 v[8:9], v[16:17], v[8:9]
	v_add_f64_e32 v[18:19], v[18:19], v[28:29]
	v_add_f64_e32 v[20:21], v[20:21], v[26:27]
	v_fma_f64 v[4:5], v[4:5], v[159:160], v[30:31]
	v_fma_f64 v[1:2], v[2:3], v[159:160], -v[32:33]
	v_fma_f64 v[16:17], v[16:17], v[6:7], v[22:23]
	v_fma_f64 v[6:7], v[14:15], v[6:7], -v[8:9]
	v_add_f64_e32 v[10:11], v[18:19], v[10:11]
	v_add_f64_e32 v[12:13], v[20:21], v[12:13]
	s_delay_alu instid0(VALU_DEP_2) | instskip(NEXT) | instid1(VALU_DEP_2)
	v_add_f64_e32 v[1:2], v[10:11], v[1:2]
	v_add_f64_e32 v[3:4], v[12:13], v[4:5]
	s_delay_alu instid0(VALU_DEP_2) | instskip(NEXT) | instid1(VALU_DEP_2)
	;; [unrolled: 3-line block ×3, first 2 shown]
	v_add_f64_e64 v[1:2], v[155:156], -v[1:2]
	v_add_f64_e64 v[3:4], v[157:158], -v[3:4]
	scratch_store_b128 off, v[1:4], off offset:352
	v_cmpx_lt_u32_e32 20, v0
	s_cbranch_execz .LBB117_297
; %bb.296:
	scratch_load_b128 v[1:4], off, s47
	v_mov_b32_e32 v5, 0
	s_delay_alu instid0(VALU_DEP_1)
	v_dual_mov_b32 v6, v5 :: v_dual_mov_b32 v7, v5
	v_mov_b32_e32 v8, v5
	scratch_store_b128 off, v[5:8], off offset:336
	s_wait_loadcnt 0x0
	ds_store_b128 v154, v[1:4]
.LBB117_297:
	s_wait_alu 0xfffe
	s_or_b32 exec_lo, exec_lo, s0
	s_wait_storecnt_dscnt 0x0
	s_barrier_signal -1
	s_barrier_wait -1
	global_inv scope:SCOPE_SE
	s_clause 0x7
	scratch_load_b128 v[2:5], off, off offset:352
	scratch_load_b128 v[6:9], off, off offset:368
	;; [unrolled: 1-line block ×8, first 2 shown]
	v_mov_b32_e32 v1, 0
	s_mov_b32 s0, exec_lo
	ds_load_b128 v[34:37], v1 offset:1200
	s_clause 0x1
	scratch_load_b128 v[38:41], off, off offset:480
	scratch_load_b128 v[42:45], off, off offset:336
	ds_load_b128 v[155:158], v1 offset:1216
	scratch_load_b128 v[159:162], off, off offset:496
	s_wait_loadcnt_dscnt 0xa01
	v_mul_f64_e32 v[163:164], v[36:37], v[4:5]
	v_mul_f64_e32 v[4:5], v[34:35], v[4:5]
	s_delay_alu instid0(VALU_DEP_2) | instskip(NEXT) | instid1(VALU_DEP_2)
	v_fma_f64 v[169:170], v[34:35], v[2:3], -v[163:164]
	v_fma_f64 v[171:172], v[36:37], v[2:3], v[4:5]
	ds_load_b128 v[2:5], v1 offset:1232
	s_wait_loadcnt_dscnt 0x901
	v_mul_f64_e32 v[167:168], v[155:156], v[8:9]
	v_mul_f64_e32 v[8:9], v[157:158], v[8:9]
	scratch_load_b128 v[34:37], off, off offset:512
	ds_load_b128 v[163:166], v1 offset:1248
	s_wait_loadcnt_dscnt 0x901
	v_mul_f64_e32 v[173:174], v[2:3], v[12:13]
	v_mul_f64_e32 v[12:13], v[4:5], v[12:13]
	v_fma_f64 v[157:158], v[157:158], v[6:7], v[167:168]
	v_fma_f64 v[155:156], v[155:156], v[6:7], -v[8:9]
	v_add_f64_e32 v[167:168], 0, v[169:170]
	v_add_f64_e32 v[169:170], 0, v[171:172]
	scratch_load_b128 v[6:9], off, off offset:528
	v_fma_f64 v[173:174], v[4:5], v[10:11], v[173:174]
	v_fma_f64 v[175:176], v[2:3], v[10:11], -v[12:13]
	ds_load_b128 v[2:5], v1 offset:1264
	s_wait_loadcnt_dscnt 0x901
	v_mul_f64_e32 v[171:172], v[163:164], v[16:17]
	v_mul_f64_e32 v[16:17], v[165:166], v[16:17]
	scratch_load_b128 v[10:13], off, off offset:544
	v_add_f64_e32 v[167:168], v[167:168], v[155:156]
	v_add_f64_e32 v[169:170], v[169:170], v[157:158]
	s_wait_loadcnt_dscnt 0x900
	v_mul_f64_e32 v[177:178], v[2:3], v[20:21]
	v_mul_f64_e32 v[20:21], v[4:5], v[20:21]
	ds_load_b128 v[155:158], v1 offset:1280
	v_fma_f64 v[165:166], v[165:166], v[14:15], v[171:172]
	v_fma_f64 v[163:164], v[163:164], v[14:15], -v[16:17]
	scratch_load_b128 v[14:17], off, off offset:560
	v_add_f64_e32 v[167:168], v[167:168], v[175:176]
	v_add_f64_e32 v[169:170], v[169:170], v[173:174]
	v_fma_f64 v[173:174], v[4:5], v[18:19], v[177:178]
	v_fma_f64 v[175:176], v[2:3], v[18:19], -v[20:21]
	ds_load_b128 v[2:5], v1 offset:1296
	s_wait_loadcnt_dscnt 0x901
	v_mul_f64_e32 v[171:172], v[155:156], v[24:25]
	v_mul_f64_e32 v[24:25], v[157:158], v[24:25]
	scratch_load_b128 v[18:21], off, off offset:576
	s_wait_loadcnt_dscnt 0x900
	v_mul_f64_e32 v[177:178], v[2:3], v[28:29]
	v_mul_f64_e32 v[28:29], v[4:5], v[28:29]
	v_add_f64_e32 v[167:168], v[167:168], v[163:164]
	v_add_f64_e32 v[169:170], v[169:170], v[165:166]
	ds_load_b128 v[163:166], v1 offset:1312
	v_fma_f64 v[157:158], v[157:158], v[22:23], v[171:172]
	v_fma_f64 v[155:156], v[155:156], v[22:23], -v[24:25]
	scratch_load_b128 v[22:25], off, off offset:592
	v_add_f64_e32 v[167:168], v[167:168], v[175:176]
	v_add_f64_e32 v[169:170], v[169:170], v[173:174]
	v_fma_f64 v[173:174], v[4:5], v[26:27], v[177:178]
	v_fma_f64 v[175:176], v[2:3], v[26:27], -v[28:29]
	ds_load_b128 v[2:5], v1 offset:1328
	s_wait_loadcnt_dscnt 0x901
	v_mul_f64_e32 v[171:172], v[163:164], v[32:33]
	v_mul_f64_e32 v[32:33], v[165:166], v[32:33]
	scratch_load_b128 v[26:29], off, off offset:608
	s_wait_loadcnt_dscnt 0x900
	v_mul_f64_e32 v[177:178], v[2:3], v[40:41]
	v_mul_f64_e32 v[40:41], v[4:5], v[40:41]
	v_add_f64_e32 v[167:168], v[167:168], v[155:156]
	v_add_f64_e32 v[169:170], v[169:170], v[157:158]
	ds_load_b128 v[155:158], v1 offset:1344
	v_fma_f64 v[165:166], v[165:166], v[30:31], v[171:172]
	v_fma_f64 v[163:164], v[163:164], v[30:31], -v[32:33]
	scratch_load_b128 v[30:33], off, off offset:624
	v_add_f64_e32 v[167:168], v[167:168], v[175:176]
	v_add_f64_e32 v[169:170], v[169:170], v[173:174]
	v_fma_f64 v[175:176], v[4:5], v[38:39], v[177:178]
	v_fma_f64 v[177:178], v[2:3], v[38:39], -v[40:41]
	ds_load_b128 v[2:5], v1 offset:1360
	s_wait_loadcnt_dscnt 0x801
	v_mul_f64_e32 v[171:172], v[155:156], v[161:162]
	v_mul_f64_e32 v[173:174], v[157:158], v[161:162]
	scratch_load_b128 v[38:41], off, off offset:640
	v_add_f64_e32 v[167:168], v[167:168], v[163:164]
	v_add_f64_e32 v[165:166], v[169:170], v[165:166]
	ds_load_b128 v[161:164], v1 offset:1376
	v_fma_f64 v[171:172], v[157:158], v[159:160], v[171:172]
	v_fma_f64 v[159:160], v[155:156], v[159:160], -v[173:174]
	scratch_load_b128 v[155:158], off, off offset:656
	s_wait_loadcnt_dscnt 0x901
	v_mul_f64_e32 v[169:170], v[2:3], v[36:37]
	v_mul_f64_e32 v[36:37], v[4:5], v[36:37]
	v_add_f64_e32 v[167:168], v[167:168], v[177:178]
	v_add_f64_e32 v[165:166], v[165:166], v[175:176]
	s_delay_alu instid0(VALU_DEP_4) | instskip(NEXT) | instid1(VALU_DEP_4)
	v_fma_f64 v[169:170], v[4:5], v[34:35], v[169:170]
	v_fma_f64 v[175:176], v[2:3], v[34:35], -v[36:37]
	ds_load_b128 v[2:5], v1 offset:1392
	s_wait_loadcnt_dscnt 0x801
	v_mul_f64_e32 v[173:174], v[161:162], v[8:9]
	v_mul_f64_e32 v[8:9], v[163:164], v[8:9]
	scratch_load_b128 v[34:37], off, off offset:672
	s_wait_loadcnt_dscnt 0x800
	v_mul_f64_e32 v[177:178], v[2:3], v[12:13]
	v_add_f64_e32 v[159:160], v[167:168], v[159:160]
	v_add_f64_e32 v[171:172], v[165:166], v[171:172]
	v_mul_f64_e32 v[12:13], v[4:5], v[12:13]
	ds_load_b128 v[165:168], v1 offset:1408
	v_fma_f64 v[163:164], v[163:164], v[6:7], v[173:174]
	v_fma_f64 v[161:162], v[161:162], v[6:7], -v[8:9]
	scratch_load_b128 v[6:9], off, off offset:688
	v_fma_f64 v[173:174], v[4:5], v[10:11], v[177:178]
	v_add_f64_e32 v[159:160], v[159:160], v[175:176]
	v_add_f64_e32 v[169:170], v[171:172], v[169:170]
	v_fma_f64 v[175:176], v[2:3], v[10:11], -v[12:13]
	ds_load_b128 v[2:5], v1 offset:1424
	s_wait_loadcnt_dscnt 0x801
	v_mul_f64_e32 v[171:172], v[165:166], v[16:17]
	v_mul_f64_e32 v[16:17], v[167:168], v[16:17]
	scratch_load_b128 v[10:13], off, off offset:704
	v_add_f64_e32 v[177:178], v[159:160], v[161:162]
	v_add_f64_e32 v[163:164], v[169:170], v[163:164]
	s_wait_loadcnt_dscnt 0x800
	v_mul_f64_e32 v[169:170], v[2:3], v[20:21]
	v_mul_f64_e32 v[20:21], v[4:5], v[20:21]
	v_fma_f64 v[167:168], v[167:168], v[14:15], v[171:172]
	v_fma_f64 v[165:166], v[165:166], v[14:15], -v[16:17]
	ds_load_b128 v[159:162], v1 offset:1440
	scratch_load_b128 v[14:17], off, off offset:720
	v_add_f64_e32 v[171:172], v[177:178], v[175:176]
	v_add_f64_e32 v[163:164], v[163:164], v[173:174]
	v_fma_f64 v[169:170], v[4:5], v[18:19], v[169:170]
	v_fma_f64 v[175:176], v[2:3], v[18:19], -v[20:21]
	ds_load_b128 v[2:5], v1 offset:1456
	s_wait_loadcnt_dscnt 0x801
	v_mul_f64_e32 v[173:174], v[159:160], v[24:25]
	v_mul_f64_e32 v[24:25], v[161:162], v[24:25]
	scratch_load_b128 v[18:21], off, off offset:736
	s_wait_loadcnt_dscnt 0x800
	v_mul_f64_e32 v[177:178], v[2:3], v[28:29]
	v_mul_f64_e32 v[28:29], v[4:5], v[28:29]
	v_add_f64_e32 v[171:172], v[171:172], v[165:166]
	v_add_f64_e32 v[167:168], v[163:164], v[167:168]
	ds_load_b128 v[163:166], v1 offset:1472
	v_fma_f64 v[161:162], v[161:162], v[22:23], v[173:174]
	v_fma_f64 v[159:160], v[159:160], v[22:23], -v[24:25]
	scratch_load_b128 v[22:25], off, off offset:752
	v_fma_f64 v[173:174], v[4:5], v[26:27], v[177:178]
	v_add_f64_e32 v[171:172], v[171:172], v[175:176]
	v_add_f64_e32 v[167:168], v[167:168], v[169:170]
	v_fma_f64 v[175:176], v[2:3], v[26:27], -v[28:29]
	ds_load_b128 v[2:5], v1 offset:1488
	s_wait_loadcnt_dscnt 0x801
	v_mul_f64_e32 v[169:170], v[163:164], v[32:33]
	v_mul_f64_e32 v[32:33], v[165:166], v[32:33]
	scratch_load_b128 v[26:29], off, off offset:768
	s_wait_loadcnt_dscnt 0x800
	v_mul_f64_e32 v[177:178], v[2:3], v[40:41]
	v_mul_f64_e32 v[40:41], v[4:5], v[40:41]
	v_add_f64_e32 v[171:172], v[171:172], v[159:160]
	v_add_f64_e32 v[167:168], v[167:168], v[161:162]
	ds_load_b128 v[159:162], v1 offset:1504
	v_fma_f64 v[165:166], v[165:166], v[30:31], v[169:170]
	v_fma_f64 v[163:164], v[163:164], v[30:31], -v[32:33]
	scratch_load_b128 v[30:33], off, off offset:784
	v_add_f64_e32 v[169:170], v[171:172], v[175:176]
	v_add_f64_e32 v[167:168], v[167:168], v[173:174]
	v_fma_f64 v[173:174], v[4:5], v[38:39], v[177:178]
	v_fma_f64 v[175:176], v[2:3], v[38:39], -v[40:41]
	ds_load_b128 v[2:5], v1 offset:1520
	s_wait_loadcnt_dscnt 0x801
	v_mul_f64_e32 v[171:172], v[159:160], v[157:158]
	v_mul_f64_e32 v[157:158], v[161:162], v[157:158]
	scratch_load_b128 v[38:41], off, off offset:800
	s_wait_loadcnt_dscnt 0x800
	v_mul_f64_e32 v[177:178], v[2:3], v[36:37]
	v_mul_f64_e32 v[36:37], v[4:5], v[36:37]
	v_add_f64_e32 v[169:170], v[169:170], v[163:164]
	v_add_f64_e32 v[167:168], v[167:168], v[165:166]
	ds_load_b128 v[163:166], v1 offset:1536
	v_fma_f64 v[161:162], v[161:162], v[155:156], v[171:172]
	v_fma_f64 v[159:160], v[159:160], v[155:156], -v[157:158]
	scratch_load_b128 v[155:158], off, off offset:816
	v_add_f64_e32 v[169:170], v[169:170], v[175:176]
	v_add_f64_e32 v[167:168], v[167:168], v[173:174]
	v_fma_f64 v[173:174], v[4:5], v[34:35], v[177:178]
	;; [unrolled: 18-line block ×3, first 2 shown]
	v_fma_f64 v[175:176], v[2:3], v[10:11], -v[12:13]
	ds_load_b128 v[2:5], v1 offset:1584
	s_wait_loadcnt_dscnt 0x801
	v_mul_f64_e32 v[171:172], v[159:160], v[16:17]
	v_mul_f64_e32 v[16:17], v[161:162], v[16:17]
	scratch_load_b128 v[10:13], off, off offset:864
	s_wait_loadcnt_dscnt 0x800
	v_mul_f64_e32 v[177:178], v[2:3], v[20:21]
	v_mul_f64_e32 v[20:21], v[4:5], v[20:21]
	v_add_f64_e32 v[169:170], v[169:170], v[163:164]
	v_add_f64_e32 v[167:168], v[167:168], v[165:166]
	ds_load_b128 v[163:166], v1 offset:1600
	v_fma_f64 v[161:162], v[161:162], v[14:15], v[171:172]
	v_fma_f64 v[14:15], v[159:160], v[14:15], -v[16:17]
	v_add_f64_e32 v[16:17], v[169:170], v[175:176]
	v_add_f64_e32 v[159:160], v[167:168], v[173:174]
	s_wait_loadcnt_dscnt 0x700
	v_mul_f64_e32 v[167:168], v[163:164], v[24:25]
	v_mul_f64_e32 v[24:25], v[165:166], v[24:25]
	v_fma_f64 v[169:170], v[4:5], v[18:19], v[177:178]
	v_fma_f64 v[18:19], v[2:3], v[18:19], -v[20:21]
	v_add_f64_e32 v[20:21], v[16:17], v[14:15]
	v_add_f64_e32 v[159:160], v[159:160], v[161:162]
	ds_load_b128 v[2:5], v1 offset:1616
	ds_load_b128 v[14:17], v1 offset:1632
	v_fma_f64 v[165:166], v[165:166], v[22:23], v[167:168]
	v_fma_f64 v[22:23], v[163:164], v[22:23], -v[24:25]
	s_wait_loadcnt_dscnt 0x601
	v_mul_f64_e32 v[161:162], v[2:3], v[28:29]
	v_mul_f64_e32 v[28:29], v[4:5], v[28:29]
	s_wait_loadcnt_dscnt 0x500
	v_mul_f64_e32 v[24:25], v[14:15], v[32:33]
	v_mul_f64_e32 v[32:33], v[16:17], v[32:33]
	v_add_f64_e32 v[18:19], v[20:21], v[18:19]
	v_add_f64_e32 v[20:21], v[159:160], v[169:170]
	v_fma_f64 v[159:160], v[4:5], v[26:27], v[161:162]
	v_fma_f64 v[26:27], v[2:3], v[26:27], -v[28:29]
	v_fma_f64 v[16:17], v[16:17], v[30:31], v[24:25]
	v_fma_f64 v[14:15], v[14:15], v[30:31], -v[32:33]
	v_add_f64_e32 v[22:23], v[18:19], v[22:23]
	v_add_f64_e32 v[28:29], v[20:21], v[165:166]
	ds_load_b128 v[2:5], v1 offset:1648
	ds_load_b128 v[18:21], v1 offset:1664
	s_wait_loadcnt_dscnt 0x401
	v_mul_f64_e32 v[161:162], v[2:3], v[40:41]
	v_mul_f64_e32 v[40:41], v[4:5], v[40:41]
	v_add_f64_e32 v[22:23], v[22:23], v[26:27]
	v_add_f64_e32 v[24:25], v[28:29], v[159:160]
	s_wait_loadcnt_dscnt 0x300
	v_mul_f64_e32 v[26:27], v[18:19], v[157:158]
	v_mul_f64_e32 v[28:29], v[20:21], v[157:158]
	v_fma_f64 v[30:31], v[4:5], v[38:39], v[161:162]
	v_fma_f64 v[32:33], v[2:3], v[38:39], -v[40:41]
	v_add_f64_e32 v[22:23], v[22:23], v[14:15]
	v_add_f64_e32 v[24:25], v[24:25], v[16:17]
	ds_load_b128 v[2:5], v1 offset:1680
	ds_load_b128 v[14:17], v1 offset:1696
	v_fma_f64 v[20:21], v[20:21], v[155:156], v[26:27]
	v_fma_f64 v[18:19], v[18:19], v[155:156], -v[28:29]
	s_wait_loadcnt_dscnt 0x201
	v_mul_f64_e32 v[38:39], v[2:3], v[36:37]
	v_mul_f64_e32 v[36:37], v[4:5], v[36:37]
	s_wait_loadcnt_dscnt 0x100
	v_mul_f64_e32 v[26:27], v[14:15], v[8:9]
	v_mul_f64_e32 v[8:9], v[16:17], v[8:9]
	v_add_f64_e32 v[22:23], v[22:23], v[32:33]
	v_add_f64_e32 v[24:25], v[24:25], v[30:31]
	v_fma_f64 v[28:29], v[4:5], v[34:35], v[38:39]
	v_fma_f64 v[30:31], v[2:3], v[34:35], -v[36:37]
	ds_load_b128 v[2:5], v1 offset:1712
	v_fma_f64 v[16:17], v[16:17], v[6:7], v[26:27]
	v_fma_f64 v[6:7], v[14:15], v[6:7], -v[8:9]
	v_add_f64_e32 v[18:19], v[22:23], v[18:19]
	v_add_f64_e32 v[20:21], v[24:25], v[20:21]
	s_wait_loadcnt_dscnt 0x0
	v_mul_f64_e32 v[22:23], v[2:3], v[12:13]
	v_mul_f64_e32 v[12:13], v[4:5], v[12:13]
	s_delay_alu instid0(VALU_DEP_4) | instskip(NEXT) | instid1(VALU_DEP_4)
	v_add_f64_e32 v[8:9], v[18:19], v[30:31]
	v_add_f64_e32 v[14:15], v[20:21], v[28:29]
	s_delay_alu instid0(VALU_DEP_4) | instskip(NEXT) | instid1(VALU_DEP_4)
	v_fma_f64 v[4:5], v[4:5], v[10:11], v[22:23]
	v_fma_f64 v[2:3], v[2:3], v[10:11], -v[12:13]
	s_delay_alu instid0(VALU_DEP_4) | instskip(NEXT) | instid1(VALU_DEP_4)
	v_add_f64_e32 v[6:7], v[8:9], v[6:7]
	v_add_f64_e32 v[8:9], v[14:15], v[16:17]
	s_delay_alu instid0(VALU_DEP_2) | instskip(NEXT) | instid1(VALU_DEP_2)
	v_add_f64_e32 v[2:3], v[6:7], v[2:3]
	v_add_f64_e32 v[4:5], v[8:9], v[4:5]
	s_delay_alu instid0(VALU_DEP_2) | instskip(NEXT) | instid1(VALU_DEP_2)
	v_add_f64_e64 v[2:3], v[42:43], -v[2:3]
	v_add_f64_e64 v[4:5], v[44:45], -v[4:5]
	scratch_store_b128 off, v[2:5], off offset:336
	v_cmpx_lt_u32_e32 19, v0
	s_cbranch_execz .LBB117_299
; %bb.298:
	scratch_load_b128 v[5:8], off, s48
	v_dual_mov_b32 v2, v1 :: v_dual_mov_b32 v3, v1
	v_mov_b32_e32 v4, v1
	scratch_store_b128 off, v[1:4], off offset:320
	s_wait_loadcnt 0x0
	ds_store_b128 v154, v[5:8]
.LBB117_299:
	s_wait_alu 0xfffe
	s_or_b32 exec_lo, exec_lo, s0
	s_wait_storecnt_dscnt 0x0
	s_barrier_signal -1
	s_barrier_wait -1
	global_inv scope:SCOPE_SE
	s_clause 0x8
	scratch_load_b128 v[2:5], off, off offset:336
	scratch_load_b128 v[6:9], off, off offset:352
	;; [unrolled: 1-line block ×9, first 2 shown]
	ds_load_b128 v[38:41], v1 offset:1184
	ds_load_b128 v[42:45], v1 offset:1200
	s_clause 0x1
	scratch_load_b128 v[155:158], off, off offset:320
	scratch_load_b128 v[159:162], off, off offset:480
	s_mov_b32 s0, exec_lo
	s_wait_loadcnt_dscnt 0xa01
	v_mul_f64_e32 v[163:164], v[40:41], v[4:5]
	v_mul_f64_e32 v[4:5], v[38:39], v[4:5]
	s_wait_loadcnt_dscnt 0x900
	v_mul_f64_e32 v[167:168], v[42:43], v[8:9]
	v_mul_f64_e32 v[8:9], v[44:45], v[8:9]
	s_delay_alu instid0(VALU_DEP_4) | instskip(NEXT) | instid1(VALU_DEP_4)
	v_fma_f64 v[169:170], v[38:39], v[2:3], -v[163:164]
	v_fma_f64 v[171:172], v[40:41], v[2:3], v[4:5]
	ds_load_b128 v[2:5], v1 offset:1216
	ds_load_b128 v[163:166], v1 offset:1232
	scratch_load_b128 v[38:41], off, off offset:496
	v_fma_f64 v[44:45], v[44:45], v[6:7], v[167:168]
	v_fma_f64 v[42:43], v[42:43], v[6:7], -v[8:9]
	scratch_load_b128 v[6:9], off, off offset:512
	s_wait_loadcnt_dscnt 0xa01
	v_mul_f64_e32 v[173:174], v[2:3], v[12:13]
	v_mul_f64_e32 v[12:13], v[4:5], v[12:13]
	v_add_f64_e32 v[167:168], 0, v[169:170]
	v_add_f64_e32 v[169:170], 0, v[171:172]
	s_wait_loadcnt_dscnt 0x900
	v_mul_f64_e32 v[171:172], v[163:164], v[16:17]
	v_mul_f64_e32 v[16:17], v[165:166], v[16:17]
	v_fma_f64 v[173:174], v[4:5], v[10:11], v[173:174]
	v_fma_f64 v[175:176], v[2:3], v[10:11], -v[12:13]
	ds_load_b128 v[2:5], v1 offset:1248
	scratch_load_b128 v[10:13], off, off offset:528
	v_add_f64_e32 v[167:168], v[167:168], v[42:43]
	v_add_f64_e32 v[169:170], v[169:170], v[44:45]
	ds_load_b128 v[42:45], v1 offset:1264
	v_fma_f64 v[165:166], v[165:166], v[14:15], v[171:172]
	v_fma_f64 v[163:164], v[163:164], v[14:15], -v[16:17]
	scratch_load_b128 v[14:17], off, off offset:544
	s_wait_loadcnt_dscnt 0xa01
	v_mul_f64_e32 v[177:178], v[2:3], v[20:21]
	v_mul_f64_e32 v[20:21], v[4:5], v[20:21]
	s_wait_loadcnt_dscnt 0x900
	v_mul_f64_e32 v[171:172], v[42:43], v[24:25]
	v_mul_f64_e32 v[24:25], v[44:45], v[24:25]
	v_add_f64_e32 v[167:168], v[167:168], v[175:176]
	v_add_f64_e32 v[169:170], v[169:170], v[173:174]
	v_fma_f64 v[173:174], v[4:5], v[18:19], v[177:178]
	v_fma_f64 v[175:176], v[2:3], v[18:19], -v[20:21]
	ds_load_b128 v[2:5], v1 offset:1280
	scratch_load_b128 v[18:21], off, off offset:560
	v_fma_f64 v[44:45], v[44:45], v[22:23], v[171:172]
	v_fma_f64 v[42:43], v[42:43], v[22:23], -v[24:25]
	scratch_load_b128 v[22:25], off, off offset:576
	v_add_f64_e32 v[167:168], v[167:168], v[163:164]
	v_add_f64_e32 v[169:170], v[169:170], v[165:166]
	ds_load_b128 v[163:166], v1 offset:1296
	s_wait_loadcnt_dscnt 0xa01
	v_mul_f64_e32 v[177:178], v[2:3], v[28:29]
	v_mul_f64_e32 v[28:29], v[4:5], v[28:29]
	s_wait_loadcnt_dscnt 0x900
	v_mul_f64_e32 v[171:172], v[163:164], v[32:33]
	v_mul_f64_e32 v[32:33], v[165:166], v[32:33]
	v_add_f64_e32 v[167:168], v[167:168], v[175:176]
	v_add_f64_e32 v[169:170], v[169:170], v[173:174]
	v_fma_f64 v[173:174], v[4:5], v[26:27], v[177:178]
	v_fma_f64 v[175:176], v[2:3], v[26:27], -v[28:29]
	ds_load_b128 v[2:5], v1 offset:1312
	scratch_load_b128 v[26:29], off, off offset:592
	v_fma_f64 v[165:166], v[165:166], v[30:31], v[171:172]
	v_fma_f64 v[163:164], v[163:164], v[30:31], -v[32:33]
	scratch_load_b128 v[30:33], off, off offset:608
	v_add_f64_e32 v[167:168], v[167:168], v[42:43]
	v_add_f64_e32 v[169:170], v[169:170], v[44:45]
	ds_load_b128 v[42:45], v1 offset:1328
	s_wait_loadcnt_dscnt 0xa01
	v_mul_f64_e32 v[177:178], v[2:3], v[36:37]
	v_mul_f64_e32 v[36:37], v[4:5], v[36:37]
	s_wait_loadcnt_dscnt 0x800
	v_mul_f64_e32 v[171:172], v[42:43], v[161:162]
	v_add_f64_e32 v[167:168], v[167:168], v[175:176]
	v_add_f64_e32 v[169:170], v[169:170], v[173:174]
	v_mul_f64_e32 v[173:174], v[44:45], v[161:162]
	v_fma_f64 v[175:176], v[4:5], v[34:35], v[177:178]
	v_fma_f64 v[177:178], v[2:3], v[34:35], -v[36:37]
	ds_load_b128 v[2:5], v1 offset:1344
	scratch_load_b128 v[34:37], off, off offset:624
	v_fma_f64 v[44:45], v[44:45], v[159:160], v[171:172]
	v_add_f64_e32 v[167:168], v[167:168], v[163:164]
	v_add_f64_e32 v[165:166], v[169:170], v[165:166]
	ds_load_b128 v[161:164], v1 offset:1360
	v_fma_f64 v[159:160], v[42:43], v[159:160], -v[173:174]
	s_wait_loadcnt_dscnt 0x801
	v_mul_f64_e32 v[169:170], v[2:3], v[40:41]
	v_mul_f64_e32 v[179:180], v[4:5], v[40:41]
	scratch_load_b128 v[40:43], off, off offset:640
	s_wait_loadcnt_dscnt 0x800
	v_mul_f64_e32 v[173:174], v[161:162], v[8:9]
	v_mul_f64_e32 v[8:9], v[163:164], v[8:9]
	v_add_f64_e32 v[167:168], v[167:168], v[177:178]
	v_add_f64_e32 v[165:166], v[165:166], v[175:176]
	v_fma_f64 v[175:176], v[4:5], v[38:39], v[169:170]
	v_fma_f64 v[38:39], v[2:3], v[38:39], -v[179:180]
	ds_load_b128 v[2:5], v1 offset:1376
	ds_load_b128 v[169:172], v1 offset:1392
	v_fma_f64 v[163:164], v[163:164], v[6:7], v[173:174]
	v_fma_f64 v[161:162], v[161:162], v[6:7], -v[8:9]
	scratch_load_b128 v[6:9], off, off offset:672
	v_add_f64_e32 v[159:160], v[167:168], v[159:160]
	v_add_f64_e32 v[44:45], v[165:166], v[44:45]
	scratch_load_b128 v[165:168], off, off offset:656
	s_wait_loadcnt_dscnt 0x901
	v_mul_f64_e32 v[177:178], v[2:3], v[12:13]
	v_mul_f64_e32 v[12:13], v[4:5], v[12:13]
	s_wait_loadcnt_dscnt 0x800
	v_mul_f64_e32 v[173:174], v[169:170], v[16:17]
	v_mul_f64_e32 v[16:17], v[171:172], v[16:17]
	v_add_f64_e32 v[38:39], v[159:160], v[38:39]
	v_add_f64_e32 v[44:45], v[44:45], v[175:176]
	v_fma_f64 v[175:176], v[4:5], v[10:11], v[177:178]
	v_fma_f64 v[177:178], v[2:3], v[10:11], -v[12:13]
	ds_load_b128 v[2:5], v1 offset:1408
	scratch_load_b128 v[10:13], off, off offset:688
	v_fma_f64 v[171:172], v[171:172], v[14:15], v[173:174]
	v_fma_f64 v[169:170], v[169:170], v[14:15], -v[16:17]
	scratch_load_b128 v[14:17], off, off offset:704
	v_add_f64_e32 v[38:39], v[38:39], v[161:162]
	v_add_f64_e32 v[44:45], v[44:45], v[163:164]
	ds_load_b128 v[159:162], v1 offset:1424
	s_wait_loadcnt_dscnt 0x901
	v_mul_f64_e32 v[163:164], v[2:3], v[20:21]
	v_mul_f64_e32 v[20:21], v[4:5], v[20:21]
	s_wait_loadcnt_dscnt 0x800
	v_mul_f64_e32 v[173:174], v[159:160], v[24:25]
	v_mul_f64_e32 v[24:25], v[161:162], v[24:25]
	v_add_f64_e32 v[38:39], v[38:39], v[177:178]
	v_add_f64_e32 v[44:45], v[44:45], v[175:176]
	v_fma_f64 v[163:164], v[4:5], v[18:19], v[163:164]
	v_fma_f64 v[175:176], v[2:3], v[18:19], -v[20:21]
	ds_load_b128 v[2:5], v1 offset:1440
	scratch_load_b128 v[18:21], off, off offset:720
	v_fma_f64 v[161:162], v[161:162], v[22:23], v[173:174]
	v_fma_f64 v[159:160], v[159:160], v[22:23], -v[24:25]
	scratch_load_b128 v[22:25], off, off offset:736
	v_add_f64_e32 v[38:39], v[38:39], v[169:170]
	v_add_f64_e32 v[44:45], v[44:45], v[171:172]
	ds_load_b128 v[169:172], v1 offset:1456
	s_wait_loadcnt_dscnt 0x901
	v_mul_f64_e32 v[177:178], v[2:3], v[28:29]
	v_mul_f64_e32 v[28:29], v[4:5], v[28:29]
	v_add_f64_e32 v[38:39], v[38:39], v[175:176]
	v_add_f64_e32 v[44:45], v[44:45], v[163:164]
	s_wait_loadcnt_dscnt 0x800
	v_mul_f64_e32 v[163:164], v[169:170], v[32:33]
	v_mul_f64_e32 v[32:33], v[171:172], v[32:33]
	v_fma_f64 v[173:174], v[4:5], v[26:27], v[177:178]
	v_fma_f64 v[175:176], v[2:3], v[26:27], -v[28:29]
	ds_load_b128 v[2:5], v1 offset:1472
	scratch_load_b128 v[26:29], off, off offset:752
	v_add_f64_e32 v[38:39], v[38:39], v[159:160]
	v_add_f64_e32 v[44:45], v[44:45], v[161:162]
	ds_load_b128 v[159:162], v1 offset:1488
	s_wait_loadcnt_dscnt 0x801
	v_mul_f64_e32 v[177:178], v[2:3], v[36:37]
	v_mul_f64_e32 v[36:37], v[4:5], v[36:37]
	v_fma_f64 v[163:164], v[171:172], v[30:31], v[163:164]
	v_fma_f64 v[169:170], v[169:170], v[30:31], -v[32:33]
	scratch_load_b128 v[30:33], off, off offset:768
	s_wait_loadcnt_dscnt 0x800
	v_mul_f64_e32 v[171:172], v[159:160], v[42:43]
	v_add_f64_e32 v[38:39], v[38:39], v[175:176]
	v_add_f64_e32 v[44:45], v[44:45], v[173:174]
	v_mul_f64_e32 v[173:174], v[161:162], v[42:43]
	v_fma_f64 v[175:176], v[4:5], v[34:35], v[177:178]
	v_fma_f64 v[177:178], v[2:3], v[34:35], -v[36:37]
	ds_load_b128 v[2:5], v1 offset:1504
	scratch_load_b128 v[34:37], off, off offset:784
	v_fma_f64 v[161:162], v[161:162], v[40:41], v[171:172]
	v_add_f64_e32 v[38:39], v[38:39], v[169:170]
	v_add_f64_e32 v[163:164], v[44:45], v[163:164]
	ds_load_b128 v[42:45], v1 offset:1520
	v_fma_f64 v[159:160], v[159:160], v[40:41], -v[173:174]
	s_wait_loadcnt_dscnt 0x701
	v_mul_f64_e32 v[169:170], v[2:3], v[167:168]
	v_mul_f64_e32 v[167:168], v[4:5], v[167:168]
	s_wait_dscnt 0x0
	v_mul_f64_e32 v[173:174], v[42:43], v[8:9]
	v_mul_f64_e32 v[8:9], v[44:45], v[8:9]
	v_add_f64_e32 v[171:172], v[38:39], v[177:178]
	v_add_f64_e32 v[163:164], v[163:164], v[175:176]
	scratch_load_b128 v[38:41], off, off offset:800
	v_fma_f64 v[169:170], v[4:5], v[165:166], v[169:170]
	v_fma_f64 v[167:168], v[2:3], v[165:166], -v[167:168]
	ds_load_b128 v[2:5], v1 offset:1536
	v_fma_f64 v[44:45], v[44:45], v[6:7], v[173:174]
	v_fma_f64 v[42:43], v[42:43], v[6:7], -v[8:9]
	scratch_load_b128 v[6:9], off, off offset:832
	v_add_f64_e32 v[171:172], v[171:172], v[159:160]
	v_add_f64_e32 v[175:176], v[163:164], v[161:162]
	scratch_load_b128 v[159:162], off, off offset:816
	ds_load_b128 v[163:166], v1 offset:1552
	s_wait_loadcnt_dscnt 0x901
	v_mul_f64_e32 v[177:178], v[2:3], v[12:13]
	v_mul_f64_e32 v[12:13], v[4:5], v[12:13]
	v_add_f64_e32 v[167:168], v[171:172], v[167:168]
	v_add_f64_e32 v[169:170], v[175:176], v[169:170]
	s_wait_loadcnt_dscnt 0x800
	v_mul_f64_e32 v[171:172], v[163:164], v[16:17]
	v_mul_f64_e32 v[16:17], v[165:166], v[16:17]
	v_fma_f64 v[173:174], v[4:5], v[10:11], v[177:178]
	v_fma_f64 v[175:176], v[2:3], v[10:11], -v[12:13]
	ds_load_b128 v[2:5], v1 offset:1568
	scratch_load_b128 v[10:13], off, off offset:848
	v_add_f64_e32 v[167:168], v[167:168], v[42:43]
	v_add_f64_e32 v[169:170], v[169:170], v[44:45]
	ds_load_b128 v[42:45], v1 offset:1584
	s_wait_loadcnt_dscnt 0x801
	v_mul_f64_e32 v[177:178], v[2:3], v[20:21]
	v_mul_f64_e32 v[20:21], v[4:5], v[20:21]
	v_fma_f64 v[165:166], v[165:166], v[14:15], v[171:172]
	v_fma_f64 v[163:164], v[163:164], v[14:15], -v[16:17]
	scratch_load_b128 v[14:17], off, off offset:864
	s_wait_loadcnt_dscnt 0x800
	v_mul_f64_e32 v[171:172], v[42:43], v[24:25]
	v_mul_f64_e32 v[24:25], v[44:45], v[24:25]
	v_add_f64_e32 v[167:168], v[167:168], v[175:176]
	v_add_f64_e32 v[169:170], v[169:170], v[173:174]
	v_fma_f64 v[173:174], v[4:5], v[18:19], v[177:178]
	v_fma_f64 v[175:176], v[2:3], v[18:19], -v[20:21]
	ds_load_b128 v[2:5], v1 offset:1600
	ds_load_b128 v[18:21], v1 offset:1616
	v_fma_f64 v[44:45], v[44:45], v[22:23], v[171:172]
	v_fma_f64 v[22:23], v[42:43], v[22:23], -v[24:25]
	v_add_f64_e32 v[163:164], v[167:168], v[163:164]
	v_add_f64_e32 v[165:166], v[169:170], v[165:166]
	s_wait_loadcnt_dscnt 0x701
	v_mul_f64_e32 v[167:168], v[2:3], v[28:29]
	v_mul_f64_e32 v[28:29], v[4:5], v[28:29]
	s_delay_alu instid0(VALU_DEP_4) | instskip(NEXT) | instid1(VALU_DEP_4)
	v_add_f64_e32 v[24:25], v[163:164], v[175:176]
	v_add_f64_e32 v[42:43], v[165:166], v[173:174]
	s_wait_loadcnt_dscnt 0x600
	v_mul_f64_e32 v[163:164], v[18:19], v[32:33]
	v_mul_f64_e32 v[32:33], v[20:21], v[32:33]
	v_fma_f64 v[165:166], v[4:5], v[26:27], v[167:168]
	v_fma_f64 v[26:27], v[2:3], v[26:27], -v[28:29]
	v_add_f64_e32 v[28:29], v[24:25], v[22:23]
	v_add_f64_e32 v[42:43], v[42:43], v[44:45]
	ds_load_b128 v[2:5], v1 offset:1632
	ds_load_b128 v[22:25], v1 offset:1648
	v_fma_f64 v[20:21], v[20:21], v[30:31], v[163:164]
	v_fma_f64 v[18:19], v[18:19], v[30:31], -v[32:33]
	s_wait_loadcnt_dscnt 0x501
	v_mul_f64_e32 v[44:45], v[2:3], v[36:37]
	v_mul_f64_e32 v[36:37], v[4:5], v[36:37]
	v_add_f64_e32 v[26:27], v[28:29], v[26:27]
	v_add_f64_e32 v[28:29], v[42:43], v[165:166]
	s_wait_loadcnt_dscnt 0x400
	v_mul_f64_e32 v[30:31], v[22:23], v[40:41]
	v_mul_f64_e32 v[32:33], v[24:25], v[40:41]
	v_fma_f64 v[40:41], v[4:5], v[34:35], v[44:45]
	v_fma_f64 v[34:35], v[2:3], v[34:35], -v[36:37]
	v_add_f64_e32 v[26:27], v[26:27], v[18:19]
	v_add_f64_e32 v[28:29], v[28:29], v[20:21]
	ds_load_b128 v[2:5], v1 offset:1664
	ds_load_b128 v[18:21], v1 offset:1680
	v_fma_f64 v[24:25], v[24:25], v[38:39], v[30:31]
	v_fma_f64 v[22:23], v[22:23], v[38:39], -v[32:33]
	s_wait_loadcnt_dscnt 0x201
	v_mul_f64_e32 v[36:37], v[2:3], v[161:162]
	v_mul_f64_e32 v[42:43], v[4:5], v[161:162]
	s_wait_dscnt 0x0
	v_mul_f64_e32 v[30:31], v[18:19], v[8:9]
	v_mul_f64_e32 v[8:9], v[20:21], v[8:9]
	v_add_f64_e32 v[26:27], v[26:27], v[34:35]
	v_add_f64_e32 v[28:29], v[28:29], v[40:41]
	v_fma_f64 v[32:33], v[4:5], v[159:160], v[36:37]
	v_fma_f64 v[34:35], v[2:3], v[159:160], -v[42:43]
	v_fma_f64 v[20:21], v[20:21], v[6:7], v[30:31]
	v_fma_f64 v[6:7], v[18:19], v[6:7], -v[8:9]
	v_add_f64_e32 v[26:27], v[26:27], v[22:23]
	v_add_f64_e32 v[28:29], v[28:29], v[24:25]
	ds_load_b128 v[2:5], v1 offset:1696
	ds_load_b128 v[22:25], v1 offset:1712
	s_wait_loadcnt_dscnt 0x101
	v_mul_f64_e32 v[36:37], v[2:3], v[12:13]
	v_mul_f64_e32 v[12:13], v[4:5], v[12:13]
	v_add_f64_e32 v[8:9], v[26:27], v[34:35]
	v_add_f64_e32 v[18:19], v[28:29], v[32:33]
	s_wait_loadcnt_dscnt 0x0
	v_mul_f64_e32 v[26:27], v[22:23], v[16:17]
	v_mul_f64_e32 v[16:17], v[24:25], v[16:17]
	v_fma_f64 v[4:5], v[4:5], v[10:11], v[36:37]
	v_fma_f64 v[1:2], v[2:3], v[10:11], -v[12:13]
	v_add_f64_e32 v[6:7], v[8:9], v[6:7]
	v_add_f64_e32 v[8:9], v[18:19], v[20:21]
	v_fma_f64 v[10:11], v[24:25], v[14:15], v[26:27]
	v_fma_f64 v[12:13], v[22:23], v[14:15], -v[16:17]
	s_delay_alu instid0(VALU_DEP_4) | instskip(NEXT) | instid1(VALU_DEP_4)
	v_add_f64_e32 v[1:2], v[6:7], v[1:2]
	v_add_f64_e32 v[3:4], v[8:9], v[4:5]
	s_delay_alu instid0(VALU_DEP_2) | instskip(NEXT) | instid1(VALU_DEP_2)
	v_add_f64_e32 v[1:2], v[1:2], v[12:13]
	v_add_f64_e32 v[3:4], v[3:4], v[10:11]
	s_delay_alu instid0(VALU_DEP_2) | instskip(NEXT) | instid1(VALU_DEP_2)
	v_add_f64_e64 v[1:2], v[155:156], -v[1:2]
	v_add_f64_e64 v[3:4], v[157:158], -v[3:4]
	scratch_store_b128 off, v[1:4], off offset:320
	v_cmpx_lt_u32_e32 18, v0
	s_cbranch_execz .LBB117_301
; %bb.300:
	scratch_load_b128 v[1:4], off, s49
	v_mov_b32_e32 v5, 0
	s_delay_alu instid0(VALU_DEP_1)
	v_dual_mov_b32 v6, v5 :: v_dual_mov_b32 v7, v5
	v_mov_b32_e32 v8, v5
	scratch_store_b128 off, v[5:8], off offset:304
	s_wait_loadcnt 0x0
	ds_store_b128 v154, v[1:4]
.LBB117_301:
	s_wait_alu 0xfffe
	s_or_b32 exec_lo, exec_lo, s0
	s_wait_storecnt_dscnt 0x0
	s_barrier_signal -1
	s_barrier_wait -1
	global_inv scope:SCOPE_SE
	s_clause 0x7
	scratch_load_b128 v[2:5], off, off offset:320
	scratch_load_b128 v[6:9], off, off offset:336
	;; [unrolled: 1-line block ×8, first 2 shown]
	v_mov_b32_e32 v1, 0
	s_mov_b32 s0, exec_lo
	ds_load_b128 v[38:41], v1 offset:1168
	s_clause 0x1
	scratch_load_b128 v[34:37], off, off offset:448
	scratch_load_b128 v[42:45], off, off offset:304
	ds_load_b128 v[155:158], v1 offset:1184
	scratch_load_b128 v[159:162], off, off offset:464
	s_wait_loadcnt_dscnt 0xa01
	v_mul_f64_e32 v[163:164], v[40:41], v[4:5]
	v_mul_f64_e32 v[4:5], v[38:39], v[4:5]
	s_delay_alu instid0(VALU_DEP_2) | instskip(NEXT) | instid1(VALU_DEP_2)
	v_fma_f64 v[169:170], v[38:39], v[2:3], -v[163:164]
	v_fma_f64 v[171:172], v[40:41], v[2:3], v[4:5]
	ds_load_b128 v[2:5], v1 offset:1200
	s_wait_loadcnt_dscnt 0x901
	v_mul_f64_e32 v[167:168], v[155:156], v[8:9]
	v_mul_f64_e32 v[8:9], v[157:158], v[8:9]
	scratch_load_b128 v[38:41], off, off offset:480
	ds_load_b128 v[163:166], v1 offset:1216
	s_wait_loadcnt_dscnt 0x901
	v_mul_f64_e32 v[173:174], v[2:3], v[12:13]
	v_mul_f64_e32 v[12:13], v[4:5], v[12:13]
	v_fma_f64 v[157:158], v[157:158], v[6:7], v[167:168]
	v_fma_f64 v[155:156], v[155:156], v[6:7], -v[8:9]
	v_add_f64_e32 v[167:168], 0, v[169:170]
	v_add_f64_e32 v[169:170], 0, v[171:172]
	scratch_load_b128 v[6:9], off, off offset:496
	v_fma_f64 v[173:174], v[4:5], v[10:11], v[173:174]
	v_fma_f64 v[175:176], v[2:3], v[10:11], -v[12:13]
	ds_load_b128 v[2:5], v1 offset:1232
	s_wait_loadcnt_dscnt 0x901
	v_mul_f64_e32 v[171:172], v[163:164], v[16:17]
	v_mul_f64_e32 v[16:17], v[165:166], v[16:17]
	scratch_load_b128 v[10:13], off, off offset:512
	v_add_f64_e32 v[167:168], v[167:168], v[155:156]
	v_add_f64_e32 v[169:170], v[169:170], v[157:158]
	s_wait_loadcnt_dscnt 0x900
	v_mul_f64_e32 v[177:178], v[2:3], v[20:21]
	v_mul_f64_e32 v[20:21], v[4:5], v[20:21]
	ds_load_b128 v[155:158], v1 offset:1248
	v_fma_f64 v[165:166], v[165:166], v[14:15], v[171:172]
	v_fma_f64 v[163:164], v[163:164], v[14:15], -v[16:17]
	scratch_load_b128 v[14:17], off, off offset:528
	v_add_f64_e32 v[167:168], v[167:168], v[175:176]
	v_add_f64_e32 v[169:170], v[169:170], v[173:174]
	v_fma_f64 v[173:174], v[4:5], v[18:19], v[177:178]
	v_fma_f64 v[175:176], v[2:3], v[18:19], -v[20:21]
	ds_load_b128 v[2:5], v1 offset:1264
	s_wait_loadcnt_dscnt 0x901
	v_mul_f64_e32 v[171:172], v[155:156], v[24:25]
	v_mul_f64_e32 v[24:25], v[157:158], v[24:25]
	scratch_load_b128 v[18:21], off, off offset:544
	s_wait_loadcnt_dscnt 0x900
	v_mul_f64_e32 v[177:178], v[2:3], v[28:29]
	v_mul_f64_e32 v[28:29], v[4:5], v[28:29]
	v_add_f64_e32 v[167:168], v[167:168], v[163:164]
	v_add_f64_e32 v[169:170], v[169:170], v[165:166]
	ds_load_b128 v[163:166], v1 offset:1280
	v_fma_f64 v[157:158], v[157:158], v[22:23], v[171:172]
	v_fma_f64 v[155:156], v[155:156], v[22:23], -v[24:25]
	scratch_load_b128 v[22:25], off, off offset:560
	v_add_f64_e32 v[167:168], v[167:168], v[175:176]
	v_add_f64_e32 v[169:170], v[169:170], v[173:174]
	v_fma_f64 v[173:174], v[4:5], v[26:27], v[177:178]
	v_fma_f64 v[175:176], v[2:3], v[26:27], -v[28:29]
	ds_load_b128 v[2:5], v1 offset:1296
	s_wait_loadcnt_dscnt 0x901
	v_mul_f64_e32 v[171:172], v[163:164], v[32:33]
	v_mul_f64_e32 v[32:33], v[165:166], v[32:33]
	scratch_load_b128 v[26:29], off, off offset:576
	s_wait_loadcnt_dscnt 0x900
	v_mul_f64_e32 v[177:178], v[2:3], v[36:37]
	v_mul_f64_e32 v[36:37], v[4:5], v[36:37]
	v_add_f64_e32 v[167:168], v[167:168], v[155:156]
	v_add_f64_e32 v[169:170], v[169:170], v[157:158]
	ds_load_b128 v[155:158], v1 offset:1312
	v_fma_f64 v[165:166], v[165:166], v[30:31], v[171:172]
	v_fma_f64 v[163:164], v[163:164], v[30:31], -v[32:33]
	scratch_load_b128 v[30:33], off, off offset:592
	v_add_f64_e32 v[167:168], v[167:168], v[175:176]
	v_add_f64_e32 v[169:170], v[169:170], v[173:174]
	v_fma_f64 v[175:176], v[4:5], v[34:35], v[177:178]
	v_fma_f64 v[177:178], v[2:3], v[34:35], -v[36:37]
	ds_load_b128 v[2:5], v1 offset:1328
	s_wait_loadcnt_dscnt 0x801
	v_mul_f64_e32 v[171:172], v[155:156], v[161:162]
	v_mul_f64_e32 v[173:174], v[157:158], v[161:162]
	scratch_load_b128 v[34:37], off, off offset:608
	v_add_f64_e32 v[167:168], v[167:168], v[163:164]
	v_add_f64_e32 v[165:166], v[169:170], v[165:166]
	ds_load_b128 v[161:164], v1 offset:1344
	v_fma_f64 v[171:172], v[157:158], v[159:160], v[171:172]
	v_fma_f64 v[159:160], v[155:156], v[159:160], -v[173:174]
	scratch_load_b128 v[155:158], off, off offset:624
	s_wait_loadcnt_dscnt 0x901
	v_mul_f64_e32 v[169:170], v[2:3], v[40:41]
	v_mul_f64_e32 v[40:41], v[4:5], v[40:41]
	v_add_f64_e32 v[167:168], v[167:168], v[177:178]
	v_add_f64_e32 v[165:166], v[165:166], v[175:176]
	s_delay_alu instid0(VALU_DEP_4) | instskip(NEXT) | instid1(VALU_DEP_4)
	v_fma_f64 v[169:170], v[4:5], v[38:39], v[169:170]
	v_fma_f64 v[175:176], v[2:3], v[38:39], -v[40:41]
	ds_load_b128 v[2:5], v1 offset:1360
	s_wait_loadcnt_dscnt 0x801
	v_mul_f64_e32 v[173:174], v[161:162], v[8:9]
	v_mul_f64_e32 v[8:9], v[163:164], v[8:9]
	scratch_load_b128 v[38:41], off, off offset:640
	s_wait_loadcnt_dscnt 0x800
	v_mul_f64_e32 v[177:178], v[2:3], v[12:13]
	v_add_f64_e32 v[159:160], v[167:168], v[159:160]
	v_add_f64_e32 v[171:172], v[165:166], v[171:172]
	v_mul_f64_e32 v[12:13], v[4:5], v[12:13]
	ds_load_b128 v[165:168], v1 offset:1376
	v_fma_f64 v[163:164], v[163:164], v[6:7], v[173:174]
	v_fma_f64 v[161:162], v[161:162], v[6:7], -v[8:9]
	scratch_load_b128 v[6:9], off, off offset:656
	v_fma_f64 v[173:174], v[4:5], v[10:11], v[177:178]
	v_add_f64_e32 v[159:160], v[159:160], v[175:176]
	v_add_f64_e32 v[169:170], v[171:172], v[169:170]
	v_fma_f64 v[175:176], v[2:3], v[10:11], -v[12:13]
	ds_load_b128 v[2:5], v1 offset:1392
	s_wait_loadcnt_dscnt 0x801
	v_mul_f64_e32 v[171:172], v[165:166], v[16:17]
	v_mul_f64_e32 v[16:17], v[167:168], v[16:17]
	scratch_load_b128 v[10:13], off, off offset:672
	v_add_f64_e32 v[177:178], v[159:160], v[161:162]
	v_add_f64_e32 v[163:164], v[169:170], v[163:164]
	s_wait_loadcnt_dscnt 0x800
	v_mul_f64_e32 v[169:170], v[2:3], v[20:21]
	v_mul_f64_e32 v[20:21], v[4:5], v[20:21]
	v_fma_f64 v[167:168], v[167:168], v[14:15], v[171:172]
	v_fma_f64 v[165:166], v[165:166], v[14:15], -v[16:17]
	ds_load_b128 v[159:162], v1 offset:1408
	scratch_load_b128 v[14:17], off, off offset:688
	v_add_f64_e32 v[171:172], v[177:178], v[175:176]
	v_add_f64_e32 v[163:164], v[163:164], v[173:174]
	v_fma_f64 v[169:170], v[4:5], v[18:19], v[169:170]
	v_fma_f64 v[175:176], v[2:3], v[18:19], -v[20:21]
	ds_load_b128 v[2:5], v1 offset:1424
	s_wait_loadcnt_dscnt 0x801
	v_mul_f64_e32 v[173:174], v[159:160], v[24:25]
	v_mul_f64_e32 v[24:25], v[161:162], v[24:25]
	scratch_load_b128 v[18:21], off, off offset:704
	s_wait_loadcnt_dscnt 0x800
	v_mul_f64_e32 v[177:178], v[2:3], v[28:29]
	v_mul_f64_e32 v[28:29], v[4:5], v[28:29]
	v_add_f64_e32 v[171:172], v[171:172], v[165:166]
	v_add_f64_e32 v[167:168], v[163:164], v[167:168]
	ds_load_b128 v[163:166], v1 offset:1440
	v_fma_f64 v[161:162], v[161:162], v[22:23], v[173:174]
	v_fma_f64 v[159:160], v[159:160], v[22:23], -v[24:25]
	scratch_load_b128 v[22:25], off, off offset:720
	v_fma_f64 v[173:174], v[4:5], v[26:27], v[177:178]
	v_add_f64_e32 v[171:172], v[171:172], v[175:176]
	v_add_f64_e32 v[167:168], v[167:168], v[169:170]
	v_fma_f64 v[175:176], v[2:3], v[26:27], -v[28:29]
	ds_load_b128 v[2:5], v1 offset:1456
	s_wait_loadcnt_dscnt 0x801
	v_mul_f64_e32 v[169:170], v[163:164], v[32:33]
	v_mul_f64_e32 v[32:33], v[165:166], v[32:33]
	scratch_load_b128 v[26:29], off, off offset:736
	s_wait_loadcnt_dscnt 0x800
	v_mul_f64_e32 v[177:178], v[2:3], v[36:37]
	v_mul_f64_e32 v[36:37], v[4:5], v[36:37]
	v_add_f64_e32 v[171:172], v[171:172], v[159:160]
	v_add_f64_e32 v[167:168], v[167:168], v[161:162]
	ds_load_b128 v[159:162], v1 offset:1472
	v_fma_f64 v[165:166], v[165:166], v[30:31], v[169:170]
	v_fma_f64 v[163:164], v[163:164], v[30:31], -v[32:33]
	scratch_load_b128 v[30:33], off, off offset:752
	v_add_f64_e32 v[169:170], v[171:172], v[175:176]
	v_add_f64_e32 v[167:168], v[167:168], v[173:174]
	v_fma_f64 v[173:174], v[4:5], v[34:35], v[177:178]
	v_fma_f64 v[175:176], v[2:3], v[34:35], -v[36:37]
	ds_load_b128 v[2:5], v1 offset:1488
	s_wait_loadcnt_dscnt 0x801
	v_mul_f64_e32 v[171:172], v[159:160], v[157:158]
	v_mul_f64_e32 v[157:158], v[161:162], v[157:158]
	scratch_load_b128 v[34:37], off, off offset:768
	s_wait_loadcnt_dscnt 0x800
	v_mul_f64_e32 v[177:178], v[2:3], v[40:41]
	v_mul_f64_e32 v[40:41], v[4:5], v[40:41]
	v_add_f64_e32 v[169:170], v[169:170], v[163:164]
	v_add_f64_e32 v[167:168], v[167:168], v[165:166]
	ds_load_b128 v[163:166], v1 offset:1504
	v_fma_f64 v[161:162], v[161:162], v[155:156], v[171:172]
	v_fma_f64 v[159:160], v[159:160], v[155:156], -v[157:158]
	scratch_load_b128 v[155:158], off, off offset:784
	v_add_f64_e32 v[169:170], v[169:170], v[175:176]
	v_add_f64_e32 v[167:168], v[167:168], v[173:174]
	v_fma_f64 v[173:174], v[4:5], v[38:39], v[177:178]
	v_fma_f64 v[175:176], v[2:3], v[38:39], -v[40:41]
	ds_load_b128 v[2:5], v1 offset:1520
	s_wait_loadcnt_dscnt 0x801
	v_mul_f64_e32 v[171:172], v[163:164], v[8:9]
	v_mul_f64_e32 v[8:9], v[165:166], v[8:9]
	scratch_load_b128 v[38:41], off, off offset:800
	s_wait_loadcnt_dscnt 0x800
	v_mul_f64_e32 v[177:178], v[2:3], v[12:13]
	v_mul_f64_e32 v[12:13], v[4:5], v[12:13]
	v_add_f64_e32 v[169:170], v[169:170], v[159:160]
	v_add_f64_e32 v[167:168], v[167:168], v[161:162]
	ds_load_b128 v[159:162], v1 offset:1536
	v_fma_f64 v[165:166], v[165:166], v[6:7], v[171:172]
	v_fma_f64 v[163:164], v[163:164], v[6:7], -v[8:9]
	scratch_load_b128 v[6:9], off, off offset:816
	v_add_f64_e32 v[169:170], v[169:170], v[175:176]
	v_add_f64_e32 v[167:168], v[167:168], v[173:174]
	v_fma_f64 v[173:174], v[4:5], v[10:11], v[177:178]
	v_fma_f64 v[175:176], v[2:3], v[10:11], -v[12:13]
	ds_load_b128 v[2:5], v1 offset:1552
	s_wait_loadcnt_dscnt 0x801
	v_mul_f64_e32 v[171:172], v[159:160], v[16:17]
	v_mul_f64_e32 v[16:17], v[161:162], v[16:17]
	scratch_load_b128 v[10:13], off, off offset:832
	s_wait_loadcnt_dscnt 0x800
	v_mul_f64_e32 v[177:178], v[2:3], v[20:21]
	v_mul_f64_e32 v[20:21], v[4:5], v[20:21]
	v_add_f64_e32 v[169:170], v[169:170], v[163:164]
	v_add_f64_e32 v[167:168], v[167:168], v[165:166]
	ds_load_b128 v[163:166], v1 offset:1568
	v_fma_f64 v[161:162], v[161:162], v[14:15], v[171:172]
	v_fma_f64 v[159:160], v[159:160], v[14:15], -v[16:17]
	scratch_load_b128 v[14:17], off, off offset:848
	v_add_f64_e32 v[169:170], v[169:170], v[175:176]
	v_add_f64_e32 v[167:168], v[167:168], v[173:174]
	v_fma_f64 v[173:174], v[4:5], v[18:19], v[177:178]
	v_fma_f64 v[175:176], v[2:3], v[18:19], -v[20:21]
	ds_load_b128 v[2:5], v1 offset:1584
	s_wait_loadcnt_dscnt 0x801
	v_mul_f64_e32 v[171:172], v[163:164], v[24:25]
	v_mul_f64_e32 v[24:25], v[165:166], v[24:25]
	scratch_load_b128 v[18:21], off, off offset:864
	s_wait_loadcnt_dscnt 0x800
	v_mul_f64_e32 v[177:178], v[2:3], v[28:29]
	v_mul_f64_e32 v[28:29], v[4:5], v[28:29]
	v_add_f64_e32 v[169:170], v[169:170], v[159:160]
	v_add_f64_e32 v[167:168], v[167:168], v[161:162]
	ds_load_b128 v[159:162], v1 offset:1600
	v_fma_f64 v[165:166], v[165:166], v[22:23], v[171:172]
	v_fma_f64 v[22:23], v[163:164], v[22:23], -v[24:25]
	v_add_f64_e32 v[24:25], v[169:170], v[175:176]
	v_add_f64_e32 v[163:164], v[167:168], v[173:174]
	s_wait_loadcnt_dscnt 0x700
	v_mul_f64_e32 v[167:168], v[159:160], v[32:33]
	v_mul_f64_e32 v[32:33], v[161:162], v[32:33]
	v_fma_f64 v[169:170], v[4:5], v[26:27], v[177:178]
	v_fma_f64 v[26:27], v[2:3], v[26:27], -v[28:29]
	v_add_f64_e32 v[28:29], v[24:25], v[22:23]
	v_add_f64_e32 v[163:164], v[163:164], v[165:166]
	ds_load_b128 v[2:5], v1 offset:1616
	ds_load_b128 v[22:25], v1 offset:1632
	v_fma_f64 v[161:162], v[161:162], v[30:31], v[167:168]
	v_fma_f64 v[30:31], v[159:160], v[30:31], -v[32:33]
	s_wait_loadcnt_dscnt 0x601
	v_mul_f64_e32 v[165:166], v[2:3], v[36:37]
	v_mul_f64_e32 v[36:37], v[4:5], v[36:37]
	s_wait_loadcnt_dscnt 0x500
	v_mul_f64_e32 v[32:33], v[22:23], v[157:158]
	v_mul_f64_e32 v[157:158], v[24:25], v[157:158]
	v_add_f64_e32 v[26:27], v[28:29], v[26:27]
	v_add_f64_e32 v[28:29], v[163:164], v[169:170]
	v_fma_f64 v[159:160], v[4:5], v[34:35], v[165:166]
	v_fma_f64 v[34:35], v[2:3], v[34:35], -v[36:37]
	v_fma_f64 v[24:25], v[24:25], v[155:156], v[32:33]
	v_fma_f64 v[22:23], v[22:23], v[155:156], -v[157:158]
	v_add_f64_e32 v[30:31], v[26:27], v[30:31]
	v_add_f64_e32 v[36:37], v[28:29], v[161:162]
	ds_load_b128 v[2:5], v1 offset:1648
	ds_load_b128 v[26:29], v1 offset:1664
	s_wait_loadcnt_dscnt 0x401
	v_mul_f64_e32 v[161:162], v[2:3], v[40:41]
	v_mul_f64_e32 v[40:41], v[4:5], v[40:41]
	v_add_f64_e32 v[30:31], v[30:31], v[34:35]
	v_add_f64_e32 v[32:33], v[36:37], v[159:160]
	s_wait_loadcnt_dscnt 0x300
	v_mul_f64_e32 v[34:35], v[26:27], v[8:9]
	v_mul_f64_e32 v[8:9], v[28:29], v[8:9]
	v_fma_f64 v[36:37], v[4:5], v[38:39], v[161:162]
	v_fma_f64 v[38:39], v[2:3], v[38:39], -v[40:41]
	v_add_f64_e32 v[30:31], v[30:31], v[22:23]
	v_add_f64_e32 v[32:33], v[32:33], v[24:25]
	ds_load_b128 v[2:5], v1 offset:1680
	ds_load_b128 v[22:25], v1 offset:1696
	v_fma_f64 v[28:29], v[28:29], v[6:7], v[34:35]
	v_fma_f64 v[6:7], v[26:27], v[6:7], -v[8:9]
	s_wait_loadcnt_dscnt 0x201
	v_mul_f64_e32 v[40:41], v[2:3], v[12:13]
	v_mul_f64_e32 v[12:13], v[4:5], v[12:13]
	v_add_f64_e32 v[8:9], v[30:31], v[38:39]
	v_add_f64_e32 v[26:27], v[32:33], v[36:37]
	s_wait_loadcnt_dscnt 0x100
	v_mul_f64_e32 v[30:31], v[22:23], v[16:17]
	v_mul_f64_e32 v[16:17], v[24:25], v[16:17]
	v_fma_f64 v[32:33], v[4:5], v[10:11], v[40:41]
	v_fma_f64 v[10:11], v[2:3], v[10:11], -v[12:13]
	ds_load_b128 v[2:5], v1 offset:1712
	v_add_f64_e32 v[6:7], v[8:9], v[6:7]
	v_add_f64_e32 v[8:9], v[26:27], v[28:29]
	v_fma_f64 v[24:25], v[24:25], v[14:15], v[30:31]
	v_fma_f64 v[14:15], v[22:23], v[14:15], -v[16:17]
	s_wait_loadcnt_dscnt 0x0
	v_mul_f64_e32 v[12:13], v[2:3], v[20:21]
	v_mul_f64_e32 v[20:21], v[4:5], v[20:21]
	v_add_f64_e32 v[6:7], v[6:7], v[10:11]
	v_add_f64_e32 v[8:9], v[8:9], v[32:33]
	s_delay_alu instid0(VALU_DEP_4) | instskip(NEXT) | instid1(VALU_DEP_4)
	v_fma_f64 v[4:5], v[4:5], v[18:19], v[12:13]
	v_fma_f64 v[2:3], v[2:3], v[18:19], -v[20:21]
	s_delay_alu instid0(VALU_DEP_4) | instskip(NEXT) | instid1(VALU_DEP_4)
	v_add_f64_e32 v[6:7], v[6:7], v[14:15]
	v_add_f64_e32 v[8:9], v[8:9], v[24:25]
	s_delay_alu instid0(VALU_DEP_2) | instskip(NEXT) | instid1(VALU_DEP_2)
	v_add_f64_e32 v[2:3], v[6:7], v[2:3]
	v_add_f64_e32 v[4:5], v[8:9], v[4:5]
	s_delay_alu instid0(VALU_DEP_2) | instskip(NEXT) | instid1(VALU_DEP_2)
	v_add_f64_e64 v[2:3], v[42:43], -v[2:3]
	v_add_f64_e64 v[4:5], v[44:45], -v[4:5]
	scratch_store_b128 off, v[2:5], off offset:304
	v_cmpx_lt_u32_e32 17, v0
	s_cbranch_execz .LBB117_303
; %bb.302:
	scratch_load_b128 v[5:8], off, s50
	v_dual_mov_b32 v2, v1 :: v_dual_mov_b32 v3, v1
	v_mov_b32_e32 v4, v1
	scratch_store_b128 off, v[1:4], off offset:288
	s_wait_loadcnt 0x0
	ds_store_b128 v154, v[5:8]
.LBB117_303:
	s_wait_alu 0xfffe
	s_or_b32 exec_lo, exec_lo, s0
	s_wait_storecnt_dscnt 0x0
	s_barrier_signal -1
	s_barrier_wait -1
	global_inv scope:SCOPE_SE
	s_clause 0x8
	scratch_load_b128 v[2:5], off, off offset:304
	scratch_load_b128 v[6:9], off, off offset:320
	;; [unrolled: 1-line block ×9, first 2 shown]
	ds_load_b128 v[38:41], v1 offset:1152
	ds_load_b128 v[42:45], v1 offset:1168
	s_clause 0x1
	scratch_load_b128 v[155:158], off, off offset:288
	scratch_load_b128 v[159:162], off, off offset:448
	s_mov_b32 s0, exec_lo
	s_wait_loadcnt_dscnt 0xa01
	v_mul_f64_e32 v[163:164], v[40:41], v[4:5]
	v_mul_f64_e32 v[4:5], v[38:39], v[4:5]
	s_wait_loadcnt_dscnt 0x900
	v_mul_f64_e32 v[167:168], v[42:43], v[8:9]
	v_mul_f64_e32 v[8:9], v[44:45], v[8:9]
	s_delay_alu instid0(VALU_DEP_4) | instskip(NEXT) | instid1(VALU_DEP_4)
	v_fma_f64 v[169:170], v[38:39], v[2:3], -v[163:164]
	v_fma_f64 v[171:172], v[40:41], v[2:3], v[4:5]
	ds_load_b128 v[2:5], v1 offset:1184
	ds_load_b128 v[163:166], v1 offset:1200
	scratch_load_b128 v[38:41], off, off offset:464
	v_fma_f64 v[44:45], v[44:45], v[6:7], v[167:168]
	v_fma_f64 v[42:43], v[42:43], v[6:7], -v[8:9]
	scratch_load_b128 v[6:9], off, off offset:480
	s_wait_loadcnt_dscnt 0xa01
	v_mul_f64_e32 v[173:174], v[2:3], v[12:13]
	v_mul_f64_e32 v[12:13], v[4:5], v[12:13]
	v_add_f64_e32 v[167:168], 0, v[169:170]
	v_add_f64_e32 v[169:170], 0, v[171:172]
	s_wait_loadcnt_dscnt 0x900
	v_mul_f64_e32 v[171:172], v[163:164], v[16:17]
	v_mul_f64_e32 v[16:17], v[165:166], v[16:17]
	v_fma_f64 v[173:174], v[4:5], v[10:11], v[173:174]
	v_fma_f64 v[175:176], v[2:3], v[10:11], -v[12:13]
	ds_load_b128 v[2:5], v1 offset:1216
	scratch_load_b128 v[10:13], off, off offset:496
	v_add_f64_e32 v[167:168], v[167:168], v[42:43]
	v_add_f64_e32 v[169:170], v[169:170], v[44:45]
	ds_load_b128 v[42:45], v1 offset:1232
	v_fma_f64 v[165:166], v[165:166], v[14:15], v[171:172]
	v_fma_f64 v[163:164], v[163:164], v[14:15], -v[16:17]
	scratch_load_b128 v[14:17], off, off offset:512
	s_wait_loadcnt_dscnt 0xa01
	v_mul_f64_e32 v[177:178], v[2:3], v[20:21]
	v_mul_f64_e32 v[20:21], v[4:5], v[20:21]
	s_wait_loadcnt_dscnt 0x900
	v_mul_f64_e32 v[171:172], v[42:43], v[24:25]
	v_mul_f64_e32 v[24:25], v[44:45], v[24:25]
	v_add_f64_e32 v[167:168], v[167:168], v[175:176]
	v_add_f64_e32 v[169:170], v[169:170], v[173:174]
	v_fma_f64 v[173:174], v[4:5], v[18:19], v[177:178]
	v_fma_f64 v[175:176], v[2:3], v[18:19], -v[20:21]
	ds_load_b128 v[2:5], v1 offset:1248
	scratch_load_b128 v[18:21], off, off offset:528
	v_fma_f64 v[44:45], v[44:45], v[22:23], v[171:172]
	v_fma_f64 v[42:43], v[42:43], v[22:23], -v[24:25]
	scratch_load_b128 v[22:25], off, off offset:544
	v_add_f64_e32 v[167:168], v[167:168], v[163:164]
	v_add_f64_e32 v[169:170], v[169:170], v[165:166]
	ds_load_b128 v[163:166], v1 offset:1264
	s_wait_loadcnt_dscnt 0xa01
	v_mul_f64_e32 v[177:178], v[2:3], v[28:29]
	v_mul_f64_e32 v[28:29], v[4:5], v[28:29]
	s_wait_loadcnt_dscnt 0x900
	v_mul_f64_e32 v[171:172], v[163:164], v[32:33]
	v_mul_f64_e32 v[32:33], v[165:166], v[32:33]
	v_add_f64_e32 v[167:168], v[167:168], v[175:176]
	v_add_f64_e32 v[169:170], v[169:170], v[173:174]
	v_fma_f64 v[173:174], v[4:5], v[26:27], v[177:178]
	v_fma_f64 v[175:176], v[2:3], v[26:27], -v[28:29]
	ds_load_b128 v[2:5], v1 offset:1280
	scratch_load_b128 v[26:29], off, off offset:560
	v_fma_f64 v[165:166], v[165:166], v[30:31], v[171:172]
	v_fma_f64 v[163:164], v[163:164], v[30:31], -v[32:33]
	scratch_load_b128 v[30:33], off, off offset:576
	v_add_f64_e32 v[167:168], v[167:168], v[42:43]
	v_add_f64_e32 v[169:170], v[169:170], v[44:45]
	ds_load_b128 v[42:45], v1 offset:1296
	s_wait_loadcnt_dscnt 0xa01
	v_mul_f64_e32 v[177:178], v[2:3], v[36:37]
	v_mul_f64_e32 v[36:37], v[4:5], v[36:37]
	s_wait_loadcnt_dscnt 0x800
	v_mul_f64_e32 v[171:172], v[42:43], v[161:162]
	v_add_f64_e32 v[167:168], v[167:168], v[175:176]
	v_add_f64_e32 v[169:170], v[169:170], v[173:174]
	v_mul_f64_e32 v[173:174], v[44:45], v[161:162]
	v_fma_f64 v[175:176], v[4:5], v[34:35], v[177:178]
	v_fma_f64 v[177:178], v[2:3], v[34:35], -v[36:37]
	ds_load_b128 v[2:5], v1 offset:1312
	scratch_load_b128 v[34:37], off, off offset:592
	v_fma_f64 v[44:45], v[44:45], v[159:160], v[171:172]
	v_add_f64_e32 v[167:168], v[167:168], v[163:164]
	v_add_f64_e32 v[165:166], v[169:170], v[165:166]
	ds_load_b128 v[161:164], v1 offset:1328
	v_fma_f64 v[159:160], v[42:43], v[159:160], -v[173:174]
	s_wait_loadcnt_dscnt 0x801
	v_mul_f64_e32 v[169:170], v[2:3], v[40:41]
	v_mul_f64_e32 v[179:180], v[4:5], v[40:41]
	scratch_load_b128 v[40:43], off, off offset:608
	s_wait_loadcnt_dscnt 0x800
	v_mul_f64_e32 v[173:174], v[161:162], v[8:9]
	v_mul_f64_e32 v[8:9], v[163:164], v[8:9]
	v_add_f64_e32 v[167:168], v[167:168], v[177:178]
	v_add_f64_e32 v[165:166], v[165:166], v[175:176]
	v_fma_f64 v[175:176], v[4:5], v[38:39], v[169:170]
	v_fma_f64 v[38:39], v[2:3], v[38:39], -v[179:180]
	ds_load_b128 v[2:5], v1 offset:1344
	ds_load_b128 v[169:172], v1 offset:1360
	v_fma_f64 v[163:164], v[163:164], v[6:7], v[173:174]
	v_fma_f64 v[161:162], v[161:162], v[6:7], -v[8:9]
	scratch_load_b128 v[6:9], off, off offset:640
	v_add_f64_e32 v[159:160], v[167:168], v[159:160]
	v_add_f64_e32 v[44:45], v[165:166], v[44:45]
	scratch_load_b128 v[165:168], off, off offset:624
	s_wait_loadcnt_dscnt 0x901
	v_mul_f64_e32 v[177:178], v[2:3], v[12:13]
	v_mul_f64_e32 v[12:13], v[4:5], v[12:13]
	s_wait_loadcnt_dscnt 0x800
	v_mul_f64_e32 v[173:174], v[169:170], v[16:17]
	v_mul_f64_e32 v[16:17], v[171:172], v[16:17]
	v_add_f64_e32 v[38:39], v[159:160], v[38:39]
	v_add_f64_e32 v[44:45], v[44:45], v[175:176]
	v_fma_f64 v[175:176], v[4:5], v[10:11], v[177:178]
	v_fma_f64 v[177:178], v[2:3], v[10:11], -v[12:13]
	ds_load_b128 v[2:5], v1 offset:1376
	scratch_load_b128 v[10:13], off, off offset:656
	v_fma_f64 v[171:172], v[171:172], v[14:15], v[173:174]
	v_fma_f64 v[169:170], v[169:170], v[14:15], -v[16:17]
	scratch_load_b128 v[14:17], off, off offset:672
	v_add_f64_e32 v[38:39], v[38:39], v[161:162]
	v_add_f64_e32 v[44:45], v[44:45], v[163:164]
	ds_load_b128 v[159:162], v1 offset:1392
	s_wait_loadcnt_dscnt 0x901
	v_mul_f64_e32 v[163:164], v[2:3], v[20:21]
	v_mul_f64_e32 v[20:21], v[4:5], v[20:21]
	s_wait_loadcnt_dscnt 0x800
	v_mul_f64_e32 v[173:174], v[159:160], v[24:25]
	v_mul_f64_e32 v[24:25], v[161:162], v[24:25]
	v_add_f64_e32 v[38:39], v[38:39], v[177:178]
	v_add_f64_e32 v[44:45], v[44:45], v[175:176]
	v_fma_f64 v[163:164], v[4:5], v[18:19], v[163:164]
	v_fma_f64 v[175:176], v[2:3], v[18:19], -v[20:21]
	ds_load_b128 v[2:5], v1 offset:1408
	scratch_load_b128 v[18:21], off, off offset:688
	v_fma_f64 v[161:162], v[161:162], v[22:23], v[173:174]
	v_fma_f64 v[159:160], v[159:160], v[22:23], -v[24:25]
	scratch_load_b128 v[22:25], off, off offset:704
	v_add_f64_e32 v[38:39], v[38:39], v[169:170]
	v_add_f64_e32 v[44:45], v[44:45], v[171:172]
	ds_load_b128 v[169:172], v1 offset:1424
	s_wait_loadcnt_dscnt 0x901
	v_mul_f64_e32 v[177:178], v[2:3], v[28:29]
	v_mul_f64_e32 v[28:29], v[4:5], v[28:29]
	v_add_f64_e32 v[38:39], v[38:39], v[175:176]
	v_add_f64_e32 v[44:45], v[44:45], v[163:164]
	s_wait_loadcnt_dscnt 0x800
	v_mul_f64_e32 v[163:164], v[169:170], v[32:33]
	v_mul_f64_e32 v[32:33], v[171:172], v[32:33]
	v_fma_f64 v[173:174], v[4:5], v[26:27], v[177:178]
	v_fma_f64 v[175:176], v[2:3], v[26:27], -v[28:29]
	ds_load_b128 v[2:5], v1 offset:1440
	scratch_load_b128 v[26:29], off, off offset:720
	v_add_f64_e32 v[38:39], v[38:39], v[159:160]
	v_add_f64_e32 v[44:45], v[44:45], v[161:162]
	ds_load_b128 v[159:162], v1 offset:1456
	s_wait_loadcnt_dscnt 0x801
	v_mul_f64_e32 v[177:178], v[2:3], v[36:37]
	v_mul_f64_e32 v[36:37], v[4:5], v[36:37]
	v_fma_f64 v[163:164], v[171:172], v[30:31], v[163:164]
	v_fma_f64 v[169:170], v[169:170], v[30:31], -v[32:33]
	scratch_load_b128 v[30:33], off, off offset:736
	s_wait_loadcnt_dscnt 0x800
	v_mul_f64_e32 v[171:172], v[159:160], v[42:43]
	v_add_f64_e32 v[38:39], v[38:39], v[175:176]
	v_add_f64_e32 v[44:45], v[44:45], v[173:174]
	v_mul_f64_e32 v[173:174], v[161:162], v[42:43]
	v_fma_f64 v[175:176], v[4:5], v[34:35], v[177:178]
	v_fma_f64 v[177:178], v[2:3], v[34:35], -v[36:37]
	ds_load_b128 v[2:5], v1 offset:1472
	scratch_load_b128 v[34:37], off, off offset:752
	v_fma_f64 v[161:162], v[161:162], v[40:41], v[171:172]
	v_add_f64_e32 v[38:39], v[38:39], v[169:170]
	v_add_f64_e32 v[163:164], v[44:45], v[163:164]
	ds_load_b128 v[42:45], v1 offset:1488
	v_fma_f64 v[159:160], v[159:160], v[40:41], -v[173:174]
	s_wait_loadcnt_dscnt 0x701
	v_mul_f64_e32 v[169:170], v[2:3], v[167:168]
	v_mul_f64_e32 v[167:168], v[4:5], v[167:168]
	s_wait_dscnt 0x0
	v_mul_f64_e32 v[173:174], v[42:43], v[8:9]
	v_mul_f64_e32 v[8:9], v[44:45], v[8:9]
	v_add_f64_e32 v[171:172], v[38:39], v[177:178]
	v_add_f64_e32 v[163:164], v[163:164], v[175:176]
	scratch_load_b128 v[38:41], off, off offset:768
	v_fma_f64 v[169:170], v[4:5], v[165:166], v[169:170]
	v_fma_f64 v[167:168], v[2:3], v[165:166], -v[167:168]
	ds_load_b128 v[2:5], v1 offset:1504
	v_fma_f64 v[44:45], v[44:45], v[6:7], v[173:174]
	v_fma_f64 v[42:43], v[42:43], v[6:7], -v[8:9]
	scratch_load_b128 v[6:9], off, off offset:800
	v_add_f64_e32 v[171:172], v[171:172], v[159:160]
	v_add_f64_e32 v[175:176], v[163:164], v[161:162]
	scratch_load_b128 v[159:162], off, off offset:784
	ds_load_b128 v[163:166], v1 offset:1520
	s_wait_loadcnt_dscnt 0x901
	v_mul_f64_e32 v[177:178], v[2:3], v[12:13]
	v_mul_f64_e32 v[12:13], v[4:5], v[12:13]
	v_add_f64_e32 v[167:168], v[171:172], v[167:168]
	v_add_f64_e32 v[169:170], v[175:176], v[169:170]
	s_wait_loadcnt_dscnt 0x800
	v_mul_f64_e32 v[171:172], v[163:164], v[16:17]
	v_mul_f64_e32 v[16:17], v[165:166], v[16:17]
	v_fma_f64 v[173:174], v[4:5], v[10:11], v[177:178]
	v_fma_f64 v[175:176], v[2:3], v[10:11], -v[12:13]
	ds_load_b128 v[2:5], v1 offset:1536
	scratch_load_b128 v[10:13], off, off offset:816
	v_add_f64_e32 v[167:168], v[167:168], v[42:43]
	v_add_f64_e32 v[169:170], v[169:170], v[44:45]
	ds_load_b128 v[42:45], v1 offset:1552
	s_wait_loadcnt_dscnt 0x801
	v_mul_f64_e32 v[177:178], v[2:3], v[20:21]
	v_mul_f64_e32 v[20:21], v[4:5], v[20:21]
	v_fma_f64 v[165:166], v[165:166], v[14:15], v[171:172]
	v_fma_f64 v[163:164], v[163:164], v[14:15], -v[16:17]
	scratch_load_b128 v[14:17], off, off offset:832
	s_wait_loadcnt_dscnt 0x800
	v_mul_f64_e32 v[171:172], v[42:43], v[24:25]
	v_mul_f64_e32 v[24:25], v[44:45], v[24:25]
	v_add_f64_e32 v[167:168], v[167:168], v[175:176]
	v_add_f64_e32 v[169:170], v[169:170], v[173:174]
	v_fma_f64 v[173:174], v[4:5], v[18:19], v[177:178]
	v_fma_f64 v[175:176], v[2:3], v[18:19], -v[20:21]
	ds_load_b128 v[2:5], v1 offset:1568
	scratch_load_b128 v[18:21], off, off offset:848
	v_fma_f64 v[44:45], v[44:45], v[22:23], v[171:172]
	v_fma_f64 v[42:43], v[42:43], v[22:23], -v[24:25]
	scratch_load_b128 v[22:25], off, off offset:864
	v_add_f64_e32 v[167:168], v[167:168], v[163:164]
	v_add_f64_e32 v[169:170], v[169:170], v[165:166]
	ds_load_b128 v[163:166], v1 offset:1584
	s_wait_loadcnt_dscnt 0x901
	v_mul_f64_e32 v[177:178], v[2:3], v[28:29]
	v_mul_f64_e32 v[28:29], v[4:5], v[28:29]
	s_wait_loadcnt_dscnt 0x800
	v_mul_f64_e32 v[171:172], v[163:164], v[32:33]
	v_mul_f64_e32 v[32:33], v[165:166], v[32:33]
	v_add_f64_e32 v[167:168], v[167:168], v[175:176]
	v_add_f64_e32 v[169:170], v[169:170], v[173:174]
	v_fma_f64 v[173:174], v[4:5], v[26:27], v[177:178]
	v_fma_f64 v[175:176], v[2:3], v[26:27], -v[28:29]
	ds_load_b128 v[2:5], v1 offset:1600
	ds_load_b128 v[26:29], v1 offset:1616
	v_fma_f64 v[165:166], v[165:166], v[30:31], v[171:172]
	v_fma_f64 v[30:31], v[163:164], v[30:31], -v[32:33]
	v_add_f64_e32 v[42:43], v[167:168], v[42:43]
	v_add_f64_e32 v[44:45], v[169:170], v[44:45]
	s_wait_loadcnt_dscnt 0x701
	v_mul_f64_e32 v[167:168], v[2:3], v[36:37]
	v_mul_f64_e32 v[36:37], v[4:5], v[36:37]
	s_delay_alu instid0(VALU_DEP_4) | instskip(NEXT) | instid1(VALU_DEP_4)
	v_add_f64_e32 v[32:33], v[42:43], v[175:176]
	v_add_f64_e32 v[42:43], v[44:45], v[173:174]
	s_delay_alu instid0(VALU_DEP_4) | instskip(NEXT) | instid1(VALU_DEP_4)
	v_fma_f64 v[163:164], v[4:5], v[34:35], v[167:168]
	v_fma_f64 v[34:35], v[2:3], v[34:35], -v[36:37]
	s_wait_loadcnt_dscnt 0x600
	v_mul_f64_e32 v[44:45], v[26:27], v[40:41]
	v_mul_f64_e32 v[40:41], v[28:29], v[40:41]
	v_add_f64_e32 v[36:37], v[32:33], v[30:31]
	v_add_f64_e32 v[42:43], v[42:43], v[165:166]
	ds_load_b128 v[2:5], v1 offset:1632
	ds_load_b128 v[30:33], v1 offset:1648
	v_fma_f64 v[28:29], v[28:29], v[38:39], v[44:45]
	v_fma_f64 v[26:27], v[26:27], v[38:39], -v[40:41]
	s_wait_loadcnt_dscnt 0x401
	v_mul_f64_e32 v[165:166], v[2:3], v[161:162]
	v_mul_f64_e32 v[161:162], v[4:5], v[161:162]
	s_wait_dscnt 0x0
	v_mul_f64_e32 v[38:39], v[30:31], v[8:9]
	v_mul_f64_e32 v[8:9], v[32:33], v[8:9]
	v_add_f64_e32 v[34:35], v[36:37], v[34:35]
	v_add_f64_e32 v[36:37], v[42:43], v[163:164]
	v_fma_f64 v[40:41], v[4:5], v[159:160], v[165:166]
	v_fma_f64 v[42:43], v[2:3], v[159:160], -v[161:162]
	v_fma_f64 v[32:33], v[32:33], v[6:7], v[38:39]
	v_fma_f64 v[6:7], v[30:31], v[6:7], -v[8:9]
	v_add_f64_e32 v[34:35], v[34:35], v[26:27]
	v_add_f64_e32 v[36:37], v[36:37], v[28:29]
	ds_load_b128 v[2:5], v1 offset:1664
	ds_load_b128 v[26:29], v1 offset:1680
	s_wait_loadcnt_dscnt 0x301
	v_mul_f64_e32 v[44:45], v[2:3], v[12:13]
	v_mul_f64_e32 v[12:13], v[4:5], v[12:13]
	v_add_f64_e32 v[8:9], v[34:35], v[42:43]
	v_add_f64_e32 v[30:31], v[36:37], v[40:41]
	s_wait_loadcnt_dscnt 0x200
	v_mul_f64_e32 v[34:35], v[26:27], v[16:17]
	v_mul_f64_e32 v[16:17], v[28:29], v[16:17]
	v_fma_f64 v[36:37], v[4:5], v[10:11], v[44:45]
	v_fma_f64 v[10:11], v[2:3], v[10:11], -v[12:13]
	v_add_f64_e32 v[12:13], v[8:9], v[6:7]
	v_add_f64_e32 v[30:31], v[30:31], v[32:33]
	ds_load_b128 v[2:5], v1 offset:1696
	ds_load_b128 v[6:9], v1 offset:1712
	v_fma_f64 v[28:29], v[28:29], v[14:15], v[34:35]
	v_fma_f64 v[14:15], v[26:27], v[14:15], -v[16:17]
	s_wait_loadcnt_dscnt 0x101
	v_mul_f64_e32 v[32:33], v[2:3], v[20:21]
	v_mul_f64_e32 v[20:21], v[4:5], v[20:21]
	s_wait_loadcnt_dscnt 0x0
	v_mul_f64_e32 v[16:17], v[6:7], v[24:25]
	v_mul_f64_e32 v[24:25], v[8:9], v[24:25]
	v_add_f64_e32 v[10:11], v[12:13], v[10:11]
	v_add_f64_e32 v[12:13], v[30:31], v[36:37]
	v_fma_f64 v[4:5], v[4:5], v[18:19], v[32:33]
	v_fma_f64 v[1:2], v[2:3], v[18:19], -v[20:21]
	v_fma_f64 v[8:9], v[8:9], v[22:23], v[16:17]
	v_fma_f64 v[6:7], v[6:7], v[22:23], -v[24:25]
	v_add_f64_e32 v[10:11], v[10:11], v[14:15]
	v_add_f64_e32 v[12:13], v[12:13], v[28:29]
	s_delay_alu instid0(VALU_DEP_2) | instskip(NEXT) | instid1(VALU_DEP_2)
	v_add_f64_e32 v[1:2], v[10:11], v[1:2]
	v_add_f64_e32 v[3:4], v[12:13], v[4:5]
	s_delay_alu instid0(VALU_DEP_2) | instskip(NEXT) | instid1(VALU_DEP_2)
	;; [unrolled: 3-line block ×3, first 2 shown]
	v_add_f64_e64 v[1:2], v[155:156], -v[1:2]
	v_add_f64_e64 v[3:4], v[157:158], -v[3:4]
	scratch_store_b128 off, v[1:4], off offset:288
	v_cmpx_lt_u32_e32 16, v0
	s_cbranch_execz .LBB117_305
; %bb.304:
	scratch_load_b128 v[1:4], off, s51
	v_mov_b32_e32 v5, 0
	s_delay_alu instid0(VALU_DEP_1)
	v_dual_mov_b32 v6, v5 :: v_dual_mov_b32 v7, v5
	v_mov_b32_e32 v8, v5
	scratch_store_b128 off, v[5:8], off offset:272
	s_wait_loadcnt 0x0
	ds_store_b128 v154, v[1:4]
.LBB117_305:
	s_wait_alu 0xfffe
	s_or_b32 exec_lo, exec_lo, s0
	s_wait_storecnt_dscnt 0x0
	s_barrier_signal -1
	s_barrier_wait -1
	global_inv scope:SCOPE_SE
	s_clause 0x7
	scratch_load_b128 v[2:5], off, off offset:288
	scratch_load_b128 v[6:9], off, off offset:304
	;; [unrolled: 1-line block ×8, first 2 shown]
	v_mov_b32_e32 v1, 0
	s_mov_b32 s0, exec_lo
	ds_load_b128 v[38:41], v1 offset:1136
	s_clause 0x1
	scratch_load_b128 v[34:37], off, off offset:416
	scratch_load_b128 v[42:45], off, off offset:272
	ds_load_b128 v[155:158], v1 offset:1152
	scratch_load_b128 v[159:162], off, off offset:432
	s_wait_loadcnt_dscnt 0xa01
	v_mul_f64_e32 v[163:164], v[40:41], v[4:5]
	v_mul_f64_e32 v[4:5], v[38:39], v[4:5]
	s_delay_alu instid0(VALU_DEP_2) | instskip(NEXT) | instid1(VALU_DEP_2)
	v_fma_f64 v[169:170], v[38:39], v[2:3], -v[163:164]
	v_fma_f64 v[171:172], v[40:41], v[2:3], v[4:5]
	ds_load_b128 v[2:5], v1 offset:1168
	s_wait_loadcnt_dscnt 0x901
	v_mul_f64_e32 v[167:168], v[155:156], v[8:9]
	v_mul_f64_e32 v[8:9], v[157:158], v[8:9]
	scratch_load_b128 v[38:41], off, off offset:448
	ds_load_b128 v[163:166], v1 offset:1184
	s_wait_loadcnt_dscnt 0x901
	v_mul_f64_e32 v[173:174], v[2:3], v[12:13]
	v_mul_f64_e32 v[12:13], v[4:5], v[12:13]
	v_fma_f64 v[157:158], v[157:158], v[6:7], v[167:168]
	v_fma_f64 v[155:156], v[155:156], v[6:7], -v[8:9]
	v_add_f64_e32 v[167:168], 0, v[169:170]
	v_add_f64_e32 v[169:170], 0, v[171:172]
	scratch_load_b128 v[6:9], off, off offset:464
	v_fma_f64 v[173:174], v[4:5], v[10:11], v[173:174]
	v_fma_f64 v[175:176], v[2:3], v[10:11], -v[12:13]
	ds_load_b128 v[2:5], v1 offset:1200
	s_wait_loadcnt_dscnt 0x901
	v_mul_f64_e32 v[171:172], v[163:164], v[16:17]
	v_mul_f64_e32 v[16:17], v[165:166], v[16:17]
	scratch_load_b128 v[10:13], off, off offset:480
	v_add_f64_e32 v[167:168], v[167:168], v[155:156]
	v_add_f64_e32 v[169:170], v[169:170], v[157:158]
	s_wait_loadcnt_dscnt 0x900
	v_mul_f64_e32 v[177:178], v[2:3], v[20:21]
	v_mul_f64_e32 v[20:21], v[4:5], v[20:21]
	ds_load_b128 v[155:158], v1 offset:1216
	v_fma_f64 v[165:166], v[165:166], v[14:15], v[171:172]
	v_fma_f64 v[163:164], v[163:164], v[14:15], -v[16:17]
	scratch_load_b128 v[14:17], off, off offset:496
	v_add_f64_e32 v[167:168], v[167:168], v[175:176]
	v_add_f64_e32 v[169:170], v[169:170], v[173:174]
	v_fma_f64 v[173:174], v[4:5], v[18:19], v[177:178]
	v_fma_f64 v[175:176], v[2:3], v[18:19], -v[20:21]
	ds_load_b128 v[2:5], v1 offset:1232
	s_wait_loadcnt_dscnt 0x901
	v_mul_f64_e32 v[171:172], v[155:156], v[24:25]
	v_mul_f64_e32 v[24:25], v[157:158], v[24:25]
	scratch_load_b128 v[18:21], off, off offset:512
	s_wait_loadcnt_dscnt 0x900
	v_mul_f64_e32 v[177:178], v[2:3], v[28:29]
	v_mul_f64_e32 v[28:29], v[4:5], v[28:29]
	v_add_f64_e32 v[167:168], v[167:168], v[163:164]
	v_add_f64_e32 v[169:170], v[169:170], v[165:166]
	ds_load_b128 v[163:166], v1 offset:1248
	v_fma_f64 v[157:158], v[157:158], v[22:23], v[171:172]
	v_fma_f64 v[155:156], v[155:156], v[22:23], -v[24:25]
	scratch_load_b128 v[22:25], off, off offset:528
	v_add_f64_e32 v[167:168], v[167:168], v[175:176]
	v_add_f64_e32 v[169:170], v[169:170], v[173:174]
	v_fma_f64 v[173:174], v[4:5], v[26:27], v[177:178]
	v_fma_f64 v[175:176], v[2:3], v[26:27], -v[28:29]
	ds_load_b128 v[2:5], v1 offset:1264
	s_wait_loadcnt_dscnt 0x901
	v_mul_f64_e32 v[171:172], v[163:164], v[32:33]
	v_mul_f64_e32 v[32:33], v[165:166], v[32:33]
	scratch_load_b128 v[26:29], off, off offset:544
	s_wait_loadcnt_dscnt 0x900
	v_mul_f64_e32 v[177:178], v[2:3], v[36:37]
	v_mul_f64_e32 v[36:37], v[4:5], v[36:37]
	v_add_f64_e32 v[167:168], v[167:168], v[155:156]
	v_add_f64_e32 v[169:170], v[169:170], v[157:158]
	ds_load_b128 v[155:158], v1 offset:1280
	v_fma_f64 v[165:166], v[165:166], v[30:31], v[171:172]
	v_fma_f64 v[163:164], v[163:164], v[30:31], -v[32:33]
	scratch_load_b128 v[30:33], off, off offset:560
	v_add_f64_e32 v[167:168], v[167:168], v[175:176]
	v_add_f64_e32 v[169:170], v[169:170], v[173:174]
	v_fma_f64 v[175:176], v[4:5], v[34:35], v[177:178]
	v_fma_f64 v[177:178], v[2:3], v[34:35], -v[36:37]
	ds_load_b128 v[2:5], v1 offset:1296
	s_wait_loadcnt_dscnt 0x801
	v_mul_f64_e32 v[171:172], v[155:156], v[161:162]
	v_mul_f64_e32 v[173:174], v[157:158], v[161:162]
	scratch_load_b128 v[34:37], off, off offset:576
	v_add_f64_e32 v[167:168], v[167:168], v[163:164]
	v_add_f64_e32 v[165:166], v[169:170], v[165:166]
	ds_load_b128 v[161:164], v1 offset:1312
	v_fma_f64 v[171:172], v[157:158], v[159:160], v[171:172]
	v_fma_f64 v[159:160], v[155:156], v[159:160], -v[173:174]
	scratch_load_b128 v[155:158], off, off offset:592
	s_wait_loadcnt_dscnt 0x901
	v_mul_f64_e32 v[169:170], v[2:3], v[40:41]
	v_mul_f64_e32 v[40:41], v[4:5], v[40:41]
	v_add_f64_e32 v[167:168], v[167:168], v[177:178]
	v_add_f64_e32 v[165:166], v[165:166], v[175:176]
	s_delay_alu instid0(VALU_DEP_4) | instskip(NEXT) | instid1(VALU_DEP_4)
	v_fma_f64 v[169:170], v[4:5], v[38:39], v[169:170]
	v_fma_f64 v[175:176], v[2:3], v[38:39], -v[40:41]
	ds_load_b128 v[2:5], v1 offset:1328
	s_wait_loadcnt_dscnt 0x801
	v_mul_f64_e32 v[173:174], v[161:162], v[8:9]
	v_mul_f64_e32 v[8:9], v[163:164], v[8:9]
	scratch_load_b128 v[38:41], off, off offset:608
	s_wait_loadcnt_dscnt 0x800
	v_mul_f64_e32 v[177:178], v[2:3], v[12:13]
	v_add_f64_e32 v[159:160], v[167:168], v[159:160]
	v_add_f64_e32 v[171:172], v[165:166], v[171:172]
	v_mul_f64_e32 v[12:13], v[4:5], v[12:13]
	ds_load_b128 v[165:168], v1 offset:1344
	v_fma_f64 v[163:164], v[163:164], v[6:7], v[173:174]
	v_fma_f64 v[161:162], v[161:162], v[6:7], -v[8:9]
	scratch_load_b128 v[6:9], off, off offset:624
	v_fma_f64 v[173:174], v[4:5], v[10:11], v[177:178]
	v_add_f64_e32 v[159:160], v[159:160], v[175:176]
	v_add_f64_e32 v[169:170], v[171:172], v[169:170]
	v_fma_f64 v[175:176], v[2:3], v[10:11], -v[12:13]
	ds_load_b128 v[2:5], v1 offset:1360
	s_wait_loadcnt_dscnt 0x801
	v_mul_f64_e32 v[171:172], v[165:166], v[16:17]
	v_mul_f64_e32 v[16:17], v[167:168], v[16:17]
	scratch_load_b128 v[10:13], off, off offset:640
	v_add_f64_e32 v[177:178], v[159:160], v[161:162]
	v_add_f64_e32 v[163:164], v[169:170], v[163:164]
	s_wait_loadcnt_dscnt 0x800
	v_mul_f64_e32 v[169:170], v[2:3], v[20:21]
	v_mul_f64_e32 v[20:21], v[4:5], v[20:21]
	v_fma_f64 v[167:168], v[167:168], v[14:15], v[171:172]
	v_fma_f64 v[165:166], v[165:166], v[14:15], -v[16:17]
	ds_load_b128 v[159:162], v1 offset:1376
	scratch_load_b128 v[14:17], off, off offset:656
	v_add_f64_e32 v[171:172], v[177:178], v[175:176]
	v_add_f64_e32 v[163:164], v[163:164], v[173:174]
	v_fma_f64 v[169:170], v[4:5], v[18:19], v[169:170]
	v_fma_f64 v[175:176], v[2:3], v[18:19], -v[20:21]
	ds_load_b128 v[2:5], v1 offset:1392
	s_wait_loadcnt_dscnt 0x801
	v_mul_f64_e32 v[173:174], v[159:160], v[24:25]
	v_mul_f64_e32 v[24:25], v[161:162], v[24:25]
	scratch_load_b128 v[18:21], off, off offset:672
	s_wait_loadcnt_dscnt 0x800
	v_mul_f64_e32 v[177:178], v[2:3], v[28:29]
	v_mul_f64_e32 v[28:29], v[4:5], v[28:29]
	v_add_f64_e32 v[171:172], v[171:172], v[165:166]
	v_add_f64_e32 v[167:168], v[163:164], v[167:168]
	ds_load_b128 v[163:166], v1 offset:1408
	v_fma_f64 v[161:162], v[161:162], v[22:23], v[173:174]
	v_fma_f64 v[159:160], v[159:160], v[22:23], -v[24:25]
	scratch_load_b128 v[22:25], off, off offset:688
	v_fma_f64 v[173:174], v[4:5], v[26:27], v[177:178]
	v_add_f64_e32 v[171:172], v[171:172], v[175:176]
	v_add_f64_e32 v[167:168], v[167:168], v[169:170]
	v_fma_f64 v[175:176], v[2:3], v[26:27], -v[28:29]
	ds_load_b128 v[2:5], v1 offset:1424
	s_wait_loadcnt_dscnt 0x801
	v_mul_f64_e32 v[169:170], v[163:164], v[32:33]
	v_mul_f64_e32 v[32:33], v[165:166], v[32:33]
	scratch_load_b128 v[26:29], off, off offset:704
	s_wait_loadcnt_dscnt 0x800
	v_mul_f64_e32 v[177:178], v[2:3], v[36:37]
	v_mul_f64_e32 v[36:37], v[4:5], v[36:37]
	v_add_f64_e32 v[171:172], v[171:172], v[159:160]
	v_add_f64_e32 v[167:168], v[167:168], v[161:162]
	ds_load_b128 v[159:162], v1 offset:1440
	v_fma_f64 v[165:166], v[165:166], v[30:31], v[169:170]
	v_fma_f64 v[163:164], v[163:164], v[30:31], -v[32:33]
	scratch_load_b128 v[30:33], off, off offset:720
	v_add_f64_e32 v[169:170], v[171:172], v[175:176]
	v_add_f64_e32 v[167:168], v[167:168], v[173:174]
	v_fma_f64 v[173:174], v[4:5], v[34:35], v[177:178]
	v_fma_f64 v[175:176], v[2:3], v[34:35], -v[36:37]
	ds_load_b128 v[2:5], v1 offset:1456
	s_wait_loadcnt_dscnt 0x801
	v_mul_f64_e32 v[171:172], v[159:160], v[157:158]
	v_mul_f64_e32 v[157:158], v[161:162], v[157:158]
	scratch_load_b128 v[34:37], off, off offset:736
	s_wait_loadcnt_dscnt 0x800
	v_mul_f64_e32 v[177:178], v[2:3], v[40:41]
	v_mul_f64_e32 v[40:41], v[4:5], v[40:41]
	v_add_f64_e32 v[169:170], v[169:170], v[163:164]
	v_add_f64_e32 v[167:168], v[167:168], v[165:166]
	ds_load_b128 v[163:166], v1 offset:1472
	v_fma_f64 v[161:162], v[161:162], v[155:156], v[171:172]
	v_fma_f64 v[159:160], v[159:160], v[155:156], -v[157:158]
	scratch_load_b128 v[155:158], off, off offset:752
	v_add_f64_e32 v[169:170], v[169:170], v[175:176]
	v_add_f64_e32 v[167:168], v[167:168], v[173:174]
	v_fma_f64 v[173:174], v[4:5], v[38:39], v[177:178]
	;; [unrolled: 18-line block ×5, first 2 shown]
	v_fma_f64 v[175:176], v[2:3], v[26:27], -v[28:29]
	ds_load_b128 v[2:5], v1 offset:1584
	s_wait_loadcnt_dscnt 0x801
	v_mul_f64_e32 v[171:172], v[159:160], v[32:33]
	v_mul_f64_e32 v[32:33], v[161:162], v[32:33]
	scratch_load_b128 v[26:29], off, off offset:864
	s_wait_loadcnt_dscnt 0x800
	v_mul_f64_e32 v[177:178], v[2:3], v[36:37]
	v_mul_f64_e32 v[36:37], v[4:5], v[36:37]
	v_add_f64_e32 v[169:170], v[169:170], v[163:164]
	v_add_f64_e32 v[167:168], v[167:168], v[165:166]
	ds_load_b128 v[163:166], v1 offset:1600
	v_fma_f64 v[161:162], v[161:162], v[30:31], v[171:172]
	v_fma_f64 v[30:31], v[159:160], v[30:31], -v[32:33]
	v_add_f64_e32 v[32:33], v[169:170], v[175:176]
	v_add_f64_e32 v[159:160], v[167:168], v[173:174]
	s_wait_loadcnt_dscnt 0x700
	v_mul_f64_e32 v[167:168], v[163:164], v[157:158]
	v_mul_f64_e32 v[157:158], v[165:166], v[157:158]
	v_fma_f64 v[169:170], v[4:5], v[34:35], v[177:178]
	v_fma_f64 v[34:35], v[2:3], v[34:35], -v[36:37]
	v_add_f64_e32 v[36:37], v[32:33], v[30:31]
	v_add_f64_e32 v[159:160], v[159:160], v[161:162]
	ds_load_b128 v[2:5], v1 offset:1616
	ds_load_b128 v[30:33], v1 offset:1632
	v_fma_f64 v[165:166], v[165:166], v[155:156], v[167:168]
	v_fma_f64 v[155:156], v[163:164], v[155:156], -v[157:158]
	s_wait_loadcnt_dscnt 0x601
	v_mul_f64_e32 v[161:162], v[2:3], v[40:41]
	v_mul_f64_e32 v[40:41], v[4:5], v[40:41]
	s_wait_loadcnt_dscnt 0x500
	v_mul_f64_e32 v[157:158], v[30:31], v[8:9]
	v_mul_f64_e32 v[8:9], v[32:33], v[8:9]
	v_add_f64_e32 v[34:35], v[36:37], v[34:35]
	v_add_f64_e32 v[36:37], v[159:160], v[169:170]
	v_fma_f64 v[159:160], v[4:5], v[38:39], v[161:162]
	v_fma_f64 v[38:39], v[2:3], v[38:39], -v[40:41]
	v_fma_f64 v[32:33], v[32:33], v[6:7], v[157:158]
	v_fma_f64 v[6:7], v[30:31], v[6:7], -v[8:9]
	v_add_f64_e32 v[40:41], v[34:35], v[155:156]
	v_add_f64_e32 v[155:156], v[36:37], v[165:166]
	ds_load_b128 v[2:5], v1 offset:1648
	ds_load_b128 v[34:37], v1 offset:1664
	s_wait_loadcnt_dscnt 0x401
	v_mul_f64_e32 v[161:162], v[2:3], v[12:13]
	v_mul_f64_e32 v[12:13], v[4:5], v[12:13]
	v_add_f64_e32 v[8:9], v[40:41], v[38:39]
	v_add_f64_e32 v[30:31], v[155:156], v[159:160]
	s_wait_loadcnt_dscnt 0x300
	v_mul_f64_e32 v[38:39], v[34:35], v[16:17]
	v_mul_f64_e32 v[16:17], v[36:37], v[16:17]
	v_fma_f64 v[40:41], v[4:5], v[10:11], v[161:162]
	v_fma_f64 v[10:11], v[2:3], v[10:11], -v[12:13]
	v_add_f64_e32 v[12:13], v[8:9], v[6:7]
	v_add_f64_e32 v[30:31], v[30:31], v[32:33]
	ds_load_b128 v[2:5], v1 offset:1680
	ds_load_b128 v[6:9], v1 offset:1696
	v_fma_f64 v[36:37], v[36:37], v[14:15], v[38:39]
	v_fma_f64 v[14:15], v[34:35], v[14:15], -v[16:17]
	s_wait_loadcnt_dscnt 0x201
	v_mul_f64_e32 v[32:33], v[2:3], v[20:21]
	v_mul_f64_e32 v[20:21], v[4:5], v[20:21]
	s_wait_loadcnt_dscnt 0x100
	v_mul_f64_e32 v[16:17], v[6:7], v[24:25]
	v_mul_f64_e32 v[24:25], v[8:9], v[24:25]
	v_add_f64_e32 v[10:11], v[12:13], v[10:11]
	v_add_f64_e32 v[12:13], v[30:31], v[40:41]
	v_fma_f64 v[30:31], v[4:5], v[18:19], v[32:33]
	v_fma_f64 v[18:19], v[2:3], v[18:19], -v[20:21]
	ds_load_b128 v[2:5], v1 offset:1712
	v_fma_f64 v[8:9], v[8:9], v[22:23], v[16:17]
	v_fma_f64 v[6:7], v[6:7], v[22:23], -v[24:25]
	v_add_f64_e32 v[10:11], v[10:11], v[14:15]
	v_add_f64_e32 v[12:13], v[12:13], v[36:37]
	s_wait_loadcnt_dscnt 0x0
	v_mul_f64_e32 v[14:15], v[2:3], v[28:29]
	v_mul_f64_e32 v[20:21], v[4:5], v[28:29]
	s_delay_alu instid0(VALU_DEP_4) | instskip(NEXT) | instid1(VALU_DEP_4)
	v_add_f64_e32 v[10:11], v[10:11], v[18:19]
	v_add_f64_e32 v[12:13], v[12:13], v[30:31]
	s_delay_alu instid0(VALU_DEP_4) | instskip(NEXT) | instid1(VALU_DEP_4)
	v_fma_f64 v[4:5], v[4:5], v[26:27], v[14:15]
	v_fma_f64 v[2:3], v[2:3], v[26:27], -v[20:21]
	s_delay_alu instid0(VALU_DEP_4) | instskip(NEXT) | instid1(VALU_DEP_4)
	v_add_f64_e32 v[6:7], v[10:11], v[6:7]
	v_add_f64_e32 v[8:9], v[12:13], v[8:9]
	s_delay_alu instid0(VALU_DEP_2) | instskip(NEXT) | instid1(VALU_DEP_2)
	v_add_f64_e32 v[2:3], v[6:7], v[2:3]
	v_add_f64_e32 v[4:5], v[8:9], v[4:5]
	s_delay_alu instid0(VALU_DEP_2) | instskip(NEXT) | instid1(VALU_DEP_2)
	v_add_f64_e64 v[2:3], v[42:43], -v[2:3]
	v_add_f64_e64 v[4:5], v[44:45], -v[4:5]
	scratch_store_b128 off, v[2:5], off offset:272
	v_cmpx_lt_u32_e32 15, v0
	s_cbranch_execz .LBB117_307
; %bb.306:
	scratch_load_b128 v[5:8], off, s52
	v_dual_mov_b32 v2, v1 :: v_dual_mov_b32 v3, v1
	v_mov_b32_e32 v4, v1
	scratch_store_b128 off, v[1:4], off offset:256
	s_wait_loadcnt 0x0
	ds_store_b128 v154, v[5:8]
.LBB117_307:
	s_wait_alu 0xfffe
	s_or_b32 exec_lo, exec_lo, s0
	s_wait_storecnt_dscnt 0x0
	s_barrier_signal -1
	s_barrier_wait -1
	global_inv scope:SCOPE_SE
	s_clause 0x8
	scratch_load_b128 v[2:5], off, off offset:272
	scratch_load_b128 v[6:9], off, off offset:288
	;; [unrolled: 1-line block ×9, first 2 shown]
	ds_load_b128 v[42:45], v1 offset:1120
	ds_load_b128 v[38:41], v1 offset:1136
	s_clause 0x1
	scratch_load_b128 v[155:158], off, off offset:256
	scratch_load_b128 v[159:162], off, off offset:416
	s_mov_b32 s0, exec_lo
	s_wait_loadcnt_dscnt 0xa01
	v_mul_f64_e32 v[163:164], v[44:45], v[4:5]
	v_mul_f64_e32 v[4:5], v[42:43], v[4:5]
	s_wait_loadcnt_dscnt 0x900
	v_mul_f64_e32 v[167:168], v[38:39], v[8:9]
	v_mul_f64_e32 v[8:9], v[40:41], v[8:9]
	s_delay_alu instid0(VALU_DEP_4) | instskip(NEXT) | instid1(VALU_DEP_4)
	v_fma_f64 v[169:170], v[42:43], v[2:3], -v[163:164]
	v_fma_f64 v[171:172], v[44:45], v[2:3], v[4:5]
	ds_load_b128 v[2:5], v1 offset:1152
	ds_load_b128 v[163:166], v1 offset:1168
	scratch_load_b128 v[42:45], off, off offset:432
	v_fma_f64 v[40:41], v[40:41], v[6:7], v[167:168]
	v_fma_f64 v[38:39], v[38:39], v[6:7], -v[8:9]
	scratch_load_b128 v[6:9], off, off offset:448
	s_wait_loadcnt_dscnt 0xa01
	v_mul_f64_e32 v[173:174], v[2:3], v[12:13]
	v_mul_f64_e32 v[12:13], v[4:5], v[12:13]
	v_add_f64_e32 v[167:168], 0, v[169:170]
	v_add_f64_e32 v[169:170], 0, v[171:172]
	s_wait_loadcnt_dscnt 0x900
	v_mul_f64_e32 v[171:172], v[163:164], v[16:17]
	v_mul_f64_e32 v[16:17], v[165:166], v[16:17]
	v_fma_f64 v[173:174], v[4:5], v[10:11], v[173:174]
	v_fma_f64 v[175:176], v[2:3], v[10:11], -v[12:13]
	ds_load_b128 v[2:5], v1 offset:1184
	scratch_load_b128 v[10:13], off, off offset:464
	v_add_f64_e32 v[167:168], v[167:168], v[38:39]
	v_add_f64_e32 v[169:170], v[169:170], v[40:41]
	ds_load_b128 v[38:41], v1 offset:1200
	v_fma_f64 v[165:166], v[165:166], v[14:15], v[171:172]
	v_fma_f64 v[163:164], v[163:164], v[14:15], -v[16:17]
	scratch_load_b128 v[14:17], off, off offset:480
	s_wait_loadcnt_dscnt 0xa01
	v_mul_f64_e32 v[177:178], v[2:3], v[20:21]
	v_mul_f64_e32 v[20:21], v[4:5], v[20:21]
	s_wait_loadcnt_dscnt 0x900
	v_mul_f64_e32 v[171:172], v[38:39], v[24:25]
	v_mul_f64_e32 v[24:25], v[40:41], v[24:25]
	v_add_f64_e32 v[167:168], v[167:168], v[175:176]
	v_add_f64_e32 v[169:170], v[169:170], v[173:174]
	v_fma_f64 v[173:174], v[4:5], v[18:19], v[177:178]
	v_fma_f64 v[175:176], v[2:3], v[18:19], -v[20:21]
	ds_load_b128 v[2:5], v1 offset:1216
	scratch_load_b128 v[18:21], off, off offset:496
	v_fma_f64 v[40:41], v[40:41], v[22:23], v[171:172]
	v_fma_f64 v[38:39], v[38:39], v[22:23], -v[24:25]
	scratch_load_b128 v[22:25], off, off offset:512
	v_add_f64_e32 v[167:168], v[167:168], v[163:164]
	v_add_f64_e32 v[169:170], v[169:170], v[165:166]
	ds_load_b128 v[163:166], v1 offset:1232
	s_wait_loadcnt_dscnt 0xa01
	v_mul_f64_e32 v[177:178], v[2:3], v[28:29]
	v_mul_f64_e32 v[28:29], v[4:5], v[28:29]
	s_wait_loadcnt_dscnt 0x900
	v_mul_f64_e32 v[171:172], v[163:164], v[32:33]
	v_mul_f64_e32 v[32:33], v[165:166], v[32:33]
	v_add_f64_e32 v[167:168], v[167:168], v[175:176]
	v_add_f64_e32 v[169:170], v[169:170], v[173:174]
	v_fma_f64 v[173:174], v[4:5], v[26:27], v[177:178]
	v_fma_f64 v[175:176], v[2:3], v[26:27], -v[28:29]
	ds_load_b128 v[2:5], v1 offset:1248
	scratch_load_b128 v[26:29], off, off offset:528
	v_fma_f64 v[165:166], v[165:166], v[30:31], v[171:172]
	v_fma_f64 v[163:164], v[163:164], v[30:31], -v[32:33]
	scratch_load_b128 v[30:33], off, off offset:544
	v_add_f64_e32 v[167:168], v[167:168], v[38:39]
	v_add_f64_e32 v[169:170], v[169:170], v[40:41]
	ds_load_b128 v[38:41], v1 offset:1264
	s_wait_loadcnt_dscnt 0xa01
	v_mul_f64_e32 v[177:178], v[2:3], v[36:37]
	v_mul_f64_e32 v[36:37], v[4:5], v[36:37]
	s_wait_loadcnt_dscnt 0x800
	v_mul_f64_e32 v[171:172], v[38:39], v[161:162]
	v_add_f64_e32 v[167:168], v[167:168], v[175:176]
	v_add_f64_e32 v[169:170], v[169:170], v[173:174]
	v_mul_f64_e32 v[173:174], v[40:41], v[161:162]
	v_fma_f64 v[175:176], v[4:5], v[34:35], v[177:178]
	v_fma_f64 v[177:178], v[2:3], v[34:35], -v[36:37]
	ds_load_b128 v[2:5], v1 offset:1280
	scratch_load_b128 v[34:37], off, off offset:560
	v_fma_f64 v[171:172], v[40:41], v[159:160], v[171:172]
	v_add_f64_e32 v[167:168], v[167:168], v[163:164]
	v_add_f64_e32 v[165:166], v[169:170], v[165:166]
	ds_load_b128 v[161:164], v1 offset:1296
	v_fma_f64 v[159:160], v[38:39], v[159:160], -v[173:174]
	scratch_load_b128 v[38:41], off, off offset:576
	s_wait_loadcnt_dscnt 0x901
	v_mul_f64_e32 v[169:170], v[2:3], v[44:45]
	v_mul_f64_e32 v[44:45], v[4:5], v[44:45]
	s_wait_loadcnt_dscnt 0x800
	v_mul_f64_e32 v[173:174], v[161:162], v[8:9]
	v_mul_f64_e32 v[8:9], v[163:164], v[8:9]
	v_add_f64_e32 v[167:168], v[167:168], v[177:178]
	v_add_f64_e32 v[165:166], v[165:166], v[175:176]
	v_fma_f64 v[169:170], v[4:5], v[42:43], v[169:170]
	v_fma_f64 v[175:176], v[2:3], v[42:43], -v[44:45]
	ds_load_b128 v[2:5], v1 offset:1312
	scratch_load_b128 v[42:45], off, off offset:592
	v_fma_f64 v[163:164], v[163:164], v[6:7], v[173:174]
	v_fma_f64 v[161:162], v[161:162], v[6:7], -v[8:9]
	scratch_load_b128 v[6:9], off, off offset:608
	v_add_f64_e32 v[159:160], v[167:168], v[159:160]
	v_add_f64_e32 v[171:172], v[165:166], v[171:172]
	ds_load_b128 v[165:168], v1 offset:1328
	s_wait_loadcnt_dscnt 0x901
	v_mul_f64_e32 v[177:178], v[2:3], v[12:13]
	v_mul_f64_e32 v[12:13], v[4:5], v[12:13]
	v_add_f64_e32 v[159:160], v[159:160], v[175:176]
	v_add_f64_e32 v[169:170], v[171:172], v[169:170]
	s_wait_loadcnt_dscnt 0x800
	v_mul_f64_e32 v[171:172], v[165:166], v[16:17]
	v_mul_f64_e32 v[16:17], v[167:168], v[16:17]
	v_fma_f64 v[173:174], v[4:5], v[10:11], v[177:178]
	v_fma_f64 v[175:176], v[2:3], v[10:11], -v[12:13]
	ds_load_b128 v[2:5], v1 offset:1344
	scratch_load_b128 v[10:13], off, off offset:624
	v_add_f64_e32 v[177:178], v[159:160], v[161:162]
	v_add_f64_e32 v[163:164], v[169:170], v[163:164]
	ds_load_b128 v[159:162], v1 offset:1360
	s_wait_loadcnt_dscnt 0x801
	v_mul_f64_e32 v[169:170], v[2:3], v[20:21]
	v_mul_f64_e32 v[20:21], v[4:5], v[20:21]
	v_fma_f64 v[167:168], v[167:168], v[14:15], v[171:172]
	v_fma_f64 v[165:166], v[165:166], v[14:15], -v[16:17]
	scratch_load_b128 v[14:17], off, off offset:640
	v_add_f64_e32 v[171:172], v[177:178], v[175:176]
	v_add_f64_e32 v[163:164], v[163:164], v[173:174]
	s_wait_loadcnt_dscnt 0x800
	v_mul_f64_e32 v[173:174], v[159:160], v[24:25]
	v_mul_f64_e32 v[24:25], v[161:162], v[24:25]
	v_fma_f64 v[169:170], v[4:5], v[18:19], v[169:170]
	v_fma_f64 v[175:176], v[2:3], v[18:19], -v[20:21]
	ds_load_b128 v[2:5], v1 offset:1376
	scratch_load_b128 v[18:21], off, off offset:656
	v_add_f64_e32 v[171:172], v[171:172], v[165:166]
	v_add_f64_e32 v[167:168], v[163:164], v[167:168]
	ds_load_b128 v[163:166], v1 offset:1392
	s_wait_loadcnt_dscnt 0x801
	v_mul_f64_e32 v[177:178], v[2:3], v[28:29]
	v_mul_f64_e32 v[28:29], v[4:5], v[28:29]
	v_fma_f64 v[161:162], v[161:162], v[22:23], v[173:174]
	v_fma_f64 v[159:160], v[159:160], v[22:23], -v[24:25]
	scratch_load_b128 v[22:25], off, off offset:672
	;; [unrolled: 18-line block ×4, first 2 shown]
	s_wait_loadcnt_dscnt 0x800
	v_mul_f64_e32 v[171:172], v[163:164], v[8:9]
	v_mul_f64_e32 v[8:9], v[165:166], v[8:9]
	v_add_f64_e32 v[169:170], v[169:170], v[175:176]
	v_add_f64_e32 v[167:168], v[167:168], v[173:174]
	v_fma_f64 v[173:174], v[4:5], v[42:43], v[177:178]
	v_fma_f64 v[175:176], v[2:3], v[42:43], -v[44:45]
	ds_load_b128 v[2:5], v1 offset:1472
	scratch_load_b128 v[42:45], off, off offset:752
	v_fma_f64 v[165:166], v[165:166], v[6:7], v[171:172]
	v_fma_f64 v[163:164], v[163:164], v[6:7], -v[8:9]
	scratch_load_b128 v[6:9], off, off offset:768
	v_add_f64_e32 v[169:170], v[169:170], v[159:160]
	v_add_f64_e32 v[167:168], v[167:168], v[161:162]
	ds_load_b128 v[159:162], v1 offset:1488
	s_wait_loadcnt_dscnt 0x901
	v_mul_f64_e32 v[177:178], v[2:3], v[12:13]
	v_mul_f64_e32 v[12:13], v[4:5], v[12:13]
	s_wait_loadcnt_dscnt 0x800
	v_mul_f64_e32 v[171:172], v[159:160], v[16:17]
	v_mul_f64_e32 v[16:17], v[161:162], v[16:17]
	v_add_f64_e32 v[169:170], v[169:170], v[175:176]
	v_add_f64_e32 v[167:168], v[167:168], v[173:174]
	v_fma_f64 v[173:174], v[4:5], v[10:11], v[177:178]
	v_fma_f64 v[175:176], v[2:3], v[10:11], -v[12:13]
	ds_load_b128 v[2:5], v1 offset:1504
	scratch_load_b128 v[10:13], off, off offset:784
	v_fma_f64 v[161:162], v[161:162], v[14:15], v[171:172]
	v_fma_f64 v[159:160], v[159:160], v[14:15], -v[16:17]
	scratch_load_b128 v[14:17], off, off offset:800
	v_add_f64_e32 v[169:170], v[169:170], v[163:164]
	v_add_f64_e32 v[167:168], v[167:168], v[165:166]
	ds_load_b128 v[163:166], v1 offset:1520
	s_wait_loadcnt_dscnt 0x901
	v_mul_f64_e32 v[177:178], v[2:3], v[20:21]
	v_mul_f64_e32 v[20:21], v[4:5], v[20:21]
	;; [unrolled: 18-line block ×4, first 2 shown]
	s_wait_loadcnt_dscnt 0x800
	v_mul_f64_e32 v[171:172], v[163:164], v[40:41]
	v_mul_f64_e32 v[40:41], v[165:166], v[40:41]
	v_add_f64_e32 v[169:170], v[169:170], v[175:176]
	v_add_f64_e32 v[167:168], v[167:168], v[173:174]
	v_fma_f64 v[173:174], v[4:5], v[34:35], v[177:178]
	v_fma_f64 v[175:176], v[2:3], v[34:35], -v[36:37]
	ds_load_b128 v[2:5], v1 offset:1600
	ds_load_b128 v[34:37], v1 offset:1616
	v_fma_f64 v[165:166], v[165:166], v[38:39], v[171:172]
	v_fma_f64 v[38:39], v[163:164], v[38:39], -v[40:41]
	v_add_f64_e32 v[159:160], v[169:170], v[159:160]
	v_add_f64_e32 v[161:162], v[167:168], v[161:162]
	s_wait_loadcnt_dscnt 0x701
	v_mul_f64_e32 v[167:168], v[2:3], v[44:45]
	v_mul_f64_e32 v[44:45], v[4:5], v[44:45]
	s_delay_alu instid0(VALU_DEP_4) | instskip(NEXT) | instid1(VALU_DEP_4)
	v_add_f64_e32 v[40:41], v[159:160], v[175:176]
	v_add_f64_e32 v[159:160], v[161:162], v[173:174]
	s_wait_loadcnt_dscnt 0x600
	v_mul_f64_e32 v[161:162], v[34:35], v[8:9]
	v_mul_f64_e32 v[8:9], v[36:37], v[8:9]
	v_fma_f64 v[163:164], v[4:5], v[42:43], v[167:168]
	v_fma_f64 v[42:43], v[2:3], v[42:43], -v[44:45]
	v_add_f64_e32 v[44:45], v[40:41], v[38:39]
	v_add_f64_e32 v[159:160], v[159:160], v[165:166]
	ds_load_b128 v[2:5], v1 offset:1632
	ds_load_b128 v[38:41], v1 offset:1648
	v_fma_f64 v[36:37], v[36:37], v[6:7], v[161:162]
	v_fma_f64 v[6:7], v[34:35], v[6:7], -v[8:9]
	s_wait_loadcnt_dscnt 0x501
	v_mul_f64_e32 v[165:166], v[2:3], v[12:13]
	v_mul_f64_e32 v[12:13], v[4:5], v[12:13]
	v_add_f64_e32 v[8:9], v[44:45], v[42:43]
	v_add_f64_e32 v[34:35], v[159:160], v[163:164]
	s_wait_loadcnt_dscnt 0x400
	v_mul_f64_e32 v[42:43], v[38:39], v[16:17]
	v_mul_f64_e32 v[16:17], v[40:41], v[16:17]
	v_fma_f64 v[44:45], v[4:5], v[10:11], v[165:166]
	v_fma_f64 v[10:11], v[2:3], v[10:11], -v[12:13]
	v_add_f64_e32 v[12:13], v[8:9], v[6:7]
	v_add_f64_e32 v[34:35], v[34:35], v[36:37]
	ds_load_b128 v[2:5], v1 offset:1664
	ds_load_b128 v[6:9], v1 offset:1680
	v_fma_f64 v[40:41], v[40:41], v[14:15], v[42:43]
	v_fma_f64 v[14:15], v[38:39], v[14:15], -v[16:17]
	s_wait_loadcnt_dscnt 0x301
	v_mul_f64_e32 v[36:37], v[2:3], v[20:21]
	v_mul_f64_e32 v[20:21], v[4:5], v[20:21]
	s_wait_loadcnt_dscnt 0x200
	v_mul_f64_e32 v[16:17], v[6:7], v[24:25]
	v_mul_f64_e32 v[24:25], v[8:9], v[24:25]
	v_add_f64_e32 v[10:11], v[12:13], v[10:11]
	v_add_f64_e32 v[12:13], v[34:35], v[44:45]
	v_fma_f64 v[34:35], v[4:5], v[18:19], v[36:37]
	v_fma_f64 v[18:19], v[2:3], v[18:19], -v[20:21]
	v_fma_f64 v[8:9], v[8:9], v[22:23], v[16:17]
	v_fma_f64 v[6:7], v[6:7], v[22:23], -v[24:25]
	v_add_f64_e32 v[14:15], v[10:11], v[14:15]
	v_add_f64_e32 v[20:21], v[12:13], v[40:41]
	ds_load_b128 v[2:5], v1 offset:1696
	ds_load_b128 v[10:13], v1 offset:1712
	s_wait_loadcnt_dscnt 0x101
	v_mul_f64_e32 v[36:37], v[2:3], v[28:29]
	v_mul_f64_e32 v[28:29], v[4:5], v[28:29]
	v_add_f64_e32 v[14:15], v[14:15], v[18:19]
	v_add_f64_e32 v[16:17], v[20:21], v[34:35]
	s_wait_loadcnt_dscnt 0x0
	v_mul_f64_e32 v[18:19], v[10:11], v[32:33]
	v_mul_f64_e32 v[20:21], v[12:13], v[32:33]
	v_fma_f64 v[4:5], v[4:5], v[26:27], v[36:37]
	v_fma_f64 v[1:2], v[2:3], v[26:27], -v[28:29]
	v_add_f64_e32 v[6:7], v[14:15], v[6:7]
	v_add_f64_e32 v[8:9], v[16:17], v[8:9]
	v_fma_f64 v[12:13], v[12:13], v[30:31], v[18:19]
	v_fma_f64 v[10:11], v[10:11], v[30:31], -v[20:21]
	s_delay_alu instid0(VALU_DEP_4) | instskip(NEXT) | instid1(VALU_DEP_4)
	v_add_f64_e32 v[1:2], v[6:7], v[1:2]
	v_add_f64_e32 v[3:4], v[8:9], v[4:5]
	s_delay_alu instid0(VALU_DEP_2) | instskip(NEXT) | instid1(VALU_DEP_2)
	v_add_f64_e32 v[1:2], v[1:2], v[10:11]
	v_add_f64_e32 v[3:4], v[3:4], v[12:13]
	s_delay_alu instid0(VALU_DEP_2) | instskip(NEXT) | instid1(VALU_DEP_2)
	v_add_f64_e64 v[1:2], v[155:156], -v[1:2]
	v_add_f64_e64 v[3:4], v[157:158], -v[3:4]
	scratch_store_b128 off, v[1:4], off offset:256
	v_cmpx_lt_u32_e32 14, v0
	s_cbranch_execz .LBB117_309
; %bb.308:
	scratch_load_b128 v[1:4], off, s53
	v_mov_b32_e32 v5, 0
	s_delay_alu instid0(VALU_DEP_1)
	v_dual_mov_b32 v6, v5 :: v_dual_mov_b32 v7, v5
	v_mov_b32_e32 v8, v5
	scratch_store_b128 off, v[5:8], off offset:240
	s_wait_loadcnt 0x0
	ds_store_b128 v154, v[1:4]
.LBB117_309:
	s_wait_alu 0xfffe
	s_or_b32 exec_lo, exec_lo, s0
	s_wait_storecnt_dscnt 0x0
	s_barrier_signal -1
	s_barrier_wait -1
	global_inv scope:SCOPE_SE
	s_clause 0x7
	scratch_load_b128 v[2:5], off, off offset:256
	scratch_load_b128 v[6:9], off, off offset:272
	;; [unrolled: 1-line block ×8, first 2 shown]
	v_mov_b32_e32 v1, 0
	s_mov_b32 s0, exec_lo
	ds_load_b128 v[38:41], v1 offset:1104
	s_clause 0x1
	scratch_load_b128 v[34:37], off, off offset:384
	scratch_load_b128 v[42:45], off, off offset:240
	ds_load_b128 v[155:158], v1 offset:1120
	scratch_load_b128 v[159:162], off, off offset:400
	s_wait_loadcnt_dscnt 0xa01
	v_mul_f64_e32 v[163:164], v[40:41], v[4:5]
	v_mul_f64_e32 v[4:5], v[38:39], v[4:5]
	s_delay_alu instid0(VALU_DEP_2) | instskip(NEXT) | instid1(VALU_DEP_2)
	v_fma_f64 v[169:170], v[38:39], v[2:3], -v[163:164]
	v_fma_f64 v[171:172], v[40:41], v[2:3], v[4:5]
	ds_load_b128 v[2:5], v1 offset:1136
	s_wait_loadcnt_dscnt 0x901
	v_mul_f64_e32 v[167:168], v[155:156], v[8:9]
	v_mul_f64_e32 v[8:9], v[157:158], v[8:9]
	scratch_load_b128 v[38:41], off, off offset:416
	ds_load_b128 v[163:166], v1 offset:1152
	s_wait_loadcnt_dscnt 0x901
	v_mul_f64_e32 v[173:174], v[2:3], v[12:13]
	v_mul_f64_e32 v[12:13], v[4:5], v[12:13]
	v_fma_f64 v[157:158], v[157:158], v[6:7], v[167:168]
	v_fma_f64 v[155:156], v[155:156], v[6:7], -v[8:9]
	v_add_f64_e32 v[167:168], 0, v[169:170]
	v_add_f64_e32 v[169:170], 0, v[171:172]
	scratch_load_b128 v[6:9], off, off offset:432
	v_fma_f64 v[173:174], v[4:5], v[10:11], v[173:174]
	v_fma_f64 v[175:176], v[2:3], v[10:11], -v[12:13]
	ds_load_b128 v[2:5], v1 offset:1168
	s_wait_loadcnt_dscnt 0x901
	v_mul_f64_e32 v[171:172], v[163:164], v[16:17]
	v_mul_f64_e32 v[16:17], v[165:166], v[16:17]
	scratch_load_b128 v[10:13], off, off offset:448
	v_add_f64_e32 v[167:168], v[167:168], v[155:156]
	v_add_f64_e32 v[169:170], v[169:170], v[157:158]
	s_wait_loadcnt_dscnt 0x900
	v_mul_f64_e32 v[177:178], v[2:3], v[20:21]
	v_mul_f64_e32 v[20:21], v[4:5], v[20:21]
	ds_load_b128 v[155:158], v1 offset:1184
	v_fma_f64 v[165:166], v[165:166], v[14:15], v[171:172]
	v_fma_f64 v[163:164], v[163:164], v[14:15], -v[16:17]
	scratch_load_b128 v[14:17], off, off offset:464
	v_add_f64_e32 v[167:168], v[167:168], v[175:176]
	v_add_f64_e32 v[169:170], v[169:170], v[173:174]
	v_fma_f64 v[173:174], v[4:5], v[18:19], v[177:178]
	v_fma_f64 v[175:176], v[2:3], v[18:19], -v[20:21]
	ds_load_b128 v[2:5], v1 offset:1200
	s_wait_loadcnt_dscnt 0x901
	v_mul_f64_e32 v[171:172], v[155:156], v[24:25]
	v_mul_f64_e32 v[24:25], v[157:158], v[24:25]
	scratch_load_b128 v[18:21], off, off offset:480
	s_wait_loadcnt_dscnt 0x900
	v_mul_f64_e32 v[177:178], v[2:3], v[28:29]
	v_mul_f64_e32 v[28:29], v[4:5], v[28:29]
	v_add_f64_e32 v[167:168], v[167:168], v[163:164]
	v_add_f64_e32 v[169:170], v[169:170], v[165:166]
	ds_load_b128 v[163:166], v1 offset:1216
	v_fma_f64 v[157:158], v[157:158], v[22:23], v[171:172]
	v_fma_f64 v[155:156], v[155:156], v[22:23], -v[24:25]
	scratch_load_b128 v[22:25], off, off offset:496
	v_add_f64_e32 v[167:168], v[167:168], v[175:176]
	v_add_f64_e32 v[169:170], v[169:170], v[173:174]
	v_fma_f64 v[173:174], v[4:5], v[26:27], v[177:178]
	v_fma_f64 v[175:176], v[2:3], v[26:27], -v[28:29]
	ds_load_b128 v[2:5], v1 offset:1232
	s_wait_loadcnt_dscnt 0x901
	v_mul_f64_e32 v[171:172], v[163:164], v[32:33]
	v_mul_f64_e32 v[32:33], v[165:166], v[32:33]
	scratch_load_b128 v[26:29], off, off offset:512
	s_wait_loadcnt_dscnt 0x900
	v_mul_f64_e32 v[177:178], v[2:3], v[36:37]
	v_mul_f64_e32 v[36:37], v[4:5], v[36:37]
	v_add_f64_e32 v[167:168], v[167:168], v[155:156]
	v_add_f64_e32 v[169:170], v[169:170], v[157:158]
	ds_load_b128 v[155:158], v1 offset:1248
	v_fma_f64 v[165:166], v[165:166], v[30:31], v[171:172]
	v_fma_f64 v[163:164], v[163:164], v[30:31], -v[32:33]
	scratch_load_b128 v[30:33], off, off offset:528
	v_add_f64_e32 v[167:168], v[167:168], v[175:176]
	v_add_f64_e32 v[169:170], v[169:170], v[173:174]
	v_fma_f64 v[175:176], v[4:5], v[34:35], v[177:178]
	v_fma_f64 v[177:178], v[2:3], v[34:35], -v[36:37]
	ds_load_b128 v[2:5], v1 offset:1264
	s_wait_loadcnt_dscnt 0x801
	v_mul_f64_e32 v[171:172], v[155:156], v[161:162]
	v_mul_f64_e32 v[173:174], v[157:158], v[161:162]
	scratch_load_b128 v[34:37], off, off offset:544
	v_add_f64_e32 v[167:168], v[167:168], v[163:164]
	v_add_f64_e32 v[165:166], v[169:170], v[165:166]
	ds_load_b128 v[161:164], v1 offset:1280
	v_fma_f64 v[171:172], v[157:158], v[159:160], v[171:172]
	v_fma_f64 v[159:160], v[155:156], v[159:160], -v[173:174]
	scratch_load_b128 v[155:158], off, off offset:560
	s_wait_loadcnt_dscnt 0x901
	v_mul_f64_e32 v[169:170], v[2:3], v[40:41]
	v_mul_f64_e32 v[40:41], v[4:5], v[40:41]
	v_add_f64_e32 v[167:168], v[167:168], v[177:178]
	v_add_f64_e32 v[165:166], v[165:166], v[175:176]
	s_delay_alu instid0(VALU_DEP_4) | instskip(NEXT) | instid1(VALU_DEP_4)
	v_fma_f64 v[169:170], v[4:5], v[38:39], v[169:170]
	v_fma_f64 v[175:176], v[2:3], v[38:39], -v[40:41]
	ds_load_b128 v[2:5], v1 offset:1296
	s_wait_loadcnt_dscnt 0x801
	v_mul_f64_e32 v[173:174], v[161:162], v[8:9]
	v_mul_f64_e32 v[8:9], v[163:164], v[8:9]
	scratch_load_b128 v[38:41], off, off offset:576
	s_wait_loadcnt_dscnt 0x800
	v_mul_f64_e32 v[177:178], v[2:3], v[12:13]
	v_add_f64_e32 v[159:160], v[167:168], v[159:160]
	v_add_f64_e32 v[171:172], v[165:166], v[171:172]
	v_mul_f64_e32 v[12:13], v[4:5], v[12:13]
	ds_load_b128 v[165:168], v1 offset:1312
	v_fma_f64 v[163:164], v[163:164], v[6:7], v[173:174]
	v_fma_f64 v[161:162], v[161:162], v[6:7], -v[8:9]
	scratch_load_b128 v[6:9], off, off offset:592
	v_fma_f64 v[173:174], v[4:5], v[10:11], v[177:178]
	v_add_f64_e32 v[159:160], v[159:160], v[175:176]
	v_add_f64_e32 v[169:170], v[171:172], v[169:170]
	v_fma_f64 v[175:176], v[2:3], v[10:11], -v[12:13]
	ds_load_b128 v[2:5], v1 offset:1328
	s_wait_loadcnt_dscnt 0x801
	v_mul_f64_e32 v[171:172], v[165:166], v[16:17]
	v_mul_f64_e32 v[16:17], v[167:168], v[16:17]
	scratch_load_b128 v[10:13], off, off offset:608
	v_add_f64_e32 v[177:178], v[159:160], v[161:162]
	v_add_f64_e32 v[163:164], v[169:170], v[163:164]
	s_wait_loadcnt_dscnt 0x800
	v_mul_f64_e32 v[169:170], v[2:3], v[20:21]
	v_mul_f64_e32 v[20:21], v[4:5], v[20:21]
	v_fma_f64 v[167:168], v[167:168], v[14:15], v[171:172]
	v_fma_f64 v[165:166], v[165:166], v[14:15], -v[16:17]
	ds_load_b128 v[159:162], v1 offset:1344
	scratch_load_b128 v[14:17], off, off offset:624
	v_add_f64_e32 v[171:172], v[177:178], v[175:176]
	v_add_f64_e32 v[163:164], v[163:164], v[173:174]
	v_fma_f64 v[169:170], v[4:5], v[18:19], v[169:170]
	v_fma_f64 v[175:176], v[2:3], v[18:19], -v[20:21]
	ds_load_b128 v[2:5], v1 offset:1360
	s_wait_loadcnt_dscnt 0x801
	v_mul_f64_e32 v[173:174], v[159:160], v[24:25]
	v_mul_f64_e32 v[24:25], v[161:162], v[24:25]
	scratch_load_b128 v[18:21], off, off offset:640
	s_wait_loadcnt_dscnt 0x800
	v_mul_f64_e32 v[177:178], v[2:3], v[28:29]
	v_mul_f64_e32 v[28:29], v[4:5], v[28:29]
	v_add_f64_e32 v[171:172], v[171:172], v[165:166]
	v_add_f64_e32 v[167:168], v[163:164], v[167:168]
	ds_load_b128 v[163:166], v1 offset:1376
	v_fma_f64 v[161:162], v[161:162], v[22:23], v[173:174]
	v_fma_f64 v[159:160], v[159:160], v[22:23], -v[24:25]
	scratch_load_b128 v[22:25], off, off offset:656
	v_fma_f64 v[173:174], v[4:5], v[26:27], v[177:178]
	v_add_f64_e32 v[171:172], v[171:172], v[175:176]
	v_add_f64_e32 v[167:168], v[167:168], v[169:170]
	v_fma_f64 v[175:176], v[2:3], v[26:27], -v[28:29]
	ds_load_b128 v[2:5], v1 offset:1392
	s_wait_loadcnt_dscnt 0x801
	v_mul_f64_e32 v[169:170], v[163:164], v[32:33]
	v_mul_f64_e32 v[32:33], v[165:166], v[32:33]
	scratch_load_b128 v[26:29], off, off offset:672
	s_wait_loadcnt_dscnt 0x800
	v_mul_f64_e32 v[177:178], v[2:3], v[36:37]
	v_mul_f64_e32 v[36:37], v[4:5], v[36:37]
	v_add_f64_e32 v[171:172], v[171:172], v[159:160]
	v_add_f64_e32 v[167:168], v[167:168], v[161:162]
	ds_load_b128 v[159:162], v1 offset:1408
	v_fma_f64 v[165:166], v[165:166], v[30:31], v[169:170]
	v_fma_f64 v[163:164], v[163:164], v[30:31], -v[32:33]
	scratch_load_b128 v[30:33], off, off offset:688
	v_add_f64_e32 v[169:170], v[171:172], v[175:176]
	v_add_f64_e32 v[167:168], v[167:168], v[173:174]
	v_fma_f64 v[173:174], v[4:5], v[34:35], v[177:178]
	v_fma_f64 v[175:176], v[2:3], v[34:35], -v[36:37]
	ds_load_b128 v[2:5], v1 offset:1424
	s_wait_loadcnt_dscnt 0x801
	v_mul_f64_e32 v[171:172], v[159:160], v[157:158]
	v_mul_f64_e32 v[157:158], v[161:162], v[157:158]
	scratch_load_b128 v[34:37], off, off offset:704
	s_wait_loadcnt_dscnt 0x800
	v_mul_f64_e32 v[177:178], v[2:3], v[40:41]
	v_mul_f64_e32 v[40:41], v[4:5], v[40:41]
	v_add_f64_e32 v[169:170], v[169:170], v[163:164]
	v_add_f64_e32 v[167:168], v[167:168], v[165:166]
	ds_load_b128 v[163:166], v1 offset:1440
	v_fma_f64 v[161:162], v[161:162], v[155:156], v[171:172]
	v_fma_f64 v[159:160], v[159:160], v[155:156], -v[157:158]
	scratch_load_b128 v[155:158], off, off offset:720
	v_add_f64_e32 v[169:170], v[169:170], v[175:176]
	v_add_f64_e32 v[167:168], v[167:168], v[173:174]
	v_fma_f64 v[173:174], v[4:5], v[38:39], v[177:178]
	;; [unrolled: 18-line block ×6, first 2 shown]
	v_fma_f64 v[177:178], v[2:3], v[34:35], -v[36:37]
	ds_load_b128 v[2:5], v1 offset:1584
	s_wait_loadcnt_dscnt 0x801
	v_mul_f64_e32 v[171:172], v[163:164], v[157:158]
	v_mul_f64_e32 v[173:174], v[165:166], v[157:158]
	scratch_load_b128 v[34:37], off, off offset:864
	v_add_f64_e32 v[169:170], v[169:170], v[159:160]
	v_add_f64_e32 v[161:162], v[167:168], v[161:162]
	s_wait_loadcnt_dscnt 0x800
	v_mul_f64_e32 v[167:168], v[2:3], v[40:41]
	v_mul_f64_e32 v[40:41], v[4:5], v[40:41]
	ds_load_b128 v[157:160], v1 offset:1600
	v_fma_f64 v[165:166], v[165:166], v[155:156], v[171:172]
	v_fma_f64 v[155:156], v[163:164], v[155:156], -v[173:174]
	v_add_f64_e32 v[163:164], v[169:170], v[177:178]
	v_add_f64_e32 v[161:162], v[161:162], v[175:176]
	s_wait_loadcnt_dscnt 0x700
	v_mul_f64_e32 v[169:170], v[157:158], v[8:9]
	v_mul_f64_e32 v[8:9], v[159:160], v[8:9]
	v_fma_f64 v[167:168], v[4:5], v[38:39], v[167:168]
	v_fma_f64 v[171:172], v[2:3], v[38:39], -v[40:41]
	ds_load_b128 v[2:5], v1 offset:1616
	ds_load_b128 v[38:41], v1 offset:1632
	v_add_f64_e32 v[155:156], v[163:164], v[155:156]
	v_add_f64_e32 v[161:162], v[161:162], v[165:166]
	s_wait_loadcnt_dscnt 0x601
	v_mul_f64_e32 v[163:164], v[2:3], v[12:13]
	v_mul_f64_e32 v[12:13], v[4:5], v[12:13]
	v_fma_f64 v[159:160], v[159:160], v[6:7], v[169:170]
	v_fma_f64 v[6:7], v[157:158], v[6:7], -v[8:9]
	s_wait_loadcnt_dscnt 0x500
	v_mul_f64_e32 v[157:158], v[38:39], v[16:17]
	v_mul_f64_e32 v[16:17], v[40:41], v[16:17]
	v_add_f64_e32 v[8:9], v[155:156], v[171:172]
	v_add_f64_e32 v[155:156], v[161:162], v[167:168]
	v_fma_f64 v[161:162], v[4:5], v[10:11], v[163:164]
	v_fma_f64 v[10:11], v[2:3], v[10:11], -v[12:13]
	v_fma_f64 v[40:41], v[40:41], v[14:15], v[157:158]
	v_fma_f64 v[14:15], v[38:39], v[14:15], -v[16:17]
	v_add_f64_e32 v[12:13], v[8:9], v[6:7]
	v_add_f64_e32 v[155:156], v[155:156], v[159:160]
	ds_load_b128 v[2:5], v1 offset:1648
	ds_load_b128 v[6:9], v1 offset:1664
	s_wait_loadcnt_dscnt 0x401
	v_mul_f64_e32 v[159:160], v[2:3], v[20:21]
	v_mul_f64_e32 v[20:21], v[4:5], v[20:21]
	s_wait_loadcnt_dscnt 0x300
	v_mul_f64_e32 v[16:17], v[6:7], v[24:25]
	v_mul_f64_e32 v[24:25], v[8:9], v[24:25]
	v_add_f64_e32 v[10:11], v[12:13], v[10:11]
	v_add_f64_e32 v[12:13], v[155:156], v[161:162]
	v_fma_f64 v[38:39], v[4:5], v[18:19], v[159:160]
	v_fma_f64 v[18:19], v[2:3], v[18:19], -v[20:21]
	v_fma_f64 v[8:9], v[8:9], v[22:23], v[16:17]
	v_fma_f64 v[6:7], v[6:7], v[22:23], -v[24:25]
	v_add_f64_e32 v[14:15], v[10:11], v[14:15]
	v_add_f64_e32 v[20:21], v[12:13], v[40:41]
	ds_load_b128 v[2:5], v1 offset:1680
	ds_load_b128 v[10:13], v1 offset:1696
	s_wait_loadcnt_dscnt 0x201
	v_mul_f64_e32 v[40:41], v[2:3], v[28:29]
	v_mul_f64_e32 v[28:29], v[4:5], v[28:29]
	v_add_f64_e32 v[14:15], v[14:15], v[18:19]
	v_add_f64_e32 v[16:17], v[20:21], v[38:39]
	s_wait_loadcnt_dscnt 0x100
	v_mul_f64_e32 v[18:19], v[10:11], v[32:33]
	v_mul_f64_e32 v[20:21], v[12:13], v[32:33]
	v_fma_f64 v[22:23], v[4:5], v[26:27], v[40:41]
	v_fma_f64 v[24:25], v[2:3], v[26:27], -v[28:29]
	ds_load_b128 v[2:5], v1 offset:1712
	v_add_f64_e32 v[6:7], v[14:15], v[6:7]
	v_add_f64_e32 v[8:9], v[16:17], v[8:9]
	v_fma_f64 v[12:13], v[12:13], v[30:31], v[18:19]
	v_fma_f64 v[10:11], v[10:11], v[30:31], -v[20:21]
	s_wait_loadcnt_dscnt 0x0
	v_mul_f64_e32 v[14:15], v[2:3], v[36:37]
	v_mul_f64_e32 v[16:17], v[4:5], v[36:37]
	v_add_f64_e32 v[6:7], v[6:7], v[24:25]
	v_add_f64_e32 v[8:9], v[8:9], v[22:23]
	s_delay_alu instid0(VALU_DEP_4) | instskip(NEXT) | instid1(VALU_DEP_4)
	v_fma_f64 v[4:5], v[4:5], v[34:35], v[14:15]
	v_fma_f64 v[2:3], v[2:3], v[34:35], -v[16:17]
	s_delay_alu instid0(VALU_DEP_4) | instskip(NEXT) | instid1(VALU_DEP_4)
	v_add_f64_e32 v[6:7], v[6:7], v[10:11]
	v_add_f64_e32 v[8:9], v[8:9], v[12:13]
	s_delay_alu instid0(VALU_DEP_2) | instskip(NEXT) | instid1(VALU_DEP_2)
	v_add_f64_e32 v[2:3], v[6:7], v[2:3]
	v_add_f64_e32 v[4:5], v[8:9], v[4:5]
	s_delay_alu instid0(VALU_DEP_2) | instskip(NEXT) | instid1(VALU_DEP_2)
	v_add_f64_e64 v[2:3], v[42:43], -v[2:3]
	v_add_f64_e64 v[4:5], v[44:45], -v[4:5]
	scratch_store_b128 off, v[2:5], off offset:240
	v_cmpx_lt_u32_e32 13, v0
	s_cbranch_execz .LBB117_311
; %bb.310:
	scratch_load_b128 v[5:8], off, s54
	v_dual_mov_b32 v2, v1 :: v_dual_mov_b32 v3, v1
	v_mov_b32_e32 v4, v1
	scratch_store_b128 off, v[1:4], off offset:224
	s_wait_loadcnt 0x0
	ds_store_b128 v154, v[5:8]
.LBB117_311:
	s_wait_alu 0xfffe
	s_or_b32 exec_lo, exec_lo, s0
	s_wait_storecnt_dscnt 0x0
	s_barrier_signal -1
	s_barrier_wait -1
	global_inv scope:SCOPE_SE
	s_clause 0x8
	scratch_load_b128 v[2:5], off, off offset:240
	scratch_load_b128 v[6:9], off, off offset:256
	;; [unrolled: 1-line block ×9, first 2 shown]
	ds_load_b128 v[42:45], v1 offset:1088
	ds_load_b128 v[38:41], v1 offset:1104
	s_clause 0x1
	scratch_load_b128 v[155:158], off, off offset:224
	scratch_load_b128 v[159:162], off, off offset:384
	s_mov_b32 s0, exec_lo
	s_wait_loadcnt_dscnt 0xa01
	v_mul_f64_e32 v[163:164], v[44:45], v[4:5]
	v_mul_f64_e32 v[4:5], v[42:43], v[4:5]
	s_wait_loadcnt_dscnt 0x900
	v_mul_f64_e32 v[167:168], v[38:39], v[8:9]
	v_mul_f64_e32 v[8:9], v[40:41], v[8:9]
	s_delay_alu instid0(VALU_DEP_4) | instskip(NEXT) | instid1(VALU_DEP_4)
	v_fma_f64 v[169:170], v[42:43], v[2:3], -v[163:164]
	v_fma_f64 v[171:172], v[44:45], v[2:3], v[4:5]
	ds_load_b128 v[2:5], v1 offset:1120
	ds_load_b128 v[163:166], v1 offset:1136
	scratch_load_b128 v[42:45], off, off offset:400
	v_fma_f64 v[40:41], v[40:41], v[6:7], v[167:168]
	v_fma_f64 v[38:39], v[38:39], v[6:7], -v[8:9]
	scratch_load_b128 v[6:9], off, off offset:416
	s_wait_loadcnt_dscnt 0xa01
	v_mul_f64_e32 v[173:174], v[2:3], v[12:13]
	v_mul_f64_e32 v[12:13], v[4:5], v[12:13]
	v_add_f64_e32 v[167:168], 0, v[169:170]
	v_add_f64_e32 v[169:170], 0, v[171:172]
	s_wait_loadcnt_dscnt 0x900
	v_mul_f64_e32 v[171:172], v[163:164], v[16:17]
	v_mul_f64_e32 v[16:17], v[165:166], v[16:17]
	v_fma_f64 v[173:174], v[4:5], v[10:11], v[173:174]
	v_fma_f64 v[175:176], v[2:3], v[10:11], -v[12:13]
	ds_load_b128 v[2:5], v1 offset:1152
	scratch_load_b128 v[10:13], off, off offset:432
	v_add_f64_e32 v[167:168], v[167:168], v[38:39]
	v_add_f64_e32 v[169:170], v[169:170], v[40:41]
	ds_load_b128 v[38:41], v1 offset:1168
	v_fma_f64 v[165:166], v[165:166], v[14:15], v[171:172]
	v_fma_f64 v[163:164], v[163:164], v[14:15], -v[16:17]
	scratch_load_b128 v[14:17], off, off offset:448
	s_wait_loadcnt_dscnt 0xa01
	v_mul_f64_e32 v[177:178], v[2:3], v[20:21]
	v_mul_f64_e32 v[20:21], v[4:5], v[20:21]
	s_wait_loadcnt_dscnt 0x900
	v_mul_f64_e32 v[171:172], v[38:39], v[24:25]
	v_mul_f64_e32 v[24:25], v[40:41], v[24:25]
	v_add_f64_e32 v[167:168], v[167:168], v[175:176]
	v_add_f64_e32 v[169:170], v[169:170], v[173:174]
	v_fma_f64 v[173:174], v[4:5], v[18:19], v[177:178]
	v_fma_f64 v[175:176], v[2:3], v[18:19], -v[20:21]
	ds_load_b128 v[2:5], v1 offset:1184
	scratch_load_b128 v[18:21], off, off offset:464
	v_fma_f64 v[40:41], v[40:41], v[22:23], v[171:172]
	v_fma_f64 v[38:39], v[38:39], v[22:23], -v[24:25]
	scratch_load_b128 v[22:25], off, off offset:480
	v_add_f64_e32 v[167:168], v[167:168], v[163:164]
	v_add_f64_e32 v[169:170], v[169:170], v[165:166]
	ds_load_b128 v[163:166], v1 offset:1200
	s_wait_loadcnt_dscnt 0xa01
	v_mul_f64_e32 v[177:178], v[2:3], v[28:29]
	v_mul_f64_e32 v[28:29], v[4:5], v[28:29]
	s_wait_loadcnt_dscnt 0x900
	v_mul_f64_e32 v[171:172], v[163:164], v[32:33]
	v_mul_f64_e32 v[32:33], v[165:166], v[32:33]
	v_add_f64_e32 v[167:168], v[167:168], v[175:176]
	v_add_f64_e32 v[169:170], v[169:170], v[173:174]
	v_fma_f64 v[173:174], v[4:5], v[26:27], v[177:178]
	v_fma_f64 v[175:176], v[2:3], v[26:27], -v[28:29]
	ds_load_b128 v[2:5], v1 offset:1216
	scratch_load_b128 v[26:29], off, off offset:496
	v_fma_f64 v[165:166], v[165:166], v[30:31], v[171:172]
	v_fma_f64 v[163:164], v[163:164], v[30:31], -v[32:33]
	scratch_load_b128 v[30:33], off, off offset:512
	v_add_f64_e32 v[167:168], v[167:168], v[38:39]
	v_add_f64_e32 v[169:170], v[169:170], v[40:41]
	ds_load_b128 v[38:41], v1 offset:1232
	s_wait_loadcnt_dscnt 0xa01
	v_mul_f64_e32 v[177:178], v[2:3], v[36:37]
	v_mul_f64_e32 v[36:37], v[4:5], v[36:37]
	s_wait_loadcnt_dscnt 0x800
	v_mul_f64_e32 v[171:172], v[38:39], v[161:162]
	v_add_f64_e32 v[167:168], v[167:168], v[175:176]
	v_add_f64_e32 v[169:170], v[169:170], v[173:174]
	v_mul_f64_e32 v[173:174], v[40:41], v[161:162]
	v_fma_f64 v[175:176], v[4:5], v[34:35], v[177:178]
	v_fma_f64 v[177:178], v[2:3], v[34:35], -v[36:37]
	ds_load_b128 v[2:5], v1 offset:1248
	scratch_load_b128 v[34:37], off, off offset:528
	v_fma_f64 v[171:172], v[40:41], v[159:160], v[171:172]
	v_add_f64_e32 v[167:168], v[167:168], v[163:164]
	v_add_f64_e32 v[165:166], v[169:170], v[165:166]
	ds_load_b128 v[161:164], v1 offset:1264
	v_fma_f64 v[159:160], v[38:39], v[159:160], -v[173:174]
	scratch_load_b128 v[38:41], off, off offset:544
	s_wait_loadcnt_dscnt 0x901
	v_mul_f64_e32 v[169:170], v[2:3], v[44:45]
	v_mul_f64_e32 v[44:45], v[4:5], v[44:45]
	s_wait_loadcnt_dscnt 0x800
	v_mul_f64_e32 v[173:174], v[161:162], v[8:9]
	v_mul_f64_e32 v[8:9], v[163:164], v[8:9]
	v_add_f64_e32 v[167:168], v[167:168], v[177:178]
	v_add_f64_e32 v[165:166], v[165:166], v[175:176]
	v_fma_f64 v[169:170], v[4:5], v[42:43], v[169:170]
	v_fma_f64 v[175:176], v[2:3], v[42:43], -v[44:45]
	ds_load_b128 v[2:5], v1 offset:1280
	scratch_load_b128 v[42:45], off, off offset:560
	v_fma_f64 v[163:164], v[163:164], v[6:7], v[173:174]
	v_fma_f64 v[161:162], v[161:162], v[6:7], -v[8:9]
	scratch_load_b128 v[6:9], off, off offset:576
	v_add_f64_e32 v[159:160], v[167:168], v[159:160]
	v_add_f64_e32 v[171:172], v[165:166], v[171:172]
	ds_load_b128 v[165:168], v1 offset:1296
	s_wait_loadcnt_dscnt 0x901
	v_mul_f64_e32 v[177:178], v[2:3], v[12:13]
	v_mul_f64_e32 v[12:13], v[4:5], v[12:13]
	v_add_f64_e32 v[159:160], v[159:160], v[175:176]
	v_add_f64_e32 v[169:170], v[171:172], v[169:170]
	s_wait_loadcnt_dscnt 0x800
	v_mul_f64_e32 v[171:172], v[165:166], v[16:17]
	v_mul_f64_e32 v[16:17], v[167:168], v[16:17]
	v_fma_f64 v[173:174], v[4:5], v[10:11], v[177:178]
	v_fma_f64 v[175:176], v[2:3], v[10:11], -v[12:13]
	ds_load_b128 v[2:5], v1 offset:1312
	scratch_load_b128 v[10:13], off, off offset:592
	v_add_f64_e32 v[177:178], v[159:160], v[161:162]
	v_add_f64_e32 v[163:164], v[169:170], v[163:164]
	ds_load_b128 v[159:162], v1 offset:1328
	s_wait_loadcnt_dscnt 0x801
	v_mul_f64_e32 v[169:170], v[2:3], v[20:21]
	v_mul_f64_e32 v[20:21], v[4:5], v[20:21]
	v_fma_f64 v[167:168], v[167:168], v[14:15], v[171:172]
	v_fma_f64 v[165:166], v[165:166], v[14:15], -v[16:17]
	scratch_load_b128 v[14:17], off, off offset:608
	v_add_f64_e32 v[171:172], v[177:178], v[175:176]
	v_add_f64_e32 v[163:164], v[163:164], v[173:174]
	s_wait_loadcnt_dscnt 0x800
	v_mul_f64_e32 v[173:174], v[159:160], v[24:25]
	v_mul_f64_e32 v[24:25], v[161:162], v[24:25]
	v_fma_f64 v[169:170], v[4:5], v[18:19], v[169:170]
	v_fma_f64 v[175:176], v[2:3], v[18:19], -v[20:21]
	ds_load_b128 v[2:5], v1 offset:1344
	scratch_load_b128 v[18:21], off, off offset:624
	v_add_f64_e32 v[171:172], v[171:172], v[165:166]
	v_add_f64_e32 v[167:168], v[163:164], v[167:168]
	ds_load_b128 v[163:166], v1 offset:1360
	s_wait_loadcnt_dscnt 0x801
	v_mul_f64_e32 v[177:178], v[2:3], v[28:29]
	v_mul_f64_e32 v[28:29], v[4:5], v[28:29]
	v_fma_f64 v[161:162], v[161:162], v[22:23], v[173:174]
	v_fma_f64 v[159:160], v[159:160], v[22:23], -v[24:25]
	scratch_load_b128 v[22:25], off, off offset:640
	;; [unrolled: 18-line block ×4, first 2 shown]
	s_wait_loadcnt_dscnt 0x800
	v_mul_f64_e32 v[171:172], v[163:164], v[8:9]
	v_mul_f64_e32 v[8:9], v[165:166], v[8:9]
	v_add_f64_e32 v[169:170], v[169:170], v[175:176]
	v_add_f64_e32 v[167:168], v[167:168], v[173:174]
	v_fma_f64 v[173:174], v[4:5], v[42:43], v[177:178]
	v_fma_f64 v[175:176], v[2:3], v[42:43], -v[44:45]
	ds_load_b128 v[2:5], v1 offset:1440
	scratch_load_b128 v[42:45], off, off offset:720
	v_fma_f64 v[165:166], v[165:166], v[6:7], v[171:172]
	v_fma_f64 v[163:164], v[163:164], v[6:7], -v[8:9]
	scratch_load_b128 v[6:9], off, off offset:736
	v_add_f64_e32 v[169:170], v[169:170], v[159:160]
	v_add_f64_e32 v[167:168], v[167:168], v[161:162]
	ds_load_b128 v[159:162], v1 offset:1456
	s_wait_loadcnt_dscnt 0x901
	v_mul_f64_e32 v[177:178], v[2:3], v[12:13]
	v_mul_f64_e32 v[12:13], v[4:5], v[12:13]
	s_wait_loadcnt_dscnt 0x800
	v_mul_f64_e32 v[171:172], v[159:160], v[16:17]
	v_mul_f64_e32 v[16:17], v[161:162], v[16:17]
	v_add_f64_e32 v[169:170], v[169:170], v[175:176]
	v_add_f64_e32 v[167:168], v[167:168], v[173:174]
	v_fma_f64 v[173:174], v[4:5], v[10:11], v[177:178]
	v_fma_f64 v[175:176], v[2:3], v[10:11], -v[12:13]
	ds_load_b128 v[2:5], v1 offset:1472
	scratch_load_b128 v[10:13], off, off offset:752
	v_fma_f64 v[161:162], v[161:162], v[14:15], v[171:172]
	v_fma_f64 v[159:160], v[159:160], v[14:15], -v[16:17]
	scratch_load_b128 v[14:17], off, off offset:768
	v_add_f64_e32 v[169:170], v[169:170], v[163:164]
	v_add_f64_e32 v[167:168], v[167:168], v[165:166]
	ds_load_b128 v[163:166], v1 offset:1488
	s_wait_loadcnt_dscnt 0x901
	v_mul_f64_e32 v[177:178], v[2:3], v[20:21]
	v_mul_f64_e32 v[20:21], v[4:5], v[20:21]
	;; [unrolled: 18-line block ×5, first 2 shown]
	s_wait_loadcnt_dscnt 0x800
	v_mul_f64_e32 v[171:172], v[159:160], v[8:9]
	v_mul_f64_e32 v[8:9], v[161:162], v[8:9]
	v_add_f64_e32 v[169:170], v[169:170], v[175:176]
	v_add_f64_e32 v[167:168], v[167:168], v[173:174]
	v_fma_f64 v[173:174], v[4:5], v[42:43], v[177:178]
	v_fma_f64 v[175:176], v[2:3], v[42:43], -v[44:45]
	ds_load_b128 v[2:5], v1 offset:1600
	ds_load_b128 v[42:45], v1 offset:1616
	v_fma_f64 v[161:162], v[161:162], v[6:7], v[171:172]
	v_fma_f64 v[6:7], v[159:160], v[6:7], -v[8:9]
	v_add_f64_e32 v[163:164], v[169:170], v[163:164]
	v_add_f64_e32 v[165:166], v[167:168], v[165:166]
	s_wait_loadcnt_dscnt 0x701
	v_mul_f64_e32 v[167:168], v[2:3], v[12:13]
	v_mul_f64_e32 v[12:13], v[4:5], v[12:13]
	s_delay_alu instid0(VALU_DEP_4) | instskip(NEXT) | instid1(VALU_DEP_4)
	v_add_f64_e32 v[8:9], v[163:164], v[175:176]
	v_add_f64_e32 v[159:160], v[165:166], v[173:174]
	s_wait_loadcnt_dscnt 0x600
	v_mul_f64_e32 v[163:164], v[42:43], v[16:17]
	v_mul_f64_e32 v[16:17], v[44:45], v[16:17]
	v_fma_f64 v[165:166], v[4:5], v[10:11], v[167:168]
	v_fma_f64 v[10:11], v[2:3], v[10:11], -v[12:13]
	v_add_f64_e32 v[12:13], v[8:9], v[6:7]
	v_add_f64_e32 v[159:160], v[159:160], v[161:162]
	ds_load_b128 v[2:5], v1 offset:1632
	ds_load_b128 v[6:9], v1 offset:1648
	v_fma_f64 v[44:45], v[44:45], v[14:15], v[163:164]
	v_fma_f64 v[14:15], v[42:43], v[14:15], -v[16:17]
	s_wait_loadcnt_dscnt 0x501
	v_mul_f64_e32 v[161:162], v[2:3], v[20:21]
	v_mul_f64_e32 v[20:21], v[4:5], v[20:21]
	s_wait_loadcnt_dscnt 0x400
	v_mul_f64_e32 v[16:17], v[6:7], v[24:25]
	v_mul_f64_e32 v[24:25], v[8:9], v[24:25]
	v_add_f64_e32 v[10:11], v[12:13], v[10:11]
	v_add_f64_e32 v[12:13], v[159:160], v[165:166]
	v_fma_f64 v[42:43], v[4:5], v[18:19], v[161:162]
	v_fma_f64 v[18:19], v[2:3], v[18:19], -v[20:21]
	v_fma_f64 v[8:9], v[8:9], v[22:23], v[16:17]
	v_fma_f64 v[6:7], v[6:7], v[22:23], -v[24:25]
	v_add_f64_e32 v[14:15], v[10:11], v[14:15]
	v_add_f64_e32 v[20:21], v[12:13], v[44:45]
	ds_load_b128 v[2:5], v1 offset:1664
	ds_load_b128 v[10:13], v1 offset:1680
	s_wait_loadcnt_dscnt 0x301
	v_mul_f64_e32 v[44:45], v[2:3], v[28:29]
	v_mul_f64_e32 v[28:29], v[4:5], v[28:29]
	v_add_f64_e32 v[14:15], v[14:15], v[18:19]
	v_add_f64_e32 v[16:17], v[20:21], v[42:43]
	s_wait_loadcnt_dscnt 0x200
	v_mul_f64_e32 v[18:19], v[10:11], v[32:33]
	v_mul_f64_e32 v[20:21], v[12:13], v[32:33]
	v_fma_f64 v[22:23], v[4:5], v[26:27], v[44:45]
	v_fma_f64 v[24:25], v[2:3], v[26:27], -v[28:29]
	v_add_f64_e32 v[14:15], v[14:15], v[6:7]
	v_add_f64_e32 v[16:17], v[16:17], v[8:9]
	ds_load_b128 v[2:5], v1 offset:1696
	ds_load_b128 v[6:9], v1 offset:1712
	v_fma_f64 v[12:13], v[12:13], v[30:31], v[18:19]
	v_fma_f64 v[10:11], v[10:11], v[30:31], -v[20:21]
	s_wait_loadcnt_dscnt 0x101
	v_mul_f64_e32 v[26:27], v[2:3], v[36:37]
	v_mul_f64_e32 v[28:29], v[4:5], v[36:37]
	s_wait_loadcnt_dscnt 0x0
	v_mul_f64_e32 v[18:19], v[6:7], v[40:41]
	v_mul_f64_e32 v[20:21], v[8:9], v[40:41]
	v_add_f64_e32 v[14:15], v[14:15], v[24:25]
	v_add_f64_e32 v[16:17], v[16:17], v[22:23]
	v_fma_f64 v[4:5], v[4:5], v[34:35], v[26:27]
	v_fma_f64 v[1:2], v[2:3], v[34:35], -v[28:29]
	v_fma_f64 v[8:9], v[8:9], v[38:39], v[18:19]
	v_fma_f64 v[6:7], v[6:7], v[38:39], -v[20:21]
	v_add_f64_e32 v[10:11], v[14:15], v[10:11]
	v_add_f64_e32 v[12:13], v[16:17], v[12:13]
	s_delay_alu instid0(VALU_DEP_2) | instskip(NEXT) | instid1(VALU_DEP_2)
	v_add_f64_e32 v[1:2], v[10:11], v[1:2]
	v_add_f64_e32 v[3:4], v[12:13], v[4:5]
	s_delay_alu instid0(VALU_DEP_2) | instskip(NEXT) | instid1(VALU_DEP_2)
	;; [unrolled: 3-line block ×3, first 2 shown]
	v_add_f64_e64 v[1:2], v[155:156], -v[1:2]
	v_add_f64_e64 v[3:4], v[157:158], -v[3:4]
	scratch_store_b128 off, v[1:4], off offset:224
	v_cmpx_lt_u32_e32 12, v0
	s_cbranch_execz .LBB117_313
; %bb.312:
	scratch_load_b128 v[1:4], off, s55
	v_mov_b32_e32 v5, 0
	s_delay_alu instid0(VALU_DEP_1)
	v_dual_mov_b32 v6, v5 :: v_dual_mov_b32 v7, v5
	v_mov_b32_e32 v8, v5
	scratch_store_b128 off, v[5:8], off offset:208
	s_wait_loadcnt 0x0
	ds_store_b128 v154, v[1:4]
.LBB117_313:
	s_wait_alu 0xfffe
	s_or_b32 exec_lo, exec_lo, s0
	s_wait_storecnt_dscnt 0x0
	s_barrier_signal -1
	s_barrier_wait -1
	global_inv scope:SCOPE_SE
	s_clause 0x7
	scratch_load_b128 v[2:5], off, off offset:224
	scratch_load_b128 v[6:9], off, off offset:240
	scratch_load_b128 v[10:13], off, off offset:256
	scratch_load_b128 v[14:17], off, off offset:272
	scratch_load_b128 v[18:21], off, off offset:288
	scratch_load_b128 v[22:25], off, off offset:304
	scratch_load_b128 v[26:29], off, off offset:320
	scratch_load_b128 v[30:33], off, off offset:336
	v_mov_b32_e32 v1, 0
	s_mov_b32 s0, exec_lo
	ds_load_b128 v[38:41], v1 offset:1072
	s_clause 0x1
	scratch_load_b128 v[34:37], off, off offset:352
	scratch_load_b128 v[42:45], off, off offset:208
	ds_load_b128 v[155:158], v1 offset:1088
	scratch_load_b128 v[159:162], off, off offset:368
	s_wait_loadcnt_dscnt 0xa01
	v_mul_f64_e32 v[163:164], v[40:41], v[4:5]
	v_mul_f64_e32 v[4:5], v[38:39], v[4:5]
	s_delay_alu instid0(VALU_DEP_2) | instskip(NEXT) | instid1(VALU_DEP_2)
	v_fma_f64 v[169:170], v[38:39], v[2:3], -v[163:164]
	v_fma_f64 v[171:172], v[40:41], v[2:3], v[4:5]
	ds_load_b128 v[2:5], v1 offset:1104
	s_wait_loadcnt_dscnt 0x901
	v_mul_f64_e32 v[167:168], v[155:156], v[8:9]
	v_mul_f64_e32 v[8:9], v[157:158], v[8:9]
	scratch_load_b128 v[38:41], off, off offset:384
	ds_load_b128 v[163:166], v1 offset:1120
	s_wait_loadcnt_dscnt 0x901
	v_mul_f64_e32 v[173:174], v[2:3], v[12:13]
	v_mul_f64_e32 v[12:13], v[4:5], v[12:13]
	v_fma_f64 v[157:158], v[157:158], v[6:7], v[167:168]
	v_fma_f64 v[155:156], v[155:156], v[6:7], -v[8:9]
	v_add_f64_e32 v[167:168], 0, v[169:170]
	v_add_f64_e32 v[169:170], 0, v[171:172]
	scratch_load_b128 v[6:9], off, off offset:400
	v_fma_f64 v[173:174], v[4:5], v[10:11], v[173:174]
	v_fma_f64 v[175:176], v[2:3], v[10:11], -v[12:13]
	ds_load_b128 v[2:5], v1 offset:1136
	s_wait_loadcnt_dscnt 0x901
	v_mul_f64_e32 v[171:172], v[163:164], v[16:17]
	v_mul_f64_e32 v[16:17], v[165:166], v[16:17]
	scratch_load_b128 v[10:13], off, off offset:416
	v_add_f64_e32 v[167:168], v[167:168], v[155:156]
	v_add_f64_e32 v[169:170], v[169:170], v[157:158]
	s_wait_loadcnt_dscnt 0x900
	v_mul_f64_e32 v[177:178], v[2:3], v[20:21]
	v_mul_f64_e32 v[20:21], v[4:5], v[20:21]
	ds_load_b128 v[155:158], v1 offset:1152
	v_fma_f64 v[165:166], v[165:166], v[14:15], v[171:172]
	v_fma_f64 v[163:164], v[163:164], v[14:15], -v[16:17]
	scratch_load_b128 v[14:17], off, off offset:432
	v_add_f64_e32 v[167:168], v[167:168], v[175:176]
	v_add_f64_e32 v[169:170], v[169:170], v[173:174]
	v_fma_f64 v[173:174], v[4:5], v[18:19], v[177:178]
	v_fma_f64 v[175:176], v[2:3], v[18:19], -v[20:21]
	ds_load_b128 v[2:5], v1 offset:1168
	s_wait_loadcnt_dscnt 0x901
	v_mul_f64_e32 v[171:172], v[155:156], v[24:25]
	v_mul_f64_e32 v[24:25], v[157:158], v[24:25]
	scratch_load_b128 v[18:21], off, off offset:448
	s_wait_loadcnt_dscnt 0x900
	v_mul_f64_e32 v[177:178], v[2:3], v[28:29]
	v_mul_f64_e32 v[28:29], v[4:5], v[28:29]
	v_add_f64_e32 v[167:168], v[167:168], v[163:164]
	v_add_f64_e32 v[169:170], v[169:170], v[165:166]
	ds_load_b128 v[163:166], v1 offset:1184
	v_fma_f64 v[157:158], v[157:158], v[22:23], v[171:172]
	v_fma_f64 v[155:156], v[155:156], v[22:23], -v[24:25]
	scratch_load_b128 v[22:25], off, off offset:464
	v_add_f64_e32 v[167:168], v[167:168], v[175:176]
	v_add_f64_e32 v[169:170], v[169:170], v[173:174]
	v_fma_f64 v[173:174], v[4:5], v[26:27], v[177:178]
	v_fma_f64 v[175:176], v[2:3], v[26:27], -v[28:29]
	ds_load_b128 v[2:5], v1 offset:1200
	s_wait_loadcnt_dscnt 0x901
	v_mul_f64_e32 v[171:172], v[163:164], v[32:33]
	v_mul_f64_e32 v[32:33], v[165:166], v[32:33]
	scratch_load_b128 v[26:29], off, off offset:480
	s_wait_loadcnt_dscnt 0x900
	v_mul_f64_e32 v[177:178], v[2:3], v[36:37]
	v_mul_f64_e32 v[36:37], v[4:5], v[36:37]
	v_add_f64_e32 v[167:168], v[167:168], v[155:156]
	v_add_f64_e32 v[169:170], v[169:170], v[157:158]
	ds_load_b128 v[155:158], v1 offset:1216
	v_fma_f64 v[165:166], v[165:166], v[30:31], v[171:172]
	v_fma_f64 v[163:164], v[163:164], v[30:31], -v[32:33]
	scratch_load_b128 v[30:33], off, off offset:496
	v_add_f64_e32 v[167:168], v[167:168], v[175:176]
	v_add_f64_e32 v[169:170], v[169:170], v[173:174]
	v_fma_f64 v[175:176], v[4:5], v[34:35], v[177:178]
	v_fma_f64 v[177:178], v[2:3], v[34:35], -v[36:37]
	ds_load_b128 v[2:5], v1 offset:1232
	s_wait_loadcnt_dscnt 0x801
	v_mul_f64_e32 v[171:172], v[155:156], v[161:162]
	v_mul_f64_e32 v[173:174], v[157:158], v[161:162]
	scratch_load_b128 v[34:37], off, off offset:512
	v_add_f64_e32 v[167:168], v[167:168], v[163:164]
	v_add_f64_e32 v[165:166], v[169:170], v[165:166]
	ds_load_b128 v[161:164], v1 offset:1248
	v_fma_f64 v[171:172], v[157:158], v[159:160], v[171:172]
	v_fma_f64 v[159:160], v[155:156], v[159:160], -v[173:174]
	scratch_load_b128 v[155:158], off, off offset:528
	s_wait_loadcnt_dscnt 0x901
	v_mul_f64_e32 v[169:170], v[2:3], v[40:41]
	v_mul_f64_e32 v[40:41], v[4:5], v[40:41]
	v_add_f64_e32 v[167:168], v[167:168], v[177:178]
	v_add_f64_e32 v[165:166], v[165:166], v[175:176]
	s_delay_alu instid0(VALU_DEP_4) | instskip(NEXT) | instid1(VALU_DEP_4)
	v_fma_f64 v[169:170], v[4:5], v[38:39], v[169:170]
	v_fma_f64 v[175:176], v[2:3], v[38:39], -v[40:41]
	ds_load_b128 v[2:5], v1 offset:1264
	s_wait_loadcnt_dscnt 0x801
	v_mul_f64_e32 v[173:174], v[161:162], v[8:9]
	v_mul_f64_e32 v[8:9], v[163:164], v[8:9]
	scratch_load_b128 v[38:41], off, off offset:544
	s_wait_loadcnt_dscnt 0x800
	v_mul_f64_e32 v[177:178], v[2:3], v[12:13]
	v_add_f64_e32 v[159:160], v[167:168], v[159:160]
	v_add_f64_e32 v[171:172], v[165:166], v[171:172]
	v_mul_f64_e32 v[12:13], v[4:5], v[12:13]
	ds_load_b128 v[165:168], v1 offset:1280
	v_fma_f64 v[163:164], v[163:164], v[6:7], v[173:174]
	v_fma_f64 v[161:162], v[161:162], v[6:7], -v[8:9]
	scratch_load_b128 v[6:9], off, off offset:560
	v_fma_f64 v[173:174], v[4:5], v[10:11], v[177:178]
	v_add_f64_e32 v[159:160], v[159:160], v[175:176]
	v_add_f64_e32 v[169:170], v[171:172], v[169:170]
	v_fma_f64 v[175:176], v[2:3], v[10:11], -v[12:13]
	ds_load_b128 v[2:5], v1 offset:1296
	s_wait_loadcnt_dscnt 0x801
	v_mul_f64_e32 v[171:172], v[165:166], v[16:17]
	v_mul_f64_e32 v[16:17], v[167:168], v[16:17]
	scratch_load_b128 v[10:13], off, off offset:576
	v_add_f64_e32 v[177:178], v[159:160], v[161:162]
	v_add_f64_e32 v[163:164], v[169:170], v[163:164]
	s_wait_loadcnt_dscnt 0x800
	v_mul_f64_e32 v[169:170], v[2:3], v[20:21]
	v_mul_f64_e32 v[20:21], v[4:5], v[20:21]
	v_fma_f64 v[167:168], v[167:168], v[14:15], v[171:172]
	v_fma_f64 v[165:166], v[165:166], v[14:15], -v[16:17]
	ds_load_b128 v[159:162], v1 offset:1312
	scratch_load_b128 v[14:17], off, off offset:592
	v_add_f64_e32 v[171:172], v[177:178], v[175:176]
	v_add_f64_e32 v[163:164], v[163:164], v[173:174]
	v_fma_f64 v[169:170], v[4:5], v[18:19], v[169:170]
	v_fma_f64 v[175:176], v[2:3], v[18:19], -v[20:21]
	ds_load_b128 v[2:5], v1 offset:1328
	s_wait_loadcnt_dscnt 0x801
	v_mul_f64_e32 v[173:174], v[159:160], v[24:25]
	v_mul_f64_e32 v[24:25], v[161:162], v[24:25]
	scratch_load_b128 v[18:21], off, off offset:608
	s_wait_loadcnt_dscnt 0x800
	v_mul_f64_e32 v[177:178], v[2:3], v[28:29]
	v_mul_f64_e32 v[28:29], v[4:5], v[28:29]
	v_add_f64_e32 v[171:172], v[171:172], v[165:166]
	v_add_f64_e32 v[167:168], v[163:164], v[167:168]
	ds_load_b128 v[163:166], v1 offset:1344
	v_fma_f64 v[161:162], v[161:162], v[22:23], v[173:174]
	v_fma_f64 v[159:160], v[159:160], v[22:23], -v[24:25]
	scratch_load_b128 v[22:25], off, off offset:624
	v_fma_f64 v[173:174], v[4:5], v[26:27], v[177:178]
	v_add_f64_e32 v[171:172], v[171:172], v[175:176]
	v_add_f64_e32 v[167:168], v[167:168], v[169:170]
	v_fma_f64 v[175:176], v[2:3], v[26:27], -v[28:29]
	ds_load_b128 v[2:5], v1 offset:1360
	s_wait_loadcnt_dscnt 0x801
	v_mul_f64_e32 v[169:170], v[163:164], v[32:33]
	v_mul_f64_e32 v[32:33], v[165:166], v[32:33]
	scratch_load_b128 v[26:29], off, off offset:640
	s_wait_loadcnt_dscnt 0x800
	v_mul_f64_e32 v[177:178], v[2:3], v[36:37]
	v_mul_f64_e32 v[36:37], v[4:5], v[36:37]
	v_add_f64_e32 v[171:172], v[171:172], v[159:160]
	v_add_f64_e32 v[167:168], v[167:168], v[161:162]
	ds_load_b128 v[159:162], v1 offset:1376
	v_fma_f64 v[165:166], v[165:166], v[30:31], v[169:170]
	v_fma_f64 v[163:164], v[163:164], v[30:31], -v[32:33]
	scratch_load_b128 v[30:33], off, off offset:656
	v_add_f64_e32 v[169:170], v[171:172], v[175:176]
	v_add_f64_e32 v[167:168], v[167:168], v[173:174]
	v_fma_f64 v[173:174], v[4:5], v[34:35], v[177:178]
	v_fma_f64 v[175:176], v[2:3], v[34:35], -v[36:37]
	ds_load_b128 v[2:5], v1 offset:1392
	s_wait_loadcnt_dscnt 0x801
	v_mul_f64_e32 v[171:172], v[159:160], v[157:158]
	v_mul_f64_e32 v[157:158], v[161:162], v[157:158]
	scratch_load_b128 v[34:37], off, off offset:672
	s_wait_loadcnt_dscnt 0x800
	v_mul_f64_e32 v[177:178], v[2:3], v[40:41]
	v_mul_f64_e32 v[40:41], v[4:5], v[40:41]
	v_add_f64_e32 v[169:170], v[169:170], v[163:164]
	v_add_f64_e32 v[167:168], v[167:168], v[165:166]
	ds_load_b128 v[163:166], v1 offset:1408
	v_fma_f64 v[161:162], v[161:162], v[155:156], v[171:172]
	v_fma_f64 v[159:160], v[159:160], v[155:156], -v[157:158]
	scratch_load_b128 v[155:158], off, off offset:688
	v_add_f64_e32 v[169:170], v[169:170], v[175:176]
	v_add_f64_e32 v[167:168], v[167:168], v[173:174]
	v_fma_f64 v[173:174], v[4:5], v[38:39], v[177:178]
	v_fma_f64 v[175:176], v[2:3], v[38:39], -v[40:41]
	ds_load_b128 v[2:5], v1 offset:1424
	s_wait_loadcnt_dscnt 0x801
	v_mul_f64_e32 v[171:172], v[163:164], v[8:9]
	v_mul_f64_e32 v[8:9], v[165:166], v[8:9]
	scratch_load_b128 v[38:41], off, off offset:704
	s_wait_loadcnt_dscnt 0x800
	v_mul_f64_e32 v[177:178], v[2:3], v[12:13]
	v_mul_f64_e32 v[12:13], v[4:5], v[12:13]
	v_add_f64_e32 v[169:170], v[169:170], v[159:160]
	v_add_f64_e32 v[167:168], v[167:168], v[161:162]
	ds_load_b128 v[159:162], v1 offset:1440
	v_fma_f64 v[165:166], v[165:166], v[6:7], v[171:172]
	v_fma_f64 v[163:164], v[163:164], v[6:7], -v[8:9]
	scratch_load_b128 v[6:9], off, off offset:720
	v_add_f64_e32 v[169:170], v[169:170], v[175:176]
	v_add_f64_e32 v[167:168], v[167:168], v[173:174]
	v_fma_f64 v[173:174], v[4:5], v[10:11], v[177:178]
	v_fma_f64 v[175:176], v[2:3], v[10:11], -v[12:13]
	ds_load_b128 v[2:5], v1 offset:1456
	s_wait_loadcnt_dscnt 0x801
	v_mul_f64_e32 v[171:172], v[159:160], v[16:17]
	v_mul_f64_e32 v[16:17], v[161:162], v[16:17]
	scratch_load_b128 v[10:13], off, off offset:736
	s_wait_loadcnt_dscnt 0x800
	v_mul_f64_e32 v[177:178], v[2:3], v[20:21]
	v_mul_f64_e32 v[20:21], v[4:5], v[20:21]
	v_add_f64_e32 v[169:170], v[169:170], v[163:164]
	v_add_f64_e32 v[167:168], v[167:168], v[165:166]
	ds_load_b128 v[163:166], v1 offset:1472
	v_fma_f64 v[161:162], v[161:162], v[14:15], v[171:172]
	v_fma_f64 v[159:160], v[159:160], v[14:15], -v[16:17]
	scratch_load_b128 v[14:17], off, off offset:752
	v_add_f64_e32 v[169:170], v[169:170], v[175:176]
	v_add_f64_e32 v[167:168], v[167:168], v[173:174]
	v_fma_f64 v[173:174], v[4:5], v[18:19], v[177:178]
	v_fma_f64 v[175:176], v[2:3], v[18:19], -v[20:21]
	ds_load_b128 v[2:5], v1 offset:1488
	s_wait_loadcnt_dscnt 0x801
	v_mul_f64_e32 v[171:172], v[163:164], v[24:25]
	v_mul_f64_e32 v[24:25], v[165:166], v[24:25]
	scratch_load_b128 v[18:21], off, off offset:768
	s_wait_loadcnt_dscnt 0x800
	v_mul_f64_e32 v[177:178], v[2:3], v[28:29]
	v_mul_f64_e32 v[28:29], v[4:5], v[28:29]
	v_add_f64_e32 v[169:170], v[169:170], v[159:160]
	v_add_f64_e32 v[167:168], v[167:168], v[161:162]
	ds_load_b128 v[159:162], v1 offset:1504
	v_fma_f64 v[165:166], v[165:166], v[22:23], v[171:172]
	v_fma_f64 v[163:164], v[163:164], v[22:23], -v[24:25]
	scratch_load_b128 v[22:25], off, off offset:784
	v_add_f64_e32 v[169:170], v[169:170], v[175:176]
	v_add_f64_e32 v[167:168], v[167:168], v[173:174]
	v_fma_f64 v[173:174], v[4:5], v[26:27], v[177:178]
	v_fma_f64 v[175:176], v[2:3], v[26:27], -v[28:29]
	ds_load_b128 v[2:5], v1 offset:1520
	s_wait_loadcnt_dscnt 0x801
	v_mul_f64_e32 v[171:172], v[159:160], v[32:33]
	v_mul_f64_e32 v[32:33], v[161:162], v[32:33]
	scratch_load_b128 v[26:29], off, off offset:800
	s_wait_loadcnt_dscnt 0x800
	v_mul_f64_e32 v[177:178], v[2:3], v[36:37]
	v_mul_f64_e32 v[36:37], v[4:5], v[36:37]
	v_add_f64_e32 v[169:170], v[169:170], v[163:164]
	v_add_f64_e32 v[167:168], v[167:168], v[165:166]
	ds_load_b128 v[163:166], v1 offset:1536
	v_fma_f64 v[161:162], v[161:162], v[30:31], v[171:172]
	v_fma_f64 v[159:160], v[159:160], v[30:31], -v[32:33]
	scratch_load_b128 v[30:33], off, off offset:816
	v_add_f64_e32 v[169:170], v[169:170], v[175:176]
	v_add_f64_e32 v[167:168], v[167:168], v[173:174]
	v_fma_f64 v[175:176], v[4:5], v[34:35], v[177:178]
	v_fma_f64 v[177:178], v[2:3], v[34:35], -v[36:37]
	ds_load_b128 v[2:5], v1 offset:1552
	s_wait_loadcnt_dscnt 0x801
	v_mul_f64_e32 v[171:172], v[163:164], v[157:158]
	v_mul_f64_e32 v[173:174], v[165:166], v[157:158]
	scratch_load_b128 v[34:37], off, off offset:832
	v_add_f64_e32 v[169:170], v[169:170], v[159:160]
	v_add_f64_e32 v[161:162], v[167:168], v[161:162]
	s_wait_loadcnt_dscnt 0x800
	v_mul_f64_e32 v[167:168], v[2:3], v[40:41]
	v_mul_f64_e32 v[40:41], v[4:5], v[40:41]
	ds_load_b128 v[157:160], v1 offset:1568
	v_fma_f64 v[165:166], v[165:166], v[155:156], v[171:172]
	v_fma_f64 v[155:156], v[163:164], v[155:156], -v[173:174]
	v_add_f64_e32 v[169:170], v[169:170], v[177:178]
	v_add_f64_e32 v[171:172], v[161:162], v[175:176]
	scratch_load_b128 v[161:164], off, off offset:848
	v_fma_f64 v[175:176], v[4:5], v[38:39], v[167:168]
	v_fma_f64 v[177:178], v[2:3], v[38:39], -v[40:41]
	ds_load_b128 v[2:5], v1 offset:1584
	s_wait_loadcnt_dscnt 0x801
	v_mul_f64_e32 v[173:174], v[157:158], v[8:9]
	v_mul_f64_e32 v[8:9], v[159:160], v[8:9]
	scratch_load_b128 v[38:41], off, off offset:864
	v_add_f64_e32 v[155:156], v[169:170], v[155:156]
	v_add_f64_e32 v[169:170], v[171:172], v[165:166]
	s_wait_loadcnt_dscnt 0x800
	v_mul_f64_e32 v[171:172], v[2:3], v[12:13]
	v_mul_f64_e32 v[12:13], v[4:5], v[12:13]
	ds_load_b128 v[165:168], v1 offset:1600
	v_fma_f64 v[159:160], v[159:160], v[6:7], v[173:174]
	v_fma_f64 v[6:7], v[157:158], v[6:7], -v[8:9]
	s_wait_loadcnt_dscnt 0x700
	v_mul_f64_e32 v[157:158], v[165:166], v[16:17]
	v_mul_f64_e32 v[16:17], v[167:168], v[16:17]
	v_add_f64_e32 v[8:9], v[155:156], v[177:178]
	v_add_f64_e32 v[155:156], v[169:170], v[175:176]
	v_fma_f64 v[169:170], v[4:5], v[10:11], v[171:172]
	v_fma_f64 v[10:11], v[2:3], v[10:11], -v[12:13]
	v_fma_f64 v[157:158], v[167:168], v[14:15], v[157:158]
	v_fma_f64 v[14:15], v[165:166], v[14:15], -v[16:17]
	v_add_f64_e32 v[12:13], v[8:9], v[6:7]
	v_add_f64_e32 v[155:156], v[155:156], v[159:160]
	ds_load_b128 v[2:5], v1 offset:1616
	ds_load_b128 v[6:9], v1 offset:1632
	s_wait_loadcnt_dscnt 0x601
	v_mul_f64_e32 v[159:160], v[2:3], v[20:21]
	v_mul_f64_e32 v[20:21], v[4:5], v[20:21]
	s_wait_loadcnt_dscnt 0x500
	v_mul_f64_e32 v[16:17], v[6:7], v[24:25]
	v_mul_f64_e32 v[24:25], v[8:9], v[24:25]
	v_add_f64_e32 v[10:11], v[12:13], v[10:11]
	v_add_f64_e32 v[12:13], v[155:156], v[169:170]
	v_fma_f64 v[155:156], v[4:5], v[18:19], v[159:160]
	v_fma_f64 v[18:19], v[2:3], v[18:19], -v[20:21]
	v_fma_f64 v[8:9], v[8:9], v[22:23], v[16:17]
	v_fma_f64 v[6:7], v[6:7], v[22:23], -v[24:25]
	v_add_f64_e32 v[14:15], v[10:11], v[14:15]
	v_add_f64_e32 v[20:21], v[12:13], v[157:158]
	ds_load_b128 v[2:5], v1 offset:1648
	ds_load_b128 v[10:13], v1 offset:1664
	s_wait_loadcnt_dscnt 0x401
	v_mul_f64_e32 v[157:158], v[2:3], v[28:29]
	v_mul_f64_e32 v[28:29], v[4:5], v[28:29]
	v_add_f64_e32 v[14:15], v[14:15], v[18:19]
	v_add_f64_e32 v[16:17], v[20:21], v[155:156]
	s_wait_loadcnt_dscnt 0x300
	v_mul_f64_e32 v[18:19], v[10:11], v[32:33]
	v_mul_f64_e32 v[20:21], v[12:13], v[32:33]
	v_fma_f64 v[22:23], v[4:5], v[26:27], v[157:158]
	v_fma_f64 v[24:25], v[2:3], v[26:27], -v[28:29]
	v_add_f64_e32 v[14:15], v[14:15], v[6:7]
	v_add_f64_e32 v[16:17], v[16:17], v[8:9]
	ds_load_b128 v[2:5], v1 offset:1680
	ds_load_b128 v[6:9], v1 offset:1696
	v_fma_f64 v[12:13], v[12:13], v[30:31], v[18:19]
	v_fma_f64 v[10:11], v[10:11], v[30:31], -v[20:21]
	s_wait_loadcnt_dscnt 0x201
	v_mul_f64_e32 v[26:27], v[2:3], v[36:37]
	v_mul_f64_e32 v[28:29], v[4:5], v[36:37]
	v_add_f64_e32 v[14:15], v[14:15], v[24:25]
	v_add_f64_e32 v[16:17], v[16:17], v[22:23]
	s_wait_loadcnt_dscnt 0x100
	v_mul_f64_e32 v[18:19], v[6:7], v[163:164]
	v_mul_f64_e32 v[20:21], v[8:9], v[163:164]
	v_fma_f64 v[22:23], v[4:5], v[34:35], v[26:27]
	v_fma_f64 v[24:25], v[2:3], v[34:35], -v[28:29]
	ds_load_b128 v[2:5], v1 offset:1712
	v_add_f64_e32 v[10:11], v[14:15], v[10:11]
	v_add_f64_e32 v[12:13], v[16:17], v[12:13]
	s_wait_loadcnt_dscnt 0x0
	v_mul_f64_e32 v[14:15], v[2:3], v[40:41]
	v_mul_f64_e32 v[16:17], v[4:5], v[40:41]
	v_fma_f64 v[8:9], v[8:9], v[161:162], v[18:19]
	v_fma_f64 v[6:7], v[6:7], v[161:162], -v[20:21]
	v_add_f64_e32 v[10:11], v[10:11], v[24:25]
	v_add_f64_e32 v[12:13], v[12:13], v[22:23]
	v_fma_f64 v[4:5], v[4:5], v[38:39], v[14:15]
	v_fma_f64 v[2:3], v[2:3], v[38:39], -v[16:17]
	s_delay_alu instid0(VALU_DEP_4) | instskip(NEXT) | instid1(VALU_DEP_4)
	v_add_f64_e32 v[6:7], v[10:11], v[6:7]
	v_add_f64_e32 v[8:9], v[12:13], v[8:9]
	s_delay_alu instid0(VALU_DEP_2) | instskip(NEXT) | instid1(VALU_DEP_2)
	v_add_f64_e32 v[2:3], v[6:7], v[2:3]
	v_add_f64_e32 v[4:5], v[8:9], v[4:5]
	s_delay_alu instid0(VALU_DEP_2) | instskip(NEXT) | instid1(VALU_DEP_2)
	v_add_f64_e64 v[2:3], v[42:43], -v[2:3]
	v_add_f64_e64 v[4:5], v[44:45], -v[4:5]
	scratch_store_b128 off, v[2:5], off offset:208
	v_cmpx_lt_u32_e32 11, v0
	s_cbranch_execz .LBB117_315
; %bb.314:
	scratch_load_b128 v[5:8], off, s56
	v_dual_mov_b32 v2, v1 :: v_dual_mov_b32 v3, v1
	v_mov_b32_e32 v4, v1
	scratch_store_b128 off, v[1:4], off offset:192
	s_wait_loadcnt 0x0
	ds_store_b128 v154, v[5:8]
.LBB117_315:
	s_wait_alu 0xfffe
	s_or_b32 exec_lo, exec_lo, s0
	s_wait_storecnt_dscnt 0x0
	s_barrier_signal -1
	s_barrier_wait -1
	global_inv scope:SCOPE_SE
	s_clause 0x8
	scratch_load_b128 v[2:5], off, off offset:208
	scratch_load_b128 v[6:9], off, off offset:224
	scratch_load_b128 v[10:13], off, off offset:240
	scratch_load_b128 v[14:17], off, off offset:256
	scratch_load_b128 v[18:21], off, off offset:272
	scratch_load_b128 v[22:25], off, off offset:288
	scratch_load_b128 v[26:29], off, off offset:304
	scratch_load_b128 v[30:33], off, off offset:320
	scratch_load_b128 v[34:37], off, off offset:336
	ds_load_b128 v[42:45], v1 offset:1056
	ds_load_b128 v[38:41], v1 offset:1072
	s_clause 0x1
	scratch_load_b128 v[155:158], off, off offset:192
	scratch_load_b128 v[159:162], off, off offset:352
	s_mov_b32 s0, exec_lo
	s_wait_loadcnt_dscnt 0xa01
	v_mul_f64_e32 v[163:164], v[44:45], v[4:5]
	v_mul_f64_e32 v[4:5], v[42:43], v[4:5]
	s_wait_loadcnt_dscnt 0x900
	v_mul_f64_e32 v[167:168], v[38:39], v[8:9]
	v_mul_f64_e32 v[8:9], v[40:41], v[8:9]
	s_delay_alu instid0(VALU_DEP_4) | instskip(NEXT) | instid1(VALU_DEP_4)
	v_fma_f64 v[169:170], v[42:43], v[2:3], -v[163:164]
	v_fma_f64 v[171:172], v[44:45], v[2:3], v[4:5]
	ds_load_b128 v[2:5], v1 offset:1088
	ds_load_b128 v[163:166], v1 offset:1104
	scratch_load_b128 v[42:45], off, off offset:368
	v_fma_f64 v[40:41], v[40:41], v[6:7], v[167:168]
	v_fma_f64 v[38:39], v[38:39], v[6:7], -v[8:9]
	scratch_load_b128 v[6:9], off, off offset:384
	s_wait_loadcnt_dscnt 0xa01
	v_mul_f64_e32 v[173:174], v[2:3], v[12:13]
	v_mul_f64_e32 v[12:13], v[4:5], v[12:13]
	v_add_f64_e32 v[167:168], 0, v[169:170]
	v_add_f64_e32 v[169:170], 0, v[171:172]
	s_wait_loadcnt_dscnt 0x900
	v_mul_f64_e32 v[171:172], v[163:164], v[16:17]
	v_mul_f64_e32 v[16:17], v[165:166], v[16:17]
	v_fma_f64 v[173:174], v[4:5], v[10:11], v[173:174]
	v_fma_f64 v[175:176], v[2:3], v[10:11], -v[12:13]
	ds_load_b128 v[2:5], v1 offset:1120
	scratch_load_b128 v[10:13], off, off offset:400
	v_add_f64_e32 v[167:168], v[167:168], v[38:39]
	v_add_f64_e32 v[169:170], v[169:170], v[40:41]
	ds_load_b128 v[38:41], v1 offset:1136
	v_fma_f64 v[165:166], v[165:166], v[14:15], v[171:172]
	v_fma_f64 v[163:164], v[163:164], v[14:15], -v[16:17]
	scratch_load_b128 v[14:17], off, off offset:416
	s_wait_loadcnt_dscnt 0xa01
	v_mul_f64_e32 v[177:178], v[2:3], v[20:21]
	v_mul_f64_e32 v[20:21], v[4:5], v[20:21]
	s_wait_loadcnt_dscnt 0x900
	v_mul_f64_e32 v[171:172], v[38:39], v[24:25]
	v_mul_f64_e32 v[24:25], v[40:41], v[24:25]
	v_add_f64_e32 v[167:168], v[167:168], v[175:176]
	v_add_f64_e32 v[169:170], v[169:170], v[173:174]
	v_fma_f64 v[173:174], v[4:5], v[18:19], v[177:178]
	v_fma_f64 v[175:176], v[2:3], v[18:19], -v[20:21]
	ds_load_b128 v[2:5], v1 offset:1152
	scratch_load_b128 v[18:21], off, off offset:432
	v_fma_f64 v[40:41], v[40:41], v[22:23], v[171:172]
	v_fma_f64 v[38:39], v[38:39], v[22:23], -v[24:25]
	scratch_load_b128 v[22:25], off, off offset:448
	v_add_f64_e32 v[167:168], v[167:168], v[163:164]
	v_add_f64_e32 v[169:170], v[169:170], v[165:166]
	ds_load_b128 v[163:166], v1 offset:1168
	s_wait_loadcnt_dscnt 0xa01
	v_mul_f64_e32 v[177:178], v[2:3], v[28:29]
	v_mul_f64_e32 v[28:29], v[4:5], v[28:29]
	s_wait_loadcnt_dscnt 0x900
	v_mul_f64_e32 v[171:172], v[163:164], v[32:33]
	v_mul_f64_e32 v[32:33], v[165:166], v[32:33]
	v_add_f64_e32 v[167:168], v[167:168], v[175:176]
	v_add_f64_e32 v[169:170], v[169:170], v[173:174]
	v_fma_f64 v[173:174], v[4:5], v[26:27], v[177:178]
	v_fma_f64 v[175:176], v[2:3], v[26:27], -v[28:29]
	ds_load_b128 v[2:5], v1 offset:1184
	scratch_load_b128 v[26:29], off, off offset:464
	v_fma_f64 v[165:166], v[165:166], v[30:31], v[171:172]
	v_fma_f64 v[163:164], v[163:164], v[30:31], -v[32:33]
	scratch_load_b128 v[30:33], off, off offset:480
	v_add_f64_e32 v[167:168], v[167:168], v[38:39]
	v_add_f64_e32 v[169:170], v[169:170], v[40:41]
	ds_load_b128 v[38:41], v1 offset:1200
	s_wait_loadcnt_dscnt 0xa01
	v_mul_f64_e32 v[177:178], v[2:3], v[36:37]
	v_mul_f64_e32 v[36:37], v[4:5], v[36:37]
	s_wait_loadcnt_dscnt 0x800
	v_mul_f64_e32 v[171:172], v[38:39], v[161:162]
	v_add_f64_e32 v[167:168], v[167:168], v[175:176]
	v_add_f64_e32 v[169:170], v[169:170], v[173:174]
	v_mul_f64_e32 v[173:174], v[40:41], v[161:162]
	v_fma_f64 v[175:176], v[4:5], v[34:35], v[177:178]
	v_fma_f64 v[177:178], v[2:3], v[34:35], -v[36:37]
	ds_load_b128 v[2:5], v1 offset:1216
	scratch_load_b128 v[34:37], off, off offset:496
	v_fma_f64 v[171:172], v[40:41], v[159:160], v[171:172]
	v_add_f64_e32 v[167:168], v[167:168], v[163:164]
	v_add_f64_e32 v[165:166], v[169:170], v[165:166]
	ds_load_b128 v[161:164], v1 offset:1232
	v_fma_f64 v[159:160], v[38:39], v[159:160], -v[173:174]
	scratch_load_b128 v[38:41], off, off offset:512
	s_wait_loadcnt_dscnt 0x901
	v_mul_f64_e32 v[169:170], v[2:3], v[44:45]
	v_mul_f64_e32 v[44:45], v[4:5], v[44:45]
	s_wait_loadcnt_dscnt 0x800
	v_mul_f64_e32 v[173:174], v[161:162], v[8:9]
	v_mul_f64_e32 v[8:9], v[163:164], v[8:9]
	v_add_f64_e32 v[167:168], v[167:168], v[177:178]
	v_add_f64_e32 v[165:166], v[165:166], v[175:176]
	v_fma_f64 v[169:170], v[4:5], v[42:43], v[169:170]
	v_fma_f64 v[175:176], v[2:3], v[42:43], -v[44:45]
	ds_load_b128 v[2:5], v1 offset:1248
	scratch_load_b128 v[42:45], off, off offset:528
	v_fma_f64 v[163:164], v[163:164], v[6:7], v[173:174]
	v_fma_f64 v[161:162], v[161:162], v[6:7], -v[8:9]
	scratch_load_b128 v[6:9], off, off offset:544
	v_add_f64_e32 v[159:160], v[167:168], v[159:160]
	v_add_f64_e32 v[171:172], v[165:166], v[171:172]
	ds_load_b128 v[165:168], v1 offset:1264
	s_wait_loadcnt_dscnt 0x901
	v_mul_f64_e32 v[177:178], v[2:3], v[12:13]
	v_mul_f64_e32 v[12:13], v[4:5], v[12:13]
	v_add_f64_e32 v[159:160], v[159:160], v[175:176]
	v_add_f64_e32 v[169:170], v[171:172], v[169:170]
	s_wait_loadcnt_dscnt 0x800
	v_mul_f64_e32 v[171:172], v[165:166], v[16:17]
	v_mul_f64_e32 v[16:17], v[167:168], v[16:17]
	v_fma_f64 v[173:174], v[4:5], v[10:11], v[177:178]
	v_fma_f64 v[175:176], v[2:3], v[10:11], -v[12:13]
	ds_load_b128 v[2:5], v1 offset:1280
	scratch_load_b128 v[10:13], off, off offset:560
	v_add_f64_e32 v[177:178], v[159:160], v[161:162]
	v_add_f64_e32 v[163:164], v[169:170], v[163:164]
	ds_load_b128 v[159:162], v1 offset:1296
	s_wait_loadcnt_dscnt 0x801
	v_mul_f64_e32 v[169:170], v[2:3], v[20:21]
	v_mul_f64_e32 v[20:21], v[4:5], v[20:21]
	v_fma_f64 v[167:168], v[167:168], v[14:15], v[171:172]
	v_fma_f64 v[165:166], v[165:166], v[14:15], -v[16:17]
	scratch_load_b128 v[14:17], off, off offset:576
	v_add_f64_e32 v[171:172], v[177:178], v[175:176]
	v_add_f64_e32 v[163:164], v[163:164], v[173:174]
	s_wait_loadcnt_dscnt 0x800
	v_mul_f64_e32 v[173:174], v[159:160], v[24:25]
	v_mul_f64_e32 v[24:25], v[161:162], v[24:25]
	v_fma_f64 v[169:170], v[4:5], v[18:19], v[169:170]
	v_fma_f64 v[175:176], v[2:3], v[18:19], -v[20:21]
	ds_load_b128 v[2:5], v1 offset:1312
	scratch_load_b128 v[18:21], off, off offset:592
	v_add_f64_e32 v[171:172], v[171:172], v[165:166]
	v_add_f64_e32 v[167:168], v[163:164], v[167:168]
	ds_load_b128 v[163:166], v1 offset:1328
	s_wait_loadcnt_dscnt 0x801
	v_mul_f64_e32 v[177:178], v[2:3], v[28:29]
	v_mul_f64_e32 v[28:29], v[4:5], v[28:29]
	v_fma_f64 v[161:162], v[161:162], v[22:23], v[173:174]
	v_fma_f64 v[159:160], v[159:160], v[22:23], -v[24:25]
	scratch_load_b128 v[22:25], off, off offset:608
	;; [unrolled: 18-line block ×4, first 2 shown]
	s_wait_loadcnt_dscnt 0x800
	v_mul_f64_e32 v[171:172], v[163:164], v[8:9]
	v_mul_f64_e32 v[8:9], v[165:166], v[8:9]
	v_add_f64_e32 v[169:170], v[169:170], v[175:176]
	v_add_f64_e32 v[167:168], v[167:168], v[173:174]
	v_fma_f64 v[173:174], v[4:5], v[42:43], v[177:178]
	v_fma_f64 v[175:176], v[2:3], v[42:43], -v[44:45]
	ds_load_b128 v[2:5], v1 offset:1408
	scratch_load_b128 v[42:45], off, off offset:688
	v_fma_f64 v[165:166], v[165:166], v[6:7], v[171:172]
	v_fma_f64 v[163:164], v[163:164], v[6:7], -v[8:9]
	scratch_load_b128 v[6:9], off, off offset:704
	v_add_f64_e32 v[169:170], v[169:170], v[159:160]
	v_add_f64_e32 v[167:168], v[167:168], v[161:162]
	ds_load_b128 v[159:162], v1 offset:1424
	s_wait_loadcnt_dscnt 0x901
	v_mul_f64_e32 v[177:178], v[2:3], v[12:13]
	v_mul_f64_e32 v[12:13], v[4:5], v[12:13]
	s_wait_loadcnt_dscnt 0x800
	v_mul_f64_e32 v[171:172], v[159:160], v[16:17]
	v_mul_f64_e32 v[16:17], v[161:162], v[16:17]
	v_add_f64_e32 v[169:170], v[169:170], v[175:176]
	v_add_f64_e32 v[167:168], v[167:168], v[173:174]
	v_fma_f64 v[173:174], v[4:5], v[10:11], v[177:178]
	v_fma_f64 v[175:176], v[2:3], v[10:11], -v[12:13]
	ds_load_b128 v[2:5], v1 offset:1440
	scratch_load_b128 v[10:13], off, off offset:720
	v_fma_f64 v[161:162], v[161:162], v[14:15], v[171:172]
	v_fma_f64 v[159:160], v[159:160], v[14:15], -v[16:17]
	scratch_load_b128 v[14:17], off, off offset:736
	v_add_f64_e32 v[169:170], v[169:170], v[163:164]
	v_add_f64_e32 v[167:168], v[167:168], v[165:166]
	ds_load_b128 v[163:166], v1 offset:1456
	s_wait_loadcnt_dscnt 0x901
	v_mul_f64_e32 v[177:178], v[2:3], v[20:21]
	v_mul_f64_e32 v[20:21], v[4:5], v[20:21]
	;; [unrolled: 18-line block ×6, first 2 shown]
	s_wait_loadcnt_dscnt 0x800
	v_mul_f64_e32 v[171:172], v[163:164], v[16:17]
	v_mul_f64_e32 v[16:17], v[165:166], v[16:17]
	v_add_f64_e32 v[169:170], v[169:170], v[175:176]
	v_add_f64_e32 v[167:168], v[167:168], v[173:174]
	v_fma_f64 v[173:174], v[4:5], v[10:11], v[177:178]
	v_fma_f64 v[175:176], v[2:3], v[10:11], -v[12:13]
	ds_load_b128 v[2:5], v1 offset:1600
	ds_load_b128 v[10:13], v1 offset:1616
	v_fma_f64 v[165:166], v[165:166], v[14:15], v[171:172]
	v_fma_f64 v[14:15], v[163:164], v[14:15], -v[16:17]
	v_add_f64_e32 v[159:160], v[169:170], v[159:160]
	v_add_f64_e32 v[161:162], v[167:168], v[161:162]
	s_wait_loadcnt_dscnt 0x701
	v_mul_f64_e32 v[167:168], v[2:3], v[20:21]
	v_mul_f64_e32 v[20:21], v[4:5], v[20:21]
	s_delay_alu instid0(VALU_DEP_4) | instskip(NEXT) | instid1(VALU_DEP_4)
	v_add_f64_e32 v[16:17], v[159:160], v[175:176]
	v_add_f64_e32 v[159:160], v[161:162], v[173:174]
	s_wait_loadcnt_dscnt 0x600
	v_mul_f64_e32 v[161:162], v[10:11], v[24:25]
	v_mul_f64_e32 v[24:25], v[12:13], v[24:25]
	v_fma_f64 v[163:164], v[4:5], v[18:19], v[167:168]
	v_fma_f64 v[18:19], v[2:3], v[18:19], -v[20:21]
	v_add_f64_e32 v[20:21], v[16:17], v[14:15]
	v_add_f64_e32 v[159:160], v[159:160], v[165:166]
	ds_load_b128 v[2:5], v1 offset:1632
	ds_load_b128 v[14:17], v1 offset:1648
	v_fma_f64 v[12:13], v[12:13], v[22:23], v[161:162]
	v_fma_f64 v[10:11], v[10:11], v[22:23], -v[24:25]
	s_wait_loadcnt_dscnt 0x501
	v_mul_f64_e32 v[165:166], v[2:3], v[28:29]
	v_mul_f64_e32 v[28:29], v[4:5], v[28:29]
	s_wait_loadcnt_dscnt 0x400
	v_mul_f64_e32 v[22:23], v[14:15], v[32:33]
	v_mul_f64_e32 v[24:25], v[16:17], v[32:33]
	v_add_f64_e32 v[18:19], v[20:21], v[18:19]
	v_add_f64_e32 v[20:21], v[159:160], v[163:164]
	v_fma_f64 v[32:33], v[4:5], v[26:27], v[165:166]
	v_fma_f64 v[26:27], v[2:3], v[26:27], -v[28:29]
	v_fma_f64 v[16:17], v[16:17], v[30:31], v[22:23]
	v_fma_f64 v[14:15], v[14:15], v[30:31], -v[24:25]
	v_add_f64_e32 v[18:19], v[18:19], v[10:11]
	v_add_f64_e32 v[20:21], v[20:21], v[12:13]
	ds_load_b128 v[2:5], v1 offset:1664
	ds_load_b128 v[10:13], v1 offset:1680
	s_wait_loadcnt_dscnt 0x301
	v_mul_f64_e32 v[28:29], v[2:3], v[36:37]
	v_mul_f64_e32 v[36:37], v[4:5], v[36:37]
	s_wait_loadcnt_dscnt 0x200
	v_mul_f64_e32 v[22:23], v[10:11], v[40:41]
	v_mul_f64_e32 v[24:25], v[12:13], v[40:41]
	v_add_f64_e32 v[18:19], v[18:19], v[26:27]
	v_add_f64_e32 v[20:21], v[20:21], v[32:33]
	v_fma_f64 v[26:27], v[4:5], v[34:35], v[28:29]
	v_fma_f64 v[28:29], v[2:3], v[34:35], -v[36:37]
	v_fma_f64 v[12:13], v[12:13], v[38:39], v[22:23]
	v_fma_f64 v[10:11], v[10:11], v[38:39], -v[24:25]
	v_add_f64_e32 v[18:19], v[18:19], v[14:15]
	v_add_f64_e32 v[20:21], v[20:21], v[16:17]
	ds_load_b128 v[2:5], v1 offset:1696
	ds_load_b128 v[14:17], v1 offset:1712
	s_wait_loadcnt_dscnt 0x101
	v_mul_f64_e32 v[30:31], v[2:3], v[44:45]
	v_mul_f64_e32 v[32:33], v[4:5], v[44:45]
	s_wait_loadcnt_dscnt 0x0
	v_mul_f64_e32 v[22:23], v[14:15], v[8:9]
	v_mul_f64_e32 v[8:9], v[16:17], v[8:9]
	v_add_f64_e32 v[18:19], v[18:19], v[28:29]
	v_add_f64_e32 v[20:21], v[20:21], v[26:27]
	v_fma_f64 v[4:5], v[4:5], v[42:43], v[30:31]
	v_fma_f64 v[1:2], v[2:3], v[42:43], -v[32:33]
	v_fma_f64 v[16:17], v[16:17], v[6:7], v[22:23]
	v_fma_f64 v[6:7], v[14:15], v[6:7], -v[8:9]
	v_add_f64_e32 v[10:11], v[18:19], v[10:11]
	v_add_f64_e32 v[12:13], v[20:21], v[12:13]
	s_delay_alu instid0(VALU_DEP_2) | instskip(NEXT) | instid1(VALU_DEP_2)
	v_add_f64_e32 v[1:2], v[10:11], v[1:2]
	v_add_f64_e32 v[3:4], v[12:13], v[4:5]
	s_delay_alu instid0(VALU_DEP_2) | instskip(NEXT) | instid1(VALU_DEP_2)
	v_add_f64_e32 v[1:2], v[1:2], v[6:7]
	v_add_f64_e32 v[3:4], v[3:4], v[16:17]
	s_delay_alu instid0(VALU_DEP_2) | instskip(NEXT) | instid1(VALU_DEP_2)
	v_add_f64_e64 v[1:2], v[155:156], -v[1:2]
	v_add_f64_e64 v[3:4], v[157:158], -v[3:4]
	scratch_store_b128 off, v[1:4], off offset:192
	v_cmpx_lt_u32_e32 10, v0
	s_cbranch_execz .LBB117_317
; %bb.316:
	scratch_load_b128 v[1:4], off, s57
	v_mov_b32_e32 v5, 0
	s_delay_alu instid0(VALU_DEP_1)
	v_dual_mov_b32 v6, v5 :: v_dual_mov_b32 v7, v5
	v_mov_b32_e32 v8, v5
	scratch_store_b128 off, v[5:8], off offset:176
	s_wait_loadcnt 0x0
	ds_store_b128 v154, v[1:4]
.LBB117_317:
	s_wait_alu 0xfffe
	s_or_b32 exec_lo, exec_lo, s0
	s_wait_storecnt_dscnt 0x0
	s_barrier_signal -1
	s_barrier_wait -1
	global_inv scope:SCOPE_SE
	s_clause 0x7
	scratch_load_b128 v[2:5], off, off offset:192
	scratch_load_b128 v[6:9], off, off offset:208
	;; [unrolled: 1-line block ×8, first 2 shown]
	v_mov_b32_e32 v1, 0
	s_mov_b32 s0, exec_lo
	ds_load_b128 v[38:41], v1 offset:1040
	s_clause 0x1
	scratch_load_b128 v[34:37], off, off offset:320
	scratch_load_b128 v[42:45], off, off offset:176
	ds_load_b128 v[155:158], v1 offset:1056
	scratch_load_b128 v[159:162], off, off offset:336
	s_wait_loadcnt_dscnt 0xa01
	v_mul_f64_e32 v[163:164], v[40:41], v[4:5]
	v_mul_f64_e32 v[4:5], v[38:39], v[4:5]
	s_delay_alu instid0(VALU_DEP_2) | instskip(NEXT) | instid1(VALU_DEP_2)
	v_fma_f64 v[169:170], v[38:39], v[2:3], -v[163:164]
	v_fma_f64 v[171:172], v[40:41], v[2:3], v[4:5]
	ds_load_b128 v[2:5], v1 offset:1072
	s_wait_loadcnt_dscnt 0x901
	v_mul_f64_e32 v[167:168], v[155:156], v[8:9]
	v_mul_f64_e32 v[8:9], v[157:158], v[8:9]
	scratch_load_b128 v[38:41], off, off offset:352
	ds_load_b128 v[163:166], v1 offset:1088
	s_wait_loadcnt_dscnt 0x901
	v_mul_f64_e32 v[173:174], v[2:3], v[12:13]
	v_mul_f64_e32 v[12:13], v[4:5], v[12:13]
	v_fma_f64 v[157:158], v[157:158], v[6:7], v[167:168]
	v_fma_f64 v[155:156], v[155:156], v[6:7], -v[8:9]
	v_add_f64_e32 v[167:168], 0, v[169:170]
	v_add_f64_e32 v[169:170], 0, v[171:172]
	scratch_load_b128 v[6:9], off, off offset:368
	v_fma_f64 v[173:174], v[4:5], v[10:11], v[173:174]
	v_fma_f64 v[175:176], v[2:3], v[10:11], -v[12:13]
	ds_load_b128 v[2:5], v1 offset:1104
	s_wait_loadcnt_dscnt 0x901
	v_mul_f64_e32 v[171:172], v[163:164], v[16:17]
	v_mul_f64_e32 v[16:17], v[165:166], v[16:17]
	scratch_load_b128 v[10:13], off, off offset:384
	v_add_f64_e32 v[167:168], v[167:168], v[155:156]
	v_add_f64_e32 v[169:170], v[169:170], v[157:158]
	s_wait_loadcnt_dscnt 0x900
	v_mul_f64_e32 v[177:178], v[2:3], v[20:21]
	v_mul_f64_e32 v[20:21], v[4:5], v[20:21]
	ds_load_b128 v[155:158], v1 offset:1120
	v_fma_f64 v[165:166], v[165:166], v[14:15], v[171:172]
	v_fma_f64 v[163:164], v[163:164], v[14:15], -v[16:17]
	scratch_load_b128 v[14:17], off, off offset:400
	v_add_f64_e32 v[167:168], v[167:168], v[175:176]
	v_add_f64_e32 v[169:170], v[169:170], v[173:174]
	v_fma_f64 v[173:174], v[4:5], v[18:19], v[177:178]
	v_fma_f64 v[175:176], v[2:3], v[18:19], -v[20:21]
	ds_load_b128 v[2:5], v1 offset:1136
	s_wait_loadcnt_dscnt 0x901
	v_mul_f64_e32 v[171:172], v[155:156], v[24:25]
	v_mul_f64_e32 v[24:25], v[157:158], v[24:25]
	scratch_load_b128 v[18:21], off, off offset:416
	s_wait_loadcnt_dscnt 0x900
	v_mul_f64_e32 v[177:178], v[2:3], v[28:29]
	v_mul_f64_e32 v[28:29], v[4:5], v[28:29]
	v_add_f64_e32 v[167:168], v[167:168], v[163:164]
	v_add_f64_e32 v[169:170], v[169:170], v[165:166]
	ds_load_b128 v[163:166], v1 offset:1152
	v_fma_f64 v[157:158], v[157:158], v[22:23], v[171:172]
	v_fma_f64 v[155:156], v[155:156], v[22:23], -v[24:25]
	scratch_load_b128 v[22:25], off, off offset:432
	v_add_f64_e32 v[167:168], v[167:168], v[175:176]
	v_add_f64_e32 v[169:170], v[169:170], v[173:174]
	v_fma_f64 v[173:174], v[4:5], v[26:27], v[177:178]
	v_fma_f64 v[175:176], v[2:3], v[26:27], -v[28:29]
	ds_load_b128 v[2:5], v1 offset:1168
	s_wait_loadcnt_dscnt 0x901
	v_mul_f64_e32 v[171:172], v[163:164], v[32:33]
	v_mul_f64_e32 v[32:33], v[165:166], v[32:33]
	scratch_load_b128 v[26:29], off, off offset:448
	s_wait_loadcnt_dscnt 0x900
	v_mul_f64_e32 v[177:178], v[2:3], v[36:37]
	v_mul_f64_e32 v[36:37], v[4:5], v[36:37]
	v_add_f64_e32 v[167:168], v[167:168], v[155:156]
	v_add_f64_e32 v[169:170], v[169:170], v[157:158]
	ds_load_b128 v[155:158], v1 offset:1184
	v_fma_f64 v[165:166], v[165:166], v[30:31], v[171:172]
	v_fma_f64 v[163:164], v[163:164], v[30:31], -v[32:33]
	scratch_load_b128 v[30:33], off, off offset:464
	v_add_f64_e32 v[167:168], v[167:168], v[175:176]
	v_add_f64_e32 v[169:170], v[169:170], v[173:174]
	v_fma_f64 v[175:176], v[4:5], v[34:35], v[177:178]
	v_fma_f64 v[177:178], v[2:3], v[34:35], -v[36:37]
	ds_load_b128 v[2:5], v1 offset:1200
	s_wait_loadcnt_dscnt 0x801
	v_mul_f64_e32 v[171:172], v[155:156], v[161:162]
	v_mul_f64_e32 v[173:174], v[157:158], v[161:162]
	scratch_load_b128 v[34:37], off, off offset:480
	v_add_f64_e32 v[167:168], v[167:168], v[163:164]
	v_add_f64_e32 v[165:166], v[169:170], v[165:166]
	ds_load_b128 v[161:164], v1 offset:1216
	v_fma_f64 v[171:172], v[157:158], v[159:160], v[171:172]
	v_fma_f64 v[159:160], v[155:156], v[159:160], -v[173:174]
	scratch_load_b128 v[155:158], off, off offset:496
	s_wait_loadcnt_dscnt 0x901
	v_mul_f64_e32 v[169:170], v[2:3], v[40:41]
	v_mul_f64_e32 v[40:41], v[4:5], v[40:41]
	v_add_f64_e32 v[167:168], v[167:168], v[177:178]
	v_add_f64_e32 v[165:166], v[165:166], v[175:176]
	s_delay_alu instid0(VALU_DEP_4) | instskip(NEXT) | instid1(VALU_DEP_4)
	v_fma_f64 v[169:170], v[4:5], v[38:39], v[169:170]
	v_fma_f64 v[175:176], v[2:3], v[38:39], -v[40:41]
	ds_load_b128 v[2:5], v1 offset:1232
	s_wait_loadcnt_dscnt 0x801
	v_mul_f64_e32 v[173:174], v[161:162], v[8:9]
	v_mul_f64_e32 v[8:9], v[163:164], v[8:9]
	scratch_load_b128 v[38:41], off, off offset:512
	s_wait_loadcnt_dscnt 0x800
	v_mul_f64_e32 v[177:178], v[2:3], v[12:13]
	v_add_f64_e32 v[159:160], v[167:168], v[159:160]
	v_add_f64_e32 v[171:172], v[165:166], v[171:172]
	v_mul_f64_e32 v[12:13], v[4:5], v[12:13]
	ds_load_b128 v[165:168], v1 offset:1248
	v_fma_f64 v[163:164], v[163:164], v[6:7], v[173:174]
	v_fma_f64 v[161:162], v[161:162], v[6:7], -v[8:9]
	scratch_load_b128 v[6:9], off, off offset:528
	v_fma_f64 v[173:174], v[4:5], v[10:11], v[177:178]
	v_add_f64_e32 v[159:160], v[159:160], v[175:176]
	v_add_f64_e32 v[169:170], v[171:172], v[169:170]
	v_fma_f64 v[175:176], v[2:3], v[10:11], -v[12:13]
	ds_load_b128 v[2:5], v1 offset:1264
	s_wait_loadcnt_dscnt 0x801
	v_mul_f64_e32 v[171:172], v[165:166], v[16:17]
	v_mul_f64_e32 v[16:17], v[167:168], v[16:17]
	scratch_load_b128 v[10:13], off, off offset:544
	v_add_f64_e32 v[177:178], v[159:160], v[161:162]
	v_add_f64_e32 v[163:164], v[169:170], v[163:164]
	s_wait_loadcnt_dscnt 0x800
	v_mul_f64_e32 v[169:170], v[2:3], v[20:21]
	v_mul_f64_e32 v[20:21], v[4:5], v[20:21]
	v_fma_f64 v[167:168], v[167:168], v[14:15], v[171:172]
	v_fma_f64 v[165:166], v[165:166], v[14:15], -v[16:17]
	ds_load_b128 v[159:162], v1 offset:1280
	scratch_load_b128 v[14:17], off, off offset:560
	v_add_f64_e32 v[171:172], v[177:178], v[175:176]
	v_add_f64_e32 v[163:164], v[163:164], v[173:174]
	v_fma_f64 v[169:170], v[4:5], v[18:19], v[169:170]
	v_fma_f64 v[175:176], v[2:3], v[18:19], -v[20:21]
	ds_load_b128 v[2:5], v1 offset:1296
	s_wait_loadcnt_dscnt 0x801
	v_mul_f64_e32 v[173:174], v[159:160], v[24:25]
	v_mul_f64_e32 v[24:25], v[161:162], v[24:25]
	scratch_load_b128 v[18:21], off, off offset:576
	s_wait_loadcnt_dscnt 0x800
	v_mul_f64_e32 v[177:178], v[2:3], v[28:29]
	v_mul_f64_e32 v[28:29], v[4:5], v[28:29]
	v_add_f64_e32 v[171:172], v[171:172], v[165:166]
	v_add_f64_e32 v[167:168], v[163:164], v[167:168]
	ds_load_b128 v[163:166], v1 offset:1312
	v_fma_f64 v[161:162], v[161:162], v[22:23], v[173:174]
	v_fma_f64 v[159:160], v[159:160], v[22:23], -v[24:25]
	scratch_load_b128 v[22:25], off, off offset:592
	v_fma_f64 v[173:174], v[4:5], v[26:27], v[177:178]
	v_add_f64_e32 v[171:172], v[171:172], v[175:176]
	v_add_f64_e32 v[167:168], v[167:168], v[169:170]
	v_fma_f64 v[175:176], v[2:3], v[26:27], -v[28:29]
	ds_load_b128 v[2:5], v1 offset:1328
	s_wait_loadcnt_dscnt 0x801
	v_mul_f64_e32 v[169:170], v[163:164], v[32:33]
	v_mul_f64_e32 v[32:33], v[165:166], v[32:33]
	scratch_load_b128 v[26:29], off, off offset:608
	s_wait_loadcnt_dscnt 0x800
	v_mul_f64_e32 v[177:178], v[2:3], v[36:37]
	v_mul_f64_e32 v[36:37], v[4:5], v[36:37]
	v_add_f64_e32 v[171:172], v[171:172], v[159:160]
	v_add_f64_e32 v[167:168], v[167:168], v[161:162]
	ds_load_b128 v[159:162], v1 offset:1344
	v_fma_f64 v[165:166], v[165:166], v[30:31], v[169:170]
	v_fma_f64 v[163:164], v[163:164], v[30:31], -v[32:33]
	scratch_load_b128 v[30:33], off, off offset:624
	v_add_f64_e32 v[169:170], v[171:172], v[175:176]
	v_add_f64_e32 v[167:168], v[167:168], v[173:174]
	v_fma_f64 v[173:174], v[4:5], v[34:35], v[177:178]
	v_fma_f64 v[175:176], v[2:3], v[34:35], -v[36:37]
	ds_load_b128 v[2:5], v1 offset:1360
	s_wait_loadcnt_dscnt 0x801
	v_mul_f64_e32 v[171:172], v[159:160], v[157:158]
	v_mul_f64_e32 v[157:158], v[161:162], v[157:158]
	scratch_load_b128 v[34:37], off, off offset:640
	s_wait_loadcnt_dscnt 0x800
	v_mul_f64_e32 v[177:178], v[2:3], v[40:41]
	v_mul_f64_e32 v[40:41], v[4:5], v[40:41]
	v_add_f64_e32 v[169:170], v[169:170], v[163:164]
	v_add_f64_e32 v[167:168], v[167:168], v[165:166]
	ds_load_b128 v[163:166], v1 offset:1376
	v_fma_f64 v[161:162], v[161:162], v[155:156], v[171:172]
	v_fma_f64 v[159:160], v[159:160], v[155:156], -v[157:158]
	scratch_load_b128 v[155:158], off, off offset:656
	v_add_f64_e32 v[169:170], v[169:170], v[175:176]
	v_add_f64_e32 v[167:168], v[167:168], v[173:174]
	v_fma_f64 v[173:174], v[4:5], v[38:39], v[177:178]
	;; [unrolled: 18-line block ×6, first 2 shown]
	v_fma_f64 v[177:178], v[2:3], v[34:35], -v[36:37]
	ds_load_b128 v[2:5], v1 offset:1520
	s_wait_loadcnt_dscnt 0x801
	v_mul_f64_e32 v[171:172], v[163:164], v[157:158]
	v_mul_f64_e32 v[173:174], v[165:166], v[157:158]
	scratch_load_b128 v[34:37], off, off offset:800
	v_add_f64_e32 v[169:170], v[169:170], v[159:160]
	v_add_f64_e32 v[161:162], v[167:168], v[161:162]
	s_wait_loadcnt_dscnt 0x800
	v_mul_f64_e32 v[167:168], v[2:3], v[40:41]
	v_mul_f64_e32 v[40:41], v[4:5], v[40:41]
	ds_load_b128 v[157:160], v1 offset:1536
	v_fma_f64 v[165:166], v[165:166], v[155:156], v[171:172]
	v_fma_f64 v[155:156], v[163:164], v[155:156], -v[173:174]
	v_add_f64_e32 v[169:170], v[169:170], v[177:178]
	v_add_f64_e32 v[171:172], v[161:162], v[175:176]
	scratch_load_b128 v[161:164], off, off offset:816
	v_fma_f64 v[175:176], v[4:5], v[38:39], v[167:168]
	v_fma_f64 v[177:178], v[2:3], v[38:39], -v[40:41]
	ds_load_b128 v[2:5], v1 offset:1552
	s_wait_loadcnt_dscnt 0x801
	v_mul_f64_e32 v[173:174], v[157:158], v[8:9]
	v_mul_f64_e32 v[8:9], v[159:160], v[8:9]
	scratch_load_b128 v[38:41], off, off offset:832
	v_add_f64_e32 v[155:156], v[169:170], v[155:156]
	v_add_f64_e32 v[169:170], v[171:172], v[165:166]
	s_wait_loadcnt_dscnt 0x800
	v_mul_f64_e32 v[171:172], v[2:3], v[12:13]
	v_mul_f64_e32 v[12:13], v[4:5], v[12:13]
	ds_load_b128 v[165:168], v1 offset:1568
	v_fma_f64 v[159:160], v[159:160], v[6:7], v[173:174]
	v_fma_f64 v[157:158], v[157:158], v[6:7], -v[8:9]
	scratch_load_b128 v[6:9], off, off offset:848
	v_add_f64_e32 v[155:156], v[155:156], v[177:178]
	v_add_f64_e32 v[169:170], v[169:170], v[175:176]
	v_fma_f64 v[171:172], v[4:5], v[10:11], v[171:172]
	v_fma_f64 v[175:176], v[2:3], v[10:11], -v[12:13]
	ds_load_b128 v[2:5], v1 offset:1584
	s_wait_loadcnt_dscnt 0x801
	v_mul_f64_e32 v[173:174], v[165:166], v[16:17]
	v_mul_f64_e32 v[16:17], v[167:168], v[16:17]
	scratch_load_b128 v[10:13], off, off offset:864
	v_add_f64_e32 v[177:178], v[155:156], v[157:158]
	v_add_f64_e32 v[159:160], v[169:170], v[159:160]
	s_wait_loadcnt_dscnt 0x800
	v_mul_f64_e32 v[169:170], v[2:3], v[20:21]
	v_mul_f64_e32 v[20:21], v[4:5], v[20:21]
	ds_load_b128 v[155:158], v1 offset:1600
	v_fma_f64 v[167:168], v[167:168], v[14:15], v[173:174]
	v_fma_f64 v[14:15], v[165:166], v[14:15], -v[16:17]
	s_wait_loadcnt_dscnt 0x700
	v_mul_f64_e32 v[165:166], v[155:156], v[24:25]
	v_mul_f64_e32 v[24:25], v[157:158], v[24:25]
	v_add_f64_e32 v[16:17], v[177:178], v[175:176]
	v_add_f64_e32 v[159:160], v[159:160], v[171:172]
	v_fma_f64 v[169:170], v[4:5], v[18:19], v[169:170]
	v_fma_f64 v[18:19], v[2:3], v[18:19], -v[20:21]
	v_fma_f64 v[157:158], v[157:158], v[22:23], v[165:166]
	v_fma_f64 v[22:23], v[155:156], v[22:23], -v[24:25]
	v_add_f64_e32 v[20:21], v[16:17], v[14:15]
	v_add_f64_e32 v[159:160], v[159:160], v[167:168]
	ds_load_b128 v[2:5], v1 offset:1616
	ds_load_b128 v[14:17], v1 offset:1632
	s_wait_loadcnt_dscnt 0x601
	v_mul_f64_e32 v[167:168], v[2:3], v[28:29]
	v_mul_f64_e32 v[28:29], v[4:5], v[28:29]
	s_wait_loadcnt_dscnt 0x500
	v_mul_f64_e32 v[24:25], v[14:15], v[32:33]
	v_mul_f64_e32 v[32:33], v[16:17], v[32:33]
	v_add_f64_e32 v[18:19], v[20:21], v[18:19]
	v_add_f64_e32 v[20:21], v[159:160], v[169:170]
	v_fma_f64 v[155:156], v[4:5], v[26:27], v[167:168]
	v_fma_f64 v[26:27], v[2:3], v[26:27], -v[28:29]
	v_fma_f64 v[16:17], v[16:17], v[30:31], v[24:25]
	v_fma_f64 v[14:15], v[14:15], v[30:31], -v[32:33]
	v_add_f64_e32 v[22:23], v[18:19], v[22:23]
	v_add_f64_e32 v[28:29], v[20:21], v[157:158]
	ds_load_b128 v[2:5], v1 offset:1648
	ds_load_b128 v[18:21], v1 offset:1664
	s_wait_loadcnt_dscnt 0x401
	v_mul_f64_e32 v[157:158], v[2:3], v[36:37]
	v_mul_f64_e32 v[36:37], v[4:5], v[36:37]
	v_add_f64_e32 v[22:23], v[22:23], v[26:27]
	v_add_f64_e32 v[24:25], v[28:29], v[155:156]
	s_wait_loadcnt_dscnt 0x300
	v_mul_f64_e32 v[26:27], v[18:19], v[163:164]
	v_mul_f64_e32 v[28:29], v[20:21], v[163:164]
	v_fma_f64 v[30:31], v[4:5], v[34:35], v[157:158]
	v_fma_f64 v[32:33], v[2:3], v[34:35], -v[36:37]
	v_add_f64_e32 v[22:23], v[22:23], v[14:15]
	v_add_f64_e32 v[24:25], v[24:25], v[16:17]
	ds_load_b128 v[2:5], v1 offset:1680
	ds_load_b128 v[14:17], v1 offset:1696
	v_fma_f64 v[20:21], v[20:21], v[161:162], v[26:27]
	v_fma_f64 v[18:19], v[18:19], v[161:162], -v[28:29]
	s_wait_loadcnt_dscnt 0x201
	v_mul_f64_e32 v[34:35], v[2:3], v[40:41]
	v_mul_f64_e32 v[36:37], v[4:5], v[40:41]
	s_wait_loadcnt_dscnt 0x100
	v_mul_f64_e32 v[26:27], v[14:15], v[8:9]
	v_mul_f64_e32 v[8:9], v[16:17], v[8:9]
	v_add_f64_e32 v[22:23], v[22:23], v[32:33]
	v_add_f64_e32 v[24:25], v[24:25], v[30:31]
	v_fma_f64 v[28:29], v[4:5], v[38:39], v[34:35]
	v_fma_f64 v[30:31], v[2:3], v[38:39], -v[36:37]
	ds_load_b128 v[2:5], v1 offset:1712
	v_fma_f64 v[16:17], v[16:17], v[6:7], v[26:27]
	v_fma_f64 v[6:7], v[14:15], v[6:7], -v[8:9]
	v_add_f64_e32 v[18:19], v[22:23], v[18:19]
	v_add_f64_e32 v[20:21], v[24:25], v[20:21]
	s_wait_loadcnt_dscnt 0x0
	v_mul_f64_e32 v[22:23], v[2:3], v[12:13]
	v_mul_f64_e32 v[12:13], v[4:5], v[12:13]
	s_delay_alu instid0(VALU_DEP_4) | instskip(NEXT) | instid1(VALU_DEP_4)
	v_add_f64_e32 v[8:9], v[18:19], v[30:31]
	v_add_f64_e32 v[14:15], v[20:21], v[28:29]
	s_delay_alu instid0(VALU_DEP_4) | instskip(NEXT) | instid1(VALU_DEP_4)
	v_fma_f64 v[4:5], v[4:5], v[10:11], v[22:23]
	v_fma_f64 v[2:3], v[2:3], v[10:11], -v[12:13]
	s_delay_alu instid0(VALU_DEP_4) | instskip(NEXT) | instid1(VALU_DEP_4)
	v_add_f64_e32 v[6:7], v[8:9], v[6:7]
	v_add_f64_e32 v[8:9], v[14:15], v[16:17]
	s_delay_alu instid0(VALU_DEP_2) | instskip(NEXT) | instid1(VALU_DEP_2)
	v_add_f64_e32 v[2:3], v[6:7], v[2:3]
	v_add_f64_e32 v[4:5], v[8:9], v[4:5]
	s_delay_alu instid0(VALU_DEP_2) | instskip(NEXT) | instid1(VALU_DEP_2)
	v_add_f64_e64 v[2:3], v[42:43], -v[2:3]
	v_add_f64_e64 v[4:5], v[44:45], -v[4:5]
	scratch_store_b128 off, v[2:5], off offset:176
	v_cmpx_lt_u32_e32 9, v0
	s_cbranch_execz .LBB117_319
; %bb.318:
	scratch_load_b128 v[5:8], off, s58
	v_dual_mov_b32 v2, v1 :: v_dual_mov_b32 v3, v1
	v_mov_b32_e32 v4, v1
	scratch_store_b128 off, v[1:4], off offset:160
	s_wait_loadcnt 0x0
	ds_store_b128 v154, v[5:8]
.LBB117_319:
	s_wait_alu 0xfffe
	s_or_b32 exec_lo, exec_lo, s0
	s_wait_storecnt_dscnt 0x0
	s_barrier_signal -1
	s_barrier_wait -1
	global_inv scope:SCOPE_SE
	s_clause 0x8
	scratch_load_b128 v[2:5], off, off offset:176
	scratch_load_b128 v[6:9], off, off offset:192
	;; [unrolled: 1-line block ×9, first 2 shown]
	ds_load_b128 v[42:45], v1 offset:1024
	ds_load_b128 v[38:41], v1 offset:1040
	s_clause 0x1
	scratch_load_b128 v[155:158], off, off offset:160
	scratch_load_b128 v[159:162], off, off offset:320
	s_mov_b32 s0, exec_lo
	s_wait_loadcnt_dscnt 0xa01
	v_mul_f64_e32 v[163:164], v[44:45], v[4:5]
	v_mul_f64_e32 v[4:5], v[42:43], v[4:5]
	s_wait_loadcnt_dscnt 0x900
	v_mul_f64_e32 v[167:168], v[38:39], v[8:9]
	v_mul_f64_e32 v[8:9], v[40:41], v[8:9]
	s_delay_alu instid0(VALU_DEP_4) | instskip(NEXT) | instid1(VALU_DEP_4)
	v_fma_f64 v[169:170], v[42:43], v[2:3], -v[163:164]
	v_fma_f64 v[171:172], v[44:45], v[2:3], v[4:5]
	ds_load_b128 v[2:5], v1 offset:1056
	ds_load_b128 v[163:166], v1 offset:1072
	scratch_load_b128 v[42:45], off, off offset:336
	v_fma_f64 v[40:41], v[40:41], v[6:7], v[167:168]
	v_fma_f64 v[38:39], v[38:39], v[6:7], -v[8:9]
	scratch_load_b128 v[6:9], off, off offset:352
	s_wait_loadcnt_dscnt 0xa01
	v_mul_f64_e32 v[173:174], v[2:3], v[12:13]
	v_mul_f64_e32 v[12:13], v[4:5], v[12:13]
	v_add_f64_e32 v[167:168], 0, v[169:170]
	v_add_f64_e32 v[169:170], 0, v[171:172]
	s_wait_loadcnt_dscnt 0x900
	v_mul_f64_e32 v[171:172], v[163:164], v[16:17]
	v_mul_f64_e32 v[16:17], v[165:166], v[16:17]
	v_fma_f64 v[173:174], v[4:5], v[10:11], v[173:174]
	v_fma_f64 v[175:176], v[2:3], v[10:11], -v[12:13]
	ds_load_b128 v[2:5], v1 offset:1088
	scratch_load_b128 v[10:13], off, off offset:368
	v_add_f64_e32 v[167:168], v[167:168], v[38:39]
	v_add_f64_e32 v[169:170], v[169:170], v[40:41]
	ds_load_b128 v[38:41], v1 offset:1104
	v_fma_f64 v[165:166], v[165:166], v[14:15], v[171:172]
	v_fma_f64 v[163:164], v[163:164], v[14:15], -v[16:17]
	scratch_load_b128 v[14:17], off, off offset:384
	s_wait_loadcnt_dscnt 0xa01
	v_mul_f64_e32 v[177:178], v[2:3], v[20:21]
	v_mul_f64_e32 v[20:21], v[4:5], v[20:21]
	s_wait_loadcnt_dscnt 0x900
	v_mul_f64_e32 v[171:172], v[38:39], v[24:25]
	v_mul_f64_e32 v[24:25], v[40:41], v[24:25]
	v_add_f64_e32 v[167:168], v[167:168], v[175:176]
	v_add_f64_e32 v[169:170], v[169:170], v[173:174]
	v_fma_f64 v[173:174], v[4:5], v[18:19], v[177:178]
	v_fma_f64 v[175:176], v[2:3], v[18:19], -v[20:21]
	ds_load_b128 v[2:5], v1 offset:1120
	scratch_load_b128 v[18:21], off, off offset:400
	v_fma_f64 v[40:41], v[40:41], v[22:23], v[171:172]
	v_fma_f64 v[38:39], v[38:39], v[22:23], -v[24:25]
	scratch_load_b128 v[22:25], off, off offset:416
	v_add_f64_e32 v[167:168], v[167:168], v[163:164]
	v_add_f64_e32 v[169:170], v[169:170], v[165:166]
	ds_load_b128 v[163:166], v1 offset:1136
	s_wait_loadcnt_dscnt 0xa01
	v_mul_f64_e32 v[177:178], v[2:3], v[28:29]
	v_mul_f64_e32 v[28:29], v[4:5], v[28:29]
	s_wait_loadcnt_dscnt 0x900
	v_mul_f64_e32 v[171:172], v[163:164], v[32:33]
	v_mul_f64_e32 v[32:33], v[165:166], v[32:33]
	v_add_f64_e32 v[167:168], v[167:168], v[175:176]
	v_add_f64_e32 v[169:170], v[169:170], v[173:174]
	v_fma_f64 v[173:174], v[4:5], v[26:27], v[177:178]
	v_fma_f64 v[175:176], v[2:3], v[26:27], -v[28:29]
	ds_load_b128 v[2:5], v1 offset:1152
	scratch_load_b128 v[26:29], off, off offset:432
	v_fma_f64 v[165:166], v[165:166], v[30:31], v[171:172]
	v_fma_f64 v[163:164], v[163:164], v[30:31], -v[32:33]
	scratch_load_b128 v[30:33], off, off offset:448
	v_add_f64_e32 v[167:168], v[167:168], v[38:39]
	v_add_f64_e32 v[169:170], v[169:170], v[40:41]
	ds_load_b128 v[38:41], v1 offset:1168
	s_wait_loadcnt_dscnt 0xa01
	v_mul_f64_e32 v[177:178], v[2:3], v[36:37]
	v_mul_f64_e32 v[36:37], v[4:5], v[36:37]
	s_wait_loadcnt_dscnt 0x800
	v_mul_f64_e32 v[171:172], v[38:39], v[161:162]
	v_add_f64_e32 v[167:168], v[167:168], v[175:176]
	v_add_f64_e32 v[169:170], v[169:170], v[173:174]
	v_mul_f64_e32 v[173:174], v[40:41], v[161:162]
	v_fma_f64 v[175:176], v[4:5], v[34:35], v[177:178]
	v_fma_f64 v[177:178], v[2:3], v[34:35], -v[36:37]
	ds_load_b128 v[2:5], v1 offset:1184
	scratch_load_b128 v[34:37], off, off offset:464
	v_fma_f64 v[171:172], v[40:41], v[159:160], v[171:172]
	v_add_f64_e32 v[167:168], v[167:168], v[163:164]
	v_add_f64_e32 v[165:166], v[169:170], v[165:166]
	ds_load_b128 v[161:164], v1 offset:1200
	v_fma_f64 v[159:160], v[38:39], v[159:160], -v[173:174]
	scratch_load_b128 v[38:41], off, off offset:480
	s_wait_loadcnt_dscnt 0x901
	v_mul_f64_e32 v[169:170], v[2:3], v[44:45]
	v_mul_f64_e32 v[44:45], v[4:5], v[44:45]
	s_wait_loadcnt_dscnt 0x800
	v_mul_f64_e32 v[173:174], v[161:162], v[8:9]
	v_mul_f64_e32 v[8:9], v[163:164], v[8:9]
	v_add_f64_e32 v[167:168], v[167:168], v[177:178]
	v_add_f64_e32 v[165:166], v[165:166], v[175:176]
	v_fma_f64 v[169:170], v[4:5], v[42:43], v[169:170]
	v_fma_f64 v[175:176], v[2:3], v[42:43], -v[44:45]
	ds_load_b128 v[2:5], v1 offset:1216
	scratch_load_b128 v[42:45], off, off offset:496
	v_fma_f64 v[163:164], v[163:164], v[6:7], v[173:174]
	v_fma_f64 v[161:162], v[161:162], v[6:7], -v[8:9]
	scratch_load_b128 v[6:9], off, off offset:512
	v_add_f64_e32 v[159:160], v[167:168], v[159:160]
	v_add_f64_e32 v[171:172], v[165:166], v[171:172]
	ds_load_b128 v[165:168], v1 offset:1232
	s_wait_loadcnt_dscnt 0x901
	v_mul_f64_e32 v[177:178], v[2:3], v[12:13]
	v_mul_f64_e32 v[12:13], v[4:5], v[12:13]
	v_add_f64_e32 v[159:160], v[159:160], v[175:176]
	v_add_f64_e32 v[169:170], v[171:172], v[169:170]
	s_wait_loadcnt_dscnt 0x800
	v_mul_f64_e32 v[171:172], v[165:166], v[16:17]
	v_mul_f64_e32 v[16:17], v[167:168], v[16:17]
	v_fma_f64 v[173:174], v[4:5], v[10:11], v[177:178]
	v_fma_f64 v[175:176], v[2:3], v[10:11], -v[12:13]
	ds_load_b128 v[2:5], v1 offset:1248
	scratch_load_b128 v[10:13], off, off offset:528
	v_add_f64_e32 v[177:178], v[159:160], v[161:162]
	v_add_f64_e32 v[163:164], v[169:170], v[163:164]
	ds_load_b128 v[159:162], v1 offset:1264
	s_wait_loadcnt_dscnt 0x801
	v_mul_f64_e32 v[169:170], v[2:3], v[20:21]
	v_mul_f64_e32 v[20:21], v[4:5], v[20:21]
	v_fma_f64 v[167:168], v[167:168], v[14:15], v[171:172]
	v_fma_f64 v[165:166], v[165:166], v[14:15], -v[16:17]
	scratch_load_b128 v[14:17], off, off offset:544
	v_add_f64_e32 v[171:172], v[177:178], v[175:176]
	v_add_f64_e32 v[163:164], v[163:164], v[173:174]
	s_wait_loadcnt_dscnt 0x800
	v_mul_f64_e32 v[173:174], v[159:160], v[24:25]
	v_mul_f64_e32 v[24:25], v[161:162], v[24:25]
	v_fma_f64 v[169:170], v[4:5], v[18:19], v[169:170]
	v_fma_f64 v[175:176], v[2:3], v[18:19], -v[20:21]
	ds_load_b128 v[2:5], v1 offset:1280
	scratch_load_b128 v[18:21], off, off offset:560
	v_add_f64_e32 v[171:172], v[171:172], v[165:166]
	v_add_f64_e32 v[167:168], v[163:164], v[167:168]
	ds_load_b128 v[163:166], v1 offset:1296
	s_wait_loadcnt_dscnt 0x801
	v_mul_f64_e32 v[177:178], v[2:3], v[28:29]
	v_mul_f64_e32 v[28:29], v[4:5], v[28:29]
	v_fma_f64 v[161:162], v[161:162], v[22:23], v[173:174]
	v_fma_f64 v[159:160], v[159:160], v[22:23], -v[24:25]
	scratch_load_b128 v[22:25], off, off offset:576
	;; [unrolled: 18-line block ×4, first 2 shown]
	s_wait_loadcnt_dscnt 0x800
	v_mul_f64_e32 v[171:172], v[163:164], v[8:9]
	v_mul_f64_e32 v[8:9], v[165:166], v[8:9]
	v_add_f64_e32 v[169:170], v[169:170], v[175:176]
	v_add_f64_e32 v[167:168], v[167:168], v[173:174]
	v_fma_f64 v[173:174], v[4:5], v[42:43], v[177:178]
	v_fma_f64 v[175:176], v[2:3], v[42:43], -v[44:45]
	ds_load_b128 v[2:5], v1 offset:1376
	scratch_load_b128 v[42:45], off, off offset:656
	v_fma_f64 v[165:166], v[165:166], v[6:7], v[171:172]
	v_fma_f64 v[163:164], v[163:164], v[6:7], -v[8:9]
	scratch_load_b128 v[6:9], off, off offset:672
	v_add_f64_e32 v[169:170], v[169:170], v[159:160]
	v_add_f64_e32 v[167:168], v[167:168], v[161:162]
	ds_load_b128 v[159:162], v1 offset:1392
	s_wait_loadcnt_dscnt 0x901
	v_mul_f64_e32 v[177:178], v[2:3], v[12:13]
	v_mul_f64_e32 v[12:13], v[4:5], v[12:13]
	s_wait_loadcnt_dscnt 0x800
	v_mul_f64_e32 v[171:172], v[159:160], v[16:17]
	v_mul_f64_e32 v[16:17], v[161:162], v[16:17]
	v_add_f64_e32 v[169:170], v[169:170], v[175:176]
	v_add_f64_e32 v[167:168], v[167:168], v[173:174]
	v_fma_f64 v[173:174], v[4:5], v[10:11], v[177:178]
	v_fma_f64 v[175:176], v[2:3], v[10:11], -v[12:13]
	ds_load_b128 v[2:5], v1 offset:1408
	scratch_load_b128 v[10:13], off, off offset:688
	v_fma_f64 v[161:162], v[161:162], v[14:15], v[171:172]
	v_fma_f64 v[159:160], v[159:160], v[14:15], -v[16:17]
	scratch_load_b128 v[14:17], off, off offset:704
	v_add_f64_e32 v[169:170], v[169:170], v[163:164]
	v_add_f64_e32 v[167:168], v[167:168], v[165:166]
	ds_load_b128 v[163:166], v1 offset:1424
	s_wait_loadcnt_dscnt 0x901
	v_mul_f64_e32 v[177:178], v[2:3], v[20:21]
	v_mul_f64_e32 v[20:21], v[4:5], v[20:21]
	;; [unrolled: 18-line block ×7, first 2 shown]
	s_wait_loadcnt_dscnt 0x800
	v_mul_f64_e32 v[171:172], v[159:160], v[24:25]
	v_mul_f64_e32 v[24:25], v[161:162], v[24:25]
	v_add_f64_e32 v[169:170], v[169:170], v[175:176]
	v_add_f64_e32 v[167:168], v[167:168], v[173:174]
	v_fma_f64 v[173:174], v[4:5], v[18:19], v[177:178]
	v_fma_f64 v[175:176], v[2:3], v[18:19], -v[20:21]
	ds_load_b128 v[2:5], v1 offset:1600
	ds_load_b128 v[18:21], v1 offset:1616
	v_fma_f64 v[161:162], v[161:162], v[22:23], v[171:172]
	v_fma_f64 v[22:23], v[159:160], v[22:23], -v[24:25]
	v_add_f64_e32 v[163:164], v[169:170], v[163:164]
	v_add_f64_e32 v[165:166], v[167:168], v[165:166]
	s_wait_loadcnt_dscnt 0x701
	v_mul_f64_e32 v[167:168], v[2:3], v[28:29]
	v_mul_f64_e32 v[28:29], v[4:5], v[28:29]
	s_delay_alu instid0(VALU_DEP_4) | instskip(NEXT) | instid1(VALU_DEP_4)
	v_add_f64_e32 v[24:25], v[163:164], v[175:176]
	v_add_f64_e32 v[159:160], v[165:166], v[173:174]
	s_wait_loadcnt_dscnt 0x600
	v_mul_f64_e32 v[163:164], v[18:19], v[32:33]
	v_mul_f64_e32 v[32:33], v[20:21], v[32:33]
	v_fma_f64 v[165:166], v[4:5], v[26:27], v[167:168]
	v_fma_f64 v[26:27], v[2:3], v[26:27], -v[28:29]
	v_add_f64_e32 v[28:29], v[24:25], v[22:23]
	v_add_f64_e32 v[159:160], v[159:160], v[161:162]
	ds_load_b128 v[2:5], v1 offset:1632
	ds_load_b128 v[22:25], v1 offset:1648
	v_fma_f64 v[20:21], v[20:21], v[30:31], v[163:164]
	v_fma_f64 v[18:19], v[18:19], v[30:31], -v[32:33]
	s_wait_loadcnt_dscnt 0x501
	v_mul_f64_e32 v[161:162], v[2:3], v[36:37]
	v_mul_f64_e32 v[36:37], v[4:5], v[36:37]
	s_wait_loadcnt_dscnt 0x400
	v_mul_f64_e32 v[30:31], v[22:23], v[40:41]
	v_mul_f64_e32 v[32:33], v[24:25], v[40:41]
	v_add_f64_e32 v[26:27], v[28:29], v[26:27]
	v_add_f64_e32 v[28:29], v[159:160], v[165:166]
	v_fma_f64 v[40:41], v[4:5], v[34:35], v[161:162]
	v_fma_f64 v[34:35], v[2:3], v[34:35], -v[36:37]
	v_fma_f64 v[24:25], v[24:25], v[38:39], v[30:31]
	v_fma_f64 v[22:23], v[22:23], v[38:39], -v[32:33]
	v_add_f64_e32 v[26:27], v[26:27], v[18:19]
	v_add_f64_e32 v[28:29], v[28:29], v[20:21]
	ds_load_b128 v[2:5], v1 offset:1664
	ds_load_b128 v[18:21], v1 offset:1680
	s_wait_loadcnt_dscnt 0x301
	v_mul_f64_e32 v[36:37], v[2:3], v[44:45]
	v_mul_f64_e32 v[44:45], v[4:5], v[44:45]
	s_wait_loadcnt_dscnt 0x200
	v_mul_f64_e32 v[30:31], v[18:19], v[8:9]
	v_mul_f64_e32 v[8:9], v[20:21], v[8:9]
	v_add_f64_e32 v[26:27], v[26:27], v[34:35]
	v_add_f64_e32 v[28:29], v[28:29], v[40:41]
	v_fma_f64 v[32:33], v[4:5], v[42:43], v[36:37]
	v_fma_f64 v[34:35], v[2:3], v[42:43], -v[44:45]
	v_fma_f64 v[20:21], v[20:21], v[6:7], v[30:31]
	v_fma_f64 v[6:7], v[18:19], v[6:7], -v[8:9]
	v_add_f64_e32 v[26:27], v[26:27], v[22:23]
	v_add_f64_e32 v[28:29], v[28:29], v[24:25]
	ds_load_b128 v[2:5], v1 offset:1696
	ds_load_b128 v[22:25], v1 offset:1712
	s_wait_loadcnt_dscnt 0x101
	v_mul_f64_e32 v[36:37], v[2:3], v[12:13]
	v_mul_f64_e32 v[12:13], v[4:5], v[12:13]
	v_add_f64_e32 v[8:9], v[26:27], v[34:35]
	v_add_f64_e32 v[18:19], v[28:29], v[32:33]
	s_wait_loadcnt_dscnt 0x0
	v_mul_f64_e32 v[26:27], v[22:23], v[16:17]
	v_mul_f64_e32 v[16:17], v[24:25], v[16:17]
	v_fma_f64 v[4:5], v[4:5], v[10:11], v[36:37]
	v_fma_f64 v[1:2], v[2:3], v[10:11], -v[12:13]
	v_add_f64_e32 v[6:7], v[8:9], v[6:7]
	v_add_f64_e32 v[8:9], v[18:19], v[20:21]
	v_fma_f64 v[10:11], v[24:25], v[14:15], v[26:27]
	v_fma_f64 v[12:13], v[22:23], v[14:15], -v[16:17]
	s_delay_alu instid0(VALU_DEP_4) | instskip(NEXT) | instid1(VALU_DEP_4)
	v_add_f64_e32 v[1:2], v[6:7], v[1:2]
	v_add_f64_e32 v[3:4], v[8:9], v[4:5]
	s_delay_alu instid0(VALU_DEP_2) | instskip(NEXT) | instid1(VALU_DEP_2)
	v_add_f64_e32 v[1:2], v[1:2], v[12:13]
	v_add_f64_e32 v[3:4], v[3:4], v[10:11]
	s_delay_alu instid0(VALU_DEP_2) | instskip(NEXT) | instid1(VALU_DEP_2)
	v_add_f64_e64 v[1:2], v[155:156], -v[1:2]
	v_add_f64_e64 v[3:4], v[157:158], -v[3:4]
	scratch_store_b128 off, v[1:4], off offset:160
	v_cmpx_lt_u32_e32 8, v0
	s_cbranch_execz .LBB117_321
; %bb.320:
	scratch_load_b128 v[1:4], off, s59
	v_mov_b32_e32 v5, 0
	s_delay_alu instid0(VALU_DEP_1)
	v_dual_mov_b32 v6, v5 :: v_dual_mov_b32 v7, v5
	v_mov_b32_e32 v8, v5
	scratch_store_b128 off, v[5:8], off offset:144
	s_wait_loadcnt 0x0
	ds_store_b128 v154, v[1:4]
.LBB117_321:
	s_wait_alu 0xfffe
	s_or_b32 exec_lo, exec_lo, s0
	s_wait_storecnt_dscnt 0x0
	s_barrier_signal -1
	s_barrier_wait -1
	global_inv scope:SCOPE_SE
	s_clause 0x7
	scratch_load_b128 v[2:5], off, off offset:160
	scratch_load_b128 v[6:9], off, off offset:176
	;; [unrolled: 1-line block ×8, first 2 shown]
	v_mov_b32_e32 v1, 0
	s_mov_b32 s0, exec_lo
	ds_load_b128 v[38:41], v1 offset:1008
	s_clause 0x1
	scratch_load_b128 v[34:37], off, off offset:288
	scratch_load_b128 v[42:45], off, off offset:144
	ds_load_b128 v[155:158], v1 offset:1024
	scratch_load_b128 v[159:162], off, off offset:304
	s_wait_loadcnt_dscnt 0xa01
	v_mul_f64_e32 v[163:164], v[40:41], v[4:5]
	v_mul_f64_e32 v[4:5], v[38:39], v[4:5]
	s_delay_alu instid0(VALU_DEP_2) | instskip(NEXT) | instid1(VALU_DEP_2)
	v_fma_f64 v[169:170], v[38:39], v[2:3], -v[163:164]
	v_fma_f64 v[171:172], v[40:41], v[2:3], v[4:5]
	ds_load_b128 v[2:5], v1 offset:1040
	s_wait_loadcnt_dscnt 0x901
	v_mul_f64_e32 v[167:168], v[155:156], v[8:9]
	v_mul_f64_e32 v[8:9], v[157:158], v[8:9]
	scratch_load_b128 v[38:41], off, off offset:320
	ds_load_b128 v[163:166], v1 offset:1056
	s_wait_loadcnt_dscnt 0x901
	v_mul_f64_e32 v[173:174], v[2:3], v[12:13]
	v_mul_f64_e32 v[12:13], v[4:5], v[12:13]
	v_fma_f64 v[157:158], v[157:158], v[6:7], v[167:168]
	v_fma_f64 v[155:156], v[155:156], v[6:7], -v[8:9]
	v_add_f64_e32 v[167:168], 0, v[169:170]
	v_add_f64_e32 v[169:170], 0, v[171:172]
	scratch_load_b128 v[6:9], off, off offset:336
	v_fma_f64 v[173:174], v[4:5], v[10:11], v[173:174]
	v_fma_f64 v[175:176], v[2:3], v[10:11], -v[12:13]
	ds_load_b128 v[2:5], v1 offset:1072
	s_wait_loadcnt_dscnt 0x901
	v_mul_f64_e32 v[171:172], v[163:164], v[16:17]
	v_mul_f64_e32 v[16:17], v[165:166], v[16:17]
	scratch_load_b128 v[10:13], off, off offset:352
	v_add_f64_e32 v[167:168], v[167:168], v[155:156]
	v_add_f64_e32 v[169:170], v[169:170], v[157:158]
	s_wait_loadcnt_dscnt 0x900
	v_mul_f64_e32 v[177:178], v[2:3], v[20:21]
	v_mul_f64_e32 v[20:21], v[4:5], v[20:21]
	ds_load_b128 v[155:158], v1 offset:1088
	v_fma_f64 v[165:166], v[165:166], v[14:15], v[171:172]
	v_fma_f64 v[163:164], v[163:164], v[14:15], -v[16:17]
	scratch_load_b128 v[14:17], off, off offset:368
	v_add_f64_e32 v[167:168], v[167:168], v[175:176]
	v_add_f64_e32 v[169:170], v[169:170], v[173:174]
	v_fma_f64 v[173:174], v[4:5], v[18:19], v[177:178]
	v_fma_f64 v[175:176], v[2:3], v[18:19], -v[20:21]
	ds_load_b128 v[2:5], v1 offset:1104
	s_wait_loadcnt_dscnt 0x901
	v_mul_f64_e32 v[171:172], v[155:156], v[24:25]
	v_mul_f64_e32 v[24:25], v[157:158], v[24:25]
	scratch_load_b128 v[18:21], off, off offset:384
	s_wait_loadcnt_dscnt 0x900
	v_mul_f64_e32 v[177:178], v[2:3], v[28:29]
	v_mul_f64_e32 v[28:29], v[4:5], v[28:29]
	v_add_f64_e32 v[167:168], v[167:168], v[163:164]
	v_add_f64_e32 v[169:170], v[169:170], v[165:166]
	ds_load_b128 v[163:166], v1 offset:1120
	v_fma_f64 v[157:158], v[157:158], v[22:23], v[171:172]
	v_fma_f64 v[155:156], v[155:156], v[22:23], -v[24:25]
	scratch_load_b128 v[22:25], off, off offset:400
	v_add_f64_e32 v[167:168], v[167:168], v[175:176]
	v_add_f64_e32 v[169:170], v[169:170], v[173:174]
	v_fma_f64 v[173:174], v[4:5], v[26:27], v[177:178]
	v_fma_f64 v[175:176], v[2:3], v[26:27], -v[28:29]
	ds_load_b128 v[2:5], v1 offset:1136
	s_wait_loadcnt_dscnt 0x901
	v_mul_f64_e32 v[171:172], v[163:164], v[32:33]
	v_mul_f64_e32 v[32:33], v[165:166], v[32:33]
	scratch_load_b128 v[26:29], off, off offset:416
	s_wait_loadcnt_dscnt 0x900
	v_mul_f64_e32 v[177:178], v[2:3], v[36:37]
	v_mul_f64_e32 v[36:37], v[4:5], v[36:37]
	v_add_f64_e32 v[167:168], v[167:168], v[155:156]
	v_add_f64_e32 v[169:170], v[169:170], v[157:158]
	ds_load_b128 v[155:158], v1 offset:1152
	v_fma_f64 v[165:166], v[165:166], v[30:31], v[171:172]
	v_fma_f64 v[163:164], v[163:164], v[30:31], -v[32:33]
	scratch_load_b128 v[30:33], off, off offset:432
	v_add_f64_e32 v[167:168], v[167:168], v[175:176]
	v_add_f64_e32 v[169:170], v[169:170], v[173:174]
	v_fma_f64 v[175:176], v[4:5], v[34:35], v[177:178]
	v_fma_f64 v[177:178], v[2:3], v[34:35], -v[36:37]
	ds_load_b128 v[2:5], v1 offset:1168
	s_wait_loadcnt_dscnt 0x801
	v_mul_f64_e32 v[171:172], v[155:156], v[161:162]
	v_mul_f64_e32 v[173:174], v[157:158], v[161:162]
	scratch_load_b128 v[34:37], off, off offset:448
	v_add_f64_e32 v[167:168], v[167:168], v[163:164]
	v_add_f64_e32 v[165:166], v[169:170], v[165:166]
	ds_load_b128 v[161:164], v1 offset:1184
	v_fma_f64 v[171:172], v[157:158], v[159:160], v[171:172]
	v_fma_f64 v[159:160], v[155:156], v[159:160], -v[173:174]
	scratch_load_b128 v[155:158], off, off offset:464
	s_wait_loadcnt_dscnt 0x901
	v_mul_f64_e32 v[169:170], v[2:3], v[40:41]
	v_mul_f64_e32 v[40:41], v[4:5], v[40:41]
	v_add_f64_e32 v[167:168], v[167:168], v[177:178]
	v_add_f64_e32 v[165:166], v[165:166], v[175:176]
	s_delay_alu instid0(VALU_DEP_4) | instskip(NEXT) | instid1(VALU_DEP_4)
	v_fma_f64 v[169:170], v[4:5], v[38:39], v[169:170]
	v_fma_f64 v[175:176], v[2:3], v[38:39], -v[40:41]
	ds_load_b128 v[2:5], v1 offset:1200
	s_wait_loadcnt_dscnt 0x801
	v_mul_f64_e32 v[173:174], v[161:162], v[8:9]
	v_mul_f64_e32 v[8:9], v[163:164], v[8:9]
	scratch_load_b128 v[38:41], off, off offset:480
	s_wait_loadcnt_dscnt 0x800
	v_mul_f64_e32 v[177:178], v[2:3], v[12:13]
	v_add_f64_e32 v[159:160], v[167:168], v[159:160]
	v_add_f64_e32 v[171:172], v[165:166], v[171:172]
	v_mul_f64_e32 v[12:13], v[4:5], v[12:13]
	ds_load_b128 v[165:168], v1 offset:1216
	v_fma_f64 v[163:164], v[163:164], v[6:7], v[173:174]
	v_fma_f64 v[161:162], v[161:162], v[6:7], -v[8:9]
	scratch_load_b128 v[6:9], off, off offset:496
	v_fma_f64 v[173:174], v[4:5], v[10:11], v[177:178]
	v_add_f64_e32 v[159:160], v[159:160], v[175:176]
	v_add_f64_e32 v[169:170], v[171:172], v[169:170]
	v_fma_f64 v[175:176], v[2:3], v[10:11], -v[12:13]
	ds_load_b128 v[2:5], v1 offset:1232
	s_wait_loadcnt_dscnt 0x801
	v_mul_f64_e32 v[171:172], v[165:166], v[16:17]
	v_mul_f64_e32 v[16:17], v[167:168], v[16:17]
	scratch_load_b128 v[10:13], off, off offset:512
	v_add_f64_e32 v[177:178], v[159:160], v[161:162]
	v_add_f64_e32 v[163:164], v[169:170], v[163:164]
	s_wait_loadcnt_dscnt 0x800
	v_mul_f64_e32 v[169:170], v[2:3], v[20:21]
	v_mul_f64_e32 v[20:21], v[4:5], v[20:21]
	v_fma_f64 v[167:168], v[167:168], v[14:15], v[171:172]
	v_fma_f64 v[165:166], v[165:166], v[14:15], -v[16:17]
	ds_load_b128 v[159:162], v1 offset:1248
	scratch_load_b128 v[14:17], off, off offset:528
	v_add_f64_e32 v[171:172], v[177:178], v[175:176]
	v_add_f64_e32 v[163:164], v[163:164], v[173:174]
	v_fma_f64 v[169:170], v[4:5], v[18:19], v[169:170]
	v_fma_f64 v[175:176], v[2:3], v[18:19], -v[20:21]
	ds_load_b128 v[2:5], v1 offset:1264
	s_wait_loadcnt_dscnt 0x801
	v_mul_f64_e32 v[173:174], v[159:160], v[24:25]
	v_mul_f64_e32 v[24:25], v[161:162], v[24:25]
	scratch_load_b128 v[18:21], off, off offset:544
	s_wait_loadcnt_dscnt 0x800
	v_mul_f64_e32 v[177:178], v[2:3], v[28:29]
	v_mul_f64_e32 v[28:29], v[4:5], v[28:29]
	v_add_f64_e32 v[171:172], v[171:172], v[165:166]
	v_add_f64_e32 v[167:168], v[163:164], v[167:168]
	ds_load_b128 v[163:166], v1 offset:1280
	v_fma_f64 v[161:162], v[161:162], v[22:23], v[173:174]
	v_fma_f64 v[159:160], v[159:160], v[22:23], -v[24:25]
	scratch_load_b128 v[22:25], off, off offset:560
	v_fma_f64 v[173:174], v[4:5], v[26:27], v[177:178]
	v_add_f64_e32 v[171:172], v[171:172], v[175:176]
	v_add_f64_e32 v[167:168], v[167:168], v[169:170]
	v_fma_f64 v[175:176], v[2:3], v[26:27], -v[28:29]
	ds_load_b128 v[2:5], v1 offset:1296
	s_wait_loadcnt_dscnt 0x801
	v_mul_f64_e32 v[169:170], v[163:164], v[32:33]
	v_mul_f64_e32 v[32:33], v[165:166], v[32:33]
	scratch_load_b128 v[26:29], off, off offset:576
	s_wait_loadcnt_dscnt 0x800
	v_mul_f64_e32 v[177:178], v[2:3], v[36:37]
	v_mul_f64_e32 v[36:37], v[4:5], v[36:37]
	v_add_f64_e32 v[171:172], v[171:172], v[159:160]
	v_add_f64_e32 v[167:168], v[167:168], v[161:162]
	ds_load_b128 v[159:162], v1 offset:1312
	v_fma_f64 v[165:166], v[165:166], v[30:31], v[169:170]
	v_fma_f64 v[163:164], v[163:164], v[30:31], -v[32:33]
	scratch_load_b128 v[30:33], off, off offset:592
	v_add_f64_e32 v[169:170], v[171:172], v[175:176]
	v_add_f64_e32 v[167:168], v[167:168], v[173:174]
	v_fma_f64 v[173:174], v[4:5], v[34:35], v[177:178]
	v_fma_f64 v[175:176], v[2:3], v[34:35], -v[36:37]
	ds_load_b128 v[2:5], v1 offset:1328
	s_wait_loadcnt_dscnt 0x801
	v_mul_f64_e32 v[171:172], v[159:160], v[157:158]
	v_mul_f64_e32 v[157:158], v[161:162], v[157:158]
	scratch_load_b128 v[34:37], off, off offset:608
	s_wait_loadcnt_dscnt 0x800
	v_mul_f64_e32 v[177:178], v[2:3], v[40:41]
	v_mul_f64_e32 v[40:41], v[4:5], v[40:41]
	v_add_f64_e32 v[169:170], v[169:170], v[163:164]
	v_add_f64_e32 v[167:168], v[167:168], v[165:166]
	ds_load_b128 v[163:166], v1 offset:1344
	v_fma_f64 v[161:162], v[161:162], v[155:156], v[171:172]
	v_fma_f64 v[159:160], v[159:160], v[155:156], -v[157:158]
	scratch_load_b128 v[155:158], off, off offset:624
	v_add_f64_e32 v[169:170], v[169:170], v[175:176]
	v_add_f64_e32 v[167:168], v[167:168], v[173:174]
	v_fma_f64 v[173:174], v[4:5], v[38:39], v[177:178]
	;; [unrolled: 18-line block ×6, first 2 shown]
	v_fma_f64 v[177:178], v[2:3], v[34:35], -v[36:37]
	ds_load_b128 v[2:5], v1 offset:1488
	s_wait_loadcnt_dscnt 0x801
	v_mul_f64_e32 v[171:172], v[163:164], v[157:158]
	v_mul_f64_e32 v[173:174], v[165:166], v[157:158]
	scratch_load_b128 v[34:37], off, off offset:768
	v_add_f64_e32 v[169:170], v[169:170], v[159:160]
	v_add_f64_e32 v[161:162], v[167:168], v[161:162]
	s_wait_loadcnt_dscnt 0x800
	v_mul_f64_e32 v[167:168], v[2:3], v[40:41]
	v_mul_f64_e32 v[40:41], v[4:5], v[40:41]
	ds_load_b128 v[157:160], v1 offset:1504
	v_fma_f64 v[165:166], v[165:166], v[155:156], v[171:172]
	v_fma_f64 v[155:156], v[163:164], v[155:156], -v[173:174]
	v_add_f64_e32 v[169:170], v[169:170], v[177:178]
	v_add_f64_e32 v[171:172], v[161:162], v[175:176]
	scratch_load_b128 v[161:164], off, off offset:784
	v_fma_f64 v[175:176], v[4:5], v[38:39], v[167:168]
	v_fma_f64 v[177:178], v[2:3], v[38:39], -v[40:41]
	ds_load_b128 v[2:5], v1 offset:1520
	s_wait_loadcnt_dscnt 0x801
	v_mul_f64_e32 v[173:174], v[157:158], v[8:9]
	v_mul_f64_e32 v[8:9], v[159:160], v[8:9]
	scratch_load_b128 v[38:41], off, off offset:800
	v_add_f64_e32 v[155:156], v[169:170], v[155:156]
	v_add_f64_e32 v[169:170], v[171:172], v[165:166]
	s_wait_loadcnt_dscnt 0x800
	v_mul_f64_e32 v[171:172], v[2:3], v[12:13]
	v_mul_f64_e32 v[12:13], v[4:5], v[12:13]
	ds_load_b128 v[165:168], v1 offset:1536
	v_fma_f64 v[159:160], v[159:160], v[6:7], v[173:174]
	v_fma_f64 v[157:158], v[157:158], v[6:7], -v[8:9]
	scratch_load_b128 v[6:9], off, off offset:816
	v_add_f64_e32 v[155:156], v[155:156], v[177:178]
	v_add_f64_e32 v[169:170], v[169:170], v[175:176]
	v_fma_f64 v[171:172], v[4:5], v[10:11], v[171:172]
	v_fma_f64 v[175:176], v[2:3], v[10:11], -v[12:13]
	ds_load_b128 v[2:5], v1 offset:1552
	s_wait_loadcnt_dscnt 0x801
	v_mul_f64_e32 v[173:174], v[165:166], v[16:17]
	v_mul_f64_e32 v[16:17], v[167:168], v[16:17]
	scratch_load_b128 v[10:13], off, off offset:832
	v_add_f64_e32 v[177:178], v[155:156], v[157:158]
	v_add_f64_e32 v[159:160], v[169:170], v[159:160]
	s_wait_loadcnt_dscnt 0x800
	v_mul_f64_e32 v[169:170], v[2:3], v[20:21]
	v_mul_f64_e32 v[20:21], v[4:5], v[20:21]
	ds_load_b128 v[155:158], v1 offset:1568
	v_fma_f64 v[167:168], v[167:168], v[14:15], v[173:174]
	v_fma_f64 v[165:166], v[165:166], v[14:15], -v[16:17]
	scratch_load_b128 v[14:17], off, off offset:848
	v_add_f64_e32 v[173:174], v[177:178], v[175:176]
	v_add_f64_e32 v[159:160], v[159:160], v[171:172]
	v_fma_f64 v[169:170], v[4:5], v[18:19], v[169:170]
	v_fma_f64 v[175:176], v[2:3], v[18:19], -v[20:21]
	ds_load_b128 v[2:5], v1 offset:1584
	s_wait_loadcnt_dscnt 0x801
	v_mul_f64_e32 v[171:172], v[155:156], v[24:25]
	v_mul_f64_e32 v[24:25], v[157:158], v[24:25]
	scratch_load_b128 v[18:21], off, off offset:864
	s_wait_loadcnt_dscnt 0x800
	v_mul_f64_e32 v[177:178], v[2:3], v[28:29]
	v_mul_f64_e32 v[28:29], v[4:5], v[28:29]
	v_add_f64_e32 v[173:174], v[173:174], v[165:166]
	v_add_f64_e32 v[159:160], v[159:160], v[167:168]
	ds_load_b128 v[165:168], v1 offset:1600
	v_fma_f64 v[157:158], v[157:158], v[22:23], v[171:172]
	v_fma_f64 v[22:23], v[155:156], v[22:23], -v[24:25]
	v_add_f64_e32 v[24:25], v[173:174], v[175:176]
	v_add_f64_e32 v[155:156], v[159:160], v[169:170]
	s_wait_loadcnt_dscnt 0x700
	v_mul_f64_e32 v[159:160], v[165:166], v[32:33]
	v_mul_f64_e32 v[32:33], v[167:168], v[32:33]
	v_fma_f64 v[169:170], v[4:5], v[26:27], v[177:178]
	v_fma_f64 v[26:27], v[2:3], v[26:27], -v[28:29]
	v_add_f64_e32 v[28:29], v[24:25], v[22:23]
	v_add_f64_e32 v[155:156], v[155:156], v[157:158]
	ds_load_b128 v[2:5], v1 offset:1616
	ds_load_b128 v[22:25], v1 offset:1632
	v_fma_f64 v[159:160], v[167:168], v[30:31], v[159:160]
	v_fma_f64 v[30:31], v[165:166], v[30:31], -v[32:33]
	s_wait_loadcnt_dscnt 0x601
	v_mul_f64_e32 v[157:158], v[2:3], v[36:37]
	v_mul_f64_e32 v[36:37], v[4:5], v[36:37]
	v_add_f64_e32 v[26:27], v[28:29], v[26:27]
	v_add_f64_e32 v[28:29], v[155:156], v[169:170]
	s_wait_loadcnt_dscnt 0x500
	v_mul_f64_e32 v[32:33], v[22:23], v[163:164]
	v_mul_f64_e32 v[155:156], v[24:25], v[163:164]
	v_fma_f64 v[157:158], v[4:5], v[34:35], v[157:158]
	v_fma_f64 v[34:35], v[2:3], v[34:35], -v[36:37]
	v_add_f64_e32 v[30:31], v[26:27], v[30:31]
	v_add_f64_e32 v[36:37], v[28:29], v[159:160]
	ds_load_b128 v[2:5], v1 offset:1648
	ds_load_b128 v[26:29], v1 offset:1664
	v_fma_f64 v[24:25], v[24:25], v[161:162], v[32:33]
	v_fma_f64 v[22:23], v[22:23], v[161:162], -v[155:156]
	s_wait_loadcnt_dscnt 0x401
	v_mul_f64_e32 v[159:160], v[2:3], v[40:41]
	v_mul_f64_e32 v[40:41], v[4:5], v[40:41]
	v_add_f64_e32 v[30:31], v[30:31], v[34:35]
	v_add_f64_e32 v[32:33], v[36:37], v[157:158]
	s_wait_loadcnt_dscnt 0x300
	v_mul_f64_e32 v[34:35], v[26:27], v[8:9]
	v_mul_f64_e32 v[8:9], v[28:29], v[8:9]
	v_fma_f64 v[36:37], v[4:5], v[38:39], v[159:160]
	v_fma_f64 v[38:39], v[2:3], v[38:39], -v[40:41]
	v_add_f64_e32 v[30:31], v[30:31], v[22:23]
	v_add_f64_e32 v[32:33], v[32:33], v[24:25]
	ds_load_b128 v[2:5], v1 offset:1680
	ds_load_b128 v[22:25], v1 offset:1696
	v_fma_f64 v[28:29], v[28:29], v[6:7], v[34:35]
	v_fma_f64 v[6:7], v[26:27], v[6:7], -v[8:9]
	s_wait_loadcnt_dscnt 0x201
	v_mul_f64_e32 v[40:41], v[2:3], v[12:13]
	v_mul_f64_e32 v[12:13], v[4:5], v[12:13]
	v_add_f64_e32 v[8:9], v[30:31], v[38:39]
	v_add_f64_e32 v[26:27], v[32:33], v[36:37]
	s_wait_loadcnt_dscnt 0x100
	v_mul_f64_e32 v[30:31], v[22:23], v[16:17]
	v_mul_f64_e32 v[16:17], v[24:25], v[16:17]
	v_fma_f64 v[32:33], v[4:5], v[10:11], v[40:41]
	v_fma_f64 v[10:11], v[2:3], v[10:11], -v[12:13]
	ds_load_b128 v[2:5], v1 offset:1712
	v_add_f64_e32 v[6:7], v[8:9], v[6:7]
	v_add_f64_e32 v[8:9], v[26:27], v[28:29]
	v_fma_f64 v[24:25], v[24:25], v[14:15], v[30:31]
	v_fma_f64 v[14:15], v[22:23], v[14:15], -v[16:17]
	s_wait_loadcnt_dscnt 0x0
	v_mul_f64_e32 v[12:13], v[2:3], v[20:21]
	v_mul_f64_e32 v[20:21], v[4:5], v[20:21]
	v_add_f64_e32 v[6:7], v[6:7], v[10:11]
	v_add_f64_e32 v[8:9], v[8:9], v[32:33]
	s_delay_alu instid0(VALU_DEP_4) | instskip(NEXT) | instid1(VALU_DEP_4)
	v_fma_f64 v[4:5], v[4:5], v[18:19], v[12:13]
	v_fma_f64 v[2:3], v[2:3], v[18:19], -v[20:21]
	s_delay_alu instid0(VALU_DEP_4) | instskip(NEXT) | instid1(VALU_DEP_4)
	v_add_f64_e32 v[6:7], v[6:7], v[14:15]
	v_add_f64_e32 v[8:9], v[8:9], v[24:25]
	s_delay_alu instid0(VALU_DEP_2) | instskip(NEXT) | instid1(VALU_DEP_2)
	v_add_f64_e32 v[2:3], v[6:7], v[2:3]
	v_add_f64_e32 v[4:5], v[8:9], v[4:5]
	s_delay_alu instid0(VALU_DEP_2) | instskip(NEXT) | instid1(VALU_DEP_2)
	v_add_f64_e64 v[2:3], v[42:43], -v[2:3]
	v_add_f64_e64 v[4:5], v[44:45], -v[4:5]
	scratch_store_b128 off, v[2:5], off offset:144
	v_cmpx_lt_u32_e32 7, v0
	s_cbranch_execz .LBB117_323
; %bb.322:
	scratch_load_b128 v[5:8], off, s60
	v_dual_mov_b32 v2, v1 :: v_dual_mov_b32 v3, v1
	v_mov_b32_e32 v4, v1
	scratch_store_b128 off, v[1:4], off offset:128
	s_wait_loadcnt 0x0
	ds_store_b128 v154, v[5:8]
.LBB117_323:
	s_wait_alu 0xfffe
	s_or_b32 exec_lo, exec_lo, s0
	s_wait_storecnt_dscnt 0x0
	s_barrier_signal -1
	s_barrier_wait -1
	global_inv scope:SCOPE_SE
	s_clause 0x8
	scratch_load_b128 v[2:5], off, off offset:144
	scratch_load_b128 v[6:9], off, off offset:160
	;; [unrolled: 1-line block ×9, first 2 shown]
	ds_load_b128 v[42:45], v1 offset:992
	ds_load_b128 v[38:41], v1 offset:1008
	s_clause 0x1
	scratch_load_b128 v[155:158], off, off offset:128
	scratch_load_b128 v[159:162], off, off offset:288
	s_mov_b32 s0, exec_lo
	s_wait_loadcnt_dscnt 0xa01
	v_mul_f64_e32 v[163:164], v[44:45], v[4:5]
	v_mul_f64_e32 v[4:5], v[42:43], v[4:5]
	s_wait_loadcnt_dscnt 0x900
	v_mul_f64_e32 v[167:168], v[38:39], v[8:9]
	v_mul_f64_e32 v[8:9], v[40:41], v[8:9]
	s_delay_alu instid0(VALU_DEP_4) | instskip(NEXT) | instid1(VALU_DEP_4)
	v_fma_f64 v[169:170], v[42:43], v[2:3], -v[163:164]
	v_fma_f64 v[171:172], v[44:45], v[2:3], v[4:5]
	ds_load_b128 v[2:5], v1 offset:1024
	ds_load_b128 v[163:166], v1 offset:1040
	scratch_load_b128 v[42:45], off, off offset:304
	v_fma_f64 v[40:41], v[40:41], v[6:7], v[167:168]
	v_fma_f64 v[38:39], v[38:39], v[6:7], -v[8:9]
	scratch_load_b128 v[6:9], off, off offset:320
	s_wait_loadcnt_dscnt 0xa01
	v_mul_f64_e32 v[173:174], v[2:3], v[12:13]
	v_mul_f64_e32 v[12:13], v[4:5], v[12:13]
	v_add_f64_e32 v[167:168], 0, v[169:170]
	v_add_f64_e32 v[169:170], 0, v[171:172]
	s_wait_loadcnt_dscnt 0x900
	v_mul_f64_e32 v[171:172], v[163:164], v[16:17]
	v_mul_f64_e32 v[16:17], v[165:166], v[16:17]
	v_fma_f64 v[173:174], v[4:5], v[10:11], v[173:174]
	v_fma_f64 v[175:176], v[2:3], v[10:11], -v[12:13]
	ds_load_b128 v[2:5], v1 offset:1056
	scratch_load_b128 v[10:13], off, off offset:336
	v_add_f64_e32 v[167:168], v[167:168], v[38:39]
	v_add_f64_e32 v[169:170], v[169:170], v[40:41]
	ds_load_b128 v[38:41], v1 offset:1072
	v_fma_f64 v[165:166], v[165:166], v[14:15], v[171:172]
	v_fma_f64 v[163:164], v[163:164], v[14:15], -v[16:17]
	scratch_load_b128 v[14:17], off, off offset:352
	s_wait_loadcnt_dscnt 0xa01
	v_mul_f64_e32 v[177:178], v[2:3], v[20:21]
	v_mul_f64_e32 v[20:21], v[4:5], v[20:21]
	s_wait_loadcnt_dscnt 0x900
	v_mul_f64_e32 v[171:172], v[38:39], v[24:25]
	v_mul_f64_e32 v[24:25], v[40:41], v[24:25]
	v_add_f64_e32 v[167:168], v[167:168], v[175:176]
	v_add_f64_e32 v[169:170], v[169:170], v[173:174]
	v_fma_f64 v[173:174], v[4:5], v[18:19], v[177:178]
	v_fma_f64 v[175:176], v[2:3], v[18:19], -v[20:21]
	ds_load_b128 v[2:5], v1 offset:1088
	scratch_load_b128 v[18:21], off, off offset:368
	v_fma_f64 v[40:41], v[40:41], v[22:23], v[171:172]
	v_fma_f64 v[38:39], v[38:39], v[22:23], -v[24:25]
	scratch_load_b128 v[22:25], off, off offset:384
	v_add_f64_e32 v[167:168], v[167:168], v[163:164]
	v_add_f64_e32 v[169:170], v[169:170], v[165:166]
	ds_load_b128 v[163:166], v1 offset:1104
	s_wait_loadcnt_dscnt 0xa01
	v_mul_f64_e32 v[177:178], v[2:3], v[28:29]
	v_mul_f64_e32 v[28:29], v[4:5], v[28:29]
	s_wait_loadcnt_dscnt 0x900
	v_mul_f64_e32 v[171:172], v[163:164], v[32:33]
	v_mul_f64_e32 v[32:33], v[165:166], v[32:33]
	v_add_f64_e32 v[167:168], v[167:168], v[175:176]
	v_add_f64_e32 v[169:170], v[169:170], v[173:174]
	v_fma_f64 v[173:174], v[4:5], v[26:27], v[177:178]
	v_fma_f64 v[175:176], v[2:3], v[26:27], -v[28:29]
	ds_load_b128 v[2:5], v1 offset:1120
	scratch_load_b128 v[26:29], off, off offset:400
	v_fma_f64 v[165:166], v[165:166], v[30:31], v[171:172]
	v_fma_f64 v[163:164], v[163:164], v[30:31], -v[32:33]
	scratch_load_b128 v[30:33], off, off offset:416
	v_add_f64_e32 v[167:168], v[167:168], v[38:39]
	v_add_f64_e32 v[169:170], v[169:170], v[40:41]
	ds_load_b128 v[38:41], v1 offset:1136
	s_wait_loadcnt_dscnt 0xa01
	v_mul_f64_e32 v[177:178], v[2:3], v[36:37]
	v_mul_f64_e32 v[36:37], v[4:5], v[36:37]
	s_wait_loadcnt_dscnt 0x800
	v_mul_f64_e32 v[171:172], v[38:39], v[161:162]
	v_add_f64_e32 v[167:168], v[167:168], v[175:176]
	v_add_f64_e32 v[169:170], v[169:170], v[173:174]
	v_mul_f64_e32 v[173:174], v[40:41], v[161:162]
	v_fma_f64 v[175:176], v[4:5], v[34:35], v[177:178]
	v_fma_f64 v[177:178], v[2:3], v[34:35], -v[36:37]
	ds_load_b128 v[2:5], v1 offset:1152
	scratch_load_b128 v[34:37], off, off offset:432
	v_fma_f64 v[171:172], v[40:41], v[159:160], v[171:172]
	v_add_f64_e32 v[167:168], v[167:168], v[163:164]
	v_add_f64_e32 v[165:166], v[169:170], v[165:166]
	ds_load_b128 v[161:164], v1 offset:1168
	v_fma_f64 v[159:160], v[38:39], v[159:160], -v[173:174]
	scratch_load_b128 v[38:41], off, off offset:448
	s_wait_loadcnt_dscnt 0x901
	v_mul_f64_e32 v[169:170], v[2:3], v[44:45]
	v_mul_f64_e32 v[44:45], v[4:5], v[44:45]
	s_wait_loadcnt_dscnt 0x800
	v_mul_f64_e32 v[173:174], v[161:162], v[8:9]
	v_mul_f64_e32 v[8:9], v[163:164], v[8:9]
	v_add_f64_e32 v[167:168], v[167:168], v[177:178]
	v_add_f64_e32 v[165:166], v[165:166], v[175:176]
	v_fma_f64 v[169:170], v[4:5], v[42:43], v[169:170]
	v_fma_f64 v[175:176], v[2:3], v[42:43], -v[44:45]
	ds_load_b128 v[2:5], v1 offset:1184
	scratch_load_b128 v[42:45], off, off offset:464
	v_fma_f64 v[163:164], v[163:164], v[6:7], v[173:174]
	v_fma_f64 v[161:162], v[161:162], v[6:7], -v[8:9]
	scratch_load_b128 v[6:9], off, off offset:480
	v_add_f64_e32 v[159:160], v[167:168], v[159:160]
	v_add_f64_e32 v[171:172], v[165:166], v[171:172]
	ds_load_b128 v[165:168], v1 offset:1200
	s_wait_loadcnt_dscnt 0x901
	v_mul_f64_e32 v[177:178], v[2:3], v[12:13]
	v_mul_f64_e32 v[12:13], v[4:5], v[12:13]
	v_add_f64_e32 v[159:160], v[159:160], v[175:176]
	v_add_f64_e32 v[169:170], v[171:172], v[169:170]
	s_wait_loadcnt_dscnt 0x800
	v_mul_f64_e32 v[171:172], v[165:166], v[16:17]
	v_mul_f64_e32 v[16:17], v[167:168], v[16:17]
	v_fma_f64 v[173:174], v[4:5], v[10:11], v[177:178]
	v_fma_f64 v[175:176], v[2:3], v[10:11], -v[12:13]
	ds_load_b128 v[2:5], v1 offset:1216
	scratch_load_b128 v[10:13], off, off offset:496
	v_add_f64_e32 v[177:178], v[159:160], v[161:162]
	v_add_f64_e32 v[163:164], v[169:170], v[163:164]
	ds_load_b128 v[159:162], v1 offset:1232
	s_wait_loadcnt_dscnt 0x801
	v_mul_f64_e32 v[169:170], v[2:3], v[20:21]
	v_mul_f64_e32 v[20:21], v[4:5], v[20:21]
	v_fma_f64 v[167:168], v[167:168], v[14:15], v[171:172]
	v_fma_f64 v[165:166], v[165:166], v[14:15], -v[16:17]
	scratch_load_b128 v[14:17], off, off offset:512
	v_add_f64_e32 v[171:172], v[177:178], v[175:176]
	v_add_f64_e32 v[163:164], v[163:164], v[173:174]
	s_wait_loadcnt_dscnt 0x800
	v_mul_f64_e32 v[173:174], v[159:160], v[24:25]
	v_mul_f64_e32 v[24:25], v[161:162], v[24:25]
	v_fma_f64 v[169:170], v[4:5], v[18:19], v[169:170]
	v_fma_f64 v[175:176], v[2:3], v[18:19], -v[20:21]
	ds_load_b128 v[2:5], v1 offset:1248
	scratch_load_b128 v[18:21], off, off offset:528
	v_add_f64_e32 v[171:172], v[171:172], v[165:166]
	v_add_f64_e32 v[167:168], v[163:164], v[167:168]
	ds_load_b128 v[163:166], v1 offset:1264
	s_wait_loadcnt_dscnt 0x801
	v_mul_f64_e32 v[177:178], v[2:3], v[28:29]
	v_mul_f64_e32 v[28:29], v[4:5], v[28:29]
	v_fma_f64 v[161:162], v[161:162], v[22:23], v[173:174]
	v_fma_f64 v[159:160], v[159:160], v[22:23], -v[24:25]
	scratch_load_b128 v[22:25], off, off offset:544
	;; [unrolled: 18-line block ×4, first 2 shown]
	s_wait_loadcnt_dscnt 0x800
	v_mul_f64_e32 v[171:172], v[163:164], v[8:9]
	v_mul_f64_e32 v[8:9], v[165:166], v[8:9]
	v_add_f64_e32 v[169:170], v[169:170], v[175:176]
	v_add_f64_e32 v[167:168], v[167:168], v[173:174]
	v_fma_f64 v[173:174], v[4:5], v[42:43], v[177:178]
	v_fma_f64 v[175:176], v[2:3], v[42:43], -v[44:45]
	ds_load_b128 v[2:5], v1 offset:1344
	scratch_load_b128 v[42:45], off, off offset:624
	v_fma_f64 v[165:166], v[165:166], v[6:7], v[171:172]
	v_fma_f64 v[163:164], v[163:164], v[6:7], -v[8:9]
	scratch_load_b128 v[6:9], off, off offset:640
	v_add_f64_e32 v[169:170], v[169:170], v[159:160]
	v_add_f64_e32 v[167:168], v[167:168], v[161:162]
	ds_load_b128 v[159:162], v1 offset:1360
	s_wait_loadcnt_dscnt 0x901
	v_mul_f64_e32 v[177:178], v[2:3], v[12:13]
	v_mul_f64_e32 v[12:13], v[4:5], v[12:13]
	s_wait_loadcnt_dscnt 0x800
	v_mul_f64_e32 v[171:172], v[159:160], v[16:17]
	v_mul_f64_e32 v[16:17], v[161:162], v[16:17]
	v_add_f64_e32 v[169:170], v[169:170], v[175:176]
	v_add_f64_e32 v[167:168], v[167:168], v[173:174]
	v_fma_f64 v[173:174], v[4:5], v[10:11], v[177:178]
	v_fma_f64 v[175:176], v[2:3], v[10:11], -v[12:13]
	ds_load_b128 v[2:5], v1 offset:1376
	scratch_load_b128 v[10:13], off, off offset:656
	v_fma_f64 v[161:162], v[161:162], v[14:15], v[171:172]
	v_fma_f64 v[159:160], v[159:160], v[14:15], -v[16:17]
	scratch_load_b128 v[14:17], off, off offset:672
	v_add_f64_e32 v[169:170], v[169:170], v[163:164]
	v_add_f64_e32 v[167:168], v[167:168], v[165:166]
	ds_load_b128 v[163:166], v1 offset:1392
	s_wait_loadcnt_dscnt 0x901
	v_mul_f64_e32 v[177:178], v[2:3], v[20:21]
	v_mul_f64_e32 v[20:21], v[4:5], v[20:21]
	;; [unrolled: 18-line block ×8, first 2 shown]
	s_wait_loadcnt_dscnt 0x800
	v_mul_f64_e32 v[171:172], v[163:164], v[32:33]
	v_mul_f64_e32 v[32:33], v[165:166], v[32:33]
	v_add_f64_e32 v[169:170], v[169:170], v[175:176]
	v_add_f64_e32 v[167:168], v[167:168], v[173:174]
	v_fma_f64 v[173:174], v[4:5], v[26:27], v[177:178]
	v_fma_f64 v[175:176], v[2:3], v[26:27], -v[28:29]
	ds_load_b128 v[2:5], v1 offset:1600
	ds_load_b128 v[26:29], v1 offset:1616
	v_fma_f64 v[165:166], v[165:166], v[30:31], v[171:172]
	v_fma_f64 v[30:31], v[163:164], v[30:31], -v[32:33]
	v_add_f64_e32 v[159:160], v[169:170], v[159:160]
	v_add_f64_e32 v[161:162], v[167:168], v[161:162]
	s_wait_loadcnt_dscnt 0x701
	v_mul_f64_e32 v[167:168], v[2:3], v[36:37]
	v_mul_f64_e32 v[36:37], v[4:5], v[36:37]
	s_delay_alu instid0(VALU_DEP_4) | instskip(NEXT) | instid1(VALU_DEP_4)
	v_add_f64_e32 v[32:33], v[159:160], v[175:176]
	v_add_f64_e32 v[159:160], v[161:162], v[173:174]
	s_wait_loadcnt_dscnt 0x600
	v_mul_f64_e32 v[161:162], v[26:27], v[40:41]
	v_mul_f64_e32 v[40:41], v[28:29], v[40:41]
	v_fma_f64 v[163:164], v[4:5], v[34:35], v[167:168]
	v_fma_f64 v[34:35], v[2:3], v[34:35], -v[36:37]
	v_add_f64_e32 v[36:37], v[32:33], v[30:31]
	v_add_f64_e32 v[159:160], v[159:160], v[165:166]
	ds_load_b128 v[2:5], v1 offset:1632
	ds_load_b128 v[30:33], v1 offset:1648
	v_fma_f64 v[28:29], v[28:29], v[38:39], v[161:162]
	v_fma_f64 v[26:27], v[26:27], v[38:39], -v[40:41]
	s_wait_loadcnt_dscnt 0x501
	v_mul_f64_e32 v[165:166], v[2:3], v[44:45]
	v_mul_f64_e32 v[44:45], v[4:5], v[44:45]
	s_wait_loadcnt_dscnt 0x400
	v_mul_f64_e32 v[38:39], v[30:31], v[8:9]
	v_mul_f64_e32 v[8:9], v[32:33], v[8:9]
	v_add_f64_e32 v[34:35], v[36:37], v[34:35]
	v_add_f64_e32 v[36:37], v[159:160], v[163:164]
	v_fma_f64 v[40:41], v[4:5], v[42:43], v[165:166]
	v_fma_f64 v[42:43], v[2:3], v[42:43], -v[44:45]
	v_fma_f64 v[32:33], v[32:33], v[6:7], v[38:39]
	v_fma_f64 v[6:7], v[30:31], v[6:7], -v[8:9]
	v_add_f64_e32 v[34:35], v[34:35], v[26:27]
	v_add_f64_e32 v[36:37], v[36:37], v[28:29]
	ds_load_b128 v[2:5], v1 offset:1664
	ds_load_b128 v[26:29], v1 offset:1680
	s_wait_loadcnt_dscnt 0x301
	v_mul_f64_e32 v[44:45], v[2:3], v[12:13]
	v_mul_f64_e32 v[12:13], v[4:5], v[12:13]
	v_add_f64_e32 v[8:9], v[34:35], v[42:43]
	v_add_f64_e32 v[30:31], v[36:37], v[40:41]
	s_wait_loadcnt_dscnt 0x200
	v_mul_f64_e32 v[34:35], v[26:27], v[16:17]
	v_mul_f64_e32 v[16:17], v[28:29], v[16:17]
	v_fma_f64 v[36:37], v[4:5], v[10:11], v[44:45]
	v_fma_f64 v[10:11], v[2:3], v[10:11], -v[12:13]
	v_add_f64_e32 v[12:13], v[8:9], v[6:7]
	v_add_f64_e32 v[30:31], v[30:31], v[32:33]
	ds_load_b128 v[2:5], v1 offset:1696
	ds_load_b128 v[6:9], v1 offset:1712
	v_fma_f64 v[28:29], v[28:29], v[14:15], v[34:35]
	v_fma_f64 v[14:15], v[26:27], v[14:15], -v[16:17]
	s_wait_loadcnt_dscnt 0x101
	v_mul_f64_e32 v[32:33], v[2:3], v[20:21]
	v_mul_f64_e32 v[20:21], v[4:5], v[20:21]
	s_wait_loadcnt_dscnt 0x0
	v_mul_f64_e32 v[16:17], v[6:7], v[24:25]
	v_mul_f64_e32 v[24:25], v[8:9], v[24:25]
	v_add_f64_e32 v[10:11], v[12:13], v[10:11]
	v_add_f64_e32 v[12:13], v[30:31], v[36:37]
	v_fma_f64 v[4:5], v[4:5], v[18:19], v[32:33]
	v_fma_f64 v[1:2], v[2:3], v[18:19], -v[20:21]
	v_fma_f64 v[8:9], v[8:9], v[22:23], v[16:17]
	v_fma_f64 v[6:7], v[6:7], v[22:23], -v[24:25]
	v_add_f64_e32 v[10:11], v[10:11], v[14:15]
	v_add_f64_e32 v[12:13], v[12:13], v[28:29]
	s_delay_alu instid0(VALU_DEP_2) | instskip(NEXT) | instid1(VALU_DEP_2)
	v_add_f64_e32 v[1:2], v[10:11], v[1:2]
	v_add_f64_e32 v[3:4], v[12:13], v[4:5]
	s_delay_alu instid0(VALU_DEP_2) | instskip(NEXT) | instid1(VALU_DEP_2)
	;; [unrolled: 3-line block ×3, first 2 shown]
	v_add_f64_e64 v[1:2], v[155:156], -v[1:2]
	v_add_f64_e64 v[3:4], v[157:158], -v[3:4]
	scratch_store_b128 off, v[1:4], off offset:128
	v_cmpx_lt_u32_e32 6, v0
	s_cbranch_execz .LBB117_325
; %bb.324:
	scratch_load_b128 v[1:4], off, s61
	v_mov_b32_e32 v5, 0
	s_delay_alu instid0(VALU_DEP_1)
	v_dual_mov_b32 v6, v5 :: v_dual_mov_b32 v7, v5
	v_mov_b32_e32 v8, v5
	scratch_store_b128 off, v[5:8], off offset:112
	s_wait_loadcnt 0x0
	ds_store_b128 v154, v[1:4]
.LBB117_325:
	s_wait_alu 0xfffe
	s_or_b32 exec_lo, exec_lo, s0
	s_wait_storecnt_dscnt 0x0
	s_barrier_signal -1
	s_barrier_wait -1
	global_inv scope:SCOPE_SE
	s_clause 0x7
	scratch_load_b128 v[2:5], off, off offset:128
	scratch_load_b128 v[6:9], off, off offset:144
	;; [unrolled: 1-line block ×8, first 2 shown]
	v_mov_b32_e32 v1, 0
	s_mov_b32 s0, exec_lo
	ds_load_b128 v[38:41], v1 offset:976
	s_clause 0x1
	scratch_load_b128 v[34:37], off, off offset:256
	scratch_load_b128 v[42:45], off, off offset:112
	ds_load_b128 v[155:158], v1 offset:992
	scratch_load_b128 v[159:162], off, off offset:272
	s_wait_loadcnt_dscnt 0xa01
	v_mul_f64_e32 v[163:164], v[40:41], v[4:5]
	v_mul_f64_e32 v[4:5], v[38:39], v[4:5]
	s_delay_alu instid0(VALU_DEP_2) | instskip(NEXT) | instid1(VALU_DEP_2)
	v_fma_f64 v[169:170], v[38:39], v[2:3], -v[163:164]
	v_fma_f64 v[171:172], v[40:41], v[2:3], v[4:5]
	ds_load_b128 v[2:5], v1 offset:1008
	s_wait_loadcnt_dscnt 0x901
	v_mul_f64_e32 v[167:168], v[155:156], v[8:9]
	v_mul_f64_e32 v[8:9], v[157:158], v[8:9]
	scratch_load_b128 v[38:41], off, off offset:288
	ds_load_b128 v[163:166], v1 offset:1024
	s_wait_loadcnt_dscnt 0x901
	v_mul_f64_e32 v[173:174], v[2:3], v[12:13]
	v_mul_f64_e32 v[12:13], v[4:5], v[12:13]
	v_fma_f64 v[157:158], v[157:158], v[6:7], v[167:168]
	v_fma_f64 v[155:156], v[155:156], v[6:7], -v[8:9]
	v_add_f64_e32 v[167:168], 0, v[169:170]
	v_add_f64_e32 v[169:170], 0, v[171:172]
	scratch_load_b128 v[6:9], off, off offset:304
	v_fma_f64 v[173:174], v[4:5], v[10:11], v[173:174]
	v_fma_f64 v[175:176], v[2:3], v[10:11], -v[12:13]
	ds_load_b128 v[2:5], v1 offset:1040
	s_wait_loadcnt_dscnt 0x901
	v_mul_f64_e32 v[171:172], v[163:164], v[16:17]
	v_mul_f64_e32 v[16:17], v[165:166], v[16:17]
	scratch_load_b128 v[10:13], off, off offset:320
	v_add_f64_e32 v[167:168], v[167:168], v[155:156]
	v_add_f64_e32 v[169:170], v[169:170], v[157:158]
	s_wait_loadcnt_dscnt 0x900
	v_mul_f64_e32 v[177:178], v[2:3], v[20:21]
	v_mul_f64_e32 v[20:21], v[4:5], v[20:21]
	ds_load_b128 v[155:158], v1 offset:1056
	v_fma_f64 v[165:166], v[165:166], v[14:15], v[171:172]
	v_fma_f64 v[163:164], v[163:164], v[14:15], -v[16:17]
	scratch_load_b128 v[14:17], off, off offset:336
	v_add_f64_e32 v[167:168], v[167:168], v[175:176]
	v_add_f64_e32 v[169:170], v[169:170], v[173:174]
	v_fma_f64 v[173:174], v[4:5], v[18:19], v[177:178]
	v_fma_f64 v[175:176], v[2:3], v[18:19], -v[20:21]
	ds_load_b128 v[2:5], v1 offset:1072
	s_wait_loadcnt_dscnt 0x901
	v_mul_f64_e32 v[171:172], v[155:156], v[24:25]
	v_mul_f64_e32 v[24:25], v[157:158], v[24:25]
	scratch_load_b128 v[18:21], off, off offset:352
	s_wait_loadcnt_dscnt 0x900
	v_mul_f64_e32 v[177:178], v[2:3], v[28:29]
	v_mul_f64_e32 v[28:29], v[4:5], v[28:29]
	v_add_f64_e32 v[167:168], v[167:168], v[163:164]
	v_add_f64_e32 v[169:170], v[169:170], v[165:166]
	ds_load_b128 v[163:166], v1 offset:1088
	v_fma_f64 v[157:158], v[157:158], v[22:23], v[171:172]
	v_fma_f64 v[155:156], v[155:156], v[22:23], -v[24:25]
	scratch_load_b128 v[22:25], off, off offset:368
	v_add_f64_e32 v[167:168], v[167:168], v[175:176]
	v_add_f64_e32 v[169:170], v[169:170], v[173:174]
	v_fma_f64 v[173:174], v[4:5], v[26:27], v[177:178]
	v_fma_f64 v[175:176], v[2:3], v[26:27], -v[28:29]
	ds_load_b128 v[2:5], v1 offset:1104
	s_wait_loadcnt_dscnt 0x901
	v_mul_f64_e32 v[171:172], v[163:164], v[32:33]
	v_mul_f64_e32 v[32:33], v[165:166], v[32:33]
	scratch_load_b128 v[26:29], off, off offset:384
	s_wait_loadcnt_dscnt 0x900
	v_mul_f64_e32 v[177:178], v[2:3], v[36:37]
	v_mul_f64_e32 v[36:37], v[4:5], v[36:37]
	v_add_f64_e32 v[167:168], v[167:168], v[155:156]
	v_add_f64_e32 v[169:170], v[169:170], v[157:158]
	ds_load_b128 v[155:158], v1 offset:1120
	v_fma_f64 v[165:166], v[165:166], v[30:31], v[171:172]
	v_fma_f64 v[163:164], v[163:164], v[30:31], -v[32:33]
	scratch_load_b128 v[30:33], off, off offset:400
	v_add_f64_e32 v[167:168], v[167:168], v[175:176]
	v_add_f64_e32 v[169:170], v[169:170], v[173:174]
	v_fma_f64 v[175:176], v[4:5], v[34:35], v[177:178]
	v_fma_f64 v[177:178], v[2:3], v[34:35], -v[36:37]
	ds_load_b128 v[2:5], v1 offset:1136
	s_wait_loadcnt_dscnt 0x801
	v_mul_f64_e32 v[171:172], v[155:156], v[161:162]
	v_mul_f64_e32 v[173:174], v[157:158], v[161:162]
	scratch_load_b128 v[34:37], off, off offset:416
	v_add_f64_e32 v[167:168], v[167:168], v[163:164]
	v_add_f64_e32 v[165:166], v[169:170], v[165:166]
	ds_load_b128 v[161:164], v1 offset:1152
	v_fma_f64 v[171:172], v[157:158], v[159:160], v[171:172]
	v_fma_f64 v[159:160], v[155:156], v[159:160], -v[173:174]
	scratch_load_b128 v[155:158], off, off offset:432
	s_wait_loadcnt_dscnt 0x901
	v_mul_f64_e32 v[169:170], v[2:3], v[40:41]
	v_mul_f64_e32 v[40:41], v[4:5], v[40:41]
	v_add_f64_e32 v[167:168], v[167:168], v[177:178]
	v_add_f64_e32 v[165:166], v[165:166], v[175:176]
	s_delay_alu instid0(VALU_DEP_4) | instskip(NEXT) | instid1(VALU_DEP_4)
	v_fma_f64 v[169:170], v[4:5], v[38:39], v[169:170]
	v_fma_f64 v[175:176], v[2:3], v[38:39], -v[40:41]
	ds_load_b128 v[2:5], v1 offset:1168
	s_wait_loadcnt_dscnt 0x801
	v_mul_f64_e32 v[173:174], v[161:162], v[8:9]
	v_mul_f64_e32 v[8:9], v[163:164], v[8:9]
	scratch_load_b128 v[38:41], off, off offset:448
	s_wait_loadcnt_dscnt 0x800
	v_mul_f64_e32 v[177:178], v[2:3], v[12:13]
	v_add_f64_e32 v[159:160], v[167:168], v[159:160]
	v_add_f64_e32 v[171:172], v[165:166], v[171:172]
	v_mul_f64_e32 v[12:13], v[4:5], v[12:13]
	ds_load_b128 v[165:168], v1 offset:1184
	v_fma_f64 v[163:164], v[163:164], v[6:7], v[173:174]
	v_fma_f64 v[161:162], v[161:162], v[6:7], -v[8:9]
	scratch_load_b128 v[6:9], off, off offset:464
	v_fma_f64 v[173:174], v[4:5], v[10:11], v[177:178]
	v_add_f64_e32 v[159:160], v[159:160], v[175:176]
	v_add_f64_e32 v[169:170], v[171:172], v[169:170]
	v_fma_f64 v[175:176], v[2:3], v[10:11], -v[12:13]
	ds_load_b128 v[2:5], v1 offset:1200
	s_wait_loadcnt_dscnt 0x801
	v_mul_f64_e32 v[171:172], v[165:166], v[16:17]
	v_mul_f64_e32 v[16:17], v[167:168], v[16:17]
	scratch_load_b128 v[10:13], off, off offset:480
	v_add_f64_e32 v[177:178], v[159:160], v[161:162]
	v_add_f64_e32 v[163:164], v[169:170], v[163:164]
	s_wait_loadcnt_dscnt 0x800
	v_mul_f64_e32 v[169:170], v[2:3], v[20:21]
	v_mul_f64_e32 v[20:21], v[4:5], v[20:21]
	v_fma_f64 v[167:168], v[167:168], v[14:15], v[171:172]
	v_fma_f64 v[165:166], v[165:166], v[14:15], -v[16:17]
	ds_load_b128 v[159:162], v1 offset:1216
	scratch_load_b128 v[14:17], off, off offset:496
	v_add_f64_e32 v[171:172], v[177:178], v[175:176]
	v_add_f64_e32 v[163:164], v[163:164], v[173:174]
	v_fma_f64 v[169:170], v[4:5], v[18:19], v[169:170]
	v_fma_f64 v[175:176], v[2:3], v[18:19], -v[20:21]
	ds_load_b128 v[2:5], v1 offset:1232
	s_wait_loadcnt_dscnt 0x801
	v_mul_f64_e32 v[173:174], v[159:160], v[24:25]
	v_mul_f64_e32 v[24:25], v[161:162], v[24:25]
	scratch_load_b128 v[18:21], off, off offset:512
	s_wait_loadcnt_dscnt 0x800
	v_mul_f64_e32 v[177:178], v[2:3], v[28:29]
	v_mul_f64_e32 v[28:29], v[4:5], v[28:29]
	v_add_f64_e32 v[171:172], v[171:172], v[165:166]
	v_add_f64_e32 v[167:168], v[163:164], v[167:168]
	ds_load_b128 v[163:166], v1 offset:1248
	v_fma_f64 v[161:162], v[161:162], v[22:23], v[173:174]
	v_fma_f64 v[159:160], v[159:160], v[22:23], -v[24:25]
	scratch_load_b128 v[22:25], off, off offset:528
	v_fma_f64 v[173:174], v[4:5], v[26:27], v[177:178]
	v_add_f64_e32 v[171:172], v[171:172], v[175:176]
	v_add_f64_e32 v[167:168], v[167:168], v[169:170]
	v_fma_f64 v[175:176], v[2:3], v[26:27], -v[28:29]
	ds_load_b128 v[2:5], v1 offset:1264
	s_wait_loadcnt_dscnt 0x801
	v_mul_f64_e32 v[169:170], v[163:164], v[32:33]
	v_mul_f64_e32 v[32:33], v[165:166], v[32:33]
	scratch_load_b128 v[26:29], off, off offset:544
	s_wait_loadcnt_dscnt 0x800
	v_mul_f64_e32 v[177:178], v[2:3], v[36:37]
	v_mul_f64_e32 v[36:37], v[4:5], v[36:37]
	v_add_f64_e32 v[171:172], v[171:172], v[159:160]
	v_add_f64_e32 v[167:168], v[167:168], v[161:162]
	ds_load_b128 v[159:162], v1 offset:1280
	v_fma_f64 v[165:166], v[165:166], v[30:31], v[169:170]
	v_fma_f64 v[163:164], v[163:164], v[30:31], -v[32:33]
	scratch_load_b128 v[30:33], off, off offset:560
	v_add_f64_e32 v[169:170], v[171:172], v[175:176]
	v_add_f64_e32 v[167:168], v[167:168], v[173:174]
	v_fma_f64 v[173:174], v[4:5], v[34:35], v[177:178]
	v_fma_f64 v[175:176], v[2:3], v[34:35], -v[36:37]
	ds_load_b128 v[2:5], v1 offset:1296
	s_wait_loadcnt_dscnt 0x801
	v_mul_f64_e32 v[171:172], v[159:160], v[157:158]
	v_mul_f64_e32 v[157:158], v[161:162], v[157:158]
	scratch_load_b128 v[34:37], off, off offset:576
	s_wait_loadcnt_dscnt 0x800
	v_mul_f64_e32 v[177:178], v[2:3], v[40:41]
	v_mul_f64_e32 v[40:41], v[4:5], v[40:41]
	v_add_f64_e32 v[169:170], v[169:170], v[163:164]
	v_add_f64_e32 v[167:168], v[167:168], v[165:166]
	ds_load_b128 v[163:166], v1 offset:1312
	v_fma_f64 v[161:162], v[161:162], v[155:156], v[171:172]
	v_fma_f64 v[159:160], v[159:160], v[155:156], -v[157:158]
	scratch_load_b128 v[155:158], off, off offset:592
	v_add_f64_e32 v[169:170], v[169:170], v[175:176]
	v_add_f64_e32 v[167:168], v[167:168], v[173:174]
	v_fma_f64 v[173:174], v[4:5], v[38:39], v[177:178]
	;; [unrolled: 18-line block ×6, first 2 shown]
	v_fma_f64 v[177:178], v[2:3], v[34:35], -v[36:37]
	ds_load_b128 v[2:5], v1 offset:1456
	s_wait_loadcnt_dscnt 0x801
	v_mul_f64_e32 v[171:172], v[163:164], v[157:158]
	v_mul_f64_e32 v[173:174], v[165:166], v[157:158]
	scratch_load_b128 v[34:37], off, off offset:736
	v_add_f64_e32 v[169:170], v[169:170], v[159:160]
	v_add_f64_e32 v[161:162], v[167:168], v[161:162]
	s_wait_loadcnt_dscnt 0x800
	v_mul_f64_e32 v[167:168], v[2:3], v[40:41]
	v_mul_f64_e32 v[40:41], v[4:5], v[40:41]
	ds_load_b128 v[157:160], v1 offset:1472
	v_fma_f64 v[165:166], v[165:166], v[155:156], v[171:172]
	v_fma_f64 v[155:156], v[163:164], v[155:156], -v[173:174]
	v_add_f64_e32 v[169:170], v[169:170], v[177:178]
	v_add_f64_e32 v[171:172], v[161:162], v[175:176]
	scratch_load_b128 v[161:164], off, off offset:752
	v_fma_f64 v[175:176], v[4:5], v[38:39], v[167:168]
	v_fma_f64 v[177:178], v[2:3], v[38:39], -v[40:41]
	ds_load_b128 v[2:5], v1 offset:1488
	s_wait_loadcnt_dscnt 0x801
	v_mul_f64_e32 v[173:174], v[157:158], v[8:9]
	v_mul_f64_e32 v[8:9], v[159:160], v[8:9]
	scratch_load_b128 v[38:41], off, off offset:768
	v_add_f64_e32 v[155:156], v[169:170], v[155:156]
	v_add_f64_e32 v[169:170], v[171:172], v[165:166]
	s_wait_loadcnt_dscnt 0x800
	v_mul_f64_e32 v[171:172], v[2:3], v[12:13]
	v_mul_f64_e32 v[12:13], v[4:5], v[12:13]
	ds_load_b128 v[165:168], v1 offset:1504
	v_fma_f64 v[159:160], v[159:160], v[6:7], v[173:174]
	v_fma_f64 v[157:158], v[157:158], v[6:7], -v[8:9]
	scratch_load_b128 v[6:9], off, off offset:784
	v_add_f64_e32 v[155:156], v[155:156], v[177:178]
	v_add_f64_e32 v[169:170], v[169:170], v[175:176]
	v_fma_f64 v[171:172], v[4:5], v[10:11], v[171:172]
	v_fma_f64 v[175:176], v[2:3], v[10:11], -v[12:13]
	ds_load_b128 v[2:5], v1 offset:1520
	s_wait_loadcnt_dscnt 0x801
	v_mul_f64_e32 v[173:174], v[165:166], v[16:17]
	v_mul_f64_e32 v[16:17], v[167:168], v[16:17]
	scratch_load_b128 v[10:13], off, off offset:800
	v_add_f64_e32 v[177:178], v[155:156], v[157:158]
	v_add_f64_e32 v[159:160], v[169:170], v[159:160]
	s_wait_loadcnt_dscnt 0x800
	v_mul_f64_e32 v[169:170], v[2:3], v[20:21]
	v_mul_f64_e32 v[20:21], v[4:5], v[20:21]
	ds_load_b128 v[155:158], v1 offset:1536
	v_fma_f64 v[167:168], v[167:168], v[14:15], v[173:174]
	v_fma_f64 v[165:166], v[165:166], v[14:15], -v[16:17]
	scratch_load_b128 v[14:17], off, off offset:816
	v_add_f64_e32 v[173:174], v[177:178], v[175:176]
	v_add_f64_e32 v[159:160], v[159:160], v[171:172]
	v_fma_f64 v[169:170], v[4:5], v[18:19], v[169:170]
	v_fma_f64 v[175:176], v[2:3], v[18:19], -v[20:21]
	ds_load_b128 v[2:5], v1 offset:1552
	s_wait_loadcnt_dscnt 0x801
	v_mul_f64_e32 v[171:172], v[155:156], v[24:25]
	v_mul_f64_e32 v[24:25], v[157:158], v[24:25]
	scratch_load_b128 v[18:21], off, off offset:832
	s_wait_loadcnt_dscnt 0x800
	v_mul_f64_e32 v[177:178], v[2:3], v[28:29]
	v_mul_f64_e32 v[28:29], v[4:5], v[28:29]
	v_add_f64_e32 v[173:174], v[173:174], v[165:166]
	v_add_f64_e32 v[159:160], v[159:160], v[167:168]
	ds_load_b128 v[165:168], v1 offset:1568
	v_fma_f64 v[157:158], v[157:158], v[22:23], v[171:172]
	v_fma_f64 v[155:156], v[155:156], v[22:23], -v[24:25]
	scratch_load_b128 v[22:25], off, off offset:848
	v_add_f64_e32 v[171:172], v[173:174], v[175:176]
	v_add_f64_e32 v[159:160], v[159:160], v[169:170]
	v_fma_f64 v[173:174], v[4:5], v[26:27], v[177:178]
	v_fma_f64 v[175:176], v[2:3], v[26:27], -v[28:29]
	ds_load_b128 v[2:5], v1 offset:1584
	s_wait_loadcnt_dscnt 0x801
	v_mul_f64_e32 v[169:170], v[165:166], v[32:33]
	v_mul_f64_e32 v[32:33], v[167:168], v[32:33]
	scratch_load_b128 v[26:29], off, off offset:864
	s_wait_loadcnt_dscnt 0x800
	v_mul_f64_e32 v[177:178], v[2:3], v[36:37]
	v_mul_f64_e32 v[36:37], v[4:5], v[36:37]
	v_add_f64_e32 v[171:172], v[171:172], v[155:156]
	v_add_f64_e32 v[159:160], v[159:160], v[157:158]
	ds_load_b128 v[155:158], v1 offset:1600
	v_fma_f64 v[167:168], v[167:168], v[30:31], v[169:170]
	v_fma_f64 v[30:31], v[165:166], v[30:31], -v[32:33]
	v_fma_f64 v[169:170], v[4:5], v[34:35], v[177:178]
	v_fma_f64 v[34:35], v[2:3], v[34:35], -v[36:37]
	v_add_f64_e32 v[32:33], v[171:172], v[175:176]
	v_add_f64_e32 v[159:160], v[159:160], v[173:174]
	s_wait_loadcnt_dscnt 0x700
	v_mul_f64_e32 v[165:166], v[155:156], v[163:164]
	v_mul_f64_e32 v[163:164], v[157:158], v[163:164]
	s_delay_alu instid0(VALU_DEP_4) | instskip(NEXT) | instid1(VALU_DEP_4)
	v_add_f64_e32 v[36:37], v[32:33], v[30:31]
	v_add_f64_e32 v[159:160], v[159:160], v[167:168]
	ds_load_b128 v[2:5], v1 offset:1616
	ds_load_b128 v[30:33], v1 offset:1632
	v_fma_f64 v[157:158], v[157:158], v[161:162], v[165:166]
	v_fma_f64 v[155:156], v[155:156], v[161:162], -v[163:164]
	s_wait_loadcnt_dscnt 0x601
	v_mul_f64_e32 v[167:168], v[2:3], v[40:41]
	v_mul_f64_e32 v[40:41], v[4:5], v[40:41]
	v_add_f64_e32 v[34:35], v[36:37], v[34:35]
	v_add_f64_e32 v[36:37], v[159:160], v[169:170]
	s_wait_loadcnt_dscnt 0x500
	v_mul_f64_e32 v[159:160], v[30:31], v[8:9]
	v_mul_f64_e32 v[8:9], v[32:33], v[8:9]
	v_fma_f64 v[161:162], v[4:5], v[38:39], v[167:168]
	v_fma_f64 v[38:39], v[2:3], v[38:39], -v[40:41]
	v_add_f64_e32 v[40:41], v[34:35], v[155:156]
	v_add_f64_e32 v[155:156], v[36:37], v[157:158]
	ds_load_b128 v[2:5], v1 offset:1648
	ds_load_b128 v[34:37], v1 offset:1664
	v_fma_f64 v[32:33], v[32:33], v[6:7], v[159:160]
	v_fma_f64 v[6:7], v[30:31], v[6:7], -v[8:9]
	s_wait_loadcnt_dscnt 0x401
	v_mul_f64_e32 v[157:158], v[2:3], v[12:13]
	v_mul_f64_e32 v[12:13], v[4:5], v[12:13]
	v_add_f64_e32 v[8:9], v[40:41], v[38:39]
	v_add_f64_e32 v[30:31], v[155:156], v[161:162]
	s_wait_loadcnt_dscnt 0x300
	v_mul_f64_e32 v[38:39], v[34:35], v[16:17]
	v_mul_f64_e32 v[16:17], v[36:37], v[16:17]
	v_fma_f64 v[40:41], v[4:5], v[10:11], v[157:158]
	v_fma_f64 v[10:11], v[2:3], v[10:11], -v[12:13]
	v_add_f64_e32 v[12:13], v[8:9], v[6:7]
	v_add_f64_e32 v[30:31], v[30:31], v[32:33]
	ds_load_b128 v[2:5], v1 offset:1680
	ds_load_b128 v[6:9], v1 offset:1696
	v_fma_f64 v[36:37], v[36:37], v[14:15], v[38:39]
	v_fma_f64 v[14:15], v[34:35], v[14:15], -v[16:17]
	s_wait_loadcnt_dscnt 0x201
	v_mul_f64_e32 v[32:33], v[2:3], v[20:21]
	v_mul_f64_e32 v[20:21], v[4:5], v[20:21]
	s_wait_loadcnt_dscnt 0x100
	v_mul_f64_e32 v[16:17], v[6:7], v[24:25]
	v_mul_f64_e32 v[24:25], v[8:9], v[24:25]
	v_add_f64_e32 v[10:11], v[12:13], v[10:11]
	v_add_f64_e32 v[12:13], v[30:31], v[40:41]
	v_fma_f64 v[30:31], v[4:5], v[18:19], v[32:33]
	v_fma_f64 v[18:19], v[2:3], v[18:19], -v[20:21]
	ds_load_b128 v[2:5], v1 offset:1712
	v_fma_f64 v[8:9], v[8:9], v[22:23], v[16:17]
	v_fma_f64 v[6:7], v[6:7], v[22:23], -v[24:25]
	v_add_f64_e32 v[10:11], v[10:11], v[14:15]
	v_add_f64_e32 v[12:13], v[12:13], v[36:37]
	s_wait_loadcnt_dscnt 0x0
	v_mul_f64_e32 v[14:15], v[2:3], v[28:29]
	v_mul_f64_e32 v[20:21], v[4:5], v[28:29]
	s_delay_alu instid0(VALU_DEP_4) | instskip(NEXT) | instid1(VALU_DEP_4)
	v_add_f64_e32 v[10:11], v[10:11], v[18:19]
	v_add_f64_e32 v[12:13], v[12:13], v[30:31]
	s_delay_alu instid0(VALU_DEP_4) | instskip(NEXT) | instid1(VALU_DEP_4)
	v_fma_f64 v[4:5], v[4:5], v[26:27], v[14:15]
	v_fma_f64 v[2:3], v[2:3], v[26:27], -v[20:21]
	s_delay_alu instid0(VALU_DEP_4) | instskip(NEXT) | instid1(VALU_DEP_4)
	v_add_f64_e32 v[6:7], v[10:11], v[6:7]
	v_add_f64_e32 v[8:9], v[12:13], v[8:9]
	s_delay_alu instid0(VALU_DEP_2) | instskip(NEXT) | instid1(VALU_DEP_2)
	v_add_f64_e32 v[2:3], v[6:7], v[2:3]
	v_add_f64_e32 v[4:5], v[8:9], v[4:5]
	s_delay_alu instid0(VALU_DEP_2) | instskip(NEXT) | instid1(VALU_DEP_2)
	v_add_f64_e64 v[2:3], v[42:43], -v[2:3]
	v_add_f64_e64 v[4:5], v[44:45], -v[4:5]
	scratch_store_b128 off, v[2:5], off offset:112
	v_cmpx_lt_u32_e32 5, v0
	s_cbranch_execz .LBB117_327
; %bb.326:
	scratch_load_b128 v[5:8], off, s62
	v_dual_mov_b32 v2, v1 :: v_dual_mov_b32 v3, v1
	v_mov_b32_e32 v4, v1
	scratch_store_b128 off, v[1:4], off offset:96
	s_wait_loadcnt 0x0
	ds_store_b128 v154, v[5:8]
.LBB117_327:
	s_wait_alu 0xfffe
	s_or_b32 exec_lo, exec_lo, s0
	s_wait_storecnt_dscnt 0x0
	s_barrier_signal -1
	s_barrier_wait -1
	global_inv scope:SCOPE_SE
	s_clause 0x8
	scratch_load_b128 v[2:5], off, off offset:112
	scratch_load_b128 v[6:9], off, off offset:128
	;; [unrolled: 1-line block ×9, first 2 shown]
	ds_load_b128 v[42:45], v1 offset:960
	ds_load_b128 v[38:41], v1 offset:976
	s_clause 0x1
	scratch_load_b128 v[155:158], off, off offset:96
	scratch_load_b128 v[159:162], off, off offset:256
	s_mov_b32 s0, exec_lo
	s_wait_loadcnt_dscnt 0xa01
	v_mul_f64_e32 v[163:164], v[44:45], v[4:5]
	v_mul_f64_e32 v[4:5], v[42:43], v[4:5]
	s_wait_loadcnt_dscnt 0x900
	v_mul_f64_e32 v[167:168], v[38:39], v[8:9]
	v_mul_f64_e32 v[8:9], v[40:41], v[8:9]
	s_delay_alu instid0(VALU_DEP_4) | instskip(NEXT) | instid1(VALU_DEP_4)
	v_fma_f64 v[169:170], v[42:43], v[2:3], -v[163:164]
	v_fma_f64 v[171:172], v[44:45], v[2:3], v[4:5]
	ds_load_b128 v[2:5], v1 offset:992
	ds_load_b128 v[163:166], v1 offset:1008
	scratch_load_b128 v[42:45], off, off offset:272
	v_fma_f64 v[40:41], v[40:41], v[6:7], v[167:168]
	v_fma_f64 v[38:39], v[38:39], v[6:7], -v[8:9]
	scratch_load_b128 v[6:9], off, off offset:288
	s_wait_loadcnt_dscnt 0xa01
	v_mul_f64_e32 v[173:174], v[2:3], v[12:13]
	v_mul_f64_e32 v[12:13], v[4:5], v[12:13]
	v_add_f64_e32 v[167:168], 0, v[169:170]
	v_add_f64_e32 v[169:170], 0, v[171:172]
	s_wait_loadcnt_dscnt 0x900
	v_mul_f64_e32 v[171:172], v[163:164], v[16:17]
	v_mul_f64_e32 v[16:17], v[165:166], v[16:17]
	v_fma_f64 v[173:174], v[4:5], v[10:11], v[173:174]
	v_fma_f64 v[175:176], v[2:3], v[10:11], -v[12:13]
	ds_load_b128 v[2:5], v1 offset:1024
	scratch_load_b128 v[10:13], off, off offset:304
	v_add_f64_e32 v[167:168], v[167:168], v[38:39]
	v_add_f64_e32 v[169:170], v[169:170], v[40:41]
	ds_load_b128 v[38:41], v1 offset:1040
	v_fma_f64 v[165:166], v[165:166], v[14:15], v[171:172]
	v_fma_f64 v[163:164], v[163:164], v[14:15], -v[16:17]
	scratch_load_b128 v[14:17], off, off offset:320
	s_wait_loadcnt_dscnt 0xa01
	v_mul_f64_e32 v[177:178], v[2:3], v[20:21]
	v_mul_f64_e32 v[20:21], v[4:5], v[20:21]
	s_wait_loadcnt_dscnt 0x900
	v_mul_f64_e32 v[171:172], v[38:39], v[24:25]
	v_mul_f64_e32 v[24:25], v[40:41], v[24:25]
	v_add_f64_e32 v[167:168], v[167:168], v[175:176]
	v_add_f64_e32 v[169:170], v[169:170], v[173:174]
	v_fma_f64 v[173:174], v[4:5], v[18:19], v[177:178]
	v_fma_f64 v[175:176], v[2:3], v[18:19], -v[20:21]
	ds_load_b128 v[2:5], v1 offset:1056
	scratch_load_b128 v[18:21], off, off offset:336
	v_fma_f64 v[40:41], v[40:41], v[22:23], v[171:172]
	v_fma_f64 v[38:39], v[38:39], v[22:23], -v[24:25]
	scratch_load_b128 v[22:25], off, off offset:352
	v_add_f64_e32 v[167:168], v[167:168], v[163:164]
	v_add_f64_e32 v[169:170], v[169:170], v[165:166]
	ds_load_b128 v[163:166], v1 offset:1072
	s_wait_loadcnt_dscnt 0xa01
	v_mul_f64_e32 v[177:178], v[2:3], v[28:29]
	v_mul_f64_e32 v[28:29], v[4:5], v[28:29]
	s_wait_loadcnt_dscnt 0x900
	v_mul_f64_e32 v[171:172], v[163:164], v[32:33]
	v_mul_f64_e32 v[32:33], v[165:166], v[32:33]
	v_add_f64_e32 v[167:168], v[167:168], v[175:176]
	v_add_f64_e32 v[169:170], v[169:170], v[173:174]
	v_fma_f64 v[173:174], v[4:5], v[26:27], v[177:178]
	v_fma_f64 v[175:176], v[2:3], v[26:27], -v[28:29]
	ds_load_b128 v[2:5], v1 offset:1088
	scratch_load_b128 v[26:29], off, off offset:368
	v_fma_f64 v[165:166], v[165:166], v[30:31], v[171:172]
	v_fma_f64 v[163:164], v[163:164], v[30:31], -v[32:33]
	scratch_load_b128 v[30:33], off, off offset:384
	v_add_f64_e32 v[167:168], v[167:168], v[38:39]
	v_add_f64_e32 v[169:170], v[169:170], v[40:41]
	ds_load_b128 v[38:41], v1 offset:1104
	s_wait_loadcnt_dscnt 0xa01
	v_mul_f64_e32 v[177:178], v[2:3], v[36:37]
	v_mul_f64_e32 v[36:37], v[4:5], v[36:37]
	s_wait_loadcnt_dscnt 0x800
	v_mul_f64_e32 v[171:172], v[38:39], v[161:162]
	v_add_f64_e32 v[167:168], v[167:168], v[175:176]
	v_add_f64_e32 v[169:170], v[169:170], v[173:174]
	v_mul_f64_e32 v[173:174], v[40:41], v[161:162]
	v_fma_f64 v[175:176], v[4:5], v[34:35], v[177:178]
	v_fma_f64 v[177:178], v[2:3], v[34:35], -v[36:37]
	ds_load_b128 v[2:5], v1 offset:1120
	scratch_load_b128 v[34:37], off, off offset:400
	v_fma_f64 v[171:172], v[40:41], v[159:160], v[171:172]
	v_add_f64_e32 v[167:168], v[167:168], v[163:164]
	v_add_f64_e32 v[165:166], v[169:170], v[165:166]
	ds_load_b128 v[161:164], v1 offset:1136
	v_fma_f64 v[159:160], v[38:39], v[159:160], -v[173:174]
	scratch_load_b128 v[38:41], off, off offset:416
	s_wait_loadcnt_dscnt 0x901
	v_mul_f64_e32 v[169:170], v[2:3], v[44:45]
	v_mul_f64_e32 v[44:45], v[4:5], v[44:45]
	s_wait_loadcnt_dscnt 0x800
	v_mul_f64_e32 v[173:174], v[161:162], v[8:9]
	v_mul_f64_e32 v[8:9], v[163:164], v[8:9]
	v_add_f64_e32 v[167:168], v[167:168], v[177:178]
	v_add_f64_e32 v[165:166], v[165:166], v[175:176]
	v_fma_f64 v[169:170], v[4:5], v[42:43], v[169:170]
	v_fma_f64 v[175:176], v[2:3], v[42:43], -v[44:45]
	ds_load_b128 v[2:5], v1 offset:1152
	scratch_load_b128 v[42:45], off, off offset:432
	v_fma_f64 v[163:164], v[163:164], v[6:7], v[173:174]
	v_fma_f64 v[161:162], v[161:162], v[6:7], -v[8:9]
	scratch_load_b128 v[6:9], off, off offset:448
	v_add_f64_e32 v[159:160], v[167:168], v[159:160]
	v_add_f64_e32 v[171:172], v[165:166], v[171:172]
	ds_load_b128 v[165:168], v1 offset:1168
	s_wait_loadcnt_dscnt 0x901
	v_mul_f64_e32 v[177:178], v[2:3], v[12:13]
	v_mul_f64_e32 v[12:13], v[4:5], v[12:13]
	v_add_f64_e32 v[159:160], v[159:160], v[175:176]
	v_add_f64_e32 v[169:170], v[171:172], v[169:170]
	s_wait_loadcnt_dscnt 0x800
	v_mul_f64_e32 v[171:172], v[165:166], v[16:17]
	v_mul_f64_e32 v[16:17], v[167:168], v[16:17]
	v_fma_f64 v[173:174], v[4:5], v[10:11], v[177:178]
	v_fma_f64 v[175:176], v[2:3], v[10:11], -v[12:13]
	ds_load_b128 v[2:5], v1 offset:1184
	scratch_load_b128 v[10:13], off, off offset:464
	v_add_f64_e32 v[177:178], v[159:160], v[161:162]
	v_add_f64_e32 v[163:164], v[169:170], v[163:164]
	ds_load_b128 v[159:162], v1 offset:1200
	s_wait_loadcnt_dscnt 0x801
	v_mul_f64_e32 v[169:170], v[2:3], v[20:21]
	v_mul_f64_e32 v[20:21], v[4:5], v[20:21]
	v_fma_f64 v[167:168], v[167:168], v[14:15], v[171:172]
	v_fma_f64 v[165:166], v[165:166], v[14:15], -v[16:17]
	scratch_load_b128 v[14:17], off, off offset:480
	v_add_f64_e32 v[171:172], v[177:178], v[175:176]
	v_add_f64_e32 v[163:164], v[163:164], v[173:174]
	s_wait_loadcnt_dscnt 0x800
	v_mul_f64_e32 v[173:174], v[159:160], v[24:25]
	v_mul_f64_e32 v[24:25], v[161:162], v[24:25]
	v_fma_f64 v[169:170], v[4:5], v[18:19], v[169:170]
	v_fma_f64 v[175:176], v[2:3], v[18:19], -v[20:21]
	ds_load_b128 v[2:5], v1 offset:1216
	scratch_load_b128 v[18:21], off, off offset:496
	v_add_f64_e32 v[171:172], v[171:172], v[165:166]
	v_add_f64_e32 v[167:168], v[163:164], v[167:168]
	ds_load_b128 v[163:166], v1 offset:1232
	s_wait_loadcnt_dscnt 0x801
	v_mul_f64_e32 v[177:178], v[2:3], v[28:29]
	v_mul_f64_e32 v[28:29], v[4:5], v[28:29]
	v_fma_f64 v[161:162], v[161:162], v[22:23], v[173:174]
	v_fma_f64 v[159:160], v[159:160], v[22:23], -v[24:25]
	scratch_load_b128 v[22:25], off, off offset:512
	;; [unrolled: 18-line block ×4, first 2 shown]
	s_wait_loadcnt_dscnt 0x800
	v_mul_f64_e32 v[171:172], v[163:164], v[8:9]
	v_mul_f64_e32 v[8:9], v[165:166], v[8:9]
	v_add_f64_e32 v[169:170], v[169:170], v[175:176]
	v_add_f64_e32 v[167:168], v[167:168], v[173:174]
	v_fma_f64 v[173:174], v[4:5], v[42:43], v[177:178]
	v_fma_f64 v[175:176], v[2:3], v[42:43], -v[44:45]
	ds_load_b128 v[2:5], v1 offset:1312
	scratch_load_b128 v[42:45], off, off offset:592
	v_fma_f64 v[165:166], v[165:166], v[6:7], v[171:172]
	v_fma_f64 v[163:164], v[163:164], v[6:7], -v[8:9]
	scratch_load_b128 v[6:9], off, off offset:608
	v_add_f64_e32 v[169:170], v[169:170], v[159:160]
	v_add_f64_e32 v[167:168], v[167:168], v[161:162]
	ds_load_b128 v[159:162], v1 offset:1328
	s_wait_loadcnt_dscnt 0x901
	v_mul_f64_e32 v[177:178], v[2:3], v[12:13]
	v_mul_f64_e32 v[12:13], v[4:5], v[12:13]
	s_wait_loadcnt_dscnt 0x800
	v_mul_f64_e32 v[171:172], v[159:160], v[16:17]
	v_mul_f64_e32 v[16:17], v[161:162], v[16:17]
	v_add_f64_e32 v[169:170], v[169:170], v[175:176]
	v_add_f64_e32 v[167:168], v[167:168], v[173:174]
	v_fma_f64 v[173:174], v[4:5], v[10:11], v[177:178]
	v_fma_f64 v[175:176], v[2:3], v[10:11], -v[12:13]
	ds_load_b128 v[2:5], v1 offset:1344
	scratch_load_b128 v[10:13], off, off offset:624
	v_fma_f64 v[161:162], v[161:162], v[14:15], v[171:172]
	v_fma_f64 v[159:160], v[159:160], v[14:15], -v[16:17]
	scratch_load_b128 v[14:17], off, off offset:640
	v_add_f64_e32 v[169:170], v[169:170], v[163:164]
	v_add_f64_e32 v[167:168], v[167:168], v[165:166]
	ds_load_b128 v[163:166], v1 offset:1360
	s_wait_loadcnt_dscnt 0x901
	v_mul_f64_e32 v[177:178], v[2:3], v[20:21]
	v_mul_f64_e32 v[20:21], v[4:5], v[20:21]
	;; [unrolled: 18-line block ×9, first 2 shown]
	s_wait_loadcnt_dscnt 0x800
	v_mul_f64_e32 v[171:172], v[159:160], v[40:41]
	v_mul_f64_e32 v[40:41], v[161:162], v[40:41]
	v_add_f64_e32 v[169:170], v[169:170], v[175:176]
	v_add_f64_e32 v[167:168], v[167:168], v[173:174]
	v_fma_f64 v[173:174], v[4:5], v[34:35], v[177:178]
	v_fma_f64 v[175:176], v[2:3], v[34:35], -v[36:37]
	ds_load_b128 v[2:5], v1 offset:1600
	ds_load_b128 v[34:37], v1 offset:1616
	v_fma_f64 v[161:162], v[161:162], v[38:39], v[171:172]
	v_fma_f64 v[38:39], v[159:160], v[38:39], -v[40:41]
	v_add_f64_e32 v[163:164], v[169:170], v[163:164]
	v_add_f64_e32 v[165:166], v[167:168], v[165:166]
	s_wait_loadcnt_dscnt 0x701
	v_mul_f64_e32 v[167:168], v[2:3], v[44:45]
	v_mul_f64_e32 v[44:45], v[4:5], v[44:45]
	s_delay_alu instid0(VALU_DEP_4) | instskip(NEXT) | instid1(VALU_DEP_4)
	v_add_f64_e32 v[40:41], v[163:164], v[175:176]
	v_add_f64_e32 v[159:160], v[165:166], v[173:174]
	s_wait_loadcnt_dscnt 0x600
	v_mul_f64_e32 v[163:164], v[34:35], v[8:9]
	v_mul_f64_e32 v[8:9], v[36:37], v[8:9]
	v_fma_f64 v[165:166], v[4:5], v[42:43], v[167:168]
	v_fma_f64 v[42:43], v[2:3], v[42:43], -v[44:45]
	v_add_f64_e32 v[44:45], v[40:41], v[38:39]
	v_add_f64_e32 v[159:160], v[159:160], v[161:162]
	ds_load_b128 v[2:5], v1 offset:1632
	ds_load_b128 v[38:41], v1 offset:1648
	v_fma_f64 v[36:37], v[36:37], v[6:7], v[163:164]
	v_fma_f64 v[6:7], v[34:35], v[6:7], -v[8:9]
	s_wait_loadcnt_dscnt 0x501
	v_mul_f64_e32 v[161:162], v[2:3], v[12:13]
	v_mul_f64_e32 v[12:13], v[4:5], v[12:13]
	v_add_f64_e32 v[8:9], v[44:45], v[42:43]
	v_add_f64_e32 v[34:35], v[159:160], v[165:166]
	s_wait_loadcnt_dscnt 0x400
	v_mul_f64_e32 v[42:43], v[38:39], v[16:17]
	v_mul_f64_e32 v[16:17], v[40:41], v[16:17]
	v_fma_f64 v[44:45], v[4:5], v[10:11], v[161:162]
	v_fma_f64 v[10:11], v[2:3], v[10:11], -v[12:13]
	v_add_f64_e32 v[12:13], v[8:9], v[6:7]
	v_add_f64_e32 v[34:35], v[34:35], v[36:37]
	ds_load_b128 v[2:5], v1 offset:1664
	ds_load_b128 v[6:9], v1 offset:1680
	v_fma_f64 v[40:41], v[40:41], v[14:15], v[42:43]
	v_fma_f64 v[14:15], v[38:39], v[14:15], -v[16:17]
	s_wait_loadcnt_dscnt 0x301
	v_mul_f64_e32 v[36:37], v[2:3], v[20:21]
	v_mul_f64_e32 v[20:21], v[4:5], v[20:21]
	s_wait_loadcnt_dscnt 0x200
	v_mul_f64_e32 v[16:17], v[6:7], v[24:25]
	v_mul_f64_e32 v[24:25], v[8:9], v[24:25]
	v_add_f64_e32 v[10:11], v[12:13], v[10:11]
	v_add_f64_e32 v[12:13], v[34:35], v[44:45]
	v_fma_f64 v[34:35], v[4:5], v[18:19], v[36:37]
	v_fma_f64 v[18:19], v[2:3], v[18:19], -v[20:21]
	v_fma_f64 v[8:9], v[8:9], v[22:23], v[16:17]
	v_fma_f64 v[6:7], v[6:7], v[22:23], -v[24:25]
	v_add_f64_e32 v[14:15], v[10:11], v[14:15]
	v_add_f64_e32 v[20:21], v[12:13], v[40:41]
	ds_load_b128 v[2:5], v1 offset:1696
	ds_load_b128 v[10:13], v1 offset:1712
	s_wait_loadcnt_dscnt 0x101
	v_mul_f64_e32 v[36:37], v[2:3], v[28:29]
	v_mul_f64_e32 v[28:29], v[4:5], v[28:29]
	v_add_f64_e32 v[14:15], v[14:15], v[18:19]
	v_add_f64_e32 v[16:17], v[20:21], v[34:35]
	s_wait_loadcnt_dscnt 0x0
	v_mul_f64_e32 v[18:19], v[10:11], v[32:33]
	v_mul_f64_e32 v[20:21], v[12:13], v[32:33]
	v_fma_f64 v[4:5], v[4:5], v[26:27], v[36:37]
	v_fma_f64 v[1:2], v[2:3], v[26:27], -v[28:29]
	v_add_f64_e32 v[6:7], v[14:15], v[6:7]
	v_add_f64_e32 v[8:9], v[16:17], v[8:9]
	v_fma_f64 v[12:13], v[12:13], v[30:31], v[18:19]
	v_fma_f64 v[10:11], v[10:11], v[30:31], -v[20:21]
	s_delay_alu instid0(VALU_DEP_4) | instskip(NEXT) | instid1(VALU_DEP_4)
	v_add_f64_e32 v[1:2], v[6:7], v[1:2]
	v_add_f64_e32 v[3:4], v[8:9], v[4:5]
	s_delay_alu instid0(VALU_DEP_2) | instskip(NEXT) | instid1(VALU_DEP_2)
	v_add_f64_e32 v[1:2], v[1:2], v[10:11]
	v_add_f64_e32 v[3:4], v[3:4], v[12:13]
	s_delay_alu instid0(VALU_DEP_2) | instskip(NEXT) | instid1(VALU_DEP_2)
	v_add_f64_e64 v[1:2], v[155:156], -v[1:2]
	v_add_f64_e64 v[3:4], v[157:158], -v[3:4]
	scratch_store_b128 off, v[1:4], off offset:96
	v_cmpx_lt_u32_e32 4, v0
	s_cbranch_execz .LBB117_329
; %bb.328:
	scratch_load_b128 v[1:4], off, s4
	v_mov_b32_e32 v5, 0
	s_delay_alu instid0(VALU_DEP_1)
	v_dual_mov_b32 v6, v5 :: v_dual_mov_b32 v7, v5
	v_mov_b32_e32 v8, v5
	scratch_store_b128 off, v[5:8], off offset:80
	s_wait_loadcnt 0x0
	ds_store_b128 v154, v[1:4]
.LBB117_329:
	s_wait_alu 0xfffe
	s_or_b32 exec_lo, exec_lo, s0
	s_wait_storecnt_dscnt 0x0
	s_barrier_signal -1
	s_barrier_wait -1
	global_inv scope:SCOPE_SE
	s_clause 0x7
	scratch_load_b128 v[2:5], off, off offset:96
	scratch_load_b128 v[6:9], off, off offset:112
	;; [unrolled: 1-line block ×8, first 2 shown]
	v_mov_b32_e32 v1, 0
	s_mov_b32 s0, exec_lo
	ds_load_b128 v[38:41], v1 offset:944
	s_clause 0x1
	scratch_load_b128 v[34:37], off, off offset:224
	scratch_load_b128 v[42:45], off, off offset:80
	ds_load_b128 v[155:158], v1 offset:960
	scratch_load_b128 v[159:162], off, off offset:240
	s_wait_loadcnt_dscnt 0xa01
	v_mul_f64_e32 v[163:164], v[40:41], v[4:5]
	v_mul_f64_e32 v[4:5], v[38:39], v[4:5]
	s_delay_alu instid0(VALU_DEP_2) | instskip(NEXT) | instid1(VALU_DEP_2)
	v_fma_f64 v[169:170], v[38:39], v[2:3], -v[163:164]
	v_fma_f64 v[171:172], v[40:41], v[2:3], v[4:5]
	ds_load_b128 v[2:5], v1 offset:976
	s_wait_loadcnt_dscnt 0x901
	v_mul_f64_e32 v[167:168], v[155:156], v[8:9]
	v_mul_f64_e32 v[8:9], v[157:158], v[8:9]
	scratch_load_b128 v[38:41], off, off offset:256
	ds_load_b128 v[163:166], v1 offset:992
	s_wait_loadcnt_dscnt 0x901
	v_mul_f64_e32 v[173:174], v[2:3], v[12:13]
	v_mul_f64_e32 v[12:13], v[4:5], v[12:13]
	v_fma_f64 v[157:158], v[157:158], v[6:7], v[167:168]
	v_fma_f64 v[155:156], v[155:156], v[6:7], -v[8:9]
	v_add_f64_e32 v[167:168], 0, v[169:170]
	v_add_f64_e32 v[169:170], 0, v[171:172]
	scratch_load_b128 v[6:9], off, off offset:272
	v_fma_f64 v[173:174], v[4:5], v[10:11], v[173:174]
	v_fma_f64 v[175:176], v[2:3], v[10:11], -v[12:13]
	ds_load_b128 v[2:5], v1 offset:1008
	s_wait_loadcnt_dscnt 0x901
	v_mul_f64_e32 v[171:172], v[163:164], v[16:17]
	v_mul_f64_e32 v[16:17], v[165:166], v[16:17]
	scratch_load_b128 v[10:13], off, off offset:288
	v_add_f64_e32 v[167:168], v[167:168], v[155:156]
	v_add_f64_e32 v[169:170], v[169:170], v[157:158]
	s_wait_loadcnt_dscnt 0x900
	v_mul_f64_e32 v[177:178], v[2:3], v[20:21]
	v_mul_f64_e32 v[20:21], v[4:5], v[20:21]
	ds_load_b128 v[155:158], v1 offset:1024
	v_fma_f64 v[165:166], v[165:166], v[14:15], v[171:172]
	v_fma_f64 v[163:164], v[163:164], v[14:15], -v[16:17]
	scratch_load_b128 v[14:17], off, off offset:304
	v_add_f64_e32 v[167:168], v[167:168], v[175:176]
	v_add_f64_e32 v[169:170], v[169:170], v[173:174]
	v_fma_f64 v[173:174], v[4:5], v[18:19], v[177:178]
	v_fma_f64 v[175:176], v[2:3], v[18:19], -v[20:21]
	ds_load_b128 v[2:5], v1 offset:1040
	s_wait_loadcnt_dscnt 0x901
	v_mul_f64_e32 v[171:172], v[155:156], v[24:25]
	v_mul_f64_e32 v[24:25], v[157:158], v[24:25]
	scratch_load_b128 v[18:21], off, off offset:320
	s_wait_loadcnt_dscnt 0x900
	v_mul_f64_e32 v[177:178], v[2:3], v[28:29]
	v_mul_f64_e32 v[28:29], v[4:5], v[28:29]
	v_add_f64_e32 v[167:168], v[167:168], v[163:164]
	v_add_f64_e32 v[169:170], v[169:170], v[165:166]
	ds_load_b128 v[163:166], v1 offset:1056
	v_fma_f64 v[157:158], v[157:158], v[22:23], v[171:172]
	v_fma_f64 v[155:156], v[155:156], v[22:23], -v[24:25]
	scratch_load_b128 v[22:25], off, off offset:336
	v_add_f64_e32 v[167:168], v[167:168], v[175:176]
	v_add_f64_e32 v[169:170], v[169:170], v[173:174]
	v_fma_f64 v[173:174], v[4:5], v[26:27], v[177:178]
	v_fma_f64 v[175:176], v[2:3], v[26:27], -v[28:29]
	ds_load_b128 v[2:5], v1 offset:1072
	s_wait_loadcnt_dscnt 0x901
	v_mul_f64_e32 v[171:172], v[163:164], v[32:33]
	v_mul_f64_e32 v[32:33], v[165:166], v[32:33]
	scratch_load_b128 v[26:29], off, off offset:352
	s_wait_loadcnt_dscnt 0x900
	v_mul_f64_e32 v[177:178], v[2:3], v[36:37]
	v_mul_f64_e32 v[36:37], v[4:5], v[36:37]
	v_add_f64_e32 v[167:168], v[167:168], v[155:156]
	v_add_f64_e32 v[169:170], v[169:170], v[157:158]
	ds_load_b128 v[155:158], v1 offset:1088
	v_fma_f64 v[165:166], v[165:166], v[30:31], v[171:172]
	v_fma_f64 v[163:164], v[163:164], v[30:31], -v[32:33]
	scratch_load_b128 v[30:33], off, off offset:368
	v_add_f64_e32 v[167:168], v[167:168], v[175:176]
	v_add_f64_e32 v[169:170], v[169:170], v[173:174]
	v_fma_f64 v[175:176], v[4:5], v[34:35], v[177:178]
	v_fma_f64 v[177:178], v[2:3], v[34:35], -v[36:37]
	ds_load_b128 v[2:5], v1 offset:1104
	s_wait_loadcnt_dscnt 0x801
	v_mul_f64_e32 v[171:172], v[155:156], v[161:162]
	v_mul_f64_e32 v[173:174], v[157:158], v[161:162]
	scratch_load_b128 v[34:37], off, off offset:384
	v_add_f64_e32 v[167:168], v[167:168], v[163:164]
	v_add_f64_e32 v[165:166], v[169:170], v[165:166]
	ds_load_b128 v[161:164], v1 offset:1120
	v_fma_f64 v[171:172], v[157:158], v[159:160], v[171:172]
	v_fma_f64 v[159:160], v[155:156], v[159:160], -v[173:174]
	scratch_load_b128 v[155:158], off, off offset:400
	s_wait_loadcnt_dscnt 0x901
	v_mul_f64_e32 v[169:170], v[2:3], v[40:41]
	v_mul_f64_e32 v[40:41], v[4:5], v[40:41]
	v_add_f64_e32 v[167:168], v[167:168], v[177:178]
	v_add_f64_e32 v[165:166], v[165:166], v[175:176]
	s_delay_alu instid0(VALU_DEP_4) | instskip(NEXT) | instid1(VALU_DEP_4)
	v_fma_f64 v[169:170], v[4:5], v[38:39], v[169:170]
	v_fma_f64 v[175:176], v[2:3], v[38:39], -v[40:41]
	ds_load_b128 v[2:5], v1 offset:1136
	s_wait_loadcnt_dscnt 0x801
	v_mul_f64_e32 v[173:174], v[161:162], v[8:9]
	v_mul_f64_e32 v[8:9], v[163:164], v[8:9]
	scratch_load_b128 v[38:41], off, off offset:416
	s_wait_loadcnt_dscnt 0x800
	v_mul_f64_e32 v[177:178], v[2:3], v[12:13]
	v_add_f64_e32 v[159:160], v[167:168], v[159:160]
	v_add_f64_e32 v[171:172], v[165:166], v[171:172]
	v_mul_f64_e32 v[12:13], v[4:5], v[12:13]
	ds_load_b128 v[165:168], v1 offset:1152
	v_fma_f64 v[163:164], v[163:164], v[6:7], v[173:174]
	v_fma_f64 v[161:162], v[161:162], v[6:7], -v[8:9]
	scratch_load_b128 v[6:9], off, off offset:432
	v_fma_f64 v[173:174], v[4:5], v[10:11], v[177:178]
	v_add_f64_e32 v[159:160], v[159:160], v[175:176]
	v_add_f64_e32 v[169:170], v[171:172], v[169:170]
	v_fma_f64 v[175:176], v[2:3], v[10:11], -v[12:13]
	ds_load_b128 v[2:5], v1 offset:1168
	s_wait_loadcnt_dscnt 0x801
	v_mul_f64_e32 v[171:172], v[165:166], v[16:17]
	v_mul_f64_e32 v[16:17], v[167:168], v[16:17]
	scratch_load_b128 v[10:13], off, off offset:448
	v_add_f64_e32 v[177:178], v[159:160], v[161:162]
	v_add_f64_e32 v[163:164], v[169:170], v[163:164]
	s_wait_loadcnt_dscnt 0x800
	v_mul_f64_e32 v[169:170], v[2:3], v[20:21]
	v_mul_f64_e32 v[20:21], v[4:5], v[20:21]
	v_fma_f64 v[167:168], v[167:168], v[14:15], v[171:172]
	v_fma_f64 v[165:166], v[165:166], v[14:15], -v[16:17]
	ds_load_b128 v[159:162], v1 offset:1184
	scratch_load_b128 v[14:17], off, off offset:464
	v_add_f64_e32 v[171:172], v[177:178], v[175:176]
	v_add_f64_e32 v[163:164], v[163:164], v[173:174]
	v_fma_f64 v[169:170], v[4:5], v[18:19], v[169:170]
	v_fma_f64 v[175:176], v[2:3], v[18:19], -v[20:21]
	ds_load_b128 v[2:5], v1 offset:1200
	s_wait_loadcnt_dscnt 0x801
	v_mul_f64_e32 v[173:174], v[159:160], v[24:25]
	v_mul_f64_e32 v[24:25], v[161:162], v[24:25]
	scratch_load_b128 v[18:21], off, off offset:480
	s_wait_loadcnt_dscnt 0x800
	v_mul_f64_e32 v[177:178], v[2:3], v[28:29]
	v_mul_f64_e32 v[28:29], v[4:5], v[28:29]
	v_add_f64_e32 v[171:172], v[171:172], v[165:166]
	v_add_f64_e32 v[167:168], v[163:164], v[167:168]
	ds_load_b128 v[163:166], v1 offset:1216
	v_fma_f64 v[161:162], v[161:162], v[22:23], v[173:174]
	v_fma_f64 v[159:160], v[159:160], v[22:23], -v[24:25]
	scratch_load_b128 v[22:25], off, off offset:496
	v_fma_f64 v[173:174], v[4:5], v[26:27], v[177:178]
	v_add_f64_e32 v[171:172], v[171:172], v[175:176]
	v_add_f64_e32 v[167:168], v[167:168], v[169:170]
	v_fma_f64 v[175:176], v[2:3], v[26:27], -v[28:29]
	ds_load_b128 v[2:5], v1 offset:1232
	s_wait_loadcnt_dscnt 0x801
	v_mul_f64_e32 v[169:170], v[163:164], v[32:33]
	v_mul_f64_e32 v[32:33], v[165:166], v[32:33]
	scratch_load_b128 v[26:29], off, off offset:512
	s_wait_loadcnt_dscnt 0x800
	v_mul_f64_e32 v[177:178], v[2:3], v[36:37]
	v_mul_f64_e32 v[36:37], v[4:5], v[36:37]
	v_add_f64_e32 v[171:172], v[171:172], v[159:160]
	v_add_f64_e32 v[167:168], v[167:168], v[161:162]
	ds_load_b128 v[159:162], v1 offset:1248
	v_fma_f64 v[165:166], v[165:166], v[30:31], v[169:170]
	v_fma_f64 v[163:164], v[163:164], v[30:31], -v[32:33]
	scratch_load_b128 v[30:33], off, off offset:528
	v_add_f64_e32 v[169:170], v[171:172], v[175:176]
	v_add_f64_e32 v[167:168], v[167:168], v[173:174]
	v_fma_f64 v[173:174], v[4:5], v[34:35], v[177:178]
	v_fma_f64 v[175:176], v[2:3], v[34:35], -v[36:37]
	ds_load_b128 v[2:5], v1 offset:1264
	s_wait_loadcnt_dscnt 0x801
	v_mul_f64_e32 v[171:172], v[159:160], v[157:158]
	v_mul_f64_e32 v[157:158], v[161:162], v[157:158]
	scratch_load_b128 v[34:37], off, off offset:544
	s_wait_loadcnt_dscnt 0x800
	v_mul_f64_e32 v[177:178], v[2:3], v[40:41]
	v_mul_f64_e32 v[40:41], v[4:5], v[40:41]
	v_add_f64_e32 v[169:170], v[169:170], v[163:164]
	v_add_f64_e32 v[167:168], v[167:168], v[165:166]
	ds_load_b128 v[163:166], v1 offset:1280
	v_fma_f64 v[161:162], v[161:162], v[155:156], v[171:172]
	v_fma_f64 v[159:160], v[159:160], v[155:156], -v[157:158]
	scratch_load_b128 v[155:158], off, off offset:560
	v_add_f64_e32 v[169:170], v[169:170], v[175:176]
	v_add_f64_e32 v[167:168], v[167:168], v[173:174]
	v_fma_f64 v[173:174], v[4:5], v[38:39], v[177:178]
	;; [unrolled: 18-line block ×6, first 2 shown]
	v_fma_f64 v[177:178], v[2:3], v[34:35], -v[36:37]
	ds_load_b128 v[2:5], v1 offset:1424
	s_wait_loadcnt_dscnt 0x801
	v_mul_f64_e32 v[171:172], v[163:164], v[157:158]
	v_mul_f64_e32 v[173:174], v[165:166], v[157:158]
	scratch_load_b128 v[34:37], off, off offset:704
	v_add_f64_e32 v[169:170], v[169:170], v[159:160]
	v_add_f64_e32 v[161:162], v[167:168], v[161:162]
	s_wait_loadcnt_dscnt 0x800
	v_mul_f64_e32 v[167:168], v[2:3], v[40:41]
	v_mul_f64_e32 v[40:41], v[4:5], v[40:41]
	ds_load_b128 v[157:160], v1 offset:1440
	v_fma_f64 v[165:166], v[165:166], v[155:156], v[171:172]
	v_fma_f64 v[155:156], v[163:164], v[155:156], -v[173:174]
	v_add_f64_e32 v[169:170], v[169:170], v[177:178]
	v_add_f64_e32 v[171:172], v[161:162], v[175:176]
	scratch_load_b128 v[161:164], off, off offset:720
	v_fma_f64 v[175:176], v[4:5], v[38:39], v[167:168]
	v_fma_f64 v[177:178], v[2:3], v[38:39], -v[40:41]
	ds_load_b128 v[2:5], v1 offset:1456
	s_wait_loadcnt_dscnt 0x801
	v_mul_f64_e32 v[173:174], v[157:158], v[8:9]
	v_mul_f64_e32 v[8:9], v[159:160], v[8:9]
	scratch_load_b128 v[38:41], off, off offset:736
	v_add_f64_e32 v[155:156], v[169:170], v[155:156]
	v_add_f64_e32 v[169:170], v[171:172], v[165:166]
	s_wait_loadcnt_dscnt 0x800
	v_mul_f64_e32 v[171:172], v[2:3], v[12:13]
	v_mul_f64_e32 v[12:13], v[4:5], v[12:13]
	ds_load_b128 v[165:168], v1 offset:1472
	v_fma_f64 v[159:160], v[159:160], v[6:7], v[173:174]
	v_fma_f64 v[157:158], v[157:158], v[6:7], -v[8:9]
	scratch_load_b128 v[6:9], off, off offset:752
	v_add_f64_e32 v[155:156], v[155:156], v[177:178]
	v_add_f64_e32 v[169:170], v[169:170], v[175:176]
	v_fma_f64 v[171:172], v[4:5], v[10:11], v[171:172]
	v_fma_f64 v[175:176], v[2:3], v[10:11], -v[12:13]
	ds_load_b128 v[2:5], v1 offset:1488
	s_wait_loadcnt_dscnt 0x801
	v_mul_f64_e32 v[173:174], v[165:166], v[16:17]
	v_mul_f64_e32 v[16:17], v[167:168], v[16:17]
	scratch_load_b128 v[10:13], off, off offset:768
	v_add_f64_e32 v[177:178], v[155:156], v[157:158]
	v_add_f64_e32 v[159:160], v[169:170], v[159:160]
	s_wait_loadcnt_dscnt 0x800
	v_mul_f64_e32 v[169:170], v[2:3], v[20:21]
	v_mul_f64_e32 v[20:21], v[4:5], v[20:21]
	ds_load_b128 v[155:158], v1 offset:1504
	v_fma_f64 v[167:168], v[167:168], v[14:15], v[173:174]
	v_fma_f64 v[165:166], v[165:166], v[14:15], -v[16:17]
	scratch_load_b128 v[14:17], off, off offset:784
	v_add_f64_e32 v[173:174], v[177:178], v[175:176]
	v_add_f64_e32 v[159:160], v[159:160], v[171:172]
	v_fma_f64 v[169:170], v[4:5], v[18:19], v[169:170]
	v_fma_f64 v[175:176], v[2:3], v[18:19], -v[20:21]
	ds_load_b128 v[2:5], v1 offset:1520
	s_wait_loadcnt_dscnt 0x801
	v_mul_f64_e32 v[171:172], v[155:156], v[24:25]
	v_mul_f64_e32 v[24:25], v[157:158], v[24:25]
	scratch_load_b128 v[18:21], off, off offset:800
	s_wait_loadcnt_dscnt 0x800
	v_mul_f64_e32 v[177:178], v[2:3], v[28:29]
	v_mul_f64_e32 v[28:29], v[4:5], v[28:29]
	v_add_f64_e32 v[173:174], v[173:174], v[165:166]
	v_add_f64_e32 v[159:160], v[159:160], v[167:168]
	ds_load_b128 v[165:168], v1 offset:1536
	v_fma_f64 v[157:158], v[157:158], v[22:23], v[171:172]
	v_fma_f64 v[155:156], v[155:156], v[22:23], -v[24:25]
	scratch_load_b128 v[22:25], off, off offset:816
	v_add_f64_e32 v[171:172], v[173:174], v[175:176]
	v_add_f64_e32 v[159:160], v[159:160], v[169:170]
	v_fma_f64 v[173:174], v[4:5], v[26:27], v[177:178]
	v_fma_f64 v[175:176], v[2:3], v[26:27], -v[28:29]
	ds_load_b128 v[2:5], v1 offset:1552
	s_wait_loadcnt_dscnt 0x801
	v_mul_f64_e32 v[169:170], v[165:166], v[32:33]
	v_mul_f64_e32 v[32:33], v[167:168], v[32:33]
	scratch_load_b128 v[26:29], off, off offset:832
	s_wait_loadcnt_dscnt 0x800
	v_mul_f64_e32 v[177:178], v[2:3], v[36:37]
	v_mul_f64_e32 v[36:37], v[4:5], v[36:37]
	v_add_f64_e32 v[171:172], v[171:172], v[155:156]
	v_add_f64_e32 v[159:160], v[159:160], v[157:158]
	ds_load_b128 v[155:158], v1 offset:1568
	v_fma_f64 v[167:168], v[167:168], v[30:31], v[169:170]
	v_fma_f64 v[165:166], v[165:166], v[30:31], -v[32:33]
	scratch_load_b128 v[30:33], off, off offset:848
	v_add_f64_e32 v[169:170], v[171:172], v[175:176]
	v_add_f64_e32 v[159:160], v[159:160], v[173:174]
	v_fma_f64 v[175:176], v[4:5], v[34:35], v[177:178]
	v_fma_f64 v[177:178], v[2:3], v[34:35], -v[36:37]
	ds_load_b128 v[2:5], v1 offset:1584
	scratch_load_b128 v[34:37], off, off offset:864
	s_wait_loadcnt_dscnt 0x901
	v_mul_f64_e32 v[171:172], v[155:156], v[163:164]
	v_mul_f64_e32 v[173:174], v[157:158], v[163:164]
	v_add_f64_e32 v[169:170], v[169:170], v[165:166]
	v_add_f64_e32 v[159:160], v[159:160], v[167:168]
	s_wait_loadcnt_dscnt 0x800
	v_mul_f64_e32 v[167:168], v[2:3], v[40:41]
	v_mul_f64_e32 v[40:41], v[4:5], v[40:41]
	ds_load_b128 v[163:166], v1 offset:1600
	v_fma_f64 v[157:158], v[157:158], v[161:162], v[171:172]
	v_fma_f64 v[155:156], v[155:156], v[161:162], -v[173:174]
	v_add_f64_e32 v[161:162], v[169:170], v[177:178]
	v_add_f64_e32 v[159:160], v[159:160], v[175:176]
	s_wait_loadcnt_dscnt 0x700
	v_mul_f64_e32 v[169:170], v[163:164], v[8:9]
	v_mul_f64_e32 v[8:9], v[165:166], v[8:9]
	v_fma_f64 v[167:168], v[4:5], v[38:39], v[167:168]
	v_fma_f64 v[171:172], v[2:3], v[38:39], -v[40:41]
	ds_load_b128 v[2:5], v1 offset:1616
	ds_load_b128 v[38:41], v1 offset:1632
	v_add_f64_e32 v[155:156], v[161:162], v[155:156]
	v_add_f64_e32 v[157:158], v[159:160], v[157:158]
	s_wait_loadcnt_dscnt 0x601
	v_mul_f64_e32 v[159:160], v[2:3], v[12:13]
	v_mul_f64_e32 v[12:13], v[4:5], v[12:13]
	v_fma_f64 v[161:162], v[165:166], v[6:7], v[169:170]
	v_fma_f64 v[6:7], v[163:164], v[6:7], -v[8:9]
	v_add_f64_e32 v[8:9], v[155:156], v[171:172]
	v_add_f64_e32 v[155:156], v[157:158], v[167:168]
	s_wait_loadcnt_dscnt 0x500
	v_mul_f64_e32 v[157:158], v[38:39], v[16:17]
	v_mul_f64_e32 v[16:17], v[40:41], v[16:17]
	v_fma_f64 v[159:160], v[4:5], v[10:11], v[159:160]
	v_fma_f64 v[10:11], v[2:3], v[10:11], -v[12:13]
	v_add_f64_e32 v[12:13], v[8:9], v[6:7]
	v_add_f64_e32 v[155:156], v[155:156], v[161:162]
	ds_load_b128 v[2:5], v1 offset:1648
	ds_load_b128 v[6:9], v1 offset:1664
	v_fma_f64 v[40:41], v[40:41], v[14:15], v[157:158]
	v_fma_f64 v[14:15], v[38:39], v[14:15], -v[16:17]
	s_wait_loadcnt_dscnt 0x401
	v_mul_f64_e32 v[161:162], v[2:3], v[20:21]
	v_mul_f64_e32 v[20:21], v[4:5], v[20:21]
	s_wait_loadcnt_dscnt 0x300
	v_mul_f64_e32 v[16:17], v[6:7], v[24:25]
	v_mul_f64_e32 v[24:25], v[8:9], v[24:25]
	v_add_f64_e32 v[10:11], v[12:13], v[10:11]
	v_add_f64_e32 v[12:13], v[155:156], v[159:160]
	v_fma_f64 v[38:39], v[4:5], v[18:19], v[161:162]
	v_fma_f64 v[18:19], v[2:3], v[18:19], -v[20:21]
	v_fma_f64 v[8:9], v[8:9], v[22:23], v[16:17]
	v_fma_f64 v[6:7], v[6:7], v[22:23], -v[24:25]
	v_add_f64_e32 v[14:15], v[10:11], v[14:15]
	v_add_f64_e32 v[20:21], v[12:13], v[40:41]
	ds_load_b128 v[2:5], v1 offset:1680
	ds_load_b128 v[10:13], v1 offset:1696
	s_wait_loadcnt_dscnt 0x201
	v_mul_f64_e32 v[40:41], v[2:3], v[28:29]
	v_mul_f64_e32 v[28:29], v[4:5], v[28:29]
	v_add_f64_e32 v[14:15], v[14:15], v[18:19]
	v_add_f64_e32 v[16:17], v[20:21], v[38:39]
	s_wait_loadcnt_dscnt 0x100
	v_mul_f64_e32 v[18:19], v[10:11], v[32:33]
	v_mul_f64_e32 v[20:21], v[12:13], v[32:33]
	v_fma_f64 v[22:23], v[4:5], v[26:27], v[40:41]
	v_fma_f64 v[24:25], v[2:3], v[26:27], -v[28:29]
	ds_load_b128 v[2:5], v1 offset:1712
	v_add_f64_e32 v[6:7], v[14:15], v[6:7]
	v_add_f64_e32 v[8:9], v[16:17], v[8:9]
	v_fma_f64 v[12:13], v[12:13], v[30:31], v[18:19]
	v_fma_f64 v[10:11], v[10:11], v[30:31], -v[20:21]
	s_wait_loadcnt_dscnt 0x0
	v_mul_f64_e32 v[14:15], v[2:3], v[36:37]
	v_mul_f64_e32 v[16:17], v[4:5], v[36:37]
	v_add_f64_e32 v[6:7], v[6:7], v[24:25]
	v_add_f64_e32 v[8:9], v[8:9], v[22:23]
	s_delay_alu instid0(VALU_DEP_4) | instskip(NEXT) | instid1(VALU_DEP_4)
	v_fma_f64 v[4:5], v[4:5], v[34:35], v[14:15]
	v_fma_f64 v[2:3], v[2:3], v[34:35], -v[16:17]
	s_delay_alu instid0(VALU_DEP_4) | instskip(NEXT) | instid1(VALU_DEP_4)
	v_add_f64_e32 v[6:7], v[6:7], v[10:11]
	v_add_f64_e32 v[8:9], v[8:9], v[12:13]
	s_delay_alu instid0(VALU_DEP_2) | instskip(NEXT) | instid1(VALU_DEP_2)
	v_add_f64_e32 v[2:3], v[6:7], v[2:3]
	v_add_f64_e32 v[4:5], v[8:9], v[4:5]
	s_delay_alu instid0(VALU_DEP_2) | instskip(NEXT) | instid1(VALU_DEP_2)
	v_add_f64_e64 v[2:3], v[42:43], -v[2:3]
	v_add_f64_e64 v[4:5], v[44:45], -v[4:5]
	scratch_store_b128 off, v[2:5], off offset:80
	v_cmpx_lt_u32_e32 3, v0
	s_cbranch_execz .LBB117_331
; %bb.330:
	scratch_load_b128 v[5:8], off, s10
	v_dual_mov_b32 v2, v1 :: v_dual_mov_b32 v3, v1
	v_mov_b32_e32 v4, v1
	scratch_store_b128 off, v[1:4], off offset:64
	s_wait_loadcnt 0x0
	ds_store_b128 v154, v[5:8]
.LBB117_331:
	s_wait_alu 0xfffe
	s_or_b32 exec_lo, exec_lo, s0
	s_wait_storecnt_dscnt 0x0
	s_barrier_signal -1
	s_barrier_wait -1
	global_inv scope:SCOPE_SE
	s_clause 0x8
	scratch_load_b128 v[2:5], off, off offset:80
	scratch_load_b128 v[6:9], off, off offset:96
	;; [unrolled: 1-line block ×9, first 2 shown]
	ds_load_b128 v[42:45], v1 offset:928
	ds_load_b128 v[38:41], v1 offset:944
	s_clause 0x1
	scratch_load_b128 v[155:158], off, off offset:64
	scratch_load_b128 v[159:162], off, off offset:224
	s_mov_b32 s0, exec_lo
	s_wait_loadcnt_dscnt 0xa01
	v_mul_f64_e32 v[163:164], v[44:45], v[4:5]
	v_mul_f64_e32 v[4:5], v[42:43], v[4:5]
	s_wait_loadcnt_dscnt 0x900
	v_mul_f64_e32 v[167:168], v[38:39], v[8:9]
	v_mul_f64_e32 v[8:9], v[40:41], v[8:9]
	s_delay_alu instid0(VALU_DEP_4) | instskip(NEXT) | instid1(VALU_DEP_4)
	v_fma_f64 v[169:170], v[42:43], v[2:3], -v[163:164]
	v_fma_f64 v[171:172], v[44:45], v[2:3], v[4:5]
	ds_load_b128 v[2:5], v1 offset:960
	ds_load_b128 v[163:166], v1 offset:976
	scratch_load_b128 v[42:45], off, off offset:240
	v_fma_f64 v[40:41], v[40:41], v[6:7], v[167:168]
	v_fma_f64 v[38:39], v[38:39], v[6:7], -v[8:9]
	scratch_load_b128 v[6:9], off, off offset:256
	s_wait_loadcnt_dscnt 0xa01
	v_mul_f64_e32 v[173:174], v[2:3], v[12:13]
	v_mul_f64_e32 v[12:13], v[4:5], v[12:13]
	v_add_f64_e32 v[167:168], 0, v[169:170]
	v_add_f64_e32 v[169:170], 0, v[171:172]
	s_wait_loadcnt_dscnt 0x900
	v_mul_f64_e32 v[171:172], v[163:164], v[16:17]
	v_mul_f64_e32 v[16:17], v[165:166], v[16:17]
	v_fma_f64 v[173:174], v[4:5], v[10:11], v[173:174]
	v_fma_f64 v[175:176], v[2:3], v[10:11], -v[12:13]
	ds_load_b128 v[2:5], v1 offset:992
	scratch_load_b128 v[10:13], off, off offset:272
	v_add_f64_e32 v[167:168], v[167:168], v[38:39]
	v_add_f64_e32 v[169:170], v[169:170], v[40:41]
	ds_load_b128 v[38:41], v1 offset:1008
	v_fma_f64 v[165:166], v[165:166], v[14:15], v[171:172]
	v_fma_f64 v[163:164], v[163:164], v[14:15], -v[16:17]
	scratch_load_b128 v[14:17], off, off offset:288
	s_wait_loadcnt_dscnt 0xa01
	v_mul_f64_e32 v[177:178], v[2:3], v[20:21]
	v_mul_f64_e32 v[20:21], v[4:5], v[20:21]
	s_wait_loadcnt_dscnt 0x900
	v_mul_f64_e32 v[171:172], v[38:39], v[24:25]
	v_mul_f64_e32 v[24:25], v[40:41], v[24:25]
	v_add_f64_e32 v[167:168], v[167:168], v[175:176]
	v_add_f64_e32 v[169:170], v[169:170], v[173:174]
	v_fma_f64 v[173:174], v[4:5], v[18:19], v[177:178]
	v_fma_f64 v[175:176], v[2:3], v[18:19], -v[20:21]
	ds_load_b128 v[2:5], v1 offset:1024
	scratch_load_b128 v[18:21], off, off offset:304
	v_fma_f64 v[40:41], v[40:41], v[22:23], v[171:172]
	v_fma_f64 v[38:39], v[38:39], v[22:23], -v[24:25]
	scratch_load_b128 v[22:25], off, off offset:320
	v_add_f64_e32 v[167:168], v[167:168], v[163:164]
	v_add_f64_e32 v[169:170], v[169:170], v[165:166]
	ds_load_b128 v[163:166], v1 offset:1040
	s_wait_loadcnt_dscnt 0xa01
	v_mul_f64_e32 v[177:178], v[2:3], v[28:29]
	v_mul_f64_e32 v[28:29], v[4:5], v[28:29]
	s_wait_loadcnt_dscnt 0x900
	v_mul_f64_e32 v[171:172], v[163:164], v[32:33]
	v_mul_f64_e32 v[32:33], v[165:166], v[32:33]
	v_add_f64_e32 v[167:168], v[167:168], v[175:176]
	v_add_f64_e32 v[169:170], v[169:170], v[173:174]
	v_fma_f64 v[173:174], v[4:5], v[26:27], v[177:178]
	v_fma_f64 v[175:176], v[2:3], v[26:27], -v[28:29]
	ds_load_b128 v[2:5], v1 offset:1056
	scratch_load_b128 v[26:29], off, off offset:336
	v_fma_f64 v[165:166], v[165:166], v[30:31], v[171:172]
	v_fma_f64 v[163:164], v[163:164], v[30:31], -v[32:33]
	scratch_load_b128 v[30:33], off, off offset:352
	v_add_f64_e32 v[167:168], v[167:168], v[38:39]
	v_add_f64_e32 v[169:170], v[169:170], v[40:41]
	ds_load_b128 v[38:41], v1 offset:1072
	s_wait_loadcnt_dscnt 0xa01
	v_mul_f64_e32 v[177:178], v[2:3], v[36:37]
	v_mul_f64_e32 v[36:37], v[4:5], v[36:37]
	s_wait_loadcnt_dscnt 0x800
	v_mul_f64_e32 v[171:172], v[38:39], v[161:162]
	v_add_f64_e32 v[167:168], v[167:168], v[175:176]
	v_add_f64_e32 v[169:170], v[169:170], v[173:174]
	v_mul_f64_e32 v[173:174], v[40:41], v[161:162]
	v_fma_f64 v[175:176], v[4:5], v[34:35], v[177:178]
	v_fma_f64 v[177:178], v[2:3], v[34:35], -v[36:37]
	ds_load_b128 v[2:5], v1 offset:1088
	scratch_load_b128 v[34:37], off, off offset:368
	v_fma_f64 v[171:172], v[40:41], v[159:160], v[171:172]
	v_add_f64_e32 v[167:168], v[167:168], v[163:164]
	v_add_f64_e32 v[165:166], v[169:170], v[165:166]
	ds_load_b128 v[161:164], v1 offset:1104
	v_fma_f64 v[159:160], v[38:39], v[159:160], -v[173:174]
	scratch_load_b128 v[38:41], off, off offset:384
	s_wait_loadcnt_dscnt 0x901
	v_mul_f64_e32 v[169:170], v[2:3], v[44:45]
	v_mul_f64_e32 v[44:45], v[4:5], v[44:45]
	s_wait_loadcnt_dscnt 0x800
	v_mul_f64_e32 v[173:174], v[161:162], v[8:9]
	v_mul_f64_e32 v[8:9], v[163:164], v[8:9]
	v_add_f64_e32 v[167:168], v[167:168], v[177:178]
	v_add_f64_e32 v[165:166], v[165:166], v[175:176]
	v_fma_f64 v[169:170], v[4:5], v[42:43], v[169:170]
	v_fma_f64 v[175:176], v[2:3], v[42:43], -v[44:45]
	ds_load_b128 v[2:5], v1 offset:1120
	scratch_load_b128 v[42:45], off, off offset:400
	v_fma_f64 v[163:164], v[163:164], v[6:7], v[173:174]
	v_fma_f64 v[161:162], v[161:162], v[6:7], -v[8:9]
	scratch_load_b128 v[6:9], off, off offset:416
	v_add_f64_e32 v[159:160], v[167:168], v[159:160]
	v_add_f64_e32 v[171:172], v[165:166], v[171:172]
	ds_load_b128 v[165:168], v1 offset:1136
	s_wait_loadcnt_dscnt 0x901
	v_mul_f64_e32 v[177:178], v[2:3], v[12:13]
	v_mul_f64_e32 v[12:13], v[4:5], v[12:13]
	v_add_f64_e32 v[159:160], v[159:160], v[175:176]
	v_add_f64_e32 v[169:170], v[171:172], v[169:170]
	s_wait_loadcnt_dscnt 0x800
	v_mul_f64_e32 v[171:172], v[165:166], v[16:17]
	v_mul_f64_e32 v[16:17], v[167:168], v[16:17]
	v_fma_f64 v[173:174], v[4:5], v[10:11], v[177:178]
	v_fma_f64 v[175:176], v[2:3], v[10:11], -v[12:13]
	ds_load_b128 v[2:5], v1 offset:1152
	scratch_load_b128 v[10:13], off, off offset:432
	v_add_f64_e32 v[177:178], v[159:160], v[161:162]
	v_add_f64_e32 v[163:164], v[169:170], v[163:164]
	ds_load_b128 v[159:162], v1 offset:1168
	s_wait_loadcnt_dscnt 0x801
	v_mul_f64_e32 v[169:170], v[2:3], v[20:21]
	v_mul_f64_e32 v[20:21], v[4:5], v[20:21]
	v_fma_f64 v[167:168], v[167:168], v[14:15], v[171:172]
	v_fma_f64 v[165:166], v[165:166], v[14:15], -v[16:17]
	scratch_load_b128 v[14:17], off, off offset:448
	v_add_f64_e32 v[171:172], v[177:178], v[175:176]
	v_add_f64_e32 v[163:164], v[163:164], v[173:174]
	s_wait_loadcnt_dscnt 0x800
	v_mul_f64_e32 v[173:174], v[159:160], v[24:25]
	v_mul_f64_e32 v[24:25], v[161:162], v[24:25]
	v_fma_f64 v[169:170], v[4:5], v[18:19], v[169:170]
	v_fma_f64 v[175:176], v[2:3], v[18:19], -v[20:21]
	ds_load_b128 v[2:5], v1 offset:1184
	scratch_load_b128 v[18:21], off, off offset:464
	v_add_f64_e32 v[171:172], v[171:172], v[165:166]
	v_add_f64_e32 v[167:168], v[163:164], v[167:168]
	ds_load_b128 v[163:166], v1 offset:1200
	s_wait_loadcnt_dscnt 0x801
	v_mul_f64_e32 v[177:178], v[2:3], v[28:29]
	v_mul_f64_e32 v[28:29], v[4:5], v[28:29]
	v_fma_f64 v[161:162], v[161:162], v[22:23], v[173:174]
	v_fma_f64 v[159:160], v[159:160], v[22:23], -v[24:25]
	scratch_load_b128 v[22:25], off, off offset:480
	;; [unrolled: 18-line block ×4, first 2 shown]
	s_wait_loadcnt_dscnt 0x800
	v_mul_f64_e32 v[171:172], v[163:164], v[8:9]
	v_mul_f64_e32 v[8:9], v[165:166], v[8:9]
	v_add_f64_e32 v[169:170], v[169:170], v[175:176]
	v_add_f64_e32 v[167:168], v[167:168], v[173:174]
	v_fma_f64 v[173:174], v[4:5], v[42:43], v[177:178]
	v_fma_f64 v[175:176], v[2:3], v[42:43], -v[44:45]
	ds_load_b128 v[2:5], v1 offset:1280
	scratch_load_b128 v[42:45], off, off offset:560
	v_fma_f64 v[165:166], v[165:166], v[6:7], v[171:172]
	v_fma_f64 v[163:164], v[163:164], v[6:7], -v[8:9]
	scratch_load_b128 v[6:9], off, off offset:576
	v_add_f64_e32 v[169:170], v[169:170], v[159:160]
	v_add_f64_e32 v[167:168], v[167:168], v[161:162]
	ds_load_b128 v[159:162], v1 offset:1296
	s_wait_loadcnt_dscnt 0x901
	v_mul_f64_e32 v[177:178], v[2:3], v[12:13]
	v_mul_f64_e32 v[12:13], v[4:5], v[12:13]
	s_wait_loadcnt_dscnt 0x800
	v_mul_f64_e32 v[171:172], v[159:160], v[16:17]
	v_mul_f64_e32 v[16:17], v[161:162], v[16:17]
	v_add_f64_e32 v[169:170], v[169:170], v[175:176]
	v_add_f64_e32 v[167:168], v[167:168], v[173:174]
	v_fma_f64 v[173:174], v[4:5], v[10:11], v[177:178]
	v_fma_f64 v[175:176], v[2:3], v[10:11], -v[12:13]
	ds_load_b128 v[2:5], v1 offset:1312
	scratch_load_b128 v[10:13], off, off offset:592
	v_fma_f64 v[161:162], v[161:162], v[14:15], v[171:172]
	v_fma_f64 v[159:160], v[159:160], v[14:15], -v[16:17]
	scratch_load_b128 v[14:17], off, off offset:608
	v_add_f64_e32 v[169:170], v[169:170], v[163:164]
	v_add_f64_e32 v[167:168], v[167:168], v[165:166]
	ds_load_b128 v[163:166], v1 offset:1328
	s_wait_loadcnt_dscnt 0x901
	v_mul_f64_e32 v[177:178], v[2:3], v[20:21]
	v_mul_f64_e32 v[20:21], v[4:5], v[20:21]
	;; [unrolled: 18-line block ×10, first 2 shown]
	s_wait_loadcnt_dscnt 0x800
	v_mul_f64_e32 v[171:172], v[163:164], v[8:9]
	v_mul_f64_e32 v[8:9], v[165:166], v[8:9]
	v_add_f64_e32 v[169:170], v[169:170], v[175:176]
	v_add_f64_e32 v[167:168], v[167:168], v[173:174]
	v_fma_f64 v[173:174], v[4:5], v[42:43], v[177:178]
	v_fma_f64 v[175:176], v[2:3], v[42:43], -v[44:45]
	ds_load_b128 v[2:5], v1 offset:1600
	ds_load_b128 v[42:45], v1 offset:1616
	v_fma_f64 v[165:166], v[165:166], v[6:7], v[171:172]
	v_fma_f64 v[6:7], v[163:164], v[6:7], -v[8:9]
	v_add_f64_e32 v[159:160], v[169:170], v[159:160]
	v_add_f64_e32 v[161:162], v[167:168], v[161:162]
	s_wait_loadcnt_dscnt 0x701
	v_mul_f64_e32 v[167:168], v[2:3], v[12:13]
	v_mul_f64_e32 v[12:13], v[4:5], v[12:13]
	s_delay_alu instid0(VALU_DEP_4) | instskip(NEXT) | instid1(VALU_DEP_4)
	v_add_f64_e32 v[8:9], v[159:160], v[175:176]
	v_add_f64_e32 v[159:160], v[161:162], v[173:174]
	s_wait_loadcnt_dscnt 0x600
	v_mul_f64_e32 v[161:162], v[42:43], v[16:17]
	v_mul_f64_e32 v[16:17], v[44:45], v[16:17]
	v_fma_f64 v[163:164], v[4:5], v[10:11], v[167:168]
	v_fma_f64 v[10:11], v[2:3], v[10:11], -v[12:13]
	v_add_f64_e32 v[12:13], v[8:9], v[6:7]
	v_add_f64_e32 v[159:160], v[159:160], v[165:166]
	ds_load_b128 v[2:5], v1 offset:1632
	ds_load_b128 v[6:9], v1 offset:1648
	v_fma_f64 v[44:45], v[44:45], v[14:15], v[161:162]
	v_fma_f64 v[14:15], v[42:43], v[14:15], -v[16:17]
	s_wait_loadcnt_dscnt 0x501
	v_mul_f64_e32 v[165:166], v[2:3], v[20:21]
	v_mul_f64_e32 v[20:21], v[4:5], v[20:21]
	s_wait_loadcnt_dscnt 0x400
	v_mul_f64_e32 v[16:17], v[6:7], v[24:25]
	v_mul_f64_e32 v[24:25], v[8:9], v[24:25]
	v_add_f64_e32 v[10:11], v[12:13], v[10:11]
	v_add_f64_e32 v[12:13], v[159:160], v[163:164]
	v_fma_f64 v[42:43], v[4:5], v[18:19], v[165:166]
	v_fma_f64 v[18:19], v[2:3], v[18:19], -v[20:21]
	v_fma_f64 v[8:9], v[8:9], v[22:23], v[16:17]
	v_fma_f64 v[6:7], v[6:7], v[22:23], -v[24:25]
	v_add_f64_e32 v[14:15], v[10:11], v[14:15]
	v_add_f64_e32 v[20:21], v[12:13], v[44:45]
	ds_load_b128 v[2:5], v1 offset:1664
	ds_load_b128 v[10:13], v1 offset:1680
	s_wait_loadcnt_dscnt 0x301
	v_mul_f64_e32 v[44:45], v[2:3], v[28:29]
	v_mul_f64_e32 v[28:29], v[4:5], v[28:29]
	v_add_f64_e32 v[14:15], v[14:15], v[18:19]
	v_add_f64_e32 v[16:17], v[20:21], v[42:43]
	s_wait_loadcnt_dscnt 0x200
	v_mul_f64_e32 v[18:19], v[10:11], v[32:33]
	v_mul_f64_e32 v[20:21], v[12:13], v[32:33]
	v_fma_f64 v[22:23], v[4:5], v[26:27], v[44:45]
	v_fma_f64 v[24:25], v[2:3], v[26:27], -v[28:29]
	v_add_f64_e32 v[14:15], v[14:15], v[6:7]
	v_add_f64_e32 v[16:17], v[16:17], v[8:9]
	ds_load_b128 v[2:5], v1 offset:1696
	ds_load_b128 v[6:9], v1 offset:1712
	v_fma_f64 v[12:13], v[12:13], v[30:31], v[18:19]
	v_fma_f64 v[10:11], v[10:11], v[30:31], -v[20:21]
	s_wait_loadcnt_dscnt 0x101
	v_mul_f64_e32 v[26:27], v[2:3], v[36:37]
	v_mul_f64_e32 v[28:29], v[4:5], v[36:37]
	s_wait_loadcnt_dscnt 0x0
	v_mul_f64_e32 v[18:19], v[6:7], v[40:41]
	v_mul_f64_e32 v[20:21], v[8:9], v[40:41]
	v_add_f64_e32 v[14:15], v[14:15], v[24:25]
	v_add_f64_e32 v[16:17], v[16:17], v[22:23]
	v_fma_f64 v[4:5], v[4:5], v[34:35], v[26:27]
	v_fma_f64 v[1:2], v[2:3], v[34:35], -v[28:29]
	v_fma_f64 v[8:9], v[8:9], v[38:39], v[18:19]
	v_fma_f64 v[6:7], v[6:7], v[38:39], -v[20:21]
	v_add_f64_e32 v[10:11], v[14:15], v[10:11]
	v_add_f64_e32 v[12:13], v[16:17], v[12:13]
	s_delay_alu instid0(VALU_DEP_2) | instskip(NEXT) | instid1(VALU_DEP_2)
	v_add_f64_e32 v[1:2], v[10:11], v[1:2]
	v_add_f64_e32 v[3:4], v[12:13], v[4:5]
	s_delay_alu instid0(VALU_DEP_2) | instskip(NEXT) | instid1(VALU_DEP_2)
	;; [unrolled: 3-line block ×3, first 2 shown]
	v_add_f64_e64 v[1:2], v[155:156], -v[1:2]
	v_add_f64_e64 v[3:4], v[157:158], -v[3:4]
	scratch_store_b128 off, v[1:4], off offset:64
	v_cmpx_lt_u32_e32 2, v0
	s_cbranch_execz .LBB117_333
; %bb.332:
	scratch_load_b128 v[1:4], off, s13
	v_mov_b32_e32 v5, 0
	s_delay_alu instid0(VALU_DEP_1)
	v_dual_mov_b32 v6, v5 :: v_dual_mov_b32 v7, v5
	v_mov_b32_e32 v8, v5
	scratch_store_b128 off, v[5:8], off offset:48
	s_wait_loadcnt 0x0
	ds_store_b128 v154, v[1:4]
.LBB117_333:
	s_wait_alu 0xfffe
	s_or_b32 exec_lo, exec_lo, s0
	s_wait_storecnt_dscnt 0x0
	s_barrier_signal -1
	s_barrier_wait -1
	global_inv scope:SCOPE_SE
	s_clause 0x7
	scratch_load_b128 v[2:5], off, off offset:64
	scratch_load_b128 v[6:9], off, off offset:80
	;; [unrolled: 1-line block ×8, first 2 shown]
	v_mov_b32_e32 v1, 0
	s_mov_b32 s0, exec_lo
	ds_load_b128 v[38:41], v1 offset:912
	s_clause 0x1
	scratch_load_b128 v[34:37], off, off offset:192
	scratch_load_b128 v[42:45], off, off offset:48
	ds_load_b128 v[155:158], v1 offset:928
	scratch_load_b128 v[159:162], off, off offset:208
	s_wait_loadcnt_dscnt 0xa01
	v_mul_f64_e32 v[163:164], v[40:41], v[4:5]
	v_mul_f64_e32 v[4:5], v[38:39], v[4:5]
	s_delay_alu instid0(VALU_DEP_2) | instskip(NEXT) | instid1(VALU_DEP_2)
	v_fma_f64 v[169:170], v[38:39], v[2:3], -v[163:164]
	v_fma_f64 v[171:172], v[40:41], v[2:3], v[4:5]
	ds_load_b128 v[2:5], v1 offset:944
	s_wait_loadcnt_dscnt 0x901
	v_mul_f64_e32 v[167:168], v[155:156], v[8:9]
	v_mul_f64_e32 v[8:9], v[157:158], v[8:9]
	scratch_load_b128 v[38:41], off, off offset:224
	ds_load_b128 v[163:166], v1 offset:960
	s_wait_loadcnt_dscnt 0x901
	v_mul_f64_e32 v[173:174], v[2:3], v[12:13]
	v_mul_f64_e32 v[12:13], v[4:5], v[12:13]
	v_fma_f64 v[157:158], v[157:158], v[6:7], v[167:168]
	v_fma_f64 v[155:156], v[155:156], v[6:7], -v[8:9]
	v_add_f64_e32 v[167:168], 0, v[169:170]
	v_add_f64_e32 v[169:170], 0, v[171:172]
	scratch_load_b128 v[6:9], off, off offset:240
	v_fma_f64 v[173:174], v[4:5], v[10:11], v[173:174]
	v_fma_f64 v[175:176], v[2:3], v[10:11], -v[12:13]
	ds_load_b128 v[2:5], v1 offset:976
	s_wait_loadcnt_dscnt 0x901
	v_mul_f64_e32 v[171:172], v[163:164], v[16:17]
	v_mul_f64_e32 v[16:17], v[165:166], v[16:17]
	scratch_load_b128 v[10:13], off, off offset:256
	v_add_f64_e32 v[167:168], v[167:168], v[155:156]
	v_add_f64_e32 v[169:170], v[169:170], v[157:158]
	s_wait_loadcnt_dscnt 0x900
	v_mul_f64_e32 v[177:178], v[2:3], v[20:21]
	v_mul_f64_e32 v[20:21], v[4:5], v[20:21]
	ds_load_b128 v[155:158], v1 offset:992
	v_fma_f64 v[165:166], v[165:166], v[14:15], v[171:172]
	v_fma_f64 v[163:164], v[163:164], v[14:15], -v[16:17]
	scratch_load_b128 v[14:17], off, off offset:272
	v_add_f64_e32 v[167:168], v[167:168], v[175:176]
	v_add_f64_e32 v[169:170], v[169:170], v[173:174]
	v_fma_f64 v[173:174], v[4:5], v[18:19], v[177:178]
	v_fma_f64 v[175:176], v[2:3], v[18:19], -v[20:21]
	ds_load_b128 v[2:5], v1 offset:1008
	s_wait_loadcnt_dscnt 0x901
	v_mul_f64_e32 v[171:172], v[155:156], v[24:25]
	v_mul_f64_e32 v[24:25], v[157:158], v[24:25]
	scratch_load_b128 v[18:21], off, off offset:288
	s_wait_loadcnt_dscnt 0x900
	v_mul_f64_e32 v[177:178], v[2:3], v[28:29]
	v_mul_f64_e32 v[28:29], v[4:5], v[28:29]
	v_add_f64_e32 v[167:168], v[167:168], v[163:164]
	v_add_f64_e32 v[169:170], v[169:170], v[165:166]
	ds_load_b128 v[163:166], v1 offset:1024
	v_fma_f64 v[157:158], v[157:158], v[22:23], v[171:172]
	v_fma_f64 v[155:156], v[155:156], v[22:23], -v[24:25]
	scratch_load_b128 v[22:25], off, off offset:304
	v_add_f64_e32 v[167:168], v[167:168], v[175:176]
	v_add_f64_e32 v[169:170], v[169:170], v[173:174]
	v_fma_f64 v[173:174], v[4:5], v[26:27], v[177:178]
	v_fma_f64 v[175:176], v[2:3], v[26:27], -v[28:29]
	ds_load_b128 v[2:5], v1 offset:1040
	s_wait_loadcnt_dscnt 0x901
	v_mul_f64_e32 v[171:172], v[163:164], v[32:33]
	v_mul_f64_e32 v[32:33], v[165:166], v[32:33]
	scratch_load_b128 v[26:29], off, off offset:320
	s_wait_loadcnt_dscnt 0x900
	v_mul_f64_e32 v[177:178], v[2:3], v[36:37]
	v_mul_f64_e32 v[36:37], v[4:5], v[36:37]
	v_add_f64_e32 v[167:168], v[167:168], v[155:156]
	v_add_f64_e32 v[169:170], v[169:170], v[157:158]
	ds_load_b128 v[155:158], v1 offset:1056
	v_fma_f64 v[165:166], v[165:166], v[30:31], v[171:172]
	v_fma_f64 v[163:164], v[163:164], v[30:31], -v[32:33]
	scratch_load_b128 v[30:33], off, off offset:336
	v_add_f64_e32 v[167:168], v[167:168], v[175:176]
	v_add_f64_e32 v[169:170], v[169:170], v[173:174]
	v_fma_f64 v[175:176], v[4:5], v[34:35], v[177:178]
	v_fma_f64 v[177:178], v[2:3], v[34:35], -v[36:37]
	ds_load_b128 v[2:5], v1 offset:1072
	s_wait_loadcnt_dscnt 0x801
	v_mul_f64_e32 v[171:172], v[155:156], v[161:162]
	v_mul_f64_e32 v[173:174], v[157:158], v[161:162]
	scratch_load_b128 v[34:37], off, off offset:352
	v_add_f64_e32 v[167:168], v[167:168], v[163:164]
	v_add_f64_e32 v[165:166], v[169:170], v[165:166]
	ds_load_b128 v[161:164], v1 offset:1088
	v_fma_f64 v[171:172], v[157:158], v[159:160], v[171:172]
	v_fma_f64 v[159:160], v[155:156], v[159:160], -v[173:174]
	scratch_load_b128 v[155:158], off, off offset:368
	s_wait_loadcnt_dscnt 0x901
	v_mul_f64_e32 v[169:170], v[2:3], v[40:41]
	v_mul_f64_e32 v[40:41], v[4:5], v[40:41]
	v_add_f64_e32 v[167:168], v[167:168], v[177:178]
	v_add_f64_e32 v[165:166], v[165:166], v[175:176]
	s_delay_alu instid0(VALU_DEP_4) | instskip(NEXT) | instid1(VALU_DEP_4)
	v_fma_f64 v[169:170], v[4:5], v[38:39], v[169:170]
	v_fma_f64 v[175:176], v[2:3], v[38:39], -v[40:41]
	ds_load_b128 v[2:5], v1 offset:1104
	s_wait_loadcnt_dscnt 0x801
	v_mul_f64_e32 v[173:174], v[161:162], v[8:9]
	v_mul_f64_e32 v[8:9], v[163:164], v[8:9]
	scratch_load_b128 v[38:41], off, off offset:384
	s_wait_loadcnt_dscnt 0x800
	v_mul_f64_e32 v[177:178], v[2:3], v[12:13]
	v_add_f64_e32 v[159:160], v[167:168], v[159:160]
	v_add_f64_e32 v[171:172], v[165:166], v[171:172]
	v_mul_f64_e32 v[12:13], v[4:5], v[12:13]
	ds_load_b128 v[165:168], v1 offset:1120
	v_fma_f64 v[163:164], v[163:164], v[6:7], v[173:174]
	v_fma_f64 v[161:162], v[161:162], v[6:7], -v[8:9]
	scratch_load_b128 v[6:9], off, off offset:400
	v_fma_f64 v[173:174], v[4:5], v[10:11], v[177:178]
	v_add_f64_e32 v[159:160], v[159:160], v[175:176]
	v_add_f64_e32 v[169:170], v[171:172], v[169:170]
	v_fma_f64 v[175:176], v[2:3], v[10:11], -v[12:13]
	ds_load_b128 v[2:5], v1 offset:1136
	s_wait_loadcnt_dscnt 0x801
	v_mul_f64_e32 v[171:172], v[165:166], v[16:17]
	v_mul_f64_e32 v[16:17], v[167:168], v[16:17]
	scratch_load_b128 v[10:13], off, off offset:416
	v_add_f64_e32 v[177:178], v[159:160], v[161:162]
	v_add_f64_e32 v[163:164], v[169:170], v[163:164]
	s_wait_loadcnt_dscnt 0x800
	v_mul_f64_e32 v[169:170], v[2:3], v[20:21]
	v_mul_f64_e32 v[20:21], v[4:5], v[20:21]
	v_fma_f64 v[167:168], v[167:168], v[14:15], v[171:172]
	v_fma_f64 v[165:166], v[165:166], v[14:15], -v[16:17]
	ds_load_b128 v[159:162], v1 offset:1152
	scratch_load_b128 v[14:17], off, off offset:432
	v_add_f64_e32 v[171:172], v[177:178], v[175:176]
	v_add_f64_e32 v[163:164], v[163:164], v[173:174]
	v_fma_f64 v[169:170], v[4:5], v[18:19], v[169:170]
	v_fma_f64 v[175:176], v[2:3], v[18:19], -v[20:21]
	ds_load_b128 v[2:5], v1 offset:1168
	s_wait_loadcnt_dscnt 0x801
	v_mul_f64_e32 v[173:174], v[159:160], v[24:25]
	v_mul_f64_e32 v[24:25], v[161:162], v[24:25]
	scratch_load_b128 v[18:21], off, off offset:448
	s_wait_loadcnt_dscnt 0x800
	v_mul_f64_e32 v[177:178], v[2:3], v[28:29]
	v_mul_f64_e32 v[28:29], v[4:5], v[28:29]
	v_add_f64_e32 v[171:172], v[171:172], v[165:166]
	v_add_f64_e32 v[167:168], v[163:164], v[167:168]
	ds_load_b128 v[163:166], v1 offset:1184
	v_fma_f64 v[161:162], v[161:162], v[22:23], v[173:174]
	v_fma_f64 v[159:160], v[159:160], v[22:23], -v[24:25]
	scratch_load_b128 v[22:25], off, off offset:464
	v_fma_f64 v[173:174], v[4:5], v[26:27], v[177:178]
	v_add_f64_e32 v[171:172], v[171:172], v[175:176]
	v_add_f64_e32 v[167:168], v[167:168], v[169:170]
	v_fma_f64 v[175:176], v[2:3], v[26:27], -v[28:29]
	ds_load_b128 v[2:5], v1 offset:1200
	s_wait_loadcnt_dscnt 0x801
	v_mul_f64_e32 v[169:170], v[163:164], v[32:33]
	v_mul_f64_e32 v[32:33], v[165:166], v[32:33]
	scratch_load_b128 v[26:29], off, off offset:480
	s_wait_loadcnt_dscnt 0x800
	v_mul_f64_e32 v[177:178], v[2:3], v[36:37]
	v_mul_f64_e32 v[36:37], v[4:5], v[36:37]
	v_add_f64_e32 v[171:172], v[171:172], v[159:160]
	v_add_f64_e32 v[167:168], v[167:168], v[161:162]
	ds_load_b128 v[159:162], v1 offset:1216
	v_fma_f64 v[165:166], v[165:166], v[30:31], v[169:170]
	v_fma_f64 v[163:164], v[163:164], v[30:31], -v[32:33]
	scratch_load_b128 v[30:33], off, off offset:496
	v_add_f64_e32 v[169:170], v[171:172], v[175:176]
	v_add_f64_e32 v[167:168], v[167:168], v[173:174]
	v_fma_f64 v[173:174], v[4:5], v[34:35], v[177:178]
	v_fma_f64 v[175:176], v[2:3], v[34:35], -v[36:37]
	ds_load_b128 v[2:5], v1 offset:1232
	s_wait_loadcnt_dscnt 0x801
	v_mul_f64_e32 v[171:172], v[159:160], v[157:158]
	v_mul_f64_e32 v[157:158], v[161:162], v[157:158]
	scratch_load_b128 v[34:37], off, off offset:512
	s_wait_loadcnt_dscnt 0x800
	v_mul_f64_e32 v[177:178], v[2:3], v[40:41]
	v_mul_f64_e32 v[40:41], v[4:5], v[40:41]
	v_add_f64_e32 v[169:170], v[169:170], v[163:164]
	v_add_f64_e32 v[167:168], v[167:168], v[165:166]
	ds_load_b128 v[163:166], v1 offset:1248
	v_fma_f64 v[161:162], v[161:162], v[155:156], v[171:172]
	v_fma_f64 v[159:160], v[159:160], v[155:156], -v[157:158]
	scratch_load_b128 v[155:158], off, off offset:528
	v_add_f64_e32 v[169:170], v[169:170], v[175:176]
	v_add_f64_e32 v[167:168], v[167:168], v[173:174]
	v_fma_f64 v[173:174], v[4:5], v[38:39], v[177:178]
	;; [unrolled: 18-line block ×6, first 2 shown]
	v_fma_f64 v[177:178], v[2:3], v[34:35], -v[36:37]
	ds_load_b128 v[2:5], v1 offset:1392
	s_wait_loadcnt_dscnt 0x801
	v_mul_f64_e32 v[171:172], v[163:164], v[157:158]
	v_mul_f64_e32 v[173:174], v[165:166], v[157:158]
	scratch_load_b128 v[34:37], off, off offset:672
	v_add_f64_e32 v[169:170], v[169:170], v[159:160]
	v_add_f64_e32 v[161:162], v[167:168], v[161:162]
	s_wait_loadcnt_dscnt 0x800
	v_mul_f64_e32 v[167:168], v[2:3], v[40:41]
	v_mul_f64_e32 v[40:41], v[4:5], v[40:41]
	ds_load_b128 v[157:160], v1 offset:1408
	v_fma_f64 v[165:166], v[165:166], v[155:156], v[171:172]
	v_fma_f64 v[155:156], v[163:164], v[155:156], -v[173:174]
	v_add_f64_e32 v[169:170], v[169:170], v[177:178]
	v_add_f64_e32 v[171:172], v[161:162], v[175:176]
	scratch_load_b128 v[161:164], off, off offset:688
	v_fma_f64 v[175:176], v[4:5], v[38:39], v[167:168]
	v_fma_f64 v[177:178], v[2:3], v[38:39], -v[40:41]
	ds_load_b128 v[2:5], v1 offset:1424
	s_wait_loadcnt_dscnt 0x801
	v_mul_f64_e32 v[173:174], v[157:158], v[8:9]
	v_mul_f64_e32 v[8:9], v[159:160], v[8:9]
	scratch_load_b128 v[38:41], off, off offset:704
	v_add_f64_e32 v[155:156], v[169:170], v[155:156]
	v_add_f64_e32 v[169:170], v[171:172], v[165:166]
	s_wait_loadcnt_dscnt 0x800
	v_mul_f64_e32 v[171:172], v[2:3], v[12:13]
	v_mul_f64_e32 v[12:13], v[4:5], v[12:13]
	ds_load_b128 v[165:168], v1 offset:1440
	v_fma_f64 v[159:160], v[159:160], v[6:7], v[173:174]
	v_fma_f64 v[157:158], v[157:158], v[6:7], -v[8:9]
	scratch_load_b128 v[6:9], off, off offset:720
	v_add_f64_e32 v[155:156], v[155:156], v[177:178]
	v_add_f64_e32 v[169:170], v[169:170], v[175:176]
	v_fma_f64 v[171:172], v[4:5], v[10:11], v[171:172]
	v_fma_f64 v[175:176], v[2:3], v[10:11], -v[12:13]
	ds_load_b128 v[2:5], v1 offset:1456
	s_wait_loadcnt_dscnt 0x801
	v_mul_f64_e32 v[173:174], v[165:166], v[16:17]
	v_mul_f64_e32 v[16:17], v[167:168], v[16:17]
	scratch_load_b128 v[10:13], off, off offset:736
	v_add_f64_e32 v[177:178], v[155:156], v[157:158]
	v_add_f64_e32 v[159:160], v[169:170], v[159:160]
	s_wait_loadcnt_dscnt 0x800
	v_mul_f64_e32 v[169:170], v[2:3], v[20:21]
	v_mul_f64_e32 v[20:21], v[4:5], v[20:21]
	ds_load_b128 v[155:158], v1 offset:1472
	v_fma_f64 v[167:168], v[167:168], v[14:15], v[173:174]
	v_fma_f64 v[165:166], v[165:166], v[14:15], -v[16:17]
	scratch_load_b128 v[14:17], off, off offset:752
	v_add_f64_e32 v[173:174], v[177:178], v[175:176]
	v_add_f64_e32 v[159:160], v[159:160], v[171:172]
	v_fma_f64 v[169:170], v[4:5], v[18:19], v[169:170]
	v_fma_f64 v[175:176], v[2:3], v[18:19], -v[20:21]
	ds_load_b128 v[2:5], v1 offset:1488
	s_wait_loadcnt_dscnt 0x801
	v_mul_f64_e32 v[171:172], v[155:156], v[24:25]
	v_mul_f64_e32 v[24:25], v[157:158], v[24:25]
	scratch_load_b128 v[18:21], off, off offset:768
	s_wait_loadcnt_dscnt 0x800
	v_mul_f64_e32 v[177:178], v[2:3], v[28:29]
	v_mul_f64_e32 v[28:29], v[4:5], v[28:29]
	v_add_f64_e32 v[173:174], v[173:174], v[165:166]
	v_add_f64_e32 v[159:160], v[159:160], v[167:168]
	ds_load_b128 v[165:168], v1 offset:1504
	v_fma_f64 v[157:158], v[157:158], v[22:23], v[171:172]
	v_fma_f64 v[155:156], v[155:156], v[22:23], -v[24:25]
	scratch_load_b128 v[22:25], off, off offset:784
	v_add_f64_e32 v[171:172], v[173:174], v[175:176]
	v_add_f64_e32 v[159:160], v[159:160], v[169:170]
	v_fma_f64 v[173:174], v[4:5], v[26:27], v[177:178]
	v_fma_f64 v[175:176], v[2:3], v[26:27], -v[28:29]
	ds_load_b128 v[2:5], v1 offset:1520
	s_wait_loadcnt_dscnt 0x801
	v_mul_f64_e32 v[169:170], v[165:166], v[32:33]
	v_mul_f64_e32 v[32:33], v[167:168], v[32:33]
	scratch_load_b128 v[26:29], off, off offset:800
	s_wait_loadcnt_dscnt 0x800
	v_mul_f64_e32 v[177:178], v[2:3], v[36:37]
	v_mul_f64_e32 v[36:37], v[4:5], v[36:37]
	v_add_f64_e32 v[171:172], v[171:172], v[155:156]
	v_add_f64_e32 v[159:160], v[159:160], v[157:158]
	ds_load_b128 v[155:158], v1 offset:1536
	v_fma_f64 v[167:168], v[167:168], v[30:31], v[169:170]
	v_fma_f64 v[165:166], v[165:166], v[30:31], -v[32:33]
	scratch_load_b128 v[30:33], off, off offset:816
	v_add_f64_e32 v[169:170], v[171:172], v[175:176]
	v_add_f64_e32 v[159:160], v[159:160], v[173:174]
	v_fma_f64 v[175:176], v[4:5], v[34:35], v[177:178]
	v_fma_f64 v[177:178], v[2:3], v[34:35], -v[36:37]
	ds_load_b128 v[2:5], v1 offset:1552
	scratch_load_b128 v[34:37], off, off offset:832
	s_wait_loadcnt_dscnt 0x901
	v_mul_f64_e32 v[171:172], v[155:156], v[163:164]
	v_mul_f64_e32 v[173:174], v[157:158], v[163:164]
	v_add_f64_e32 v[169:170], v[169:170], v[165:166]
	v_add_f64_e32 v[159:160], v[159:160], v[167:168]
	s_wait_loadcnt_dscnt 0x800
	v_mul_f64_e32 v[167:168], v[2:3], v[40:41]
	v_mul_f64_e32 v[40:41], v[4:5], v[40:41]
	ds_load_b128 v[163:166], v1 offset:1568
	v_fma_f64 v[171:172], v[157:158], v[161:162], v[171:172]
	v_fma_f64 v[161:162], v[155:156], v[161:162], -v[173:174]
	scratch_load_b128 v[155:158], off, off offset:848
	v_add_f64_e32 v[169:170], v[169:170], v[177:178]
	v_add_f64_e32 v[159:160], v[159:160], v[175:176]
	v_fma_f64 v[167:168], v[4:5], v[38:39], v[167:168]
	v_fma_f64 v[175:176], v[2:3], v[38:39], -v[40:41]
	ds_load_b128 v[2:5], v1 offset:1584
	s_wait_loadcnt_dscnt 0x801
	v_mul_f64_e32 v[173:174], v[163:164], v[8:9]
	v_mul_f64_e32 v[8:9], v[165:166], v[8:9]
	scratch_load_b128 v[38:41], off, off offset:864
	s_wait_loadcnt_dscnt 0x800
	v_mul_f64_e32 v[177:178], v[2:3], v[12:13]
	v_mul_f64_e32 v[12:13], v[4:5], v[12:13]
	v_add_f64_e32 v[169:170], v[169:170], v[161:162]
	v_add_f64_e32 v[171:172], v[159:160], v[171:172]
	ds_load_b128 v[159:162], v1 offset:1600
	v_fma_f64 v[165:166], v[165:166], v[6:7], v[173:174]
	v_fma_f64 v[6:7], v[163:164], v[6:7], -v[8:9]
	v_add_f64_e32 v[8:9], v[169:170], v[175:176]
	v_add_f64_e32 v[163:164], v[171:172], v[167:168]
	s_wait_loadcnt_dscnt 0x700
	v_mul_f64_e32 v[167:168], v[159:160], v[16:17]
	v_mul_f64_e32 v[16:17], v[161:162], v[16:17]
	v_fma_f64 v[169:170], v[4:5], v[10:11], v[177:178]
	v_fma_f64 v[10:11], v[2:3], v[10:11], -v[12:13]
	v_add_f64_e32 v[12:13], v[8:9], v[6:7]
	v_add_f64_e32 v[163:164], v[163:164], v[165:166]
	ds_load_b128 v[2:5], v1 offset:1616
	ds_load_b128 v[6:9], v1 offset:1632
	v_fma_f64 v[161:162], v[161:162], v[14:15], v[167:168]
	v_fma_f64 v[14:15], v[159:160], v[14:15], -v[16:17]
	s_wait_loadcnt_dscnt 0x601
	v_mul_f64_e32 v[165:166], v[2:3], v[20:21]
	v_mul_f64_e32 v[20:21], v[4:5], v[20:21]
	s_wait_loadcnt_dscnt 0x500
	v_mul_f64_e32 v[16:17], v[6:7], v[24:25]
	v_mul_f64_e32 v[24:25], v[8:9], v[24:25]
	v_add_f64_e32 v[10:11], v[12:13], v[10:11]
	v_add_f64_e32 v[12:13], v[163:164], v[169:170]
	v_fma_f64 v[159:160], v[4:5], v[18:19], v[165:166]
	v_fma_f64 v[18:19], v[2:3], v[18:19], -v[20:21]
	v_fma_f64 v[8:9], v[8:9], v[22:23], v[16:17]
	v_fma_f64 v[6:7], v[6:7], v[22:23], -v[24:25]
	v_add_f64_e32 v[14:15], v[10:11], v[14:15]
	v_add_f64_e32 v[20:21], v[12:13], v[161:162]
	ds_load_b128 v[2:5], v1 offset:1648
	ds_load_b128 v[10:13], v1 offset:1664
	s_wait_loadcnt_dscnt 0x401
	v_mul_f64_e32 v[161:162], v[2:3], v[28:29]
	v_mul_f64_e32 v[28:29], v[4:5], v[28:29]
	v_add_f64_e32 v[14:15], v[14:15], v[18:19]
	v_add_f64_e32 v[16:17], v[20:21], v[159:160]
	s_wait_loadcnt_dscnt 0x300
	v_mul_f64_e32 v[18:19], v[10:11], v[32:33]
	v_mul_f64_e32 v[20:21], v[12:13], v[32:33]
	v_fma_f64 v[22:23], v[4:5], v[26:27], v[161:162]
	v_fma_f64 v[24:25], v[2:3], v[26:27], -v[28:29]
	v_add_f64_e32 v[14:15], v[14:15], v[6:7]
	v_add_f64_e32 v[16:17], v[16:17], v[8:9]
	ds_load_b128 v[2:5], v1 offset:1680
	ds_load_b128 v[6:9], v1 offset:1696
	v_fma_f64 v[12:13], v[12:13], v[30:31], v[18:19]
	v_fma_f64 v[10:11], v[10:11], v[30:31], -v[20:21]
	s_wait_loadcnt_dscnt 0x201
	v_mul_f64_e32 v[26:27], v[2:3], v[36:37]
	v_mul_f64_e32 v[28:29], v[4:5], v[36:37]
	s_wait_loadcnt_dscnt 0x100
	v_mul_f64_e32 v[18:19], v[6:7], v[157:158]
	v_mul_f64_e32 v[20:21], v[8:9], v[157:158]
	v_add_f64_e32 v[14:15], v[14:15], v[24:25]
	v_add_f64_e32 v[16:17], v[16:17], v[22:23]
	v_fma_f64 v[22:23], v[4:5], v[34:35], v[26:27]
	v_fma_f64 v[24:25], v[2:3], v[34:35], -v[28:29]
	ds_load_b128 v[2:5], v1 offset:1712
	v_fma_f64 v[8:9], v[8:9], v[155:156], v[18:19]
	v_fma_f64 v[6:7], v[6:7], v[155:156], -v[20:21]
	v_add_f64_e32 v[10:11], v[14:15], v[10:11]
	v_add_f64_e32 v[12:13], v[16:17], v[12:13]
	s_wait_loadcnt_dscnt 0x0
	v_mul_f64_e32 v[14:15], v[2:3], v[40:41]
	v_mul_f64_e32 v[16:17], v[4:5], v[40:41]
	s_delay_alu instid0(VALU_DEP_4) | instskip(NEXT) | instid1(VALU_DEP_4)
	v_add_f64_e32 v[10:11], v[10:11], v[24:25]
	v_add_f64_e32 v[12:13], v[12:13], v[22:23]
	s_delay_alu instid0(VALU_DEP_4) | instskip(NEXT) | instid1(VALU_DEP_4)
	v_fma_f64 v[4:5], v[4:5], v[38:39], v[14:15]
	v_fma_f64 v[2:3], v[2:3], v[38:39], -v[16:17]
	s_delay_alu instid0(VALU_DEP_4) | instskip(NEXT) | instid1(VALU_DEP_4)
	v_add_f64_e32 v[6:7], v[10:11], v[6:7]
	v_add_f64_e32 v[8:9], v[12:13], v[8:9]
	s_delay_alu instid0(VALU_DEP_2) | instskip(NEXT) | instid1(VALU_DEP_2)
	v_add_f64_e32 v[2:3], v[6:7], v[2:3]
	v_add_f64_e32 v[4:5], v[8:9], v[4:5]
	s_delay_alu instid0(VALU_DEP_2) | instskip(NEXT) | instid1(VALU_DEP_2)
	v_add_f64_e64 v[2:3], v[42:43], -v[2:3]
	v_add_f64_e64 v[4:5], v[44:45], -v[4:5]
	scratch_store_b128 off, v[2:5], off offset:48
	v_cmpx_lt_u32_e32 1, v0
	s_cbranch_execz .LBB117_335
; %bb.334:
	scratch_load_b128 v[5:8], off, s15
	v_dual_mov_b32 v2, v1 :: v_dual_mov_b32 v3, v1
	v_mov_b32_e32 v4, v1
	scratch_store_b128 off, v[1:4], off offset:32
	s_wait_loadcnt 0x0
	ds_store_b128 v154, v[5:8]
.LBB117_335:
	s_wait_alu 0xfffe
	s_or_b32 exec_lo, exec_lo, s0
	s_wait_storecnt_dscnt 0x0
	s_barrier_signal -1
	s_barrier_wait -1
	global_inv scope:SCOPE_SE
	s_clause 0x8
	scratch_load_b128 v[2:5], off, off offset:48
	scratch_load_b128 v[6:9], off, off offset:64
	;; [unrolled: 1-line block ×9, first 2 shown]
	ds_load_b128 v[42:45], v1 offset:896
	ds_load_b128 v[38:41], v1 offset:912
	s_clause 0x1
	scratch_load_b128 v[155:158], off, off offset:32
	scratch_load_b128 v[159:162], off, off offset:192
	s_mov_b32 s0, exec_lo
	s_wait_loadcnt_dscnt 0xa01
	v_mul_f64_e32 v[163:164], v[44:45], v[4:5]
	v_mul_f64_e32 v[4:5], v[42:43], v[4:5]
	s_wait_loadcnt_dscnt 0x900
	v_mul_f64_e32 v[167:168], v[38:39], v[8:9]
	v_mul_f64_e32 v[8:9], v[40:41], v[8:9]
	s_delay_alu instid0(VALU_DEP_4) | instskip(NEXT) | instid1(VALU_DEP_4)
	v_fma_f64 v[169:170], v[42:43], v[2:3], -v[163:164]
	v_fma_f64 v[171:172], v[44:45], v[2:3], v[4:5]
	ds_load_b128 v[2:5], v1 offset:928
	ds_load_b128 v[163:166], v1 offset:944
	scratch_load_b128 v[42:45], off, off offset:208
	v_fma_f64 v[40:41], v[40:41], v[6:7], v[167:168]
	v_fma_f64 v[38:39], v[38:39], v[6:7], -v[8:9]
	scratch_load_b128 v[6:9], off, off offset:224
	s_wait_loadcnt_dscnt 0xa01
	v_mul_f64_e32 v[173:174], v[2:3], v[12:13]
	v_mul_f64_e32 v[12:13], v[4:5], v[12:13]
	v_add_f64_e32 v[167:168], 0, v[169:170]
	v_add_f64_e32 v[169:170], 0, v[171:172]
	s_wait_loadcnt_dscnt 0x900
	v_mul_f64_e32 v[171:172], v[163:164], v[16:17]
	v_mul_f64_e32 v[16:17], v[165:166], v[16:17]
	v_fma_f64 v[173:174], v[4:5], v[10:11], v[173:174]
	v_fma_f64 v[175:176], v[2:3], v[10:11], -v[12:13]
	ds_load_b128 v[2:5], v1 offset:960
	scratch_load_b128 v[10:13], off, off offset:240
	v_add_f64_e32 v[167:168], v[167:168], v[38:39]
	v_add_f64_e32 v[169:170], v[169:170], v[40:41]
	ds_load_b128 v[38:41], v1 offset:976
	v_fma_f64 v[165:166], v[165:166], v[14:15], v[171:172]
	v_fma_f64 v[163:164], v[163:164], v[14:15], -v[16:17]
	scratch_load_b128 v[14:17], off, off offset:256
	s_wait_loadcnt_dscnt 0xa01
	v_mul_f64_e32 v[177:178], v[2:3], v[20:21]
	v_mul_f64_e32 v[20:21], v[4:5], v[20:21]
	s_wait_loadcnt_dscnt 0x900
	v_mul_f64_e32 v[171:172], v[38:39], v[24:25]
	v_mul_f64_e32 v[24:25], v[40:41], v[24:25]
	v_add_f64_e32 v[167:168], v[167:168], v[175:176]
	v_add_f64_e32 v[169:170], v[169:170], v[173:174]
	v_fma_f64 v[173:174], v[4:5], v[18:19], v[177:178]
	v_fma_f64 v[175:176], v[2:3], v[18:19], -v[20:21]
	ds_load_b128 v[2:5], v1 offset:992
	scratch_load_b128 v[18:21], off, off offset:272
	v_fma_f64 v[40:41], v[40:41], v[22:23], v[171:172]
	v_fma_f64 v[38:39], v[38:39], v[22:23], -v[24:25]
	scratch_load_b128 v[22:25], off, off offset:288
	v_add_f64_e32 v[167:168], v[167:168], v[163:164]
	v_add_f64_e32 v[169:170], v[169:170], v[165:166]
	ds_load_b128 v[163:166], v1 offset:1008
	s_wait_loadcnt_dscnt 0xa01
	v_mul_f64_e32 v[177:178], v[2:3], v[28:29]
	v_mul_f64_e32 v[28:29], v[4:5], v[28:29]
	s_wait_loadcnt_dscnt 0x900
	v_mul_f64_e32 v[171:172], v[163:164], v[32:33]
	v_mul_f64_e32 v[32:33], v[165:166], v[32:33]
	v_add_f64_e32 v[167:168], v[167:168], v[175:176]
	v_add_f64_e32 v[169:170], v[169:170], v[173:174]
	v_fma_f64 v[173:174], v[4:5], v[26:27], v[177:178]
	v_fma_f64 v[175:176], v[2:3], v[26:27], -v[28:29]
	ds_load_b128 v[2:5], v1 offset:1024
	scratch_load_b128 v[26:29], off, off offset:304
	v_fma_f64 v[165:166], v[165:166], v[30:31], v[171:172]
	v_fma_f64 v[163:164], v[163:164], v[30:31], -v[32:33]
	scratch_load_b128 v[30:33], off, off offset:320
	v_add_f64_e32 v[167:168], v[167:168], v[38:39]
	v_add_f64_e32 v[169:170], v[169:170], v[40:41]
	ds_load_b128 v[38:41], v1 offset:1040
	s_wait_loadcnt_dscnt 0xa01
	v_mul_f64_e32 v[177:178], v[2:3], v[36:37]
	v_mul_f64_e32 v[36:37], v[4:5], v[36:37]
	s_wait_loadcnt_dscnt 0x800
	v_mul_f64_e32 v[171:172], v[38:39], v[161:162]
	v_add_f64_e32 v[167:168], v[167:168], v[175:176]
	v_add_f64_e32 v[169:170], v[169:170], v[173:174]
	v_mul_f64_e32 v[173:174], v[40:41], v[161:162]
	v_fma_f64 v[175:176], v[4:5], v[34:35], v[177:178]
	v_fma_f64 v[177:178], v[2:3], v[34:35], -v[36:37]
	ds_load_b128 v[2:5], v1 offset:1056
	scratch_load_b128 v[34:37], off, off offset:336
	v_fma_f64 v[171:172], v[40:41], v[159:160], v[171:172]
	v_add_f64_e32 v[167:168], v[167:168], v[163:164]
	v_add_f64_e32 v[165:166], v[169:170], v[165:166]
	ds_load_b128 v[161:164], v1 offset:1072
	v_fma_f64 v[159:160], v[38:39], v[159:160], -v[173:174]
	scratch_load_b128 v[38:41], off, off offset:352
	s_wait_loadcnt_dscnt 0x901
	v_mul_f64_e32 v[169:170], v[2:3], v[44:45]
	v_mul_f64_e32 v[44:45], v[4:5], v[44:45]
	s_wait_loadcnt_dscnt 0x800
	v_mul_f64_e32 v[173:174], v[161:162], v[8:9]
	v_mul_f64_e32 v[8:9], v[163:164], v[8:9]
	v_add_f64_e32 v[167:168], v[167:168], v[177:178]
	v_add_f64_e32 v[165:166], v[165:166], v[175:176]
	v_fma_f64 v[169:170], v[4:5], v[42:43], v[169:170]
	v_fma_f64 v[175:176], v[2:3], v[42:43], -v[44:45]
	ds_load_b128 v[2:5], v1 offset:1088
	scratch_load_b128 v[42:45], off, off offset:368
	v_fma_f64 v[163:164], v[163:164], v[6:7], v[173:174]
	v_fma_f64 v[161:162], v[161:162], v[6:7], -v[8:9]
	scratch_load_b128 v[6:9], off, off offset:384
	v_add_f64_e32 v[159:160], v[167:168], v[159:160]
	v_add_f64_e32 v[171:172], v[165:166], v[171:172]
	ds_load_b128 v[165:168], v1 offset:1104
	s_wait_loadcnt_dscnt 0x901
	v_mul_f64_e32 v[177:178], v[2:3], v[12:13]
	v_mul_f64_e32 v[12:13], v[4:5], v[12:13]
	v_add_f64_e32 v[159:160], v[159:160], v[175:176]
	v_add_f64_e32 v[169:170], v[171:172], v[169:170]
	s_wait_loadcnt_dscnt 0x800
	v_mul_f64_e32 v[171:172], v[165:166], v[16:17]
	v_mul_f64_e32 v[16:17], v[167:168], v[16:17]
	v_fma_f64 v[173:174], v[4:5], v[10:11], v[177:178]
	v_fma_f64 v[175:176], v[2:3], v[10:11], -v[12:13]
	ds_load_b128 v[2:5], v1 offset:1120
	scratch_load_b128 v[10:13], off, off offset:400
	v_add_f64_e32 v[177:178], v[159:160], v[161:162]
	v_add_f64_e32 v[163:164], v[169:170], v[163:164]
	ds_load_b128 v[159:162], v1 offset:1136
	s_wait_loadcnt_dscnt 0x801
	v_mul_f64_e32 v[169:170], v[2:3], v[20:21]
	v_mul_f64_e32 v[20:21], v[4:5], v[20:21]
	v_fma_f64 v[167:168], v[167:168], v[14:15], v[171:172]
	v_fma_f64 v[165:166], v[165:166], v[14:15], -v[16:17]
	scratch_load_b128 v[14:17], off, off offset:416
	v_add_f64_e32 v[171:172], v[177:178], v[175:176]
	v_add_f64_e32 v[163:164], v[163:164], v[173:174]
	s_wait_loadcnt_dscnt 0x800
	v_mul_f64_e32 v[173:174], v[159:160], v[24:25]
	v_mul_f64_e32 v[24:25], v[161:162], v[24:25]
	v_fma_f64 v[169:170], v[4:5], v[18:19], v[169:170]
	v_fma_f64 v[175:176], v[2:3], v[18:19], -v[20:21]
	ds_load_b128 v[2:5], v1 offset:1152
	scratch_load_b128 v[18:21], off, off offset:432
	v_add_f64_e32 v[171:172], v[171:172], v[165:166]
	v_add_f64_e32 v[167:168], v[163:164], v[167:168]
	ds_load_b128 v[163:166], v1 offset:1168
	s_wait_loadcnt_dscnt 0x801
	v_mul_f64_e32 v[177:178], v[2:3], v[28:29]
	v_mul_f64_e32 v[28:29], v[4:5], v[28:29]
	v_fma_f64 v[161:162], v[161:162], v[22:23], v[173:174]
	v_fma_f64 v[159:160], v[159:160], v[22:23], -v[24:25]
	scratch_load_b128 v[22:25], off, off offset:448
	;; [unrolled: 18-line block ×4, first 2 shown]
	s_wait_loadcnt_dscnt 0x800
	v_mul_f64_e32 v[171:172], v[163:164], v[8:9]
	v_mul_f64_e32 v[8:9], v[165:166], v[8:9]
	v_add_f64_e32 v[169:170], v[169:170], v[175:176]
	v_add_f64_e32 v[167:168], v[167:168], v[173:174]
	v_fma_f64 v[173:174], v[4:5], v[42:43], v[177:178]
	v_fma_f64 v[175:176], v[2:3], v[42:43], -v[44:45]
	ds_load_b128 v[2:5], v1 offset:1248
	scratch_load_b128 v[42:45], off, off offset:528
	v_fma_f64 v[165:166], v[165:166], v[6:7], v[171:172]
	v_fma_f64 v[163:164], v[163:164], v[6:7], -v[8:9]
	scratch_load_b128 v[6:9], off, off offset:544
	v_add_f64_e32 v[169:170], v[169:170], v[159:160]
	v_add_f64_e32 v[167:168], v[167:168], v[161:162]
	ds_load_b128 v[159:162], v1 offset:1264
	s_wait_loadcnt_dscnt 0x901
	v_mul_f64_e32 v[177:178], v[2:3], v[12:13]
	v_mul_f64_e32 v[12:13], v[4:5], v[12:13]
	s_wait_loadcnt_dscnt 0x800
	v_mul_f64_e32 v[171:172], v[159:160], v[16:17]
	v_mul_f64_e32 v[16:17], v[161:162], v[16:17]
	v_add_f64_e32 v[169:170], v[169:170], v[175:176]
	v_add_f64_e32 v[167:168], v[167:168], v[173:174]
	v_fma_f64 v[173:174], v[4:5], v[10:11], v[177:178]
	v_fma_f64 v[175:176], v[2:3], v[10:11], -v[12:13]
	ds_load_b128 v[2:5], v1 offset:1280
	scratch_load_b128 v[10:13], off, off offset:560
	v_fma_f64 v[161:162], v[161:162], v[14:15], v[171:172]
	v_fma_f64 v[159:160], v[159:160], v[14:15], -v[16:17]
	scratch_load_b128 v[14:17], off, off offset:576
	v_add_f64_e32 v[169:170], v[169:170], v[163:164]
	v_add_f64_e32 v[167:168], v[167:168], v[165:166]
	ds_load_b128 v[163:166], v1 offset:1296
	s_wait_loadcnt_dscnt 0x901
	v_mul_f64_e32 v[177:178], v[2:3], v[20:21]
	v_mul_f64_e32 v[20:21], v[4:5], v[20:21]
	;; [unrolled: 18-line block ×11, first 2 shown]
	s_wait_loadcnt_dscnt 0x800
	v_mul_f64_e32 v[171:172], v[159:160], v[16:17]
	v_mul_f64_e32 v[16:17], v[161:162], v[16:17]
	v_add_f64_e32 v[169:170], v[169:170], v[175:176]
	v_add_f64_e32 v[167:168], v[167:168], v[173:174]
	v_fma_f64 v[173:174], v[4:5], v[10:11], v[177:178]
	v_fma_f64 v[175:176], v[2:3], v[10:11], -v[12:13]
	ds_load_b128 v[2:5], v1 offset:1600
	ds_load_b128 v[10:13], v1 offset:1616
	v_fma_f64 v[161:162], v[161:162], v[14:15], v[171:172]
	v_fma_f64 v[14:15], v[159:160], v[14:15], -v[16:17]
	v_add_f64_e32 v[163:164], v[169:170], v[163:164]
	v_add_f64_e32 v[165:166], v[167:168], v[165:166]
	s_wait_loadcnt_dscnt 0x701
	v_mul_f64_e32 v[167:168], v[2:3], v[20:21]
	v_mul_f64_e32 v[20:21], v[4:5], v[20:21]
	s_delay_alu instid0(VALU_DEP_4) | instskip(NEXT) | instid1(VALU_DEP_4)
	v_add_f64_e32 v[16:17], v[163:164], v[175:176]
	v_add_f64_e32 v[159:160], v[165:166], v[173:174]
	s_wait_loadcnt_dscnt 0x600
	v_mul_f64_e32 v[163:164], v[10:11], v[24:25]
	v_mul_f64_e32 v[24:25], v[12:13], v[24:25]
	v_fma_f64 v[165:166], v[4:5], v[18:19], v[167:168]
	v_fma_f64 v[18:19], v[2:3], v[18:19], -v[20:21]
	v_add_f64_e32 v[20:21], v[16:17], v[14:15]
	v_add_f64_e32 v[159:160], v[159:160], v[161:162]
	ds_load_b128 v[2:5], v1 offset:1632
	ds_load_b128 v[14:17], v1 offset:1648
	v_fma_f64 v[12:13], v[12:13], v[22:23], v[163:164]
	v_fma_f64 v[10:11], v[10:11], v[22:23], -v[24:25]
	s_wait_loadcnt_dscnt 0x501
	v_mul_f64_e32 v[161:162], v[2:3], v[28:29]
	v_mul_f64_e32 v[28:29], v[4:5], v[28:29]
	s_wait_loadcnt_dscnt 0x400
	v_mul_f64_e32 v[22:23], v[14:15], v[32:33]
	v_mul_f64_e32 v[24:25], v[16:17], v[32:33]
	v_add_f64_e32 v[18:19], v[20:21], v[18:19]
	v_add_f64_e32 v[20:21], v[159:160], v[165:166]
	v_fma_f64 v[32:33], v[4:5], v[26:27], v[161:162]
	v_fma_f64 v[26:27], v[2:3], v[26:27], -v[28:29]
	v_fma_f64 v[16:17], v[16:17], v[30:31], v[22:23]
	v_fma_f64 v[14:15], v[14:15], v[30:31], -v[24:25]
	v_add_f64_e32 v[18:19], v[18:19], v[10:11]
	v_add_f64_e32 v[20:21], v[20:21], v[12:13]
	ds_load_b128 v[2:5], v1 offset:1664
	ds_load_b128 v[10:13], v1 offset:1680
	s_wait_loadcnt_dscnt 0x301
	v_mul_f64_e32 v[28:29], v[2:3], v[36:37]
	v_mul_f64_e32 v[36:37], v[4:5], v[36:37]
	s_wait_loadcnt_dscnt 0x200
	v_mul_f64_e32 v[22:23], v[10:11], v[40:41]
	v_mul_f64_e32 v[24:25], v[12:13], v[40:41]
	v_add_f64_e32 v[18:19], v[18:19], v[26:27]
	v_add_f64_e32 v[20:21], v[20:21], v[32:33]
	v_fma_f64 v[26:27], v[4:5], v[34:35], v[28:29]
	v_fma_f64 v[28:29], v[2:3], v[34:35], -v[36:37]
	v_fma_f64 v[12:13], v[12:13], v[38:39], v[22:23]
	v_fma_f64 v[10:11], v[10:11], v[38:39], -v[24:25]
	v_add_f64_e32 v[18:19], v[18:19], v[14:15]
	v_add_f64_e32 v[20:21], v[20:21], v[16:17]
	ds_load_b128 v[2:5], v1 offset:1696
	ds_load_b128 v[14:17], v1 offset:1712
	s_wait_loadcnt_dscnt 0x101
	v_mul_f64_e32 v[30:31], v[2:3], v[44:45]
	v_mul_f64_e32 v[32:33], v[4:5], v[44:45]
	s_wait_loadcnt_dscnt 0x0
	v_mul_f64_e32 v[22:23], v[14:15], v[8:9]
	v_mul_f64_e32 v[8:9], v[16:17], v[8:9]
	v_add_f64_e32 v[18:19], v[18:19], v[28:29]
	v_add_f64_e32 v[20:21], v[20:21], v[26:27]
	v_fma_f64 v[4:5], v[4:5], v[42:43], v[30:31]
	v_fma_f64 v[1:2], v[2:3], v[42:43], -v[32:33]
	v_fma_f64 v[16:17], v[16:17], v[6:7], v[22:23]
	v_fma_f64 v[6:7], v[14:15], v[6:7], -v[8:9]
	v_add_f64_e32 v[10:11], v[18:19], v[10:11]
	v_add_f64_e32 v[12:13], v[20:21], v[12:13]
	s_delay_alu instid0(VALU_DEP_2) | instskip(NEXT) | instid1(VALU_DEP_2)
	v_add_f64_e32 v[1:2], v[10:11], v[1:2]
	v_add_f64_e32 v[3:4], v[12:13], v[4:5]
	s_delay_alu instid0(VALU_DEP_2) | instskip(NEXT) | instid1(VALU_DEP_2)
	;; [unrolled: 3-line block ×3, first 2 shown]
	v_add_f64_e64 v[1:2], v[155:156], -v[1:2]
	v_add_f64_e64 v[3:4], v[157:158], -v[3:4]
	scratch_store_b128 off, v[1:4], off offset:32
	v_cmpx_ne_u32_e32 0, v0
	s_cbranch_execz .LBB117_337
; %bb.336:
	scratch_load_b128 v[0:3], off, off offset:16
	v_mov_b32_e32 v4, 0
	s_delay_alu instid0(VALU_DEP_1)
	v_dual_mov_b32 v5, v4 :: v_dual_mov_b32 v6, v4
	v_mov_b32_e32 v7, v4
	scratch_store_b128 off, v[4:7], off offset:16
	s_wait_loadcnt 0x0
	ds_store_b128 v154, v[0:3]
.LBB117_337:
	s_wait_alu 0xfffe
	s_or_b32 exec_lo, exec_lo, s0
	s_wait_storecnt_dscnt 0x0
	s_barrier_signal -1
	s_barrier_wait -1
	global_inv scope:SCOPE_SE
	s_clause 0x7
	scratch_load_b128 v[0:3], off, off offset:32
	scratch_load_b128 v[4:7], off, off offset:48
	;; [unrolled: 1-line block ×8, first 2 shown]
	v_mov_b32_e32 v40, 0
	s_and_b32 vcc_lo, exec_lo, s12
	ds_load_b128 v[36:39], v40 offset:880
	s_clause 0x1
	scratch_load_b128 v[32:35], off, off offset:160
	scratch_load_b128 v[41:44], off, off offset:16
	ds_load_b128 v[154:157], v40 offset:896
	scratch_load_b128 v[158:161], off, off offset:176
	s_wait_loadcnt_dscnt 0xa01
	v_mul_f64_e32 v[162:163], v[38:39], v[2:3]
	v_mul_f64_e32 v[2:3], v[36:37], v[2:3]
	s_delay_alu instid0(VALU_DEP_2) | instskip(NEXT) | instid1(VALU_DEP_2)
	v_fma_f64 v[168:169], v[36:37], v[0:1], -v[162:163]
	v_fma_f64 v[170:171], v[38:39], v[0:1], v[2:3]
	ds_load_b128 v[0:3], v40 offset:912
	s_wait_loadcnt_dscnt 0x901
	v_mul_f64_e32 v[166:167], v[154:155], v[6:7]
	v_mul_f64_e32 v[6:7], v[156:157], v[6:7]
	scratch_load_b128 v[36:39], off, off offset:192
	ds_load_b128 v[162:165], v40 offset:928
	s_wait_loadcnt_dscnt 0x901
	v_mul_f64_e32 v[172:173], v[0:1], v[10:11]
	v_mul_f64_e32 v[10:11], v[2:3], v[10:11]
	v_fma_f64 v[156:157], v[156:157], v[4:5], v[166:167]
	v_fma_f64 v[154:155], v[154:155], v[4:5], -v[6:7]
	v_add_f64_e32 v[166:167], 0, v[168:169]
	v_add_f64_e32 v[168:169], 0, v[170:171]
	scratch_load_b128 v[4:7], off, off offset:208
	v_fma_f64 v[172:173], v[2:3], v[8:9], v[172:173]
	v_fma_f64 v[174:175], v[0:1], v[8:9], -v[10:11]
	ds_load_b128 v[0:3], v40 offset:944
	s_wait_loadcnt_dscnt 0x901
	v_mul_f64_e32 v[170:171], v[162:163], v[14:15]
	v_mul_f64_e32 v[14:15], v[164:165], v[14:15]
	scratch_load_b128 v[8:11], off, off offset:224
	v_add_f64_e32 v[166:167], v[166:167], v[154:155]
	v_add_f64_e32 v[168:169], v[168:169], v[156:157]
	s_wait_loadcnt_dscnt 0x900
	v_mul_f64_e32 v[176:177], v[0:1], v[18:19]
	v_mul_f64_e32 v[18:19], v[2:3], v[18:19]
	ds_load_b128 v[154:157], v40 offset:960
	v_fma_f64 v[164:165], v[164:165], v[12:13], v[170:171]
	v_fma_f64 v[162:163], v[162:163], v[12:13], -v[14:15]
	scratch_load_b128 v[12:15], off, off offset:240
	v_add_f64_e32 v[166:167], v[166:167], v[174:175]
	v_add_f64_e32 v[168:169], v[168:169], v[172:173]
	v_fma_f64 v[172:173], v[2:3], v[16:17], v[176:177]
	v_fma_f64 v[174:175], v[0:1], v[16:17], -v[18:19]
	ds_load_b128 v[0:3], v40 offset:976
	s_wait_loadcnt_dscnt 0x901
	v_mul_f64_e32 v[170:171], v[154:155], v[22:23]
	v_mul_f64_e32 v[22:23], v[156:157], v[22:23]
	scratch_load_b128 v[16:19], off, off offset:256
	s_wait_loadcnt_dscnt 0x900
	v_mul_f64_e32 v[176:177], v[0:1], v[26:27]
	v_mul_f64_e32 v[26:27], v[2:3], v[26:27]
	v_add_f64_e32 v[166:167], v[166:167], v[162:163]
	v_add_f64_e32 v[168:169], v[168:169], v[164:165]
	ds_load_b128 v[162:165], v40 offset:992
	v_fma_f64 v[156:157], v[156:157], v[20:21], v[170:171]
	v_fma_f64 v[154:155], v[154:155], v[20:21], -v[22:23]
	scratch_load_b128 v[20:23], off, off offset:272
	v_add_f64_e32 v[166:167], v[166:167], v[174:175]
	v_add_f64_e32 v[168:169], v[168:169], v[172:173]
	v_fma_f64 v[172:173], v[2:3], v[24:25], v[176:177]
	v_fma_f64 v[174:175], v[0:1], v[24:25], -v[26:27]
	ds_load_b128 v[0:3], v40 offset:1008
	s_wait_loadcnt_dscnt 0x901
	v_mul_f64_e32 v[170:171], v[162:163], v[30:31]
	v_mul_f64_e32 v[30:31], v[164:165], v[30:31]
	scratch_load_b128 v[24:27], off, off offset:288
	s_wait_loadcnt_dscnt 0x900
	v_mul_f64_e32 v[176:177], v[0:1], v[34:35]
	v_mul_f64_e32 v[34:35], v[2:3], v[34:35]
	v_add_f64_e32 v[166:167], v[166:167], v[154:155]
	v_add_f64_e32 v[168:169], v[168:169], v[156:157]
	ds_load_b128 v[154:157], v40 offset:1024
	v_fma_f64 v[164:165], v[164:165], v[28:29], v[170:171]
	v_fma_f64 v[162:163], v[162:163], v[28:29], -v[30:31]
	scratch_load_b128 v[28:31], off, off offset:304
	v_add_f64_e32 v[166:167], v[166:167], v[174:175]
	v_add_f64_e32 v[168:169], v[168:169], v[172:173]
	v_fma_f64 v[174:175], v[2:3], v[32:33], v[176:177]
	v_fma_f64 v[176:177], v[0:1], v[32:33], -v[34:35]
	ds_load_b128 v[0:3], v40 offset:1040
	s_wait_loadcnt_dscnt 0x801
	v_mul_f64_e32 v[170:171], v[154:155], v[160:161]
	v_mul_f64_e32 v[172:173], v[156:157], v[160:161]
	scratch_load_b128 v[32:35], off, off offset:320
	v_add_f64_e32 v[166:167], v[166:167], v[162:163]
	v_add_f64_e32 v[164:165], v[168:169], v[164:165]
	ds_load_b128 v[160:163], v40 offset:1056
	v_fma_f64 v[170:171], v[156:157], v[158:159], v[170:171]
	v_fma_f64 v[158:159], v[154:155], v[158:159], -v[172:173]
	scratch_load_b128 v[154:157], off, off offset:336
	s_wait_loadcnt_dscnt 0x901
	v_mul_f64_e32 v[168:169], v[0:1], v[38:39]
	v_mul_f64_e32 v[38:39], v[2:3], v[38:39]
	v_add_f64_e32 v[166:167], v[166:167], v[176:177]
	v_add_f64_e32 v[164:165], v[164:165], v[174:175]
	s_delay_alu instid0(VALU_DEP_4) | instskip(NEXT) | instid1(VALU_DEP_4)
	v_fma_f64 v[168:169], v[2:3], v[36:37], v[168:169]
	v_fma_f64 v[174:175], v[0:1], v[36:37], -v[38:39]
	ds_load_b128 v[0:3], v40 offset:1072
	s_wait_loadcnt_dscnt 0x801
	v_mul_f64_e32 v[172:173], v[160:161], v[6:7]
	v_mul_f64_e32 v[6:7], v[162:163], v[6:7]
	scratch_load_b128 v[36:39], off, off offset:352
	s_wait_loadcnt_dscnt 0x800
	v_mul_f64_e32 v[176:177], v[0:1], v[10:11]
	v_add_f64_e32 v[158:159], v[166:167], v[158:159]
	v_add_f64_e32 v[170:171], v[164:165], v[170:171]
	v_mul_f64_e32 v[10:11], v[2:3], v[10:11]
	ds_load_b128 v[164:167], v40 offset:1088
	v_fma_f64 v[162:163], v[162:163], v[4:5], v[172:173]
	v_fma_f64 v[160:161], v[160:161], v[4:5], -v[6:7]
	scratch_load_b128 v[4:7], off, off offset:368
	v_fma_f64 v[172:173], v[2:3], v[8:9], v[176:177]
	v_add_f64_e32 v[158:159], v[158:159], v[174:175]
	v_add_f64_e32 v[168:169], v[170:171], v[168:169]
	v_fma_f64 v[174:175], v[0:1], v[8:9], -v[10:11]
	ds_load_b128 v[0:3], v40 offset:1104
	s_wait_loadcnt_dscnt 0x801
	v_mul_f64_e32 v[170:171], v[164:165], v[14:15]
	v_mul_f64_e32 v[14:15], v[166:167], v[14:15]
	scratch_load_b128 v[8:11], off, off offset:384
	v_add_f64_e32 v[176:177], v[158:159], v[160:161]
	v_add_f64_e32 v[162:163], v[168:169], v[162:163]
	s_wait_loadcnt_dscnt 0x800
	v_mul_f64_e32 v[168:169], v[0:1], v[18:19]
	v_mul_f64_e32 v[18:19], v[2:3], v[18:19]
	v_fma_f64 v[166:167], v[166:167], v[12:13], v[170:171]
	v_fma_f64 v[164:165], v[164:165], v[12:13], -v[14:15]
	ds_load_b128 v[158:161], v40 offset:1120
	scratch_load_b128 v[12:15], off, off offset:400
	v_add_f64_e32 v[170:171], v[176:177], v[174:175]
	v_add_f64_e32 v[162:163], v[162:163], v[172:173]
	v_fma_f64 v[168:169], v[2:3], v[16:17], v[168:169]
	v_fma_f64 v[174:175], v[0:1], v[16:17], -v[18:19]
	ds_load_b128 v[0:3], v40 offset:1136
	s_wait_loadcnt_dscnt 0x801
	v_mul_f64_e32 v[172:173], v[158:159], v[22:23]
	v_mul_f64_e32 v[22:23], v[160:161], v[22:23]
	scratch_load_b128 v[16:19], off, off offset:416
	s_wait_loadcnt_dscnt 0x800
	v_mul_f64_e32 v[176:177], v[0:1], v[26:27]
	v_mul_f64_e32 v[26:27], v[2:3], v[26:27]
	v_add_f64_e32 v[170:171], v[170:171], v[164:165]
	v_add_f64_e32 v[166:167], v[162:163], v[166:167]
	ds_load_b128 v[162:165], v40 offset:1152
	v_fma_f64 v[160:161], v[160:161], v[20:21], v[172:173]
	v_fma_f64 v[158:159], v[158:159], v[20:21], -v[22:23]
	scratch_load_b128 v[20:23], off, off offset:432
	v_fma_f64 v[172:173], v[2:3], v[24:25], v[176:177]
	v_add_f64_e32 v[170:171], v[170:171], v[174:175]
	v_add_f64_e32 v[166:167], v[166:167], v[168:169]
	v_fma_f64 v[174:175], v[0:1], v[24:25], -v[26:27]
	ds_load_b128 v[0:3], v40 offset:1168
	s_wait_loadcnt_dscnt 0x801
	v_mul_f64_e32 v[168:169], v[162:163], v[30:31]
	v_mul_f64_e32 v[30:31], v[164:165], v[30:31]
	scratch_load_b128 v[24:27], off, off offset:448
	s_wait_loadcnt_dscnt 0x800
	v_mul_f64_e32 v[176:177], v[0:1], v[34:35]
	v_mul_f64_e32 v[34:35], v[2:3], v[34:35]
	v_add_f64_e32 v[170:171], v[170:171], v[158:159]
	v_add_f64_e32 v[166:167], v[166:167], v[160:161]
	ds_load_b128 v[158:161], v40 offset:1184
	v_fma_f64 v[164:165], v[164:165], v[28:29], v[168:169]
	v_fma_f64 v[162:163], v[162:163], v[28:29], -v[30:31]
	scratch_load_b128 v[28:31], off, off offset:464
	v_add_f64_e32 v[168:169], v[170:171], v[174:175]
	v_add_f64_e32 v[166:167], v[166:167], v[172:173]
	v_fma_f64 v[172:173], v[2:3], v[32:33], v[176:177]
	v_fma_f64 v[174:175], v[0:1], v[32:33], -v[34:35]
	ds_load_b128 v[0:3], v40 offset:1200
	s_wait_loadcnt_dscnt 0x801
	v_mul_f64_e32 v[170:171], v[158:159], v[156:157]
	v_mul_f64_e32 v[156:157], v[160:161], v[156:157]
	scratch_load_b128 v[32:35], off, off offset:480
	s_wait_loadcnt_dscnt 0x800
	v_mul_f64_e32 v[176:177], v[0:1], v[38:39]
	v_mul_f64_e32 v[38:39], v[2:3], v[38:39]
	v_add_f64_e32 v[168:169], v[168:169], v[162:163]
	v_add_f64_e32 v[166:167], v[166:167], v[164:165]
	ds_load_b128 v[162:165], v40 offset:1216
	v_fma_f64 v[160:161], v[160:161], v[154:155], v[170:171]
	v_fma_f64 v[158:159], v[158:159], v[154:155], -v[156:157]
	scratch_load_b128 v[154:157], off, off offset:496
	v_add_f64_e32 v[168:169], v[168:169], v[174:175]
	v_add_f64_e32 v[166:167], v[166:167], v[172:173]
	v_fma_f64 v[172:173], v[2:3], v[36:37], v[176:177]
	;; [unrolled: 18-line block ×6, first 2 shown]
	v_fma_f64 v[176:177], v[0:1], v[32:33], -v[34:35]
	ds_load_b128 v[0:3], v40 offset:1360
	s_wait_loadcnt_dscnt 0x801
	v_mul_f64_e32 v[170:171], v[162:163], v[156:157]
	v_mul_f64_e32 v[172:173], v[164:165], v[156:157]
	scratch_load_b128 v[32:35], off, off offset:640
	v_add_f64_e32 v[168:169], v[168:169], v[158:159]
	v_add_f64_e32 v[160:161], v[166:167], v[160:161]
	s_wait_loadcnt_dscnt 0x800
	v_mul_f64_e32 v[166:167], v[0:1], v[38:39]
	v_mul_f64_e32 v[38:39], v[2:3], v[38:39]
	ds_load_b128 v[156:159], v40 offset:1376
	v_fma_f64 v[164:165], v[164:165], v[154:155], v[170:171]
	v_fma_f64 v[154:155], v[162:163], v[154:155], -v[172:173]
	v_add_f64_e32 v[168:169], v[168:169], v[176:177]
	v_add_f64_e32 v[170:171], v[160:161], v[174:175]
	scratch_load_b128 v[160:163], off, off offset:656
	v_fma_f64 v[174:175], v[2:3], v[36:37], v[166:167]
	v_fma_f64 v[176:177], v[0:1], v[36:37], -v[38:39]
	ds_load_b128 v[0:3], v40 offset:1392
	s_wait_loadcnt_dscnt 0x801
	v_mul_f64_e32 v[172:173], v[156:157], v[6:7]
	v_mul_f64_e32 v[6:7], v[158:159], v[6:7]
	scratch_load_b128 v[36:39], off, off offset:672
	v_add_f64_e32 v[154:155], v[168:169], v[154:155]
	v_add_f64_e32 v[168:169], v[170:171], v[164:165]
	s_wait_loadcnt_dscnt 0x800
	v_mul_f64_e32 v[170:171], v[0:1], v[10:11]
	v_mul_f64_e32 v[10:11], v[2:3], v[10:11]
	ds_load_b128 v[164:167], v40 offset:1408
	v_fma_f64 v[158:159], v[158:159], v[4:5], v[172:173]
	v_fma_f64 v[156:157], v[156:157], v[4:5], -v[6:7]
	scratch_load_b128 v[4:7], off, off offset:688
	v_add_f64_e32 v[154:155], v[154:155], v[176:177]
	v_add_f64_e32 v[168:169], v[168:169], v[174:175]
	v_fma_f64 v[170:171], v[2:3], v[8:9], v[170:171]
	v_fma_f64 v[174:175], v[0:1], v[8:9], -v[10:11]
	ds_load_b128 v[0:3], v40 offset:1424
	s_wait_loadcnt_dscnt 0x801
	v_mul_f64_e32 v[172:173], v[164:165], v[14:15]
	v_mul_f64_e32 v[14:15], v[166:167], v[14:15]
	scratch_load_b128 v[8:11], off, off offset:704
	v_add_f64_e32 v[176:177], v[154:155], v[156:157]
	v_add_f64_e32 v[158:159], v[168:169], v[158:159]
	s_wait_loadcnt_dscnt 0x800
	v_mul_f64_e32 v[168:169], v[0:1], v[18:19]
	v_mul_f64_e32 v[18:19], v[2:3], v[18:19]
	ds_load_b128 v[154:157], v40 offset:1440
	v_fma_f64 v[166:167], v[166:167], v[12:13], v[172:173]
	v_fma_f64 v[164:165], v[164:165], v[12:13], -v[14:15]
	scratch_load_b128 v[12:15], off, off offset:720
	v_add_f64_e32 v[172:173], v[176:177], v[174:175]
	v_add_f64_e32 v[158:159], v[158:159], v[170:171]
	v_fma_f64 v[168:169], v[2:3], v[16:17], v[168:169]
	v_fma_f64 v[174:175], v[0:1], v[16:17], -v[18:19]
	ds_load_b128 v[0:3], v40 offset:1456
	s_wait_loadcnt_dscnt 0x801
	v_mul_f64_e32 v[170:171], v[154:155], v[22:23]
	v_mul_f64_e32 v[22:23], v[156:157], v[22:23]
	scratch_load_b128 v[16:19], off, off offset:736
	s_wait_loadcnt_dscnt 0x800
	v_mul_f64_e32 v[176:177], v[0:1], v[26:27]
	v_mul_f64_e32 v[26:27], v[2:3], v[26:27]
	v_add_f64_e32 v[172:173], v[172:173], v[164:165]
	v_add_f64_e32 v[158:159], v[158:159], v[166:167]
	ds_load_b128 v[164:167], v40 offset:1472
	v_fma_f64 v[156:157], v[156:157], v[20:21], v[170:171]
	v_fma_f64 v[154:155], v[154:155], v[20:21], -v[22:23]
	scratch_load_b128 v[20:23], off, off offset:752
	v_add_f64_e32 v[170:171], v[172:173], v[174:175]
	v_add_f64_e32 v[158:159], v[158:159], v[168:169]
	v_fma_f64 v[172:173], v[2:3], v[24:25], v[176:177]
	v_fma_f64 v[174:175], v[0:1], v[24:25], -v[26:27]
	ds_load_b128 v[0:3], v40 offset:1488
	s_wait_loadcnt_dscnt 0x801
	v_mul_f64_e32 v[168:169], v[164:165], v[30:31]
	v_mul_f64_e32 v[30:31], v[166:167], v[30:31]
	scratch_load_b128 v[24:27], off, off offset:768
	s_wait_loadcnt_dscnt 0x800
	v_mul_f64_e32 v[176:177], v[0:1], v[34:35]
	v_mul_f64_e32 v[34:35], v[2:3], v[34:35]
	v_add_f64_e32 v[170:171], v[170:171], v[154:155]
	v_add_f64_e32 v[158:159], v[158:159], v[156:157]
	ds_load_b128 v[154:157], v40 offset:1504
	v_fma_f64 v[166:167], v[166:167], v[28:29], v[168:169]
	v_fma_f64 v[164:165], v[164:165], v[28:29], -v[30:31]
	scratch_load_b128 v[28:31], off, off offset:784
	v_add_f64_e32 v[168:169], v[170:171], v[174:175]
	v_add_f64_e32 v[158:159], v[158:159], v[172:173]
	v_fma_f64 v[174:175], v[2:3], v[32:33], v[176:177]
	v_fma_f64 v[176:177], v[0:1], v[32:33], -v[34:35]
	ds_load_b128 v[0:3], v40 offset:1520
	scratch_load_b128 v[32:35], off, off offset:800
	s_wait_loadcnt_dscnt 0x901
	v_mul_f64_e32 v[170:171], v[154:155], v[162:163]
	v_mul_f64_e32 v[172:173], v[156:157], v[162:163]
	v_add_f64_e32 v[168:169], v[168:169], v[164:165]
	v_add_f64_e32 v[158:159], v[158:159], v[166:167]
	s_wait_loadcnt_dscnt 0x800
	v_mul_f64_e32 v[166:167], v[0:1], v[38:39]
	v_mul_f64_e32 v[38:39], v[2:3], v[38:39]
	ds_load_b128 v[162:165], v40 offset:1536
	v_fma_f64 v[170:171], v[156:157], v[160:161], v[170:171]
	v_fma_f64 v[160:161], v[154:155], v[160:161], -v[172:173]
	scratch_load_b128 v[154:157], off, off offset:816
	v_add_f64_e32 v[168:169], v[168:169], v[176:177]
	v_add_f64_e32 v[158:159], v[158:159], v[174:175]
	v_fma_f64 v[166:167], v[2:3], v[36:37], v[166:167]
	v_fma_f64 v[174:175], v[0:1], v[36:37], -v[38:39]
	ds_load_b128 v[0:3], v40 offset:1552
	s_wait_loadcnt_dscnt 0x801
	v_mul_f64_e32 v[172:173], v[162:163], v[6:7]
	v_mul_f64_e32 v[6:7], v[164:165], v[6:7]
	scratch_load_b128 v[36:39], off, off offset:832
	s_wait_loadcnt_dscnt 0x800
	v_mul_f64_e32 v[176:177], v[0:1], v[10:11]
	v_mul_f64_e32 v[10:11], v[2:3], v[10:11]
	v_add_f64_e32 v[168:169], v[168:169], v[160:161]
	v_add_f64_e32 v[170:171], v[158:159], v[170:171]
	ds_load_b128 v[158:161], v40 offset:1568
	v_fma_f64 v[164:165], v[164:165], v[4:5], v[172:173]
	v_fma_f64 v[162:163], v[162:163], v[4:5], -v[6:7]
	scratch_load_b128 v[4:7], off, off offset:848
	v_fma_f64 v[172:173], v[2:3], v[8:9], v[176:177]
	v_add_f64_e32 v[168:169], v[168:169], v[174:175]
	v_add_f64_e32 v[166:167], v[170:171], v[166:167]
	v_fma_f64 v[174:175], v[0:1], v[8:9], -v[10:11]
	ds_load_b128 v[0:3], v40 offset:1584
	s_wait_loadcnt_dscnt 0x801
	v_mul_f64_e32 v[170:171], v[158:159], v[14:15]
	v_mul_f64_e32 v[14:15], v[160:161], v[14:15]
	scratch_load_b128 v[8:11], off, off offset:864
	s_wait_loadcnt_dscnt 0x800
	v_mul_f64_e32 v[176:177], v[0:1], v[18:19]
	v_mul_f64_e32 v[18:19], v[2:3], v[18:19]
	v_add_f64_e32 v[168:169], v[168:169], v[162:163]
	v_add_f64_e32 v[166:167], v[166:167], v[164:165]
	ds_load_b128 v[162:165], v40 offset:1600
	v_fma_f64 v[160:161], v[160:161], v[12:13], v[170:171]
	v_fma_f64 v[12:13], v[158:159], v[12:13], -v[14:15]
	v_add_f64_e32 v[14:15], v[168:169], v[174:175]
	v_add_f64_e32 v[158:159], v[166:167], v[172:173]
	s_wait_loadcnt_dscnt 0x700
	v_mul_f64_e32 v[166:167], v[162:163], v[22:23]
	v_mul_f64_e32 v[22:23], v[164:165], v[22:23]
	v_fma_f64 v[168:169], v[2:3], v[16:17], v[176:177]
	v_fma_f64 v[16:17], v[0:1], v[16:17], -v[18:19]
	v_add_f64_e32 v[18:19], v[14:15], v[12:13]
	v_add_f64_e32 v[158:159], v[158:159], v[160:161]
	ds_load_b128 v[0:3], v40 offset:1616
	ds_load_b128 v[12:15], v40 offset:1632
	v_fma_f64 v[164:165], v[164:165], v[20:21], v[166:167]
	v_fma_f64 v[20:21], v[162:163], v[20:21], -v[22:23]
	s_wait_loadcnt_dscnt 0x601
	v_mul_f64_e32 v[160:161], v[0:1], v[26:27]
	v_mul_f64_e32 v[26:27], v[2:3], v[26:27]
	s_wait_loadcnt_dscnt 0x500
	v_mul_f64_e32 v[22:23], v[12:13], v[30:31]
	v_mul_f64_e32 v[30:31], v[14:15], v[30:31]
	v_add_f64_e32 v[16:17], v[18:19], v[16:17]
	v_add_f64_e32 v[18:19], v[158:159], v[168:169]
	v_fma_f64 v[158:159], v[2:3], v[24:25], v[160:161]
	v_fma_f64 v[24:25], v[0:1], v[24:25], -v[26:27]
	v_fma_f64 v[14:15], v[14:15], v[28:29], v[22:23]
	v_fma_f64 v[12:13], v[12:13], v[28:29], -v[30:31]
	v_add_f64_e32 v[20:21], v[16:17], v[20:21]
	v_add_f64_e32 v[26:27], v[18:19], v[164:165]
	ds_load_b128 v[0:3], v40 offset:1648
	ds_load_b128 v[16:19], v40 offset:1664
	s_wait_loadcnt_dscnt 0x401
	v_mul_f64_e32 v[160:161], v[0:1], v[34:35]
	v_mul_f64_e32 v[34:35], v[2:3], v[34:35]
	v_add_f64_e32 v[20:21], v[20:21], v[24:25]
	v_add_f64_e32 v[22:23], v[26:27], v[158:159]
	s_wait_loadcnt_dscnt 0x300
	v_mul_f64_e32 v[24:25], v[16:17], v[156:157]
	v_mul_f64_e32 v[26:27], v[18:19], v[156:157]
	v_fma_f64 v[28:29], v[2:3], v[32:33], v[160:161]
	v_fma_f64 v[30:31], v[0:1], v[32:33], -v[34:35]
	v_add_f64_e32 v[20:21], v[20:21], v[12:13]
	v_add_f64_e32 v[22:23], v[22:23], v[14:15]
	ds_load_b128 v[0:3], v40 offset:1680
	ds_load_b128 v[12:15], v40 offset:1696
	v_fma_f64 v[18:19], v[18:19], v[154:155], v[24:25]
	v_fma_f64 v[16:17], v[16:17], v[154:155], -v[26:27]
	s_wait_loadcnt_dscnt 0x201
	v_mul_f64_e32 v[32:33], v[0:1], v[38:39]
	v_mul_f64_e32 v[34:35], v[2:3], v[38:39]
	s_wait_loadcnt_dscnt 0x100
	v_mul_f64_e32 v[24:25], v[12:13], v[6:7]
	v_mul_f64_e32 v[6:7], v[14:15], v[6:7]
	v_add_f64_e32 v[20:21], v[20:21], v[30:31]
	v_add_f64_e32 v[22:23], v[22:23], v[28:29]
	v_fma_f64 v[26:27], v[2:3], v[36:37], v[32:33]
	v_fma_f64 v[28:29], v[0:1], v[36:37], -v[34:35]
	ds_load_b128 v[0:3], v40 offset:1712
	v_fma_f64 v[14:15], v[14:15], v[4:5], v[24:25]
	v_fma_f64 v[4:5], v[12:13], v[4:5], -v[6:7]
	v_add_f64_e32 v[16:17], v[20:21], v[16:17]
	v_add_f64_e32 v[18:19], v[22:23], v[18:19]
	s_wait_loadcnt_dscnt 0x0
	v_mul_f64_e32 v[20:21], v[0:1], v[10:11]
	v_mul_f64_e32 v[10:11], v[2:3], v[10:11]
	s_delay_alu instid0(VALU_DEP_4) | instskip(NEXT) | instid1(VALU_DEP_4)
	v_add_f64_e32 v[6:7], v[16:17], v[28:29]
	v_add_f64_e32 v[12:13], v[18:19], v[26:27]
	s_delay_alu instid0(VALU_DEP_4) | instskip(NEXT) | instid1(VALU_DEP_4)
	v_fma_f64 v[2:3], v[2:3], v[8:9], v[20:21]
	v_fma_f64 v[0:1], v[0:1], v[8:9], -v[10:11]
	s_delay_alu instid0(VALU_DEP_4) | instskip(NEXT) | instid1(VALU_DEP_4)
	v_add_f64_e32 v[4:5], v[6:7], v[4:5]
	v_add_f64_e32 v[6:7], v[12:13], v[14:15]
	s_delay_alu instid0(VALU_DEP_2) | instskip(NEXT) | instid1(VALU_DEP_2)
	v_add_f64_e32 v[0:1], v[4:5], v[0:1]
	v_add_f64_e32 v[2:3], v[6:7], v[2:3]
	s_delay_alu instid0(VALU_DEP_2) | instskip(NEXT) | instid1(VALU_DEP_2)
	v_add_f64_e64 v[0:1], v[41:42], -v[0:1]
	v_add_f64_e64 v[2:3], v[43:44], -v[2:3]
	scratch_store_b128 off, v[0:3], off offset:16
	s_wait_alu 0xfffe
	s_cbranch_vccz .LBB117_444
; %bb.338:
	global_load_b32 v0, v40, s[2:3] offset:208
	s_wait_loadcnt 0x0
	v_cmp_ne_u32_e32 vcc_lo, 53, v0
	s_cbranch_vccz .LBB117_340
; %bb.339:
	v_lshlrev_b32_e32 v0, 4, v0
	s_delay_alu instid0(VALU_DEP_1)
	v_add_nc_u32_e32 v8, 16, v0
	s_clause 0x1
	scratch_load_b128 v[0:3], v8, off offset:-16
	scratch_load_b128 v[4:7], off, s11
	s_wait_loadcnt 0x1
	scratch_store_b128 off, v[0:3], s11
	s_wait_loadcnt 0x0
	scratch_store_b128 v8, v[4:7], off offset:-16
.LBB117_340:
	v_mov_b32_e32 v0, 0
	global_load_b32 v1, v0, s[2:3] offset:204
	s_wait_loadcnt 0x0
	v_cmp_eq_u32_e32 vcc_lo, 52, v1
	s_cbranch_vccnz .LBB117_342
; %bb.341:
	v_lshlrev_b32_e32 v1, 4, v1
	s_delay_alu instid0(VALU_DEP_1)
	v_add_nc_u32_e32 v9, 16, v1
	s_clause 0x1
	scratch_load_b128 v[1:4], v9, off offset:-16
	scratch_load_b128 v[5:8], off, s14
	s_wait_loadcnt 0x1
	scratch_store_b128 off, v[1:4], s14
	s_wait_loadcnt 0x0
	scratch_store_b128 v9, v[5:8], off offset:-16
.LBB117_342:
	global_load_b32 v0, v0, s[2:3] offset:200
	s_wait_loadcnt 0x0
	v_cmp_eq_u32_e32 vcc_lo, 51, v0
	s_cbranch_vccnz .LBB117_344
; %bb.343:
	v_lshlrev_b32_e32 v0, 4, v0
	s_delay_alu instid0(VALU_DEP_1)
	v_add_nc_u32_e32 v8, 16, v0
	s_clause 0x1
	scratch_load_b128 v[0:3], v8, off offset:-16
	scratch_load_b128 v[4:7], off, s16
	s_wait_loadcnt 0x1
	scratch_store_b128 off, v[0:3], s16
	s_wait_loadcnt 0x0
	scratch_store_b128 v8, v[4:7], off offset:-16
.LBB117_344:
	v_mov_b32_e32 v0, 0
	global_load_b32 v1, v0, s[2:3] offset:196
	s_wait_loadcnt 0x0
	v_cmp_eq_u32_e32 vcc_lo, 50, v1
	s_cbranch_vccnz .LBB117_346
; %bb.345:
	v_lshlrev_b32_e32 v1, 4, v1
	s_delay_alu instid0(VALU_DEP_1)
	v_add_nc_u32_e32 v9, 16, v1
	s_clause 0x1
	scratch_load_b128 v[1:4], v9, off offset:-16
	scratch_load_b128 v[5:8], off, s17
	s_wait_loadcnt 0x1
	scratch_store_b128 off, v[1:4], s17
	s_wait_loadcnt 0x0
	scratch_store_b128 v9, v[5:8], off offset:-16
.LBB117_346:
	global_load_b32 v0, v0, s[2:3] offset:192
	s_wait_loadcnt 0x0
	v_cmp_eq_u32_e32 vcc_lo, 49, v0
	s_cbranch_vccnz .LBB117_348
; %bb.347:
	v_lshlrev_b32_e32 v0, 4, v0
	s_delay_alu instid0(VALU_DEP_1)
	v_add_nc_u32_e32 v8, 16, v0
	s_clause 0x1
	scratch_load_b128 v[0:3], v8, off offset:-16
	scratch_load_b128 v[4:7], off, s18
	s_wait_loadcnt 0x1
	scratch_store_b128 off, v[0:3], s18
	s_wait_loadcnt 0x0
	scratch_store_b128 v8, v[4:7], off offset:-16
.LBB117_348:
	;; [unrolled: 33-line block ×25, first 2 shown]
	v_mov_b32_e32 v0, 0
	global_load_b32 v1, v0, s[2:3] offset:4
	s_wait_loadcnt 0x0
	v_cmp_eq_u32_e32 vcc_lo, 2, v1
	s_cbranch_vccnz .LBB117_442
; %bb.441:
	v_lshlrev_b32_e32 v1, 4, v1
	s_delay_alu instid0(VALU_DEP_1)
	v_add_nc_u32_e32 v9, 16, v1
	s_clause 0x1
	scratch_load_b128 v[1:4], v9, off offset:-16
	scratch_load_b128 v[5:8], off, s15
	s_wait_loadcnt 0x1
	scratch_store_b128 off, v[1:4], s15
	s_wait_loadcnt 0x0
	scratch_store_b128 v9, v[5:8], off offset:-16
.LBB117_442:
	global_load_b32 v0, v0, s[2:3]
	s_wait_loadcnt 0x0
	v_cmp_eq_u32_e32 vcc_lo, 1, v0
	s_cbranch_vccnz .LBB117_444
; %bb.443:
	v_lshlrev_b32_e32 v0, 4, v0
	s_delay_alu instid0(VALU_DEP_1)
	v_add_nc_u32_e32 v8, 16, v0
	scratch_load_b128 v[0:3], v8, off offset:-16
	scratch_load_b128 v[4:7], off, off offset:16
	s_wait_loadcnt 0x1
	scratch_store_b128 off, v[0:3], off offset:16
	s_wait_loadcnt 0x0
	scratch_store_b128 v8, v[4:7], off offset:-16
.LBB117_444:
	scratch_load_b128 v[0:3], off, off offset:16
	s_wait_loadcnt 0x0
	flat_store_b128 v[46:47], v[0:3]
	scratch_load_b128 v[0:3], off, s15
	s_wait_loadcnt 0x0
	flat_store_b128 v[48:49], v[0:3]
	scratch_load_b128 v[0:3], off, s13
	s_wait_loadcnt 0x0
	flat_store_b128 v[50:51], v[0:3]
	scratch_load_b128 v[0:3], off, s10
	s_wait_loadcnt 0x0
	flat_store_b128 v[52:53], v[0:3]
	scratch_load_b128 v[0:3], off, s4
	s_wait_loadcnt 0x0
	flat_store_b128 v[54:55], v[0:3]
	scratch_load_b128 v[0:3], off, s62
	s_wait_loadcnt 0x0
	flat_store_b128 v[56:57], v[0:3]
	scratch_load_b128 v[0:3], off, s61
	s_wait_loadcnt 0x0
	flat_store_b128 v[58:59], v[0:3]
	scratch_load_b128 v[0:3], off, s60
	s_wait_loadcnt 0x0
	flat_store_b128 v[60:61], v[0:3]
	scratch_load_b128 v[0:3], off, s59
	s_wait_loadcnt 0x0
	flat_store_b128 v[62:63], v[0:3]
	scratch_load_b128 v[0:3], off, s58
	s_wait_loadcnt 0x0
	flat_store_b128 v[64:65], v[0:3]
	scratch_load_b128 v[0:3], off, s57
	s_wait_loadcnt 0x0
	flat_store_b128 v[66:67], v[0:3]
	scratch_load_b128 v[0:3], off, s56
	s_wait_loadcnt 0x0
	flat_store_b128 v[68:69], v[0:3]
	scratch_load_b128 v[0:3], off, s55
	s_wait_loadcnt 0x0
	flat_store_b128 v[70:71], v[0:3]
	scratch_load_b128 v[0:3], off, s54
	s_wait_loadcnt 0x0
	flat_store_b128 v[72:73], v[0:3]
	scratch_load_b128 v[0:3], off, s53
	s_wait_loadcnt 0x0
	flat_store_b128 v[74:75], v[0:3]
	scratch_load_b128 v[0:3], off, s52
	s_wait_loadcnt 0x0
	flat_store_b128 v[76:77], v[0:3]
	scratch_load_b128 v[0:3], off, s51
	s_wait_loadcnt 0x0
	flat_store_b128 v[78:79], v[0:3]
	scratch_load_b128 v[0:3], off, s50
	s_wait_loadcnt 0x0
	flat_store_b128 v[80:81], v[0:3]
	scratch_load_b128 v[0:3], off, s49
	s_wait_loadcnt 0x0
	flat_store_b128 v[82:83], v[0:3]
	scratch_load_b128 v[0:3], off, s48
	s_wait_loadcnt 0x0
	flat_store_b128 v[84:85], v[0:3]
	scratch_load_b128 v[0:3], off, s47
	s_wait_loadcnt 0x0
	flat_store_b128 v[86:87], v[0:3]
	scratch_load_b128 v[0:3], off, s46
	s_wait_loadcnt 0x0
	flat_store_b128 v[88:89], v[0:3]
	scratch_load_b128 v[0:3], off, s45
	s_wait_loadcnt 0x0
	flat_store_b128 v[90:91], v[0:3]
	scratch_load_b128 v[0:3], off, s44
	s_wait_loadcnt 0x0
	flat_store_b128 v[92:93], v[0:3]
	scratch_load_b128 v[0:3], off, s43
	s_wait_loadcnt 0x0
	flat_store_b128 v[94:95], v[0:3]
	scratch_load_b128 v[0:3], off, s42
	s_wait_loadcnt 0x0
	flat_store_b128 v[96:97], v[0:3]
	scratch_load_b128 v[0:3], off, s41
	s_wait_loadcnt 0x0
	flat_store_b128 v[98:99], v[0:3]
	scratch_load_b128 v[0:3], off, s40
	s_wait_loadcnt 0x0
	flat_store_b128 v[100:101], v[0:3]
	scratch_load_b128 v[0:3], off, s39
	s_wait_loadcnt 0x0
	flat_store_b128 v[102:103], v[0:3]
	scratch_load_b128 v[0:3], off, s38
	s_wait_loadcnt 0x0
	flat_store_b128 v[104:105], v[0:3]
	scratch_load_b128 v[0:3], off, s37
	s_wait_loadcnt 0x0
	flat_store_b128 v[106:107], v[0:3]
	scratch_load_b128 v[0:3], off, s36
	s_wait_loadcnt 0x0
	flat_store_b128 v[108:109], v[0:3]
	scratch_load_b128 v[0:3], off, s35
	s_wait_loadcnt 0x0
	flat_store_b128 v[110:111], v[0:3]
	scratch_load_b128 v[0:3], off, s34
	s_wait_loadcnt 0x0
	flat_store_b128 v[112:113], v[0:3]
	scratch_load_b128 v[0:3], off, s33
	s_wait_loadcnt 0x0
	flat_store_b128 v[114:115], v[0:3]
	scratch_load_b128 v[0:3], off, s31
	s_wait_loadcnt 0x0
	flat_store_b128 v[116:117], v[0:3]
	scratch_load_b128 v[0:3], off, s30
	s_wait_loadcnt 0x0
	flat_store_b128 v[118:119], v[0:3]
	scratch_load_b128 v[0:3], off, s29
	s_wait_loadcnt 0x0
	flat_store_b128 v[120:121], v[0:3]
	scratch_load_b128 v[0:3], off, s28
	s_wait_loadcnt 0x0
	flat_store_b128 v[122:123], v[0:3]
	scratch_load_b128 v[0:3], off, s27
	s_wait_loadcnt 0x0
	flat_store_b128 v[124:125], v[0:3]
	scratch_load_b128 v[0:3], off, s26
	s_wait_loadcnt 0x0
	flat_store_b128 v[126:127], v[0:3]
	scratch_load_b128 v[0:3], off, s25
	s_wait_loadcnt 0x0
	flat_store_b128 v[128:129], v[0:3]
	scratch_load_b128 v[0:3], off, s24
	s_wait_loadcnt 0x0
	flat_store_b128 v[130:131], v[0:3]
	scratch_load_b128 v[0:3], off, s23
	s_wait_loadcnt 0x0
	flat_store_b128 v[132:133], v[0:3]
	scratch_load_b128 v[0:3], off, s22
	s_wait_loadcnt 0x0
	flat_store_b128 v[134:135], v[0:3]
	scratch_load_b128 v[0:3], off, s21
	s_wait_loadcnt 0x0
	flat_store_b128 v[136:137], v[0:3]
	scratch_load_b128 v[0:3], off, s20
	s_wait_loadcnt 0x0
	flat_store_b128 v[138:139], v[0:3]
	scratch_load_b128 v[0:3], off, s19
	s_wait_loadcnt 0x0
	flat_store_b128 v[140:141], v[0:3]
	scratch_load_b128 v[0:3], off, s18
	s_wait_loadcnt 0x0
	flat_store_b128 v[142:143], v[0:3]
	scratch_load_b128 v[0:3], off, s17
	s_wait_loadcnt 0x0
	flat_store_b128 v[144:145], v[0:3]
	scratch_load_b128 v[0:3], off, s16
	s_wait_loadcnt 0x0
	flat_store_b128 v[146:147], v[0:3]
	scratch_load_b128 v[0:3], off, s14
	s_wait_loadcnt 0x0
	flat_store_b128 v[148:149], v[0:3]
	scratch_load_b128 v[0:3], off, s11
	s_wait_loadcnt 0x0
	flat_store_b128 v[150:151], v[0:3]
	scratch_load_b128 v[0:3], off, s5
	s_wait_loadcnt 0x0
	flat_store_b128 v[152:153], v[0:3]
	s_nop 0
	s_sendmsg sendmsg(MSG_DEALLOC_VGPRS)
	s_endpgm
	.section	.rodata,"a",@progbits
	.p2align	6, 0x0
	.amdhsa_kernel _ZN9rocsolver6v33100L18getri_kernel_smallILi54E19rocblas_complex_numIdEPKPS3_EEvT1_iilPiilS8_bb
		.amdhsa_group_segment_fixed_size 1736
		.amdhsa_private_segment_fixed_size 896
		.amdhsa_kernarg_size 60
		.amdhsa_user_sgpr_count 2
		.amdhsa_user_sgpr_dispatch_ptr 0
		.amdhsa_user_sgpr_queue_ptr 0
		.amdhsa_user_sgpr_kernarg_segment_ptr 1
		.amdhsa_user_sgpr_dispatch_id 0
		.amdhsa_user_sgpr_private_segment_size 0
		.amdhsa_wavefront_size32 1
		.amdhsa_uses_dynamic_stack 0
		.amdhsa_enable_private_segment 1
		.amdhsa_system_sgpr_workgroup_id_x 1
		.amdhsa_system_sgpr_workgroup_id_y 0
		.amdhsa_system_sgpr_workgroup_id_z 0
		.amdhsa_system_sgpr_workgroup_info 0
		.amdhsa_system_vgpr_workitem_id 0
		.amdhsa_next_free_vgpr 181
		.amdhsa_next_free_sgpr 87
		.amdhsa_reserve_vcc 1
		.amdhsa_float_round_mode_32 0
		.amdhsa_float_round_mode_16_64 0
		.amdhsa_float_denorm_mode_32 3
		.amdhsa_float_denorm_mode_16_64 3
		.amdhsa_fp16_overflow 0
		.amdhsa_workgroup_processor_mode 1
		.amdhsa_memory_ordered 1
		.amdhsa_forward_progress 1
		.amdhsa_inst_pref_size 255
		.amdhsa_round_robin_scheduling 0
		.amdhsa_exception_fp_ieee_invalid_op 0
		.amdhsa_exception_fp_denorm_src 0
		.amdhsa_exception_fp_ieee_div_zero 0
		.amdhsa_exception_fp_ieee_overflow 0
		.amdhsa_exception_fp_ieee_underflow 0
		.amdhsa_exception_fp_ieee_inexact 0
		.amdhsa_exception_int_div_zero 0
	.end_amdhsa_kernel
	.section	.text._ZN9rocsolver6v33100L18getri_kernel_smallILi54E19rocblas_complex_numIdEPKPS3_EEvT1_iilPiilS8_bb,"axG",@progbits,_ZN9rocsolver6v33100L18getri_kernel_smallILi54E19rocblas_complex_numIdEPKPS3_EEvT1_iilPiilS8_bb,comdat
.Lfunc_end117:
	.size	_ZN9rocsolver6v33100L18getri_kernel_smallILi54E19rocblas_complex_numIdEPKPS3_EEvT1_iilPiilS8_bb, .Lfunc_end117-_ZN9rocsolver6v33100L18getri_kernel_smallILi54E19rocblas_complex_numIdEPKPS3_EEvT1_iilPiilS8_bb
                                        ; -- End function
	.set _ZN9rocsolver6v33100L18getri_kernel_smallILi54E19rocblas_complex_numIdEPKPS3_EEvT1_iilPiilS8_bb.num_vgpr, 181
	.set _ZN9rocsolver6v33100L18getri_kernel_smallILi54E19rocblas_complex_numIdEPKPS3_EEvT1_iilPiilS8_bb.num_agpr, 0
	.set _ZN9rocsolver6v33100L18getri_kernel_smallILi54E19rocblas_complex_numIdEPKPS3_EEvT1_iilPiilS8_bb.numbered_sgpr, 87
	.set _ZN9rocsolver6v33100L18getri_kernel_smallILi54E19rocblas_complex_numIdEPKPS3_EEvT1_iilPiilS8_bb.num_named_barrier, 0
	.set _ZN9rocsolver6v33100L18getri_kernel_smallILi54E19rocblas_complex_numIdEPKPS3_EEvT1_iilPiilS8_bb.private_seg_size, 896
	.set _ZN9rocsolver6v33100L18getri_kernel_smallILi54E19rocblas_complex_numIdEPKPS3_EEvT1_iilPiilS8_bb.uses_vcc, 1
	.set _ZN9rocsolver6v33100L18getri_kernel_smallILi54E19rocblas_complex_numIdEPKPS3_EEvT1_iilPiilS8_bb.uses_flat_scratch, 1
	.set _ZN9rocsolver6v33100L18getri_kernel_smallILi54E19rocblas_complex_numIdEPKPS3_EEvT1_iilPiilS8_bb.has_dyn_sized_stack, 0
	.set _ZN9rocsolver6v33100L18getri_kernel_smallILi54E19rocblas_complex_numIdEPKPS3_EEvT1_iilPiilS8_bb.has_recursion, 0
	.set _ZN9rocsolver6v33100L18getri_kernel_smallILi54E19rocblas_complex_numIdEPKPS3_EEvT1_iilPiilS8_bb.has_indirect_call, 0
	.section	.AMDGPU.csdata,"",@progbits
; Kernel info:
; codeLenInByte = 116524
; TotalNumSgprs: 89
; NumVgprs: 181
; ScratchSize: 896
; MemoryBound: 0
; FloatMode: 240
; IeeeMode: 1
; LDSByteSize: 1736 bytes/workgroup (compile time only)
; SGPRBlocks: 0
; VGPRBlocks: 22
; NumSGPRsForWavesPerEU: 89
; NumVGPRsForWavesPerEU: 181
; Occupancy: 8
; WaveLimiterHint : 1
; COMPUTE_PGM_RSRC2:SCRATCH_EN: 1
; COMPUTE_PGM_RSRC2:USER_SGPR: 2
; COMPUTE_PGM_RSRC2:TRAP_HANDLER: 0
; COMPUTE_PGM_RSRC2:TGID_X_EN: 1
; COMPUTE_PGM_RSRC2:TGID_Y_EN: 0
; COMPUTE_PGM_RSRC2:TGID_Z_EN: 0
; COMPUTE_PGM_RSRC2:TIDIG_COMP_CNT: 0
	.section	.text._ZN9rocsolver6v33100L18getri_kernel_smallILi55E19rocblas_complex_numIdEPKPS3_EEvT1_iilPiilS8_bb,"axG",@progbits,_ZN9rocsolver6v33100L18getri_kernel_smallILi55E19rocblas_complex_numIdEPKPS3_EEvT1_iilPiilS8_bb,comdat
	.globl	_ZN9rocsolver6v33100L18getri_kernel_smallILi55E19rocblas_complex_numIdEPKPS3_EEvT1_iilPiilS8_bb ; -- Begin function _ZN9rocsolver6v33100L18getri_kernel_smallILi55E19rocblas_complex_numIdEPKPS3_EEvT1_iilPiilS8_bb
	.p2align	8
	.type	_ZN9rocsolver6v33100L18getri_kernel_smallILi55E19rocblas_complex_numIdEPKPS3_EEvT1_iilPiilS8_bb,@function
_ZN9rocsolver6v33100L18getri_kernel_smallILi55E19rocblas_complex_numIdEPKPS3_EEvT1_iilPiilS8_bb: ; @_ZN9rocsolver6v33100L18getri_kernel_smallILi55E19rocblas_complex_numIdEPKPS3_EEvT1_iilPiilS8_bb
; %bb.0:
	s_mov_b32 s2, exec_lo
	v_cmpx_gt_u32_e32 55, v0
	s_cbranch_execz .LBB118_234
; %bb.1:
	s_clause 0x1
	s_load_b32 s13, s[0:1], 0x38
	s_load_b64 s[2:3], s[0:1], 0x0
	s_mov_b32 s8, ttmp9
	s_load_b128 s[4:7], s[0:1], 0x28
	s_wait_kmcnt 0x0
	s_bitcmp1_b32 s13, 8
	s_cselect_b32 s12, -1, 0
	s_ashr_i32 s9, ttmp9, 31
	s_delay_alu instid0(SALU_CYCLE_1) | instskip(NEXT) | instid1(SALU_CYCLE_1)
	s_lshl_b64 s[10:11], s[8:9], 3
	s_add_nc_u64 s[2:3], s[2:3], s[10:11]
	s_load_b64 s[10:11], s[2:3], 0x0
	s_bfe_u32 s2, s13, 0x10008
	s_delay_alu instid0(SALU_CYCLE_1)
	s_cmp_eq_u32 s2, 0
                                        ; implicit-def: $sgpr2_sgpr3
	s_cbranch_scc1 .LBB118_3
; %bb.2:
	s_load_b96 s[16:18], s[0:1], 0x18
	s_mul_u64 s[2:3], s[4:5], s[8:9]
	s_delay_alu instid0(SALU_CYCLE_1)
	s_lshl_b64 s[2:3], s[2:3], 2
	s_wait_kmcnt 0x0
	s_ashr_i32 s5, s18, 31
	s_mov_b32 s4, s18
	s_add_nc_u64 s[2:3], s[16:17], s[2:3]
	s_lshl_b64 s[4:5], s[4:5], 2
	s_delay_alu instid0(SALU_CYCLE_1)
	s_add_nc_u64 s[2:3], s[2:3], s[4:5]
.LBB118_3:
	s_clause 0x1
	s_load_b64 s[4:5], s[0:1], 0x8
	s_load_b32 s64, s[0:1], 0x38
	v_lshlrev_b32_e32 v13, 4, v0
	s_movk_i32 s14, 0x90
	s_movk_i32 s16, 0xa0
	;; [unrolled: 1-line block ×17, first 2 shown]
	s_wait_kmcnt 0x0
	s_ashr_i32 s1, s4, 31
	s_mov_b32 s0, s4
	v_add3_u32 v5, s5, s5, v0
	s_lshl_b64 s[0:1], s[0:1], 4
	s_movk_i32 s33, 0x1a0
	s_add_nc_u64 s[0:1], s[10:11], s[0:1]
	s_ashr_i32 s11, s5, 31
	v_add_co_u32 v46, s4, s0, v13
	s_wait_alu 0xf1ff
	v_add_co_ci_u32_e64 v47, null, s1, 0, s4
	s_mov_b32 s10, s5
	v_ashrrev_i32_e32 v6, 31, v5
	s_lshl_b64 s[10:11], s[10:11], 4
	flat_load_b128 v[1:4], v[46:47]
	v_add_co_u32 v48, vcc_lo, v46, s10
	s_delay_alu instid0(VALU_DEP_1)
	v_add_co_ci_u32_e64 v49, null, s11, v47, vcc_lo
	v_lshlrev_b64_e32 v[6:7], 4, v[5:6]
	v_add_nc_u32_e32 v5, s5, v5
	s_movk_i32 s11, 0x80
	s_movk_i32 s34, 0x1b0
	s_movk_i32 s35, 0x1c0
	s_movk_i32 s36, 0x1d0
	v_add_co_u32 v50, vcc_lo, s0, v6
	s_wait_alu 0xfffd
	v_add_co_ci_u32_e64 v51, null, s1, v7, vcc_lo
	v_ashrrev_i32_e32 v6, 31, v5
	s_movk_i32 s37, 0x1e0
	s_movk_i32 s65, 0x1f0
	s_movk_i32 s66, 0x200
	s_movk_i32 s67, 0x210
	v_lshlrev_b64_e32 v[6:7], 4, v[5:6]
	v_add_nc_u32_e32 v5, s5, v5
	s_movk_i32 s68, 0x220
	s_movk_i32 s69, 0x230
	s_movk_i32 s70, 0x240
	s_movk_i32 s71, 0x250
	v_add_co_u32 v52, vcc_lo, s0, v6
	s_wait_alu 0xfffd
	v_add_co_ci_u32_e64 v53, null, s1, v7, vcc_lo
	v_ashrrev_i32_e32 v6, 31, v5
	s_movk_i32 s72, 0x260
	s_movk_i32 s73, 0x270
	s_movk_i32 s74, 0x280
	s_movk_i32 s75, 0x290
	;; [unrolled: 14-line block ×3, first 2 shown]
	v_lshlrev_b64_e32 v[6:7], 4, v[5:6]
	v_add_nc_u32_e32 v5, s5, v5
	s_movk_i32 s84, 0x320
	s_movk_i32 s85, 0x330
	;; [unrolled: 1-line block ×4, first 2 shown]
	v_add_co_u32 v56, vcc_lo, s0, v6
	s_wait_alu 0xfffd
	v_add_co_ci_u32_e64 v57, null, s1, v7, vcc_lo
	v_ashrrev_i32_e32 v6, 31, v5
	s_movk_i32 s88, 0x360
	s_wait_alu 0xfffe
	s_add_co_i32 s60, s11, 16
	s_add_co_i32 s59, s14, 16
	s_add_co_i32 s58, s16, 16
	v_lshlrev_b64_e32 v[6:7], 4, v[5:6]
	v_add_nc_u32_e32 v5, s5, v5
	s_add_co_i32 s57, s17, 16
	s_add_co_i32 s56, s18, 16
	s_add_co_i32 s55, s19, 16
	s_add_co_i32 s54, s20, 16
	v_add_co_u32 v58, vcc_lo, s0, v6
	s_wait_alu 0xfffd
	v_add_co_ci_u32_e64 v59, null, s1, v7, vcc_lo
	v_ashrrev_i32_e32 v6, 31, v5
	s_add_co_i32 s53, s21, 16
	s_add_co_i32 s52, s22, 16
	s_add_co_i32 s51, s23, 16
	s_add_co_i32 s50, s24, 16
	v_lshlrev_b64_e32 v[6:7], 4, v[5:6]
	v_add_nc_u32_e32 v5, s5, v5
	s_add_co_i32 s49, s25, 16
	s_add_co_i32 s48, s26, 16
	s_add_co_i32 s47, s27, 16
	s_add_co_i32 s46, s28, 16
	v_add_co_u32 v60, vcc_lo, s0, v6
	s_wait_alu 0xfffd
	v_add_co_ci_u32_e64 v61, null, s1, v7, vcc_lo
	v_ashrrev_i32_e32 v6, 31, v5
	s_add_co_i32 s45, s29, 16
	;; [unrolled: 14-line block ×5, first 2 shown]
	s_add_co_i32 s19, s82, 16
	s_add_co_i32 s18, s83, 16
	;; [unrolled: 1-line block ×3, first 2 shown]
	v_lshlrev_b64_e32 v[6:7], 4, v[5:6]
	v_add_nc_u32_e32 v5, s5, v5
	s_add_co_i32 s16, s85, 16
	s_add_co_i32 s14, s86, 16
	;; [unrolled: 1-line block ×3, first 2 shown]
	s_mov_b32 s15, 32
	v_add_co_u32 v68, vcc_lo, s0, v6
	s_wait_alu 0xfffd
	v_add_co_ci_u32_e64 v69, null, s1, v7, vcc_lo
	v_ashrrev_i32_e32 v6, 31, v5
	s_mov_b32 s13, 48
	s_mov_b32 s10, 64
	s_movk_i32 s4, 0x50
	s_delay_alu instid0(VALU_DEP_1) | instskip(SKIP_1) | instid1(VALU_DEP_2)
	v_lshlrev_b64_e32 v[6:7], 4, v[5:6]
	v_add_nc_u32_e32 v5, s5, v5
	v_add_co_u32 v70, vcc_lo, s0, v6
	s_wait_alu 0xfffd
	s_delay_alu instid0(VALU_DEP_3) | instskip(NEXT) | instid1(VALU_DEP_3)
	v_add_co_ci_u32_e64 v71, null, s1, v7, vcc_lo
	v_ashrrev_i32_e32 v6, 31, v5
	s_delay_alu instid0(VALU_DEP_1) | instskip(SKIP_1) | instid1(VALU_DEP_2)
	v_lshlrev_b64_e32 v[6:7], 4, v[5:6]
	v_add_nc_u32_e32 v5, s5, v5
	v_add_co_u32 v72, vcc_lo, s0, v6
	s_wait_alu 0xfffd
	s_delay_alu instid0(VALU_DEP_3) | instskip(NEXT) | instid1(VALU_DEP_3)
	v_add_co_ci_u32_e64 v73, null, s1, v7, vcc_lo
	v_ashrrev_i32_e32 v6, 31, v5
	;; [unrolled: 8-line block ×11, first 2 shown]
	s_delay_alu instid0(VALU_DEP_1)
	v_lshlrev_b64_e32 v[6:7], 4, v[5:6]
	s_wait_loadcnt_dscnt 0x0
	scratch_store_b128 off, v[1:4], off offset:16
	flat_load_b128 v[1:4], v[48:49]
	v_add_nc_u32_e32 v5, s5, v5
	v_add_co_u32 v92, vcc_lo, s0, v6
	s_wait_alu 0xfffd
	v_add_co_ci_u32_e64 v93, null, s1, v7, vcc_lo
	s_delay_alu instid0(VALU_DEP_3) | instskip(NEXT) | instid1(VALU_DEP_1)
	v_ashrrev_i32_e32 v6, 31, v5
	v_lshlrev_b64_e32 v[6:7], 4, v[5:6]
	v_add_nc_u32_e32 v5, s5, v5
	s_delay_alu instid0(VALU_DEP_2) | instskip(SKIP_1) | instid1(VALU_DEP_3)
	v_add_co_u32 v94, vcc_lo, s0, v6
	s_wait_alu 0xfffd
	v_add_co_ci_u32_e64 v95, null, s1, v7, vcc_lo
	s_delay_alu instid0(VALU_DEP_3) | instskip(NEXT) | instid1(VALU_DEP_1)
	v_ashrrev_i32_e32 v6, 31, v5
	v_lshlrev_b64_e32 v[6:7], 4, v[5:6]
	v_add_nc_u32_e32 v5, s5, v5
	s_delay_alu instid0(VALU_DEP_2) | instskip(SKIP_1) | instid1(VALU_DEP_3)
	;; [unrolled: 8-line block ×20, first 2 shown]
	v_add_co_u32 v132, vcc_lo, s0, v6
	s_wait_alu 0xfffd
	v_add_co_ci_u32_e64 v133, null, s1, v7, vcc_lo
	s_delay_alu instid0(VALU_DEP_3) | instskip(NEXT) | instid1(VALU_DEP_1)
	v_ashrrev_i32_e32 v6, 31, v5
	v_lshlrev_b64_e32 v[6:7], 4, v[5:6]
	v_add_nc_u32_e32 v5, s5, v5
	s_delay_alu instid0(VALU_DEP_2)
	v_add_co_u32 v134, vcc_lo, s0, v6
	s_wait_loadcnt_dscnt 0x0
	scratch_store_b128 off, v[1:4], off offset:32
	flat_load_b128 v[1:4], v[50:51]
	s_wait_alu 0xfffd
	v_add_co_ci_u32_e64 v135, null, s1, v7, vcc_lo
	v_ashrrev_i32_e32 v6, 31, v5
	s_delay_alu instid0(VALU_DEP_1) | instskip(SKIP_1) | instid1(VALU_DEP_2)
	v_lshlrev_b64_e32 v[6:7], 4, v[5:6]
	v_add_nc_u32_e32 v5, s5, v5
	v_add_co_u32 v136, vcc_lo, s0, v6
	s_wait_alu 0xfffd
	s_delay_alu instid0(VALU_DEP_3) | instskip(NEXT) | instid1(VALU_DEP_3)
	v_add_co_ci_u32_e64 v137, null, s1, v7, vcc_lo
	v_ashrrev_i32_e32 v6, 31, v5
	s_delay_alu instid0(VALU_DEP_1) | instskip(SKIP_1) | instid1(VALU_DEP_2)
	v_lshlrev_b64_e32 v[6:7], 4, v[5:6]
	v_add_nc_u32_e32 v5, s5, v5
	v_add_co_u32 v138, vcc_lo, s0, v6
	s_wait_alu 0xfffd
	s_delay_alu instid0(VALU_DEP_3) | instskip(NEXT) | instid1(VALU_DEP_3)
	;; [unrolled: 8-line block ×8, first 2 shown]
	v_add_co_ci_u32_e64 v151, null, s1, v7, vcc_lo
	v_ashrrev_i32_e32 v6, 31, v5
	s_delay_alu instid0(VALU_DEP_1)
	v_lshlrev_b64_e32 v[6:7], 4, v[5:6]
	v_add_nc_u32_e32 v5, s5, v5
	s_movk_i32 s5, 0x70
	s_wait_alu 0xfffe
	s_add_co_i32 s61, s5, 16
	s_add_co_i32 s5, s88, 16
	v_add_co_u32 v152, vcc_lo, s0, v6
	s_wait_alu 0xfffd
	v_add_co_ci_u32_e64 v153, null, s1, v7, vcc_lo
	v_ashrrev_i32_e32 v6, 31, v5
	s_delay_alu instid0(VALU_DEP_1) | instskip(NEXT) | instid1(VALU_DEP_1)
	v_lshlrev_b64_e32 v[5:6], 4, v[5:6]
	v_add_co_u32 v154, vcc_lo, s0, v5
	s_wait_alu 0xfffd
	s_delay_alu instid0(VALU_DEP_2)
	v_add_co_ci_u32_e64 v155, null, s1, v6, vcc_lo
	s_movk_i32 s0, 0x50
	s_movk_i32 s1, 0x60
	s_wait_alu 0xfffe
	s_add_co_i32 s63, s0, 16
	s_add_co_i32 s62, s1, 16
	s_bitcmp0_b32 s64, 0
	s_mov_b32 s1, -1
	s_wait_loadcnt_dscnt 0x0
	scratch_store_b128 off, v[1:4], off offset:48
	flat_load_b128 v[1:4], v[52:53]
	s_wait_loadcnt_dscnt 0x0
	scratch_store_b128 off, v[1:4], off offset:64
	flat_load_b128 v[1:4], v[54:55]
	;; [unrolled: 3-line block ×52, first 2 shown]
	s_wait_loadcnt_dscnt 0x0
	scratch_store_b128 off, v[1:4], off offset:880
	s_cbranch_scc1 .LBB118_232
; %bb.4:
	v_cmp_eq_u32_e64 s0, 0, v0
	s_and_saveexec_b32 s1, s0
; %bb.5:
	v_mov_b32_e32 v1, 0
	ds_store_b32 v1, v1 offset:1760
; %bb.6:
	s_wait_alu 0xfffe
	s_or_b32 exec_lo, exec_lo, s1
	s_wait_storecnt_dscnt 0x0
	s_barrier_signal -1
	s_barrier_wait -1
	global_inv scope:SCOPE_SE
	scratch_load_b128 v[1:4], v13, off offset:16
	s_wait_loadcnt 0x0
	v_cmp_eq_f64_e32 vcc_lo, 0, v[1:2]
	v_cmp_eq_f64_e64 s1, 0, v[3:4]
	s_and_b32 s1, vcc_lo, s1
	s_wait_alu 0xfffe
	s_and_saveexec_b32 s64, s1
	s_cbranch_execz .LBB118_10
; %bb.7:
	v_mov_b32_e32 v1, 0
	s_mov_b32 s65, 0
	ds_load_b32 v2, v1 offset:1760
	s_wait_dscnt 0x0
	v_readfirstlane_b32 s1, v2
	v_add_nc_u32_e32 v2, 1, v0
	s_cmp_eq_u32 s1, 0
	s_delay_alu instid0(VALU_DEP_1) | instskip(SKIP_1) | instid1(SALU_CYCLE_1)
	v_cmp_gt_i32_e32 vcc_lo, s1, v2
	s_cselect_b32 s66, -1, 0
	s_or_b32 s66, s66, vcc_lo
	s_delay_alu instid0(SALU_CYCLE_1)
	s_and_b32 exec_lo, exec_lo, s66
	s_cbranch_execz .LBB118_10
; %bb.8:
	v_mov_b32_e32 v3, s1
.LBB118_9:                              ; =>This Inner Loop Header: Depth=1
	ds_cmpstore_rtn_b32 v3, v1, v2, v3 offset:1760
	s_wait_dscnt 0x0
	v_cmp_ne_u32_e32 vcc_lo, 0, v3
	v_cmp_le_i32_e64 s1, v3, v2
	s_and_b32 s1, vcc_lo, s1
	s_wait_alu 0xfffe
	s_and_b32 s1, exec_lo, s1
	s_wait_alu 0xfffe
	s_or_b32 s65, s1, s65
	s_delay_alu instid0(SALU_CYCLE_1)
	s_and_not1_b32 exec_lo, exec_lo, s65
	s_cbranch_execnz .LBB118_9
.LBB118_10:
	s_or_b32 exec_lo, exec_lo, s64
	v_mov_b32_e32 v1, 0
	s_barrier_signal -1
	s_barrier_wait -1
	global_inv scope:SCOPE_SE
	ds_load_b32 v2, v1 offset:1760
	s_and_saveexec_b32 s1, s0
	s_cbranch_execz .LBB118_12
; %bb.11:
	s_lshl_b64 s[64:65], s[8:9], 2
	s_delay_alu instid0(SALU_CYCLE_1)
	s_add_nc_u64 s[64:65], s[6:7], s[64:65]
	s_wait_dscnt 0x0
	global_store_b32 v1, v2, s[64:65]
.LBB118_12:
	s_wait_alu 0xfffe
	s_or_b32 exec_lo, exec_lo, s1
	s_wait_dscnt 0x0
	v_cmp_ne_u32_e32 vcc_lo, 0, v2
	s_mov_b32 s1, 0
	s_cbranch_vccnz .LBB118_232
; %bb.13:
	v_add_nc_u32_e32 v14, 16, v13
                                        ; implicit-def: $vgpr1_vgpr2
                                        ; implicit-def: $vgpr9_vgpr10
	scratch_load_b128 v[5:8], v14, off
	s_wait_loadcnt 0x0
	v_cmp_ngt_f64_e64 s1, |v[5:6]|, |v[7:8]|
	s_wait_alu 0xfffe
	s_and_saveexec_b32 s64, s1
	s_delay_alu instid0(SALU_CYCLE_1)
	s_xor_b32 s1, exec_lo, s64
	s_cbranch_execz .LBB118_15
; %bb.14:
	v_div_scale_f64 v[1:2], null, v[7:8], v[7:8], v[5:6]
	v_div_scale_f64 v[11:12], vcc_lo, v[5:6], v[7:8], v[5:6]
	s_delay_alu instid0(VALU_DEP_2) | instskip(NEXT) | instid1(TRANS32_DEP_1)
	v_rcp_f64_e32 v[3:4], v[1:2]
	v_fma_f64 v[9:10], -v[1:2], v[3:4], 1.0
	s_delay_alu instid0(VALU_DEP_1) | instskip(NEXT) | instid1(VALU_DEP_1)
	v_fma_f64 v[3:4], v[3:4], v[9:10], v[3:4]
	v_fma_f64 v[9:10], -v[1:2], v[3:4], 1.0
	s_delay_alu instid0(VALU_DEP_1) | instskip(NEXT) | instid1(VALU_DEP_1)
	v_fma_f64 v[3:4], v[3:4], v[9:10], v[3:4]
	v_mul_f64_e32 v[9:10], v[11:12], v[3:4]
	s_delay_alu instid0(VALU_DEP_1) | instskip(SKIP_1) | instid1(VALU_DEP_1)
	v_fma_f64 v[1:2], -v[1:2], v[9:10], v[11:12]
	s_wait_alu 0xfffd
	v_div_fmas_f64 v[1:2], v[1:2], v[3:4], v[9:10]
	s_delay_alu instid0(VALU_DEP_1) | instskip(NEXT) | instid1(VALU_DEP_1)
	v_div_fixup_f64 v[1:2], v[1:2], v[7:8], v[5:6]
	v_fma_f64 v[3:4], v[5:6], v[1:2], v[7:8]
	s_delay_alu instid0(VALU_DEP_1) | instskip(SKIP_1) | instid1(VALU_DEP_2)
	v_div_scale_f64 v[5:6], null, v[3:4], v[3:4], 1.0
	v_div_scale_f64 v[11:12], vcc_lo, 1.0, v[3:4], 1.0
	v_rcp_f64_e32 v[7:8], v[5:6]
	s_delay_alu instid0(TRANS32_DEP_1) | instskip(NEXT) | instid1(VALU_DEP_1)
	v_fma_f64 v[9:10], -v[5:6], v[7:8], 1.0
	v_fma_f64 v[7:8], v[7:8], v[9:10], v[7:8]
	s_delay_alu instid0(VALU_DEP_1) | instskip(NEXT) | instid1(VALU_DEP_1)
	v_fma_f64 v[9:10], -v[5:6], v[7:8], 1.0
	v_fma_f64 v[7:8], v[7:8], v[9:10], v[7:8]
	s_delay_alu instid0(VALU_DEP_1) | instskip(NEXT) | instid1(VALU_DEP_1)
	v_mul_f64_e32 v[9:10], v[11:12], v[7:8]
	v_fma_f64 v[5:6], -v[5:6], v[9:10], v[11:12]
	s_wait_alu 0xfffd
	s_delay_alu instid0(VALU_DEP_1) | instskip(NEXT) | instid1(VALU_DEP_1)
	v_div_fmas_f64 v[5:6], v[5:6], v[7:8], v[9:10]
	v_div_fixup_f64 v[3:4], v[5:6], v[3:4], 1.0
                                        ; implicit-def: $vgpr5_vgpr6
	s_delay_alu instid0(VALU_DEP_1) | instskip(SKIP_1) | instid1(VALU_DEP_2)
	v_mul_f64_e32 v[1:2], v[1:2], v[3:4]
	v_xor_b32_e32 v4, 0x80000000, v4
	v_xor_b32_e32 v10, 0x80000000, v2
	s_delay_alu instid0(VALU_DEP_3)
	v_mov_b32_e32 v9, v1
.LBB118_15:
	s_wait_alu 0xfffe
	s_and_not1_saveexec_b32 s1, s1
	s_cbranch_execz .LBB118_17
; %bb.16:
	v_div_scale_f64 v[1:2], null, v[5:6], v[5:6], v[7:8]
	v_div_scale_f64 v[11:12], vcc_lo, v[7:8], v[5:6], v[7:8]
	s_delay_alu instid0(VALU_DEP_2) | instskip(NEXT) | instid1(TRANS32_DEP_1)
	v_rcp_f64_e32 v[3:4], v[1:2]
	v_fma_f64 v[9:10], -v[1:2], v[3:4], 1.0
	s_delay_alu instid0(VALU_DEP_1) | instskip(NEXT) | instid1(VALU_DEP_1)
	v_fma_f64 v[3:4], v[3:4], v[9:10], v[3:4]
	v_fma_f64 v[9:10], -v[1:2], v[3:4], 1.0
	s_delay_alu instid0(VALU_DEP_1) | instskip(NEXT) | instid1(VALU_DEP_1)
	v_fma_f64 v[3:4], v[3:4], v[9:10], v[3:4]
	v_mul_f64_e32 v[9:10], v[11:12], v[3:4]
	s_delay_alu instid0(VALU_DEP_1) | instskip(SKIP_1) | instid1(VALU_DEP_1)
	v_fma_f64 v[1:2], -v[1:2], v[9:10], v[11:12]
	s_wait_alu 0xfffd
	v_div_fmas_f64 v[1:2], v[1:2], v[3:4], v[9:10]
	s_delay_alu instid0(VALU_DEP_1) | instskip(NEXT) | instid1(VALU_DEP_1)
	v_div_fixup_f64 v[3:4], v[1:2], v[5:6], v[7:8]
	v_fma_f64 v[1:2], v[7:8], v[3:4], v[5:6]
	s_delay_alu instid0(VALU_DEP_1) | instskip(NEXT) | instid1(VALU_DEP_1)
	v_div_scale_f64 v[5:6], null, v[1:2], v[1:2], 1.0
	v_rcp_f64_e32 v[7:8], v[5:6]
	s_delay_alu instid0(TRANS32_DEP_1) | instskip(NEXT) | instid1(VALU_DEP_1)
	v_fma_f64 v[9:10], -v[5:6], v[7:8], 1.0
	v_fma_f64 v[7:8], v[7:8], v[9:10], v[7:8]
	s_delay_alu instid0(VALU_DEP_1) | instskip(NEXT) | instid1(VALU_DEP_1)
	v_fma_f64 v[9:10], -v[5:6], v[7:8], 1.0
	v_fma_f64 v[7:8], v[7:8], v[9:10], v[7:8]
	v_div_scale_f64 v[9:10], vcc_lo, 1.0, v[1:2], 1.0
	s_delay_alu instid0(VALU_DEP_1) | instskip(NEXT) | instid1(VALU_DEP_1)
	v_mul_f64_e32 v[11:12], v[9:10], v[7:8]
	v_fma_f64 v[5:6], -v[5:6], v[11:12], v[9:10]
	s_wait_alu 0xfffd
	s_delay_alu instid0(VALU_DEP_1) | instskip(NEXT) | instid1(VALU_DEP_1)
	v_div_fmas_f64 v[5:6], v[5:6], v[7:8], v[11:12]
	v_div_fixup_f64 v[1:2], v[5:6], v[1:2], 1.0
	s_delay_alu instid0(VALU_DEP_1)
	v_mul_f64_e64 v[3:4], v[3:4], -v[1:2]
	v_xor_b32_e32 v10, 0x80000000, v2
	v_mov_b32_e32 v9, v1
.LBB118_17:
	s_wait_alu 0xfffe
	s_or_b32 exec_lo, exec_lo, s1
	scratch_store_b128 v14, v[1:4], off
	scratch_load_b128 v[15:18], off, s15
	v_xor_b32_e32 v12, 0x80000000, v4
	v_mov_b32_e32 v11, v3
	v_add_nc_u32_e32 v5, 0x370, v13
	ds_store_b128 v13, v[9:12]
	s_wait_loadcnt 0x0
	ds_store_b128 v13, v[15:18] offset:880
	s_wait_storecnt_dscnt 0x0
	s_barrier_signal -1
	s_barrier_wait -1
	global_inv scope:SCOPE_SE
	s_and_saveexec_b32 s1, s0
	s_cbranch_execz .LBB118_19
; %bb.18:
	scratch_load_b128 v[1:4], v14, off
	ds_load_b128 v[6:9], v5
	v_mov_b32_e32 v10, 0
	ds_load_b128 v[15:18], v10 offset:16
	s_wait_loadcnt_dscnt 0x1
	v_mul_f64_e32 v[10:11], v[6:7], v[3:4]
	v_mul_f64_e32 v[3:4], v[8:9], v[3:4]
	s_delay_alu instid0(VALU_DEP_2) | instskip(NEXT) | instid1(VALU_DEP_2)
	v_fma_f64 v[8:9], v[8:9], v[1:2], v[10:11]
	v_fma_f64 v[1:2], v[6:7], v[1:2], -v[3:4]
	s_delay_alu instid0(VALU_DEP_2) | instskip(NEXT) | instid1(VALU_DEP_2)
	v_add_f64_e32 v[3:4], 0, v[8:9]
	v_add_f64_e32 v[1:2], 0, v[1:2]
	s_wait_dscnt 0x0
	s_delay_alu instid0(VALU_DEP_2) | instskip(NEXT) | instid1(VALU_DEP_2)
	v_mul_f64_e32 v[6:7], v[3:4], v[17:18]
	v_mul_f64_e32 v[8:9], v[1:2], v[17:18]
	s_delay_alu instid0(VALU_DEP_2) | instskip(NEXT) | instid1(VALU_DEP_2)
	v_fma_f64 v[1:2], v[1:2], v[15:16], -v[6:7]
	v_fma_f64 v[3:4], v[3:4], v[15:16], v[8:9]
	scratch_store_b128 off, v[1:4], off offset:32
.LBB118_19:
	s_wait_alu 0xfffe
	s_or_b32 exec_lo, exec_lo, s1
	s_wait_loadcnt 0x0
	s_wait_storecnt 0x0
	s_barrier_signal -1
	s_barrier_wait -1
	global_inv scope:SCOPE_SE
	scratch_load_b128 v[1:4], off, s13
	s_mov_b32 s1, exec_lo
	s_wait_loadcnt 0x0
	ds_store_b128 v5, v[1:4]
	s_wait_dscnt 0x0
	s_barrier_signal -1
	s_barrier_wait -1
	global_inv scope:SCOPE_SE
	v_cmpx_gt_u32_e32 2, v0
	s_cbranch_execz .LBB118_23
; %bb.20:
	scratch_load_b128 v[1:4], v14, off
	ds_load_b128 v[6:9], v5
	s_wait_loadcnt_dscnt 0x0
	v_mul_f64_e32 v[10:11], v[8:9], v[3:4]
	v_mul_f64_e32 v[3:4], v[6:7], v[3:4]
	s_delay_alu instid0(VALU_DEP_2) | instskip(NEXT) | instid1(VALU_DEP_2)
	v_fma_f64 v[6:7], v[6:7], v[1:2], -v[10:11]
	v_fma_f64 v[3:4], v[8:9], v[1:2], v[3:4]
	s_delay_alu instid0(VALU_DEP_2) | instskip(NEXT) | instid1(VALU_DEP_2)
	v_add_f64_e32 v[1:2], 0, v[6:7]
	v_add_f64_e32 v[3:4], 0, v[3:4]
	s_and_saveexec_b32 s64, s0
	s_cbranch_execz .LBB118_22
; %bb.21:
	scratch_load_b128 v[6:9], off, off offset:32
	v_mov_b32_e32 v10, 0
	ds_load_b128 v[15:18], v10 offset:896
	s_wait_loadcnt_dscnt 0x0
	v_mul_f64_e32 v[10:11], v[15:16], v[8:9]
	v_mul_f64_e32 v[8:9], v[17:18], v[8:9]
	s_delay_alu instid0(VALU_DEP_2) | instskip(NEXT) | instid1(VALU_DEP_2)
	v_fma_f64 v[10:11], v[17:18], v[6:7], v[10:11]
	v_fma_f64 v[6:7], v[15:16], v[6:7], -v[8:9]
	s_delay_alu instid0(VALU_DEP_2) | instskip(NEXT) | instid1(VALU_DEP_2)
	v_add_f64_e32 v[3:4], v[3:4], v[10:11]
	v_add_f64_e32 v[1:2], v[1:2], v[6:7]
.LBB118_22:
	s_or_b32 exec_lo, exec_lo, s64
	v_mov_b32_e32 v6, 0
	ds_load_b128 v[6:9], v6 offset:32
	s_wait_dscnt 0x0
	v_mul_f64_e32 v[10:11], v[3:4], v[8:9]
	v_mul_f64_e32 v[8:9], v[1:2], v[8:9]
	s_delay_alu instid0(VALU_DEP_2) | instskip(NEXT) | instid1(VALU_DEP_2)
	v_fma_f64 v[1:2], v[1:2], v[6:7], -v[10:11]
	v_fma_f64 v[3:4], v[3:4], v[6:7], v[8:9]
	scratch_store_b128 off, v[1:4], off offset:48
.LBB118_23:
	s_wait_alu 0xfffe
	s_or_b32 exec_lo, exec_lo, s1
	s_wait_loadcnt 0x0
	s_wait_storecnt 0x0
	s_barrier_signal -1
	s_barrier_wait -1
	global_inv scope:SCOPE_SE
	scratch_load_b128 v[1:4], off, s10
	v_add_nc_u32_e32 v6, -1, v0
	s_mov_b32 s0, exec_lo
	s_wait_loadcnt 0x0
	ds_store_b128 v5, v[1:4]
	s_wait_dscnt 0x0
	s_barrier_signal -1
	s_barrier_wait -1
	global_inv scope:SCOPE_SE
	v_cmpx_gt_u32_e32 3, v0
	s_cbranch_execz .LBB118_27
; %bb.24:
	v_dual_mov_b32 v1, 0 :: v_dual_add_nc_u32 v8, 0x370, v13
	v_mov_b32_e32 v3, 0
	v_dual_mov_b32 v2, 0 :: v_dual_add_nc_u32 v7, -1, v0
	v_mov_b32_e32 v4, 0
	v_or_b32_e32 v9, 8, v14
	s_mov_b32 s1, 0
.LBB118_25:                             ; =>This Inner Loop Header: Depth=1
	scratch_load_b128 v[15:18], v9, off offset:-8
	ds_load_b128 v[19:22], v8
	v_add_nc_u32_e32 v7, 1, v7
	v_add_nc_u32_e32 v8, 16, v8
	v_add_nc_u32_e32 v9, 16, v9
	s_delay_alu instid0(VALU_DEP_3)
	v_cmp_lt_u32_e32 vcc_lo, 1, v7
	s_wait_alu 0xfffe
	s_or_b32 s1, vcc_lo, s1
	s_wait_loadcnt_dscnt 0x0
	v_mul_f64_e32 v[10:11], v[21:22], v[17:18]
	v_mul_f64_e32 v[17:18], v[19:20], v[17:18]
	s_delay_alu instid0(VALU_DEP_2) | instskip(NEXT) | instid1(VALU_DEP_2)
	v_fma_f64 v[10:11], v[19:20], v[15:16], -v[10:11]
	v_fma_f64 v[15:16], v[21:22], v[15:16], v[17:18]
	s_delay_alu instid0(VALU_DEP_2) | instskip(NEXT) | instid1(VALU_DEP_2)
	v_add_f64_e32 v[3:4], v[3:4], v[10:11]
	v_add_f64_e32 v[1:2], v[1:2], v[15:16]
	s_wait_alu 0xfffe
	s_and_not1_b32 exec_lo, exec_lo, s1
	s_cbranch_execnz .LBB118_25
; %bb.26:
	s_or_b32 exec_lo, exec_lo, s1
	v_mov_b32_e32 v7, 0
	ds_load_b128 v[7:10], v7 offset:48
	s_wait_dscnt 0x0
	v_mul_f64_e32 v[11:12], v[1:2], v[9:10]
	v_mul_f64_e32 v[15:16], v[3:4], v[9:10]
	s_delay_alu instid0(VALU_DEP_2) | instskip(NEXT) | instid1(VALU_DEP_2)
	v_fma_f64 v[9:10], v[3:4], v[7:8], -v[11:12]
	v_fma_f64 v[11:12], v[1:2], v[7:8], v[15:16]
	scratch_store_b128 off, v[9:12], off offset:64
.LBB118_27:
	s_wait_alu 0xfffe
	s_or_b32 exec_lo, exec_lo, s0
	s_wait_loadcnt 0x0
	s_wait_storecnt 0x0
	s_barrier_signal -1
	s_barrier_wait -1
	global_inv scope:SCOPE_SE
	scratch_load_b128 v[1:4], off, s4
	s_mov_b32 s0, exec_lo
	s_wait_loadcnt 0x0
	ds_store_b128 v5, v[1:4]
	s_wait_dscnt 0x0
	s_barrier_signal -1
	s_barrier_wait -1
	global_inv scope:SCOPE_SE
	v_cmpx_gt_u32_e32 4, v0
	s_cbranch_execz .LBB118_31
; %bb.28:
	v_dual_mov_b32 v1, 0 :: v_dual_add_nc_u32 v8, 0x370, v13
	v_mov_b32_e32 v3, 0
	v_dual_mov_b32 v2, 0 :: v_dual_add_nc_u32 v7, -1, v0
	v_mov_b32_e32 v4, 0
	v_or_b32_e32 v9, 8, v14
	s_mov_b32 s1, 0
.LBB118_29:                             ; =>This Inner Loop Header: Depth=1
	scratch_load_b128 v[15:18], v9, off offset:-8
	ds_load_b128 v[19:22], v8
	v_add_nc_u32_e32 v7, 1, v7
	v_add_nc_u32_e32 v8, 16, v8
	v_add_nc_u32_e32 v9, 16, v9
	s_delay_alu instid0(VALU_DEP_3)
	v_cmp_lt_u32_e32 vcc_lo, 2, v7
	s_wait_alu 0xfffe
	s_or_b32 s1, vcc_lo, s1
	s_wait_loadcnt_dscnt 0x0
	v_mul_f64_e32 v[10:11], v[21:22], v[17:18]
	v_mul_f64_e32 v[17:18], v[19:20], v[17:18]
	s_delay_alu instid0(VALU_DEP_2) | instskip(NEXT) | instid1(VALU_DEP_2)
	v_fma_f64 v[10:11], v[19:20], v[15:16], -v[10:11]
	v_fma_f64 v[15:16], v[21:22], v[15:16], v[17:18]
	s_delay_alu instid0(VALU_DEP_2) | instskip(NEXT) | instid1(VALU_DEP_2)
	v_add_f64_e32 v[3:4], v[3:4], v[10:11]
	v_add_f64_e32 v[1:2], v[1:2], v[15:16]
	s_wait_alu 0xfffe
	s_and_not1_b32 exec_lo, exec_lo, s1
	s_cbranch_execnz .LBB118_29
; %bb.30:
	s_or_b32 exec_lo, exec_lo, s1
	v_mov_b32_e32 v7, 0
	ds_load_b128 v[7:10], v7 offset:64
	s_wait_dscnt 0x0
	v_mul_f64_e32 v[11:12], v[1:2], v[9:10]
	v_mul_f64_e32 v[15:16], v[3:4], v[9:10]
	s_delay_alu instid0(VALU_DEP_2) | instskip(NEXT) | instid1(VALU_DEP_2)
	v_fma_f64 v[9:10], v[3:4], v[7:8], -v[11:12]
	v_fma_f64 v[11:12], v[1:2], v[7:8], v[15:16]
	scratch_store_b128 off, v[9:12], off offset:80
.LBB118_31:
	s_wait_alu 0xfffe
	s_or_b32 exec_lo, exec_lo, s0
	s_wait_loadcnt 0x0
	s_wait_storecnt 0x0
	s_barrier_signal -1
	s_barrier_wait -1
	global_inv scope:SCOPE_SE
	scratch_load_b128 v[1:4], off, s63
	;; [unrolled: 58-line block ×19, first 2 shown]
	s_mov_b32 s0, exec_lo
	s_wait_loadcnt 0x0
	ds_store_b128 v5, v[1:4]
	s_wait_dscnt 0x0
	s_barrier_signal -1
	s_barrier_wait -1
	global_inv scope:SCOPE_SE
	v_cmpx_gt_u32_e32 22, v0
	s_cbranch_execz .LBB118_103
; %bb.100:
	v_dual_mov_b32 v1, 0 :: v_dual_add_nc_u32 v8, 0x370, v13
	v_mov_b32_e32 v3, 0
	v_dual_mov_b32 v2, 0 :: v_dual_add_nc_u32 v7, -1, v0
	v_mov_b32_e32 v4, 0
	v_or_b32_e32 v9, 8, v14
	s_mov_b32 s1, 0
.LBB118_101:                            ; =>This Inner Loop Header: Depth=1
	scratch_load_b128 v[15:18], v9, off offset:-8
	ds_load_b128 v[19:22], v8
	v_add_nc_u32_e32 v7, 1, v7
	v_add_nc_u32_e32 v8, 16, v8
	v_add_nc_u32_e32 v9, 16, v9
	s_delay_alu instid0(VALU_DEP_3)
	v_cmp_lt_u32_e32 vcc_lo, 20, v7
	s_wait_alu 0xfffe
	s_or_b32 s1, vcc_lo, s1
	s_wait_loadcnt_dscnt 0x0
	v_mul_f64_e32 v[10:11], v[21:22], v[17:18]
	v_mul_f64_e32 v[17:18], v[19:20], v[17:18]
	s_delay_alu instid0(VALU_DEP_2) | instskip(NEXT) | instid1(VALU_DEP_2)
	v_fma_f64 v[10:11], v[19:20], v[15:16], -v[10:11]
	v_fma_f64 v[15:16], v[21:22], v[15:16], v[17:18]
	s_delay_alu instid0(VALU_DEP_2) | instskip(NEXT) | instid1(VALU_DEP_2)
	v_add_f64_e32 v[3:4], v[3:4], v[10:11]
	v_add_f64_e32 v[1:2], v[1:2], v[15:16]
	s_wait_alu 0xfffe
	s_and_not1_b32 exec_lo, exec_lo, s1
	s_cbranch_execnz .LBB118_101
; %bb.102:
	s_or_b32 exec_lo, exec_lo, s1
	v_mov_b32_e32 v7, 0
	ds_load_b128 v[7:10], v7 offset:352
	s_wait_dscnt 0x0
	v_mul_f64_e32 v[11:12], v[1:2], v[9:10]
	v_mul_f64_e32 v[15:16], v[3:4], v[9:10]
	s_delay_alu instid0(VALU_DEP_2) | instskip(NEXT) | instid1(VALU_DEP_2)
	v_fma_f64 v[9:10], v[3:4], v[7:8], -v[11:12]
	v_fma_f64 v[11:12], v[1:2], v[7:8], v[15:16]
	scratch_store_b128 off, v[9:12], off offset:368
.LBB118_103:
	s_wait_alu 0xfffe
	s_or_b32 exec_lo, exec_lo, s0
	s_wait_loadcnt 0x0
	s_wait_storecnt 0x0
	s_barrier_signal -1
	s_barrier_wait -1
	global_inv scope:SCOPE_SE
	scratch_load_b128 v[1:4], off, s45
	s_mov_b32 s0, exec_lo
	s_wait_loadcnt 0x0
	ds_store_b128 v5, v[1:4]
	s_wait_dscnt 0x0
	s_barrier_signal -1
	s_barrier_wait -1
	global_inv scope:SCOPE_SE
	v_cmpx_gt_u32_e32 23, v0
	s_cbranch_execz .LBB118_107
; %bb.104:
	v_dual_mov_b32 v1, 0 :: v_dual_add_nc_u32 v8, 0x370, v13
	v_mov_b32_e32 v3, 0
	v_dual_mov_b32 v2, 0 :: v_dual_add_nc_u32 v7, -1, v0
	v_mov_b32_e32 v4, 0
	v_or_b32_e32 v9, 8, v14
	s_mov_b32 s1, 0
.LBB118_105:                            ; =>This Inner Loop Header: Depth=1
	scratch_load_b128 v[15:18], v9, off offset:-8
	ds_load_b128 v[19:22], v8
	v_add_nc_u32_e32 v7, 1, v7
	v_add_nc_u32_e32 v8, 16, v8
	v_add_nc_u32_e32 v9, 16, v9
	s_delay_alu instid0(VALU_DEP_3)
	v_cmp_lt_u32_e32 vcc_lo, 21, v7
	s_wait_alu 0xfffe
	s_or_b32 s1, vcc_lo, s1
	s_wait_loadcnt_dscnt 0x0
	v_mul_f64_e32 v[10:11], v[21:22], v[17:18]
	v_mul_f64_e32 v[17:18], v[19:20], v[17:18]
	s_delay_alu instid0(VALU_DEP_2) | instskip(NEXT) | instid1(VALU_DEP_2)
	v_fma_f64 v[10:11], v[19:20], v[15:16], -v[10:11]
	v_fma_f64 v[15:16], v[21:22], v[15:16], v[17:18]
	s_delay_alu instid0(VALU_DEP_2) | instskip(NEXT) | instid1(VALU_DEP_2)
	v_add_f64_e32 v[3:4], v[3:4], v[10:11]
	v_add_f64_e32 v[1:2], v[1:2], v[15:16]
	s_wait_alu 0xfffe
	s_and_not1_b32 exec_lo, exec_lo, s1
	s_cbranch_execnz .LBB118_105
; %bb.106:
	s_or_b32 exec_lo, exec_lo, s1
	v_mov_b32_e32 v7, 0
	ds_load_b128 v[7:10], v7 offset:368
	s_wait_dscnt 0x0
	v_mul_f64_e32 v[11:12], v[1:2], v[9:10]
	v_mul_f64_e32 v[15:16], v[3:4], v[9:10]
	s_delay_alu instid0(VALU_DEP_2) | instskip(NEXT) | instid1(VALU_DEP_2)
	v_fma_f64 v[9:10], v[3:4], v[7:8], -v[11:12]
	v_fma_f64 v[11:12], v[1:2], v[7:8], v[15:16]
	scratch_store_b128 off, v[9:12], off offset:384
.LBB118_107:
	s_wait_alu 0xfffe
	s_or_b32 exec_lo, exec_lo, s0
	s_wait_loadcnt 0x0
	s_wait_storecnt 0x0
	s_barrier_signal -1
	s_barrier_wait -1
	global_inv scope:SCOPE_SE
	scratch_load_b128 v[1:4], off, s44
	;; [unrolled: 58-line block ×32, first 2 shown]
	s_mov_b32 s0, exec_lo
	s_wait_loadcnt 0x0
	ds_store_b128 v5, v[1:4]
	s_wait_dscnt 0x0
	s_barrier_signal -1
	s_barrier_wait -1
	global_inv scope:SCOPE_SE
	v_cmpx_ne_u32_e32 54, v0
	s_cbranch_execz .LBB118_231
; %bb.228:
	v_mov_b32_e32 v1, 0
	v_dual_mov_b32 v2, 0 :: v_dual_mov_b32 v3, 0
	v_mov_b32_e32 v4, 0
	v_or_b32_e32 v7, 8, v14
	s_mov_b32 s1, 0
.LBB118_229:                            ; =>This Inner Loop Header: Depth=1
	scratch_load_b128 v[8:11], v7, off offset:-8
	ds_load_b128 v[12:15], v5
	v_add_nc_u32_e32 v6, 1, v6
	v_add_nc_u32_e32 v5, 16, v5
	;; [unrolled: 1-line block ×3, first 2 shown]
	s_delay_alu instid0(VALU_DEP_3)
	v_cmp_lt_u32_e32 vcc_lo, 52, v6
	s_wait_alu 0xfffe
	s_or_b32 s1, vcc_lo, s1
	s_wait_loadcnt_dscnt 0x0
	v_mul_f64_e32 v[16:17], v[14:15], v[10:11]
	v_mul_f64_e32 v[10:11], v[12:13], v[10:11]
	s_delay_alu instid0(VALU_DEP_2) | instskip(NEXT) | instid1(VALU_DEP_2)
	v_fma_f64 v[12:13], v[12:13], v[8:9], -v[16:17]
	v_fma_f64 v[8:9], v[14:15], v[8:9], v[10:11]
	s_delay_alu instid0(VALU_DEP_2) | instskip(NEXT) | instid1(VALU_DEP_2)
	v_add_f64_e32 v[3:4], v[3:4], v[12:13]
	v_add_f64_e32 v[1:2], v[1:2], v[8:9]
	s_wait_alu 0xfffe
	s_and_not1_b32 exec_lo, exec_lo, s1
	s_cbranch_execnz .LBB118_229
; %bb.230:
	s_or_b32 exec_lo, exec_lo, s1
	v_mov_b32_e32 v5, 0
	ds_load_b128 v[5:8], v5 offset:864
	s_wait_dscnt 0x0
	v_mul_f64_e32 v[9:10], v[1:2], v[7:8]
	v_mul_f64_e32 v[7:8], v[3:4], v[7:8]
	s_delay_alu instid0(VALU_DEP_2) | instskip(NEXT) | instid1(VALU_DEP_2)
	v_fma_f64 v[3:4], v[3:4], v[5:6], -v[9:10]
	v_fma_f64 v[5:6], v[1:2], v[5:6], v[7:8]
	scratch_store_b128 off, v[3:6], off offset:880
.LBB118_231:
	s_wait_alu 0xfffe
	s_or_b32 exec_lo, exec_lo, s0
	s_mov_b32 s1, -1
	s_wait_loadcnt 0x0
	s_wait_storecnt 0x0
	s_barrier_signal -1
	s_barrier_wait -1
	global_inv scope:SCOPE_SE
.LBB118_232:
	s_wait_alu 0xfffe
	s_and_b32 vcc_lo, exec_lo, s1
	s_wait_alu 0xfffe
	s_cbranch_vccz .LBB118_234
; %bb.233:
	v_mov_b32_e32 v1, 0
	s_lshl_b64 s[0:1], s[8:9], 2
	s_wait_alu 0xfffe
	s_add_nc_u64 s[0:1], s[6:7], s[0:1]
	global_load_b32 v1, v1, s[0:1]
	s_wait_loadcnt 0x0
	v_cmp_ne_u32_e32 vcc_lo, 0, v1
	s_cbranch_vccz .LBB118_235
.LBB118_234:
	s_nop 0
	s_sendmsg sendmsg(MSG_DEALLOC_VGPRS)
	s_endpgm
.LBB118_235:
	v_lshl_add_u32 v156, v0, 4, 0x370
	s_mov_b32 s0, exec_lo
	v_cmpx_eq_u32_e32 54, v0
	s_cbranch_execz .LBB118_237
; %bb.236:
	scratch_load_b128 v[1:4], off, s11
	v_mov_b32_e32 v5, 0
	s_delay_alu instid0(VALU_DEP_1)
	v_dual_mov_b32 v6, v5 :: v_dual_mov_b32 v7, v5
	v_mov_b32_e32 v8, v5
	scratch_store_b128 off, v[5:8], off offset:864
	s_wait_loadcnt 0x0
	ds_store_b128 v156, v[1:4]
.LBB118_237:
	s_wait_alu 0xfffe
	s_or_b32 exec_lo, exec_lo, s0
	s_wait_storecnt_dscnt 0x0
	s_barrier_signal -1
	s_barrier_wait -1
	global_inv scope:SCOPE_SE
	s_clause 0x1
	scratch_load_b128 v[2:5], off, off offset:880
	scratch_load_b128 v[6:9], off, off offset:864
	v_mov_b32_e32 v1, 0
	s_mov_b32 s0, exec_lo
	ds_load_b128 v[10:13], v1 offset:1744
	s_wait_loadcnt_dscnt 0x100
	v_mul_f64_e32 v[14:15], v[12:13], v[4:5]
	v_mul_f64_e32 v[4:5], v[10:11], v[4:5]
	s_delay_alu instid0(VALU_DEP_2) | instskip(NEXT) | instid1(VALU_DEP_2)
	v_fma_f64 v[10:11], v[10:11], v[2:3], -v[14:15]
	v_fma_f64 v[2:3], v[12:13], v[2:3], v[4:5]
	s_delay_alu instid0(VALU_DEP_2) | instskip(NEXT) | instid1(VALU_DEP_2)
	v_add_f64_e32 v[4:5], 0, v[10:11]
	v_add_f64_e32 v[10:11], 0, v[2:3]
	s_wait_loadcnt 0x0
	s_delay_alu instid0(VALU_DEP_2) | instskip(NEXT) | instid1(VALU_DEP_2)
	v_add_f64_e64 v[2:3], v[6:7], -v[4:5]
	v_add_f64_e64 v[4:5], v[8:9], -v[10:11]
	scratch_store_b128 off, v[2:5], off offset:864
	v_cmpx_lt_u32_e32 52, v0
	s_cbranch_execz .LBB118_239
; %bb.238:
	scratch_load_b128 v[5:8], off, s14
	v_dual_mov_b32 v2, v1 :: v_dual_mov_b32 v3, v1
	v_mov_b32_e32 v4, v1
	scratch_store_b128 off, v[1:4], off offset:848
	s_wait_loadcnt 0x0
	ds_store_b128 v156, v[5:8]
.LBB118_239:
	s_wait_alu 0xfffe
	s_or_b32 exec_lo, exec_lo, s0
	s_wait_storecnt_dscnt 0x0
	s_barrier_signal -1
	s_barrier_wait -1
	global_inv scope:SCOPE_SE
	s_clause 0x2
	scratch_load_b128 v[2:5], off, off offset:864
	scratch_load_b128 v[6:9], off, off offset:880
	scratch_load_b128 v[10:13], off, off offset:848
	ds_load_b128 v[14:17], v1 offset:1728
	ds_load_b128 v[18:21], v1 offset:1744
	s_mov_b32 s0, exec_lo
	s_wait_loadcnt_dscnt 0x201
	v_mul_f64_e32 v[22:23], v[16:17], v[4:5]
	v_mul_f64_e32 v[4:5], v[14:15], v[4:5]
	s_wait_loadcnt_dscnt 0x100
	v_mul_f64_e32 v[24:25], v[18:19], v[8:9]
	v_mul_f64_e32 v[8:9], v[20:21], v[8:9]
	s_delay_alu instid0(VALU_DEP_4) | instskip(NEXT) | instid1(VALU_DEP_4)
	v_fma_f64 v[14:15], v[14:15], v[2:3], -v[22:23]
	v_fma_f64 v[1:2], v[16:17], v[2:3], v[4:5]
	s_delay_alu instid0(VALU_DEP_4) | instskip(NEXT) | instid1(VALU_DEP_4)
	v_fma_f64 v[3:4], v[20:21], v[6:7], v[24:25]
	v_fma_f64 v[5:6], v[18:19], v[6:7], -v[8:9]
	s_delay_alu instid0(VALU_DEP_4) | instskip(NEXT) | instid1(VALU_DEP_4)
	v_add_f64_e32 v[7:8], 0, v[14:15]
	v_add_f64_e32 v[1:2], 0, v[1:2]
	s_delay_alu instid0(VALU_DEP_2) | instskip(NEXT) | instid1(VALU_DEP_2)
	v_add_f64_e32 v[5:6], v[7:8], v[5:6]
	v_add_f64_e32 v[3:4], v[1:2], v[3:4]
	s_wait_loadcnt 0x0
	s_delay_alu instid0(VALU_DEP_2) | instskip(NEXT) | instid1(VALU_DEP_2)
	v_add_f64_e64 v[1:2], v[10:11], -v[5:6]
	v_add_f64_e64 v[3:4], v[12:13], -v[3:4]
	scratch_store_b128 off, v[1:4], off offset:848
	v_cmpx_lt_u32_e32 51, v0
	s_cbranch_execz .LBB118_241
; %bb.240:
	scratch_load_b128 v[1:4], off, s16
	v_mov_b32_e32 v5, 0
	s_delay_alu instid0(VALU_DEP_1)
	v_dual_mov_b32 v6, v5 :: v_dual_mov_b32 v7, v5
	v_mov_b32_e32 v8, v5
	scratch_store_b128 off, v[5:8], off offset:832
	s_wait_loadcnt 0x0
	ds_store_b128 v156, v[1:4]
.LBB118_241:
	s_wait_alu 0xfffe
	s_or_b32 exec_lo, exec_lo, s0
	s_wait_storecnt_dscnt 0x0
	s_barrier_signal -1
	s_barrier_wait -1
	global_inv scope:SCOPE_SE
	s_clause 0x3
	scratch_load_b128 v[2:5], off, off offset:848
	scratch_load_b128 v[6:9], off, off offset:864
	;; [unrolled: 1-line block ×4, first 2 shown]
	v_mov_b32_e32 v1, 0
	ds_load_b128 v[18:21], v1 offset:1712
	ds_load_b128 v[22:25], v1 offset:1728
	s_mov_b32 s0, exec_lo
	s_wait_loadcnt_dscnt 0x301
	v_mul_f64_e32 v[26:27], v[20:21], v[4:5]
	v_mul_f64_e32 v[4:5], v[18:19], v[4:5]
	s_wait_loadcnt_dscnt 0x200
	v_mul_f64_e32 v[28:29], v[22:23], v[8:9]
	v_mul_f64_e32 v[8:9], v[24:25], v[8:9]
	s_delay_alu instid0(VALU_DEP_4) | instskip(NEXT) | instid1(VALU_DEP_4)
	v_fma_f64 v[18:19], v[18:19], v[2:3], -v[26:27]
	v_fma_f64 v[20:21], v[20:21], v[2:3], v[4:5]
	ds_load_b128 v[2:5], v1 offset:1744
	v_fma_f64 v[24:25], v[24:25], v[6:7], v[28:29]
	v_fma_f64 v[6:7], v[22:23], v[6:7], -v[8:9]
	s_wait_loadcnt_dscnt 0x100
	v_mul_f64_e32 v[26:27], v[2:3], v[12:13]
	v_mul_f64_e32 v[12:13], v[4:5], v[12:13]
	v_add_f64_e32 v[8:9], 0, v[18:19]
	v_add_f64_e32 v[18:19], 0, v[20:21]
	s_delay_alu instid0(VALU_DEP_4) | instskip(NEXT) | instid1(VALU_DEP_4)
	v_fma_f64 v[4:5], v[4:5], v[10:11], v[26:27]
	v_fma_f64 v[2:3], v[2:3], v[10:11], -v[12:13]
	s_delay_alu instid0(VALU_DEP_4) | instskip(NEXT) | instid1(VALU_DEP_4)
	v_add_f64_e32 v[6:7], v[8:9], v[6:7]
	v_add_f64_e32 v[8:9], v[18:19], v[24:25]
	s_delay_alu instid0(VALU_DEP_2) | instskip(NEXT) | instid1(VALU_DEP_2)
	v_add_f64_e32 v[2:3], v[6:7], v[2:3]
	v_add_f64_e32 v[4:5], v[8:9], v[4:5]
	s_wait_loadcnt 0x0
	s_delay_alu instid0(VALU_DEP_2) | instskip(NEXT) | instid1(VALU_DEP_2)
	v_add_f64_e64 v[2:3], v[14:15], -v[2:3]
	v_add_f64_e64 v[4:5], v[16:17], -v[4:5]
	scratch_store_b128 off, v[2:5], off offset:832
	v_cmpx_lt_u32_e32 50, v0
	s_cbranch_execz .LBB118_243
; %bb.242:
	scratch_load_b128 v[5:8], off, s17
	v_dual_mov_b32 v2, v1 :: v_dual_mov_b32 v3, v1
	v_mov_b32_e32 v4, v1
	scratch_store_b128 off, v[1:4], off offset:816
	s_wait_loadcnt 0x0
	ds_store_b128 v156, v[5:8]
.LBB118_243:
	s_wait_alu 0xfffe
	s_or_b32 exec_lo, exec_lo, s0
	s_wait_storecnt_dscnt 0x0
	s_barrier_signal -1
	s_barrier_wait -1
	global_inv scope:SCOPE_SE
	s_clause 0x4
	scratch_load_b128 v[2:5], off, off offset:832
	scratch_load_b128 v[6:9], off, off offset:848
	scratch_load_b128 v[10:13], off, off offset:864
	scratch_load_b128 v[14:17], off, off offset:880
	scratch_load_b128 v[18:21], off, off offset:816
	ds_load_b128 v[22:25], v1 offset:1696
	ds_load_b128 v[26:29], v1 offset:1712
	s_mov_b32 s0, exec_lo
	s_wait_loadcnt_dscnt 0x401
	v_mul_f64_e32 v[30:31], v[24:25], v[4:5]
	v_mul_f64_e32 v[4:5], v[22:23], v[4:5]
	s_wait_loadcnt_dscnt 0x300
	v_mul_f64_e32 v[32:33], v[26:27], v[8:9]
	v_mul_f64_e32 v[8:9], v[28:29], v[8:9]
	s_delay_alu instid0(VALU_DEP_4) | instskip(NEXT) | instid1(VALU_DEP_4)
	v_fma_f64 v[30:31], v[22:23], v[2:3], -v[30:31]
	v_fma_f64 v[34:35], v[24:25], v[2:3], v[4:5]
	ds_load_b128 v[2:5], v1 offset:1728
	ds_load_b128 v[22:25], v1 offset:1744
	v_fma_f64 v[28:29], v[28:29], v[6:7], v[32:33]
	v_fma_f64 v[6:7], v[26:27], v[6:7], -v[8:9]
	s_wait_loadcnt_dscnt 0x201
	v_mul_f64_e32 v[36:37], v[2:3], v[12:13]
	v_mul_f64_e32 v[12:13], v[4:5], v[12:13]
	v_add_f64_e32 v[8:9], 0, v[30:31]
	v_add_f64_e32 v[26:27], 0, v[34:35]
	s_wait_loadcnt_dscnt 0x100
	v_mul_f64_e32 v[30:31], v[22:23], v[16:17]
	v_mul_f64_e32 v[16:17], v[24:25], v[16:17]
	v_fma_f64 v[4:5], v[4:5], v[10:11], v[36:37]
	v_fma_f64 v[1:2], v[2:3], v[10:11], -v[12:13]
	v_add_f64_e32 v[6:7], v[8:9], v[6:7]
	v_add_f64_e32 v[8:9], v[26:27], v[28:29]
	v_fma_f64 v[10:11], v[24:25], v[14:15], v[30:31]
	v_fma_f64 v[12:13], v[22:23], v[14:15], -v[16:17]
	s_delay_alu instid0(VALU_DEP_4) | instskip(NEXT) | instid1(VALU_DEP_4)
	v_add_f64_e32 v[1:2], v[6:7], v[1:2]
	v_add_f64_e32 v[3:4], v[8:9], v[4:5]
	s_delay_alu instid0(VALU_DEP_2) | instskip(NEXT) | instid1(VALU_DEP_2)
	v_add_f64_e32 v[1:2], v[1:2], v[12:13]
	v_add_f64_e32 v[3:4], v[3:4], v[10:11]
	s_wait_loadcnt 0x0
	s_delay_alu instid0(VALU_DEP_2) | instskip(NEXT) | instid1(VALU_DEP_2)
	v_add_f64_e64 v[1:2], v[18:19], -v[1:2]
	v_add_f64_e64 v[3:4], v[20:21], -v[3:4]
	scratch_store_b128 off, v[1:4], off offset:816
	v_cmpx_lt_u32_e32 49, v0
	s_cbranch_execz .LBB118_245
; %bb.244:
	scratch_load_b128 v[1:4], off, s18
	v_mov_b32_e32 v5, 0
	s_delay_alu instid0(VALU_DEP_1)
	v_dual_mov_b32 v6, v5 :: v_dual_mov_b32 v7, v5
	v_mov_b32_e32 v8, v5
	scratch_store_b128 off, v[5:8], off offset:800
	s_wait_loadcnt 0x0
	ds_store_b128 v156, v[1:4]
.LBB118_245:
	s_wait_alu 0xfffe
	s_or_b32 exec_lo, exec_lo, s0
	s_wait_storecnt_dscnt 0x0
	s_barrier_signal -1
	s_barrier_wait -1
	global_inv scope:SCOPE_SE
	s_clause 0x5
	scratch_load_b128 v[2:5], off, off offset:816
	scratch_load_b128 v[6:9], off, off offset:832
	;; [unrolled: 1-line block ×6, first 2 shown]
	v_mov_b32_e32 v1, 0
	ds_load_b128 v[26:29], v1 offset:1680
	ds_load_b128 v[30:33], v1 offset:1696
	s_mov_b32 s0, exec_lo
	s_wait_loadcnt_dscnt 0x501
	v_mul_f64_e32 v[34:35], v[28:29], v[4:5]
	v_mul_f64_e32 v[4:5], v[26:27], v[4:5]
	s_wait_loadcnt_dscnt 0x400
	v_mul_f64_e32 v[36:37], v[30:31], v[8:9]
	v_mul_f64_e32 v[8:9], v[32:33], v[8:9]
	s_delay_alu instid0(VALU_DEP_4) | instskip(NEXT) | instid1(VALU_DEP_4)
	v_fma_f64 v[34:35], v[26:27], v[2:3], -v[34:35]
	v_fma_f64 v[38:39], v[28:29], v[2:3], v[4:5]
	ds_load_b128 v[2:5], v1 offset:1712
	ds_load_b128 v[26:29], v1 offset:1728
	v_fma_f64 v[32:33], v[32:33], v[6:7], v[36:37]
	v_fma_f64 v[6:7], v[30:31], v[6:7], -v[8:9]
	s_wait_loadcnt_dscnt 0x301
	v_mul_f64_e32 v[40:41], v[2:3], v[12:13]
	v_mul_f64_e32 v[12:13], v[4:5], v[12:13]
	v_add_f64_e32 v[8:9], 0, v[34:35]
	v_add_f64_e32 v[30:31], 0, v[38:39]
	s_wait_loadcnt_dscnt 0x200
	v_mul_f64_e32 v[34:35], v[26:27], v[16:17]
	v_mul_f64_e32 v[16:17], v[28:29], v[16:17]
	v_fma_f64 v[36:37], v[4:5], v[10:11], v[40:41]
	v_fma_f64 v[10:11], v[2:3], v[10:11], -v[12:13]
	ds_load_b128 v[2:5], v1 offset:1744
	v_add_f64_e32 v[6:7], v[8:9], v[6:7]
	v_add_f64_e32 v[8:9], v[30:31], v[32:33]
	v_fma_f64 v[28:29], v[28:29], v[14:15], v[34:35]
	v_fma_f64 v[14:15], v[26:27], v[14:15], -v[16:17]
	s_wait_loadcnt_dscnt 0x100
	v_mul_f64_e32 v[12:13], v[2:3], v[20:21]
	v_mul_f64_e32 v[20:21], v[4:5], v[20:21]
	v_add_f64_e32 v[6:7], v[6:7], v[10:11]
	v_add_f64_e32 v[8:9], v[8:9], v[36:37]
	s_delay_alu instid0(VALU_DEP_4) | instskip(NEXT) | instid1(VALU_DEP_4)
	v_fma_f64 v[4:5], v[4:5], v[18:19], v[12:13]
	v_fma_f64 v[2:3], v[2:3], v[18:19], -v[20:21]
	s_delay_alu instid0(VALU_DEP_4) | instskip(NEXT) | instid1(VALU_DEP_4)
	v_add_f64_e32 v[6:7], v[6:7], v[14:15]
	v_add_f64_e32 v[8:9], v[8:9], v[28:29]
	s_delay_alu instid0(VALU_DEP_2) | instskip(NEXT) | instid1(VALU_DEP_2)
	v_add_f64_e32 v[2:3], v[6:7], v[2:3]
	v_add_f64_e32 v[4:5], v[8:9], v[4:5]
	s_wait_loadcnt 0x0
	s_delay_alu instid0(VALU_DEP_2) | instskip(NEXT) | instid1(VALU_DEP_2)
	v_add_f64_e64 v[2:3], v[22:23], -v[2:3]
	v_add_f64_e64 v[4:5], v[24:25], -v[4:5]
	scratch_store_b128 off, v[2:5], off offset:800
	v_cmpx_lt_u32_e32 48, v0
	s_cbranch_execz .LBB118_247
; %bb.246:
	scratch_load_b128 v[5:8], off, s19
	v_dual_mov_b32 v2, v1 :: v_dual_mov_b32 v3, v1
	v_mov_b32_e32 v4, v1
	scratch_store_b128 off, v[1:4], off offset:784
	s_wait_loadcnt 0x0
	ds_store_b128 v156, v[5:8]
.LBB118_247:
	s_wait_alu 0xfffe
	s_or_b32 exec_lo, exec_lo, s0
	s_wait_storecnt_dscnt 0x0
	s_barrier_signal -1
	s_barrier_wait -1
	global_inv scope:SCOPE_SE
	s_clause 0x5
	scratch_load_b128 v[2:5], off, off offset:800
	scratch_load_b128 v[6:9], off, off offset:816
	;; [unrolled: 1-line block ×6, first 2 shown]
	ds_load_b128 v[26:29], v1 offset:1664
	ds_load_b128 v[34:37], v1 offset:1680
	scratch_load_b128 v[30:33], off, off offset:784
	s_mov_b32 s0, exec_lo
	s_wait_loadcnt_dscnt 0x601
	v_mul_f64_e32 v[38:39], v[28:29], v[4:5]
	v_mul_f64_e32 v[4:5], v[26:27], v[4:5]
	s_wait_loadcnt_dscnt 0x500
	v_mul_f64_e32 v[40:41], v[34:35], v[8:9]
	v_mul_f64_e32 v[8:9], v[36:37], v[8:9]
	s_delay_alu instid0(VALU_DEP_4) | instskip(NEXT) | instid1(VALU_DEP_4)
	v_fma_f64 v[38:39], v[26:27], v[2:3], -v[38:39]
	v_fma_f64 v[42:43], v[28:29], v[2:3], v[4:5]
	ds_load_b128 v[2:5], v1 offset:1696
	ds_load_b128 v[26:29], v1 offset:1712
	v_fma_f64 v[36:37], v[36:37], v[6:7], v[40:41]
	v_fma_f64 v[6:7], v[34:35], v[6:7], -v[8:9]
	s_wait_loadcnt_dscnt 0x401
	v_mul_f64_e32 v[44:45], v[2:3], v[12:13]
	v_mul_f64_e32 v[12:13], v[4:5], v[12:13]
	v_add_f64_e32 v[8:9], 0, v[38:39]
	v_add_f64_e32 v[34:35], 0, v[42:43]
	s_wait_loadcnt_dscnt 0x300
	v_mul_f64_e32 v[38:39], v[26:27], v[16:17]
	v_mul_f64_e32 v[16:17], v[28:29], v[16:17]
	v_fma_f64 v[40:41], v[4:5], v[10:11], v[44:45]
	v_fma_f64 v[10:11], v[2:3], v[10:11], -v[12:13]
	v_add_f64_e32 v[12:13], v[8:9], v[6:7]
	v_add_f64_e32 v[34:35], v[34:35], v[36:37]
	ds_load_b128 v[2:5], v1 offset:1728
	ds_load_b128 v[6:9], v1 offset:1744
	v_fma_f64 v[28:29], v[28:29], v[14:15], v[38:39]
	v_fma_f64 v[14:15], v[26:27], v[14:15], -v[16:17]
	s_wait_loadcnt_dscnt 0x201
	v_mul_f64_e32 v[36:37], v[2:3], v[20:21]
	v_mul_f64_e32 v[20:21], v[4:5], v[20:21]
	s_wait_loadcnt_dscnt 0x100
	v_mul_f64_e32 v[16:17], v[6:7], v[24:25]
	v_mul_f64_e32 v[24:25], v[8:9], v[24:25]
	v_add_f64_e32 v[10:11], v[12:13], v[10:11]
	v_add_f64_e32 v[12:13], v[34:35], v[40:41]
	v_fma_f64 v[4:5], v[4:5], v[18:19], v[36:37]
	v_fma_f64 v[1:2], v[2:3], v[18:19], -v[20:21]
	v_fma_f64 v[8:9], v[8:9], v[22:23], v[16:17]
	v_fma_f64 v[6:7], v[6:7], v[22:23], -v[24:25]
	v_add_f64_e32 v[10:11], v[10:11], v[14:15]
	v_add_f64_e32 v[12:13], v[12:13], v[28:29]
	s_delay_alu instid0(VALU_DEP_2) | instskip(NEXT) | instid1(VALU_DEP_2)
	v_add_f64_e32 v[1:2], v[10:11], v[1:2]
	v_add_f64_e32 v[3:4], v[12:13], v[4:5]
	s_delay_alu instid0(VALU_DEP_2) | instskip(NEXT) | instid1(VALU_DEP_2)
	v_add_f64_e32 v[1:2], v[1:2], v[6:7]
	v_add_f64_e32 v[3:4], v[3:4], v[8:9]
	s_wait_loadcnt 0x0
	s_delay_alu instid0(VALU_DEP_2) | instskip(NEXT) | instid1(VALU_DEP_2)
	v_add_f64_e64 v[1:2], v[30:31], -v[1:2]
	v_add_f64_e64 v[3:4], v[32:33], -v[3:4]
	scratch_store_b128 off, v[1:4], off offset:784
	v_cmpx_lt_u32_e32 47, v0
	s_cbranch_execz .LBB118_249
; %bb.248:
	scratch_load_b128 v[1:4], off, s20
	v_mov_b32_e32 v5, 0
	s_delay_alu instid0(VALU_DEP_1)
	v_dual_mov_b32 v6, v5 :: v_dual_mov_b32 v7, v5
	v_mov_b32_e32 v8, v5
	scratch_store_b128 off, v[5:8], off offset:768
	s_wait_loadcnt 0x0
	ds_store_b128 v156, v[1:4]
.LBB118_249:
	s_wait_alu 0xfffe
	s_or_b32 exec_lo, exec_lo, s0
	s_wait_storecnt_dscnt 0x0
	s_barrier_signal -1
	s_barrier_wait -1
	global_inv scope:SCOPE_SE
	s_clause 0x6
	scratch_load_b128 v[2:5], off, off offset:784
	scratch_load_b128 v[6:9], off, off offset:800
	;; [unrolled: 1-line block ×7, first 2 shown]
	v_mov_b32_e32 v1, 0
	scratch_load_b128 v[34:37], off, off offset:768
	s_mov_b32 s0, exec_lo
	ds_load_b128 v[30:33], v1 offset:1648
	ds_load_b128 v[38:41], v1 offset:1664
	s_wait_loadcnt_dscnt 0x701
	v_mul_f64_e32 v[42:43], v[32:33], v[4:5]
	v_mul_f64_e32 v[4:5], v[30:31], v[4:5]
	s_wait_loadcnt_dscnt 0x600
	v_mul_f64_e32 v[44:45], v[38:39], v[8:9]
	v_mul_f64_e32 v[8:9], v[40:41], v[8:9]
	s_delay_alu instid0(VALU_DEP_4) | instskip(NEXT) | instid1(VALU_DEP_4)
	v_fma_f64 v[42:43], v[30:31], v[2:3], -v[42:43]
	v_fma_f64 v[157:158], v[32:33], v[2:3], v[4:5]
	ds_load_b128 v[2:5], v1 offset:1680
	ds_load_b128 v[30:33], v1 offset:1696
	v_fma_f64 v[40:41], v[40:41], v[6:7], v[44:45]
	v_fma_f64 v[6:7], v[38:39], v[6:7], -v[8:9]
	s_wait_loadcnt_dscnt 0x501
	v_mul_f64_e32 v[159:160], v[2:3], v[12:13]
	v_mul_f64_e32 v[12:13], v[4:5], v[12:13]
	v_add_f64_e32 v[8:9], 0, v[42:43]
	v_add_f64_e32 v[38:39], 0, v[157:158]
	s_wait_loadcnt_dscnt 0x400
	v_mul_f64_e32 v[42:43], v[30:31], v[16:17]
	v_mul_f64_e32 v[16:17], v[32:33], v[16:17]
	v_fma_f64 v[44:45], v[4:5], v[10:11], v[159:160]
	v_fma_f64 v[10:11], v[2:3], v[10:11], -v[12:13]
	v_add_f64_e32 v[12:13], v[8:9], v[6:7]
	v_add_f64_e32 v[38:39], v[38:39], v[40:41]
	ds_load_b128 v[2:5], v1 offset:1712
	ds_load_b128 v[6:9], v1 offset:1728
	v_fma_f64 v[32:33], v[32:33], v[14:15], v[42:43]
	v_fma_f64 v[14:15], v[30:31], v[14:15], -v[16:17]
	s_wait_loadcnt_dscnt 0x301
	v_mul_f64_e32 v[40:41], v[2:3], v[20:21]
	v_mul_f64_e32 v[20:21], v[4:5], v[20:21]
	s_wait_loadcnt_dscnt 0x200
	v_mul_f64_e32 v[16:17], v[6:7], v[24:25]
	v_mul_f64_e32 v[24:25], v[8:9], v[24:25]
	v_add_f64_e32 v[10:11], v[12:13], v[10:11]
	v_add_f64_e32 v[12:13], v[38:39], v[44:45]
	v_fma_f64 v[30:31], v[4:5], v[18:19], v[40:41]
	v_fma_f64 v[18:19], v[2:3], v[18:19], -v[20:21]
	ds_load_b128 v[2:5], v1 offset:1744
	v_fma_f64 v[8:9], v[8:9], v[22:23], v[16:17]
	v_fma_f64 v[6:7], v[6:7], v[22:23], -v[24:25]
	v_add_f64_e32 v[10:11], v[10:11], v[14:15]
	v_add_f64_e32 v[12:13], v[12:13], v[32:33]
	s_wait_loadcnt_dscnt 0x100
	v_mul_f64_e32 v[14:15], v[2:3], v[28:29]
	v_mul_f64_e32 v[20:21], v[4:5], v[28:29]
	s_delay_alu instid0(VALU_DEP_4) | instskip(NEXT) | instid1(VALU_DEP_4)
	v_add_f64_e32 v[10:11], v[10:11], v[18:19]
	v_add_f64_e32 v[12:13], v[12:13], v[30:31]
	s_delay_alu instid0(VALU_DEP_4) | instskip(NEXT) | instid1(VALU_DEP_4)
	v_fma_f64 v[4:5], v[4:5], v[26:27], v[14:15]
	v_fma_f64 v[2:3], v[2:3], v[26:27], -v[20:21]
	s_delay_alu instid0(VALU_DEP_4) | instskip(NEXT) | instid1(VALU_DEP_4)
	v_add_f64_e32 v[6:7], v[10:11], v[6:7]
	v_add_f64_e32 v[8:9], v[12:13], v[8:9]
	s_delay_alu instid0(VALU_DEP_2) | instskip(NEXT) | instid1(VALU_DEP_2)
	v_add_f64_e32 v[2:3], v[6:7], v[2:3]
	v_add_f64_e32 v[4:5], v[8:9], v[4:5]
	s_wait_loadcnt 0x0
	s_delay_alu instid0(VALU_DEP_2) | instskip(NEXT) | instid1(VALU_DEP_2)
	v_add_f64_e64 v[2:3], v[34:35], -v[2:3]
	v_add_f64_e64 v[4:5], v[36:37], -v[4:5]
	scratch_store_b128 off, v[2:5], off offset:768
	v_cmpx_lt_u32_e32 46, v0
	s_cbranch_execz .LBB118_251
; %bb.250:
	scratch_load_b128 v[5:8], off, s21
	v_dual_mov_b32 v2, v1 :: v_dual_mov_b32 v3, v1
	v_mov_b32_e32 v4, v1
	scratch_store_b128 off, v[1:4], off offset:752
	s_wait_loadcnt 0x0
	ds_store_b128 v156, v[5:8]
.LBB118_251:
	s_wait_alu 0xfffe
	s_or_b32 exec_lo, exec_lo, s0
	s_wait_storecnt_dscnt 0x0
	s_barrier_signal -1
	s_barrier_wait -1
	global_inv scope:SCOPE_SE
	s_clause 0x7
	scratch_load_b128 v[2:5], off, off offset:768
	scratch_load_b128 v[6:9], off, off offset:784
	scratch_load_b128 v[10:13], off, off offset:800
	scratch_load_b128 v[14:17], off, off offset:816
	scratch_load_b128 v[18:21], off, off offset:832
	scratch_load_b128 v[22:25], off, off offset:848
	scratch_load_b128 v[26:29], off, off offset:864
	scratch_load_b128 v[30:33], off, off offset:880
	ds_load_b128 v[34:37], v1 offset:1632
	ds_load_b128 v[38:41], v1 offset:1648
	scratch_load_b128 v[42:45], off, off offset:752
	s_mov_b32 s0, exec_lo
	s_wait_loadcnt_dscnt 0x801
	v_mul_f64_e32 v[157:158], v[36:37], v[4:5]
	v_mul_f64_e32 v[4:5], v[34:35], v[4:5]
	s_wait_loadcnt_dscnt 0x700
	v_mul_f64_e32 v[159:160], v[38:39], v[8:9]
	v_mul_f64_e32 v[8:9], v[40:41], v[8:9]
	s_delay_alu instid0(VALU_DEP_4) | instskip(NEXT) | instid1(VALU_DEP_4)
	v_fma_f64 v[157:158], v[34:35], v[2:3], -v[157:158]
	v_fma_f64 v[161:162], v[36:37], v[2:3], v[4:5]
	ds_load_b128 v[2:5], v1 offset:1664
	ds_load_b128 v[34:37], v1 offset:1680
	v_fma_f64 v[40:41], v[40:41], v[6:7], v[159:160]
	v_fma_f64 v[6:7], v[38:39], v[6:7], -v[8:9]
	s_wait_loadcnt_dscnt 0x601
	v_mul_f64_e32 v[163:164], v[2:3], v[12:13]
	v_mul_f64_e32 v[12:13], v[4:5], v[12:13]
	v_add_f64_e32 v[8:9], 0, v[157:158]
	v_add_f64_e32 v[38:39], 0, v[161:162]
	s_wait_loadcnt_dscnt 0x500
	v_mul_f64_e32 v[157:158], v[34:35], v[16:17]
	v_mul_f64_e32 v[16:17], v[36:37], v[16:17]
	v_fma_f64 v[159:160], v[4:5], v[10:11], v[163:164]
	v_fma_f64 v[10:11], v[2:3], v[10:11], -v[12:13]
	v_add_f64_e32 v[12:13], v[8:9], v[6:7]
	v_add_f64_e32 v[38:39], v[38:39], v[40:41]
	ds_load_b128 v[2:5], v1 offset:1696
	ds_load_b128 v[6:9], v1 offset:1712
	v_fma_f64 v[36:37], v[36:37], v[14:15], v[157:158]
	v_fma_f64 v[14:15], v[34:35], v[14:15], -v[16:17]
	s_wait_loadcnt_dscnt 0x401
	v_mul_f64_e32 v[40:41], v[2:3], v[20:21]
	v_mul_f64_e32 v[20:21], v[4:5], v[20:21]
	s_wait_loadcnt_dscnt 0x300
	v_mul_f64_e32 v[16:17], v[6:7], v[24:25]
	v_mul_f64_e32 v[24:25], v[8:9], v[24:25]
	v_add_f64_e32 v[10:11], v[12:13], v[10:11]
	v_add_f64_e32 v[12:13], v[38:39], v[159:160]
	v_fma_f64 v[34:35], v[4:5], v[18:19], v[40:41]
	v_fma_f64 v[18:19], v[2:3], v[18:19], -v[20:21]
	v_fma_f64 v[8:9], v[8:9], v[22:23], v[16:17]
	v_fma_f64 v[6:7], v[6:7], v[22:23], -v[24:25]
	v_add_f64_e32 v[14:15], v[10:11], v[14:15]
	v_add_f64_e32 v[20:21], v[12:13], v[36:37]
	ds_load_b128 v[2:5], v1 offset:1728
	ds_load_b128 v[10:13], v1 offset:1744
	s_wait_loadcnt_dscnt 0x201
	v_mul_f64_e32 v[36:37], v[2:3], v[28:29]
	v_mul_f64_e32 v[28:29], v[4:5], v[28:29]
	v_add_f64_e32 v[14:15], v[14:15], v[18:19]
	v_add_f64_e32 v[16:17], v[20:21], v[34:35]
	s_wait_loadcnt_dscnt 0x100
	v_mul_f64_e32 v[18:19], v[10:11], v[32:33]
	v_mul_f64_e32 v[20:21], v[12:13], v[32:33]
	v_fma_f64 v[4:5], v[4:5], v[26:27], v[36:37]
	v_fma_f64 v[1:2], v[2:3], v[26:27], -v[28:29]
	v_add_f64_e32 v[6:7], v[14:15], v[6:7]
	v_add_f64_e32 v[8:9], v[16:17], v[8:9]
	v_fma_f64 v[12:13], v[12:13], v[30:31], v[18:19]
	v_fma_f64 v[10:11], v[10:11], v[30:31], -v[20:21]
	s_delay_alu instid0(VALU_DEP_4) | instskip(NEXT) | instid1(VALU_DEP_4)
	v_add_f64_e32 v[1:2], v[6:7], v[1:2]
	v_add_f64_e32 v[3:4], v[8:9], v[4:5]
	s_delay_alu instid0(VALU_DEP_2) | instskip(NEXT) | instid1(VALU_DEP_2)
	v_add_f64_e32 v[1:2], v[1:2], v[10:11]
	v_add_f64_e32 v[3:4], v[3:4], v[12:13]
	s_wait_loadcnt 0x0
	s_delay_alu instid0(VALU_DEP_2) | instskip(NEXT) | instid1(VALU_DEP_2)
	v_add_f64_e64 v[1:2], v[42:43], -v[1:2]
	v_add_f64_e64 v[3:4], v[44:45], -v[3:4]
	scratch_store_b128 off, v[1:4], off offset:752
	v_cmpx_lt_u32_e32 45, v0
	s_cbranch_execz .LBB118_253
; %bb.252:
	scratch_load_b128 v[1:4], off, s22
	v_mov_b32_e32 v5, 0
	s_delay_alu instid0(VALU_DEP_1)
	v_dual_mov_b32 v6, v5 :: v_dual_mov_b32 v7, v5
	v_mov_b32_e32 v8, v5
	scratch_store_b128 off, v[5:8], off offset:736
	s_wait_loadcnt 0x0
	ds_store_b128 v156, v[1:4]
.LBB118_253:
	s_wait_alu 0xfffe
	s_or_b32 exec_lo, exec_lo, s0
	s_wait_storecnt_dscnt 0x0
	s_barrier_signal -1
	s_barrier_wait -1
	global_inv scope:SCOPE_SE
	s_clause 0x7
	scratch_load_b128 v[2:5], off, off offset:752
	scratch_load_b128 v[6:9], off, off offset:768
	;; [unrolled: 1-line block ×8, first 2 shown]
	v_mov_b32_e32 v1, 0
	scratch_load_b128 v[38:41], off, off offset:880
	s_mov_b32 s0, exec_lo
	ds_load_b128 v[34:37], v1 offset:1616
	ds_load_b128 v[42:45], v1 offset:1632
	s_wait_loadcnt_dscnt 0x801
	v_mul_f64_e32 v[157:158], v[36:37], v[4:5]
	v_mul_f64_e32 v[4:5], v[34:35], v[4:5]
	s_wait_loadcnt_dscnt 0x700
	v_mul_f64_e32 v[159:160], v[42:43], v[8:9]
	v_mul_f64_e32 v[8:9], v[44:45], v[8:9]
	s_delay_alu instid0(VALU_DEP_4) | instskip(NEXT) | instid1(VALU_DEP_4)
	v_fma_f64 v[34:35], v[34:35], v[2:3], -v[157:158]
	v_fma_f64 v[36:37], v[36:37], v[2:3], v[4:5]
	ds_load_b128 v[2:5], v1 offset:1648
	v_fma_f64 v[44:45], v[44:45], v[6:7], v[159:160]
	v_fma_f64 v[42:43], v[42:43], v[6:7], -v[8:9]
	ds_load_b128 v[6:9], v1 offset:1664
	s_wait_loadcnt_dscnt 0x601
	v_mul_f64_e32 v[157:158], v[2:3], v[12:13]
	v_mul_f64_e32 v[12:13], v[4:5], v[12:13]
	s_wait_loadcnt_dscnt 0x500
	v_mul_f64_e32 v[163:164], v[6:7], v[16:17]
	v_mul_f64_e32 v[16:17], v[8:9], v[16:17]
	v_add_f64_e32 v[159:160], 0, v[34:35]
	v_add_f64_e32 v[161:162], 0, v[36:37]
	scratch_load_b128 v[34:37], off, off offset:736
	v_fma_f64 v[157:158], v[4:5], v[10:11], v[157:158]
	v_fma_f64 v[10:11], v[2:3], v[10:11], -v[12:13]
	ds_load_b128 v[2:5], v1 offset:1680
	v_add_f64_e32 v[12:13], v[159:160], v[42:43]
	v_add_f64_e32 v[42:43], v[161:162], v[44:45]
	v_fma_f64 v[159:160], v[8:9], v[14:15], v[163:164]
	v_fma_f64 v[14:15], v[6:7], v[14:15], -v[16:17]
	ds_load_b128 v[6:9], v1 offset:1696
	s_wait_loadcnt_dscnt 0x501
	v_mul_f64_e32 v[44:45], v[2:3], v[20:21]
	v_mul_f64_e32 v[20:21], v[4:5], v[20:21]
	s_wait_loadcnt_dscnt 0x400
	v_mul_f64_e32 v[16:17], v[6:7], v[24:25]
	v_mul_f64_e32 v[24:25], v[8:9], v[24:25]
	v_add_f64_e32 v[10:11], v[12:13], v[10:11]
	v_add_f64_e32 v[12:13], v[42:43], v[157:158]
	v_fma_f64 v[42:43], v[4:5], v[18:19], v[44:45]
	v_fma_f64 v[18:19], v[2:3], v[18:19], -v[20:21]
	ds_load_b128 v[2:5], v1 offset:1712
	v_fma_f64 v[16:17], v[8:9], v[22:23], v[16:17]
	v_fma_f64 v[22:23], v[6:7], v[22:23], -v[24:25]
	ds_load_b128 v[6:9], v1 offset:1728
	s_wait_loadcnt_dscnt 0x301
	v_mul_f64_e32 v[20:21], v[4:5], v[28:29]
	v_add_f64_e32 v[10:11], v[10:11], v[14:15]
	v_add_f64_e32 v[12:13], v[12:13], v[159:160]
	v_mul_f64_e32 v[14:15], v[2:3], v[28:29]
	s_wait_loadcnt_dscnt 0x200
	v_mul_f64_e32 v[24:25], v[8:9], v[32:33]
	v_fma_f64 v[20:21], v[2:3], v[26:27], -v[20:21]
	v_add_f64_e32 v[10:11], v[10:11], v[18:19]
	v_add_f64_e32 v[12:13], v[12:13], v[42:43]
	v_mul_f64_e32 v[18:19], v[6:7], v[32:33]
	v_fma_f64 v[14:15], v[4:5], v[26:27], v[14:15]
	ds_load_b128 v[2:5], v1 offset:1744
	v_fma_f64 v[6:7], v[6:7], v[30:31], -v[24:25]
	v_add_f64_e32 v[10:11], v[10:11], v[22:23]
	v_add_f64_e32 v[12:13], v[12:13], v[16:17]
	s_wait_loadcnt_dscnt 0x100
	v_mul_f64_e32 v[16:17], v[2:3], v[40:41]
	v_mul_f64_e32 v[22:23], v[4:5], v[40:41]
	v_fma_f64 v[8:9], v[8:9], v[30:31], v[18:19]
	v_add_f64_e32 v[10:11], v[10:11], v[20:21]
	v_add_f64_e32 v[12:13], v[12:13], v[14:15]
	v_fma_f64 v[4:5], v[4:5], v[38:39], v[16:17]
	v_fma_f64 v[2:3], v[2:3], v[38:39], -v[22:23]
	s_delay_alu instid0(VALU_DEP_4) | instskip(NEXT) | instid1(VALU_DEP_4)
	v_add_f64_e32 v[6:7], v[10:11], v[6:7]
	v_add_f64_e32 v[8:9], v[12:13], v[8:9]
	s_delay_alu instid0(VALU_DEP_2) | instskip(NEXT) | instid1(VALU_DEP_2)
	v_add_f64_e32 v[2:3], v[6:7], v[2:3]
	v_add_f64_e32 v[4:5], v[8:9], v[4:5]
	s_wait_loadcnt 0x0
	s_delay_alu instid0(VALU_DEP_2) | instskip(NEXT) | instid1(VALU_DEP_2)
	v_add_f64_e64 v[2:3], v[34:35], -v[2:3]
	v_add_f64_e64 v[4:5], v[36:37], -v[4:5]
	scratch_store_b128 off, v[2:5], off offset:736
	v_cmpx_lt_u32_e32 44, v0
	s_cbranch_execz .LBB118_255
; %bb.254:
	scratch_load_b128 v[5:8], off, s23
	v_dual_mov_b32 v2, v1 :: v_dual_mov_b32 v3, v1
	v_mov_b32_e32 v4, v1
	scratch_store_b128 off, v[1:4], off offset:720
	s_wait_loadcnt 0x0
	ds_store_b128 v156, v[5:8]
.LBB118_255:
	s_wait_alu 0xfffe
	s_or_b32 exec_lo, exec_lo, s0
	s_wait_storecnt_dscnt 0x0
	s_barrier_signal -1
	s_barrier_wait -1
	global_inv scope:SCOPE_SE
	s_clause 0x7
	scratch_load_b128 v[2:5], off, off offset:736
	scratch_load_b128 v[6:9], off, off offset:752
	;; [unrolled: 1-line block ×8, first 2 shown]
	ds_load_b128 v[34:37], v1 offset:1600
	ds_load_b128 v[42:45], v1 offset:1616
	s_clause 0x1
	scratch_load_b128 v[38:41], off, off offset:864
	scratch_load_b128 v[157:160], off, off offset:880
	s_mov_b32 s0, exec_lo
	s_wait_loadcnt_dscnt 0x901
	v_mul_f64_e32 v[161:162], v[36:37], v[4:5]
	v_mul_f64_e32 v[4:5], v[34:35], v[4:5]
	s_wait_loadcnt_dscnt 0x800
	v_mul_f64_e32 v[163:164], v[42:43], v[8:9]
	v_mul_f64_e32 v[8:9], v[44:45], v[8:9]
	s_delay_alu instid0(VALU_DEP_4) | instskip(NEXT) | instid1(VALU_DEP_4)
	v_fma_f64 v[34:35], v[34:35], v[2:3], -v[161:162]
	v_fma_f64 v[36:37], v[36:37], v[2:3], v[4:5]
	ds_load_b128 v[2:5], v1 offset:1632
	v_fma_f64 v[44:45], v[44:45], v[6:7], v[163:164]
	v_fma_f64 v[42:43], v[42:43], v[6:7], -v[8:9]
	ds_load_b128 v[6:9], v1 offset:1648
	s_wait_loadcnt_dscnt 0x701
	v_mul_f64_e32 v[161:162], v[2:3], v[12:13]
	v_mul_f64_e32 v[12:13], v[4:5], v[12:13]
	s_wait_loadcnt_dscnt 0x600
	v_mul_f64_e32 v[163:164], v[6:7], v[16:17]
	v_mul_f64_e32 v[16:17], v[8:9], v[16:17]
	v_add_f64_e32 v[34:35], 0, v[34:35]
	v_add_f64_e32 v[36:37], 0, v[36:37]
	v_fma_f64 v[161:162], v[4:5], v[10:11], v[161:162]
	v_fma_f64 v[165:166], v[2:3], v[10:11], -v[12:13]
	ds_load_b128 v[2:5], v1 offset:1664
	scratch_load_b128 v[10:13], off, off offset:720
	v_add_f64_e32 v[34:35], v[34:35], v[42:43]
	v_add_f64_e32 v[36:37], v[36:37], v[44:45]
	v_fma_f64 v[44:45], v[8:9], v[14:15], v[163:164]
	v_fma_f64 v[14:15], v[6:7], v[14:15], -v[16:17]
	ds_load_b128 v[6:9], v1 offset:1680
	s_wait_loadcnt_dscnt 0x601
	v_mul_f64_e32 v[42:43], v[2:3], v[20:21]
	v_mul_f64_e32 v[20:21], v[4:5], v[20:21]
	v_add_f64_e32 v[16:17], v[34:35], v[165:166]
	v_add_f64_e32 v[34:35], v[36:37], v[161:162]
	s_wait_loadcnt_dscnt 0x500
	v_mul_f64_e32 v[36:37], v[6:7], v[24:25]
	v_mul_f64_e32 v[24:25], v[8:9], v[24:25]
	v_fma_f64 v[42:43], v[4:5], v[18:19], v[42:43]
	v_fma_f64 v[18:19], v[2:3], v[18:19], -v[20:21]
	ds_load_b128 v[2:5], v1 offset:1696
	v_add_f64_e32 v[14:15], v[16:17], v[14:15]
	v_add_f64_e32 v[16:17], v[34:35], v[44:45]
	v_fma_f64 v[34:35], v[8:9], v[22:23], v[36:37]
	v_fma_f64 v[22:23], v[6:7], v[22:23], -v[24:25]
	ds_load_b128 v[6:9], v1 offset:1712
	s_wait_loadcnt_dscnt 0x401
	v_mul_f64_e32 v[20:21], v[2:3], v[28:29]
	v_mul_f64_e32 v[28:29], v[4:5], v[28:29]
	s_wait_loadcnt_dscnt 0x300
	v_mul_f64_e32 v[24:25], v[8:9], v[32:33]
	v_add_f64_e32 v[14:15], v[14:15], v[18:19]
	v_add_f64_e32 v[16:17], v[16:17], v[42:43]
	v_mul_f64_e32 v[18:19], v[6:7], v[32:33]
	v_fma_f64 v[20:21], v[4:5], v[26:27], v[20:21]
	v_fma_f64 v[26:27], v[2:3], v[26:27], -v[28:29]
	ds_load_b128 v[2:5], v1 offset:1728
	v_fma_f64 v[24:25], v[6:7], v[30:31], -v[24:25]
	v_add_f64_e32 v[14:15], v[14:15], v[22:23]
	v_add_f64_e32 v[16:17], v[16:17], v[34:35]
	v_fma_f64 v[18:19], v[8:9], v[30:31], v[18:19]
	ds_load_b128 v[6:9], v1 offset:1744
	s_wait_loadcnt_dscnt 0x201
	v_mul_f64_e32 v[22:23], v[2:3], v[40:41]
	v_mul_f64_e32 v[28:29], v[4:5], v[40:41]
	v_add_f64_e32 v[14:15], v[14:15], v[26:27]
	v_add_f64_e32 v[16:17], v[16:17], v[20:21]
	s_wait_loadcnt_dscnt 0x100
	v_mul_f64_e32 v[20:21], v[6:7], v[159:160]
	v_mul_f64_e32 v[26:27], v[8:9], v[159:160]
	v_fma_f64 v[4:5], v[4:5], v[38:39], v[22:23]
	v_fma_f64 v[1:2], v[2:3], v[38:39], -v[28:29]
	v_add_f64_e32 v[14:15], v[14:15], v[24:25]
	v_add_f64_e32 v[16:17], v[16:17], v[18:19]
	v_fma_f64 v[8:9], v[8:9], v[157:158], v[20:21]
	v_fma_f64 v[6:7], v[6:7], v[157:158], -v[26:27]
	s_delay_alu instid0(VALU_DEP_4) | instskip(NEXT) | instid1(VALU_DEP_4)
	v_add_f64_e32 v[1:2], v[14:15], v[1:2]
	v_add_f64_e32 v[3:4], v[16:17], v[4:5]
	s_delay_alu instid0(VALU_DEP_2) | instskip(NEXT) | instid1(VALU_DEP_2)
	v_add_f64_e32 v[1:2], v[1:2], v[6:7]
	v_add_f64_e32 v[3:4], v[3:4], v[8:9]
	s_wait_loadcnt 0x0
	s_delay_alu instid0(VALU_DEP_2) | instskip(NEXT) | instid1(VALU_DEP_2)
	v_add_f64_e64 v[1:2], v[10:11], -v[1:2]
	v_add_f64_e64 v[3:4], v[12:13], -v[3:4]
	scratch_store_b128 off, v[1:4], off offset:720
	v_cmpx_lt_u32_e32 43, v0
	s_cbranch_execz .LBB118_257
; %bb.256:
	scratch_load_b128 v[1:4], off, s24
	v_mov_b32_e32 v5, 0
	s_delay_alu instid0(VALU_DEP_1)
	v_dual_mov_b32 v6, v5 :: v_dual_mov_b32 v7, v5
	v_mov_b32_e32 v8, v5
	scratch_store_b128 off, v[5:8], off offset:704
	s_wait_loadcnt 0x0
	ds_store_b128 v156, v[1:4]
.LBB118_257:
	s_wait_alu 0xfffe
	s_or_b32 exec_lo, exec_lo, s0
	s_wait_storecnt_dscnt 0x0
	s_barrier_signal -1
	s_barrier_wait -1
	global_inv scope:SCOPE_SE
	s_clause 0x7
	scratch_load_b128 v[2:5], off, off offset:720
	scratch_load_b128 v[6:9], off, off offset:736
	;; [unrolled: 1-line block ×8, first 2 shown]
	v_mov_b32_e32 v1, 0
	s_clause 0x1
	scratch_load_b128 v[38:41], off, off offset:848
	scratch_load_b128 v[157:160], off, off offset:864
	s_mov_b32 s0, exec_lo
	ds_load_b128 v[34:37], v1 offset:1584
	ds_load_b128 v[42:45], v1 offset:1600
	s_wait_loadcnt_dscnt 0x901
	v_mul_f64_e32 v[161:162], v[36:37], v[4:5]
	v_mul_f64_e32 v[4:5], v[34:35], v[4:5]
	s_wait_loadcnt_dscnt 0x800
	v_mul_f64_e32 v[163:164], v[42:43], v[8:9]
	v_mul_f64_e32 v[8:9], v[44:45], v[8:9]
	s_delay_alu instid0(VALU_DEP_4) | instskip(NEXT) | instid1(VALU_DEP_4)
	v_fma_f64 v[161:162], v[34:35], v[2:3], -v[161:162]
	v_fma_f64 v[165:166], v[36:37], v[2:3], v[4:5]
	ds_load_b128 v[2:5], v1 offset:1616
	scratch_load_b128 v[34:37], off, off offset:880
	v_fma_f64 v[44:45], v[44:45], v[6:7], v[163:164]
	v_fma_f64 v[42:43], v[42:43], v[6:7], -v[8:9]
	ds_load_b128 v[6:9], v1 offset:1632
	s_wait_loadcnt_dscnt 0x801
	v_mul_f64_e32 v[167:168], v[2:3], v[12:13]
	v_mul_f64_e32 v[12:13], v[4:5], v[12:13]
	v_add_f64_e32 v[161:162], 0, v[161:162]
	v_add_f64_e32 v[163:164], 0, v[165:166]
	s_wait_loadcnt_dscnt 0x700
	v_mul_f64_e32 v[165:166], v[6:7], v[16:17]
	v_mul_f64_e32 v[16:17], v[8:9], v[16:17]
	v_fma_f64 v[167:168], v[4:5], v[10:11], v[167:168]
	v_fma_f64 v[10:11], v[2:3], v[10:11], -v[12:13]
	ds_load_b128 v[2:5], v1 offset:1648
	v_add_f64_e32 v[12:13], v[161:162], v[42:43]
	v_add_f64_e32 v[42:43], v[163:164], v[44:45]
	v_fma_f64 v[161:162], v[8:9], v[14:15], v[165:166]
	v_fma_f64 v[14:15], v[6:7], v[14:15], -v[16:17]
	ds_load_b128 v[6:9], v1 offset:1664
	s_wait_loadcnt_dscnt 0x601
	v_mul_f64_e32 v[44:45], v[2:3], v[20:21]
	v_mul_f64_e32 v[20:21], v[4:5], v[20:21]
	s_wait_loadcnt_dscnt 0x500
	v_mul_f64_e32 v[163:164], v[6:7], v[24:25]
	v_mul_f64_e32 v[24:25], v[8:9], v[24:25]
	v_add_f64_e32 v[16:17], v[12:13], v[10:11]
	v_add_f64_e32 v[42:43], v[42:43], v[167:168]
	scratch_load_b128 v[10:13], off, off offset:704
	v_fma_f64 v[44:45], v[4:5], v[18:19], v[44:45]
	v_fma_f64 v[18:19], v[2:3], v[18:19], -v[20:21]
	ds_load_b128 v[2:5], v1 offset:1680
	v_add_f64_e32 v[14:15], v[16:17], v[14:15]
	v_add_f64_e32 v[16:17], v[42:43], v[161:162]
	v_fma_f64 v[42:43], v[8:9], v[22:23], v[163:164]
	v_fma_f64 v[22:23], v[6:7], v[22:23], -v[24:25]
	ds_load_b128 v[6:9], v1 offset:1696
	s_wait_loadcnt_dscnt 0x501
	v_mul_f64_e32 v[20:21], v[2:3], v[28:29]
	v_mul_f64_e32 v[28:29], v[4:5], v[28:29]
	s_wait_loadcnt_dscnt 0x400
	v_mul_f64_e32 v[24:25], v[8:9], v[32:33]
	v_add_f64_e32 v[14:15], v[14:15], v[18:19]
	v_add_f64_e32 v[16:17], v[16:17], v[44:45]
	v_mul_f64_e32 v[18:19], v[6:7], v[32:33]
	v_fma_f64 v[20:21], v[4:5], v[26:27], v[20:21]
	v_fma_f64 v[26:27], v[2:3], v[26:27], -v[28:29]
	ds_load_b128 v[2:5], v1 offset:1712
	v_fma_f64 v[24:25], v[6:7], v[30:31], -v[24:25]
	v_add_f64_e32 v[14:15], v[14:15], v[22:23]
	v_add_f64_e32 v[16:17], v[16:17], v[42:43]
	v_fma_f64 v[18:19], v[8:9], v[30:31], v[18:19]
	ds_load_b128 v[6:9], v1 offset:1728
	s_wait_loadcnt_dscnt 0x301
	v_mul_f64_e32 v[22:23], v[2:3], v[40:41]
	v_mul_f64_e32 v[28:29], v[4:5], v[40:41]
	v_add_f64_e32 v[14:15], v[14:15], v[26:27]
	v_add_f64_e32 v[16:17], v[16:17], v[20:21]
	s_wait_loadcnt_dscnt 0x200
	v_mul_f64_e32 v[20:21], v[6:7], v[159:160]
	v_mul_f64_e32 v[26:27], v[8:9], v[159:160]
	v_fma_f64 v[22:23], v[4:5], v[38:39], v[22:23]
	v_fma_f64 v[28:29], v[2:3], v[38:39], -v[28:29]
	ds_load_b128 v[2:5], v1 offset:1744
	v_add_f64_e32 v[14:15], v[14:15], v[24:25]
	v_add_f64_e32 v[16:17], v[16:17], v[18:19]
	v_fma_f64 v[8:9], v[8:9], v[157:158], v[20:21]
	v_fma_f64 v[6:7], v[6:7], v[157:158], -v[26:27]
	s_wait_loadcnt_dscnt 0x100
	v_mul_f64_e32 v[18:19], v[2:3], v[36:37]
	v_mul_f64_e32 v[24:25], v[4:5], v[36:37]
	v_add_f64_e32 v[14:15], v[14:15], v[28:29]
	v_add_f64_e32 v[16:17], v[16:17], v[22:23]
	s_delay_alu instid0(VALU_DEP_4) | instskip(NEXT) | instid1(VALU_DEP_4)
	v_fma_f64 v[4:5], v[4:5], v[34:35], v[18:19]
	v_fma_f64 v[2:3], v[2:3], v[34:35], -v[24:25]
	s_delay_alu instid0(VALU_DEP_4) | instskip(NEXT) | instid1(VALU_DEP_4)
	v_add_f64_e32 v[6:7], v[14:15], v[6:7]
	v_add_f64_e32 v[8:9], v[16:17], v[8:9]
	s_delay_alu instid0(VALU_DEP_2) | instskip(NEXT) | instid1(VALU_DEP_2)
	v_add_f64_e32 v[2:3], v[6:7], v[2:3]
	v_add_f64_e32 v[4:5], v[8:9], v[4:5]
	s_wait_loadcnt 0x0
	s_delay_alu instid0(VALU_DEP_2) | instskip(NEXT) | instid1(VALU_DEP_2)
	v_add_f64_e64 v[2:3], v[10:11], -v[2:3]
	v_add_f64_e64 v[4:5], v[12:13], -v[4:5]
	scratch_store_b128 off, v[2:5], off offset:704
	v_cmpx_lt_u32_e32 42, v0
	s_cbranch_execz .LBB118_259
; %bb.258:
	scratch_load_b128 v[5:8], off, s25
	v_dual_mov_b32 v2, v1 :: v_dual_mov_b32 v3, v1
	v_mov_b32_e32 v4, v1
	scratch_store_b128 off, v[1:4], off offset:688
	s_wait_loadcnt 0x0
	ds_store_b128 v156, v[5:8]
.LBB118_259:
	s_wait_alu 0xfffe
	s_or_b32 exec_lo, exec_lo, s0
	s_wait_storecnt_dscnt 0x0
	s_barrier_signal -1
	s_barrier_wait -1
	global_inv scope:SCOPE_SE
	s_clause 0x8
	scratch_load_b128 v[2:5], off, off offset:704
	scratch_load_b128 v[6:9], off, off offset:720
	;; [unrolled: 1-line block ×9, first 2 shown]
	ds_load_b128 v[38:41], v1 offset:1568
	ds_load_b128 v[42:45], v1 offset:1584
	s_clause 0x1
	scratch_load_b128 v[157:160], off, off offset:688
	scratch_load_b128 v[161:164], off, off offset:848
	s_mov_b32 s0, exec_lo
	s_wait_loadcnt_dscnt 0xa01
	v_mul_f64_e32 v[165:166], v[40:41], v[4:5]
	v_mul_f64_e32 v[4:5], v[38:39], v[4:5]
	s_wait_loadcnt_dscnt 0x900
	v_mul_f64_e32 v[169:170], v[42:43], v[8:9]
	v_mul_f64_e32 v[8:9], v[44:45], v[8:9]
	s_delay_alu instid0(VALU_DEP_4) | instskip(NEXT) | instid1(VALU_DEP_4)
	v_fma_f64 v[171:172], v[38:39], v[2:3], -v[165:166]
	v_fma_f64 v[173:174], v[40:41], v[2:3], v[4:5]
	ds_load_b128 v[2:5], v1 offset:1600
	ds_load_b128 v[165:168], v1 offset:1616
	scratch_load_b128 v[38:41], off, off offset:864
	v_fma_f64 v[44:45], v[44:45], v[6:7], v[169:170]
	v_fma_f64 v[42:43], v[42:43], v[6:7], -v[8:9]
	scratch_load_b128 v[6:9], off, off offset:880
	s_wait_loadcnt_dscnt 0xa01
	v_mul_f64_e32 v[175:176], v[2:3], v[12:13]
	v_mul_f64_e32 v[12:13], v[4:5], v[12:13]
	v_add_f64_e32 v[169:170], 0, v[171:172]
	v_add_f64_e32 v[171:172], 0, v[173:174]
	s_wait_loadcnt_dscnt 0x900
	v_mul_f64_e32 v[173:174], v[165:166], v[16:17]
	v_mul_f64_e32 v[16:17], v[167:168], v[16:17]
	v_fma_f64 v[175:176], v[4:5], v[10:11], v[175:176]
	v_fma_f64 v[177:178], v[2:3], v[10:11], -v[12:13]
	ds_load_b128 v[2:5], v1 offset:1632
	ds_load_b128 v[10:13], v1 offset:1648
	v_add_f64_e32 v[42:43], v[169:170], v[42:43]
	v_add_f64_e32 v[44:45], v[171:172], v[44:45]
	v_fma_f64 v[167:168], v[167:168], v[14:15], v[173:174]
	v_fma_f64 v[14:15], v[165:166], v[14:15], -v[16:17]
	s_wait_loadcnt_dscnt 0x801
	v_mul_f64_e32 v[169:170], v[2:3], v[20:21]
	v_mul_f64_e32 v[20:21], v[4:5], v[20:21]
	v_add_f64_e32 v[16:17], v[42:43], v[177:178]
	v_add_f64_e32 v[42:43], v[44:45], v[175:176]
	s_wait_loadcnt_dscnt 0x700
	v_mul_f64_e32 v[44:45], v[10:11], v[24:25]
	v_mul_f64_e32 v[24:25], v[12:13], v[24:25]
	v_fma_f64 v[165:166], v[4:5], v[18:19], v[169:170]
	v_fma_f64 v[18:19], v[2:3], v[18:19], -v[20:21]
	v_add_f64_e32 v[20:21], v[16:17], v[14:15]
	v_add_f64_e32 v[42:43], v[42:43], v[167:168]
	ds_load_b128 v[2:5], v1 offset:1664
	ds_load_b128 v[14:17], v1 offset:1680
	v_fma_f64 v[12:13], v[12:13], v[22:23], v[44:45]
	v_fma_f64 v[10:11], v[10:11], v[22:23], -v[24:25]
	s_wait_loadcnt_dscnt 0x601
	v_mul_f64_e32 v[167:168], v[2:3], v[28:29]
	v_mul_f64_e32 v[28:29], v[4:5], v[28:29]
	s_wait_loadcnt_dscnt 0x500
	v_mul_f64_e32 v[22:23], v[14:15], v[32:33]
	v_mul_f64_e32 v[24:25], v[16:17], v[32:33]
	v_add_f64_e32 v[18:19], v[20:21], v[18:19]
	v_add_f64_e32 v[20:21], v[42:43], v[165:166]
	v_fma_f64 v[32:33], v[4:5], v[26:27], v[167:168]
	v_fma_f64 v[26:27], v[2:3], v[26:27], -v[28:29]
	v_fma_f64 v[16:17], v[16:17], v[30:31], v[22:23]
	v_fma_f64 v[14:15], v[14:15], v[30:31], -v[24:25]
	v_add_f64_e32 v[18:19], v[18:19], v[10:11]
	v_add_f64_e32 v[20:21], v[20:21], v[12:13]
	ds_load_b128 v[2:5], v1 offset:1696
	ds_load_b128 v[10:13], v1 offset:1712
	s_wait_loadcnt_dscnt 0x401
	v_mul_f64_e32 v[28:29], v[2:3], v[36:37]
	v_mul_f64_e32 v[36:37], v[4:5], v[36:37]
	s_wait_loadcnt_dscnt 0x200
	v_mul_f64_e32 v[22:23], v[10:11], v[163:164]
	v_mul_f64_e32 v[24:25], v[12:13], v[163:164]
	v_add_f64_e32 v[18:19], v[18:19], v[26:27]
	v_add_f64_e32 v[20:21], v[20:21], v[32:33]
	v_fma_f64 v[26:27], v[4:5], v[34:35], v[28:29]
	v_fma_f64 v[28:29], v[2:3], v[34:35], -v[36:37]
	v_fma_f64 v[12:13], v[12:13], v[161:162], v[22:23]
	v_fma_f64 v[10:11], v[10:11], v[161:162], -v[24:25]
	v_add_f64_e32 v[18:19], v[18:19], v[14:15]
	v_add_f64_e32 v[20:21], v[20:21], v[16:17]
	ds_load_b128 v[2:5], v1 offset:1728
	ds_load_b128 v[14:17], v1 offset:1744
	s_wait_loadcnt_dscnt 0x101
	v_mul_f64_e32 v[30:31], v[2:3], v[40:41]
	v_mul_f64_e32 v[32:33], v[4:5], v[40:41]
	s_wait_loadcnt_dscnt 0x0
	v_mul_f64_e32 v[22:23], v[14:15], v[8:9]
	v_mul_f64_e32 v[8:9], v[16:17], v[8:9]
	v_add_f64_e32 v[18:19], v[18:19], v[28:29]
	v_add_f64_e32 v[20:21], v[20:21], v[26:27]
	v_fma_f64 v[4:5], v[4:5], v[38:39], v[30:31]
	v_fma_f64 v[1:2], v[2:3], v[38:39], -v[32:33]
	v_fma_f64 v[16:17], v[16:17], v[6:7], v[22:23]
	v_fma_f64 v[6:7], v[14:15], v[6:7], -v[8:9]
	v_add_f64_e32 v[10:11], v[18:19], v[10:11]
	v_add_f64_e32 v[12:13], v[20:21], v[12:13]
	s_delay_alu instid0(VALU_DEP_2) | instskip(NEXT) | instid1(VALU_DEP_2)
	v_add_f64_e32 v[1:2], v[10:11], v[1:2]
	v_add_f64_e32 v[3:4], v[12:13], v[4:5]
	s_delay_alu instid0(VALU_DEP_2) | instskip(NEXT) | instid1(VALU_DEP_2)
	;; [unrolled: 3-line block ×3, first 2 shown]
	v_add_f64_e64 v[1:2], v[157:158], -v[1:2]
	v_add_f64_e64 v[3:4], v[159:160], -v[3:4]
	scratch_store_b128 off, v[1:4], off offset:688
	v_cmpx_lt_u32_e32 41, v0
	s_cbranch_execz .LBB118_261
; %bb.260:
	scratch_load_b128 v[1:4], off, s26
	v_mov_b32_e32 v5, 0
	s_delay_alu instid0(VALU_DEP_1)
	v_dual_mov_b32 v6, v5 :: v_dual_mov_b32 v7, v5
	v_mov_b32_e32 v8, v5
	scratch_store_b128 off, v[5:8], off offset:672
	s_wait_loadcnt 0x0
	ds_store_b128 v156, v[1:4]
.LBB118_261:
	s_wait_alu 0xfffe
	s_or_b32 exec_lo, exec_lo, s0
	s_wait_storecnt_dscnt 0x0
	s_barrier_signal -1
	s_barrier_wait -1
	global_inv scope:SCOPE_SE
	s_clause 0x7
	scratch_load_b128 v[2:5], off, off offset:688
	scratch_load_b128 v[6:9], off, off offset:704
	;; [unrolled: 1-line block ×8, first 2 shown]
	v_mov_b32_e32 v1, 0
	s_mov_b32 s0, exec_lo
	ds_load_b128 v[34:37], v1 offset:1552
	s_clause 0x1
	scratch_load_b128 v[38:41], off, off offset:816
	scratch_load_b128 v[42:45], off, off offset:672
	ds_load_b128 v[157:160], v1 offset:1568
	scratch_load_b128 v[161:164], off, off offset:832
	s_wait_loadcnt_dscnt 0xa01
	v_mul_f64_e32 v[165:166], v[36:37], v[4:5]
	v_mul_f64_e32 v[4:5], v[34:35], v[4:5]
	s_delay_alu instid0(VALU_DEP_2) | instskip(NEXT) | instid1(VALU_DEP_2)
	v_fma_f64 v[171:172], v[34:35], v[2:3], -v[165:166]
	v_fma_f64 v[173:174], v[36:37], v[2:3], v[4:5]
	ds_load_b128 v[2:5], v1 offset:1584
	s_wait_loadcnt_dscnt 0x901
	v_mul_f64_e32 v[169:170], v[157:158], v[8:9]
	v_mul_f64_e32 v[8:9], v[159:160], v[8:9]
	scratch_load_b128 v[34:37], off, off offset:848
	ds_load_b128 v[165:168], v1 offset:1600
	s_wait_loadcnt_dscnt 0x901
	v_mul_f64_e32 v[175:176], v[2:3], v[12:13]
	v_mul_f64_e32 v[12:13], v[4:5], v[12:13]
	v_fma_f64 v[159:160], v[159:160], v[6:7], v[169:170]
	v_fma_f64 v[157:158], v[157:158], v[6:7], -v[8:9]
	v_add_f64_e32 v[169:170], 0, v[171:172]
	v_add_f64_e32 v[171:172], 0, v[173:174]
	scratch_load_b128 v[6:9], off, off offset:864
	v_fma_f64 v[175:176], v[4:5], v[10:11], v[175:176]
	v_fma_f64 v[177:178], v[2:3], v[10:11], -v[12:13]
	ds_load_b128 v[2:5], v1 offset:1616
	s_wait_loadcnt_dscnt 0x901
	v_mul_f64_e32 v[173:174], v[165:166], v[16:17]
	v_mul_f64_e32 v[16:17], v[167:168], v[16:17]
	scratch_load_b128 v[10:13], off, off offset:880
	v_add_f64_e32 v[169:170], v[169:170], v[157:158]
	v_add_f64_e32 v[171:172], v[171:172], v[159:160]
	s_wait_loadcnt_dscnt 0x900
	v_mul_f64_e32 v[179:180], v[2:3], v[20:21]
	v_mul_f64_e32 v[20:21], v[4:5], v[20:21]
	ds_load_b128 v[157:160], v1 offset:1632
	v_fma_f64 v[167:168], v[167:168], v[14:15], v[173:174]
	v_fma_f64 v[14:15], v[165:166], v[14:15], -v[16:17]
	v_add_f64_e32 v[16:17], v[169:170], v[177:178]
	v_add_f64_e32 v[165:166], v[171:172], v[175:176]
	s_wait_loadcnt_dscnt 0x800
	v_mul_f64_e32 v[169:170], v[157:158], v[24:25]
	v_mul_f64_e32 v[24:25], v[159:160], v[24:25]
	v_fma_f64 v[171:172], v[4:5], v[18:19], v[179:180]
	v_fma_f64 v[18:19], v[2:3], v[18:19], -v[20:21]
	v_add_f64_e32 v[20:21], v[16:17], v[14:15]
	v_add_f64_e32 v[165:166], v[165:166], v[167:168]
	ds_load_b128 v[2:5], v1 offset:1648
	ds_load_b128 v[14:17], v1 offset:1664
	v_fma_f64 v[159:160], v[159:160], v[22:23], v[169:170]
	v_fma_f64 v[22:23], v[157:158], v[22:23], -v[24:25]
	s_wait_loadcnt_dscnt 0x701
	v_mul_f64_e32 v[167:168], v[2:3], v[28:29]
	v_mul_f64_e32 v[28:29], v[4:5], v[28:29]
	s_wait_loadcnt_dscnt 0x600
	v_mul_f64_e32 v[24:25], v[14:15], v[32:33]
	v_mul_f64_e32 v[32:33], v[16:17], v[32:33]
	v_add_f64_e32 v[18:19], v[20:21], v[18:19]
	v_add_f64_e32 v[20:21], v[165:166], v[171:172]
	v_fma_f64 v[157:158], v[4:5], v[26:27], v[167:168]
	v_fma_f64 v[26:27], v[2:3], v[26:27], -v[28:29]
	v_fma_f64 v[16:17], v[16:17], v[30:31], v[24:25]
	v_fma_f64 v[14:15], v[14:15], v[30:31], -v[32:33]
	v_add_f64_e32 v[22:23], v[18:19], v[22:23]
	v_add_f64_e32 v[28:29], v[20:21], v[159:160]
	ds_load_b128 v[2:5], v1 offset:1680
	ds_load_b128 v[18:21], v1 offset:1696
	s_wait_loadcnt_dscnt 0x501
	v_mul_f64_e32 v[159:160], v[2:3], v[40:41]
	v_mul_f64_e32 v[40:41], v[4:5], v[40:41]
	v_add_f64_e32 v[22:23], v[22:23], v[26:27]
	v_add_f64_e32 v[24:25], v[28:29], v[157:158]
	s_wait_loadcnt_dscnt 0x300
	v_mul_f64_e32 v[26:27], v[18:19], v[163:164]
	v_mul_f64_e32 v[28:29], v[20:21], v[163:164]
	v_fma_f64 v[30:31], v[4:5], v[38:39], v[159:160]
	v_fma_f64 v[32:33], v[2:3], v[38:39], -v[40:41]
	v_add_f64_e32 v[22:23], v[22:23], v[14:15]
	v_add_f64_e32 v[24:25], v[24:25], v[16:17]
	ds_load_b128 v[2:5], v1 offset:1712
	ds_load_b128 v[14:17], v1 offset:1728
	v_fma_f64 v[20:21], v[20:21], v[161:162], v[26:27]
	v_fma_f64 v[18:19], v[18:19], v[161:162], -v[28:29]
	s_wait_loadcnt_dscnt 0x201
	v_mul_f64_e32 v[38:39], v[2:3], v[36:37]
	v_mul_f64_e32 v[36:37], v[4:5], v[36:37]
	v_add_f64_e32 v[22:23], v[22:23], v[32:33]
	v_add_f64_e32 v[24:25], v[24:25], v[30:31]
	s_wait_loadcnt_dscnt 0x100
	v_mul_f64_e32 v[26:27], v[14:15], v[8:9]
	v_mul_f64_e32 v[8:9], v[16:17], v[8:9]
	v_fma_f64 v[28:29], v[4:5], v[34:35], v[38:39]
	v_fma_f64 v[30:31], v[2:3], v[34:35], -v[36:37]
	ds_load_b128 v[2:5], v1 offset:1744
	v_add_f64_e32 v[18:19], v[22:23], v[18:19]
	v_add_f64_e32 v[20:21], v[24:25], v[20:21]
	s_wait_loadcnt_dscnt 0x0
	v_mul_f64_e32 v[22:23], v[2:3], v[12:13]
	v_mul_f64_e32 v[12:13], v[4:5], v[12:13]
	v_fma_f64 v[16:17], v[16:17], v[6:7], v[26:27]
	v_fma_f64 v[6:7], v[14:15], v[6:7], -v[8:9]
	v_add_f64_e32 v[8:9], v[18:19], v[30:31]
	v_add_f64_e32 v[14:15], v[20:21], v[28:29]
	v_fma_f64 v[4:5], v[4:5], v[10:11], v[22:23]
	v_fma_f64 v[2:3], v[2:3], v[10:11], -v[12:13]
	s_delay_alu instid0(VALU_DEP_4) | instskip(NEXT) | instid1(VALU_DEP_4)
	v_add_f64_e32 v[6:7], v[8:9], v[6:7]
	v_add_f64_e32 v[8:9], v[14:15], v[16:17]
	s_delay_alu instid0(VALU_DEP_2) | instskip(NEXT) | instid1(VALU_DEP_2)
	v_add_f64_e32 v[2:3], v[6:7], v[2:3]
	v_add_f64_e32 v[4:5], v[8:9], v[4:5]
	s_delay_alu instid0(VALU_DEP_2) | instskip(NEXT) | instid1(VALU_DEP_2)
	v_add_f64_e64 v[2:3], v[42:43], -v[2:3]
	v_add_f64_e64 v[4:5], v[44:45], -v[4:5]
	scratch_store_b128 off, v[2:5], off offset:672
	v_cmpx_lt_u32_e32 40, v0
	s_cbranch_execz .LBB118_263
; %bb.262:
	scratch_load_b128 v[5:8], off, s27
	v_dual_mov_b32 v2, v1 :: v_dual_mov_b32 v3, v1
	v_mov_b32_e32 v4, v1
	scratch_store_b128 off, v[1:4], off offset:656
	s_wait_loadcnt 0x0
	ds_store_b128 v156, v[5:8]
.LBB118_263:
	s_wait_alu 0xfffe
	s_or_b32 exec_lo, exec_lo, s0
	s_wait_storecnt_dscnt 0x0
	s_barrier_signal -1
	s_barrier_wait -1
	global_inv scope:SCOPE_SE
	s_clause 0x8
	scratch_load_b128 v[2:5], off, off offset:672
	scratch_load_b128 v[6:9], off, off offset:688
	;; [unrolled: 1-line block ×9, first 2 shown]
	ds_load_b128 v[38:41], v1 offset:1536
	ds_load_b128 v[42:45], v1 offset:1552
	s_clause 0x1
	scratch_load_b128 v[157:160], off, off offset:656
	scratch_load_b128 v[161:164], off, off offset:816
	s_mov_b32 s0, exec_lo
	s_wait_loadcnt_dscnt 0xa01
	v_mul_f64_e32 v[165:166], v[40:41], v[4:5]
	v_mul_f64_e32 v[4:5], v[38:39], v[4:5]
	s_wait_loadcnt_dscnt 0x900
	v_mul_f64_e32 v[169:170], v[42:43], v[8:9]
	v_mul_f64_e32 v[8:9], v[44:45], v[8:9]
	s_delay_alu instid0(VALU_DEP_4) | instskip(NEXT) | instid1(VALU_DEP_4)
	v_fma_f64 v[171:172], v[38:39], v[2:3], -v[165:166]
	v_fma_f64 v[173:174], v[40:41], v[2:3], v[4:5]
	ds_load_b128 v[2:5], v1 offset:1568
	ds_load_b128 v[165:168], v1 offset:1584
	scratch_load_b128 v[38:41], off, off offset:832
	v_fma_f64 v[44:45], v[44:45], v[6:7], v[169:170]
	v_fma_f64 v[42:43], v[42:43], v[6:7], -v[8:9]
	scratch_load_b128 v[6:9], off, off offset:848
	s_wait_loadcnt_dscnt 0xa01
	v_mul_f64_e32 v[175:176], v[2:3], v[12:13]
	v_mul_f64_e32 v[12:13], v[4:5], v[12:13]
	v_add_f64_e32 v[169:170], 0, v[171:172]
	v_add_f64_e32 v[171:172], 0, v[173:174]
	s_wait_loadcnt_dscnt 0x900
	v_mul_f64_e32 v[173:174], v[165:166], v[16:17]
	v_mul_f64_e32 v[16:17], v[167:168], v[16:17]
	v_fma_f64 v[175:176], v[4:5], v[10:11], v[175:176]
	v_fma_f64 v[177:178], v[2:3], v[10:11], -v[12:13]
	ds_load_b128 v[2:5], v1 offset:1600
	scratch_load_b128 v[10:13], off, off offset:864
	v_add_f64_e32 v[169:170], v[169:170], v[42:43]
	v_add_f64_e32 v[171:172], v[171:172], v[44:45]
	ds_load_b128 v[42:45], v1 offset:1616
	v_fma_f64 v[167:168], v[167:168], v[14:15], v[173:174]
	v_fma_f64 v[165:166], v[165:166], v[14:15], -v[16:17]
	scratch_load_b128 v[14:17], off, off offset:880
	s_wait_loadcnt_dscnt 0xa01
	v_mul_f64_e32 v[179:180], v[2:3], v[20:21]
	v_mul_f64_e32 v[20:21], v[4:5], v[20:21]
	s_wait_loadcnt_dscnt 0x900
	v_mul_f64_e32 v[173:174], v[42:43], v[24:25]
	v_mul_f64_e32 v[24:25], v[44:45], v[24:25]
	v_add_f64_e32 v[169:170], v[169:170], v[177:178]
	v_add_f64_e32 v[171:172], v[171:172], v[175:176]
	v_fma_f64 v[175:176], v[4:5], v[18:19], v[179:180]
	v_fma_f64 v[177:178], v[2:3], v[18:19], -v[20:21]
	ds_load_b128 v[2:5], v1 offset:1632
	ds_load_b128 v[18:21], v1 offset:1648
	v_fma_f64 v[44:45], v[44:45], v[22:23], v[173:174]
	v_fma_f64 v[22:23], v[42:43], v[22:23], -v[24:25]
	v_add_f64_e32 v[165:166], v[169:170], v[165:166]
	v_add_f64_e32 v[167:168], v[171:172], v[167:168]
	s_wait_loadcnt_dscnt 0x801
	v_mul_f64_e32 v[169:170], v[2:3], v[28:29]
	v_mul_f64_e32 v[28:29], v[4:5], v[28:29]
	s_delay_alu instid0(VALU_DEP_4) | instskip(NEXT) | instid1(VALU_DEP_4)
	v_add_f64_e32 v[24:25], v[165:166], v[177:178]
	v_add_f64_e32 v[42:43], v[167:168], v[175:176]
	s_wait_loadcnt_dscnt 0x700
	v_mul_f64_e32 v[165:166], v[18:19], v[32:33]
	v_mul_f64_e32 v[32:33], v[20:21], v[32:33]
	v_fma_f64 v[167:168], v[4:5], v[26:27], v[169:170]
	v_fma_f64 v[26:27], v[2:3], v[26:27], -v[28:29]
	v_add_f64_e32 v[28:29], v[24:25], v[22:23]
	v_add_f64_e32 v[42:43], v[42:43], v[44:45]
	ds_load_b128 v[2:5], v1 offset:1664
	ds_load_b128 v[22:25], v1 offset:1680
	v_fma_f64 v[20:21], v[20:21], v[30:31], v[165:166]
	v_fma_f64 v[18:19], v[18:19], v[30:31], -v[32:33]
	s_wait_loadcnt_dscnt 0x601
	v_mul_f64_e32 v[44:45], v[2:3], v[36:37]
	v_mul_f64_e32 v[36:37], v[4:5], v[36:37]
	s_wait_loadcnt_dscnt 0x400
	v_mul_f64_e32 v[30:31], v[22:23], v[163:164]
	v_mul_f64_e32 v[32:33], v[24:25], v[163:164]
	v_add_f64_e32 v[26:27], v[28:29], v[26:27]
	v_add_f64_e32 v[28:29], v[42:43], v[167:168]
	v_fma_f64 v[42:43], v[4:5], v[34:35], v[44:45]
	v_fma_f64 v[34:35], v[2:3], v[34:35], -v[36:37]
	v_fma_f64 v[24:25], v[24:25], v[161:162], v[30:31]
	v_fma_f64 v[22:23], v[22:23], v[161:162], -v[32:33]
	v_add_f64_e32 v[26:27], v[26:27], v[18:19]
	v_add_f64_e32 v[28:29], v[28:29], v[20:21]
	ds_load_b128 v[2:5], v1 offset:1696
	ds_load_b128 v[18:21], v1 offset:1712
	s_wait_loadcnt_dscnt 0x301
	v_mul_f64_e32 v[36:37], v[2:3], v[40:41]
	v_mul_f64_e32 v[40:41], v[4:5], v[40:41]
	s_wait_loadcnt_dscnt 0x200
	v_mul_f64_e32 v[30:31], v[18:19], v[8:9]
	v_mul_f64_e32 v[8:9], v[20:21], v[8:9]
	v_add_f64_e32 v[26:27], v[26:27], v[34:35]
	v_add_f64_e32 v[28:29], v[28:29], v[42:43]
	v_fma_f64 v[32:33], v[4:5], v[38:39], v[36:37]
	v_fma_f64 v[34:35], v[2:3], v[38:39], -v[40:41]
	v_fma_f64 v[20:21], v[20:21], v[6:7], v[30:31]
	v_fma_f64 v[6:7], v[18:19], v[6:7], -v[8:9]
	v_add_f64_e32 v[26:27], v[26:27], v[22:23]
	v_add_f64_e32 v[28:29], v[28:29], v[24:25]
	ds_load_b128 v[2:5], v1 offset:1728
	ds_load_b128 v[22:25], v1 offset:1744
	s_wait_loadcnt_dscnt 0x101
	v_mul_f64_e32 v[36:37], v[2:3], v[12:13]
	v_mul_f64_e32 v[12:13], v[4:5], v[12:13]
	v_add_f64_e32 v[8:9], v[26:27], v[34:35]
	v_add_f64_e32 v[18:19], v[28:29], v[32:33]
	s_wait_loadcnt_dscnt 0x0
	v_mul_f64_e32 v[26:27], v[22:23], v[16:17]
	v_mul_f64_e32 v[16:17], v[24:25], v[16:17]
	v_fma_f64 v[4:5], v[4:5], v[10:11], v[36:37]
	v_fma_f64 v[1:2], v[2:3], v[10:11], -v[12:13]
	v_add_f64_e32 v[6:7], v[8:9], v[6:7]
	v_add_f64_e32 v[8:9], v[18:19], v[20:21]
	v_fma_f64 v[10:11], v[24:25], v[14:15], v[26:27]
	v_fma_f64 v[12:13], v[22:23], v[14:15], -v[16:17]
	s_delay_alu instid0(VALU_DEP_4) | instskip(NEXT) | instid1(VALU_DEP_4)
	v_add_f64_e32 v[1:2], v[6:7], v[1:2]
	v_add_f64_e32 v[3:4], v[8:9], v[4:5]
	s_delay_alu instid0(VALU_DEP_2) | instskip(NEXT) | instid1(VALU_DEP_2)
	v_add_f64_e32 v[1:2], v[1:2], v[12:13]
	v_add_f64_e32 v[3:4], v[3:4], v[10:11]
	s_delay_alu instid0(VALU_DEP_2) | instskip(NEXT) | instid1(VALU_DEP_2)
	v_add_f64_e64 v[1:2], v[157:158], -v[1:2]
	v_add_f64_e64 v[3:4], v[159:160], -v[3:4]
	scratch_store_b128 off, v[1:4], off offset:656
	v_cmpx_lt_u32_e32 39, v0
	s_cbranch_execz .LBB118_265
; %bb.264:
	scratch_load_b128 v[1:4], off, s28
	v_mov_b32_e32 v5, 0
	s_delay_alu instid0(VALU_DEP_1)
	v_dual_mov_b32 v6, v5 :: v_dual_mov_b32 v7, v5
	v_mov_b32_e32 v8, v5
	scratch_store_b128 off, v[5:8], off offset:640
	s_wait_loadcnt 0x0
	ds_store_b128 v156, v[1:4]
.LBB118_265:
	s_wait_alu 0xfffe
	s_or_b32 exec_lo, exec_lo, s0
	s_wait_storecnt_dscnt 0x0
	s_barrier_signal -1
	s_barrier_wait -1
	global_inv scope:SCOPE_SE
	s_clause 0x7
	scratch_load_b128 v[2:5], off, off offset:656
	scratch_load_b128 v[6:9], off, off offset:672
	;; [unrolled: 1-line block ×8, first 2 shown]
	v_mov_b32_e32 v1, 0
	s_mov_b32 s0, exec_lo
	ds_load_b128 v[34:37], v1 offset:1520
	s_clause 0x1
	scratch_load_b128 v[38:41], off, off offset:784
	scratch_load_b128 v[42:45], off, off offset:640
	ds_load_b128 v[157:160], v1 offset:1536
	scratch_load_b128 v[161:164], off, off offset:800
	s_wait_loadcnt_dscnt 0xa01
	v_mul_f64_e32 v[165:166], v[36:37], v[4:5]
	v_mul_f64_e32 v[4:5], v[34:35], v[4:5]
	s_delay_alu instid0(VALU_DEP_2) | instskip(NEXT) | instid1(VALU_DEP_2)
	v_fma_f64 v[171:172], v[34:35], v[2:3], -v[165:166]
	v_fma_f64 v[173:174], v[36:37], v[2:3], v[4:5]
	ds_load_b128 v[2:5], v1 offset:1552
	s_wait_loadcnt_dscnt 0x901
	v_mul_f64_e32 v[169:170], v[157:158], v[8:9]
	v_mul_f64_e32 v[8:9], v[159:160], v[8:9]
	scratch_load_b128 v[34:37], off, off offset:816
	ds_load_b128 v[165:168], v1 offset:1568
	s_wait_loadcnt_dscnt 0x901
	v_mul_f64_e32 v[175:176], v[2:3], v[12:13]
	v_mul_f64_e32 v[12:13], v[4:5], v[12:13]
	v_fma_f64 v[159:160], v[159:160], v[6:7], v[169:170]
	v_fma_f64 v[157:158], v[157:158], v[6:7], -v[8:9]
	v_add_f64_e32 v[169:170], 0, v[171:172]
	v_add_f64_e32 v[171:172], 0, v[173:174]
	scratch_load_b128 v[6:9], off, off offset:832
	v_fma_f64 v[175:176], v[4:5], v[10:11], v[175:176]
	v_fma_f64 v[177:178], v[2:3], v[10:11], -v[12:13]
	ds_load_b128 v[2:5], v1 offset:1584
	s_wait_loadcnt_dscnt 0x901
	v_mul_f64_e32 v[173:174], v[165:166], v[16:17]
	v_mul_f64_e32 v[16:17], v[167:168], v[16:17]
	scratch_load_b128 v[10:13], off, off offset:848
	v_add_f64_e32 v[169:170], v[169:170], v[157:158]
	v_add_f64_e32 v[171:172], v[171:172], v[159:160]
	s_wait_loadcnt_dscnt 0x900
	v_mul_f64_e32 v[179:180], v[2:3], v[20:21]
	v_mul_f64_e32 v[20:21], v[4:5], v[20:21]
	ds_load_b128 v[157:160], v1 offset:1600
	v_fma_f64 v[167:168], v[167:168], v[14:15], v[173:174]
	v_fma_f64 v[165:166], v[165:166], v[14:15], -v[16:17]
	scratch_load_b128 v[14:17], off, off offset:864
	v_add_f64_e32 v[169:170], v[169:170], v[177:178]
	v_add_f64_e32 v[171:172], v[171:172], v[175:176]
	v_fma_f64 v[175:176], v[4:5], v[18:19], v[179:180]
	v_fma_f64 v[177:178], v[2:3], v[18:19], -v[20:21]
	ds_load_b128 v[2:5], v1 offset:1616
	s_wait_loadcnt_dscnt 0x901
	v_mul_f64_e32 v[173:174], v[157:158], v[24:25]
	v_mul_f64_e32 v[24:25], v[159:160], v[24:25]
	scratch_load_b128 v[18:21], off, off offset:880
	s_wait_loadcnt_dscnt 0x900
	v_mul_f64_e32 v[179:180], v[2:3], v[28:29]
	v_mul_f64_e32 v[28:29], v[4:5], v[28:29]
	v_add_f64_e32 v[169:170], v[169:170], v[165:166]
	v_add_f64_e32 v[171:172], v[171:172], v[167:168]
	ds_load_b128 v[165:168], v1 offset:1632
	v_fma_f64 v[159:160], v[159:160], v[22:23], v[173:174]
	v_fma_f64 v[22:23], v[157:158], v[22:23], -v[24:25]
	v_add_f64_e32 v[24:25], v[169:170], v[177:178]
	v_add_f64_e32 v[157:158], v[171:172], v[175:176]
	s_wait_loadcnt_dscnt 0x800
	v_mul_f64_e32 v[169:170], v[165:166], v[32:33]
	v_mul_f64_e32 v[32:33], v[167:168], v[32:33]
	v_fma_f64 v[171:172], v[4:5], v[26:27], v[179:180]
	v_fma_f64 v[26:27], v[2:3], v[26:27], -v[28:29]
	v_add_f64_e32 v[28:29], v[24:25], v[22:23]
	v_add_f64_e32 v[157:158], v[157:158], v[159:160]
	ds_load_b128 v[2:5], v1 offset:1648
	ds_load_b128 v[22:25], v1 offset:1664
	v_fma_f64 v[167:168], v[167:168], v[30:31], v[169:170]
	v_fma_f64 v[30:31], v[165:166], v[30:31], -v[32:33]
	s_wait_loadcnt_dscnt 0x701
	v_mul_f64_e32 v[159:160], v[2:3], v[40:41]
	v_mul_f64_e32 v[40:41], v[4:5], v[40:41]
	s_wait_loadcnt_dscnt 0x500
	v_mul_f64_e32 v[32:33], v[22:23], v[163:164]
	v_add_f64_e32 v[26:27], v[28:29], v[26:27]
	v_add_f64_e32 v[28:29], v[157:158], v[171:172]
	v_mul_f64_e32 v[157:158], v[24:25], v[163:164]
	v_fma_f64 v[159:160], v[4:5], v[38:39], v[159:160]
	v_fma_f64 v[38:39], v[2:3], v[38:39], -v[40:41]
	v_fma_f64 v[24:25], v[24:25], v[161:162], v[32:33]
	v_add_f64_e32 v[30:31], v[26:27], v[30:31]
	v_add_f64_e32 v[40:41], v[28:29], v[167:168]
	ds_load_b128 v[2:5], v1 offset:1680
	ds_load_b128 v[26:29], v1 offset:1696
	v_fma_f64 v[22:23], v[22:23], v[161:162], -v[157:158]
	s_wait_loadcnt_dscnt 0x401
	v_mul_f64_e32 v[163:164], v[2:3], v[36:37]
	v_mul_f64_e32 v[36:37], v[4:5], v[36:37]
	v_add_f64_e32 v[30:31], v[30:31], v[38:39]
	v_add_f64_e32 v[32:33], v[40:41], v[159:160]
	s_wait_loadcnt_dscnt 0x300
	v_mul_f64_e32 v[38:39], v[26:27], v[8:9]
	v_mul_f64_e32 v[8:9], v[28:29], v[8:9]
	v_fma_f64 v[40:41], v[4:5], v[34:35], v[163:164]
	v_fma_f64 v[34:35], v[2:3], v[34:35], -v[36:37]
	v_add_f64_e32 v[30:31], v[30:31], v[22:23]
	v_add_f64_e32 v[32:33], v[32:33], v[24:25]
	ds_load_b128 v[2:5], v1 offset:1712
	ds_load_b128 v[22:25], v1 offset:1728
	v_fma_f64 v[28:29], v[28:29], v[6:7], v[38:39]
	v_fma_f64 v[6:7], v[26:27], v[6:7], -v[8:9]
	s_wait_loadcnt_dscnt 0x201
	v_mul_f64_e32 v[36:37], v[2:3], v[12:13]
	v_mul_f64_e32 v[12:13], v[4:5], v[12:13]
	v_add_f64_e32 v[8:9], v[30:31], v[34:35]
	v_add_f64_e32 v[26:27], v[32:33], v[40:41]
	s_wait_loadcnt_dscnt 0x100
	v_mul_f64_e32 v[30:31], v[22:23], v[16:17]
	v_mul_f64_e32 v[16:17], v[24:25], v[16:17]
	v_fma_f64 v[32:33], v[4:5], v[10:11], v[36:37]
	v_fma_f64 v[10:11], v[2:3], v[10:11], -v[12:13]
	ds_load_b128 v[2:5], v1 offset:1744
	v_add_f64_e32 v[6:7], v[8:9], v[6:7]
	v_add_f64_e32 v[8:9], v[26:27], v[28:29]
	v_fma_f64 v[24:25], v[24:25], v[14:15], v[30:31]
	v_fma_f64 v[14:15], v[22:23], v[14:15], -v[16:17]
	s_wait_loadcnt_dscnt 0x0
	v_mul_f64_e32 v[12:13], v[2:3], v[20:21]
	v_mul_f64_e32 v[20:21], v[4:5], v[20:21]
	v_add_f64_e32 v[6:7], v[6:7], v[10:11]
	v_add_f64_e32 v[8:9], v[8:9], v[32:33]
	s_delay_alu instid0(VALU_DEP_4) | instskip(NEXT) | instid1(VALU_DEP_4)
	v_fma_f64 v[4:5], v[4:5], v[18:19], v[12:13]
	v_fma_f64 v[2:3], v[2:3], v[18:19], -v[20:21]
	s_delay_alu instid0(VALU_DEP_4) | instskip(NEXT) | instid1(VALU_DEP_4)
	v_add_f64_e32 v[6:7], v[6:7], v[14:15]
	v_add_f64_e32 v[8:9], v[8:9], v[24:25]
	s_delay_alu instid0(VALU_DEP_2) | instskip(NEXT) | instid1(VALU_DEP_2)
	v_add_f64_e32 v[2:3], v[6:7], v[2:3]
	v_add_f64_e32 v[4:5], v[8:9], v[4:5]
	s_delay_alu instid0(VALU_DEP_2) | instskip(NEXT) | instid1(VALU_DEP_2)
	v_add_f64_e64 v[2:3], v[42:43], -v[2:3]
	v_add_f64_e64 v[4:5], v[44:45], -v[4:5]
	scratch_store_b128 off, v[2:5], off offset:640
	v_cmpx_lt_u32_e32 38, v0
	s_cbranch_execz .LBB118_267
; %bb.266:
	scratch_load_b128 v[5:8], off, s29
	v_dual_mov_b32 v2, v1 :: v_dual_mov_b32 v3, v1
	v_mov_b32_e32 v4, v1
	scratch_store_b128 off, v[1:4], off offset:624
	s_wait_loadcnt 0x0
	ds_store_b128 v156, v[5:8]
.LBB118_267:
	s_wait_alu 0xfffe
	s_or_b32 exec_lo, exec_lo, s0
	s_wait_storecnt_dscnt 0x0
	s_barrier_signal -1
	s_barrier_wait -1
	global_inv scope:SCOPE_SE
	s_clause 0x8
	scratch_load_b128 v[2:5], off, off offset:640
	scratch_load_b128 v[6:9], off, off offset:656
	;; [unrolled: 1-line block ×9, first 2 shown]
	ds_load_b128 v[38:41], v1 offset:1504
	ds_load_b128 v[42:45], v1 offset:1520
	s_clause 0x1
	scratch_load_b128 v[157:160], off, off offset:624
	scratch_load_b128 v[161:164], off, off offset:784
	s_mov_b32 s0, exec_lo
	s_wait_loadcnt_dscnt 0xa01
	v_mul_f64_e32 v[165:166], v[40:41], v[4:5]
	v_mul_f64_e32 v[4:5], v[38:39], v[4:5]
	s_wait_loadcnt_dscnt 0x900
	v_mul_f64_e32 v[169:170], v[42:43], v[8:9]
	v_mul_f64_e32 v[8:9], v[44:45], v[8:9]
	s_delay_alu instid0(VALU_DEP_4) | instskip(NEXT) | instid1(VALU_DEP_4)
	v_fma_f64 v[171:172], v[38:39], v[2:3], -v[165:166]
	v_fma_f64 v[173:174], v[40:41], v[2:3], v[4:5]
	ds_load_b128 v[2:5], v1 offset:1536
	ds_load_b128 v[165:168], v1 offset:1552
	scratch_load_b128 v[38:41], off, off offset:800
	v_fma_f64 v[44:45], v[44:45], v[6:7], v[169:170]
	v_fma_f64 v[42:43], v[42:43], v[6:7], -v[8:9]
	scratch_load_b128 v[6:9], off, off offset:816
	s_wait_loadcnt_dscnt 0xa01
	v_mul_f64_e32 v[175:176], v[2:3], v[12:13]
	v_mul_f64_e32 v[12:13], v[4:5], v[12:13]
	v_add_f64_e32 v[169:170], 0, v[171:172]
	v_add_f64_e32 v[171:172], 0, v[173:174]
	s_wait_loadcnt_dscnt 0x900
	v_mul_f64_e32 v[173:174], v[165:166], v[16:17]
	v_mul_f64_e32 v[16:17], v[167:168], v[16:17]
	v_fma_f64 v[175:176], v[4:5], v[10:11], v[175:176]
	v_fma_f64 v[177:178], v[2:3], v[10:11], -v[12:13]
	ds_load_b128 v[2:5], v1 offset:1568
	scratch_load_b128 v[10:13], off, off offset:832
	v_add_f64_e32 v[169:170], v[169:170], v[42:43]
	v_add_f64_e32 v[171:172], v[171:172], v[44:45]
	ds_load_b128 v[42:45], v1 offset:1584
	v_fma_f64 v[167:168], v[167:168], v[14:15], v[173:174]
	v_fma_f64 v[165:166], v[165:166], v[14:15], -v[16:17]
	scratch_load_b128 v[14:17], off, off offset:848
	s_wait_loadcnt_dscnt 0xa01
	v_mul_f64_e32 v[179:180], v[2:3], v[20:21]
	v_mul_f64_e32 v[20:21], v[4:5], v[20:21]
	s_wait_loadcnt_dscnt 0x900
	v_mul_f64_e32 v[173:174], v[42:43], v[24:25]
	v_mul_f64_e32 v[24:25], v[44:45], v[24:25]
	v_add_f64_e32 v[169:170], v[169:170], v[177:178]
	v_add_f64_e32 v[171:172], v[171:172], v[175:176]
	v_fma_f64 v[175:176], v[4:5], v[18:19], v[179:180]
	v_fma_f64 v[177:178], v[2:3], v[18:19], -v[20:21]
	ds_load_b128 v[2:5], v1 offset:1600
	scratch_load_b128 v[18:21], off, off offset:864
	v_fma_f64 v[44:45], v[44:45], v[22:23], v[173:174]
	v_fma_f64 v[42:43], v[42:43], v[22:23], -v[24:25]
	scratch_load_b128 v[22:25], off, off offset:880
	v_add_f64_e32 v[169:170], v[169:170], v[165:166]
	v_add_f64_e32 v[171:172], v[171:172], v[167:168]
	ds_load_b128 v[165:168], v1 offset:1616
	s_wait_loadcnt_dscnt 0xa01
	v_mul_f64_e32 v[179:180], v[2:3], v[28:29]
	v_mul_f64_e32 v[28:29], v[4:5], v[28:29]
	s_wait_loadcnt_dscnt 0x900
	v_mul_f64_e32 v[173:174], v[165:166], v[32:33]
	v_mul_f64_e32 v[32:33], v[167:168], v[32:33]
	v_add_f64_e32 v[169:170], v[169:170], v[177:178]
	v_add_f64_e32 v[171:172], v[171:172], v[175:176]
	v_fma_f64 v[175:176], v[4:5], v[26:27], v[179:180]
	v_fma_f64 v[177:178], v[2:3], v[26:27], -v[28:29]
	ds_load_b128 v[2:5], v1 offset:1632
	ds_load_b128 v[26:29], v1 offset:1648
	v_fma_f64 v[167:168], v[167:168], v[30:31], v[173:174]
	v_fma_f64 v[30:31], v[165:166], v[30:31], -v[32:33]
	v_add_f64_e32 v[42:43], v[169:170], v[42:43]
	v_add_f64_e32 v[44:45], v[171:172], v[44:45]
	s_wait_loadcnt_dscnt 0x801
	v_mul_f64_e32 v[169:170], v[2:3], v[36:37]
	v_mul_f64_e32 v[36:37], v[4:5], v[36:37]
	s_delay_alu instid0(VALU_DEP_4) | instskip(NEXT) | instid1(VALU_DEP_4)
	v_add_f64_e32 v[32:33], v[42:43], v[177:178]
	v_add_f64_e32 v[42:43], v[44:45], v[175:176]
	s_wait_loadcnt_dscnt 0x600
	v_mul_f64_e32 v[44:45], v[26:27], v[163:164]
	v_mul_f64_e32 v[163:164], v[28:29], v[163:164]
	v_fma_f64 v[165:166], v[4:5], v[34:35], v[169:170]
	v_fma_f64 v[34:35], v[2:3], v[34:35], -v[36:37]
	v_add_f64_e32 v[36:37], v[32:33], v[30:31]
	v_add_f64_e32 v[42:43], v[42:43], v[167:168]
	ds_load_b128 v[2:5], v1 offset:1664
	ds_load_b128 v[30:33], v1 offset:1680
	v_fma_f64 v[28:29], v[28:29], v[161:162], v[44:45]
	v_fma_f64 v[26:27], v[26:27], v[161:162], -v[163:164]
	s_wait_loadcnt_dscnt 0x501
	v_mul_f64_e32 v[167:168], v[2:3], v[40:41]
	v_mul_f64_e32 v[40:41], v[4:5], v[40:41]
	v_add_f64_e32 v[34:35], v[36:37], v[34:35]
	v_add_f64_e32 v[36:37], v[42:43], v[165:166]
	s_wait_loadcnt_dscnt 0x400
	v_mul_f64_e32 v[42:43], v[30:31], v[8:9]
	v_mul_f64_e32 v[8:9], v[32:33], v[8:9]
	v_fma_f64 v[44:45], v[4:5], v[38:39], v[167:168]
	v_fma_f64 v[38:39], v[2:3], v[38:39], -v[40:41]
	v_add_f64_e32 v[34:35], v[34:35], v[26:27]
	v_add_f64_e32 v[36:37], v[36:37], v[28:29]
	ds_load_b128 v[2:5], v1 offset:1696
	ds_load_b128 v[26:29], v1 offset:1712
	v_fma_f64 v[32:33], v[32:33], v[6:7], v[42:43]
	v_fma_f64 v[6:7], v[30:31], v[6:7], -v[8:9]
	s_wait_loadcnt_dscnt 0x301
	v_mul_f64_e32 v[40:41], v[2:3], v[12:13]
	v_mul_f64_e32 v[12:13], v[4:5], v[12:13]
	;; [unrolled: 16-line block ×3, first 2 shown]
	s_wait_loadcnt_dscnt 0x0
	v_mul_f64_e32 v[16:17], v[6:7], v[24:25]
	v_mul_f64_e32 v[24:25], v[8:9], v[24:25]
	v_add_f64_e32 v[10:11], v[12:13], v[10:11]
	v_add_f64_e32 v[12:13], v[30:31], v[36:37]
	v_fma_f64 v[4:5], v[4:5], v[18:19], v[32:33]
	v_fma_f64 v[1:2], v[2:3], v[18:19], -v[20:21]
	v_fma_f64 v[8:9], v[8:9], v[22:23], v[16:17]
	v_fma_f64 v[6:7], v[6:7], v[22:23], -v[24:25]
	v_add_f64_e32 v[10:11], v[10:11], v[14:15]
	v_add_f64_e32 v[12:13], v[12:13], v[28:29]
	s_delay_alu instid0(VALU_DEP_2) | instskip(NEXT) | instid1(VALU_DEP_2)
	v_add_f64_e32 v[1:2], v[10:11], v[1:2]
	v_add_f64_e32 v[3:4], v[12:13], v[4:5]
	s_delay_alu instid0(VALU_DEP_2) | instskip(NEXT) | instid1(VALU_DEP_2)
	;; [unrolled: 3-line block ×3, first 2 shown]
	v_add_f64_e64 v[1:2], v[157:158], -v[1:2]
	v_add_f64_e64 v[3:4], v[159:160], -v[3:4]
	scratch_store_b128 off, v[1:4], off offset:624
	v_cmpx_lt_u32_e32 37, v0
	s_cbranch_execz .LBB118_269
; %bb.268:
	scratch_load_b128 v[1:4], off, s30
	v_mov_b32_e32 v5, 0
	s_delay_alu instid0(VALU_DEP_1)
	v_dual_mov_b32 v6, v5 :: v_dual_mov_b32 v7, v5
	v_mov_b32_e32 v8, v5
	scratch_store_b128 off, v[5:8], off offset:608
	s_wait_loadcnt 0x0
	ds_store_b128 v156, v[1:4]
.LBB118_269:
	s_wait_alu 0xfffe
	s_or_b32 exec_lo, exec_lo, s0
	s_wait_storecnt_dscnt 0x0
	s_barrier_signal -1
	s_barrier_wait -1
	global_inv scope:SCOPE_SE
	s_clause 0x7
	scratch_load_b128 v[2:5], off, off offset:624
	scratch_load_b128 v[6:9], off, off offset:640
	;; [unrolled: 1-line block ×8, first 2 shown]
	v_mov_b32_e32 v1, 0
	s_mov_b32 s0, exec_lo
	ds_load_b128 v[34:37], v1 offset:1488
	s_clause 0x1
	scratch_load_b128 v[38:41], off, off offset:752
	scratch_load_b128 v[42:45], off, off offset:608
	ds_load_b128 v[157:160], v1 offset:1504
	scratch_load_b128 v[161:164], off, off offset:768
	s_wait_loadcnt_dscnt 0xa01
	v_mul_f64_e32 v[165:166], v[36:37], v[4:5]
	v_mul_f64_e32 v[4:5], v[34:35], v[4:5]
	s_delay_alu instid0(VALU_DEP_2) | instskip(NEXT) | instid1(VALU_DEP_2)
	v_fma_f64 v[171:172], v[34:35], v[2:3], -v[165:166]
	v_fma_f64 v[173:174], v[36:37], v[2:3], v[4:5]
	ds_load_b128 v[2:5], v1 offset:1520
	s_wait_loadcnt_dscnt 0x901
	v_mul_f64_e32 v[169:170], v[157:158], v[8:9]
	v_mul_f64_e32 v[8:9], v[159:160], v[8:9]
	scratch_load_b128 v[34:37], off, off offset:784
	ds_load_b128 v[165:168], v1 offset:1536
	s_wait_loadcnt_dscnt 0x901
	v_mul_f64_e32 v[175:176], v[2:3], v[12:13]
	v_mul_f64_e32 v[12:13], v[4:5], v[12:13]
	v_fma_f64 v[159:160], v[159:160], v[6:7], v[169:170]
	v_fma_f64 v[157:158], v[157:158], v[6:7], -v[8:9]
	v_add_f64_e32 v[169:170], 0, v[171:172]
	v_add_f64_e32 v[171:172], 0, v[173:174]
	scratch_load_b128 v[6:9], off, off offset:800
	v_fma_f64 v[175:176], v[4:5], v[10:11], v[175:176]
	v_fma_f64 v[177:178], v[2:3], v[10:11], -v[12:13]
	ds_load_b128 v[2:5], v1 offset:1552
	s_wait_loadcnt_dscnt 0x901
	v_mul_f64_e32 v[173:174], v[165:166], v[16:17]
	v_mul_f64_e32 v[16:17], v[167:168], v[16:17]
	scratch_load_b128 v[10:13], off, off offset:816
	v_add_f64_e32 v[169:170], v[169:170], v[157:158]
	v_add_f64_e32 v[171:172], v[171:172], v[159:160]
	s_wait_loadcnt_dscnt 0x900
	v_mul_f64_e32 v[179:180], v[2:3], v[20:21]
	v_mul_f64_e32 v[20:21], v[4:5], v[20:21]
	ds_load_b128 v[157:160], v1 offset:1568
	v_fma_f64 v[167:168], v[167:168], v[14:15], v[173:174]
	v_fma_f64 v[165:166], v[165:166], v[14:15], -v[16:17]
	scratch_load_b128 v[14:17], off, off offset:832
	v_add_f64_e32 v[169:170], v[169:170], v[177:178]
	v_add_f64_e32 v[171:172], v[171:172], v[175:176]
	v_fma_f64 v[175:176], v[4:5], v[18:19], v[179:180]
	v_fma_f64 v[177:178], v[2:3], v[18:19], -v[20:21]
	ds_load_b128 v[2:5], v1 offset:1584
	s_wait_loadcnt_dscnt 0x901
	v_mul_f64_e32 v[173:174], v[157:158], v[24:25]
	v_mul_f64_e32 v[24:25], v[159:160], v[24:25]
	scratch_load_b128 v[18:21], off, off offset:848
	s_wait_loadcnt_dscnt 0x900
	v_mul_f64_e32 v[179:180], v[2:3], v[28:29]
	v_mul_f64_e32 v[28:29], v[4:5], v[28:29]
	v_add_f64_e32 v[169:170], v[169:170], v[165:166]
	v_add_f64_e32 v[171:172], v[171:172], v[167:168]
	ds_load_b128 v[165:168], v1 offset:1600
	v_fma_f64 v[159:160], v[159:160], v[22:23], v[173:174]
	v_fma_f64 v[157:158], v[157:158], v[22:23], -v[24:25]
	scratch_load_b128 v[22:25], off, off offset:864
	v_add_f64_e32 v[169:170], v[169:170], v[177:178]
	v_add_f64_e32 v[171:172], v[171:172], v[175:176]
	v_fma_f64 v[175:176], v[4:5], v[26:27], v[179:180]
	v_fma_f64 v[177:178], v[2:3], v[26:27], -v[28:29]
	ds_load_b128 v[2:5], v1 offset:1616
	s_wait_loadcnt_dscnt 0x901
	v_mul_f64_e32 v[173:174], v[165:166], v[32:33]
	v_mul_f64_e32 v[32:33], v[167:168], v[32:33]
	scratch_load_b128 v[26:29], off, off offset:880
	s_wait_loadcnt_dscnt 0x900
	v_mul_f64_e32 v[179:180], v[2:3], v[40:41]
	v_mul_f64_e32 v[40:41], v[4:5], v[40:41]
	v_add_f64_e32 v[169:170], v[169:170], v[157:158]
	v_add_f64_e32 v[171:172], v[171:172], v[159:160]
	ds_load_b128 v[157:160], v1 offset:1632
	v_fma_f64 v[167:168], v[167:168], v[30:31], v[173:174]
	v_fma_f64 v[30:31], v[165:166], v[30:31], -v[32:33]
	v_add_f64_e32 v[32:33], v[169:170], v[177:178]
	v_add_f64_e32 v[165:166], v[171:172], v[175:176]
	s_wait_loadcnt_dscnt 0x700
	v_mul_f64_e32 v[169:170], v[157:158], v[163:164]
	v_mul_f64_e32 v[163:164], v[159:160], v[163:164]
	v_fma_f64 v[171:172], v[4:5], v[38:39], v[179:180]
	v_fma_f64 v[38:39], v[2:3], v[38:39], -v[40:41]
	v_add_f64_e32 v[40:41], v[32:33], v[30:31]
	v_add_f64_e32 v[165:166], v[165:166], v[167:168]
	ds_load_b128 v[2:5], v1 offset:1648
	ds_load_b128 v[30:33], v1 offset:1664
	v_fma_f64 v[159:160], v[159:160], v[161:162], v[169:170]
	v_fma_f64 v[157:158], v[157:158], v[161:162], -v[163:164]
	s_wait_loadcnt_dscnt 0x601
	v_mul_f64_e32 v[167:168], v[2:3], v[36:37]
	v_mul_f64_e32 v[36:37], v[4:5], v[36:37]
	v_add_f64_e32 v[38:39], v[40:41], v[38:39]
	v_add_f64_e32 v[40:41], v[165:166], v[171:172]
	s_wait_loadcnt_dscnt 0x500
	v_mul_f64_e32 v[161:162], v[30:31], v[8:9]
	v_mul_f64_e32 v[8:9], v[32:33], v[8:9]
	v_fma_f64 v[163:164], v[4:5], v[34:35], v[167:168]
	v_fma_f64 v[165:166], v[2:3], v[34:35], -v[36:37]
	ds_load_b128 v[2:5], v1 offset:1680
	ds_load_b128 v[34:37], v1 offset:1696
	v_add_f64_e32 v[38:39], v[38:39], v[157:158]
	v_add_f64_e32 v[40:41], v[40:41], v[159:160]
	s_wait_loadcnt_dscnt 0x401
	v_mul_f64_e32 v[157:158], v[2:3], v[12:13]
	v_mul_f64_e32 v[12:13], v[4:5], v[12:13]
	v_fma_f64 v[32:33], v[32:33], v[6:7], v[161:162]
	v_fma_f64 v[6:7], v[30:31], v[6:7], -v[8:9]
	v_add_f64_e32 v[8:9], v[38:39], v[165:166]
	v_add_f64_e32 v[30:31], v[40:41], v[163:164]
	s_wait_loadcnt_dscnt 0x300
	v_mul_f64_e32 v[38:39], v[34:35], v[16:17]
	v_mul_f64_e32 v[16:17], v[36:37], v[16:17]
	v_fma_f64 v[40:41], v[4:5], v[10:11], v[157:158]
	v_fma_f64 v[10:11], v[2:3], v[10:11], -v[12:13]
	v_add_f64_e32 v[12:13], v[8:9], v[6:7]
	v_add_f64_e32 v[30:31], v[30:31], v[32:33]
	ds_load_b128 v[2:5], v1 offset:1712
	ds_load_b128 v[6:9], v1 offset:1728
	v_fma_f64 v[36:37], v[36:37], v[14:15], v[38:39]
	v_fma_f64 v[14:15], v[34:35], v[14:15], -v[16:17]
	s_wait_loadcnt_dscnt 0x201
	v_mul_f64_e32 v[32:33], v[2:3], v[20:21]
	v_mul_f64_e32 v[20:21], v[4:5], v[20:21]
	s_wait_loadcnt_dscnt 0x100
	v_mul_f64_e32 v[16:17], v[6:7], v[24:25]
	v_mul_f64_e32 v[24:25], v[8:9], v[24:25]
	v_add_f64_e32 v[10:11], v[12:13], v[10:11]
	v_add_f64_e32 v[12:13], v[30:31], v[40:41]
	v_fma_f64 v[30:31], v[4:5], v[18:19], v[32:33]
	v_fma_f64 v[18:19], v[2:3], v[18:19], -v[20:21]
	ds_load_b128 v[2:5], v1 offset:1744
	v_fma_f64 v[8:9], v[8:9], v[22:23], v[16:17]
	v_fma_f64 v[6:7], v[6:7], v[22:23], -v[24:25]
	v_add_f64_e32 v[10:11], v[10:11], v[14:15]
	v_add_f64_e32 v[12:13], v[12:13], v[36:37]
	s_wait_loadcnt_dscnt 0x0
	v_mul_f64_e32 v[14:15], v[2:3], v[28:29]
	v_mul_f64_e32 v[20:21], v[4:5], v[28:29]
	s_delay_alu instid0(VALU_DEP_4) | instskip(NEXT) | instid1(VALU_DEP_4)
	v_add_f64_e32 v[10:11], v[10:11], v[18:19]
	v_add_f64_e32 v[12:13], v[12:13], v[30:31]
	s_delay_alu instid0(VALU_DEP_4) | instskip(NEXT) | instid1(VALU_DEP_4)
	v_fma_f64 v[4:5], v[4:5], v[26:27], v[14:15]
	v_fma_f64 v[2:3], v[2:3], v[26:27], -v[20:21]
	s_delay_alu instid0(VALU_DEP_4) | instskip(NEXT) | instid1(VALU_DEP_4)
	v_add_f64_e32 v[6:7], v[10:11], v[6:7]
	v_add_f64_e32 v[8:9], v[12:13], v[8:9]
	s_delay_alu instid0(VALU_DEP_2) | instskip(NEXT) | instid1(VALU_DEP_2)
	v_add_f64_e32 v[2:3], v[6:7], v[2:3]
	v_add_f64_e32 v[4:5], v[8:9], v[4:5]
	s_delay_alu instid0(VALU_DEP_2) | instskip(NEXT) | instid1(VALU_DEP_2)
	v_add_f64_e64 v[2:3], v[42:43], -v[2:3]
	v_add_f64_e64 v[4:5], v[44:45], -v[4:5]
	scratch_store_b128 off, v[2:5], off offset:608
	v_cmpx_lt_u32_e32 36, v0
	s_cbranch_execz .LBB118_271
; %bb.270:
	scratch_load_b128 v[5:8], off, s31
	v_dual_mov_b32 v2, v1 :: v_dual_mov_b32 v3, v1
	v_mov_b32_e32 v4, v1
	scratch_store_b128 off, v[1:4], off offset:592
	s_wait_loadcnt 0x0
	ds_store_b128 v156, v[5:8]
.LBB118_271:
	s_wait_alu 0xfffe
	s_or_b32 exec_lo, exec_lo, s0
	s_wait_storecnt_dscnt 0x0
	s_barrier_signal -1
	s_barrier_wait -1
	global_inv scope:SCOPE_SE
	s_clause 0x8
	scratch_load_b128 v[2:5], off, off offset:608
	scratch_load_b128 v[6:9], off, off offset:624
	;; [unrolled: 1-line block ×9, first 2 shown]
	ds_load_b128 v[38:41], v1 offset:1472
	ds_load_b128 v[42:45], v1 offset:1488
	s_clause 0x1
	scratch_load_b128 v[157:160], off, off offset:592
	scratch_load_b128 v[161:164], off, off offset:752
	s_mov_b32 s0, exec_lo
	s_wait_loadcnt_dscnt 0xa01
	v_mul_f64_e32 v[165:166], v[40:41], v[4:5]
	v_mul_f64_e32 v[4:5], v[38:39], v[4:5]
	s_wait_loadcnt_dscnt 0x900
	v_mul_f64_e32 v[169:170], v[42:43], v[8:9]
	v_mul_f64_e32 v[8:9], v[44:45], v[8:9]
	s_delay_alu instid0(VALU_DEP_4) | instskip(NEXT) | instid1(VALU_DEP_4)
	v_fma_f64 v[171:172], v[38:39], v[2:3], -v[165:166]
	v_fma_f64 v[173:174], v[40:41], v[2:3], v[4:5]
	ds_load_b128 v[2:5], v1 offset:1504
	ds_load_b128 v[165:168], v1 offset:1520
	scratch_load_b128 v[38:41], off, off offset:768
	v_fma_f64 v[44:45], v[44:45], v[6:7], v[169:170]
	v_fma_f64 v[42:43], v[42:43], v[6:7], -v[8:9]
	scratch_load_b128 v[6:9], off, off offset:784
	s_wait_loadcnt_dscnt 0xa01
	v_mul_f64_e32 v[175:176], v[2:3], v[12:13]
	v_mul_f64_e32 v[12:13], v[4:5], v[12:13]
	v_add_f64_e32 v[169:170], 0, v[171:172]
	v_add_f64_e32 v[171:172], 0, v[173:174]
	s_wait_loadcnt_dscnt 0x900
	v_mul_f64_e32 v[173:174], v[165:166], v[16:17]
	v_mul_f64_e32 v[16:17], v[167:168], v[16:17]
	v_fma_f64 v[175:176], v[4:5], v[10:11], v[175:176]
	v_fma_f64 v[177:178], v[2:3], v[10:11], -v[12:13]
	ds_load_b128 v[2:5], v1 offset:1536
	scratch_load_b128 v[10:13], off, off offset:800
	v_add_f64_e32 v[169:170], v[169:170], v[42:43]
	v_add_f64_e32 v[171:172], v[171:172], v[44:45]
	ds_load_b128 v[42:45], v1 offset:1552
	v_fma_f64 v[167:168], v[167:168], v[14:15], v[173:174]
	v_fma_f64 v[165:166], v[165:166], v[14:15], -v[16:17]
	scratch_load_b128 v[14:17], off, off offset:816
	s_wait_loadcnt_dscnt 0xa01
	v_mul_f64_e32 v[179:180], v[2:3], v[20:21]
	v_mul_f64_e32 v[20:21], v[4:5], v[20:21]
	s_wait_loadcnt_dscnt 0x900
	v_mul_f64_e32 v[173:174], v[42:43], v[24:25]
	v_mul_f64_e32 v[24:25], v[44:45], v[24:25]
	v_add_f64_e32 v[169:170], v[169:170], v[177:178]
	v_add_f64_e32 v[171:172], v[171:172], v[175:176]
	v_fma_f64 v[175:176], v[4:5], v[18:19], v[179:180]
	v_fma_f64 v[177:178], v[2:3], v[18:19], -v[20:21]
	ds_load_b128 v[2:5], v1 offset:1568
	scratch_load_b128 v[18:21], off, off offset:832
	v_fma_f64 v[44:45], v[44:45], v[22:23], v[173:174]
	v_fma_f64 v[42:43], v[42:43], v[22:23], -v[24:25]
	scratch_load_b128 v[22:25], off, off offset:848
	v_add_f64_e32 v[169:170], v[169:170], v[165:166]
	v_add_f64_e32 v[171:172], v[171:172], v[167:168]
	ds_load_b128 v[165:168], v1 offset:1584
	s_wait_loadcnt_dscnt 0xa01
	v_mul_f64_e32 v[179:180], v[2:3], v[28:29]
	v_mul_f64_e32 v[28:29], v[4:5], v[28:29]
	s_wait_loadcnt_dscnt 0x900
	v_mul_f64_e32 v[173:174], v[165:166], v[32:33]
	v_mul_f64_e32 v[32:33], v[167:168], v[32:33]
	v_add_f64_e32 v[169:170], v[169:170], v[177:178]
	v_add_f64_e32 v[171:172], v[171:172], v[175:176]
	v_fma_f64 v[175:176], v[4:5], v[26:27], v[179:180]
	v_fma_f64 v[177:178], v[2:3], v[26:27], -v[28:29]
	ds_load_b128 v[2:5], v1 offset:1600
	scratch_load_b128 v[26:29], off, off offset:864
	v_fma_f64 v[167:168], v[167:168], v[30:31], v[173:174]
	v_fma_f64 v[165:166], v[165:166], v[30:31], -v[32:33]
	scratch_load_b128 v[30:33], off, off offset:880
	v_add_f64_e32 v[169:170], v[169:170], v[42:43]
	v_add_f64_e32 v[171:172], v[171:172], v[44:45]
	ds_load_b128 v[42:45], v1 offset:1616
	s_wait_loadcnt_dscnt 0xa01
	v_mul_f64_e32 v[179:180], v[2:3], v[36:37]
	v_mul_f64_e32 v[36:37], v[4:5], v[36:37]
	s_wait_loadcnt_dscnt 0x800
	v_mul_f64_e32 v[173:174], v[42:43], v[163:164]
	v_mul_f64_e32 v[163:164], v[44:45], v[163:164]
	v_add_f64_e32 v[169:170], v[169:170], v[177:178]
	v_add_f64_e32 v[171:172], v[171:172], v[175:176]
	v_fma_f64 v[175:176], v[4:5], v[34:35], v[179:180]
	v_fma_f64 v[177:178], v[2:3], v[34:35], -v[36:37]
	ds_load_b128 v[2:5], v1 offset:1632
	ds_load_b128 v[34:37], v1 offset:1648
	v_fma_f64 v[44:45], v[44:45], v[161:162], v[173:174]
	v_fma_f64 v[42:43], v[42:43], v[161:162], -v[163:164]
	v_add_f64_e32 v[165:166], v[169:170], v[165:166]
	v_add_f64_e32 v[167:168], v[171:172], v[167:168]
	s_wait_loadcnt_dscnt 0x701
	v_mul_f64_e32 v[169:170], v[2:3], v[40:41]
	v_mul_f64_e32 v[40:41], v[4:5], v[40:41]
	s_delay_alu instid0(VALU_DEP_4) | instskip(NEXT) | instid1(VALU_DEP_4)
	v_add_f64_e32 v[161:162], v[165:166], v[177:178]
	v_add_f64_e32 v[163:164], v[167:168], v[175:176]
	s_wait_loadcnt_dscnt 0x600
	v_mul_f64_e32 v[165:166], v[34:35], v[8:9]
	v_mul_f64_e32 v[8:9], v[36:37], v[8:9]
	v_fma_f64 v[167:168], v[4:5], v[38:39], v[169:170]
	v_fma_f64 v[169:170], v[2:3], v[38:39], -v[40:41]
	ds_load_b128 v[2:5], v1 offset:1664
	ds_load_b128 v[38:41], v1 offset:1680
	v_add_f64_e32 v[42:43], v[161:162], v[42:43]
	v_add_f64_e32 v[44:45], v[163:164], v[44:45]
	v_fma_f64 v[36:37], v[36:37], v[6:7], v[165:166]
	s_wait_loadcnt_dscnt 0x501
	v_mul_f64_e32 v[161:162], v[2:3], v[12:13]
	v_mul_f64_e32 v[12:13], v[4:5], v[12:13]
	v_fma_f64 v[6:7], v[34:35], v[6:7], -v[8:9]
	v_add_f64_e32 v[8:9], v[42:43], v[169:170]
	v_add_f64_e32 v[34:35], v[44:45], v[167:168]
	s_wait_loadcnt_dscnt 0x400
	v_mul_f64_e32 v[42:43], v[38:39], v[16:17]
	v_mul_f64_e32 v[16:17], v[40:41], v[16:17]
	v_fma_f64 v[44:45], v[4:5], v[10:11], v[161:162]
	v_fma_f64 v[10:11], v[2:3], v[10:11], -v[12:13]
	v_add_f64_e32 v[12:13], v[8:9], v[6:7]
	v_add_f64_e32 v[34:35], v[34:35], v[36:37]
	ds_load_b128 v[2:5], v1 offset:1696
	ds_load_b128 v[6:9], v1 offset:1712
	v_fma_f64 v[40:41], v[40:41], v[14:15], v[42:43]
	v_fma_f64 v[14:15], v[38:39], v[14:15], -v[16:17]
	s_wait_loadcnt_dscnt 0x301
	v_mul_f64_e32 v[36:37], v[2:3], v[20:21]
	v_mul_f64_e32 v[20:21], v[4:5], v[20:21]
	s_wait_loadcnt_dscnt 0x200
	v_mul_f64_e32 v[16:17], v[6:7], v[24:25]
	v_mul_f64_e32 v[24:25], v[8:9], v[24:25]
	v_add_f64_e32 v[10:11], v[12:13], v[10:11]
	v_add_f64_e32 v[12:13], v[34:35], v[44:45]
	v_fma_f64 v[34:35], v[4:5], v[18:19], v[36:37]
	v_fma_f64 v[18:19], v[2:3], v[18:19], -v[20:21]
	v_fma_f64 v[8:9], v[8:9], v[22:23], v[16:17]
	v_fma_f64 v[6:7], v[6:7], v[22:23], -v[24:25]
	v_add_f64_e32 v[14:15], v[10:11], v[14:15]
	v_add_f64_e32 v[20:21], v[12:13], v[40:41]
	ds_load_b128 v[2:5], v1 offset:1728
	ds_load_b128 v[10:13], v1 offset:1744
	s_wait_loadcnt_dscnt 0x101
	v_mul_f64_e32 v[36:37], v[2:3], v[28:29]
	v_mul_f64_e32 v[28:29], v[4:5], v[28:29]
	v_add_f64_e32 v[14:15], v[14:15], v[18:19]
	v_add_f64_e32 v[16:17], v[20:21], v[34:35]
	s_wait_loadcnt_dscnt 0x0
	v_mul_f64_e32 v[18:19], v[10:11], v[32:33]
	v_mul_f64_e32 v[20:21], v[12:13], v[32:33]
	v_fma_f64 v[4:5], v[4:5], v[26:27], v[36:37]
	v_fma_f64 v[1:2], v[2:3], v[26:27], -v[28:29]
	v_add_f64_e32 v[6:7], v[14:15], v[6:7]
	v_add_f64_e32 v[8:9], v[16:17], v[8:9]
	v_fma_f64 v[12:13], v[12:13], v[30:31], v[18:19]
	v_fma_f64 v[10:11], v[10:11], v[30:31], -v[20:21]
	s_delay_alu instid0(VALU_DEP_4) | instskip(NEXT) | instid1(VALU_DEP_4)
	v_add_f64_e32 v[1:2], v[6:7], v[1:2]
	v_add_f64_e32 v[3:4], v[8:9], v[4:5]
	s_delay_alu instid0(VALU_DEP_2) | instskip(NEXT) | instid1(VALU_DEP_2)
	v_add_f64_e32 v[1:2], v[1:2], v[10:11]
	v_add_f64_e32 v[3:4], v[3:4], v[12:13]
	s_delay_alu instid0(VALU_DEP_2) | instskip(NEXT) | instid1(VALU_DEP_2)
	v_add_f64_e64 v[1:2], v[157:158], -v[1:2]
	v_add_f64_e64 v[3:4], v[159:160], -v[3:4]
	scratch_store_b128 off, v[1:4], off offset:592
	v_cmpx_lt_u32_e32 35, v0
	s_cbranch_execz .LBB118_273
; %bb.272:
	scratch_load_b128 v[1:4], off, s33
	v_mov_b32_e32 v5, 0
	s_delay_alu instid0(VALU_DEP_1)
	v_dual_mov_b32 v6, v5 :: v_dual_mov_b32 v7, v5
	v_mov_b32_e32 v8, v5
	scratch_store_b128 off, v[5:8], off offset:576
	s_wait_loadcnt 0x0
	ds_store_b128 v156, v[1:4]
.LBB118_273:
	s_wait_alu 0xfffe
	s_or_b32 exec_lo, exec_lo, s0
	s_wait_storecnt_dscnt 0x0
	s_barrier_signal -1
	s_barrier_wait -1
	global_inv scope:SCOPE_SE
	s_clause 0x7
	scratch_load_b128 v[2:5], off, off offset:592
	scratch_load_b128 v[6:9], off, off offset:608
	;; [unrolled: 1-line block ×8, first 2 shown]
	v_mov_b32_e32 v1, 0
	s_mov_b32 s0, exec_lo
	ds_load_b128 v[34:37], v1 offset:1456
	s_clause 0x1
	scratch_load_b128 v[38:41], off, off offset:720
	scratch_load_b128 v[42:45], off, off offset:576
	ds_load_b128 v[157:160], v1 offset:1472
	scratch_load_b128 v[161:164], off, off offset:736
	s_wait_loadcnt_dscnt 0xa01
	v_mul_f64_e32 v[165:166], v[36:37], v[4:5]
	v_mul_f64_e32 v[4:5], v[34:35], v[4:5]
	s_delay_alu instid0(VALU_DEP_2) | instskip(NEXT) | instid1(VALU_DEP_2)
	v_fma_f64 v[171:172], v[34:35], v[2:3], -v[165:166]
	v_fma_f64 v[173:174], v[36:37], v[2:3], v[4:5]
	ds_load_b128 v[2:5], v1 offset:1488
	s_wait_loadcnt_dscnt 0x901
	v_mul_f64_e32 v[169:170], v[157:158], v[8:9]
	v_mul_f64_e32 v[8:9], v[159:160], v[8:9]
	scratch_load_b128 v[34:37], off, off offset:752
	ds_load_b128 v[165:168], v1 offset:1504
	s_wait_loadcnt_dscnt 0x901
	v_mul_f64_e32 v[175:176], v[2:3], v[12:13]
	v_mul_f64_e32 v[12:13], v[4:5], v[12:13]
	v_fma_f64 v[159:160], v[159:160], v[6:7], v[169:170]
	v_fma_f64 v[157:158], v[157:158], v[6:7], -v[8:9]
	v_add_f64_e32 v[169:170], 0, v[171:172]
	v_add_f64_e32 v[171:172], 0, v[173:174]
	scratch_load_b128 v[6:9], off, off offset:768
	v_fma_f64 v[175:176], v[4:5], v[10:11], v[175:176]
	v_fma_f64 v[177:178], v[2:3], v[10:11], -v[12:13]
	ds_load_b128 v[2:5], v1 offset:1520
	s_wait_loadcnt_dscnt 0x901
	v_mul_f64_e32 v[173:174], v[165:166], v[16:17]
	v_mul_f64_e32 v[16:17], v[167:168], v[16:17]
	scratch_load_b128 v[10:13], off, off offset:784
	v_add_f64_e32 v[169:170], v[169:170], v[157:158]
	v_add_f64_e32 v[171:172], v[171:172], v[159:160]
	s_wait_loadcnt_dscnt 0x900
	v_mul_f64_e32 v[179:180], v[2:3], v[20:21]
	v_mul_f64_e32 v[20:21], v[4:5], v[20:21]
	ds_load_b128 v[157:160], v1 offset:1536
	v_fma_f64 v[167:168], v[167:168], v[14:15], v[173:174]
	v_fma_f64 v[165:166], v[165:166], v[14:15], -v[16:17]
	scratch_load_b128 v[14:17], off, off offset:800
	v_add_f64_e32 v[169:170], v[169:170], v[177:178]
	v_add_f64_e32 v[171:172], v[171:172], v[175:176]
	v_fma_f64 v[175:176], v[4:5], v[18:19], v[179:180]
	v_fma_f64 v[177:178], v[2:3], v[18:19], -v[20:21]
	ds_load_b128 v[2:5], v1 offset:1552
	s_wait_loadcnt_dscnt 0x901
	v_mul_f64_e32 v[173:174], v[157:158], v[24:25]
	v_mul_f64_e32 v[24:25], v[159:160], v[24:25]
	scratch_load_b128 v[18:21], off, off offset:816
	s_wait_loadcnt_dscnt 0x900
	v_mul_f64_e32 v[179:180], v[2:3], v[28:29]
	v_mul_f64_e32 v[28:29], v[4:5], v[28:29]
	v_add_f64_e32 v[169:170], v[169:170], v[165:166]
	v_add_f64_e32 v[171:172], v[171:172], v[167:168]
	ds_load_b128 v[165:168], v1 offset:1568
	v_fma_f64 v[159:160], v[159:160], v[22:23], v[173:174]
	v_fma_f64 v[157:158], v[157:158], v[22:23], -v[24:25]
	scratch_load_b128 v[22:25], off, off offset:832
	v_add_f64_e32 v[169:170], v[169:170], v[177:178]
	v_add_f64_e32 v[171:172], v[171:172], v[175:176]
	v_fma_f64 v[175:176], v[4:5], v[26:27], v[179:180]
	v_fma_f64 v[177:178], v[2:3], v[26:27], -v[28:29]
	ds_load_b128 v[2:5], v1 offset:1584
	s_wait_loadcnt_dscnt 0x901
	v_mul_f64_e32 v[173:174], v[165:166], v[32:33]
	v_mul_f64_e32 v[32:33], v[167:168], v[32:33]
	scratch_load_b128 v[26:29], off, off offset:848
	s_wait_loadcnt_dscnt 0x900
	v_mul_f64_e32 v[179:180], v[2:3], v[40:41]
	v_mul_f64_e32 v[40:41], v[4:5], v[40:41]
	v_add_f64_e32 v[169:170], v[169:170], v[157:158]
	v_add_f64_e32 v[171:172], v[171:172], v[159:160]
	ds_load_b128 v[157:160], v1 offset:1600
	v_fma_f64 v[167:168], v[167:168], v[30:31], v[173:174]
	v_fma_f64 v[165:166], v[165:166], v[30:31], -v[32:33]
	scratch_load_b128 v[30:33], off, off offset:864
	v_add_f64_e32 v[169:170], v[169:170], v[177:178]
	v_add_f64_e32 v[171:172], v[171:172], v[175:176]
	v_fma_f64 v[177:178], v[4:5], v[38:39], v[179:180]
	v_fma_f64 v[179:180], v[2:3], v[38:39], -v[40:41]
	ds_load_b128 v[2:5], v1 offset:1616
	s_wait_loadcnt_dscnt 0x801
	v_mul_f64_e32 v[173:174], v[157:158], v[163:164]
	v_mul_f64_e32 v[175:176], v[159:160], v[163:164]
	scratch_load_b128 v[38:41], off, off offset:880
	v_add_f64_e32 v[169:170], v[169:170], v[165:166]
	v_add_f64_e32 v[167:168], v[171:172], v[167:168]
	ds_load_b128 v[163:166], v1 offset:1632
	v_fma_f64 v[159:160], v[159:160], v[161:162], v[173:174]
	v_fma_f64 v[157:158], v[157:158], v[161:162], -v[175:176]
	s_wait_loadcnt_dscnt 0x801
	v_mul_f64_e32 v[171:172], v[2:3], v[36:37]
	v_mul_f64_e32 v[36:37], v[4:5], v[36:37]
	v_add_f64_e32 v[161:162], v[169:170], v[179:180]
	v_add_f64_e32 v[167:168], v[167:168], v[177:178]
	s_delay_alu instid0(VALU_DEP_4) | instskip(NEXT) | instid1(VALU_DEP_4)
	v_fma_f64 v[171:172], v[4:5], v[34:35], v[171:172]
	v_fma_f64 v[173:174], v[2:3], v[34:35], -v[36:37]
	s_wait_loadcnt_dscnt 0x700
	v_mul_f64_e32 v[169:170], v[163:164], v[8:9]
	v_mul_f64_e32 v[8:9], v[165:166], v[8:9]
	ds_load_b128 v[2:5], v1 offset:1648
	ds_load_b128 v[34:37], v1 offset:1664
	v_add_f64_e32 v[157:158], v[161:162], v[157:158]
	v_add_f64_e32 v[159:160], v[167:168], v[159:160]
	s_wait_loadcnt_dscnt 0x601
	v_mul_f64_e32 v[161:162], v[2:3], v[12:13]
	v_mul_f64_e32 v[12:13], v[4:5], v[12:13]
	v_fma_f64 v[165:166], v[165:166], v[6:7], v[169:170]
	v_fma_f64 v[6:7], v[163:164], v[6:7], -v[8:9]
	v_add_f64_e32 v[8:9], v[157:158], v[173:174]
	v_add_f64_e32 v[157:158], v[159:160], v[171:172]
	s_wait_loadcnt_dscnt 0x500
	v_mul_f64_e32 v[159:160], v[34:35], v[16:17]
	v_mul_f64_e32 v[16:17], v[36:37], v[16:17]
	v_fma_f64 v[161:162], v[4:5], v[10:11], v[161:162]
	v_fma_f64 v[10:11], v[2:3], v[10:11], -v[12:13]
	v_add_f64_e32 v[12:13], v[8:9], v[6:7]
	v_add_f64_e32 v[157:158], v[157:158], v[165:166]
	ds_load_b128 v[2:5], v1 offset:1680
	ds_load_b128 v[6:9], v1 offset:1696
	v_fma_f64 v[36:37], v[36:37], v[14:15], v[159:160]
	v_fma_f64 v[14:15], v[34:35], v[14:15], -v[16:17]
	s_wait_loadcnt_dscnt 0x401
	v_mul_f64_e32 v[163:164], v[2:3], v[20:21]
	v_mul_f64_e32 v[20:21], v[4:5], v[20:21]
	s_wait_loadcnt_dscnt 0x300
	v_mul_f64_e32 v[16:17], v[6:7], v[24:25]
	v_mul_f64_e32 v[24:25], v[8:9], v[24:25]
	v_add_f64_e32 v[10:11], v[12:13], v[10:11]
	v_add_f64_e32 v[12:13], v[157:158], v[161:162]
	v_fma_f64 v[34:35], v[4:5], v[18:19], v[163:164]
	v_fma_f64 v[18:19], v[2:3], v[18:19], -v[20:21]
	v_fma_f64 v[8:9], v[8:9], v[22:23], v[16:17]
	v_fma_f64 v[6:7], v[6:7], v[22:23], -v[24:25]
	v_add_f64_e32 v[14:15], v[10:11], v[14:15]
	v_add_f64_e32 v[20:21], v[12:13], v[36:37]
	ds_load_b128 v[2:5], v1 offset:1712
	ds_load_b128 v[10:13], v1 offset:1728
	s_wait_loadcnt_dscnt 0x201
	v_mul_f64_e32 v[36:37], v[2:3], v[28:29]
	v_mul_f64_e32 v[28:29], v[4:5], v[28:29]
	v_add_f64_e32 v[14:15], v[14:15], v[18:19]
	v_add_f64_e32 v[16:17], v[20:21], v[34:35]
	s_wait_loadcnt_dscnt 0x100
	v_mul_f64_e32 v[18:19], v[10:11], v[32:33]
	v_mul_f64_e32 v[20:21], v[12:13], v[32:33]
	v_fma_f64 v[22:23], v[4:5], v[26:27], v[36:37]
	v_fma_f64 v[24:25], v[2:3], v[26:27], -v[28:29]
	ds_load_b128 v[2:5], v1 offset:1744
	v_add_f64_e32 v[6:7], v[14:15], v[6:7]
	v_add_f64_e32 v[8:9], v[16:17], v[8:9]
	v_fma_f64 v[12:13], v[12:13], v[30:31], v[18:19]
	v_fma_f64 v[10:11], v[10:11], v[30:31], -v[20:21]
	s_wait_loadcnt_dscnt 0x0
	v_mul_f64_e32 v[14:15], v[2:3], v[40:41]
	v_mul_f64_e32 v[16:17], v[4:5], v[40:41]
	v_add_f64_e32 v[6:7], v[6:7], v[24:25]
	v_add_f64_e32 v[8:9], v[8:9], v[22:23]
	s_delay_alu instid0(VALU_DEP_4) | instskip(NEXT) | instid1(VALU_DEP_4)
	v_fma_f64 v[4:5], v[4:5], v[38:39], v[14:15]
	v_fma_f64 v[2:3], v[2:3], v[38:39], -v[16:17]
	s_delay_alu instid0(VALU_DEP_4) | instskip(NEXT) | instid1(VALU_DEP_4)
	v_add_f64_e32 v[6:7], v[6:7], v[10:11]
	v_add_f64_e32 v[8:9], v[8:9], v[12:13]
	s_delay_alu instid0(VALU_DEP_2) | instskip(NEXT) | instid1(VALU_DEP_2)
	v_add_f64_e32 v[2:3], v[6:7], v[2:3]
	v_add_f64_e32 v[4:5], v[8:9], v[4:5]
	s_delay_alu instid0(VALU_DEP_2) | instskip(NEXT) | instid1(VALU_DEP_2)
	v_add_f64_e64 v[2:3], v[42:43], -v[2:3]
	v_add_f64_e64 v[4:5], v[44:45], -v[4:5]
	scratch_store_b128 off, v[2:5], off offset:576
	v_cmpx_lt_u32_e32 34, v0
	s_cbranch_execz .LBB118_275
; %bb.274:
	scratch_load_b128 v[5:8], off, s34
	v_dual_mov_b32 v2, v1 :: v_dual_mov_b32 v3, v1
	v_mov_b32_e32 v4, v1
	scratch_store_b128 off, v[1:4], off offset:560
	s_wait_loadcnt 0x0
	ds_store_b128 v156, v[5:8]
.LBB118_275:
	s_wait_alu 0xfffe
	s_or_b32 exec_lo, exec_lo, s0
	s_wait_storecnt_dscnt 0x0
	s_barrier_signal -1
	s_barrier_wait -1
	global_inv scope:SCOPE_SE
	s_clause 0x8
	scratch_load_b128 v[2:5], off, off offset:576
	scratch_load_b128 v[6:9], off, off offset:592
	;; [unrolled: 1-line block ×9, first 2 shown]
	ds_load_b128 v[38:41], v1 offset:1440
	ds_load_b128 v[42:45], v1 offset:1456
	s_clause 0x1
	scratch_load_b128 v[157:160], off, off offset:560
	scratch_load_b128 v[161:164], off, off offset:720
	s_mov_b32 s0, exec_lo
	s_wait_loadcnt_dscnt 0xa01
	v_mul_f64_e32 v[165:166], v[40:41], v[4:5]
	v_mul_f64_e32 v[4:5], v[38:39], v[4:5]
	s_wait_loadcnt_dscnt 0x900
	v_mul_f64_e32 v[169:170], v[42:43], v[8:9]
	v_mul_f64_e32 v[8:9], v[44:45], v[8:9]
	s_delay_alu instid0(VALU_DEP_4) | instskip(NEXT) | instid1(VALU_DEP_4)
	v_fma_f64 v[171:172], v[38:39], v[2:3], -v[165:166]
	v_fma_f64 v[173:174], v[40:41], v[2:3], v[4:5]
	ds_load_b128 v[2:5], v1 offset:1472
	ds_load_b128 v[165:168], v1 offset:1488
	scratch_load_b128 v[38:41], off, off offset:736
	v_fma_f64 v[44:45], v[44:45], v[6:7], v[169:170]
	v_fma_f64 v[42:43], v[42:43], v[6:7], -v[8:9]
	scratch_load_b128 v[6:9], off, off offset:752
	s_wait_loadcnt_dscnt 0xa01
	v_mul_f64_e32 v[175:176], v[2:3], v[12:13]
	v_mul_f64_e32 v[12:13], v[4:5], v[12:13]
	v_add_f64_e32 v[169:170], 0, v[171:172]
	v_add_f64_e32 v[171:172], 0, v[173:174]
	s_wait_loadcnt_dscnt 0x900
	v_mul_f64_e32 v[173:174], v[165:166], v[16:17]
	v_mul_f64_e32 v[16:17], v[167:168], v[16:17]
	v_fma_f64 v[175:176], v[4:5], v[10:11], v[175:176]
	v_fma_f64 v[177:178], v[2:3], v[10:11], -v[12:13]
	ds_load_b128 v[2:5], v1 offset:1504
	scratch_load_b128 v[10:13], off, off offset:768
	v_add_f64_e32 v[169:170], v[169:170], v[42:43]
	v_add_f64_e32 v[171:172], v[171:172], v[44:45]
	ds_load_b128 v[42:45], v1 offset:1520
	v_fma_f64 v[167:168], v[167:168], v[14:15], v[173:174]
	v_fma_f64 v[165:166], v[165:166], v[14:15], -v[16:17]
	scratch_load_b128 v[14:17], off, off offset:784
	s_wait_loadcnt_dscnt 0xa01
	v_mul_f64_e32 v[179:180], v[2:3], v[20:21]
	v_mul_f64_e32 v[20:21], v[4:5], v[20:21]
	s_wait_loadcnt_dscnt 0x900
	v_mul_f64_e32 v[173:174], v[42:43], v[24:25]
	v_mul_f64_e32 v[24:25], v[44:45], v[24:25]
	v_add_f64_e32 v[169:170], v[169:170], v[177:178]
	v_add_f64_e32 v[171:172], v[171:172], v[175:176]
	v_fma_f64 v[175:176], v[4:5], v[18:19], v[179:180]
	v_fma_f64 v[177:178], v[2:3], v[18:19], -v[20:21]
	ds_load_b128 v[2:5], v1 offset:1536
	scratch_load_b128 v[18:21], off, off offset:800
	v_fma_f64 v[44:45], v[44:45], v[22:23], v[173:174]
	v_fma_f64 v[42:43], v[42:43], v[22:23], -v[24:25]
	scratch_load_b128 v[22:25], off, off offset:816
	v_add_f64_e32 v[169:170], v[169:170], v[165:166]
	v_add_f64_e32 v[171:172], v[171:172], v[167:168]
	ds_load_b128 v[165:168], v1 offset:1552
	s_wait_loadcnt_dscnt 0xa01
	v_mul_f64_e32 v[179:180], v[2:3], v[28:29]
	v_mul_f64_e32 v[28:29], v[4:5], v[28:29]
	s_wait_loadcnt_dscnt 0x900
	v_mul_f64_e32 v[173:174], v[165:166], v[32:33]
	v_mul_f64_e32 v[32:33], v[167:168], v[32:33]
	v_add_f64_e32 v[169:170], v[169:170], v[177:178]
	v_add_f64_e32 v[171:172], v[171:172], v[175:176]
	v_fma_f64 v[175:176], v[4:5], v[26:27], v[179:180]
	v_fma_f64 v[177:178], v[2:3], v[26:27], -v[28:29]
	ds_load_b128 v[2:5], v1 offset:1568
	scratch_load_b128 v[26:29], off, off offset:832
	v_fma_f64 v[167:168], v[167:168], v[30:31], v[173:174]
	v_fma_f64 v[165:166], v[165:166], v[30:31], -v[32:33]
	scratch_load_b128 v[30:33], off, off offset:848
	v_add_f64_e32 v[169:170], v[169:170], v[42:43]
	v_add_f64_e32 v[171:172], v[171:172], v[44:45]
	ds_load_b128 v[42:45], v1 offset:1584
	s_wait_loadcnt_dscnt 0xa01
	v_mul_f64_e32 v[179:180], v[2:3], v[36:37]
	v_mul_f64_e32 v[36:37], v[4:5], v[36:37]
	s_wait_loadcnt_dscnt 0x800
	v_mul_f64_e32 v[173:174], v[42:43], v[163:164]
	v_add_f64_e32 v[169:170], v[169:170], v[177:178]
	v_add_f64_e32 v[171:172], v[171:172], v[175:176]
	v_mul_f64_e32 v[175:176], v[44:45], v[163:164]
	v_fma_f64 v[177:178], v[4:5], v[34:35], v[179:180]
	v_fma_f64 v[179:180], v[2:3], v[34:35], -v[36:37]
	ds_load_b128 v[2:5], v1 offset:1600
	scratch_load_b128 v[34:37], off, off offset:864
	v_fma_f64 v[44:45], v[44:45], v[161:162], v[173:174]
	v_add_f64_e32 v[169:170], v[169:170], v[165:166]
	v_add_f64_e32 v[167:168], v[171:172], v[167:168]
	ds_load_b128 v[163:166], v1 offset:1616
	v_fma_f64 v[161:162], v[42:43], v[161:162], -v[175:176]
	s_wait_loadcnt_dscnt 0x801
	v_mul_f64_e32 v[171:172], v[2:3], v[40:41]
	v_mul_f64_e32 v[181:182], v[4:5], v[40:41]
	scratch_load_b128 v[40:43], off, off offset:880
	s_wait_loadcnt_dscnt 0x800
	v_mul_f64_e32 v[173:174], v[163:164], v[8:9]
	v_mul_f64_e32 v[8:9], v[165:166], v[8:9]
	v_add_f64_e32 v[169:170], v[169:170], v[179:180]
	v_add_f64_e32 v[167:168], v[167:168], v[177:178]
	v_fma_f64 v[171:172], v[4:5], v[38:39], v[171:172]
	v_fma_f64 v[38:39], v[2:3], v[38:39], -v[181:182]
	v_fma_f64 v[165:166], v[165:166], v[6:7], v[173:174]
	v_fma_f64 v[6:7], v[163:164], v[6:7], -v[8:9]
	v_add_f64_e32 v[161:162], v[169:170], v[161:162]
	v_add_f64_e32 v[44:45], v[167:168], v[44:45]
	ds_load_b128 v[2:5], v1 offset:1632
	ds_load_b128 v[167:170], v1 offset:1648
	s_wait_loadcnt_dscnt 0x701
	v_mul_f64_e32 v[175:176], v[2:3], v[12:13]
	v_mul_f64_e32 v[12:13], v[4:5], v[12:13]
	v_add_f64_e32 v[8:9], v[161:162], v[38:39]
	v_add_f64_e32 v[38:39], v[44:45], v[171:172]
	s_wait_loadcnt_dscnt 0x600
	v_mul_f64_e32 v[44:45], v[167:168], v[16:17]
	v_mul_f64_e32 v[16:17], v[169:170], v[16:17]
	v_fma_f64 v[161:162], v[4:5], v[10:11], v[175:176]
	v_fma_f64 v[10:11], v[2:3], v[10:11], -v[12:13]
	v_add_f64_e32 v[12:13], v[8:9], v[6:7]
	v_add_f64_e32 v[38:39], v[38:39], v[165:166]
	ds_load_b128 v[2:5], v1 offset:1664
	ds_load_b128 v[6:9], v1 offset:1680
	v_fma_f64 v[44:45], v[169:170], v[14:15], v[44:45]
	v_fma_f64 v[14:15], v[167:168], v[14:15], -v[16:17]
	s_wait_loadcnt_dscnt 0x501
	v_mul_f64_e32 v[163:164], v[2:3], v[20:21]
	v_mul_f64_e32 v[20:21], v[4:5], v[20:21]
	s_wait_loadcnt_dscnt 0x400
	v_mul_f64_e32 v[16:17], v[6:7], v[24:25]
	v_mul_f64_e32 v[24:25], v[8:9], v[24:25]
	v_add_f64_e32 v[10:11], v[12:13], v[10:11]
	v_add_f64_e32 v[12:13], v[38:39], v[161:162]
	v_fma_f64 v[38:39], v[4:5], v[18:19], v[163:164]
	v_fma_f64 v[18:19], v[2:3], v[18:19], -v[20:21]
	v_fma_f64 v[8:9], v[8:9], v[22:23], v[16:17]
	v_fma_f64 v[6:7], v[6:7], v[22:23], -v[24:25]
	v_add_f64_e32 v[14:15], v[10:11], v[14:15]
	v_add_f64_e32 v[20:21], v[12:13], v[44:45]
	ds_load_b128 v[2:5], v1 offset:1696
	ds_load_b128 v[10:13], v1 offset:1712
	s_wait_loadcnt_dscnt 0x301
	v_mul_f64_e32 v[44:45], v[2:3], v[28:29]
	v_mul_f64_e32 v[28:29], v[4:5], v[28:29]
	v_add_f64_e32 v[14:15], v[14:15], v[18:19]
	v_add_f64_e32 v[16:17], v[20:21], v[38:39]
	s_wait_loadcnt_dscnt 0x200
	v_mul_f64_e32 v[18:19], v[10:11], v[32:33]
	v_mul_f64_e32 v[20:21], v[12:13], v[32:33]
	v_fma_f64 v[22:23], v[4:5], v[26:27], v[44:45]
	v_fma_f64 v[24:25], v[2:3], v[26:27], -v[28:29]
	v_add_f64_e32 v[14:15], v[14:15], v[6:7]
	v_add_f64_e32 v[16:17], v[16:17], v[8:9]
	ds_load_b128 v[2:5], v1 offset:1728
	ds_load_b128 v[6:9], v1 offset:1744
	v_fma_f64 v[12:13], v[12:13], v[30:31], v[18:19]
	v_fma_f64 v[10:11], v[10:11], v[30:31], -v[20:21]
	s_wait_loadcnt_dscnt 0x101
	v_mul_f64_e32 v[26:27], v[2:3], v[36:37]
	v_mul_f64_e32 v[28:29], v[4:5], v[36:37]
	s_wait_loadcnt_dscnt 0x0
	v_mul_f64_e32 v[18:19], v[6:7], v[42:43]
	v_add_f64_e32 v[14:15], v[14:15], v[24:25]
	v_add_f64_e32 v[16:17], v[16:17], v[22:23]
	v_mul_f64_e32 v[20:21], v[8:9], v[42:43]
	v_fma_f64 v[4:5], v[4:5], v[34:35], v[26:27]
	v_fma_f64 v[1:2], v[2:3], v[34:35], -v[28:29]
	v_fma_f64 v[8:9], v[8:9], v[40:41], v[18:19]
	v_add_f64_e32 v[10:11], v[14:15], v[10:11]
	v_add_f64_e32 v[12:13], v[16:17], v[12:13]
	v_fma_f64 v[6:7], v[6:7], v[40:41], -v[20:21]
	s_delay_alu instid0(VALU_DEP_3) | instskip(NEXT) | instid1(VALU_DEP_3)
	v_add_f64_e32 v[1:2], v[10:11], v[1:2]
	v_add_f64_e32 v[3:4], v[12:13], v[4:5]
	s_delay_alu instid0(VALU_DEP_2) | instskip(NEXT) | instid1(VALU_DEP_2)
	v_add_f64_e32 v[1:2], v[1:2], v[6:7]
	v_add_f64_e32 v[3:4], v[3:4], v[8:9]
	s_delay_alu instid0(VALU_DEP_2) | instskip(NEXT) | instid1(VALU_DEP_2)
	v_add_f64_e64 v[1:2], v[157:158], -v[1:2]
	v_add_f64_e64 v[3:4], v[159:160], -v[3:4]
	scratch_store_b128 off, v[1:4], off offset:560
	v_cmpx_lt_u32_e32 33, v0
	s_cbranch_execz .LBB118_277
; %bb.276:
	scratch_load_b128 v[1:4], off, s35
	v_mov_b32_e32 v5, 0
	s_delay_alu instid0(VALU_DEP_1)
	v_dual_mov_b32 v6, v5 :: v_dual_mov_b32 v7, v5
	v_mov_b32_e32 v8, v5
	scratch_store_b128 off, v[5:8], off offset:544
	s_wait_loadcnt 0x0
	ds_store_b128 v156, v[1:4]
.LBB118_277:
	s_wait_alu 0xfffe
	s_or_b32 exec_lo, exec_lo, s0
	s_wait_storecnt_dscnt 0x0
	s_barrier_signal -1
	s_barrier_wait -1
	global_inv scope:SCOPE_SE
	s_clause 0x7
	scratch_load_b128 v[2:5], off, off offset:560
	scratch_load_b128 v[6:9], off, off offset:576
	scratch_load_b128 v[10:13], off, off offset:592
	scratch_load_b128 v[14:17], off, off offset:608
	scratch_load_b128 v[18:21], off, off offset:624
	scratch_load_b128 v[22:25], off, off offset:640
	scratch_load_b128 v[26:29], off, off offset:656
	scratch_load_b128 v[30:33], off, off offset:672
	v_mov_b32_e32 v1, 0
	s_mov_b32 s0, exec_lo
	ds_load_b128 v[34:37], v1 offset:1424
	s_clause 0x1
	scratch_load_b128 v[38:41], off, off offset:688
	scratch_load_b128 v[42:45], off, off offset:544
	ds_load_b128 v[157:160], v1 offset:1440
	scratch_load_b128 v[161:164], off, off offset:704
	s_wait_loadcnt_dscnt 0xa01
	v_mul_f64_e32 v[165:166], v[36:37], v[4:5]
	v_mul_f64_e32 v[4:5], v[34:35], v[4:5]
	s_delay_alu instid0(VALU_DEP_2) | instskip(NEXT) | instid1(VALU_DEP_2)
	v_fma_f64 v[171:172], v[34:35], v[2:3], -v[165:166]
	v_fma_f64 v[173:174], v[36:37], v[2:3], v[4:5]
	ds_load_b128 v[2:5], v1 offset:1456
	s_wait_loadcnt_dscnt 0x901
	v_mul_f64_e32 v[169:170], v[157:158], v[8:9]
	v_mul_f64_e32 v[8:9], v[159:160], v[8:9]
	scratch_load_b128 v[34:37], off, off offset:720
	ds_load_b128 v[165:168], v1 offset:1472
	s_wait_loadcnt_dscnt 0x901
	v_mul_f64_e32 v[175:176], v[2:3], v[12:13]
	v_mul_f64_e32 v[12:13], v[4:5], v[12:13]
	v_fma_f64 v[159:160], v[159:160], v[6:7], v[169:170]
	v_fma_f64 v[157:158], v[157:158], v[6:7], -v[8:9]
	v_add_f64_e32 v[169:170], 0, v[171:172]
	v_add_f64_e32 v[171:172], 0, v[173:174]
	scratch_load_b128 v[6:9], off, off offset:736
	v_fma_f64 v[175:176], v[4:5], v[10:11], v[175:176]
	v_fma_f64 v[177:178], v[2:3], v[10:11], -v[12:13]
	ds_load_b128 v[2:5], v1 offset:1488
	s_wait_loadcnt_dscnt 0x901
	v_mul_f64_e32 v[173:174], v[165:166], v[16:17]
	v_mul_f64_e32 v[16:17], v[167:168], v[16:17]
	scratch_load_b128 v[10:13], off, off offset:752
	v_add_f64_e32 v[169:170], v[169:170], v[157:158]
	v_add_f64_e32 v[171:172], v[171:172], v[159:160]
	s_wait_loadcnt_dscnt 0x900
	v_mul_f64_e32 v[179:180], v[2:3], v[20:21]
	v_mul_f64_e32 v[20:21], v[4:5], v[20:21]
	ds_load_b128 v[157:160], v1 offset:1504
	v_fma_f64 v[167:168], v[167:168], v[14:15], v[173:174]
	v_fma_f64 v[165:166], v[165:166], v[14:15], -v[16:17]
	scratch_load_b128 v[14:17], off, off offset:768
	v_add_f64_e32 v[169:170], v[169:170], v[177:178]
	v_add_f64_e32 v[171:172], v[171:172], v[175:176]
	v_fma_f64 v[175:176], v[4:5], v[18:19], v[179:180]
	v_fma_f64 v[177:178], v[2:3], v[18:19], -v[20:21]
	ds_load_b128 v[2:5], v1 offset:1520
	s_wait_loadcnt_dscnt 0x901
	v_mul_f64_e32 v[173:174], v[157:158], v[24:25]
	v_mul_f64_e32 v[24:25], v[159:160], v[24:25]
	scratch_load_b128 v[18:21], off, off offset:784
	s_wait_loadcnt_dscnt 0x900
	v_mul_f64_e32 v[179:180], v[2:3], v[28:29]
	v_mul_f64_e32 v[28:29], v[4:5], v[28:29]
	v_add_f64_e32 v[169:170], v[169:170], v[165:166]
	v_add_f64_e32 v[171:172], v[171:172], v[167:168]
	ds_load_b128 v[165:168], v1 offset:1536
	v_fma_f64 v[159:160], v[159:160], v[22:23], v[173:174]
	v_fma_f64 v[157:158], v[157:158], v[22:23], -v[24:25]
	scratch_load_b128 v[22:25], off, off offset:800
	v_add_f64_e32 v[169:170], v[169:170], v[177:178]
	v_add_f64_e32 v[171:172], v[171:172], v[175:176]
	v_fma_f64 v[175:176], v[4:5], v[26:27], v[179:180]
	v_fma_f64 v[177:178], v[2:3], v[26:27], -v[28:29]
	ds_load_b128 v[2:5], v1 offset:1552
	s_wait_loadcnt_dscnt 0x901
	v_mul_f64_e32 v[173:174], v[165:166], v[32:33]
	v_mul_f64_e32 v[32:33], v[167:168], v[32:33]
	scratch_load_b128 v[26:29], off, off offset:816
	s_wait_loadcnt_dscnt 0x900
	v_mul_f64_e32 v[179:180], v[2:3], v[40:41]
	v_mul_f64_e32 v[40:41], v[4:5], v[40:41]
	v_add_f64_e32 v[169:170], v[169:170], v[157:158]
	v_add_f64_e32 v[171:172], v[171:172], v[159:160]
	ds_load_b128 v[157:160], v1 offset:1568
	v_fma_f64 v[167:168], v[167:168], v[30:31], v[173:174]
	v_fma_f64 v[165:166], v[165:166], v[30:31], -v[32:33]
	scratch_load_b128 v[30:33], off, off offset:832
	v_add_f64_e32 v[169:170], v[169:170], v[177:178]
	v_add_f64_e32 v[171:172], v[171:172], v[175:176]
	v_fma_f64 v[177:178], v[4:5], v[38:39], v[179:180]
	v_fma_f64 v[179:180], v[2:3], v[38:39], -v[40:41]
	ds_load_b128 v[2:5], v1 offset:1584
	s_wait_loadcnt_dscnt 0x801
	v_mul_f64_e32 v[173:174], v[157:158], v[163:164]
	v_mul_f64_e32 v[175:176], v[159:160], v[163:164]
	scratch_load_b128 v[38:41], off, off offset:848
	v_add_f64_e32 v[169:170], v[169:170], v[165:166]
	v_add_f64_e32 v[167:168], v[171:172], v[167:168]
	ds_load_b128 v[163:166], v1 offset:1600
	v_fma_f64 v[173:174], v[159:160], v[161:162], v[173:174]
	v_fma_f64 v[161:162], v[157:158], v[161:162], -v[175:176]
	scratch_load_b128 v[157:160], off, off offset:864
	s_wait_loadcnt_dscnt 0x901
	v_mul_f64_e32 v[171:172], v[2:3], v[36:37]
	v_mul_f64_e32 v[36:37], v[4:5], v[36:37]
	v_add_f64_e32 v[169:170], v[169:170], v[179:180]
	v_add_f64_e32 v[167:168], v[167:168], v[177:178]
	s_delay_alu instid0(VALU_DEP_4) | instskip(NEXT) | instid1(VALU_DEP_4)
	v_fma_f64 v[171:172], v[4:5], v[34:35], v[171:172]
	v_fma_f64 v[177:178], v[2:3], v[34:35], -v[36:37]
	ds_load_b128 v[2:5], v1 offset:1616
	s_wait_loadcnt_dscnt 0x801
	v_mul_f64_e32 v[175:176], v[163:164], v[8:9]
	v_mul_f64_e32 v[8:9], v[165:166], v[8:9]
	scratch_load_b128 v[34:37], off, off offset:880
	s_wait_loadcnt_dscnt 0x800
	v_mul_f64_e32 v[179:180], v[2:3], v[12:13]
	v_add_f64_e32 v[161:162], v[169:170], v[161:162]
	v_add_f64_e32 v[173:174], v[167:168], v[173:174]
	v_mul_f64_e32 v[12:13], v[4:5], v[12:13]
	ds_load_b128 v[167:170], v1 offset:1632
	v_fma_f64 v[165:166], v[165:166], v[6:7], v[175:176]
	v_fma_f64 v[6:7], v[163:164], v[6:7], -v[8:9]
	s_wait_loadcnt_dscnt 0x700
	v_mul_f64_e32 v[163:164], v[167:168], v[16:17]
	v_add_f64_e32 v[8:9], v[161:162], v[177:178]
	v_add_f64_e32 v[161:162], v[173:174], v[171:172]
	v_mul_f64_e32 v[16:17], v[169:170], v[16:17]
	v_fma_f64 v[171:172], v[4:5], v[10:11], v[179:180]
	v_fma_f64 v[10:11], v[2:3], v[10:11], -v[12:13]
	v_fma_f64 v[163:164], v[169:170], v[14:15], v[163:164]
	v_add_f64_e32 v[12:13], v[8:9], v[6:7]
	v_add_f64_e32 v[161:162], v[161:162], v[165:166]
	ds_load_b128 v[2:5], v1 offset:1648
	ds_load_b128 v[6:9], v1 offset:1664
	v_fma_f64 v[14:15], v[167:168], v[14:15], -v[16:17]
	s_wait_loadcnt_dscnt 0x601
	v_mul_f64_e32 v[165:166], v[2:3], v[20:21]
	v_mul_f64_e32 v[20:21], v[4:5], v[20:21]
	s_wait_loadcnt_dscnt 0x500
	v_mul_f64_e32 v[16:17], v[6:7], v[24:25]
	v_mul_f64_e32 v[24:25], v[8:9], v[24:25]
	v_add_f64_e32 v[10:11], v[12:13], v[10:11]
	v_add_f64_e32 v[12:13], v[161:162], v[171:172]
	v_fma_f64 v[161:162], v[4:5], v[18:19], v[165:166]
	v_fma_f64 v[18:19], v[2:3], v[18:19], -v[20:21]
	v_fma_f64 v[8:9], v[8:9], v[22:23], v[16:17]
	v_fma_f64 v[6:7], v[6:7], v[22:23], -v[24:25]
	v_add_f64_e32 v[14:15], v[10:11], v[14:15]
	v_add_f64_e32 v[20:21], v[12:13], v[163:164]
	ds_load_b128 v[2:5], v1 offset:1680
	ds_load_b128 v[10:13], v1 offset:1696
	s_wait_loadcnt_dscnt 0x401
	v_mul_f64_e32 v[163:164], v[2:3], v[28:29]
	v_mul_f64_e32 v[28:29], v[4:5], v[28:29]
	v_add_f64_e32 v[14:15], v[14:15], v[18:19]
	v_add_f64_e32 v[16:17], v[20:21], v[161:162]
	s_wait_loadcnt_dscnt 0x300
	v_mul_f64_e32 v[18:19], v[10:11], v[32:33]
	v_mul_f64_e32 v[20:21], v[12:13], v[32:33]
	v_fma_f64 v[22:23], v[4:5], v[26:27], v[163:164]
	v_fma_f64 v[24:25], v[2:3], v[26:27], -v[28:29]
	v_add_f64_e32 v[14:15], v[14:15], v[6:7]
	v_add_f64_e32 v[16:17], v[16:17], v[8:9]
	ds_load_b128 v[2:5], v1 offset:1712
	ds_load_b128 v[6:9], v1 offset:1728
	v_fma_f64 v[12:13], v[12:13], v[30:31], v[18:19]
	v_fma_f64 v[10:11], v[10:11], v[30:31], -v[20:21]
	s_wait_loadcnt_dscnt 0x201
	v_mul_f64_e32 v[26:27], v[2:3], v[40:41]
	v_mul_f64_e32 v[28:29], v[4:5], v[40:41]
	s_wait_loadcnt_dscnt 0x100
	v_mul_f64_e32 v[18:19], v[6:7], v[159:160]
	v_mul_f64_e32 v[20:21], v[8:9], v[159:160]
	v_add_f64_e32 v[14:15], v[14:15], v[24:25]
	v_add_f64_e32 v[16:17], v[16:17], v[22:23]
	v_fma_f64 v[22:23], v[4:5], v[38:39], v[26:27]
	v_fma_f64 v[24:25], v[2:3], v[38:39], -v[28:29]
	ds_load_b128 v[2:5], v1 offset:1744
	v_fma_f64 v[8:9], v[8:9], v[157:158], v[18:19]
	v_fma_f64 v[6:7], v[6:7], v[157:158], -v[20:21]
	v_add_f64_e32 v[10:11], v[14:15], v[10:11]
	v_add_f64_e32 v[12:13], v[16:17], v[12:13]
	s_wait_loadcnt_dscnt 0x0
	v_mul_f64_e32 v[14:15], v[2:3], v[36:37]
	v_mul_f64_e32 v[16:17], v[4:5], v[36:37]
	s_delay_alu instid0(VALU_DEP_4) | instskip(NEXT) | instid1(VALU_DEP_4)
	v_add_f64_e32 v[10:11], v[10:11], v[24:25]
	v_add_f64_e32 v[12:13], v[12:13], v[22:23]
	s_delay_alu instid0(VALU_DEP_4) | instskip(NEXT) | instid1(VALU_DEP_4)
	v_fma_f64 v[4:5], v[4:5], v[34:35], v[14:15]
	v_fma_f64 v[2:3], v[2:3], v[34:35], -v[16:17]
	s_delay_alu instid0(VALU_DEP_4) | instskip(NEXT) | instid1(VALU_DEP_4)
	v_add_f64_e32 v[6:7], v[10:11], v[6:7]
	v_add_f64_e32 v[8:9], v[12:13], v[8:9]
	s_delay_alu instid0(VALU_DEP_2) | instskip(NEXT) | instid1(VALU_DEP_2)
	v_add_f64_e32 v[2:3], v[6:7], v[2:3]
	v_add_f64_e32 v[4:5], v[8:9], v[4:5]
	s_delay_alu instid0(VALU_DEP_2) | instskip(NEXT) | instid1(VALU_DEP_2)
	v_add_f64_e64 v[2:3], v[42:43], -v[2:3]
	v_add_f64_e64 v[4:5], v[44:45], -v[4:5]
	scratch_store_b128 off, v[2:5], off offset:544
	v_cmpx_lt_u32_e32 32, v0
	s_cbranch_execz .LBB118_279
; %bb.278:
	scratch_load_b128 v[5:8], off, s36
	v_dual_mov_b32 v2, v1 :: v_dual_mov_b32 v3, v1
	v_mov_b32_e32 v4, v1
	scratch_store_b128 off, v[1:4], off offset:528
	s_wait_loadcnt 0x0
	ds_store_b128 v156, v[5:8]
.LBB118_279:
	s_wait_alu 0xfffe
	s_or_b32 exec_lo, exec_lo, s0
	s_wait_storecnt_dscnt 0x0
	s_barrier_signal -1
	s_barrier_wait -1
	global_inv scope:SCOPE_SE
	s_clause 0x8
	scratch_load_b128 v[2:5], off, off offset:544
	scratch_load_b128 v[6:9], off, off offset:560
	;; [unrolled: 1-line block ×9, first 2 shown]
	ds_load_b128 v[38:41], v1 offset:1408
	ds_load_b128 v[42:45], v1 offset:1424
	s_clause 0x1
	scratch_load_b128 v[157:160], off, off offset:528
	scratch_load_b128 v[161:164], off, off offset:688
	s_mov_b32 s0, exec_lo
	s_wait_loadcnt_dscnt 0xa01
	v_mul_f64_e32 v[165:166], v[40:41], v[4:5]
	v_mul_f64_e32 v[4:5], v[38:39], v[4:5]
	s_wait_loadcnt_dscnt 0x900
	v_mul_f64_e32 v[169:170], v[42:43], v[8:9]
	v_mul_f64_e32 v[8:9], v[44:45], v[8:9]
	s_delay_alu instid0(VALU_DEP_4) | instskip(NEXT) | instid1(VALU_DEP_4)
	v_fma_f64 v[171:172], v[38:39], v[2:3], -v[165:166]
	v_fma_f64 v[173:174], v[40:41], v[2:3], v[4:5]
	ds_load_b128 v[2:5], v1 offset:1440
	ds_load_b128 v[165:168], v1 offset:1456
	scratch_load_b128 v[38:41], off, off offset:704
	v_fma_f64 v[44:45], v[44:45], v[6:7], v[169:170]
	v_fma_f64 v[42:43], v[42:43], v[6:7], -v[8:9]
	scratch_load_b128 v[6:9], off, off offset:720
	s_wait_loadcnt_dscnt 0xa01
	v_mul_f64_e32 v[175:176], v[2:3], v[12:13]
	v_mul_f64_e32 v[12:13], v[4:5], v[12:13]
	v_add_f64_e32 v[169:170], 0, v[171:172]
	v_add_f64_e32 v[171:172], 0, v[173:174]
	s_wait_loadcnt_dscnt 0x900
	v_mul_f64_e32 v[173:174], v[165:166], v[16:17]
	v_mul_f64_e32 v[16:17], v[167:168], v[16:17]
	v_fma_f64 v[175:176], v[4:5], v[10:11], v[175:176]
	v_fma_f64 v[177:178], v[2:3], v[10:11], -v[12:13]
	ds_load_b128 v[2:5], v1 offset:1472
	scratch_load_b128 v[10:13], off, off offset:736
	v_add_f64_e32 v[169:170], v[169:170], v[42:43]
	v_add_f64_e32 v[171:172], v[171:172], v[44:45]
	ds_load_b128 v[42:45], v1 offset:1488
	v_fma_f64 v[167:168], v[167:168], v[14:15], v[173:174]
	v_fma_f64 v[165:166], v[165:166], v[14:15], -v[16:17]
	scratch_load_b128 v[14:17], off, off offset:752
	s_wait_loadcnt_dscnt 0xa01
	v_mul_f64_e32 v[179:180], v[2:3], v[20:21]
	v_mul_f64_e32 v[20:21], v[4:5], v[20:21]
	s_wait_loadcnt_dscnt 0x900
	v_mul_f64_e32 v[173:174], v[42:43], v[24:25]
	v_mul_f64_e32 v[24:25], v[44:45], v[24:25]
	v_add_f64_e32 v[169:170], v[169:170], v[177:178]
	v_add_f64_e32 v[171:172], v[171:172], v[175:176]
	v_fma_f64 v[175:176], v[4:5], v[18:19], v[179:180]
	v_fma_f64 v[177:178], v[2:3], v[18:19], -v[20:21]
	ds_load_b128 v[2:5], v1 offset:1504
	scratch_load_b128 v[18:21], off, off offset:768
	v_fma_f64 v[44:45], v[44:45], v[22:23], v[173:174]
	v_fma_f64 v[42:43], v[42:43], v[22:23], -v[24:25]
	scratch_load_b128 v[22:25], off, off offset:784
	v_add_f64_e32 v[169:170], v[169:170], v[165:166]
	v_add_f64_e32 v[171:172], v[171:172], v[167:168]
	ds_load_b128 v[165:168], v1 offset:1520
	s_wait_loadcnt_dscnt 0xa01
	v_mul_f64_e32 v[179:180], v[2:3], v[28:29]
	v_mul_f64_e32 v[28:29], v[4:5], v[28:29]
	s_wait_loadcnt_dscnt 0x900
	v_mul_f64_e32 v[173:174], v[165:166], v[32:33]
	v_mul_f64_e32 v[32:33], v[167:168], v[32:33]
	v_add_f64_e32 v[169:170], v[169:170], v[177:178]
	v_add_f64_e32 v[171:172], v[171:172], v[175:176]
	v_fma_f64 v[175:176], v[4:5], v[26:27], v[179:180]
	v_fma_f64 v[177:178], v[2:3], v[26:27], -v[28:29]
	ds_load_b128 v[2:5], v1 offset:1536
	scratch_load_b128 v[26:29], off, off offset:800
	v_fma_f64 v[167:168], v[167:168], v[30:31], v[173:174]
	v_fma_f64 v[165:166], v[165:166], v[30:31], -v[32:33]
	scratch_load_b128 v[30:33], off, off offset:816
	v_add_f64_e32 v[169:170], v[169:170], v[42:43]
	v_add_f64_e32 v[171:172], v[171:172], v[44:45]
	ds_load_b128 v[42:45], v1 offset:1552
	s_wait_loadcnt_dscnt 0xa01
	v_mul_f64_e32 v[179:180], v[2:3], v[36:37]
	v_mul_f64_e32 v[36:37], v[4:5], v[36:37]
	s_wait_loadcnt_dscnt 0x800
	v_mul_f64_e32 v[173:174], v[42:43], v[163:164]
	v_add_f64_e32 v[169:170], v[169:170], v[177:178]
	v_add_f64_e32 v[171:172], v[171:172], v[175:176]
	v_mul_f64_e32 v[175:176], v[44:45], v[163:164]
	v_fma_f64 v[177:178], v[4:5], v[34:35], v[179:180]
	v_fma_f64 v[179:180], v[2:3], v[34:35], -v[36:37]
	ds_load_b128 v[2:5], v1 offset:1568
	scratch_load_b128 v[34:37], off, off offset:832
	v_fma_f64 v[44:45], v[44:45], v[161:162], v[173:174]
	v_add_f64_e32 v[169:170], v[169:170], v[165:166]
	v_add_f64_e32 v[167:168], v[171:172], v[167:168]
	ds_load_b128 v[163:166], v1 offset:1584
	v_fma_f64 v[161:162], v[42:43], v[161:162], -v[175:176]
	s_wait_loadcnt_dscnt 0x801
	v_mul_f64_e32 v[171:172], v[2:3], v[40:41]
	v_mul_f64_e32 v[181:182], v[4:5], v[40:41]
	scratch_load_b128 v[40:43], off, off offset:848
	s_wait_loadcnt_dscnt 0x800
	v_mul_f64_e32 v[175:176], v[163:164], v[8:9]
	v_mul_f64_e32 v[8:9], v[165:166], v[8:9]
	v_add_f64_e32 v[169:170], v[169:170], v[179:180]
	v_add_f64_e32 v[167:168], v[167:168], v[177:178]
	v_fma_f64 v[177:178], v[4:5], v[38:39], v[171:172]
	v_fma_f64 v[38:39], v[2:3], v[38:39], -v[181:182]
	ds_load_b128 v[2:5], v1 offset:1600
	ds_load_b128 v[171:174], v1 offset:1616
	v_fma_f64 v[165:166], v[165:166], v[6:7], v[175:176]
	v_fma_f64 v[163:164], v[163:164], v[6:7], -v[8:9]
	scratch_load_b128 v[6:9], off, off offset:880
	v_add_f64_e32 v[161:162], v[169:170], v[161:162]
	v_add_f64_e32 v[44:45], v[167:168], v[44:45]
	scratch_load_b128 v[167:170], off, off offset:864
	s_wait_loadcnt_dscnt 0x901
	v_mul_f64_e32 v[179:180], v[2:3], v[12:13]
	v_mul_f64_e32 v[12:13], v[4:5], v[12:13]
	v_add_f64_e32 v[38:39], v[161:162], v[38:39]
	v_add_f64_e32 v[44:45], v[44:45], v[177:178]
	s_wait_loadcnt_dscnt 0x800
	v_mul_f64_e32 v[161:162], v[171:172], v[16:17]
	v_mul_f64_e32 v[16:17], v[173:174], v[16:17]
	v_fma_f64 v[175:176], v[4:5], v[10:11], v[179:180]
	v_fma_f64 v[177:178], v[2:3], v[10:11], -v[12:13]
	ds_load_b128 v[2:5], v1 offset:1632
	ds_load_b128 v[10:13], v1 offset:1648
	v_add_f64_e32 v[38:39], v[38:39], v[163:164]
	v_add_f64_e32 v[44:45], v[44:45], v[165:166]
	s_wait_loadcnt_dscnt 0x701
	v_mul_f64_e32 v[163:164], v[2:3], v[20:21]
	v_mul_f64_e32 v[20:21], v[4:5], v[20:21]
	v_fma_f64 v[161:162], v[173:174], v[14:15], v[161:162]
	v_fma_f64 v[14:15], v[171:172], v[14:15], -v[16:17]
	v_add_f64_e32 v[16:17], v[38:39], v[177:178]
	v_add_f64_e32 v[38:39], v[44:45], v[175:176]
	s_wait_loadcnt_dscnt 0x600
	v_mul_f64_e32 v[44:45], v[10:11], v[24:25]
	v_mul_f64_e32 v[24:25], v[12:13], v[24:25]
	v_fma_f64 v[163:164], v[4:5], v[18:19], v[163:164]
	v_fma_f64 v[18:19], v[2:3], v[18:19], -v[20:21]
	v_add_f64_e32 v[20:21], v[16:17], v[14:15]
	v_add_f64_e32 v[38:39], v[38:39], v[161:162]
	ds_load_b128 v[2:5], v1 offset:1664
	ds_load_b128 v[14:17], v1 offset:1680
	v_fma_f64 v[12:13], v[12:13], v[22:23], v[44:45]
	v_fma_f64 v[10:11], v[10:11], v[22:23], -v[24:25]
	s_wait_loadcnt_dscnt 0x501
	v_mul_f64_e32 v[161:162], v[2:3], v[28:29]
	v_mul_f64_e32 v[28:29], v[4:5], v[28:29]
	s_wait_loadcnt_dscnt 0x400
	v_mul_f64_e32 v[22:23], v[14:15], v[32:33]
	v_mul_f64_e32 v[24:25], v[16:17], v[32:33]
	v_add_f64_e32 v[18:19], v[20:21], v[18:19]
	v_add_f64_e32 v[20:21], v[38:39], v[163:164]
	v_fma_f64 v[32:33], v[4:5], v[26:27], v[161:162]
	v_fma_f64 v[26:27], v[2:3], v[26:27], -v[28:29]
	v_fma_f64 v[16:17], v[16:17], v[30:31], v[22:23]
	v_fma_f64 v[14:15], v[14:15], v[30:31], -v[24:25]
	v_add_f64_e32 v[18:19], v[18:19], v[10:11]
	v_add_f64_e32 v[20:21], v[20:21], v[12:13]
	ds_load_b128 v[2:5], v1 offset:1696
	ds_load_b128 v[10:13], v1 offset:1712
	s_wait_loadcnt_dscnt 0x301
	v_mul_f64_e32 v[28:29], v[2:3], v[36:37]
	v_mul_f64_e32 v[36:37], v[4:5], v[36:37]
	s_wait_loadcnt_dscnt 0x200
	v_mul_f64_e32 v[22:23], v[10:11], v[42:43]
	v_add_f64_e32 v[18:19], v[18:19], v[26:27]
	v_add_f64_e32 v[20:21], v[20:21], v[32:33]
	v_mul_f64_e32 v[24:25], v[12:13], v[42:43]
	v_fma_f64 v[26:27], v[4:5], v[34:35], v[28:29]
	v_fma_f64 v[28:29], v[2:3], v[34:35], -v[36:37]
	v_fma_f64 v[12:13], v[12:13], v[40:41], v[22:23]
	v_add_f64_e32 v[18:19], v[18:19], v[14:15]
	v_add_f64_e32 v[20:21], v[20:21], v[16:17]
	ds_load_b128 v[2:5], v1 offset:1728
	ds_load_b128 v[14:17], v1 offset:1744
	v_fma_f64 v[10:11], v[10:11], v[40:41], -v[24:25]
	s_wait_loadcnt_dscnt 0x1
	v_mul_f64_e32 v[30:31], v[2:3], v[169:170]
	v_mul_f64_e32 v[32:33], v[4:5], v[169:170]
	s_wait_dscnt 0x0
	v_mul_f64_e32 v[22:23], v[14:15], v[8:9]
	v_mul_f64_e32 v[8:9], v[16:17], v[8:9]
	v_add_f64_e32 v[18:19], v[18:19], v[28:29]
	v_add_f64_e32 v[20:21], v[20:21], v[26:27]
	v_fma_f64 v[4:5], v[4:5], v[167:168], v[30:31]
	v_fma_f64 v[1:2], v[2:3], v[167:168], -v[32:33]
	v_fma_f64 v[16:17], v[16:17], v[6:7], v[22:23]
	v_fma_f64 v[6:7], v[14:15], v[6:7], -v[8:9]
	v_add_f64_e32 v[10:11], v[18:19], v[10:11]
	v_add_f64_e32 v[12:13], v[20:21], v[12:13]
	s_delay_alu instid0(VALU_DEP_2) | instskip(NEXT) | instid1(VALU_DEP_2)
	v_add_f64_e32 v[1:2], v[10:11], v[1:2]
	v_add_f64_e32 v[3:4], v[12:13], v[4:5]
	s_delay_alu instid0(VALU_DEP_2) | instskip(NEXT) | instid1(VALU_DEP_2)
	v_add_f64_e32 v[1:2], v[1:2], v[6:7]
	v_add_f64_e32 v[3:4], v[3:4], v[16:17]
	s_delay_alu instid0(VALU_DEP_2) | instskip(NEXT) | instid1(VALU_DEP_2)
	v_add_f64_e64 v[1:2], v[157:158], -v[1:2]
	v_add_f64_e64 v[3:4], v[159:160], -v[3:4]
	scratch_store_b128 off, v[1:4], off offset:528
	v_cmpx_lt_u32_e32 31, v0
	s_cbranch_execz .LBB118_281
; %bb.280:
	scratch_load_b128 v[1:4], off, s37
	v_mov_b32_e32 v5, 0
	s_delay_alu instid0(VALU_DEP_1)
	v_dual_mov_b32 v6, v5 :: v_dual_mov_b32 v7, v5
	v_mov_b32_e32 v8, v5
	scratch_store_b128 off, v[5:8], off offset:512
	s_wait_loadcnt 0x0
	ds_store_b128 v156, v[1:4]
.LBB118_281:
	s_wait_alu 0xfffe
	s_or_b32 exec_lo, exec_lo, s0
	s_wait_storecnt_dscnt 0x0
	s_barrier_signal -1
	s_barrier_wait -1
	global_inv scope:SCOPE_SE
	s_clause 0x7
	scratch_load_b128 v[2:5], off, off offset:528
	scratch_load_b128 v[6:9], off, off offset:544
	;; [unrolled: 1-line block ×8, first 2 shown]
	v_mov_b32_e32 v1, 0
	s_mov_b32 s0, exec_lo
	ds_load_b128 v[34:37], v1 offset:1392
	s_clause 0x1
	scratch_load_b128 v[38:41], off, off offset:656
	scratch_load_b128 v[42:45], off, off offset:512
	ds_load_b128 v[157:160], v1 offset:1408
	scratch_load_b128 v[161:164], off, off offset:672
	s_wait_loadcnt_dscnt 0xa01
	v_mul_f64_e32 v[165:166], v[36:37], v[4:5]
	v_mul_f64_e32 v[4:5], v[34:35], v[4:5]
	s_delay_alu instid0(VALU_DEP_2) | instskip(NEXT) | instid1(VALU_DEP_2)
	v_fma_f64 v[171:172], v[34:35], v[2:3], -v[165:166]
	v_fma_f64 v[173:174], v[36:37], v[2:3], v[4:5]
	ds_load_b128 v[2:5], v1 offset:1424
	s_wait_loadcnt_dscnt 0x901
	v_mul_f64_e32 v[169:170], v[157:158], v[8:9]
	v_mul_f64_e32 v[8:9], v[159:160], v[8:9]
	scratch_load_b128 v[34:37], off, off offset:688
	ds_load_b128 v[165:168], v1 offset:1440
	s_wait_loadcnt_dscnt 0x901
	v_mul_f64_e32 v[175:176], v[2:3], v[12:13]
	v_mul_f64_e32 v[12:13], v[4:5], v[12:13]
	v_fma_f64 v[159:160], v[159:160], v[6:7], v[169:170]
	v_fma_f64 v[157:158], v[157:158], v[6:7], -v[8:9]
	v_add_f64_e32 v[169:170], 0, v[171:172]
	v_add_f64_e32 v[171:172], 0, v[173:174]
	scratch_load_b128 v[6:9], off, off offset:704
	v_fma_f64 v[175:176], v[4:5], v[10:11], v[175:176]
	v_fma_f64 v[177:178], v[2:3], v[10:11], -v[12:13]
	ds_load_b128 v[2:5], v1 offset:1456
	s_wait_loadcnt_dscnt 0x901
	v_mul_f64_e32 v[173:174], v[165:166], v[16:17]
	v_mul_f64_e32 v[16:17], v[167:168], v[16:17]
	scratch_load_b128 v[10:13], off, off offset:720
	v_add_f64_e32 v[169:170], v[169:170], v[157:158]
	v_add_f64_e32 v[171:172], v[171:172], v[159:160]
	s_wait_loadcnt_dscnt 0x900
	v_mul_f64_e32 v[179:180], v[2:3], v[20:21]
	v_mul_f64_e32 v[20:21], v[4:5], v[20:21]
	ds_load_b128 v[157:160], v1 offset:1472
	v_fma_f64 v[167:168], v[167:168], v[14:15], v[173:174]
	v_fma_f64 v[165:166], v[165:166], v[14:15], -v[16:17]
	scratch_load_b128 v[14:17], off, off offset:736
	v_add_f64_e32 v[169:170], v[169:170], v[177:178]
	v_add_f64_e32 v[171:172], v[171:172], v[175:176]
	v_fma_f64 v[175:176], v[4:5], v[18:19], v[179:180]
	v_fma_f64 v[177:178], v[2:3], v[18:19], -v[20:21]
	ds_load_b128 v[2:5], v1 offset:1488
	s_wait_loadcnt_dscnt 0x901
	v_mul_f64_e32 v[173:174], v[157:158], v[24:25]
	v_mul_f64_e32 v[24:25], v[159:160], v[24:25]
	scratch_load_b128 v[18:21], off, off offset:752
	s_wait_loadcnt_dscnt 0x900
	v_mul_f64_e32 v[179:180], v[2:3], v[28:29]
	v_mul_f64_e32 v[28:29], v[4:5], v[28:29]
	v_add_f64_e32 v[169:170], v[169:170], v[165:166]
	v_add_f64_e32 v[171:172], v[171:172], v[167:168]
	ds_load_b128 v[165:168], v1 offset:1504
	v_fma_f64 v[159:160], v[159:160], v[22:23], v[173:174]
	v_fma_f64 v[157:158], v[157:158], v[22:23], -v[24:25]
	scratch_load_b128 v[22:25], off, off offset:768
	v_add_f64_e32 v[169:170], v[169:170], v[177:178]
	v_add_f64_e32 v[171:172], v[171:172], v[175:176]
	v_fma_f64 v[175:176], v[4:5], v[26:27], v[179:180]
	v_fma_f64 v[177:178], v[2:3], v[26:27], -v[28:29]
	ds_load_b128 v[2:5], v1 offset:1520
	s_wait_loadcnt_dscnt 0x901
	v_mul_f64_e32 v[173:174], v[165:166], v[32:33]
	v_mul_f64_e32 v[32:33], v[167:168], v[32:33]
	scratch_load_b128 v[26:29], off, off offset:784
	s_wait_loadcnt_dscnt 0x900
	v_mul_f64_e32 v[179:180], v[2:3], v[40:41]
	v_mul_f64_e32 v[40:41], v[4:5], v[40:41]
	v_add_f64_e32 v[169:170], v[169:170], v[157:158]
	v_add_f64_e32 v[171:172], v[171:172], v[159:160]
	ds_load_b128 v[157:160], v1 offset:1536
	v_fma_f64 v[167:168], v[167:168], v[30:31], v[173:174]
	v_fma_f64 v[165:166], v[165:166], v[30:31], -v[32:33]
	scratch_load_b128 v[30:33], off, off offset:800
	v_add_f64_e32 v[169:170], v[169:170], v[177:178]
	v_add_f64_e32 v[171:172], v[171:172], v[175:176]
	v_fma_f64 v[177:178], v[4:5], v[38:39], v[179:180]
	v_fma_f64 v[179:180], v[2:3], v[38:39], -v[40:41]
	ds_load_b128 v[2:5], v1 offset:1552
	s_wait_loadcnt_dscnt 0x801
	v_mul_f64_e32 v[173:174], v[157:158], v[163:164]
	v_mul_f64_e32 v[175:176], v[159:160], v[163:164]
	scratch_load_b128 v[38:41], off, off offset:816
	v_add_f64_e32 v[169:170], v[169:170], v[165:166]
	v_add_f64_e32 v[167:168], v[171:172], v[167:168]
	ds_load_b128 v[163:166], v1 offset:1568
	v_fma_f64 v[173:174], v[159:160], v[161:162], v[173:174]
	v_fma_f64 v[161:162], v[157:158], v[161:162], -v[175:176]
	scratch_load_b128 v[157:160], off, off offset:832
	s_wait_loadcnt_dscnt 0x901
	v_mul_f64_e32 v[171:172], v[2:3], v[36:37]
	v_mul_f64_e32 v[36:37], v[4:5], v[36:37]
	v_add_f64_e32 v[169:170], v[169:170], v[179:180]
	v_add_f64_e32 v[167:168], v[167:168], v[177:178]
	s_delay_alu instid0(VALU_DEP_4) | instskip(NEXT) | instid1(VALU_DEP_4)
	v_fma_f64 v[171:172], v[4:5], v[34:35], v[171:172]
	v_fma_f64 v[177:178], v[2:3], v[34:35], -v[36:37]
	ds_load_b128 v[2:5], v1 offset:1584
	s_wait_loadcnt_dscnt 0x801
	v_mul_f64_e32 v[175:176], v[163:164], v[8:9]
	v_mul_f64_e32 v[8:9], v[165:166], v[8:9]
	scratch_load_b128 v[34:37], off, off offset:848
	s_wait_loadcnt_dscnt 0x800
	v_mul_f64_e32 v[179:180], v[2:3], v[12:13]
	v_add_f64_e32 v[161:162], v[169:170], v[161:162]
	v_add_f64_e32 v[173:174], v[167:168], v[173:174]
	v_mul_f64_e32 v[12:13], v[4:5], v[12:13]
	ds_load_b128 v[167:170], v1 offset:1600
	v_fma_f64 v[165:166], v[165:166], v[6:7], v[175:176]
	v_fma_f64 v[163:164], v[163:164], v[6:7], -v[8:9]
	scratch_load_b128 v[6:9], off, off offset:864
	v_fma_f64 v[175:176], v[4:5], v[10:11], v[179:180]
	v_add_f64_e32 v[161:162], v[161:162], v[177:178]
	v_add_f64_e32 v[171:172], v[173:174], v[171:172]
	v_fma_f64 v[177:178], v[2:3], v[10:11], -v[12:13]
	ds_load_b128 v[2:5], v1 offset:1616
	s_wait_loadcnt_dscnt 0x801
	v_mul_f64_e32 v[173:174], v[167:168], v[16:17]
	v_mul_f64_e32 v[16:17], v[169:170], v[16:17]
	scratch_load_b128 v[10:13], off, off offset:880
	v_add_f64_e32 v[179:180], v[161:162], v[163:164]
	v_add_f64_e32 v[165:166], v[171:172], v[165:166]
	s_wait_loadcnt_dscnt 0x800
	v_mul_f64_e32 v[171:172], v[2:3], v[20:21]
	v_mul_f64_e32 v[20:21], v[4:5], v[20:21]
	v_fma_f64 v[169:170], v[169:170], v[14:15], v[173:174]
	v_fma_f64 v[14:15], v[167:168], v[14:15], -v[16:17]
	ds_load_b128 v[161:164], v1 offset:1632
	s_wait_loadcnt_dscnt 0x700
	v_mul_f64_e32 v[167:168], v[161:162], v[24:25]
	v_mul_f64_e32 v[24:25], v[163:164], v[24:25]
	v_add_f64_e32 v[16:17], v[179:180], v[177:178]
	v_add_f64_e32 v[165:166], v[165:166], v[175:176]
	v_fma_f64 v[171:172], v[4:5], v[18:19], v[171:172]
	v_fma_f64 v[18:19], v[2:3], v[18:19], -v[20:21]
	v_fma_f64 v[163:164], v[163:164], v[22:23], v[167:168]
	v_fma_f64 v[22:23], v[161:162], v[22:23], -v[24:25]
	v_add_f64_e32 v[20:21], v[16:17], v[14:15]
	v_add_f64_e32 v[165:166], v[165:166], v[169:170]
	ds_load_b128 v[2:5], v1 offset:1648
	ds_load_b128 v[14:17], v1 offset:1664
	s_wait_loadcnt_dscnt 0x601
	v_mul_f64_e32 v[169:170], v[2:3], v[28:29]
	v_mul_f64_e32 v[28:29], v[4:5], v[28:29]
	s_wait_loadcnt_dscnt 0x500
	v_mul_f64_e32 v[24:25], v[14:15], v[32:33]
	v_mul_f64_e32 v[32:33], v[16:17], v[32:33]
	v_add_f64_e32 v[18:19], v[20:21], v[18:19]
	v_add_f64_e32 v[20:21], v[165:166], v[171:172]
	v_fma_f64 v[161:162], v[4:5], v[26:27], v[169:170]
	v_fma_f64 v[26:27], v[2:3], v[26:27], -v[28:29]
	v_fma_f64 v[16:17], v[16:17], v[30:31], v[24:25]
	v_fma_f64 v[14:15], v[14:15], v[30:31], -v[32:33]
	v_add_f64_e32 v[22:23], v[18:19], v[22:23]
	v_add_f64_e32 v[28:29], v[20:21], v[163:164]
	ds_load_b128 v[2:5], v1 offset:1680
	ds_load_b128 v[18:21], v1 offset:1696
	s_wait_loadcnt_dscnt 0x401
	v_mul_f64_e32 v[163:164], v[2:3], v[40:41]
	v_mul_f64_e32 v[40:41], v[4:5], v[40:41]
	v_add_f64_e32 v[22:23], v[22:23], v[26:27]
	v_add_f64_e32 v[24:25], v[28:29], v[161:162]
	s_wait_loadcnt_dscnt 0x300
	v_mul_f64_e32 v[26:27], v[18:19], v[159:160]
	v_mul_f64_e32 v[28:29], v[20:21], v[159:160]
	v_fma_f64 v[30:31], v[4:5], v[38:39], v[163:164]
	v_fma_f64 v[32:33], v[2:3], v[38:39], -v[40:41]
	v_add_f64_e32 v[22:23], v[22:23], v[14:15]
	v_add_f64_e32 v[24:25], v[24:25], v[16:17]
	ds_load_b128 v[2:5], v1 offset:1712
	ds_load_b128 v[14:17], v1 offset:1728
	v_fma_f64 v[20:21], v[20:21], v[157:158], v[26:27]
	v_fma_f64 v[18:19], v[18:19], v[157:158], -v[28:29]
	s_wait_loadcnt_dscnt 0x201
	v_mul_f64_e32 v[38:39], v[2:3], v[36:37]
	v_mul_f64_e32 v[36:37], v[4:5], v[36:37]
	s_wait_loadcnt_dscnt 0x100
	v_mul_f64_e32 v[26:27], v[14:15], v[8:9]
	v_mul_f64_e32 v[8:9], v[16:17], v[8:9]
	v_add_f64_e32 v[22:23], v[22:23], v[32:33]
	v_add_f64_e32 v[24:25], v[24:25], v[30:31]
	v_fma_f64 v[28:29], v[4:5], v[34:35], v[38:39]
	v_fma_f64 v[30:31], v[2:3], v[34:35], -v[36:37]
	ds_load_b128 v[2:5], v1 offset:1744
	v_fma_f64 v[16:17], v[16:17], v[6:7], v[26:27]
	v_fma_f64 v[6:7], v[14:15], v[6:7], -v[8:9]
	v_add_f64_e32 v[18:19], v[22:23], v[18:19]
	v_add_f64_e32 v[20:21], v[24:25], v[20:21]
	s_wait_loadcnt_dscnt 0x0
	v_mul_f64_e32 v[22:23], v[2:3], v[12:13]
	v_mul_f64_e32 v[12:13], v[4:5], v[12:13]
	s_delay_alu instid0(VALU_DEP_4) | instskip(NEXT) | instid1(VALU_DEP_4)
	v_add_f64_e32 v[8:9], v[18:19], v[30:31]
	v_add_f64_e32 v[14:15], v[20:21], v[28:29]
	s_delay_alu instid0(VALU_DEP_4) | instskip(NEXT) | instid1(VALU_DEP_4)
	v_fma_f64 v[4:5], v[4:5], v[10:11], v[22:23]
	v_fma_f64 v[2:3], v[2:3], v[10:11], -v[12:13]
	s_delay_alu instid0(VALU_DEP_4) | instskip(NEXT) | instid1(VALU_DEP_4)
	v_add_f64_e32 v[6:7], v[8:9], v[6:7]
	v_add_f64_e32 v[8:9], v[14:15], v[16:17]
	s_delay_alu instid0(VALU_DEP_2) | instskip(NEXT) | instid1(VALU_DEP_2)
	v_add_f64_e32 v[2:3], v[6:7], v[2:3]
	v_add_f64_e32 v[4:5], v[8:9], v[4:5]
	s_delay_alu instid0(VALU_DEP_2) | instskip(NEXT) | instid1(VALU_DEP_2)
	v_add_f64_e64 v[2:3], v[42:43], -v[2:3]
	v_add_f64_e64 v[4:5], v[44:45], -v[4:5]
	scratch_store_b128 off, v[2:5], off offset:512
	v_cmpx_lt_u32_e32 30, v0
	s_cbranch_execz .LBB118_283
; %bb.282:
	scratch_load_b128 v[5:8], off, s38
	v_dual_mov_b32 v2, v1 :: v_dual_mov_b32 v3, v1
	v_mov_b32_e32 v4, v1
	scratch_store_b128 off, v[1:4], off offset:496
	s_wait_loadcnt 0x0
	ds_store_b128 v156, v[5:8]
.LBB118_283:
	s_wait_alu 0xfffe
	s_or_b32 exec_lo, exec_lo, s0
	s_wait_storecnt_dscnt 0x0
	s_barrier_signal -1
	s_barrier_wait -1
	global_inv scope:SCOPE_SE
	s_clause 0x8
	scratch_load_b128 v[2:5], off, off offset:512
	scratch_load_b128 v[6:9], off, off offset:528
	;; [unrolled: 1-line block ×9, first 2 shown]
	ds_load_b128 v[38:41], v1 offset:1376
	ds_load_b128 v[42:45], v1 offset:1392
	s_clause 0x1
	scratch_load_b128 v[157:160], off, off offset:496
	scratch_load_b128 v[161:164], off, off offset:656
	s_mov_b32 s0, exec_lo
	s_wait_loadcnt_dscnt 0xa01
	v_mul_f64_e32 v[165:166], v[40:41], v[4:5]
	v_mul_f64_e32 v[4:5], v[38:39], v[4:5]
	s_wait_loadcnt_dscnt 0x900
	v_mul_f64_e32 v[169:170], v[42:43], v[8:9]
	v_mul_f64_e32 v[8:9], v[44:45], v[8:9]
	s_delay_alu instid0(VALU_DEP_4) | instskip(NEXT) | instid1(VALU_DEP_4)
	v_fma_f64 v[171:172], v[38:39], v[2:3], -v[165:166]
	v_fma_f64 v[173:174], v[40:41], v[2:3], v[4:5]
	ds_load_b128 v[2:5], v1 offset:1408
	ds_load_b128 v[165:168], v1 offset:1424
	scratch_load_b128 v[38:41], off, off offset:672
	v_fma_f64 v[44:45], v[44:45], v[6:7], v[169:170]
	v_fma_f64 v[42:43], v[42:43], v[6:7], -v[8:9]
	scratch_load_b128 v[6:9], off, off offset:688
	s_wait_loadcnt_dscnt 0xa01
	v_mul_f64_e32 v[175:176], v[2:3], v[12:13]
	v_mul_f64_e32 v[12:13], v[4:5], v[12:13]
	v_add_f64_e32 v[169:170], 0, v[171:172]
	v_add_f64_e32 v[171:172], 0, v[173:174]
	s_wait_loadcnt_dscnt 0x900
	v_mul_f64_e32 v[173:174], v[165:166], v[16:17]
	v_mul_f64_e32 v[16:17], v[167:168], v[16:17]
	v_fma_f64 v[175:176], v[4:5], v[10:11], v[175:176]
	v_fma_f64 v[177:178], v[2:3], v[10:11], -v[12:13]
	ds_load_b128 v[2:5], v1 offset:1440
	scratch_load_b128 v[10:13], off, off offset:704
	v_add_f64_e32 v[169:170], v[169:170], v[42:43]
	v_add_f64_e32 v[171:172], v[171:172], v[44:45]
	ds_load_b128 v[42:45], v1 offset:1456
	v_fma_f64 v[167:168], v[167:168], v[14:15], v[173:174]
	v_fma_f64 v[165:166], v[165:166], v[14:15], -v[16:17]
	scratch_load_b128 v[14:17], off, off offset:720
	s_wait_loadcnt_dscnt 0xa01
	v_mul_f64_e32 v[179:180], v[2:3], v[20:21]
	v_mul_f64_e32 v[20:21], v[4:5], v[20:21]
	s_wait_loadcnt_dscnt 0x900
	v_mul_f64_e32 v[173:174], v[42:43], v[24:25]
	v_mul_f64_e32 v[24:25], v[44:45], v[24:25]
	v_add_f64_e32 v[169:170], v[169:170], v[177:178]
	v_add_f64_e32 v[171:172], v[171:172], v[175:176]
	v_fma_f64 v[175:176], v[4:5], v[18:19], v[179:180]
	v_fma_f64 v[177:178], v[2:3], v[18:19], -v[20:21]
	ds_load_b128 v[2:5], v1 offset:1472
	scratch_load_b128 v[18:21], off, off offset:736
	v_fma_f64 v[44:45], v[44:45], v[22:23], v[173:174]
	v_fma_f64 v[42:43], v[42:43], v[22:23], -v[24:25]
	scratch_load_b128 v[22:25], off, off offset:752
	v_add_f64_e32 v[169:170], v[169:170], v[165:166]
	v_add_f64_e32 v[171:172], v[171:172], v[167:168]
	ds_load_b128 v[165:168], v1 offset:1488
	s_wait_loadcnt_dscnt 0xa01
	v_mul_f64_e32 v[179:180], v[2:3], v[28:29]
	v_mul_f64_e32 v[28:29], v[4:5], v[28:29]
	s_wait_loadcnt_dscnt 0x900
	v_mul_f64_e32 v[173:174], v[165:166], v[32:33]
	v_mul_f64_e32 v[32:33], v[167:168], v[32:33]
	v_add_f64_e32 v[169:170], v[169:170], v[177:178]
	v_add_f64_e32 v[171:172], v[171:172], v[175:176]
	v_fma_f64 v[175:176], v[4:5], v[26:27], v[179:180]
	v_fma_f64 v[177:178], v[2:3], v[26:27], -v[28:29]
	ds_load_b128 v[2:5], v1 offset:1504
	scratch_load_b128 v[26:29], off, off offset:768
	v_fma_f64 v[167:168], v[167:168], v[30:31], v[173:174]
	v_fma_f64 v[165:166], v[165:166], v[30:31], -v[32:33]
	scratch_load_b128 v[30:33], off, off offset:784
	v_add_f64_e32 v[169:170], v[169:170], v[42:43]
	v_add_f64_e32 v[171:172], v[171:172], v[44:45]
	ds_load_b128 v[42:45], v1 offset:1520
	s_wait_loadcnt_dscnt 0xa01
	v_mul_f64_e32 v[179:180], v[2:3], v[36:37]
	v_mul_f64_e32 v[36:37], v[4:5], v[36:37]
	s_wait_loadcnt_dscnt 0x800
	v_mul_f64_e32 v[173:174], v[42:43], v[163:164]
	v_add_f64_e32 v[169:170], v[169:170], v[177:178]
	v_add_f64_e32 v[171:172], v[171:172], v[175:176]
	v_mul_f64_e32 v[175:176], v[44:45], v[163:164]
	v_fma_f64 v[177:178], v[4:5], v[34:35], v[179:180]
	v_fma_f64 v[179:180], v[2:3], v[34:35], -v[36:37]
	ds_load_b128 v[2:5], v1 offset:1536
	scratch_load_b128 v[34:37], off, off offset:800
	v_fma_f64 v[44:45], v[44:45], v[161:162], v[173:174]
	v_add_f64_e32 v[169:170], v[169:170], v[165:166]
	v_add_f64_e32 v[167:168], v[171:172], v[167:168]
	ds_load_b128 v[163:166], v1 offset:1552
	v_fma_f64 v[161:162], v[42:43], v[161:162], -v[175:176]
	s_wait_loadcnt_dscnt 0x801
	v_mul_f64_e32 v[171:172], v[2:3], v[40:41]
	v_mul_f64_e32 v[181:182], v[4:5], v[40:41]
	scratch_load_b128 v[40:43], off, off offset:816
	s_wait_loadcnt_dscnt 0x800
	v_mul_f64_e32 v[175:176], v[163:164], v[8:9]
	v_mul_f64_e32 v[8:9], v[165:166], v[8:9]
	v_add_f64_e32 v[169:170], v[169:170], v[179:180]
	v_add_f64_e32 v[167:168], v[167:168], v[177:178]
	v_fma_f64 v[177:178], v[4:5], v[38:39], v[171:172]
	v_fma_f64 v[38:39], v[2:3], v[38:39], -v[181:182]
	ds_load_b128 v[2:5], v1 offset:1568
	ds_load_b128 v[171:174], v1 offset:1584
	v_fma_f64 v[165:166], v[165:166], v[6:7], v[175:176]
	v_fma_f64 v[163:164], v[163:164], v[6:7], -v[8:9]
	scratch_load_b128 v[6:9], off, off offset:848
	v_add_f64_e32 v[161:162], v[169:170], v[161:162]
	v_add_f64_e32 v[44:45], v[167:168], v[44:45]
	scratch_load_b128 v[167:170], off, off offset:832
	s_wait_loadcnt_dscnt 0x901
	v_mul_f64_e32 v[179:180], v[2:3], v[12:13]
	v_mul_f64_e32 v[12:13], v[4:5], v[12:13]
	s_wait_loadcnt_dscnt 0x800
	v_mul_f64_e32 v[175:176], v[171:172], v[16:17]
	v_mul_f64_e32 v[16:17], v[173:174], v[16:17]
	v_add_f64_e32 v[38:39], v[161:162], v[38:39]
	v_add_f64_e32 v[44:45], v[44:45], v[177:178]
	v_fma_f64 v[177:178], v[4:5], v[10:11], v[179:180]
	v_fma_f64 v[179:180], v[2:3], v[10:11], -v[12:13]
	ds_load_b128 v[2:5], v1 offset:1600
	scratch_load_b128 v[10:13], off, off offset:864
	v_fma_f64 v[173:174], v[173:174], v[14:15], v[175:176]
	v_fma_f64 v[171:172], v[171:172], v[14:15], -v[16:17]
	scratch_load_b128 v[14:17], off, off offset:880
	v_add_f64_e32 v[38:39], v[38:39], v[163:164]
	v_add_f64_e32 v[44:45], v[44:45], v[165:166]
	ds_load_b128 v[161:164], v1 offset:1616
	s_wait_loadcnt_dscnt 0x901
	v_mul_f64_e32 v[165:166], v[2:3], v[20:21]
	v_mul_f64_e32 v[20:21], v[4:5], v[20:21]
	s_wait_loadcnt_dscnt 0x800
	v_mul_f64_e32 v[175:176], v[161:162], v[24:25]
	v_mul_f64_e32 v[24:25], v[163:164], v[24:25]
	v_add_f64_e32 v[38:39], v[38:39], v[179:180]
	v_add_f64_e32 v[44:45], v[44:45], v[177:178]
	v_fma_f64 v[165:166], v[4:5], v[18:19], v[165:166]
	v_fma_f64 v[177:178], v[2:3], v[18:19], -v[20:21]
	ds_load_b128 v[2:5], v1 offset:1632
	ds_load_b128 v[18:21], v1 offset:1648
	v_fma_f64 v[163:164], v[163:164], v[22:23], v[175:176]
	v_fma_f64 v[22:23], v[161:162], v[22:23], -v[24:25]
	v_add_f64_e32 v[38:39], v[38:39], v[171:172]
	v_add_f64_e32 v[44:45], v[44:45], v[173:174]
	s_wait_loadcnt_dscnt 0x701
	v_mul_f64_e32 v[171:172], v[2:3], v[28:29]
	v_mul_f64_e32 v[28:29], v[4:5], v[28:29]
	s_delay_alu instid0(VALU_DEP_4) | instskip(NEXT) | instid1(VALU_DEP_4)
	v_add_f64_e32 v[24:25], v[38:39], v[177:178]
	v_add_f64_e32 v[38:39], v[44:45], v[165:166]
	s_wait_loadcnt_dscnt 0x600
	v_mul_f64_e32 v[44:45], v[18:19], v[32:33]
	v_mul_f64_e32 v[32:33], v[20:21], v[32:33]
	v_fma_f64 v[161:162], v[4:5], v[26:27], v[171:172]
	v_fma_f64 v[26:27], v[2:3], v[26:27], -v[28:29]
	v_add_f64_e32 v[28:29], v[24:25], v[22:23]
	v_add_f64_e32 v[38:39], v[38:39], v[163:164]
	ds_load_b128 v[2:5], v1 offset:1664
	ds_load_b128 v[22:25], v1 offset:1680
	v_fma_f64 v[20:21], v[20:21], v[30:31], v[44:45]
	v_fma_f64 v[18:19], v[18:19], v[30:31], -v[32:33]
	s_wait_loadcnt_dscnt 0x501
	v_mul_f64_e32 v[163:164], v[2:3], v[36:37]
	v_mul_f64_e32 v[36:37], v[4:5], v[36:37]
	s_wait_loadcnt_dscnt 0x400
	v_mul_f64_e32 v[30:31], v[22:23], v[42:43]
	v_add_f64_e32 v[26:27], v[28:29], v[26:27]
	v_add_f64_e32 v[28:29], v[38:39], v[161:162]
	v_mul_f64_e32 v[32:33], v[24:25], v[42:43]
	v_fma_f64 v[38:39], v[4:5], v[34:35], v[163:164]
	v_fma_f64 v[34:35], v[2:3], v[34:35], -v[36:37]
	v_fma_f64 v[24:25], v[24:25], v[40:41], v[30:31]
	v_add_f64_e32 v[26:27], v[26:27], v[18:19]
	v_add_f64_e32 v[28:29], v[28:29], v[20:21]
	ds_load_b128 v[2:5], v1 offset:1696
	ds_load_b128 v[18:21], v1 offset:1712
	v_fma_f64 v[22:23], v[22:23], v[40:41], -v[32:33]
	s_wait_loadcnt_dscnt 0x201
	v_mul_f64_e32 v[36:37], v[2:3], v[169:170]
	v_mul_f64_e32 v[42:43], v[4:5], v[169:170]
	s_wait_dscnt 0x0
	v_mul_f64_e32 v[30:31], v[18:19], v[8:9]
	v_mul_f64_e32 v[8:9], v[20:21], v[8:9]
	v_add_f64_e32 v[26:27], v[26:27], v[34:35]
	v_add_f64_e32 v[28:29], v[28:29], v[38:39]
	v_fma_f64 v[32:33], v[4:5], v[167:168], v[36:37]
	v_fma_f64 v[34:35], v[2:3], v[167:168], -v[42:43]
	v_fma_f64 v[20:21], v[20:21], v[6:7], v[30:31]
	v_fma_f64 v[6:7], v[18:19], v[6:7], -v[8:9]
	v_add_f64_e32 v[26:27], v[26:27], v[22:23]
	v_add_f64_e32 v[28:29], v[28:29], v[24:25]
	ds_load_b128 v[2:5], v1 offset:1728
	ds_load_b128 v[22:25], v1 offset:1744
	s_wait_loadcnt_dscnt 0x101
	v_mul_f64_e32 v[36:37], v[2:3], v[12:13]
	v_mul_f64_e32 v[12:13], v[4:5], v[12:13]
	v_add_f64_e32 v[8:9], v[26:27], v[34:35]
	v_add_f64_e32 v[18:19], v[28:29], v[32:33]
	s_wait_loadcnt_dscnt 0x0
	v_mul_f64_e32 v[26:27], v[22:23], v[16:17]
	v_mul_f64_e32 v[16:17], v[24:25], v[16:17]
	v_fma_f64 v[4:5], v[4:5], v[10:11], v[36:37]
	v_fma_f64 v[1:2], v[2:3], v[10:11], -v[12:13]
	v_add_f64_e32 v[6:7], v[8:9], v[6:7]
	v_add_f64_e32 v[8:9], v[18:19], v[20:21]
	v_fma_f64 v[10:11], v[24:25], v[14:15], v[26:27]
	v_fma_f64 v[12:13], v[22:23], v[14:15], -v[16:17]
	s_delay_alu instid0(VALU_DEP_4) | instskip(NEXT) | instid1(VALU_DEP_4)
	v_add_f64_e32 v[1:2], v[6:7], v[1:2]
	v_add_f64_e32 v[3:4], v[8:9], v[4:5]
	s_delay_alu instid0(VALU_DEP_2) | instskip(NEXT) | instid1(VALU_DEP_2)
	v_add_f64_e32 v[1:2], v[1:2], v[12:13]
	v_add_f64_e32 v[3:4], v[3:4], v[10:11]
	s_delay_alu instid0(VALU_DEP_2) | instskip(NEXT) | instid1(VALU_DEP_2)
	v_add_f64_e64 v[1:2], v[157:158], -v[1:2]
	v_add_f64_e64 v[3:4], v[159:160], -v[3:4]
	scratch_store_b128 off, v[1:4], off offset:496
	v_cmpx_lt_u32_e32 29, v0
	s_cbranch_execz .LBB118_285
; %bb.284:
	scratch_load_b128 v[1:4], off, s39
	v_mov_b32_e32 v5, 0
	s_delay_alu instid0(VALU_DEP_1)
	v_dual_mov_b32 v6, v5 :: v_dual_mov_b32 v7, v5
	v_mov_b32_e32 v8, v5
	scratch_store_b128 off, v[5:8], off offset:480
	s_wait_loadcnt 0x0
	ds_store_b128 v156, v[1:4]
.LBB118_285:
	s_wait_alu 0xfffe
	s_or_b32 exec_lo, exec_lo, s0
	s_wait_storecnt_dscnt 0x0
	s_barrier_signal -1
	s_barrier_wait -1
	global_inv scope:SCOPE_SE
	s_clause 0x7
	scratch_load_b128 v[2:5], off, off offset:496
	scratch_load_b128 v[6:9], off, off offset:512
	;; [unrolled: 1-line block ×8, first 2 shown]
	v_mov_b32_e32 v1, 0
	s_mov_b32 s0, exec_lo
	ds_load_b128 v[34:37], v1 offset:1360
	s_clause 0x1
	scratch_load_b128 v[38:41], off, off offset:624
	scratch_load_b128 v[42:45], off, off offset:480
	ds_load_b128 v[157:160], v1 offset:1376
	scratch_load_b128 v[161:164], off, off offset:640
	s_wait_loadcnt_dscnt 0xa01
	v_mul_f64_e32 v[165:166], v[36:37], v[4:5]
	v_mul_f64_e32 v[4:5], v[34:35], v[4:5]
	s_delay_alu instid0(VALU_DEP_2) | instskip(NEXT) | instid1(VALU_DEP_2)
	v_fma_f64 v[171:172], v[34:35], v[2:3], -v[165:166]
	v_fma_f64 v[173:174], v[36:37], v[2:3], v[4:5]
	ds_load_b128 v[2:5], v1 offset:1392
	s_wait_loadcnt_dscnt 0x901
	v_mul_f64_e32 v[169:170], v[157:158], v[8:9]
	v_mul_f64_e32 v[8:9], v[159:160], v[8:9]
	scratch_load_b128 v[34:37], off, off offset:656
	ds_load_b128 v[165:168], v1 offset:1408
	s_wait_loadcnt_dscnt 0x901
	v_mul_f64_e32 v[175:176], v[2:3], v[12:13]
	v_mul_f64_e32 v[12:13], v[4:5], v[12:13]
	v_fma_f64 v[159:160], v[159:160], v[6:7], v[169:170]
	v_fma_f64 v[157:158], v[157:158], v[6:7], -v[8:9]
	v_add_f64_e32 v[169:170], 0, v[171:172]
	v_add_f64_e32 v[171:172], 0, v[173:174]
	scratch_load_b128 v[6:9], off, off offset:672
	v_fma_f64 v[175:176], v[4:5], v[10:11], v[175:176]
	v_fma_f64 v[177:178], v[2:3], v[10:11], -v[12:13]
	ds_load_b128 v[2:5], v1 offset:1424
	s_wait_loadcnt_dscnt 0x901
	v_mul_f64_e32 v[173:174], v[165:166], v[16:17]
	v_mul_f64_e32 v[16:17], v[167:168], v[16:17]
	scratch_load_b128 v[10:13], off, off offset:688
	v_add_f64_e32 v[169:170], v[169:170], v[157:158]
	v_add_f64_e32 v[171:172], v[171:172], v[159:160]
	s_wait_loadcnt_dscnt 0x900
	v_mul_f64_e32 v[179:180], v[2:3], v[20:21]
	v_mul_f64_e32 v[20:21], v[4:5], v[20:21]
	ds_load_b128 v[157:160], v1 offset:1440
	v_fma_f64 v[167:168], v[167:168], v[14:15], v[173:174]
	v_fma_f64 v[165:166], v[165:166], v[14:15], -v[16:17]
	scratch_load_b128 v[14:17], off, off offset:704
	v_add_f64_e32 v[169:170], v[169:170], v[177:178]
	v_add_f64_e32 v[171:172], v[171:172], v[175:176]
	v_fma_f64 v[175:176], v[4:5], v[18:19], v[179:180]
	v_fma_f64 v[177:178], v[2:3], v[18:19], -v[20:21]
	ds_load_b128 v[2:5], v1 offset:1456
	s_wait_loadcnt_dscnt 0x901
	v_mul_f64_e32 v[173:174], v[157:158], v[24:25]
	v_mul_f64_e32 v[24:25], v[159:160], v[24:25]
	scratch_load_b128 v[18:21], off, off offset:720
	s_wait_loadcnt_dscnt 0x900
	v_mul_f64_e32 v[179:180], v[2:3], v[28:29]
	v_mul_f64_e32 v[28:29], v[4:5], v[28:29]
	v_add_f64_e32 v[169:170], v[169:170], v[165:166]
	v_add_f64_e32 v[171:172], v[171:172], v[167:168]
	ds_load_b128 v[165:168], v1 offset:1472
	v_fma_f64 v[159:160], v[159:160], v[22:23], v[173:174]
	v_fma_f64 v[157:158], v[157:158], v[22:23], -v[24:25]
	scratch_load_b128 v[22:25], off, off offset:736
	v_add_f64_e32 v[169:170], v[169:170], v[177:178]
	v_add_f64_e32 v[171:172], v[171:172], v[175:176]
	v_fma_f64 v[175:176], v[4:5], v[26:27], v[179:180]
	v_fma_f64 v[177:178], v[2:3], v[26:27], -v[28:29]
	ds_load_b128 v[2:5], v1 offset:1488
	s_wait_loadcnt_dscnt 0x901
	v_mul_f64_e32 v[173:174], v[165:166], v[32:33]
	v_mul_f64_e32 v[32:33], v[167:168], v[32:33]
	scratch_load_b128 v[26:29], off, off offset:752
	s_wait_loadcnt_dscnt 0x900
	v_mul_f64_e32 v[179:180], v[2:3], v[40:41]
	v_mul_f64_e32 v[40:41], v[4:5], v[40:41]
	v_add_f64_e32 v[169:170], v[169:170], v[157:158]
	v_add_f64_e32 v[171:172], v[171:172], v[159:160]
	ds_load_b128 v[157:160], v1 offset:1504
	v_fma_f64 v[167:168], v[167:168], v[30:31], v[173:174]
	v_fma_f64 v[165:166], v[165:166], v[30:31], -v[32:33]
	scratch_load_b128 v[30:33], off, off offset:768
	v_add_f64_e32 v[169:170], v[169:170], v[177:178]
	v_add_f64_e32 v[171:172], v[171:172], v[175:176]
	v_fma_f64 v[177:178], v[4:5], v[38:39], v[179:180]
	v_fma_f64 v[179:180], v[2:3], v[38:39], -v[40:41]
	ds_load_b128 v[2:5], v1 offset:1520
	s_wait_loadcnt_dscnt 0x801
	v_mul_f64_e32 v[173:174], v[157:158], v[163:164]
	v_mul_f64_e32 v[175:176], v[159:160], v[163:164]
	scratch_load_b128 v[38:41], off, off offset:784
	v_add_f64_e32 v[169:170], v[169:170], v[165:166]
	v_add_f64_e32 v[167:168], v[171:172], v[167:168]
	ds_load_b128 v[163:166], v1 offset:1536
	v_fma_f64 v[173:174], v[159:160], v[161:162], v[173:174]
	v_fma_f64 v[161:162], v[157:158], v[161:162], -v[175:176]
	scratch_load_b128 v[157:160], off, off offset:800
	s_wait_loadcnt_dscnt 0x901
	v_mul_f64_e32 v[171:172], v[2:3], v[36:37]
	v_mul_f64_e32 v[36:37], v[4:5], v[36:37]
	v_add_f64_e32 v[169:170], v[169:170], v[179:180]
	v_add_f64_e32 v[167:168], v[167:168], v[177:178]
	s_delay_alu instid0(VALU_DEP_4) | instskip(NEXT) | instid1(VALU_DEP_4)
	v_fma_f64 v[171:172], v[4:5], v[34:35], v[171:172]
	v_fma_f64 v[177:178], v[2:3], v[34:35], -v[36:37]
	ds_load_b128 v[2:5], v1 offset:1552
	s_wait_loadcnt_dscnt 0x801
	v_mul_f64_e32 v[175:176], v[163:164], v[8:9]
	v_mul_f64_e32 v[8:9], v[165:166], v[8:9]
	scratch_load_b128 v[34:37], off, off offset:816
	s_wait_loadcnt_dscnt 0x800
	v_mul_f64_e32 v[179:180], v[2:3], v[12:13]
	v_add_f64_e32 v[161:162], v[169:170], v[161:162]
	v_add_f64_e32 v[173:174], v[167:168], v[173:174]
	v_mul_f64_e32 v[12:13], v[4:5], v[12:13]
	ds_load_b128 v[167:170], v1 offset:1568
	v_fma_f64 v[165:166], v[165:166], v[6:7], v[175:176]
	v_fma_f64 v[163:164], v[163:164], v[6:7], -v[8:9]
	scratch_load_b128 v[6:9], off, off offset:832
	v_fma_f64 v[175:176], v[4:5], v[10:11], v[179:180]
	v_add_f64_e32 v[161:162], v[161:162], v[177:178]
	v_add_f64_e32 v[171:172], v[173:174], v[171:172]
	v_fma_f64 v[177:178], v[2:3], v[10:11], -v[12:13]
	ds_load_b128 v[2:5], v1 offset:1584
	s_wait_loadcnt_dscnt 0x801
	v_mul_f64_e32 v[173:174], v[167:168], v[16:17]
	v_mul_f64_e32 v[16:17], v[169:170], v[16:17]
	scratch_load_b128 v[10:13], off, off offset:848
	v_add_f64_e32 v[179:180], v[161:162], v[163:164]
	v_add_f64_e32 v[165:166], v[171:172], v[165:166]
	s_wait_loadcnt_dscnt 0x800
	v_mul_f64_e32 v[171:172], v[2:3], v[20:21]
	v_mul_f64_e32 v[20:21], v[4:5], v[20:21]
	v_fma_f64 v[169:170], v[169:170], v[14:15], v[173:174]
	v_fma_f64 v[167:168], v[167:168], v[14:15], -v[16:17]
	ds_load_b128 v[161:164], v1 offset:1600
	scratch_load_b128 v[14:17], off, off offset:864
	v_add_f64_e32 v[173:174], v[179:180], v[177:178]
	v_add_f64_e32 v[165:166], v[165:166], v[175:176]
	v_fma_f64 v[171:172], v[4:5], v[18:19], v[171:172]
	v_fma_f64 v[177:178], v[2:3], v[18:19], -v[20:21]
	ds_load_b128 v[2:5], v1 offset:1616
	s_wait_loadcnt_dscnt 0x801
	v_mul_f64_e32 v[175:176], v[161:162], v[24:25]
	v_mul_f64_e32 v[24:25], v[163:164], v[24:25]
	scratch_load_b128 v[18:21], off, off offset:880
	s_wait_loadcnt_dscnt 0x800
	v_mul_f64_e32 v[179:180], v[2:3], v[28:29]
	v_mul_f64_e32 v[28:29], v[4:5], v[28:29]
	v_add_f64_e32 v[173:174], v[173:174], v[167:168]
	v_add_f64_e32 v[169:170], v[165:166], v[169:170]
	ds_load_b128 v[165:168], v1 offset:1632
	v_fma_f64 v[163:164], v[163:164], v[22:23], v[175:176]
	v_fma_f64 v[22:23], v[161:162], v[22:23], -v[24:25]
	v_add_f64_e32 v[24:25], v[173:174], v[177:178]
	v_add_f64_e32 v[161:162], v[169:170], v[171:172]
	s_wait_loadcnt_dscnt 0x700
	v_mul_f64_e32 v[169:170], v[165:166], v[32:33]
	v_mul_f64_e32 v[32:33], v[167:168], v[32:33]
	v_fma_f64 v[171:172], v[4:5], v[26:27], v[179:180]
	v_fma_f64 v[26:27], v[2:3], v[26:27], -v[28:29]
	v_add_f64_e32 v[28:29], v[24:25], v[22:23]
	v_add_f64_e32 v[161:162], v[161:162], v[163:164]
	ds_load_b128 v[2:5], v1 offset:1648
	ds_load_b128 v[22:25], v1 offset:1664
	v_fma_f64 v[167:168], v[167:168], v[30:31], v[169:170]
	v_fma_f64 v[30:31], v[165:166], v[30:31], -v[32:33]
	s_wait_loadcnt_dscnt 0x601
	v_mul_f64_e32 v[163:164], v[2:3], v[40:41]
	v_mul_f64_e32 v[40:41], v[4:5], v[40:41]
	s_wait_loadcnt_dscnt 0x500
	v_mul_f64_e32 v[32:33], v[22:23], v[159:160]
	v_mul_f64_e32 v[159:160], v[24:25], v[159:160]
	v_add_f64_e32 v[26:27], v[28:29], v[26:27]
	v_add_f64_e32 v[28:29], v[161:162], v[171:172]
	v_fma_f64 v[161:162], v[4:5], v[38:39], v[163:164]
	v_fma_f64 v[38:39], v[2:3], v[38:39], -v[40:41]
	v_fma_f64 v[24:25], v[24:25], v[157:158], v[32:33]
	v_fma_f64 v[22:23], v[22:23], v[157:158], -v[159:160]
	v_add_f64_e32 v[30:31], v[26:27], v[30:31]
	v_add_f64_e32 v[40:41], v[28:29], v[167:168]
	ds_load_b128 v[2:5], v1 offset:1680
	ds_load_b128 v[26:29], v1 offset:1696
	s_wait_loadcnt_dscnt 0x401
	v_mul_f64_e32 v[163:164], v[2:3], v[36:37]
	v_mul_f64_e32 v[36:37], v[4:5], v[36:37]
	v_add_f64_e32 v[30:31], v[30:31], v[38:39]
	v_add_f64_e32 v[32:33], v[40:41], v[161:162]
	s_wait_loadcnt_dscnt 0x300
	v_mul_f64_e32 v[38:39], v[26:27], v[8:9]
	v_mul_f64_e32 v[8:9], v[28:29], v[8:9]
	v_fma_f64 v[40:41], v[4:5], v[34:35], v[163:164]
	v_fma_f64 v[34:35], v[2:3], v[34:35], -v[36:37]
	v_add_f64_e32 v[30:31], v[30:31], v[22:23]
	v_add_f64_e32 v[32:33], v[32:33], v[24:25]
	ds_load_b128 v[2:5], v1 offset:1712
	ds_load_b128 v[22:25], v1 offset:1728
	v_fma_f64 v[28:29], v[28:29], v[6:7], v[38:39]
	v_fma_f64 v[6:7], v[26:27], v[6:7], -v[8:9]
	s_wait_loadcnt_dscnt 0x201
	v_mul_f64_e32 v[36:37], v[2:3], v[12:13]
	v_mul_f64_e32 v[12:13], v[4:5], v[12:13]
	v_add_f64_e32 v[8:9], v[30:31], v[34:35]
	v_add_f64_e32 v[26:27], v[32:33], v[40:41]
	s_wait_loadcnt_dscnt 0x100
	v_mul_f64_e32 v[30:31], v[22:23], v[16:17]
	v_mul_f64_e32 v[16:17], v[24:25], v[16:17]
	v_fma_f64 v[32:33], v[4:5], v[10:11], v[36:37]
	v_fma_f64 v[10:11], v[2:3], v[10:11], -v[12:13]
	ds_load_b128 v[2:5], v1 offset:1744
	v_add_f64_e32 v[6:7], v[8:9], v[6:7]
	v_add_f64_e32 v[8:9], v[26:27], v[28:29]
	v_fma_f64 v[24:25], v[24:25], v[14:15], v[30:31]
	v_fma_f64 v[14:15], v[22:23], v[14:15], -v[16:17]
	s_wait_loadcnt_dscnt 0x0
	v_mul_f64_e32 v[12:13], v[2:3], v[20:21]
	v_mul_f64_e32 v[20:21], v[4:5], v[20:21]
	v_add_f64_e32 v[6:7], v[6:7], v[10:11]
	v_add_f64_e32 v[8:9], v[8:9], v[32:33]
	s_delay_alu instid0(VALU_DEP_4) | instskip(NEXT) | instid1(VALU_DEP_4)
	v_fma_f64 v[4:5], v[4:5], v[18:19], v[12:13]
	v_fma_f64 v[2:3], v[2:3], v[18:19], -v[20:21]
	s_delay_alu instid0(VALU_DEP_4) | instskip(NEXT) | instid1(VALU_DEP_4)
	v_add_f64_e32 v[6:7], v[6:7], v[14:15]
	v_add_f64_e32 v[8:9], v[8:9], v[24:25]
	s_delay_alu instid0(VALU_DEP_2) | instskip(NEXT) | instid1(VALU_DEP_2)
	v_add_f64_e32 v[2:3], v[6:7], v[2:3]
	v_add_f64_e32 v[4:5], v[8:9], v[4:5]
	s_delay_alu instid0(VALU_DEP_2) | instskip(NEXT) | instid1(VALU_DEP_2)
	v_add_f64_e64 v[2:3], v[42:43], -v[2:3]
	v_add_f64_e64 v[4:5], v[44:45], -v[4:5]
	scratch_store_b128 off, v[2:5], off offset:480
	v_cmpx_lt_u32_e32 28, v0
	s_cbranch_execz .LBB118_287
; %bb.286:
	scratch_load_b128 v[5:8], off, s40
	v_dual_mov_b32 v2, v1 :: v_dual_mov_b32 v3, v1
	v_mov_b32_e32 v4, v1
	scratch_store_b128 off, v[1:4], off offset:464
	s_wait_loadcnt 0x0
	ds_store_b128 v156, v[5:8]
.LBB118_287:
	s_wait_alu 0xfffe
	s_or_b32 exec_lo, exec_lo, s0
	s_wait_storecnt_dscnt 0x0
	s_barrier_signal -1
	s_barrier_wait -1
	global_inv scope:SCOPE_SE
	s_clause 0x8
	scratch_load_b128 v[2:5], off, off offset:480
	scratch_load_b128 v[6:9], off, off offset:496
	;; [unrolled: 1-line block ×9, first 2 shown]
	ds_load_b128 v[38:41], v1 offset:1344
	ds_load_b128 v[42:45], v1 offset:1360
	s_clause 0x1
	scratch_load_b128 v[157:160], off, off offset:464
	scratch_load_b128 v[161:164], off, off offset:624
	s_mov_b32 s0, exec_lo
	s_wait_loadcnt_dscnt 0xa01
	v_mul_f64_e32 v[165:166], v[40:41], v[4:5]
	v_mul_f64_e32 v[4:5], v[38:39], v[4:5]
	s_wait_loadcnt_dscnt 0x900
	v_mul_f64_e32 v[169:170], v[42:43], v[8:9]
	v_mul_f64_e32 v[8:9], v[44:45], v[8:9]
	s_delay_alu instid0(VALU_DEP_4) | instskip(NEXT) | instid1(VALU_DEP_4)
	v_fma_f64 v[171:172], v[38:39], v[2:3], -v[165:166]
	v_fma_f64 v[173:174], v[40:41], v[2:3], v[4:5]
	ds_load_b128 v[2:5], v1 offset:1376
	ds_load_b128 v[165:168], v1 offset:1392
	scratch_load_b128 v[38:41], off, off offset:640
	v_fma_f64 v[44:45], v[44:45], v[6:7], v[169:170]
	v_fma_f64 v[42:43], v[42:43], v[6:7], -v[8:9]
	scratch_load_b128 v[6:9], off, off offset:656
	s_wait_loadcnt_dscnt 0xa01
	v_mul_f64_e32 v[175:176], v[2:3], v[12:13]
	v_mul_f64_e32 v[12:13], v[4:5], v[12:13]
	v_add_f64_e32 v[169:170], 0, v[171:172]
	v_add_f64_e32 v[171:172], 0, v[173:174]
	s_wait_loadcnt_dscnt 0x900
	v_mul_f64_e32 v[173:174], v[165:166], v[16:17]
	v_mul_f64_e32 v[16:17], v[167:168], v[16:17]
	v_fma_f64 v[175:176], v[4:5], v[10:11], v[175:176]
	v_fma_f64 v[177:178], v[2:3], v[10:11], -v[12:13]
	ds_load_b128 v[2:5], v1 offset:1408
	scratch_load_b128 v[10:13], off, off offset:672
	v_add_f64_e32 v[169:170], v[169:170], v[42:43]
	v_add_f64_e32 v[171:172], v[171:172], v[44:45]
	ds_load_b128 v[42:45], v1 offset:1424
	v_fma_f64 v[167:168], v[167:168], v[14:15], v[173:174]
	v_fma_f64 v[165:166], v[165:166], v[14:15], -v[16:17]
	scratch_load_b128 v[14:17], off, off offset:688
	s_wait_loadcnt_dscnt 0xa01
	v_mul_f64_e32 v[179:180], v[2:3], v[20:21]
	v_mul_f64_e32 v[20:21], v[4:5], v[20:21]
	s_wait_loadcnt_dscnt 0x900
	v_mul_f64_e32 v[173:174], v[42:43], v[24:25]
	v_mul_f64_e32 v[24:25], v[44:45], v[24:25]
	v_add_f64_e32 v[169:170], v[169:170], v[177:178]
	v_add_f64_e32 v[171:172], v[171:172], v[175:176]
	v_fma_f64 v[175:176], v[4:5], v[18:19], v[179:180]
	v_fma_f64 v[177:178], v[2:3], v[18:19], -v[20:21]
	ds_load_b128 v[2:5], v1 offset:1440
	scratch_load_b128 v[18:21], off, off offset:704
	v_fma_f64 v[44:45], v[44:45], v[22:23], v[173:174]
	v_fma_f64 v[42:43], v[42:43], v[22:23], -v[24:25]
	scratch_load_b128 v[22:25], off, off offset:720
	v_add_f64_e32 v[169:170], v[169:170], v[165:166]
	v_add_f64_e32 v[171:172], v[171:172], v[167:168]
	ds_load_b128 v[165:168], v1 offset:1456
	s_wait_loadcnt_dscnt 0xa01
	v_mul_f64_e32 v[179:180], v[2:3], v[28:29]
	v_mul_f64_e32 v[28:29], v[4:5], v[28:29]
	s_wait_loadcnt_dscnt 0x900
	v_mul_f64_e32 v[173:174], v[165:166], v[32:33]
	v_mul_f64_e32 v[32:33], v[167:168], v[32:33]
	v_add_f64_e32 v[169:170], v[169:170], v[177:178]
	v_add_f64_e32 v[171:172], v[171:172], v[175:176]
	v_fma_f64 v[175:176], v[4:5], v[26:27], v[179:180]
	v_fma_f64 v[177:178], v[2:3], v[26:27], -v[28:29]
	ds_load_b128 v[2:5], v1 offset:1472
	scratch_load_b128 v[26:29], off, off offset:736
	v_fma_f64 v[167:168], v[167:168], v[30:31], v[173:174]
	v_fma_f64 v[165:166], v[165:166], v[30:31], -v[32:33]
	scratch_load_b128 v[30:33], off, off offset:752
	v_add_f64_e32 v[169:170], v[169:170], v[42:43]
	v_add_f64_e32 v[171:172], v[171:172], v[44:45]
	ds_load_b128 v[42:45], v1 offset:1488
	s_wait_loadcnt_dscnt 0xa01
	v_mul_f64_e32 v[179:180], v[2:3], v[36:37]
	v_mul_f64_e32 v[36:37], v[4:5], v[36:37]
	s_wait_loadcnt_dscnt 0x800
	v_mul_f64_e32 v[173:174], v[42:43], v[163:164]
	v_add_f64_e32 v[169:170], v[169:170], v[177:178]
	v_add_f64_e32 v[171:172], v[171:172], v[175:176]
	v_mul_f64_e32 v[175:176], v[44:45], v[163:164]
	v_fma_f64 v[177:178], v[4:5], v[34:35], v[179:180]
	v_fma_f64 v[179:180], v[2:3], v[34:35], -v[36:37]
	ds_load_b128 v[2:5], v1 offset:1504
	scratch_load_b128 v[34:37], off, off offset:768
	v_fma_f64 v[44:45], v[44:45], v[161:162], v[173:174]
	v_add_f64_e32 v[169:170], v[169:170], v[165:166]
	v_add_f64_e32 v[167:168], v[171:172], v[167:168]
	ds_load_b128 v[163:166], v1 offset:1520
	v_fma_f64 v[161:162], v[42:43], v[161:162], -v[175:176]
	s_wait_loadcnt_dscnt 0x801
	v_mul_f64_e32 v[171:172], v[2:3], v[40:41]
	v_mul_f64_e32 v[181:182], v[4:5], v[40:41]
	scratch_load_b128 v[40:43], off, off offset:784
	s_wait_loadcnt_dscnt 0x800
	v_mul_f64_e32 v[175:176], v[163:164], v[8:9]
	v_mul_f64_e32 v[8:9], v[165:166], v[8:9]
	v_add_f64_e32 v[169:170], v[169:170], v[179:180]
	v_add_f64_e32 v[167:168], v[167:168], v[177:178]
	v_fma_f64 v[177:178], v[4:5], v[38:39], v[171:172]
	v_fma_f64 v[38:39], v[2:3], v[38:39], -v[181:182]
	ds_load_b128 v[2:5], v1 offset:1536
	ds_load_b128 v[171:174], v1 offset:1552
	v_fma_f64 v[165:166], v[165:166], v[6:7], v[175:176]
	v_fma_f64 v[163:164], v[163:164], v[6:7], -v[8:9]
	scratch_load_b128 v[6:9], off, off offset:816
	v_add_f64_e32 v[161:162], v[169:170], v[161:162]
	v_add_f64_e32 v[44:45], v[167:168], v[44:45]
	scratch_load_b128 v[167:170], off, off offset:800
	s_wait_loadcnt_dscnt 0x901
	v_mul_f64_e32 v[179:180], v[2:3], v[12:13]
	v_mul_f64_e32 v[12:13], v[4:5], v[12:13]
	s_wait_loadcnt_dscnt 0x800
	v_mul_f64_e32 v[175:176], v[171:172], v[16:17]
	v_mul_f64_e32 v[16:17], v[173:174], v[16:17]
	v_add_f64_e32 v[38:39], v[161:162], v[38:39]
	v_add_f64_e32 v[44:45], v[44:45], v[177:178]
	v_fma_f64 v[177:178], v[4:5], v[10:11], v[179:180]
	v_fma_f64 v[179:180], v[2:3], v[10:11], -v[12:13]
	ds_load_b128 v[2:5], v1 offset:1568
	scratch_load_b128 v[10:13], off, off offset:832
	v_fma_f64 v[173:174], v[173:174], v[14:15], v[175:176]
	v_fma_f64 v[171:172], v[171:172], v[14:15], -v[16:17]
	scratch_load_b128 v[14:17], off, off offset:848
	v_add_f64_e32 v[38:39], v[38:39], v[163:164]
	v_add_f64_e32 v[44:45], v[44:45], v[165:166]
	ds_load_b128 v[161:164], v1 offset:1584
	s_wait_loadcnt_dscnt 0x901
	v_mul_f64_e32 v[165:166], v[2:3], v[20:21]
	v_mul_f64_e32 v[20:21], v[4:5], v[20:21]
	s_wait_loadcnt_dscnt 0x800
	v_mul_f64_e32 v[175:176], v[161:162], v[24:25]
	v_mul_f64_e32 v[24:25], v[163:164], v[24:25]
	v_add_f64_e32 v[38:39], v[38:39], v[179:180]
	v_add_f64_e32 v[44:45], v[44:45], v[177:178]
	v_fma_f64 v[165:166], v[4:5], v[18:19], v[165:166]
	v_fma_f64 v[177:178], v[2:3], v[18:19], -v[20:21]
	ds_load_b128 v[2:5], v1 offset:1600
	scratch_load_b128 v[18:21], off, off offset:864
	v_fma_f64 v[163:164], v[163:164], v[22:23], v[175:176]
	v_fma_f64 v[161:162], v[161:162], v[22:23], -v[24:25]
	scratch_load_b128 v[22:25], off, off offset:880
	v_add_f64_e32 v[38:39], v[38:39], v[171:172]
	v_add_f64_e32 v[44:45], v[44:45], v[173:174]
	ds_load_b128 v[171:174], v1 offset:1616
	s_wait_loadcnt_dscnt 0x901
	v_mul_f64_e32 v[179:180], v[2:3], v[28:29]
	v_mul_f64_e32 v[28:29], v[4:5], v[28:29]
	v_add_f64_e32 v[38:39], v[38:39], v[177:178]
	v_add_f64_e32 v[44:45], v[44:45], v[165:166]
	s_wait_loadcnt_dscnt 0x800
	v_mul_f64_e32 v[165:166], v[171:172], v[32:33]
	v_mul_f64_e32 v[32:33], v[173:174], v[32:33]
	v_fma_f64 v[175:176], v[4:5], v[26:27], v[179:180]
	v_fma_f64 v[177:178], v[2:3], v[26:27], -v[28:29]
	ds_load_b128 v[2:5], v1 offset:1632
	ds_load_b128 v[26:29], v1 offset:1648
	v_add_f64_e32 v[38:39], v[38:39], v[161:162]
	v_add_f64_e32 v[44:45], v[44:45], v[163:164]
	s_wait_loadcnt_dscnt 0x701
	v_mul_f64_e32 v[161:162], v[2:3], v[36:37]
	v_mul_f64_e32 v[36:37], v[4:5], v[36:37]
	v_fma_f64 v[163:164], v[173:174], v[30:31], v[165:166]
	v_fma_f64 v[30:31], v[171:172], v[30:31], -v[32:33]
	v_add_f64_e32 v[32:33], v[38:39], v[177:178]
	v_add_f64_e32 v[38:39], v[44:45], v[175:176]
	s_wait_loadcnt_dscnt 0x600
	v_mul_f64_e32 v[44:45], v[26:27], v[42:43]
	v_mul_f64_e32 v[42:43], v[28:29], v[42:43]
	v_fma_f64 v[161:162], v[4:5], v[34:35], v[161:162]
	v_fma_f64 v[34:35], v[2:3], v[34:35], -v[36:37]
	v_add_f64_e32 v[36:37], v[32:33], v[30:31]
	v_add_f64_e32 v[38:39], v[38:39], v[163:164]
	ds_load_b128 v[2:5], v1 offset:1664
	ds_load_b128 v[30:33], v1 offset:1680
	v_fma_f64 v[28:29], v[28:29], v[40:41], v[44:45]
	v_fma_f64 v[26:27], v[26:27], v[40:41], -v[42:43]
	s_wait_loadcnt_dscnt 0x401
	v_mul_f64_e32 v[163:164], v[2:3], v[169:170]
	v_mul_f64_e32 v[165:166], v[4:5], v[169:170]
	v_add_f64_e32 v[34:35], v[36:37], v[34:35]
	v_add_f64_e32 v[36:37], v[38:39], v[161:162]
	s_wait_dscnt 0x0
	v_mul_f64_e32 v[38:39], v[30:31], v[8:9]
	v_mul_f64_e32 v[8:9], v[32:33], v[8:9]
	v_fma_f64 v[40:41], v[4:5], v[167:168], v[163:164]
	v_fma_f64 v[42:43], v[2:3], v[167:168], -v[165:166]
	v_add_f64_e32 v[34:35], v[34:35], v[26:27]
	v_add_f64_e32 v[36:37], v[36:37], v[28:29]
	ds_load_b128 v[2:5], v1 offset:1696
	ds_load_b128 v[26:29], v1 offset:1712
	v_fma_f64 v[32:33], v[32:33], v[6:7], v[38:39]
	v_fma_f64 v[6:7], v[30:31], v[6:7], -v[8:9]
	s_wait_loadcnt_dscnt 0x301
	v_mul_f64_e32 v[44:45], v[2:3], v[12:13]
	v_mul_f64_e32 v[12:13], v[4:5], v[12:13]
	v_add_f64_e32 v[8:9], v[34:35], v[42:43]
	v_add_f64_e32 v[30:31], v[36:37], v[40:41]
	s_wait_loadcnt_dscnt 0x200
	v_mul_f64_e32 v[34:35], v[26:27], v[16:17]
	v_mul_f64_e32 v[16:17], v[28:29], v[16:17]
	v_fma_f64 v[36:37], v[4:5], v[10:11], v[44:45]
	v_fma_f64 v[10:11], v[2:3], v[10:11], -v[12:13]
	v_add_f64_e32 v[12:13], v[8:9], v[6:7]
	v_add_f64_e32 v[30:31], v[30:31], v[32:33]
	ds_load_b128 v[2:5], v1 offset:1728
	ds_load_b128 v[6:9], v1 offset:1744
	v_fma_f64 v[28:29], v[28:29], v[14:15], v[34:35]
	v_fma_f64 v[14:15], v[26:27], v[14:15], -v[16:17]
	s_wait_loadcnt_dscnt 0x101
	v_mul_f64_e32 v[32:33], v[2:3], v[20:21]
	v_mul_f64_e32 v[20:21], v[4:5], v[20:21]
	s_wait_loadcnt_dscnt 0x0
	v_mul_f64_e32 v[16:17], v[6:7], v[24:25]
	v_mul_f64_e32 v[24:25], v[8:9], v[24:25]
	v_add_f64_e32 v[10:11], v[12:13], v[10:11]
	v_add_f64_e32 v[12:13], v[30:31], v[36:37]
	v_fma_f64 v[4:5], v[4:5], v[18:19], v[32:33]
	v_fma_f64 v[1:2], v[2:3], v[18:19], -v[20:21]
	v_fma_f64 v[8:9], v[8:9], v[22:23], v[16:17]
	v_fma_f64 v[6:7], v[6:7], v[22:23], -v[24:25]
	v_add_f64_e32 v[10:11], v[10:11], v[14:15]
	v_add_f64_e32 v[12:13], v[12:13], v[28:29]
	s_delay_alu instid0(VALU_DEP_2) | instskip(NEXT) | instid1(VALU_DEP_2)
	v_add_f64_e32 v[1:2], v[10:11], v[1:2]
	v_add_f64_e32 v[3:4], v[12:13], v[4:5]
	s_delay_alu instid0(VALU_DEP_2) | instskip(NEXT) | instid1(VALU_DEP_2)
	;; [unrolled: 3-line block ×3, first 2 shown]
	v_add_f64_e64 v[1:2], v[157:158], -v[1:2]
	v_add_f64_e64 v[3:4], v[159:160], -v[3:4]
	scratch_store_b128 off, v[1:4], off offset:464
	v_cmpx_lt_u32_e32 27, v0
	s_cbranch_execz .LBB118_289
; %bb.288:
	scratch_load_b128 v[1:4], off, s41
	v_mov_b32_e32 v5, 0
	s_delay_alu instid0(VALU_DEP_1)
	v_dual_mov_b32 v6, v5 :: v_dual_mov_b32 v7, v5
	v_mov_b32_e32 v8, v5
	scratch_store_b128 off, v[5:8], off offset:448
	s_wait_loadcnt 0x0
	ds_store_b128 v156, v[1:4]
.LBB118_289:
	s_wait_alu 0xfffe
	s_or_b32 exec_lo, exec_lo, s0
	s_wait_storecnt_dscnt 0x0
	s_barrier_signal -1
	s_barrier_wait -1
	global_inv scope:SCOPE_SE
	s_clause 0x7
	scratch_load_b128 v[2:5], off, off offset:464
	scratch_load_b128 v[6:9], off, off offset:480
	;; [unrolled: 1-line block ×8, first 2 shown]
	v_mov_b32_e32 v1, 0
	s_mov_b32 s0, exec_lo
	ds_load_b128 v[34:37], v1 offset:1328
	s_clause 0x1
	scratch_load_b128 v[38:41], off, off offset:592
	scratch_load_b128 v[42:45], off, off offset:448
	ds_load_b128 v[157:160], v1 offset:1344
	scratch_load_b128 v[161:164], off, off offset:608
	s_wait_loadcnt_dscnt 0xa01
	v_mul_f64_e32 v[165:166], v[36:37], v[4:5]
	v_mul_f64_e32 v[4:5], v[34:35], v[4:5]
	s_delay_alu instid0(VALU_DEP_2) | instskip(NEXT) | instid1(VALU_DEP_2)
	v_fma_f64 v[171:172], v[34:35], v[2:3], -v[165:166]
	v_fma_f64 v[173:174], v[36:37], v[2:3], v[4:5]
	ds_load_b128 v[2:5], v1 offset:1360
	s_wait_loadcnt_dscnt 0x901
	v_mul_f64_e32 v[169:170], v[157:158], v[8:9]
	v_mul_f64_e32 v[8:9], v[159:160], v[8:9]
	scratch_load_b128 v[34:37], off, off offset:624
	ds_load_b128 v[165:168], v1 offset:1376
	s_wait_loadcnt_dscnt 0x901
	v_mul_f64_e32 v[175:176], v[2:3], v[12:13]
	v_mul_f64_e32 v[12:13], v[4:5], v[12:13]
	v_fma_f64 v[159:160], v[159:160], v[6:7], v[169:170]
	v_fma_f64 v[157:158], v[157:158], v[6:7], -v[8:9]
	v_add_f64_e32 v[169:170], 0, v[171:172]
	v_add_f64_e32 v[171:172], 0, v[173:174]
	scratch_load_b128 v[6:9], off, off offset:640
	v_fma_f64 v[175:176], v[4:5], v[10:11], v[175:176]
	v_fma_f64 v[177:178], v[2:3], v[10:11], -v[12:13]
	ds_load_b128 v[2:5], v1 offset:1392
	s_wait_loadcnt_dscnt 0x901
	v_mul_f64_e32 v[173:174], v[165:166], v[16:17]
	v_mul_f64_e32 v[16:17], v[167:168], v[16:17]
	scratch_load_b128 v[10:13], off, off offset:656
	v_add_f64_e32 v[169:170], v[169:170], v[157:158]
	v_add_f64_e32 v[171:172], v[171:172], v[159:160]
	s_wait_loadcnt_dscnt 0x900
	v_mul_f64_e32 v[179:180], v[2:3], v[20:21]
	v_mul_f64_e32 v[20:21], v[4:5], v[20:21]
	ds_load_b128 v[157:160], v1 offset:1408
	v_fma_f64 v[167:168], v[167:168], v[14:15], v[173:174]
	v_fma_f64 v[165:166], v[165:166], v[14:15], -v[16:17]
	scratch_load_b128 v[14:17], off, off offset:672
	v_add_f64_e32 v[169:170], v[169:170], v[177:178]
	v_add_f64_e32 v[171:172], v[171:172], v[175:176]
	v_fma_f64 v[175:176], v[4:5], v[18:19], v[179:180]
	v_fma_f64 v[177:178], v[2:3], v[18:19], -v[20:21]
	ds_load_b128 v[2:5], v1 offset:1424
	s_wait_loadcnt_dscnt 0x901
	v_mul_f64_e32 v[173:174], v[157:158], v[24:25]
	v_mul_f64_e32 v[24:25], v[159:160], v[24:25]
	scratch_load_b128 v[18:21], off, off offset:688
	s_wait_loadcnt_dscnt 0x900
	v_mul_f64_e32 v[179:180], v[2:3], v[28:29]
	v_mul_f64_e32 v[28:29], v[4:5], v[28:29]
	v_add_f64_e32 v[169:170], v[169:170], v[165:166]
	v_add_f64_e32 v[171:172], v[171:172], v[167:168]
	ds_load_b128 v[165:168], v1 offset:1440
	v_fma_f64 v[159:160], v[159:160], v[22:23], v[173:174]
	v_fma_f64 v[157:158], v[157:158], v[22:23], -v[24:25]
	scratch_load_b128 v[22:25], off, off offset:704
	v_add_f64_e32 v[169:170], v[169:170], v[177:178]
	v_add_f64_e32 v[171:172], v[171:172], v[175:176]
	v_fma_f64 v[175:176], v[4:5], v[26:27], v[179:180]
	v_fma_f64 v[177:178], v[2:3], v[26:27], -v[28:29]
	ds_load_b128 v[2:5], v1 offset:1456
	s_wait_loadcnt_dscnt 0x901
	v_mul_f64_e32 v[173:174], v[165:166], v[32:33]
	v_mul_f64_e32 v[32:33], v[167:168], v[32:33]
	scratch_load_b128 v[26:29], off, off offset:720
	s_wait_loadcnt_dscnt 0x900
	v_mul_f64_e32 v[179:180], v[2:3], v[40:41]
	v_mul_f64_e32 v[40:41], v[4:5], v[40:41]
	v_add_f64_e32 v[169:170], v[169:170], v[157:158]
	v_add_f64_e32 v[171:172], v[171:172], v[159:160]
	ds_load_b128 v[157:160], v1 offset:1472
	v_fma_f64 v[167:168], v[167:168], v[30:31], v[173:174]
	v_fma_f64 v[165:166], v[165:166], v[30:31], -v[32:33]
	scratch_load_b128 v[30:33], off, off offset:736
	v_add_f64_e32 v[169:170], v[169:170], v[177:178]
	v_add_f64_e32 v[171:172], v[171:172], v[175:176]
	v_fma_f64 v[177:178], v[4:5], v[38:39], v[179:180]
	v_fma_f64 v[179:180], v[2:3], v[38:39], -v[40:41]
	ds_load_b128 v[2:5], v1 offset:1488
	s_wait_loadcnt_dscnt 0x801
	v_mul_f64_e32 v[173:174], v[157:158], v[163:164]
	v_mul_f64_e32 v[175:176], v[159:160], v[163:164]
	scratch_load_b128 v[38:41], off, off offset:752
	v_add_f64_e32 v[169:170], v[169:170], v[165:166]
	v_add_f64_e32 v[167:168], v[171:172], v[167:168]
	ds_load_b128 v[163:166], v1 offset:1504
	v_fma_f64 v[173:174], v[159:160], v[161:162], v[173:174]
	v_fma_f64 v[161:162], v[157:158], v[161:162], -v[175:176]
	scratch_load_b128 v[157:160], off, off offset:768
	s_wait_loadcnt_dscnt 0x901
	v_mul_f64_e32 v[171:172], v[2:3], v[36:37]
	v_mul_f64_e32 v[36:37], v[4:5], v[36:37]
	v_add_f64_e32 v[169:170], v[169:170], v[179:180]
	v_add_f64_e32 v[167:168], v[167:168], v[177:178]
	s_delay_alu instid0(VALU_DEP_4) | instskip(NEXT) | instid1(VALU_DEP_4)
	v_fma_f64 v[171:172], v[4:5], v[34:35], v[171:172]
	v_fma_f64 v[177:178], v[2:3], v[34:35], -v[36:37]
	ds_load_b128 v[2:5], v1 offset:1520
	s_wait_loadcnt_dscnt 0x801
	v_mul_f64_e32 v[175:176], v[163:164], v[8:9]
	v_mul_f64_e32 v[8:9], v[165:166], v[8:9]
	scratch_load_b128 v[34:37], off, off offset:784
	s_wait_loadcnt_dscnt 0x800
	v_mul_f64_e32 v[179:180], v[2:3], v[12:13]
	v_add_f64_e32 v[161:162], v[169:170], v[161:162]
	v_add_f64_e32 v[173:174], v[167:168], v[173:174]
	v_mul_f64_e32 v[12:13], v[4:5], v[12:13]
	ds_load_b128 v[167:170], v1 offset:1536
	v_fma_f64 v[165:166], v[165:166], v[6:7], v[175:176]
	v_fma_f64 v[163:164], v[163:164], v[6:7], -v[8:9]
	scratch_load_b128 v[6:9], off, off offset:800
	v_fma_f64 v[175:176], v[4:5], v[10:11], v[179:180]
	v_add_f64_e32 v[161:162], v[161:162], v[177:178]
	v_add_f64_e32 v[171:172], v[173:174], v[171:172]
	v_fma_f64 v[177:178], v[2:3], v[10:11], -v[12:13]
	ds_load_b128 v[2:5], v1 offset:1552
	s_wait_loadcnt_dscnt 0x801
	v_mul_f64_e32 v[173:174], v[167:168], v[16:17]
	v_mul_f64_e32 v[16:17], v[169:170], v[16:17]
	scratch_load_b128 v[10:13], off, off offset:816
	v_add_f64_e32 v[179:180], v[161:162], v[163:164]
	v_add_f64_e32 v[165:166], v[171:172], v[165:166]
	s_wait_loadcnt_dscnt 0x800
	v_mul_f64_e32 v[171:172], v[2:3], v[20:21]
	v_mul_f64_e32 v[20:21], v[4:5], v[20:21]
	v_fma_f64 v[169:170], v[169:170], v[14:15], v[173:174]
	v_fma_f64 v[167:168], v[167:168], v[14:15], -v[16:17]
	ds_load_b128 v[161:164], v1 offset:1568
	scratch_load_b128 v[14:17], off, off offset:832
	v_add_f64_e32 v[173:174], v[179:180], v[177:178]
	v_add_f64_e32 v[165:166], v[165:166], v[175:176]
	v_fma_f64 v[171:172], v[4:5], v[18:19], v[171:172]
	v_fma_f64 v[177:178], v[2:3], v[18:19], -v[20:21]
	ds_load_b128 v[2:5], v1 offset:1584
	s_wait_loadcnt_dscnt 0x801
	v_mul_f64_e32 v[175:176], v[161:162], v[24:25]
	v_mul_f64_e32 v[24:25], v[163:164], v[24:25]
	scratch_load_b128 v[18:21], off, off offset:848
	s_wait_loadcnt_dscnt 0x800
	v_mul_f64_e32 v[179:180], v[2:3], v[28:29]
	v_mul_f64_e32 v[28:29], v[4:5], v[28:29]
	v_add_f64_e32 v[173:174], v[173:174], v[167:168]
	v_add_f64_e32 v[169:170], v[165:166], v[169:170]
	ds_load_b128 v[165:168], v1 offset:1600
	v_fma_f64 v[163:164], v[163:164], v[22:23], v[175:176]
	v_fma_f64 v[161:162], v[161:162], v[22:23], -v[24:25]
	scratch_load_b128 v[22:25], off, off offset:864
	v_fma_f64 v[175:176], v[4:5], v[26:27], v[179:180]
	v_add_f64_e32 v[173:174], v[173:174], v[177:178]
	v_add_f64_e32 v[169:170], v[169:170], v[171:172]
	v_fma_f64 v[177:178], v[2:3], v[26:27], -v[28:29]
	ds_load_b128 v[2:5], v1 offset:1616
	s_wait_loadcnt_dscnt 0x801
	v_mul_f64_e32 v[171:172], v[165:166], v[32:33]
	v_mul_f64_e32 v[32:33], v[167:168], v[32:33]
	scratch_load_b128 v[26:29], off, off offset:880
	s_wait_loadcnt_dscnt 0x800
	v_mul_f64_e32 v[179:180], v[2:3], v[40:41]
	v_mul_f64_e32 v[40:41], v[4:5], v[40:41]
	v_add_f64_e32 v[173:174], v[173:174], v[161:162]
	v_add_f64_e32 v[169:170], v[169:170], v[163:164]
	ds_load_b128 v[161:164], v1 offset:1632
	v_fma_f64 v[167:168], v[167:168], v[30:31], v[171:172]
	v_fma_f64 v[30:31], v[165:166], v[30:31], -v[32:33]
	v_fma_f64 v[171:172], v[4:5], v[38:39], v[179:180]
	v_fma_f64 v[38:39], v[2:3], v[38:39], -v[40:41]
	v_add_f64_e32 v[32:33], v[173:174], v[177:178]
	v_add_f64_e32 v[165:166], v[169:170], v[175:176]
	s_wait_loadcnt_dscnt 0x700
	v_mul_f64_e32 v[169:170], v[161:162], v[159:160]
	v_mul_f64_e32 v[159:160], v[163:164], v[159:160]
	s_delay_alu instid0(VALU_DEP_4) | instskip(NEXT) | instid1(VALU_DEP_4)
	v_add_f64_e32 v[40:41], v[32:33], v[30:31]
	v_add_f64_e32 v[165:166], v[165:166], v[167:168]
	ds_load_b128 v[2:5], v1 offset:1648
	ds_load_b128 v[30:33], v1 offset:1664
	v_fma_f64 v[163:164], v[163:164], v[157:158], v[169:170]
	v_fma_f64 v[157:158], v[161:162], v[157:158], -v[159:160]
	s_wait_loadcnt_dscnt 0x601
	v_mul_f64_e32 v[167:168], v[2:3], v[36:37]
	v_mul_f64_e32 v[36:37], v[4:5], v[36:37]
	s_wait_loadcnt_dscnt 0x500
	v_mul_f64_e32 v[159:160], v[30:31], v[8:9]
	v_mul_f64_e32 v[8:9], v[32:33], v[8:9]
	v_add_f64_e32 v[38:39], v[40:41], v[38:39]
	v_add_f64_e32 v[40:41], v[165:166], v[171:172]
	v_fma_f64 v[161:162], v[4:5], v[34:35], v[167:168]
	v_fma_f64 v[165:166], v[2:3], v[34:35], -v[36:37]
	ds_load_b128 v[2:5], v1 offset:1680
	ds_load_b128 v[34:37], v1 offset:1696
	v_fma_f64 v[32:33], v[32:33], v[6:7], v[159:160]
	v_fma_f64 v[6:7], v[30:31], v[6:7], -v[8:9]
	v_add_f64_e32 v[38:39], v[38:39], v[157:158]
	v_add_f64_e32 v[40:41], v[40:41], v[163:164]
	s_wait_loadcnt_dscnt 0x401
	v_mul_f64_e32 v[157:158], v[2:3], v[12:13]
	v_mul_f64_e32 v[12:13], v[4:5], v[12:13]
	s_delay_alu instid0(VALU_DEP_4) | instskip(NEXT) | instid1(VALU_DEP_4)
	v_add_f64_e32 v[8:9], v[38:39], v[165:166]
	v_add_f64_e32 v[30:31], v[40:41], v[161:162]
	s_wait_loadcnt_dscnt 0x300
	v_mul_f64_e32 v[38:39], v[34:35], v[16:17]
	v_mul_f64_e32 v[16:17], v[36:37], v[16:17]
	v_fma_f64 v[40:41], v[4:5], v[10:11], v[157:158]
	v_fma_f64 v[10:11], v[2:3], v[10:11], -v[12:13]
	v_add_f64_e32 v[12:13], v[8:9], v[6:7]
	v_add_f64_e32 v[30:31], v[30:31], v[32:33]
	ds_load_b128 v[2:5], v1 offset:1712
	ds_load_b128 v[6:9], v1 offset:1728
	v_fma_f64 v[36:37], v[36:37], v[14:15], v[38:39]
	v_fma_f64 v[14:15], v[34:35], v[14:15], -v[16:17]
	s_wait_loadcnt_dscnt 0x201
	v_mul_f64_e32 v[32:33], v[2:3], v[20:21]
	v_mul_f64_e32 v[20:21], v[4:5], v[20:21]
	s_wait_loadcnt_dscnt 0x100
	v_mul_f64_e32 v[16:17], v[6:7], v[24:25]
	v_mul_f64_e32 v[24:25], v[8:9], v[24:25]
	v_add_f64_e32 v[10:11], v[12:13], v[10:11]
	v_add_f64_e32 v[12:13], v[30:31], v[40:41]
	v_fma_f64 v[30:31], v[4:5], v[18:19], v[32:33]
	v_fma_f64 v[18:19], v[2:3], v[18:19], -v[20:21]
	ds_load_b128 v[2:5], v1 offset:1744
	v_fma_f64 v[8:9], v[8:9], v[22:23], v[16:17]
	v_fma_f64 v[6:7], v[6:7], v[22:23], -v[24:25]
	v_add_f64_e32 v[10:11], v[10:11], v[14:15]
	v_add_f64_e32 v[12:13], v[12:13], v[36:37]
	s_wait_loadcnt_dscnt 0x0
	v_mul_f64_e32 v[14:15], v[2:3], v[28:29]
	v_mul_f64_e32 v[20:21], v[4:5], v[28:29]
	s_delay_alu instid0(VALU_DEP_4) | instskip(NEXT) | instid1(VALU_DEP_4)
	v_add_f64_e32 v[10:11], v[10:11], v[18:19]
	v_add_f64_e32 v[12:13], v[12:13], v[30:31]
	s_delay_alu instid0(VALU_DEP_4) | instskip(NEXT) | instid1(VALU_DEP_4)
	v_fma_f64 v[4:5], v[4:5], v[26:27], v[14:15]
	v_fma_f64 v[2:3], v[2:3], v[26:27], -v[20:21]
	s_delay_alu instid0(VALU_DEP_4) | instskip(NEXT) | instid1(VALU_DEP_4)
	v_add_f64_e32 v[6:7], v[10:11], v[6:7]
	v_add_f64_e32 v[8:9], v[12:13], v[8:9]
	s_delay_alu instid0(VALU_DEP_2) | instskip(NEXT) | instid1(VALU_DEP_2)
	v_add_f64_e32 v[2:3], v[6:7], v[2:3]
	v_add_f64_e32 v[4:5], v[8:9], v[4:5]
	s_delay_alu instid0(VALU_DEP_2) | instskip(NEXT) | instid1(VALU_DEP_2)
	v_add_f64_e64 v[2:3], v[42:43], -v[2:3]
	v_add_f64_e64 v[4:5], v[44:45], -v[4:5]
	scratch_store_b128 off, v[2:5], off offset:448
	v_cmpx_lt_u32_e32 26, v0
	s_cbranch_execz .LBB118_291
; %bb.290:
	scratch_load_b128 v[5:8], off, s42
	v_dual_mov_b32 v2, v1 :: v_dual_mov_b32 v3, v1
	v_mov_b32_e32 v4, v1
	scratch_store_b128 off, v[1:4], off offset:432
	s_wait_loadcnt 0x0
	ds_store_b128 v156, v[5:8]
.LBB118_291:
	s_wait_alu 0xfffe
	s_or_b32 exec_lo, exec_lo, s0
	s_wait_storecnt_dscnt 0x0
	s_barrier_signal -1
	s_barrier_wait -1
	global_inv scope:SCOPE_SE
	s_clause 0x8
	scratch_load_b128 v[2:5], off, off offset:448
	scratch_load_b128 v[6:9], off, off offset:464
	scratch_load_b128 v[10:13], off, off offset:480
	scratch_load_b128 v[14:17], off, off offset:496
	scratch_load_b128 v[18:21], off, off offset:512
	scratch_load_b128 v[22:25], off, off offset:528
	scratch_load_b128 v[26:29], off, off offset:544
	scratch_load_b128 v[30:33], off, off offset:560
	scratch_load_b128 v[34:37], off, off offset:576
	ds_load_b128 v[38:41], v1 offset:1312
	ds_load_b128 v[42:45], v1 offset:1328
	s_clause 0x1
	scratch_load_b128 v[157:160], off, off offset:432
	scratch_load_b128 v[161:164], off, off offset:592
	s_mov_b32 s0, exec_lo
	s_wait_loadcnt_dscnt 0xa01
	v_mul_f64_e32 v[165:166], v[40:41], v[4:5]
	v_mul_f64_e32 v[4:5], v[38:39], v[4:5]
	s_wait_loadcnt_dscnt 0x900
	v_mul_f64_e32 v[169:170], v[42:43], v[8:9]
	v_mul_f64_e32 v[8:9], v[44:45], v[8:9]
	s_delay_alu instid0(VALU_DEP_4) | instskip(NEXT) | instid1(VALU_DEP_4)
	v_fma_f64 v[171:172], v[38:39], v[2:3], -v[165:166]
	v_fma_f64 v[173:174], v[40:41], v[2:3], v[4:5]
	ds_load_b128 v[2:5], v1 offset:1344
	ds_load_b128 v[165:168], v1 offset:1360
	scratch_load_b128 v[38:41], off, off offset:608
	v_fma_f64 v[44:45], v[44:45], v[6:7], v[169:170]
	v_fma_f64 v[42:43], v[42:43], v[6:7], -v[8:9]
	scratch_load_b128 v[6:9], off, off offset:624
	s_wait_loadcnt_dscnt 0xa01
	v_mul_f64_e32 v[175:176], v[2:3], v[12:13]
	v_mul_f64_e32 v[12:13], v[4:5], v[12:13]
	v_add_f64_e32 v[169:170], 0, v[171:172]
	v_add_f64_e32 v[171:172], 0, v[173:174]
	s_wait_loadcnt_dscnt 0x900
	v_mul_f64_e32 v[173:174], v[165:166], v[16:17]
	v_mul_f64_e32 v[16:17], v[167:168], v[16:17]
	v_fma_f64 v[175:176], v[4:5], v[10:11], v[175:176]
	v_fma_f64 v[177:178], v[2:3], v[10:11], -v[12:13]
	ds_load_b128 v[2:5], v1 offset:1376
	scratch_load_b128 v[10:13], off, off offset:640
	v_add_f64_e32 v[169:170], v[169:170], v[42:43]
	v_add_f64_e32 v[171:172], v[171:172], v[44:45]
	ds_load_b128 v[42:45], v1 offset:1392
	v_fma_f64 v[167:168], v[167:168], v[14:15], v[173:174]
	v_fma_f64 v[165:166], v[165:166], v[14:15], -v[16:17]
	scratch_load_b128 v[14:17], off, off offset:656
	s_wait_loadcnt_dscnt 0xa01
	v_mul_f64_e32 v[179:180], v[2:3], v[20:21]
	v_mul_f64_e32 v[20:21], v[4:5], v[20:21]
	s_wait_loadcnt_dscnt 0x900
	v_mul_f64_e32 v[173:174], v[42:43], v[24:25]
	v_mul_f64_e32 v[24:25], v[44:45], v[24:25]
	v_add_f64_e32 v[169:170], v[169:170], v[177:178]
	v_add_f64_e32 v[171:172], v[171:172], v[175:176]
	v_fma_f64 v[175:176], v[4:5], v[18:19], v[179:180]
	v_fma_f64 v[177:178], v[2:3], v[18:19], -v[20:21]
	ds_load_b128 v[2:5], v1 offset:1408
	scratch_load_b128 v[18:21], off, off offset:672
	v_fma_f64 v[44:45], v[44:45], v[22:23], v[173:174]
	v_fma_f64 v[42:43], v[42:43], v[22:23], -v[24:25]
	scratch_load_b128 v[22:25], off, off offset:688
	v_add_f64_e32 v[169:170], v[169:170], v[165:166]
	v_add_f64_e32 v[171:172], v[171:172], v[167:168]
	ds_load_b128 v[165:168], v1 offset:1424
	s_wait_loadcnt_dscnt 0xa01
	v_mul_f64_e32 v[179:180], v[2:3], v[28:29]
	v_mul_f64_e32 v[28:29], v[4:5], v[28:29]
	s_wait_loadcnt_dscnt 0x900
	v_mul_f64_e32 v[173:174], v[165:166], v[32:33]
	v_mul_f64_e32 v[32:33], v[167:168], v[32:33]
	v_add_f64_e32 v[169:170], v[169:170], v[177:178]
	v_add_f64_e32 v[171:172], v[171:172], v[175:176]
	v_fma_f64 v[175:176], v[4:5], v[26:27], v[179:180]
	v_fma_f64 v[177:178], v[2:3], v[26:27], -v[28:29]
	ds_load_b128 v[2:5], v1 offset:1440
	scratch_load_b128 v[26:29], off, off offset:704
	v_fma_f64 v[167:168], v[167:168], v[30:31], v[173:174]
	v_fma_f64 v[165:166], v[165:166], v[30:31], -v[32:33]
	scratch_load_b128 v[30:33], off, off offset:720
	v_add_f64_e32 v[169:170], v[169:170], v[42:43]
	v_add_f64_e32 v[171:172], v[171:172], v[44:45]
	ds_load_b128 v[42:45], v1 offset:1456
	s_wait_loadcnt_dscnt 0xa01
	v_mul_f64_e32 v[179:180], v[2:3], v[36:37]
	v_mul_f64_e32 v[36:37], v[4:5], v[36:37]
	s_wait_loadcnt_dscnt 0x800
	v_mul_f64_e32 v[173:174], v[42:43], v[163:164]
	v_add_f64_e32 v[169:170], v[169:170], v[177:178]
	v_add_f64_e32 v[171:172], v[171:172], v[175:176]
	v_mul_f64_e32 v[175:176], v[44:45], v[163:164]
	v_fma_f64 v[177:178], v[4:5], v[34:35], v[179:180]
	v_fma_f64 v[179:180], v[2:3], v[34:35], -v[36:37]
	ds_load_b128 v[2:5], v1 offset:1472
	scratch_load_b128 v[34:37], off, off offset:736
	v_fma_f64 v[44:45], v[44:45], v[161:162], v[173:174]
	v_add_f64_e32 v[169:170], v[169:170], v[165:166]
	v_add_f64_e32 v[167:168], v[171:172], v[167:168]
	ds_load_b128 v[163:166], v1 offset:1488
	v_fma_f64 v[161:162], v[42:43], v[161:162], -v[175:176]
	s_wait_loadcnt_dscnt 0x801
	v_mul_f64_e32 v[171:172], v[2:3], v[40:41]
	v_mul_f64_e32 v[181:182], v[4:5], v[40:41]
	scratch_load_b128 v[40:43], off, off offset:752
	s_wait_loadcnt_dscnt 0x800
	v_mul_f64_e32 v[175:176], v[163:164], v[8:9]
	v_mul_f64_e32 v[8:9], v[165:166], v[8:9]
	v_add_f64_e32 v[169:170], v[169:170], v[179:180]
	v_add_f64_e32 v[167:168], v[167:168], v[177:178]
	v_fma_f64 v[177:178], v[4:5], v[38:39], v[171:172]
	v_fma_f64 v[38:39], v[2:3], v[38:39], -v[181:182]
	ds_load_b128 v[2:5], v1 offset:1504
	ds_load_b128 v[171:174], v1 offset:1520
	v_fma_f64 v[165:166], v[165:166], v[6:7], v[175:176]
	v_fma_f64 v[163:164], v[163:164], v[6:7], -v[8:9]
	scratch_load_b128 v[6:9], off, off offset:784
	v_add_f64_e32 v[161:162], v[169:170], v[161:162]
	v_add_f64_e32 v[44:45], v[167:168], v[44:45]
	scratch_load_b128 v[167:170], off, off offset:768
	s_wait_loadcnt_dscnt 0x901
	v_mul_f64_e32 v[179:180], v[2:3], v[12:13]
	v_mul_f64_e32 v[12:13], v[4:5], v[12:13]
	s_wait_loadcnt_dscnt 0x800
	v_mul_f64_e32 v[175:176], v[171:172], v[16:17]
	v_mul_f64_e32 v[16:17], v[173:174], v[16:17]
	v_add_f64_e32 v[38:39], v[161:162], v[38:39]
	v_add_f64_e32 v[44:45], v[44:45], v[177:178]
	v_fma_f64 v[177:178], v[4:5], v[10:11], v[179:180]
	v_fma_f64 v[179:180], v[2:3], v[10:11], -v[12:13]
	ds_load_b128 v[2:5], v1 offset:1536
	scratch_load_b128 v[10:13], off, off offset:800
	v_fma_f64 v[173:174], v[173:174], v[14:15], v[175:176]
	v_fma_f64 v[171:172], v[171:172], v[14:15], -v[16:17]
	scratch_load_b128 v[14:17], off, off offset:816
	v_add_f64_e32 v[38:39], v[38:39], v[163:164]
	v_add_f64_e32 v[44:45], v[44:45], v[165:166]
	ds_load_b128 v[161:164], v1 offset:1552
	s_wait_loadcnt_dscnt 0x901
	v_mul_f64_e32 v[165:166], v[2:3], v[20:21]
	v_mul_f64_e32 v[20:21], v[4:5], v[20:21]
	s_wait_loadcnt_dscnt 0x800
	v_mul_f64_e32 v[175:176], v[161:162], v[24:25]
	v_mul_f64_e32 v[24:25], v[163:164], v[24:25]
	v_add_f64_e32 v[38:39], v[38:39], v[179:180]
	v_add_f64_e32 v[44:45], v[44:45], v[177:178]
	v_fma_f64 v[165:166], v[4:5], v[18:19], v[165:166]
	v_fma_f64 v[177:178], v[2:3], v[18:19], -v[20:21]
	ds_load_b128 v[2:5], v1 offset:1568
	scratch_load_b128 v[18:21], off, off offset:832
	v_fma_f64 v[163:164], v[163:164], v[22:23], v[175:176]
	v_fma_f64 v[161:162], v[161:162], v[22:23], -v[24:25]
	scratch_load_b128 v[22:25], off, off offset:848
	v_add_f64_e32 v[38:39], v[38:39], v[171:172]
	v_add_f64_e32 v[44:45], v[44:45], v[173:174]
	ds_load_b128 v[171:174], v1 offset:1584
	s_wait_loadcnt_dscnt 0x901
	v_mul_f64_e32 v[179:180], v[2:3], v[28:29]
	v_mul_f64_e32 v[28:29], v[4:5], v[28:29]
	v_add_f64_e32 v[38:39], v[38:39], v[177:178]
	v_add_f64_e32 v[44:45], v[44:45], v[165:166]
	s_wait_loadcnt_dscnt 0x800
	v_mul_f64_e32 v[165:166], v[171:172], v[32:33]
	v_mul_f64_e32 v[32:33], v[173:174], v[32:33]
	v_fma_f64 v[175:176], v[4:5], v[26:27], v[179:180]
	v_fma_f64 v[177:178], v[2:3], v[26:27], -v[28:29]
	ds_load_b128 v[2:5], v1 offset:1600
	scratch_load_b128 v[26:29], off, off offset:864
	v_add_f64_e32 v[38:39], v[38:39], v[161:162]
	v_add_f64_e32 v[44:45], v[44:45], v[163:164]
	ds_load_b128 v[161:164], v1 offset:1616
	s_wait_loadcnt_dscnt 0x801
	v_mul_f64_e32 v[179:180], v[2:3], v[36:37]
	v_mul_f64_e32 v[36:37], v[4:5], v[36:37]
	v_fma_f64 v[165:166], v[173:174], v[30:31], v[165:166]
	v_fma_f64 v[171:172], v[171:172], v[30:31], -v[32:33]
	scratch_load_b128 v[30:33], off, off offset:880
	s_wait_loadcnt_dscnt 0x800
	v_mul_f64_e32 v[173:174], v[161:162], v[42:43]
	v_add_f64_e32 v[38:39], v[38:39], v[177:178]
	v_add_f64_e32 v[44:45], v[44:45], v[175:176]
	v_mul_f64_e32 v[42:43], v[163:164], v[42:43]
	v_fma_f64 v[175:176], v[4:5], v[34:35], v[179:180]
	v_fma_f64 v[177:178], v[2:3], v[34:35], -v[36:37]
	ds_load_b128 v[2:5], v1 offset:1632
	ds_load_b128 v[34:37], v1 offset:1648
	v_fma_f64 v[163:164], v[163:164], v[40:41], v[173:174]
	v_add_f64_e32 v[38:39], v[38:39], v[171:172]
	v_add_f64_e32 v[44:45], v[44:45], v[165:166]
	v_fma_f64 v[40:41], v[161:162], v[40:41], -v[42:43]
	s_wait_loadcnt_dscnt 0x601
	v_mul_f64_e32 v[165:166], v[2:3], v[169:170]
	v_mul_f64_e32 v[169:170], v[4:5], v[169:170]
	v_add_f64_e32 v[38:39], v[38:39], v[177:178]
	v_add_f64_e32 v[42:43], v[44:45], v[175:176]
	s_wait_dscnt 0x0
	v_mul_f64_e32 v[44:45], v[34:35], v[8:9]
	v_mul_f64_e32 v[8:9], v[36:37], v[8:9]
	v_fma_f64 v[161:162], v[4:5], v[167:168], v[165:166]
	v_fma_f64 v[165:166], v[2:3], v[167:168], -v[169:170]
	v_add_f64_e32 v[167:168], v[38:39], v[40:41]
	v_add_f64_e32 v[42:43], v[42:43], v[163:164]
	ds_load_b128 v[2:5], v1 offset:1664
	ds_load_b128 v[38:41], v1 offset:1680
	v_fma_f64 v[36:37], v[36:37], v[6:7], v[44:45]
	v_fma_f64 v[6:7], v[34:35], v[6:7], -v[8:9]
	s_wait_loadcnt_dscnt 0x501
	v_mul_f64_e32 v[163:164], v[2:3], v[12:13]
	v_mul_f64_e32 v[12:13], v[4:5], v[12:13]
	v_add_f64_e32 v[8:9], v[167:168], v[165:166]
	v_add_f64_e32 v[34:35], v[42:43], v[161:162]
	s_wait_loadcnt_dscnt 0x400
	v_mul_f64_e32 v[42:43], v[38:39], v[16:17]
	v_mul_f64_e32 v[16:17], v[40:41], v[16:17]
	v_fma_f64 v[44:45], v[4:5], v[10:11], v[163:164]
	v_fma_f64 v[10:11], v[2:3], v[10:11], -v[12:13]
	v_add_f64_e32 v[12:13], v[8:9], v[6:7]
	v_add_f64_e32 v[34:35], v[34:35], v[36:37]
	ds_load_b128 v[2:5], v1 offset:1696
	ds_load_b128 v[6:9], v1 offset:1712
	v_fma_f64 v[40:41], v[40:41], v[14:15], v[42:43]
	v_fma_f64 v[14:15], v[38:39], v[14:15], -v[16:17]
	s_wait_loadcnt_dscnt 0x301
	v_mul_f64_e32 v[36:37], v[2:3], v[20:21]
	v_mul_f64_e32 v[20:21], v[4:5], v[20:21]
	s_wait_loadcnt_dscnt 0x200
	v_mul_f64_e32 v[16:17], v[6:7], v[24:25]
	v_mul_f64_e32 v[24:25], v[8:9], v[24:25]
	v_add_f64_e32 v[10:11], v[12:13], v[10:11]
	v_add_f64_e32 v[12:13], v[34:35], v[44:45]
	v_fma_f64 v[34:35], v[4:5], v[18:19], v[36:37]
	v_fma_f64 v[18:19], v[2:3], v[18:19], -v[20:21]
	v_fma_f64 v[8:9], v[8:9], v[22:23], v[16:17]
	v_fma_f64 v[6:7], v[6:7], v[22:23], -v[24:25]
	v_add_f64_e32 v[14:15], v[10:11], v[14:15]
	v_add_f64_e32 v[20:21], v[12:13], v[40:41]
	ds_load_b128 v[2:5], v1 offset:1728
	ds_load_b128 v[10:13], v1 offset:1744
	s_wait_loadcnt_dscnt 0x101
	v_mul_f64_e32 v[36:37], v[2:3], v[28:29]
	v_mul_f64_e32 v[28:29], v[4:5], v[28:29]
	v_add_f64_e32 v[14:15], v[14:15], v[18:19]
	v_add_f64_e32 v[16:17], v[20:21], v[34:35]
	s_wait_loadcnt_dscnt 0x0
	v_mul_f64_e32 v[18:19], v[10:11], v[32:33]
	v_mul_f64_e32 v[20:21], v[12:13], v[32:33]
	v_fma_f64 v[4:5], v[4:5], v[26:27], v[36:37]
	v_fma_f64 v[1:2], v[2:3], v[26:27], -v[28:29]
	v_add_f64_e32 v[6:7], v[14:15], v[6:7]
	v_add_f64_e32 v[8:9], v[16:17], v[8:9]
	v_fma_f64 v[12:13], v[12:13], v[30:31], v[18:19]
	v_fma_f64 v[10:11], v[10:11], v[30:31], -v[20:21]
	s_delay_alu instid0(VALU_DEP_4) | instskip(NEXT) | instid1(VALU_DEP_4)
	v_add_f64_e32 v[1:2], v[6:7], v[1:2]
	v_add_f64_e32 v[3:4], v[8:9], v[4:5]
	s_delay_alu instid0(VALU_DEP_2) | instskip(NEXT) | instid1(VALU_DEP_2)
	v_add_f64_e32 v[1:2], v[1:2], v[10:11]
	v_add_f64_e32 v[3:4], v[3:4], v[12:13]
	s_delay_alu instid0(VALU_DEP_2) | instskip(NEXT) | instid1(VALU_DEP_2)
	v_add_f64_e64 v[1:2], v[157:158], -v[1:2]
	v_add_f64_e64 v[3:4], v[159:160], -v[3:4]
	scratch_store_b128 off, v[1:4], off offset:432
	v_cmpx_lt_u32_e32 25, v0
	s_cbranch_execz .LBB118_293
; %bb.292:
	scratch_load_b128 v[1:4], off, s43
	v_mov_b32_e32 v5, 0
	s_delay_alu instid0(VALU_DEP_1)
	v_dual_mov_b32 v6, v5 :: v_dual_mov_b32 v7, v5
	v_mov_b32_e32 v8, v5
	scratch_store_b128 off, v[5:8], off offset:416
	s_wait_loadcnt 0x0
	ds_store_b128 v156, v[1:4]
.LBB118_293:
	s_wait_alu 0xfffe
	s_or_b32 exec_lo, exec_lo, s0
	s_wait_storecnt_dscnt 0x0
	s_barrier_signal -1
	s_barrier_wait -1
	global_inv scope:SCOPE_SE
	s_clause 0x7
	scratch_load_b128 v[2:5], off, off offset:432
	scratch_load_b128 v[6:9], off, off offset:448
	scratch_load_b128 v[10:13], off, off offset:464
	scratch_load_b128 v[14:17], off, off offset:480
	scratch_load_b128 v[18:21], off, off offset:496
	scratch_load_b128 v[22:25], off, off offset:512
	scratch_load_b128 v[26:29], off, off offset:528
	scratch_load_b128 v[30:33], off, off offset:544
	v_mov_b32_e32 v1, 0
	s_mov_b32 s0, exec_lo
	ds_load_b128 v[34:37], v1 offset:1296
	s_clause 0x1
	scratch_load_b128 v[38:41], off, off offset:560
	scratch_load_b128 v[42:45], off, off offset:416
	ds_load_b128 v[157:160], v1 offset:1312
	scratch_load_b128 v[161:164], off, off offset:576
	s_wait_loadcnt_dscnt 0xa01
	v_mul_f64_e32 v[165:166], v[36:37], v[4:5]
	v_mul_f64_e32 v[4:5], v[34:35], v[4:5]
	s_delay_alu instid0(VALU_DEP_2) | instskip(NEXT) | instid1(VALU_DEP_2)
	v_fma_f64 v[171:172], v[34:35], v[2:3], -v[165:166]
	v_fma_f64 v[173:174], v[36:37], v[2:3], v[4:5]
	ds_load_b128 v[2:5], v1 offset:1328
	s_wait_loadcnt_dscnt 0x901
	v_mul_f64_e32 v[169:170], v[157:158], v[8:9]
	v_mul_f64_e32 v[8:9], v[159:160], v[8:9]
	scratch_load_b128 v[34:37], off, off offset:592
	ds_load_b128 v[165:168], v1 offset:1344
	s_wait_loadcnt_dscnt 0x901
	v_mul_f64_e32 v[175:176], v[2:3], v[12:13]
	v_mul_f64_e32 v[12:13], v[4:5], v[12:13]
	v_fma_f64 v[159:160], v[159:160], v[6:7], v[169:170]
	v_fma_f64 v[157:158], v[157:158], v[6:7], -v[8:9]
	v_add_f64_e32 v[169:170], 0, v[171:172]
	v_add_f64_e32 v[171:172], 0, v[173:174]
	scratch_load_b128 v[6:9], off, off offset:608
	v_fma_f64 v[175:176], v[4:5], v[10:11], v[175:176]
	v_fma_f64 v[177:178], v[2:3], v[10:11], -v[12:13]
	ds_load_b128 v[2:5], v1 offset:1360
	s_wait_loadcnt_dscnt 0x901
	v_mul_f64_e32 v[173:174], v[165:166], v[16:17]
	v_mul_f64_e32 v[16:17], v[167:168], v[16:17]
	scratch_load_b128 v[10:13], off, off offset:624
	v_add_f64_e32 v[169:170], v[169:170], v[157:158]
	v_add_f64_e32 v[171:172], v[171:172], v[159:160]
	s_wait_loadcnt_dscnt 0x900
	v_mul_f64_e32 v[179:180], v[2:3], v[20:21]
	v_mul_f64_e32 v[20:21], v[4:5], v[20:21]
	ds_load_b128 v[157:160], v1 offset:1376
	v_fma_f64 v[167:168], v[167:168], v[14:15], v[173:174]
	v_fma_f64 v[165:166], v[165:166], v[14:15], -v[16:17]
	scratch_load_b128 v[14:17], off, off offset:640
	v_add_f64_e32 v[169:170], v[169:170], v[177:178]
	v_add_f64_e32 v[171:172], v[171:172], v[175:176]
	v_fma_f64 v[175:176], v[4:5], v[18:19], v[179:180]
	v_fma_f64 v[177:178], v[2:3], v[18:19], -v[20:21]
	ds_load_b128 v[2:5], v1 offset:1392
	s_wait_loadcnt_dscnt 0x901
	v_mul_f64_e32 v[173:174], v[157:158], v[24:25]
	v_mul_f64_e32 v[24:25], v[159:160], v[24:25]
	scratch_load_b128 v[18:21], off, off offset:656
	s_wait_loadcnt_dscnt 0x900
	v_mul_f64_e32 v[179:180], v[2:3], v[28:29]
	v_mul_f64_e32 v[28:29], v[4:5], v[28:29]
	v_add_f64_e32 v[169:170], v[169:170], v[165:166]
	v_add_f64_e32 v[171:172], v[171:172], v[167:168]
	ds_load_b128 v[165:168], v1 offset:1408
	v_fma_f64 v[159:160], v[159:160], v[22:23], v[173:174]
	v_fma_f64 v[157:158], v[157:158], v[22:23], -v[24:25]
	scratch_load_b128 v[22:25], off, off offset:672
	v_add_f64_e32 v[169:170], v[169:170], v[177:178]
	v_add_f64_e32 v[171:172], v[171:172], v[175:176]
	v_fma_f64 v[175:176], v[4:5], v[26:27], v[179:180]
	v_fma_f64 v[177:178], v[2:3], v[26:27], -v[28:29]
	ds_load_b128 v[2:5], v1 offset:1424
	s_wait_loadcnt_dscnt 0x901
	v_mul_f64_e32 v[173:174], v[165:166], v[32:33]
	v_mul_f64_e32 v[32:33], v[167:168], v[32:33]
	scratch_load_b128 v[26:29], off, off offset:688
	s_wait_loadcnt_dscnt 0x900
	v_mul_f64_e32 v[179:180], v[2:3], v[40:41]
	v_mul_f64_e32 v[40:41], v[4:5], v[40:41]
	v_add_f64_e32 v[169:170], v[169:170], v[157:158]
	v_add_f64_e32 v[171:172], v[171:172], v[159:160]
	ds_load_b128 v[157:160], v1 offset:1440
	v_fma_f64 v[167:168], v[167:168], v[30:31], v[173:174]
	v_fma_f64 v[165:166], v[165:166], v[30:31], -v[32:33]
	scratch_load_b128 v[30:33], off, off offset:704
	v_add_f64_e32 v[169:170], v[169:170], v[177:178]
	v_add_f64_e32 v[171:172], v[171:172], v[175:176]
	v_fma_f64 v[177:178], v[4:5], v[38:39], v[179:180]
	v_fma_f64 v[179:180], v[2:3], v[38:39], -v[40:41]
	ds_load_b128 v[2:5], v1 offset:1456
	s_wait_loadcnt_dscnt 0x801
	v_mul_f64_e32 v[173:174], v[157:158], v[163:164]
	v_mul_f64_e32 v[175:176], v[159:160], v[163:164]
	scratch_load_b128 v[38:41], off, off offset:720
	v_add_f64_e32 v[169:170], v[169:170], v[165:166]
	v_add_f64_e32 v[167:168], v[171:172], v[167:168]
	ds_load_b128 v[163:166], v1 offset:1472
	v_fma_f64 v[173:174], v[159:160], v[161:162], v[173:174]
	v_fma_f64 v[161:162], v[157:158], v[161:162], -v[175:176]
	scratch_load_b128 v[157:160], off, off offset:736
	s_wait_loadcnt_dscnt 0x901
	v_mul_f64_e32 v[171:172], v[2:3], v[36:37]
	v_mul_f64_e32 v[36:37], v[4:5], v[36:37]
	v_add_f64_e32 v[169:170], v[169:170], v[179:180]
	v_add_f64_e32 v[167:168], v[167:168], v[177:178]
	s_delay_alu instid0(VALU_DEP_4) | instskip(NEXT) | instid1(VALU_DEP_4)
	v_fma_f64 v[171:172], v[4:5], v[34:35], v[171:172]
	v_fma_f64 v[177:178], v[2:3], v[34:35], -v[36:37]
	ds_load_b128 v[2:5], v1 offset:1488
	s_wait_loadcnt_dscnt 0x801
	v_mul_f64_e32 v[175:176], v[163:164], v[8:9]
	v_mul_f64_e32 v[8:9], v[165:166], v[8:9]
	scratch_load_b128 v[34:37], off, off offset:752
	s_wait_loadcnt_dscnt 0x800
	v_mul_f64_e32 v[179:180], v[2:3], v[12:13]
	v_add_f64_e32 v[161:162], v[169:170], v[161:162]
	v_add_f64_e32 v[173:174], v[167:168], v[173:174]
	v_mul_f64_e32 v[12:13], v[4:5], v[12:13]
	ds_load_b128 v[167:170], v1 offset:1504
	v_fma_f64 v[165:166], v[165:166], v[6:7], v[175:176]
	v_fma_f64 v[163:164], v[163:164], v[6:7], -v[8:9]
	scratch_load_b128 v[6:9], off, off offset:768
	v_fma_f64 v[175:176], v[4:5], v[10:11], v[179:180]
	v_add_f64_e32 v[161:162], v[161:162], v[177:178]
	v_add_f64_e32 v[171:172], v[173:174], v[171:172]
	v_fma_f64 v[177:178], v[2:3], v[10:11], -v[12:13]
	ds_load_b128 v[2:5], v1 offset:1520
	s_wait_loadcnt_dscnt 0x801
	v_mul_f64_e32 v[173:174], v[167:168], v[16:17]
	v_mul_f64_e32 v[16:17], v[169:170], v[16:17]
	scratch_load_b128 v[10:13], off, off offset:784
	v_add_f64_e32 v[179:180], v[161:162], v[163:164]
	v_add_f64_e32 v[165:166], v[171:172], v[165:166]
	s_wait_loadcnt_dscnt 0x800
	v_mul_f64_e32 v[171:172], v[2:3], v[20:21]
	v_mul_f64_e32 v[20:21], v[4:5], v[20:21]
	v_fma_f64 v[169:170], v[169:170], v[14:15], v[173:174]
	v_fma_f64 v[167:168], v[167:168], v[14:15], -v[16:17]
	ds_load_b128 v[161:164], v1 offset:1536
	scratch_load_b128 v[14:17], off, off offset:800
	v_add_f64_e32 v[173:174], v[179:180], v[177:178]
	v_add_f64_e32 v[165:166], v[165:166], v[175:176]
	v_fma_f64 v[171:172], v[4:5], v[18:19], v[171:172]
	v_fma_f64 v[177:178], v[2:3], v[18:19], -v[20:21]
	ds_load_b128 v[2:5], v1 offset:1552
	s_wait_loadcnt_dscnt 0x801
	v_mul_f64_e32 v[175:176], v[161:162], v[24:25]
	v_mul_f64_e32 v[24:25], v[163:164], v[24:25]
	scratch_load_b128 v[18:21], off, off offset:816
	s_wait_loadcnt_dscnt 0x800
	v_mul_f64_e32 v[179:180], v[2:3], v[28:29]
	v_mul_f64_e32 v[28:29], v[4:5], v[28:29]
	v_add_f64_e32 v[173:174], v[173:174], v[167:168]
	v_add_f64_e32 v[169:170], v[165:166], v[169:170]
	ds_load_b128 v[165:168], v1 offset:1568
	v_fma_f64 v[163:164], v[163:164], v[22:23], v[175:176]
	v_fma_f64 v[161:162], v[161:162], v[22:23], -v[24:25]
	scratch_load_b128 v[22:25], off, off offset:832
	v_fma_f64 v[175:176], v[4:5], v[26:27], v[179:180]
	v_add_f64_e32 v[173:174], v[173:174], v[177:178]
	v_add_f64_e32 v[169:170], v[169:170], v[171:172]
	v_fma_f64 v[177:178], v[2:3], v[26:27], -v[28:29]
	ds_load_b128 v[2:5], v1 offset:1584
	s_wait_loadcnt_dscnt 0x801
	v_mul_f64_e32 v[171:172], v[165:166], v[32:33]
	v_mul_f64_e32 v[32:33], v[167:168], v[32:33]
	scratch_load_b128 v[26:29], off, off offset:848
	s_wait_loadcnt_dscnt 0x800
	v_mul_f64_e32 v[179:180], v[2:3], v[40:41]
	v_mul_f64_e32 v[40:41], v[4:5], v[40:41]
	v_add_f64_e32 v[173:174], v[173:174], v[161:162]
	v_add_f64_e32 v[169:170], v[169:170], v[163:164]
	ds_load_b128 v[161:164], v1 offset:1600
	v_fma_f64 v[167:168], v[167:168], v[30:31], v[171:172]
	v_fma_f64 v[165:166], v[165:166], v[30:31], -v[32:33]
	scratch_load_b128 v[30:33], off, off offset:864
	v_add_f64_e32 v[171:172], v[173:174], v[177:178]
	v_add_f64_e32 v[169:170], v[169:170], v[175:176]
	v_fma_f64 v[175:176], v[4:5], v[38:39], v[179:180]
	v_fma_f64 v[177:178], v[2:3], v[38:39], -v[40:41]
	ds_load_b128 v[2:5], v1 offset:1616
	s_wait_loadcnt_dscnt 0x801
	v_mul_f64_e32 v[173:174], v[161:162], v[159:160]
	v_mul_f64_e32 v[159:160], v[163:164], v[159:160]
	scratch_load_b128 v[38:41], off, off offset:880
	s_wait_loadcnt_dscnt 0x800
	v_mul_f64_e32 v[179:180], v[2:3], v[36:37]
	v_mul_f64_e32 v[36:37], v[4:5], v[36:37]
	v_add_f64_e32 v[171:172], v[171:172], v[165:166]
	v_add_f64_e32 v[169:170], v[169:170], v[167:168]
	ds_load_b128 v[165:168], v1 offset:1632
	v_fma_f64 v[163:164], v[163:164], v[157:158], v[173:174]
	v_fma_f64 v[157:158], v[161:162], v[157:158], -v[159:160]
	v_fma_f64 v[173:174], v[2:3], v[34:35], -v[36:37]
	v_add_f64_e32 v[159:160], v[171:172], v[177:178]
	v_add_f64_e32 v[161:162], v[169:170], v[175:176]
	s_wait_loadcnt_dscnt 0x700
	v_mul_f64_e32 v[169:170], v[165:166], v[8:9]
	v_mul_f64_e32 v[8:9], v[167:168], v[8:9]
	v_fma_f64 v[171:172], v[4:5], v[34:35], v[179:180]
	ds_load_b128 v[2:5], v1 offset:1648
	ds_load_b128 v[34:37], v1 offset:1664
	v_add_f64_e32 v[157:158], v[159:160], v[157:158]
	v_add_f64_e32 v[159:160], v[161:162], v[163:164]
	s_wait_loadcnt_dscnt 0x601
	v_mul_f64_e32 v[161:162], v[2:3], v[12:13]
	v_mul_f64_e32 v[12:13], v[4:5], v[12:13]
	v_fma_f64 v[163:164], v[167:168], v[6:7], v[169:170]
	v_fma_f64 v[6:7], v[165:166], v[6:7], -v[8:9]
	v_add_f64_e32 v[8:9], v[157:158], v[173:174]
	v_add_f64_e32 v[157:158], v[159:160], v[171:172]
	s_wait_loadcnt_dscnt 0x500
	v_mul_f64_e32 v[159:160], v[34:35], v[16:17]
	v_mul_f64_e32 v[16:17], v[36:37], v[16:17]
	v_fma_f64 v[161:162], v[4:5], v[10:11], v[161:162]
	v_fma_f64 v[10:11], v[2:3], v[10:11], -v[12:13]
	v_add_f64_e32 v[12:13], v[8:9], v[6:7]
	v_add_f64_e32 v[157:158], v[157:158], v[163:164]
	ds_load_b128 v[2:5], v1 offset:1680
	ds_load_b128 v[6:9], v1 offset:1696
	v_fma_f64 v[36:37], v[36:37], v[14:15], v[159:160]
	v_fma_f64 v[14:15], v[34:35], v[14:15], -v[16:17]
	s_wait_loadcnt_dscnt 0x401
	v_mul_f64_e32 v[163:164], v[2:3], v[20:21]
	v_mul_f64_e32 v[20:21], v[4:5], v[20:21]
	s_wait_loadcnt_dscnt 0x300
	v_mul_f64_e32 v[16:17], v[6:7], v[24:25]
	v_mul_f64_e32 v[24:25], v[8:9], v[24:25]
	v_add_f64_e32 v[10:11], v[12:13], v[10:11]
	v_add_f64_e32 v[12:13], v[157:158], v[161:162]
	v_fma_f64 v[34:35], v[4:5], v[18:19], v[163:164]
	v_fma_f64 v[18:19], v[2:3], v[18:19], -v[20:21]
	v_fma_f64 v[8:9], v[8:9], v[22:23], v[16:17]
	v_fma_f64 v[6:7], v[6:7], v[22:23], -v[24:25]
	v_add_f64_e32 v[14:15], v[10:11], v[14:15]
	v_add_f64_e32 v[20:21], v[12:13], v[36:37]
	ds_load_b128 v[2:5], v1 offset:1712
	ds_load_b128 v[10:13], v1 offset:1728
	s_wait_loadcnt_dscnt 0x201
	v_mul_f64_e32 v[36:37], v[2:3], v[28:29]
	v_mul_f64_e32 v[28:29], v[4:5], v[28:29]
	v_add_f64_e32 v[14:15], v[14:15], v[18:19]
	v_add_f64_e32 v[16:17], v[20:21], v[34:35]
	s_wait_loadcnt_dscnt 0x100
	v_mul_f64_e32 v[18:19], v[10:11], v[32:33]
	v_mul_f64_e32 v[20:21], v[12:13], v[32:33]
	v_fma_f64 v[22:23], v[4:5], v[26:27], v[36:37]
	v_fma_f64 v[24:25], v[2:3], v[26:27], -v[28:29]
	ds_load_b128 v[2:5], v1 offset:1744
	v_add_f64_e32 v[6:7], v[14:15], v[6:7]
	v_add_f64_e32 v[8:9], v[16:17], v[8:9]
	v_fma_f64 v[12:13], v[12:13], v[30:31], v[18:19]
	v_fma_f64 v[10:11], v[10:11], v[30:31], -v[20:21]
	s_wait_loadcnt_dscnt 0x0
	v_mul_f64_e32 v[14:15], v[2:3], v[40:41]
	v_mul_f64_e32 v[16:17], v[4:5], v[40:41]
	v_add_f64_e32 v[6:7], v[6:7], v[24:25]
	v_add_f64_e32 v[8:9], v[8:9], v[22:23]
	s_delay_alu instid0(VALU_DEP_4) | instskip(NEXT) | instid1(VALU_DEP_4)
	v_fma_f64 v[4:5], v[4:5], v[38:39], v[14:15]
	v_fma_f64 v[2:3], v[2:3], v[38:39], -v[16:17]
	s_delay_alu instid0(VALU_DEP_4) | instskip(NEXT) | instid1(VALU_DEP_4)
	v_add_f64_e32 v[6:7], v[6:7], v[10:11]
	v_add_f64_e32 v[8:9], v[8:9], v[12:13]
	s_delay_alu instid0(VALU_DEP_2) | instskip(NEXT) | instid1(VALU_DEP_2)
	v_add_f64_e32 v[2:3], v[6:7], v[2:3]
	v_add_f64_e32 v[4:5], v[8:9], v[4:5]
	s_delay_alu instid0(VALU_DEP_2) | instskip(NEXT) | instid1(VALU_DEP_2)
	v_add_f64_e64 v[2:3], v[42:43], -v[2:3]
	v_add_f64_e64 v[4:5], v[44:45], -v[4:5]
	scratch_store_b128 off, v[2:5], off offset:416
	v_cmpx_lt_u32_e32 24, v0
	s_cbranch_execz .LBB118_295
; %bb.294:
	scratch_load_b128 v[5:8], off, s44
	v_dual_mov_b32 v2, v1 :: v_dual_mov_b32 v3, v1
	v_mov_b32_e32 v4, v1
	scratch_store_b128 off, v[1:4], off offset:400
	s_wait_loadcnt 0x0
	ds_store_b128 v156, v[5:8]
.LBB118_295:
	s_wait_alu 0xfffe
	s_or_b32 exec_lo, exec_lo, s0
	s_wait_storecnt_dscnt 0x0
	s_barrier_signal -1
	s_barrier_wait -1
	global_inv scope:SCOPE_SE
	s_clause 0x8
	scratch_load_b128 v[2:5], off, off offset:416
	scratch_load_b128 v[6:9], off, off offset:432
	;; [unrolled: 1-line block ×9, first 2 shown]
	ds_load_b128 v[38:41], v1 offset:1280
	ds_load_b128 v[42:45], v1 offset:1296
	s_clause 0x1
	scratch_load_b128 v[157:160], off, off offset:400
	scratch_load_b128 v[161:164], off, off offset:560
	s_mov_b32 s0, exec_lo
	s_wait_loadcnt_dscnt 0xa01
	v_mul_f64_e32 v[165:166], v[40:41], v[4:5]
	v_mul_f64_e32 v[4:5], v[38:39], v[4:5]
	s_wait_loadcnt_dscnt 0x900
	v_mul_f64_e32 v[169:170], v[42:43], v[8:9]
	v_mul_f64_e32 v[8:9], v[44:45], v[8:9]
	s_delay_alu instid0(VALU_DEP_4) | instskip(NEXT) | instid1(VALU_DEP_4)
	v_fma_f64 v[171:172], v[38:39], v[2:3], -v[165:166]
	v_fma_f64 v[173:174], v[40:41], v[2:3], v[4:5]
	ds_load_b128 v[2:5], v1 offset:1312
	ds_load_b128 v[165:168], v1 offset:1328
	scratch_load_b128 v[38:41], off, off offset:576
	v_fma_f64 v[44:45], v[44:45], v[6:7], v[169:170]
	v_fma_f64 v[42:43], v[42:43], v[6:7], -v[8:9]
	scratch_load_b128 v[6:9], off, off offset:592
	s_wait_loadcnt_dscnt 0xa01
	v_mul_f64_e32 v[175:176], v[2:3], v[12:13]
	v_mul_f64_e32 v[12:13], v[4:5], v[12:13]
	v_add_f64_e32 v[169:170], 0, v[171:172]
	v_add_f64_e32 v[171:172], 0, v[173:174]
	s_wait_loadcnt_dscnt 0x900
	v_mul_f64_e32 v[173:174], v[165:166], v[16:17]
	v_mul_f64_e32 v[16:17], v[167:168], v[16:17]
	v_fma_f64 v[175:176], v[4:5], v[10:11], v[175:176]
	v_fma_f64 v[177:178], v[2:3], v[10:11], -v[12:13]
	ds_load_b128 v[2:5], v1 offset:1344
	scratch_load_b128 v[10:13], off, off offset:608
	v_add_f64_e32 v[169:170], v[169:170], v[42:43]
	v_add_f64_e32 v[171:172], v[171:172], v[44:45]
	ds_load_b128 v[42:45], v1 offset:1360
	v_fma_f64 v[167:168], v[167:168], v[14:15], v[173:174]
	v_fma_f64 v[165:166], v[165:166], v[14:15], -v[16:17]
	scratch_load_b128 v[14:17], off, off offset:624
	s_wait_loadcnt_dscnt 0xa01
	v_mul_f64_e32 v[179:180], v[2:3], v[20:21]
	v_mul_f64_e32 v[20:21], v[4:5], v[20:21]
	s_wait_loadcnt_dscnt 0x900
	v_mul_f64_e32 v[173:174], v[42:43], v[24:25]
	v_mul_f64_e32 v[24:25], v[44:45], v[24:25]
	v_add_f64_e32 v[169:170], v[169:170], v[177:178]
	v_add_f64_e32 v[171:172], v[171:172], v[175:176]
	v_fma_f64 v[175:176], v[4:5], v[18:19], v[179:180]
	v_fma_f64 v[177:178], v[2:3], v[18:19], -v[20:21]
	ds_load_b128 v[2:5], v1 offset:1376
	scratch_load_b128 v[18:21], off, off offset:640
	v_fma_f64 v[44:45], v[44:45], v[22:23], v[173:174]
	v_fma_f64 v[42:43], v[42:43], v[22:23], -v[24:25]
	scratch_load_b128 v[22:25], off, off offset:656
	v_add_f64_e32 v[169:170], v[169:170], v[165:166]
	v_add_f64_e32 v[171:172], v[171:172], v[167:168]
	ds_load_b128 v[165:168], v1 offset:1392
	s_wait_loadcnt_dscnt 0xa01
	v_mul_f64_e32 v[179:180], v[2:3], v[28:29]
	v_mul_f64_e32 v[28:29], v[4:5], v[28:29]
	s_wait_loadcnt_dscnt 0x900
	v_mul_f64_e32 v[173:174], v[165:166], v[32:33]
	v_mul_f64_e32 v[32:33], v[167:168], v[32:33]
	v_add_f64_e32 v[169:170], v[169:170], v[177:178]
	v_add_f64_e32 v[171:172], v[171:172], v[175:176]
	v_fma_f64 v[175:176], v[4:5], v[26:27], v[179:180]
	v_fma_f64 v[177:178], v[2:3], v[26:27], -v[28:29]
	ds_load_b128 v[2:5], v1 offset:1408
	scratch_load_b128 v[26:29], off, off offset:672
	v_fma_f64 v[167:168], v[167:168], v[30:31], v[173:174]
	v_fma_f64 v[165:166], v[165:166], v[30:31], -v[32:33]
	scratch_load_b128 v[30:33], off, off offset:688
	v_add_f64_e32 v[169:170], v[169:170], v[42:43]
	v_add_f64_e32 v[171:172], v[171:172], v[44:45]
	ds_load_b128 v[42:45], v1 offset:1424
	s_wait_loadcnt_dscnt 0xa01
	v_mul_f64_e32 v[179:180], v[2:3], v[36:37]
	v_mul_f64_e32 v[36:37], v[4:5], v[36:37]
	s_wait_loadcnt_dscnt 0x800
	v_mul_f64_e32 v[173:174], v[42:43], v[163:164]
	v_add_f64_e32 v[169:170], v[169:170], v[177:178]
	v_add_f64_e32 v[171:172], v[171:172], v[175:176]
	v_mul_f64_e32 v[175:176], v[44:45], v[163:164]
	v_fma_f64 v[177:178], v[4:5], v[34:35], v[179:180]
	v_fma_f64 v[179:180], v[2:3], v[34:35], -v[36:37]
	ds_load_b128 v[2:5], v1 offset:1440
	scratch_load_b128 v[34:37], off, off offset:704
	v_fma_f64 v[44:45], v[44:45], v[161:162], v[173:174]
	v_add_f64_e32 v[169:170], v[169:170], v[165:166]
	v_add_f64_e32 v[167:168], v[171:172], v[167:168]
	ds_load_b128 v[163:166], v1 offset:1456
	v_fma_f64 v[161:162], v[42:43], v[161:162], -v[175:176]
	s_wait_loadcnt_dscnt 0x801
	v_mul_f64_e32 v[171:172], v[2:3], v[40:41]
	v_mul_f64_e32 v[181:182], v[4:5], v[40:41]
	scratch_load_b128 v[40:43], off, off offset:720
	s_wait_loadcnt_dscnt 0x800
	v_mul_f64_e32 v[175:176], v[163:164], v[8:9]
	v_mul_f64_e32 v[8:9], v[165:166], v[8:9]
	v_add_f64_e32 v[169:170], v[169:170], v[179:180]
	v_add_f64_e32 v[167:168], v[167:168], v[177:178]
	v_fma_f64 v[177:178], v[4:5], v[38:39], v[171:172]
	v_fma_f64 v[38:39], v[2:3], v[38:39], -v[181:182]
	ds_load_b128 v[2:5], v1 offset:1472
	ds_load_b128 v[171:174], v1 offset:1488
	v_fma_f64 v[165:166], v[165:166], v[6:7], v[175:176]
	v_fma_f64 v[163:164], v[163:164], v[6:7], -v[8:9]
	scratch_load_b128 v[6:9], off, off offset:752
	v_add_f64_e32 v[161:162], v[169:170], v[161:162]
	v_add_f64_e32 v[44:45], v[167:168], v[44:45]
	scratch_load_b128 v[167:170], off, off offset:736
	s_wait_loadcnt_dscnt 0x901
	v_mul_f64_e32 v[179:180], v[2:3], v[12:13]
	v_mul_f64_e32 v[12:13], v[4:5], v[12:13]
	s_wait_loadcnt_dscnt 0x800
	v_mul_f64_e32 v[175:176], v[171:172], v[16:17]
	v_mul_f64_e32 v[16:17], v[173:174], v[16:17]
	v_add_f64_e32 v[38:39], v[161:162], v[38:39]
	v_add_f64_e32 v[44:45], v[44:45], v[177:178]
	v_fma_f64 v[177:178], v[4:5], v[10:11], v[179:180]
	v_fma_f64 v[179:180], v[2:3], v[10:11], -v[12:13]
	ds_load_b128 v[2:5], v1 offset:1504
	scratch_load_b128 v[10:13], off, off offset:768
	v_fma_f64 v[173:174], v[173:174], v[14:15], v[175:176]
	v_fma_f64 v[171:172], v[171:172], v[14:15], -v[16:17]
	scratch_load_b128 v[14:17], off, off offset:784
	v_add_f64_e32 v[38:39], v[38:39], v[163:164]
	v_add_f64_e32 v[44:45], v[44:45], v[165:166]
	ds_load_b128 v[161:164], v1 offset:1520
	s_wait_loadcnt_dscnt 0x901
	v_mul_f64_e32 v[165:166], v[2:3], v[20:21]
	v_mul_f64_e32 v[20:21], v[4:5], v[20:21]
	s_wait_loadcnt_dscnt 0x800
	v_mul_f64_e32 v[175:176], v[161:162], v[24:25]
	v_mul_f64_e32 v[24:25], v[163:164], v[24:25]
	v_add_f64_e32 v[38:39], v[38:39], v[179:180]
	v_add_f64_e32 v[44:45], v[44:45], v[177:178]
	v_fma_f64 v[165:166], v[4:5], v[18:19], v[165:166]
	v_fma_f64 v[177:178], v[2:3], v[18:19], -v[20:21]
	ds_load_b128 v[2:5], v1 offset:1536
	scratch_load_b128 v[18:21], off, off offset:800
	v_fma_f64 v[163:164], v[163:164], v[22:23], v[175:176]
	v_fma_f64 v[161:162], v[161:162], v[22:23], -v[24:25]
	scratch_load_b128 v[22:25], off, off offset:816
	v_add_f64_e32 v[38:39], v[38:39], v[171:172]
	v_add_f64_e32 v[44:45], v[44:45], v[173:174]
	ds_load_b128 v[171:174], v1 offset:1552
	s_wait_loadcnt_dscnt 0x901
	v_mul_f64_e32 v[179:180], v[2:3], v[28:29]
	v_mul_f64_e32 v[28:29], v[4:5], v[28:29]
	v_add_f64_e32 v[38:39], v[38:39], v[177:178]
	v_add_f64_e32 v[44:45], v[44:45], v[165:166]
	s_wait_loadcnt_dscnt 0x800
	v_mul_f64_e32 v[165:166], v[171:172], v[32:33]
	v_mul_f64_e32 v[32:33], v[173:174], v[32:33]
	v_fma_f64 v[175:176], v[4:5], v[26:27], v[179:180]
	v_fma_f64 v[177:178], v[2:3], v[26:27], -v[28:29]
	ds_load_b128 v[2:5], v1 offset:1568
	scratch_load_b128 v[26:29], off, off offset:832
	v_add_f64_e32 v[38:39], v[38:39], v[161:162]
	v_add_f64_e32 v[44:45], v[44:45], v[163:164]
	ds_load_b128 v[161:164], v1 offset:1584
	s_wait_loadcnt_dscnt 0x801
	v_mul_f64_e32 v[179:180], v[2:3], v[36:37]
	v_mul_f64_e32 v[36:37], v[4:5], v[36:37]
	v_fma_f64 v[165:166], v[173:174], v[30:31], v[165:166]
	v_fma_f64 v[171:172], v[171:172], v[30:31], -v[32:33]
	scratch_load_b128 v[30:33], off, off offset:848
	s_wait_loadcnt_dscnt 0x800
	v_mul_f64_e32 v[173:174], v[161:162], v[42:43]
	v_add_f64_e32 v[38:39], v[38:39], v[177:178]
	v_add_f64_e32 v[44:45], v[44:45], v[175:176]
	v_mul_f64_e32 v[175:176], v[163:164], v[42:43]
	v_fma_f64 v[177:178], v[4:5], v[34:35], v[179:180]
	v_fma_f64 v[179:180], v[2:3], v[34:35], -v[36:37]
	ds_load_b128 v[2:5], v1 offset:1600
	scratch_load_b128 v[34:37], off, off offset:864
	v_fma_f64 v[163:164], v[163:164], v[40:41], v[173:174]
	v_add_f64_e32 v[38:39], v[38:39], v[171:172]
	v_add_f64_e32 v[165:166], v[44:45], v[165:166]
	ds_load_b128 v[42:45], v1 offset:1616
	v_fma_f64 v[161:162], v[161:162], v[40:41], -v[175:176]
	s_wait_loadcnt_dscnt 0x701
	v_mul_f64_e32 v[171:172], v[2:3], v[169:170]
	v_mul_f64_e32 v[169:170], v[4:5], v[169:170]
	s_wait_dscnt 0x0
	v_mul_f64_e32 v[175:176], v[42:43], v[8:9]
	v_mul_f64_e32 v[8:9], v[44:45], v[8:9]
	v_add_f64_e32 v[173:174], v[38:39], v[179:180]
	v_add_f64_e32 v[165:166], v[165:166], v[177:178]
	scratch_load_b128 v[38:41], off, off offset:880
	v_fma_f64 v[171:172], v[4:5], v[167:168], v[171:172]
	v_fma_f64 v[167:168], v[2:3], v[167:168], -v[169:170]
	v_fma_f64 v[44:45], v[44:45], v[6:7], v[175:176]
	v_fma_f64 v[6:7], v[42:43], v[6:7], -v[8:9]
	v_add_f64_e32 v[169:170], v[173:174], v[161:162]
	v_add_f64_e32 v[165:166], v[165:166], v[163:164]
	ds_load_b128 v[2:5], v1 offset:1632
	ds_load_b128 v[161:164], v1 offset:1648
	s_wait_loadcnt_dscnt 0x701
	v_mul_f64_e32 v[173:174], v[2:3], v[12:13]
	v_mul_f64_e32 v[12:13], v[4:5], v[12:13]
	v_add_f64_e32 v[8:9], v[169:170], v[167:168]
	v_add_f64_e32 v[42:43], v[165:166], v[171:172]
	s_wait_loadcnt_dscnt 0x600
	v_mul_f64_e32 v[165:166], v[161:162], v[16:17]
	v_mul_f64_e32 v[16:17], v[163:164], v[16:17]
	v_fma_f64 v[167:168], v[4:5], v[10:11], v[173:174]
	v_fma_f64 v[10:11], v[2:3], v[10:11], -v[12:13]
	v_add_f64_e32 v[12:13], v[8:9], v[6:7]
	v_add_f64_e32 v[42:43], v[42:43], v[44:45]
	ds_load_b128 v[2:5], v1 offset:1664
	ds_load_b128 v[6:9], v1 offset:1680
	v_fma_f64 v[163:164], v[163:164], v[14:15], v[165:166]
	v_fma_f64 v[14:15], v[161:162], v[14:15], -v[16:17]
	s_wait_loadcnt_dscnt 0x501
	v_mul_f64_e32 v[44:45], v[2:3], v[20:21]
	v_mul_f64_e32 v[20:21], v[4:5], v[20:21]
	s_wait_loadcnt_dscnt 0x400
	v_mul_f64_e32 v[16:17], v[6:7], v[24:25]
	v_mul_f64_e32 v[24:25], v[8:9], v[24:25]
	v_add_f64_e32 v[10:11], v[12:13], v[10:11]
	v_add_f64_e32 v[12:13], v[42:43], v[167:168]
	v_fma_f64 v[42:43], v[4:5], v[18:19], v[44:45]
	v_fma_f64 v[18:19], v[2:3], v[18:19], -v[20:21]
	v_fma_f64 v[8:9], v[8:9], v[22:23], v[16:17]
	v_fma_f64 v[6:7], v[6:7], v[22:23], -v[24:25]
	v_add_f64_e32 v[14:15], v[10:11], v[14:15]
	v_add_f64_e32 v[20:21], v[12:13], v[163:164]
	ds_load_b128 v[2:5], v1 offset:1696
	ds_load_b128 v[10:13], v1 offset:1712
	s_wait_loadcnt_dscnt 0x301
	v_mul_f64_e32 v[44:45], v[2:3], v[28:29]
	v_mul_f64_e32 v[28:29], v[4:5], v[28:29]
	v_add_f64_e32 v[14:15], v[14:15], v[18:19]
	v_add_f64_e32 v[16:17], v[20:21], v[42:43]
	s_wait_loadcnt_dscnt 0x200
	v_mul_f64_e32 v[18:19], v[10:11], v[32:33]
	v_mul_f64_e32 v[20:21], v[12:13], v[32:33]
	v_fma_f64 v[22:23], v[4:5], v[26:27], v[44:45]
	v_fma_f64 v[24:25], v[2:3], v[26:27], -v[28:29]
	v_add_f64_e32 v[14:15], v[14:15], v[6:7]
	v_add_f64_e32 v[16:17], v[16:17], v[8:9]
	ds_load_b128 v[2:5], v1 offset:1728
	ds_load_b128 v[6:9], v1 offset:1744
	v_fma_f64 v[12:13], v[12:13], v[30:31], v[18:19]
	v_fma_f64 v[10:11], v[10:11], v[30:31], -v[20:21]
	s_wait_loadcnt_dscnt 0x101
	v_mul_f64_e32 v[26:27], v[2:3], v[36:37]
	v_mul_f64_e32 v[28:29], v[4:5], v[36:37]
	v_add_f64_e32 v[14:15], v[14:15], v[24:25]
	v_add_f64_e32 v[16:17], v[16:17], v[22:23]
	s_wait_loadcnt_dscnt 0x0
	v_mul_f64_e32 v[18:19], v[6:7], v[40:41]
	v_mul_f64_e32 v[20:21], v[8:9], v[40:41]
	v_fma_f64 v[4:5], v[4:5], v[34:35], v[26:27]
	v_fma_f64 v[1:2], v[2:3], v[34:35], -v[28:29]
	v_add_f64_e32 v[10:11], v[14:15], v[10:11]
	v_add_f64_e32 v[12:13], v[16:17], v[12:13]
	v_fma_f64 v[8:9], v[8:9], v[38:39], v[18:19]
	v_fma_f64 v[6:7], v[6:7], v[38:39], -v[20:21]
	s_delay_alu instid0(VALU_DEP_4) | instskip(NEXT) | instid1(VALU_DEP_4)
	v_add_f64_e32 v[1:2], v[10:11], v[1:2]
	v_add_f64_e32 v[3:4], v[12:13], v[4:5]
	s_delay_alu instid0(VALU_DEP_2) | instskip(NEXT) | instid1(VALU_DEP_2)
	v_add_f64_e32 v[1:2], v[1:2], v[6:7]
	v_add_f64_e32 v[3:4], v[3:4], v[8:9]
	s_delay_alu instid0(VALU_DEP_2) | instskip(NEXT) | instid1(VALU_DEP_2)
	v_add_f64_e64 v[1:2], v[157:158], -v[1:2]
	v_add_f64_e64 v[3:4], v[159:160], -v[3:4]
	scratch_store_b128 off, v[1:4], off offset:400
	v_cmpx_lt_u32_e32 23, v0
	s_cbranch_execz .LBB118_297
; %bb.296:
	scratch_load_b128 v[1:4], off, s45
	v_mov_b32_e32 v5, 0
	s_delay_alu instid0(VALU_DEP_1)
	v_dual_mov_b32 v6, v5 :: v_dual_mov_b32 v7, v5
	v_mov_b32_e32 v8, v5
	scratch_store_b128 off, v[5:8], off offset:384
	s_wait_loadcnt 0x0
	ds_store_b128 v156, v[1:4]
.LBB118_297:
	s_wait_alu 0xfffe
	s_or_b32 exec_lo, exec_lo, s0
	s_wait_storecnt_dscnt 0x0
	s_barrier_signal -1
	s_barrier_wait -1
	global_inv scope:SCOPE_SE
	s_clause 0x7
	scratch_load_b128 v[2:5], off, off offset:400
	scratch_load_b128 v[6:9], off, off offset:416
	;; [unrolled: 1-line block ×8, first 2 shown]
	v_mov_b32_e32 v1, 0
	s_mov_b32 s0, exec_lo
	ds_load_b128 v[34:37], v1 offset:1264
	s_clause 0x1
	scratch_load_b128 v[38:41], off, off offset:528
	scratch_load_b128 v[42:45], off, off offset:384
	ds_load_b128 v[157:160], v1 offset:1280
	scratch_load_b128 v[161:164], off, off offset:544
	s_wait_loadcnt_dscnt 0xa01
	v_mul_f64_e32 v[165:166], v[36:37], v[4:5]
	v_mul_f64_e32 v[4:5], v[34:35], v[4:5]
	s_delay_alu instid0(VALU_DEP_2) | instskip(NEXT) | instid1(VALU_DEP_2)
	v_fma_f64 v[171:172], v[34:35], v[2:3], -v[165:166]
	v_fma_f64 v[173:174], v[36:37], v[2:3], v[4:5]
	ds_load_b128 v[2:5], v1 offset:1296
	s_wait_loadcnt_dscnt 0x901
	v_mul_f64_e32 v[169:170], v[157:158], v[8:9]
	v_mul_f64_e32 v[8:9], v[159:160], v[8:9]
	scratch_load_b128 v[34:37], off, off offset:560
	ds_load_b128 v[165:168], v1 offset:1312
	s_wait_loadcnt_dscnt 0x901
	v_mul_f64_e32 v[175:176], v[2:3], v[12:13]
	v_mul_f64_e32 v[12:13], v[4:5], v[12:13]
	v_fma_f64 v[159:160], v[159:160], v[6:7], v[169:170]
	v_fma_f64 v[157:158], v[157:158], v[6:7], -v[8:9]
	v_add_f64_e32 v[169:170], 0, v[171:172]
	v_add_f64_e32 v[171:172], 0, v[173:174]
	scratch_load_b128 v[6:9], off, off offset:576
	v_fma_f64 v[175:176], v[4:5], v[10:11], v[175:176]
	v_fma_f64 v[177:178], v[2:3], v[10:11], -v[12:13]
	ds_load_b128 v[2:5], v1 offset:1328
	s_wait_loadcnt_dscnt 0x901
	v_mul_f64_e32 v[173:174], v[165:166], v[16:17]
	v_mul_f64_e32 v[16:17], v[167:168], v[16:17]
	scratch_load_b128 v[10:13], off, off offset:592
	v_add_f64_e32 v[169:170], v[169:170], v[157:158]
	v_add_f64_e32 v[171:172], v[171:172], v[159:160]
	s_wait_loadcnt_dscnt 0x900
	v_mul_f64_e32 v[179:180], v[2:3], v[20:21]
	v_mul_f64_e32 v[20:21], v[4:5], v[20:21]
	ds_load_b128 v[157:160], v1 offset:1344
	v_fma_f64 v[167:168], v[167:168], v[14:15], v[173:174]
	v_fma_f64 v[165:166], v[165:166], v[14:15], -v[16:17]
	scratch_load_b128 v[14:17], off, off offset:608
	v_add_f64_e32 v[169:170], v[169:170], v[177:178]
	v_add_f64_e32 v[171:172], v[171:172], v[175:176]
	v_fma_f64 v[175:176], v[4:5], v[18:19], v[179:180]
	v_fma_f64 v[177:178], v[2:3], v[18:19], -v[20:21]
	ds_load_b128 v[2:5], v1 offset:1360
	s_wait_loadcnt_dscnt 0x901
	v_mul_f64_e32 v[173:174], v[157:158], v[24:25]
	v_mul_f64_e32 v[24:25], v[159:160], v[24:25]
	scratch_load_b128 v[18:21], off, off offset:624
	s_wait_loadcnt_dscnt 0x900
	v_mul_f64_e32 v[179:180], v[2:3], v[28:29]
	v_mul_f64_e32 v[28:29], v[4:5], v[28:29]
	v_add_f64_e32 v[169:170], v[169:170], v[165:166]
	v_add_f64_e32 v[171:172], v[171:172], v[167:168]
	ds_load_b128 v[165:168], v1 offset:1376
	v_fma_f64 v[159:160], v[159:160], v[22:23], v[173:174]
	v_fma_f64 v[157:158], v[157:158], v[22:23], -v[24:25]
	scratch_load_b128 v[22:25], off, off offset:640
	v_add_f64_e32 v[169:170], v[169:170], v[177:178]
	v_add_f64_e32 v[171:172], v[171:172], v[175:176]
	v_fma_f64 v[175:176], v[4:5], v[26:27], v[179:180]
	v_fma_f64 v[177:178], v[2:3], v[26:27], -v[28:29]
	ds_load_b128 v[2:5], v1 offset:1392
	s_wait_loadcnt_dscnt 0x901
	v_mul_f64_e32 v[173:174], v[165:166], v[32:33]
	v_mul_f64_e32 v[32:33], v[167:168], v[32:33]
	scratch_load_b128 v[26:29], off, off offset:656
	s_wait_loadcnt_dscnt 0x900
	v_mul_f64_e32 v[179:180], v[2:3], v[40:41]
	v_mul_f64_e32 v[40:41], v[4:5], v[40:41]
	v_add_f64_e32 v[169:170], v[169:170], v[157:158]
	v_add_f64_e32 v[171:172], v[171:172], v[159:160]
	ds_load_b128 v[157:160], v1 offset:1408
	v_fma_f64 v[167:168], v[167:168], v[30:31], v[173:174]
	v_fma_f64 v[165:166], v[165:166], v[30:31], -v[32:33]
	scratch_load_b128 v[30:33], off, off offset:672
	v_add_f64_e32 v[169:170], v[169:170], v[177:178]
	v_add_f64_e32 v[171:172], v[171:172], v[175:176]
	v_fma_f64 v[177:178], v[4:5], v[38:39], v[179:180]
	v_fma_f64 v[179:180], v[2:3], v[38:39], -v[40:41]
	ds_load_b128 v[2:5], v1 offset:1424
	s_wait_loadcnt_dscnt 0x801
	v_mul_f64_e32 v[173:174], v[157:158], v[163:164]
	v_mul_f64_e32 v[175:176], v[159:160], v[163:164]
	scratch_load_b128 v[38:41], off, off offset:688
	v_add_f64_e32 v[169:170], v[169:170], v[165:166]
	v_add_f64_e32 v[167:168], v[171:172], v[167:168]
	ds_load_b128 v[163:166], v1 offset:1440
	v_fma_f64 v[173:174], v[159:160], v[161:162], v[173:174]
	v_fma_f64 v[161:162], v[157:158], v[161:162], -v[175:176]
	scratch_load_b128 v[157:160], off, off offset:704
	s_wait_loadcnt_dscnt 0x901
	v_mul_f64_e32 v[171:172], v[2:3], v[36:37]
	v_mul_f64_e32 v[36:37], v[4:5], v[36:37]
	v_add_f64_e32 v[169:170], v[169:170], v[179:180]
	v_add_f64_e32 v[167:168], v[167:168], v[177:178]
	s_delay_alu instid0(VALU_DEP_4) | instskip(NEXT) | instid1(VALU_DEP_4)
	v_fma_f64 v[171:172], v[4:5], v[34:35], v[171:172]
	v_fma_f64 v[177:178], v[2:3], v[34:35], -v[36:37]
	ds_load_b128 v[2:5], v1 offset:1456
	s_wait_loadcnt_dscnt 0x801
	v_mul_f64_e32 v[175:176], v[163:164], v[8:9]
	v_mul_f64_e32 v[8:9], v[165:166], v[8:9]
	scratch_load_b128 v[34:37], off, off offset:720
	s_wait_loadcnt_dscnt 0x800
	v_mul_f64_e32 v[179:180], v[2:3], v[12:13]
	v_add_f64_e32 v[161:162], v[169:170], v[161:162]
	v_add_f64_e32 v[173:174], v[167:168], v[173:174]
	v_mul_f64_e32 v[12:13], v[4:5], v[12:13]
	ds_load_b128 v[167:170], v1 offset:1472
	v_fma_f64 v[165:166], v[165:166], v[6:7], v[175:176]
	v_fma_f64 v[163:164], v[163:164], v[6:7], -v[8:9]
	scratch_load_b128 v[6:9], off, off offset:736
	v_fma_f64 v[175:176], v[4:5], v[10:11], v[179:180]
	v_add_f64_e32 v[161:162], v[161:162], v[177:178]
	v_add_f64_e32 v[171:172], v[173:174], v[171:172]
	v_fma_f64 v[177:178], v[2:3], v[10:11], -v[12:13]
	ds_load_b128 v[2:5], v1 offset:1488
	s_wait_loadcnt_dscnt 0x801
	v_mul_f64_e32 v[173:174], v[167:168], v[16:17]
	v_mul_f64_e32 v[16:17], v[169:170], v[16:17]
	scratch_load_b128 v[10:13], off, off offset:752
	v_add_f64_e32 v[179:180], v[161:162], v[163:164]
	v_add_f64_e32 v[165:166], v[171:172], v[165:166]
	s_wait_loadcnt_dscnt 0x800
	v_mul_f64_e32 v[171:172], v[2:3], v[20:21]
	v_mul_f64_e32 v[20:21], v[4:5], v[20:21]
	v_fma_f64 v[169:170], v[169:170], v[14:15], v[173:174]
	v_fma_f64 v[167:168], v[167:168], v[14:15], -v[16:17]
	ds_load_b128 v[161:164], v1 offset:1504
	scratch_load_b128 v[14:17], off, off offset:768
	v_add_f64_e32 v[173:174], v[179:180], v[177:178]
	v_add_f64_e32 v[165:166], v[165:166], v[175:176]
	v_fma_f64 v[171:172], v[4:5], v[18:19], v[171:172]
	v_fma_f64 v[177:178], v[2:3], v[18:19], -v[20:21]
	ds_load_b128 v[2:5], v1 offset:1520
	s_wait_loadcnt_dscnt 0x801
	v_mul_f64_e32 v[175:176], v[161:162], v[24:25]
	v_mul_f64_e32 v[24:25], v[163:164], v[24:25]
	scratch_load_b128 v[18:21], off, off offset:784
	s_wait_loadcnt_dscnt 0x800
	v_mul_f64_e32 v[179:180], v[2:3], v[28:29]
	v_mul_f64_e32 v[28:29], v[4:5], v[28:29]
	v_add_f64_e32 v[173:174], v[173:174], v[167:168]
	v_add_f64_e32 v[169:170], v[165:166], v[169:170]
	ds_load_b128 v[165:168], v1 offset:1536
	v_fma_f64 v[163:164], v[163:164], v[22:23], v[175:176]
	v_fma_f64 v[161:162], v[161:162], v[22:23], -v[24:25]
	scratch_load_b128 v[22:25], off, off offset:800
	v_fma_f64 v[175:176], v[4:5], v[26:27], v[179:180]
	v_add_f64_e32 v[173:174], v[173:174], v[177:178]
	v_add_f64_e32 v[169:170], v[169:170], v[171:172]
	v_fma_f64 v[177:178], v[2:3], v[26:27], -v[28:29]
	ds_load_b128 v[2:5], v1 offset:1552
	s_wait_loadcnt_dscnt 0x801
	v_mul_f64_e32 v[171:172], v[165:166], v[32:33]
	v_mul_f64_e32 v[32:33], v[167:168], v[32:33]
	scratch_load_b128 v[26:29], off, off offset:816
	s_wait_loadcnt_dscnt 0x800
	v_mul_f64_e32 v[179:180], v[2:3], v[40:41]
	v_mul_f64_e32 v[40:41], v[4:5], v[40:41]
	v_add_f64_e32 v[173:174], v[173:174], v[161:162]
	v_add_f64_e32 v[169:170], v[169:170], v[163:164]
	ds_load_b128 v[161:164], v1 offset:1568
	v_fma_f64 v[167:168], v[167:168], v[30:31], v[171:172]
	v_fma_f64 v[165:166], v[165:166], v[30:31], -v[32:33]
	scratch_load_b128 v[30:33], off, off offset:832
	v_add_f64_e32 v[171:172], v[173:174], v[177:178]
	v_add_f64_e32 v[169:170], v[169:170], v[175:176]
	v_fma_f64 v[175:176], v[4:5], v[38:39], v[179:180]
	v_fma_f64 v[177:178], v[2:3], v[38:39], -v[40:41]
	ds_load_b128 v[2:5], v1 offset:1584
	s_wait_loadcnt_dscnt 0x801
	v_mul_f64_e32 v[173:174], v[161:162], v[159:160]
	v_mul_f64_e32 v[159:160], v[163:164], v[159:160]
	scratch_load_b128 v[38:41], off, off offset:848
	s_wait_loadcnt_dscnt 0x800
	v_mul_f64_e32 v[179:180], v[2:3], v[36:37]
	v_mul_f64_e32 v[36:37], v[4:5], v[36:37]
	v_add_f64_e32 v[171:172], v[171:172], v[165:166]
	v_add_f64_e32 v[169:170], v[169:170], v[167:168]
	ds_load_b128 v[165:168], v1 offset:1600
	v_fma_f64 v[163:164], v[163:164], v[157:158], v[173:174]
	v_fma_f64 v[161:162], v[161:162], v[157:158], -v[159:160]
	scratch_load_b128 v[157:160], off, off offset:864
	v_add_f64_e32 v[171:172], v[171:172], v[177:178]
	v_add_f64_e32 v[169:170], v[169:170], v[175:176]
	v_fma_f64 v[175:176], v[4:5], v[34:35], v[179:180]
	v_fma_f64 v[177:178], v[2:3], v[34:35], -v[36:37]
	ds_load_b128 v[2:5], v1 offset:1616
	s_wait_loadcnt_dscnt 0x801
	v_mul_f64_e32 v[173:174], v[165:166], v[8:9]
	v_mul_f64_e32 v[8:9], v[167:168], v[8:9]
	scratch_load_b128 v[34:37], off, off offset:880
	s_wait_loadcnt_dscnt 0x800
	v_mul_f64_e32 v[179:180], v[2:3], v[12:13]
	v_mul_f64_e32 v[12:13], v[4:5], v[12:13]
	v_add_f64_e32 v[171:172], v[171:172], v[161:162]
	v_add_f64_e32 v[169:170], v[169:170], v[163:164]
	ds_load_b128 v[161:164], v1 offset:1632
	v_fma_f64 v[167:168], v[167:168], v[6:7], v[173:174]
	v_fma_f64 v[6:7], v[165:166], v[6:7], -v[8:9]
	v_add_f64_e32 v[8:9], v[171:172], v[177:178]
	v_add_f64_e32 v[165:166], v[169:170], v[175:176]
	s_wait_loadcnt_dscnt 0x700
	v_mul_f64_e32 v[169:170], v[161:162], v[16:17]
	v_mul_f64_e32 v[16:17], v[163:164], v[16:17]
	v_fma_f64 v[171:172], v[4:5], v[10:11], v[179:180]
	v_fma_f64 v[10:11], v[2:3], v[10:11], -v[12:13]
	v_add_f64_e32 v[12:13], v[8:9], v[6:7]
	v_add_f64_e32 v[165:166], v[165:166], v[167:168]
	ds_load_b128 v[2:5], v1 offset:1648
	ds_load_b128 v[6:9], v1 offset:1664
	v_fma_f64 v[163:164], v[163:164], v[14:15], v[169:170]
	v_fma_f64 v[14:15], v[161:162], v[14:15], -v[16:17]
	s_wait_loadcnt_dscnt 0x601
	v_mul_f64_e32 v[167:168], v[2:3], v[20:21]
	v_mul_f64_e32 v[20:21], v[4:5], v[20:21]
	s_wait_loadcnt_dscnt 0x500
	v_mul_f64_e32 v[16:17], v[6:7], v[24:25]
	v_mul_f64_e32 v[24:25], v[8:9], v[24:25]
	v_add_f64_e32 v[10:11], v[12:13], v[10:11]
	v_add_f64_e32 v[12:13], v[165:166], v[171:172]
	v_fma_f64 v[161:162], v[4:5], v[18:19], v[167:168]
	v_fma_f64 v[18:19], v[2:3], v[18:19], -v[20:21]
	v_fma_f64 v[8:9], v[8:9], v[22:23], v[16:17]
	v_fma_f64 v[6:7], v[6:7], v[22:23], -v[24:25]
	v_add_f64_e32 v[14:15], v[10:11], v[14:15]
	v_add_f64_e32 v[20:21], v[12:13], v[163:164]
	ds_load_b128 v[2:5], v1 offset:1680
	ds_load_b128 v[10:13], v1 offset:1696
	s_wait_loadcnt_dscnt 0x401
	v_mul_f64_e32 v[163:164], v[2:3], v[28:29]
	v_mul_f64_e32 v[28:29], v[4:5], v[28:29]
	v_add_f64_e32 v[14:15], v[14:15], v[18:19]
	v_add_f64_e32 v[16:17], v[20:21], v[161:162]
	s_wait_loadcnt_dscnt 0x300
	v_mul_f64_e32 v[18:19], v[10:11], v[32:33]
	v_mul_f64_e32 v[20:21], v[12:13], v[32:33]
	v_fma_f64 v[22:23], v[4:5], v[26:27], v[163:164]
	v_fma_f64 v[24:25], v[2:3], v[26:27], -v[28:29]
	v_add_f64_e32 v[14:15], v[14:15], v[6:7]
	v_add_f64_e32 v[16:17], v[16:17], v[8:9]
	ds_load_b128 v[2:5], v1 offset:1712
	ds_load_b128 v[6:9], v1 offset:1728
	v_fma_f64 v[12:13], v[12:13], v[30:31], v[18:19]
	v_fma_f64 v[10:11], v[10:11], v[30:31], -v[20:21]
	s_wait_loadcnt_dscnt 0x201
	v_mul_f64_e32 v[26:27], v[2:3], v[40:41]
	v_mul_f64_e32 v[28:29], v[4:5], v[40:41]
	s_wait_loadcnt_dscnt 0x100
	v_mul_f64_e32 v[18:19], v[6:7], v[159:160]
	v_mul_f64_e32 v[20:21], v[8:9], v[159:160]
	v_add_f64_e32 v[14:15], v[14:15], v[24:25]
	v_add_f64_e32 v[16:17], v[16:17], v[22:23]
	v_fma_f64 v[22:23], v[4:5], v[38:39], v[26:27]
	v_fma_f64 v[24:25], v[2:3], v[38:39], -v[28:29]
	ds_load_b128 v[2:5], v1 offset:1744
	v_fma_f64 v[8:9], v[8:9], v[157:158], v[18:19]
	v_fma_f64 v[6:7], v[6:7], v[157:158], -v[20:21]
	v_add_f64_e32 v[10:11], v[14:15], v[10:11]
	v_add_f64_e32 v[12:13], v[16:17], v[12:13]
	s_wait_loadcnt_dscnt 0x0
	v_mul_f64_e32 v[14:15], v[2:3], v[36:37]
	v_mul_f64_e32 v[16:17], v[4:5], v[36:37]
	s_delay_alu instid0(VALU_DEP_4) | instskip(NEXT) | instid1(VALU_DEP_4)
	v_add_f64_e32 v[10:11], v[10:11], v[24:25]
	v_add_f64_e32 v[12:13], v[12:13], v[22:23]
	s_delay_alu instid0(VALU_DEP_4) | instskip(NEXT) | instid1(VALU_DEP_4)
	v_fma_f64 v[4:5], v[4:5], v[34:35], v[14:15]
	v_fma_f64 v[2:3], v[2:3], v[34:35], -v[16:17]
	s_delay_alu instid0(VALU_DEP_4) | instskip(NEXT) | instid1(VALU_DEP_4)
	v_add_f64_e32 v[6:7], v[10:11], v[6:7]
	v_add_f64_e32 v[8:9], v[12:13], v[8:9]
	s_delay_alu instid0(VALU_DEP_2) | instskip(NEXT) | instid1(VALU_DEP_2)
	v_add_f64_e32 v[2:3], v[6:7], v[2:3]
	v_add_f64_e32 v[4:5], v[8:9], v[4:5]
	s_delay_alu instid0(VALU_DEP_2) | instskip(NEXT) | instid1(VALU_DEP_2)
	v_add_f64_e64 v[2:3], v[42:43], -v[2:3]
	v_add_f64_e64 v[4:5], v[44:45], -v[4:5]
	scratch_store_b128 off, v[2:5], off offset:384
	v_cmpx_lt_u32_e32 22, v0
	s_cbranch_execz .LBB118_299
; %bb.298:
	scratch_load_b128 v[5:8], off, s46
	v_dual_mov_b32 v2, v1 :: v_dual_mov_b32 v3, v1
	v_mov_b32_e32 v4, v1
	scratch_store_b128 off, v[1:4], off offset:368
	s_wait_loadcnt 0x0
	ds_store_b128 v156, v[5:8]
.LBB118_299:
	s_wait_alu 0xfffe
	s_or_b32 exec_lo, exec_lo, s0
	s_wait_storecnt_dscnt 0x0
	s_barrier_signal -1
	s_barrier_wait -1
	global_inv scope:SCOPE_SE
	s_clause 0x8
	scratch_load_b128 v[2:5], off, off offset:384
	scratch_load_b128 v[6:9], off, off offset:400
	;; [unrolled: 1-line block ×9, first 2 shown]
	ds_load_b128 v[38:41], v1 offset:1248
	ds_load_b128 v[42:45], v1 offset:1264
	s_clause 0x1
	scratch_load_b128 v[157:160], off, off offset:368
	scratch_load_b128 v[161:164], off, off offset:528
	s_mov_b32 s0, exec_lo
	s_wait_loadcnt_dscnt 0xa01
	v_mul_f64_e32 v[165:166], v[40:41], v[4:5]
	v_mul_f64_e32 v[4:5], v[38:39], v[4:5]
	s_wait_loadcnt_dscnt 0x900
	v_mul_f64_e32 v[169:170], v[42:43], v[8:9]
	v_mul_f64_e32 v[8:9], v[44:45], v[8:9]
	s_delay_alu instid0(VALU_DEP_4) | instskip(NEXT) | instid1(VALU_DEP_4)
	v_fma_f64 v[171:172], v[38:39], v[2:3], -v[165:166]
	v_fma_f64 v[173:174], v[40:41], v[2:3], v[4:5]
	ds_load_b128 v[2:5], v1 offset:1280
	ds_load_b128 v[165:168], v1 offset:1296
	scratch_load_b128 v[38:41], off, off offset:544
	v_fma_f64 v[44:45], v[44:45], v[6:7], v[169:170]
	v_fma_f64 v[42:43], v[42:43], v[6:7], -v[8:9]
	scratch_load_b128 v[6:9], off, off offset:560
	s_wait_loadcnt_dscnt 0xa01
	v_mul_f64_e32 v[175:176], v[2:3], v[12:13]
	v_mul_f64_e32 v[12:13], v[4:5], v[12:13]
	v_add_f64_e32 v[169:170], 0, v[171:172]
	v_add_f64_e32 v[171:172], 0, v[173:174]
	s_wait_loadcnt_dscnt 0x900
	v_mul_f64_e32 v[173:174], v[165:166], v[16:17]
	v_mul_f64_e32 v[16:17], v[167:168], v[16:17]
	v_fma_f64 v[175:176], v[4:5], v[10:11], v[175:176]
	v_fma_f64 v[177:178], v[2:3], v[10:11], -v[12:13]
	ds_load_b128 v[2:5], v1 offset:1312
	scratch_load_b128 v[10:13], off, off offset:576
	v_add_f64_e32 v[169:170], v[169:170], v[42:43]
	v_add_f64_e32 v[171:172], v[171:172], v[44:45]
	ds_load_b128 v[42:45], v1 offset:1328
	v_fma_f64 v[167:168], v[167:168], v[14:15], v[173:174]
	v_fma_f64 v[165:166], v[165:166], v[14:15], -v[16:17]
	scratch_load_b128 v[14:17], off, off offset:592
	s_wait_loadcnt_dscnt 0xa01
	v_mul_f64_e32 v[179:180], v[2:3], v[20:21]
	v_mul_f64_e32 v[20:21], v[4:5], v[20:21]
	s_wait_loadcnt_dscnt 0x900
	v_mul_f64_e32 v[173:174], v[42:43], v[24:25]
	v_mul_f64_e32 v[24:25], v[44:45], v[24:25]
	v_add_f64_e32 v[169:170], v[169:170], v[177:178]
	v_add_f64_e32 v[171:172], v[171:172], v[175:176]
	v_fma_f64 v[175:176], v[4:5], v[18:19], v[179:180]
	v_fma_f64 v[177:178], v[2:3], v[18:19], -v[20:21]
	ds_load_b128 v[2:5], v1 offset:1344
	scratch_load_b128 v[18:21], off, off offset:608
	v_fma_f64 v[44:45], v[44:45], v[22:23], v[173:174]
	v_fma_f64 v[42:43], v[42:43], v[22:23], -v[24:25]
	scratch_load_b128 v[22:25], off, off offset:624
	v_add_f64_e32 v[169:170], v[169:170], v[165:166]
	v_add_f64_e32 v[171:172], v[171:172], v[167:168]
	ds_load_b128 v[165:168], v1 offset:1360
	s_wait_loadcnt_dscnt 0xa01
	v_mul_f64_e32 v[179:180], v[2:3], v[28:29]
	v_mul_f64_e32 v[28:29], v[4:5], v[28:29]
	s_wait_loadcnt_dscnt 0x900
	v_mul_f64_e32 v[173:174], v[165:166], v[32:33]
	v_mul_f64_e32 v[32:33], v[167:168], v[32:33]
	v_add_f64_e32 v[169:170], v[169:170], v[177:178]
	v_add_f64_e32 v[171:172], v[171:172], v[175:176]
	v_fma_f64 v[175:176], v[4:5], v[26:27], v[179:180]
	v_fma_f64 v[177:178], v[2:3], v[26:27], -v[28:29]
	ds_load_b128 v[2:5], v1 offset:1376
	scratch_load_b128 v[26:29], off, off offset:640
	v_fma_f64 v[167:168], v[167:168], v[30:31], v[173:174]
	v_fma_f64 v[165:166], v[165:166], v[30:31], -v[32:33]
	scratch_load_b128 v[30:33], off, off offset:656
	v_add_f64_e32 v[169:170], v[169:170], v[42:43]
	v_add_f64_e32 v[171:172], v[171:172], v[44:45]
	ds_load_b128 v[42:45], v1 offset:1392
	s_wait_loadcnt_dscnt 0xa01
	v_mul_f64_e32 v[179:180], v[2:3], v[36:37]
	v_mul_f64_e32 v[36:37], v[4:5], v[36:37]
	s_wait_loadcnt_dscnt 0x800
	v_mul_f64_e32 v[173:174], v[42:43], v[163:164]
	v_add_f64_e32 v[169:170], v[169:170], v[177:178]
	v_add_f64_e32 v[171:172], v[171:172], v[175:176]
	v_mul_f64_e32 v[175:176], v[44:45], v[163:164]
	v_fma_f64 v[177:178], v[4:5], v[34:35], v[179:180]
	v_fma_f64 v[179:180], v[2:3], v[34:35], -v[36:37]
	ds_load_b128 v[2:5], v1 offset:1408
	scratch_load_b128 v[34:37], off, off offset:672
	v_fma_f64 v[44:45], v[44:45], v[161:162], v[173:174]
	v_add_f64_e32 v[169:170], v[169:170], v[165:166]
	v_add_f64_e32 v[167:168], v[171:172], v[167:168]
	ds_load_b128 v[163:166], v1 offset:1424
	v_fma_f64 v[161:162], v[42:43], v[161:162], -v[175:176]
	s_wait_loadcnt_dscnt 0x801
	v_mul_f64_e32 v[171:172], v[2:3], v[40:41]
	v_mul_f64_e32 v[181:182], v[4:5], v[40:41]
	scratch_load_b128 v[40:43], off, off offset:688
	s_wait_loadcnt_dscnt 0x800
	v_mul_f64_e32 v[175:176], v[163:164], v[8:9]
	v_mul_f64_e32 v[8:9], v[165:166], v[8:9]
	v_add_f64_e32 v[169:170], v[169:170], v[179:180]
	v_add_f64_e32 v[167:168], v[167:168], v[177:178]
	v_fma_f64 v[177:178], v[4:5], v[38:39], v[171:172]
	v_fma_f64 v[38:39], v[2:3], v[38:39], -v[181:182]
	ds_load_b128 v[2:5], v1 offset:1440
	ds_load_b128 v[171:174], v1 offset:1456
	v_fma_f64 v[165:166], v[165:166], v[6:7], v[175:176]
	v_fma_f64 v[163:164], v[163:164], v[6:7], -v[8:9]
	scratch_load_b128 v[6:9], off, off offset:720
	v_add_f64_e32 v[161:162], v[169:170], v[161:162]
	v_add_f64_e32 v[44:45], v[167:168], v[44:45]
	scratch_load_b128 v[167:170], off, off offset:704
	s_wait_loadcnt_dscnt 0x901
	v_mul_f64_e32 v[179:180], v[2:3], v[12:13]
	v_mul_f64_e32 v[12:13], v[4:5], v[12:13]
	s_wait_loadcnt_dscnt 0x800
	v_mul_f64_e32 v[175:176], v[171:172], v[16:17]
	v_mul_f64_e32 v[16:17], v[173:174], v[16:17]
	v_add_f64_e32 v[38:39], v[161:162], v[38:39]
	v_add_f64_e32 v[44:45], v[44:45], v[177:178]
	v_fma_f64 v[177:178], v[4:5], v[10:11], v[179:180]
	v_fma_f64 v[179:180], v[2:3], v[10:11], -v[12:13]
	ds_load_b128 v[2:5], v1 offset:1472
	scratch_load_b128 v[10:13], off, off offset:736
	v_fma_f64 v[173:174], v[173:174], v[14:15], v[175:176]
	v_fma_f64 v[171:172], v[171:172], v[14:15], -v[16:17]
	scratch_load_b128 v[14:17], off, off offset:752
	v_add_f64_e32 v[38:39], v[38:39], v[163:164]
	v_add_f64_e32 v[44:45], v[44:45], v[165:166]
	ds_load_b128 v[161:164], v1 offset:1488
	s_wait_loadcnt_dscnt 0x901
	v_mul_f64_e32 v[165:166], v[2:3], v[20:21]
	v_mul_f64_e32 v[20:21], v[4:5], v[20:21]
	s_wait_loadcnt_dscnt 0x800
	v_mul_f64_e32 v[175:176], v[161:162], v[24:25]
	v_mul_f64_e32 v[24:25], v[163:164], v[24:25]
	v_add_f64_e32 v[38:39], v[38:39], v[179:180]
	v_add_f64_e32 v[44:45], v[44:45], v[177:178]
	v_fma_f64 v[165:166], v[4:5], v[18:19], v[165:166]
	v_fma_f64 v[177:178], v[2:3], v[18:19], -v[20:21]
	ds_load_b128 v[2:5], v1 offset:1504
	scratch_load_b128 v[18:21], off, off offset:768
	v_fma_f64 v[163:164], v[163:164], v[22:23], v[175:176]
	v_fma_f64 v[161:162], v[161:162], v[22:23], -v[24:25]
	scratch_load_b128 v[22:25], off, off offset:784
	v_add_f64_e32 v[38:39], v[38:39], v[171:172]
	v_add_f64_e32 v[44:45], v[44:45], v[173:174]
	ds_load_b128 v[171:174], v1 offset:1520
	s_wait_loadcnt_dscnt 0x901
	v_mul_f64_e32 v[179:180], v[2:3], v[28:29]
	v_mul_f64_e32 v[28:29], v[4:5], v[28:29]
	v_add_f64_e32 v[38:39], v[38:39], v[177:178]
	v_add_f64_e32 v[44:45], v[44:45], v[165:166]
	s_wait_loadcnt_dscnt 0x800
	v_mul_f64_e32 v[165:166], v[171:172], v[32:33]
	v_mul_f64_e32 v[32:33], v[173:174], v[32:33]
	v_fma_f64 v[175:176], v[4:5], v[26:27], v[179:180]
	v_fma_f64 v[177:178], v[2:3], v[26:27], -v[28:29]
	ds_load_b128 v[2:5], v1 offset:1536
	scratch_load_b128 v[26:29], off, off offset:800
	v_add_f64_e32 v[38:39], v[38:39], v[161:162]
	v_add_f64_e32 v[44:45], v[44:45], v[163:164]
	ds_load_b128 v[161:164], v1 offset:1552
	s_wait_loadcnt_dscnt 0x801
	v_mul_f64_e32 v[179:180], v[2:3], v[36:37]
	v_mul_f64_e32 v[36:37], v[4:5], v[36:37]
	v_fma_f64 v[165:166], v[173:174], v[30:31], v[165:166]
	v_fma_f64 v[171:172], v[171:172], v[30:31], -v[32:33]
	scratch_load_b128 v[30:33], off, off offset:816
	s_wait_loadcnt_dscnt 0x800
	v_mul_f64_e32 v[173:174], v[161:162], v[42:43]
	v_add_f64_e32 v[38:39], v[38:39], v[177:178]
	v_add_f64_e32 v[44:45], v[44:45], v[175:176]
	v_mul_f64_e32 v[175:176], v[163:164], v[42:43]
	v_fma_f64 v[177:178], v[4:5], v[34:35], v[179:180]
	v_fma_f64 v[179:180], v[2:3], v[34:35], -v[36:37]
	ds_load_b128 v[2:5], v1 offset:1568
	scratch_load_b128 v[34:37], off, off offset:832
	v_fma_f64 v[163:164], v[163:164], v[40:41], v[173:174]
	v_add_f64_e32 v[38:39], v[38:39], v[171:172]
	v_add_f64_e32 v[165:166], v[44:45], v[165:166]
	ds_load_b128 v[42:45], v1 offset:1584
	v_fma_f64 v[161:162], v[161:162], v[40:41], -v[175:176]
	s_wait_loadcnt_dscnt 0x701
	v_mul_f64_e32 v[171:172], v[2:3], v[169:170]
	v_mul_f64_e32 v[169:170], v[4:5], v[169:170]
	s_wait_dscnt 0x0
	v_mul_f64_e32 v[175:176], v[42:43], v[8:9]
	v_mul_f64_e32 v[8:9], v[44:45], v[8:9]
	v_add_f64_e32 v[173:174], v[38:39], v[179:180]
	v_add_f64_e32 v[165:166], v[165:166], v[177:178]
	scratch_load_b128 v[38:41], off, off offset:848
	v_fma_f64 v[171:172], v[4:5], v[167:168], v[171:172]
	v_fma_f64 v[169:170], v[2:3], v[167:168], -v[169:170]
	ds_load_b128 v[2:5], v1 offset:1600
	v_fma_f64 v[44:45], v[44:45], v[6:7], v[175:176]
	v_fma_f64 v[42:43], v[42:43], v[6:7], -v[8:9]
	scratch_load_b128 v[6:9], off, off offset:880
	v_add_f64_e32 v[173:174], v[173:174], v[161:162]
	v_add_f64_e32 v[177:178], v[165:166], v[163:164]
	scratch_load_b128 v[161:164], off, off offset:864
	ds_load_b128 v[165:168], v1 offset:1616
	s_wait_loadcnt_dscnt 0x901
	v_mul_f64_e32 v[179:180], v[2:3], v[12:13]
	v_mul_f64_e32 v[12:13], v[4:5], v[12:13]
	v_add_f64_e32 v[169:170], v[173:174], v[169:170]
	v_add_f64_e32 v[171:172], v[177:178], v[171:172]
	s_wait_loadcnt_dscnt 0x800
	v_mul_f64_e32 v[173:174], v[165:166], v[16:17]
	v_mul_f64_e32 v[16:17], v[167:168], v[16:17]
	v_fma_f64 v[175:176], v[4:5], v[10:11], v[179:180]
	v_fma_f64 v[177:178], v[2:3], v[10:11], -v[12:13]
	ds_load_b128 v[2:5], v1 offset:1632
	ds_load_b128 v[10:13], v1 offset:1648
	v_add_f64_e32 v[42:43], v[169:170], v[42:43]
	v_add_f64_e32 v[44:45], v[171:172], v[44:45]
	s_wait_loadcnt_dscnt 0x701
	v_mul_f64_e32 v[169:170], v[2:3], v[20:21]
	v_mul_f64_e32 v[20:21], v[4:5], v[20:21]
	v_fma_f64 v[167:168], v[167:168], v[14:15], v[173:174]
	v_fma_f64 v[14:15], v[165:166], v[14:15], -v[16:17]
	v_add_f64_e32 v[16:17], v[42:43], v[177:178]
	v_add_f64_e32 v[42:43], v[44:45], v[175:176]
	s_wait_loadcnt_dscnt 0x600
	v_mul_f64_e32 v[44:45], v[10:11], v[24:25]
	v_mul_f64_e32 v[24:25], v[12:13], v[24:25]
	v_fma_f64 v[165:166], v[4:5], v[18:19], v[169:170]
	v_fma_f64 v[18:19], v[2:3], v[18:19], -v[20:21]
	v_add_f64_e32 v[20:21], v[16:17], v[14:15]
	v_add_f64_e32 v[42:43], v[42:43], v[167:168]
	ds_load_b128 v[2:5], v1 offset:1664
	ds_load_b128 v[14:17], v1 offset:1680
	v_fma_f64 v[12:13], v[12:13], v[22:23], v[44:45]
	v_fma_f64 v[10:11], v[10:11], v[22:23], -v[24:25]
	s_wait_loadcnt_dscnt 0x501
	v_mul_f64_e32 v[167:168], v[2:3], v[28:29]
	v_mul_f64_e32 v[28:29], v[4:5], v[28:29]
	s_wait_loadcnt_dscnt 0x400
	v_mul_f64_e32 v[22:23], v[14:15], v[32:33]
	v_mul_f64_e32 v[24:25], v[16:17], v[32:33]
	v_add_f64_e32 v[18:19], v[20:21], v[18:19]
	v_add_f64_e32 v[20:21], v[42:43], v[165:166]
	v_fma_f64 v[32:33], v[4:5], v[26:27], v[167:168]
	v_fma_f64 v[26:27], v[2:3], v[26:27], -v[28:29]
	v_fma_f64 v[16:17], v[16:17], v[30:31], v[22:23]
	v_fma_f64 v[14:15], v[14:15], v[30:31], -v[24:25]
	v_add_f64_e32 v[18:19], v[18:19], v[10:11]
	v_add_f64_e32 v[20:21], v[20:21], v[12:13]
	ds_load_b128 v[2:5], v1 offset:1696
	ds_load_b128 v[10:13], v1 offset:1712
	s_wait_loadcnt_dscnt 0x301
	v_mul_f64_e32 v[28:29], v[2:3], v[36:37]
	v_mul_f64_e32 v[36:37], v[4:5], v[36:37]
	v_add_f64_e32 v[18:19], v[18:19], v[26:27]
	v_add_f64_e32 v[20:21], v[20:21], v[32:33]
	s_wait_loadcnt_dscnt 0x200
	v_mul_f64_e32 v[22:23], v[10:11], v[40:41]
	v_mul_f64_e32 v[24:25], v[12:13], v[40:41]
	v_fma_f64 v[26:27], v[4:5], v[34:35], v[28:29]
	v_fma_f64 v[28:29], v[2:3], v[34:35], -v[36:37]
	v_add_f64_e32 v[18:19], v[18:19], v[14:15]
	v_add_f64_e32 v[20:21], v[20:21], v[16:17]
	ds_load_b128 v[2:5], v1 offset:1728
	ds_load_b128 v[14:17], v1 offset:1744
	v_fma_f64 v[12:13], v[12:13], v[38:39], v[22:23]
	v_fma_f64 v[10:11], v[10:11], v[38:39], -v[24:25]
	s_wait_loadcnt_dscnt 0x1
	v_mul_f64_e32 v[30:31], v[2:3], v[163:164]
	v_mul_f64_e32 v[32:33], v[4:5], v[163:164]
	s_wait_dscnt 0x0
	v_mul_f64_e32 v[22:23], v[14:15], v[8:9]
	v_mul_f64_e32 v[8:9], v[16:17], v[8:9]
	v_add_f64_e32 v[18:19], v[18:19], v[28:29]
	v_add_f64_e32 v[20:21], v[20:21], v[26:27]
	v_fma_f64 v[4:5], v[4:5], v[161:162], v[30:31]
	v_fma_f64 v[1:2], v[2:3], v[161:162], -v[32:33]
	v_fma_f64 v[16:17], v[16:17], v[6:7], v[22:23]
	v_fma_f64 v[6:7], v[14:15], v[6:7], -v[8:9]
	v_add_f64_e32 v[10:11], v[18:19], v[10:11]
	v_add_f64_e32 v[12:13], v[20:21], v[12:13]
	s_delay_alu instid0(VALU_DEP_2) | instskip(NEXT) | instid1(VALU_DEP_2)
	v_add_f64_e32 v[1:2], v[10:11], v[1:2]
	v_add_f64_e32 v[3:4], v[12:13], v[4:5]
	s_delay_alu instid0(VALU_DEP_2) | instskip(NEXT) | instid1(VALU_DEP_2)
	;; [unrolled: 3-line block ×3, first 2 shown]
	v_add_f64_e64 v[1:2], v[157:158], -v[1:2]
	v_add_f64_e64 v[3:4], v[159:160], -v[3:4]
	scratch_store_b128 off, v[1:4], off offset:368
	v_cmpx_lt_u32_e32 21, v0
	s_cbranch_execz .LBB118_301
; %bb.300:
	scratch_load_b128 v[1:4], off, s47
	v_mov_b32_e32 v5, 0
	s_delay_alu instid0(VALU_DEP_1)
	v_dual_mov_b32 v6, v5 :: v_dual_mov_b32 v7, v5
	v_mov_b32_e32 v8, v5
	scratch_store_b128 off, v[5:8], off offset:352
	s_wait_loadcnt 0x0
	ds_store_b128 v156, v[1:4]
.LBB118_301:
	s_wait_alu 0xfffe
	s_or_b32 exec_lo, exec_lo, s0
	s_wait_storecnt_dscnt 0x0
	s_barrier_signal -1
	s_barrier_wait -1
	global_inv scope:SCOPE_SE
	s_clause 0x7
	scratch_load_b128 v[2:5], off, off offset:368
	scratch_load_b128 v[6:9], off, off offset:384
	;; [unrolled: 1-line block ×8, first 2 shown]
	v_mov_b32_e32 v1, 0
	s_mov_b32 s0, exec_lo
	ds_load_b128 v[34:37], v1 offset:1232
	s_clause 0x1
	scratch_load_b128 v[38:41], off, off offset:496
	scratch_load_b128 v[42:45], off, off offset:352
	ds_load_b128 v[157:160], v1 offset:1248
	scratch_load_b128 v[161:164], off, off offset:512
	s_wait_loadcnt_dscnt 0xa01
	v_mul_f64_e32 v[165:166], v[36:37], v[4:5]
	v_mul_f64_e32 v[4:5], v[34:35], v[4:5]
	s_delay_alu instid0(VALU_DEP_2) | instskip(NEXT) | instid1(VALU_DEP_2)
	v_fma_f64 v[171:172], v[34:35], v[2:3], -v[165:166]
	v_fma_f64 v[173:174], v[36:37], v[2:3], v[4:5]
	ds_load_b128 v[2:5], v1 offset:1264
	s_wait_loadcnt_dscnt 0x901
	v_mul_f64_e32 v[169:170], v[157:158], v[8:9]
	v_mul_f64_e32 v[8:9], v[159:160], v[8:9]
	scratch_load_b128 v[34:37], off, off offset:528
	ds_load_b128 v[165:168], v1 offset:1280
	s_wait_loadcnt_dscnt 0x901
	v_mul_f64_e32 v[175:176], v[2:3], v[12:13]
	v_mul_f64_e32 v[12:13], v[4:5], v[12:13]
	v_fma_f64 v[159:160], v[159:160], v[6:7], v[169:170]
	v_fma_f64 v[157:158], v[157:158], v[6:7], -v[8:9]
	v_add_f64_e32 v[169:170], 0, v[171:172]
	v_add_f64_e32 v[171:172], 0, v[173:174]
	scratch_load_b128 v[6:9], off, off offset:544
	v_fma_f64 v[175:176], v[4:5], v[10:11], v[175:176]
	v_fma_f64 v[177:178], v[2:3], v[10:11], -v[12:13]
	ds_load_b128 v[2:5], v1 offset:1296
	s_wait_loadcnt_dscnt 0x901
	v_mul_f64_e32 v[173:174], v[165:166], v[16:17]
	v_mul_f64_e32 v[16:17], v[167:168], v[16:17]
	scratch_load_b128 v[10:13], off, off offset:560
	v_add_f64_e32 v[169:170], v[169:170], v[157:158]
	v_add_f64_e32 v[171:172], v[171:172], v[159:160]
	s_wait_loadcnt_dscnt 0x900
	v_mul_f64_e32 v[179:180], v[2:3], v[20:21]
	v_mul_f64_e32 v[20:21], v[4:5], v[20:21]
	ds_load_b128 v[157:160], v1 offset:1312
	v_fma_f64 v[167:168], v[167:168], v[14:15], v[173:174]
	v_fma_f64 v[165:166], v[165:166], v[14:15], -v[16:17]
	scratch_load_b128 v[14:17], off, off offset:576
	v_add_f64_e32 v[169:170], v[169:170], v[177:178]
	v_add_f64_e32 v[171:172], v[171:172], v[175:176]
	v_fma_f64 v[175:176], v[4:5], v[18:19], v[179:180]
	v_fma_f64 v[177:178], v[2:3], v[18:19], -v[20:21]
	ds_load_b128 v[2:5], v1 offset:1328
	s_wait_loadcnt_dscnt 0x901
	v_mul_f64_e32 v[173:174], v[157:158], v[24:25]
	v_mul_f64_e32 v[24:25], v[159:160], v[24:25]
	scratch_load_b128 v[18:21], off, off offset:592
	s_wait_loadcnt_dscnt 0x900
	v_mul_f64_e32 v[179:180], v[2:3], v[28:29]
	v_mul_f64_e32 v[28:29], v[4:5], v[28:29]
	v_add_f64_e32 v[169:170], v[169:170], v[165:166]
	v_add_f64_e32 v[171:172], v[171:172], v[167:168]
	ds_load_b128 v[165:168], v1 offset:1344
	v_fma_f64 v[159:160], v[159:160], v[22:23], v[173:174]
	v_fma_f64 v[157:158], v[157:158], v[22:23], -v[24:25]
	scratch_load_b128 v[22:25], off, off offset:608
	v_add_f64_e32 v[169:170], v[169:170], v[177:178]
	v_add_f64_e32 v[171:172], v[171:172], v[175:176]
	v_fma_f64 v[175:176], v[4:5], v[26:27], v[179:180]
	v_fma_f64 v[177:178], v[2:3], v[26:27], -v[28:29]
	ds_load_b128 v[2:5], v1 offset:1360
	s_wait_loadcnt_dscnt 0x901
	v_mul_f64_e32 v[173:174], v[165:166], v[32:33]
	v_mul_f64_e32 v[32:33], v[167:168], v[32:33]
	scratch_load_b128 v[26:29], off, off offset:624
	s_wait_loadcnt_dscnt 0x900
	v_mul_f64_e32 v[179:180], v[2:3], v[40:41]
	v_mul_f64_e32 v[40:41], v[4:5], v[40:41]
	v_add_f64_e32 v[169:170], v[169:170], v[157:158]
	v_add_f64_e32 v[171:172], v[171:172], v[159:160]
	ds_load_b128 v[157:160], v1 offset:1376
	v_fma_f64 v[167:168], v[167:168], v[30:31], v[173:174]
	v_fma_f64 v[165:166], v[165:166], v[30:31], -v[32:33]
	scratch_load_b128 v[30:33], off, off offset:640
	v_add_f64_e32 v[169:170], v[169:170], v[177:178]
	v_add_f64_e32 v[171:172], v[171:172], v[175:176]
	v_fma_f64 v[177:178], v[4:5], v[38:39], v[179:180]
	v_fma_f64 v[179:180], v[2:3], v[38:39], -v[40:41]
	ds_load_b128 v[2:5], v1 offset:1392
	s_wait_loadcnt_dscnt 0x801
	v_mul_f64_e32 v[173:174], v[157:158], v[163:164]
	v_mul_f64_e32 v[175:176], v[159:160], v[163:164]
	scratch_load_b128 v[38:41], off, off offset:656
	v_add_f64_e32 v[169:170], v[169:170], v[165:166]
	v_add_f64_e32 v[167:168], v[171:172], v[167:168]
	ds_load_b128 v[163:166], v1 offset:1408
	v_fma_f64 v[173:174], v[159:160], v[161:162], v[173:174]
	v_fma_f64 v[161:162], v[157:158], v[161:162], -v[175:176]
	scratch_load_b128 v[157:160], off, off offset:672
	s_wait_loadcnt_dscnt 0x901
	v_mul_f64_e32 v[171:172], v[2:3], v[36:37]
	v_mul_f64_e32 v[36:37], v[4:5], v[36:37]
	v_add_f64_e32 v[169:170], v[169:170], v[179:180]
	v_add_f64_e32 v[167:168], v[167:168], v[177:178]
	s_delay_alu instid0(VALU_DEP_4) | instskip(NEXT) | instid1(VALU_DEP_4)
	v_fma_f64 v[171:172], v[4:5], v[34:35], v[171:172]
	v_fma_f64 v[177:178], v[2:3], v[34:35], -v[36:37]
	ds_load_b128 v[2:5], v1 offset:1424
	s_wait_loadcnt_dscnt 0x801
	v_mul_f64_e32 v[175:176], v[163:164], v[8:9]
	v_mul_f64_e32 v[8:9], v[165:166], v[8:9]
	scratch_load_b128 v[34:37], off, off offset:688
	s_wait_loadcnt_dscnt 0x800
	v_mul_f64_e32 v[179:180], v[2:3], v[12:13]
	v_add_f64_e32 v[161:162], v[169:170], v[161:162]
	v_add_f64_e32 v[173:174], v[167:168], v[173:174]
	v_mul_f64_e32 v[12:13], v[4:5], v[12:13]
	ds_load_b128 v[167:170], v1 offset:1440
	v_fma_f64 v[165:166], v[165:166], v[6:7], v[175:176]
	v_fma_f64 v[163:164], v[163:164], v[6:7], -v[8:9]
	scratch_load_b128 v[6:9], off, off offset:704
	v_fma_f64 v[175:176], v[4:5], v[10:11], v[179:180]
	v_add_f64_e32 v[161:162], v[161:162], v[177:178]
	v_add_f64_e32 v[171:172], v[173:174], v[171:172]
	v_fma_f64 v[177:178], v[2:3], v[10:11], -v[12:13]
	ds_load_b128 v[2:5], v1 offset:1456
	s_wait_loadcnt_dscnt 0x801
	v_mul_f64_e32 v[173:174], v[167:168], v[16:17]
	v_mul_f64_e32 v[16:17], v[169:170], v[16:17]
	scratch_load_b128 v[10:13], off, off offset:720
	v_add_f64_e32 v[179:180], v[161:162], v[163:164]
	v_add_f64_e32 v[165:166], v[171:172], v[165:166]
	s_wait_loadcnt_dscnt 0x800
	v_mul_f64_e32 v[171:172], v[2:3], v[20:21]
	v_mul_f64_e32 v[20:21], v[4:5], v[20:21]
	v_fma_f64 v[169:170], v[169:170], v[14:15], v[173:174]
	v_fma_f64 v[167:168], v[167:168], v[14:15], -v[16:17]
	ds_load_b128 v[161:164], v1 offset:1472
	scratch_load_b128 v[14:17], off, off offset:736
	v_add_f64_e32 v[173:174], v[179:180], v[177:178]
	v_add_f64_e32 v[165:166], v[165:166], v[175:176]
	v_fma_f64 v[171:172], v[4:5], v[18:19], v[171:172]
	v_fma_f64 v[177:178], v[2:3], v[18:19], -v[20:21]
	ds_load_b128 v[2:5], v1 offset:1488
	s_wait_loadcnt_dscnt 0x801
	v_mul_f64_e32 v[175:176], v[161:162], v[24:25]
	v_mul_f64_e32 v[24:25], v[163:164], v[24:25]
	scratch_load_b128 v[18:21], off, off offset:752
	s_wait_loadcnt_dscnt 0x800
	v_mul_f64_e32 v[179:180], v[2:3], v[28:29]
	v_mul_f64_e32 v[28:29], v[4:5], v[28:29]
	v_add_f64_e32 v[173:174], v[173:174], v[167:168]
	v_add_f64_e32 v[169:170], v[165:166], v[169:170]
	ds_load_b128 v[165:168], v1 offset:1504
	v_fma_f64 v[163:164], v[163:164], v[22:23], v[175:176]
	v_fma_f64 v[161:162], v[161:162], v[22:23], -v[24:25]
	scratch_load_b128 v[22:25], off, off offset:768
	v_fma_f64 v[175:176], v[4:5], v[26:27], v[179:180]
	v_add_f64_e32 v[173:174], v[173:174], v[177:178]
	v_add_f64_e32 v[169:170], v[169:170], v[171:172]
	v_fma_f64 v[177:178], v[2:3], v[26:27], -v[28:29]
	ds_load_b128 v[2:5], v1 offset:1520
	s_wait_loadcnt_dscnt 0x801
	v_mul_f64_e32 v[171:172], v[165:166], v[32:33]
	v_mul_f64_e32 v[32:33], v[167:168], v[32:33]
	scratch_load_b128 v[26:29], off, off offset:784
	s_wait_loadcnt_dscnt 0x800
	v_mul_f64_e32 v[179:180], v[2:3], v[40:41]
	v_mul_f64_e32 v[40:41], v[4:5], v[40:41]
	v_add_f64_e32 v[173:174], v[173:174], v[161:162]
	v_add_f64_e32 v[169:170], v[169:170], v[163:164]
	ds_load_b128 v[161:164], v1 offset:1536
	v_fma_f64 v[167:168], v[167:168], v[30:31], v[171:172]
	v_fma_f64 v[165:166], v[165:166], v[30:31], -v[32:33]
	scratch_load_b128 v[30:33], off, off offset:800
	v_add_f64_e32 v[171:172], v[173:174], v[177:178]
	v_add_f64_e32 v[169:170], v[169:170], v[175:176]
	v_fma_f64 v[175:176], v[4:5], v[38:39], v[179:180]
	v_fma_f64 v[177:178], v[2:3], v[38:39], -v[40:41]
	ds_load_b128 v[2:5], v1 offset:1552
	s_wait_loadcnt_dscnt 0x801
	v_mul_f64_e32 v[173:174], v[161:162], v[159:160]
	v_mul_f64_e32 v[159:160], v[163:164], v[159:160]
	scratch_load_b128 v[38:41], off, off offset:816
	s_wait_loadcnt_dscnt 0x800
	v_mul_f64_e32 v[179:180], v[2:3], v[36:37]
	v_mul_f64_e32 v[36:37], v[4:5], v[36:37]
	v_add_f64_e32 v[171:172], v[171:172], v[165:166]
	v_add_f64_e32 v[169:170], v[169:170], v[167:168]
	ds_load_b128 v[165:168], v1 offset:1568
	v_fma_f64 v[163:164], v[163:164], v[157:158], v[173:174]
	v_fma_f64 v[161:162], v[161:162], v[157:158], -v[159:160]
	scratch_load_b128 v[157:160], off, off offset:832
	v_add_f64_e32 v[171:172], v[171:172], v[177:178]
	v_add_f64_e32 v[169:170], v[169:170], v[175:176]
	v_fma_f64 v[175:176], v[4:5], v[34:35], v[179:180]
	;; [unrolled: 18-line block ×3, first 2 shown]
	v_fma_f64 v[177:178], v[2:3], v[10:11], -v[12:13]
	ds_load_b128 v[2:5], v1 offset:1616
	s_wait_loadcnt_dscnt 0x801
	v_mul_f64_e32 v[173:174], v[161:162], v[16:17]
	v_mul_f64_e32 v[16:17], v[163:164], v[16:17]
	scratch_load_b128 v[10:13], off, off offset:880
	s_wait_loadcnt_dscnt 0x800
	v_mul_f64_e32 v[179:180], v[2:3], v[20:21]
	v_mul_f64_e32 v[20:21], v[4:5], v[20:21]
	v_add_f64_e32 v[171:172], v[171:172], v[165:166]
	v_add_f64_e32 v[169:170], v[169:170], v[167:168]
	ds_load_b128 v[165:168], v1 offset:1632
	v_fma_f64 v[163:164], v[163:164], v[14:15], v[173:174]
	v_fma_f64 v[14:15], v[161:162], v[14:15], -v[16:17]
	v_add_f64_e32 v[16:17], v[171:172], v[177:178]
	v_add_f64_e32 v[161:162], v[169:170], v[175:176]
	s_wait_loadcnt_dscnt 0x700
	v_mul_f64_e32 v[169:170], v[165:166], v[24:25]
	v_mul_f64_e32 v[24:25], v[167:168], v[24:25]
	v_fma_f64 v[171:172], v[4:5], v[18:19], v[179:180]
	v_fma_f64 v[18:19], v[2:3], v[18:19], -v[20:21]
	v_add_f64_e32 v[20:21], v[16:17], v[14:15]
	v_add_f64_e32 v[161:162], v[161:162], v[163:164]
	ds_load_b128 v[2:5], v1 offset:1648
	ds_load_b128 v[14:17], v1 offset:1664
	v_fma_f64 v[167:168], v[167:168], v[22:23], v[169:170]
	v_fma_f64 v[22:23], v[165:166], v[22:23], -v[24:25]
	s_wait_loadcnt_dscnt 0x601
	v_mul_f64_e32 v[163:164], v[2:3], v[28:29]
	v_mul_f64_e32 v[28:29], v[4:5], v[28:29]
	s_wait_loadcnt_dscnt 0x500
	v_mul_f64_e32 v[24:25], v[14:15], v[32:33]
	v_mul_f64_e32 v[32:33], v[16:17], v[32:33]
	v_add_f64_e32 v[18:19], v[20:21], v[18:19]
	v_add_f64_e32 v[20:21], v[161:162], v[171:172]
	v_fma_f64 v[161:162], v[4:5], v[26:27], v[163:164]
	v_fma_f64 v[26:27], v[2:3], v[26:27], -v[28:29]
	v_fma_f64 v[16:17], v[16:17], v[30:31], v[24:25]
	v_fma_f64 v[14:15], v[14:15], v[30:31], -v[32:33]
	v_add_f64_e32 v[22:23], v[18:19], v[22:23]
	v_add_f64_e32 v[28:29], v[20:21], v[167:168]
	ds_load_b128 v[2:5], v1 offset:1680
	ds_load_b128 v[18:21], v1 offset:1696
	s_wait_loadcnt_dscnt 0x401
	v_mul_f64_e32 v[163:164], v[2:3], v[40:41]
	v_mul_f64_e32 v[40:41], v[4:5], v[40:41]
	v_add_f64_e32 v[22:23], v[22:23], v[26:27]
	v_add_f64_e32 v[24:25], v[28:29], v[161:162]
	s_wait_loadcnt_dscnt 0x300
	v_mul_f64_e32 v[26:27], v[18:19], v[159:160]
	v_mul_f64_e32 v[28:29], v[20:21], v[159:160]
	v_fma_f64 v[30:31], v[4:5], v[38:39], v[163:164]
	v_fma_f64 v[32:33], v[2:3], v[38:39], -v[40:41]
	v_add_f64_e32 v[22:23], v[22:23], v[14:15]
	v_add_f64_e32 v[24:25], v[24:25], v[16:17]
	ds_load_b128 v[2:5], v1 offset:1712
	ds_load_b128 v[14:17], v1 offset:1728
	v_fma_f64 v[20:21], v[20:21], v[157:158], v[26:27]
	v_fma_f64 v[18:19], v[18:19], v[157:158], -v[28:29]
	s_wait_loadcnt_dscnt 0x201
	v_mul_f64_e32 v[38:39], v[2:3], v[36:37]
	v_mul_f64_e32 v[36:37], v[4:5], v[36:37]
	s_wait_loadcnt_dscnt 0x100
	v_mul_f64_e32 v[26:27], v[14:15], v[8:9]
	v_mul_f64_e32 v[8:9], v[16:17], v[8:9]
	v_add_f64_e32 v[22:23], v[22:23], v[32:33]
	v_add_f64_e32 v[24:25], v[24:25], v[30:31]
	v_fma_f64 v[28:29], v[4:5], v[34:35], v[38:39]
	v_fma_f64 v[30:31], v[2:3], v[34:35], -v[36:37]
	ds_load_b128 v[2:5], v1 offset:1744
	v_fma_f64 v[16:17], v[16:17], v[6:7], v[26:27]
	v_fma_f64 v[6:7], v[14:15], v[6:7], -v[8:9]
	v_add_f64_e32 v[18:19], v[22:23], v[18:19]
	v_add_f64_e32 v[20:21], v[24:25], v[20:21]
	s_wait_loadcnt_dscnt 0x0
	v_mul_f64_e32 v[22:23], v[2:3], v[12:13]
	v_mul_f64_e32 v[12:13], v[4:5], v[12:13]
	s_delay_alu instid0(VALU_DEP_4) | instskip(NEXT) | instid1(VALU_DEP_4)
	v_add_f64_e32 v[8:9], v[18:19], v[30:31]
	v_add_f64_e32 v[14:15], v[20:21], v[28:29]
	s_delay_alu instid0(VALU_DEP_4) | instskip(NEXT) | instid1(VALU_DEP_4)
	v_fma_f64 v[4:5], v[4:5], v[10:11], v[22:23]
	v_fma_f64 v[2:3], v[2:3], v[10:11], -v[12:13]
	s_delay_alu instid0(VALU_DEP_4) | instskip(NEXT) | instid1(VALU_DEP_4)
	v_add_f64_e32 v[6:7], v[8:9], v[6:7]
	v_add_f64_e32 v[8:9], v[14:15], v[16:17]
	s_delay_alu instid0(VALU_DEP_2) | instskip(NEXT) | instid1(VALU_DEP_2)
	v_add_f64_e32 v[2:3], v[6:7], v[2:3]
	v_add_f64_e32 v[4:5], v[8:9], v[4:5]
	s_delay_alu instid0(VALU_DEP_2) | instskip(NEXT) | instid1(VALU_DEP_2)
	v_add_f64_e64 v[2:3], v[42:43], -v[2:3]
	v_add_f64_e64 v[4:5], v[44:45], -v[4:5]
	scratch_store_b128 off, v[2:5], off offset:352
	v_cmpx_lt_u32_e32 20, v0
	s_cbranch_execz .LBB118_303
; %bb.302:
	scratch_load_b128 v[5:8], off, s48
	v_dual_mov_b32 v2, v1 :: v_dual_mov_b32 v3, v1
	v_mov_b32_e32 v4, v1
	scratch_store_b128 off, v[1:4], off offset:336
	s_wait_loadcnt 0x0
	ds_store_b128 v156, v[5:8]
.LBB118_303:
	s_wait_alu 0xfffe
	s_or_b32 exec_lo, exec_lo, s0
	s_wait_storecnt_dscnt 0x0
	s_barrier_signal -1
	s_barrier_wait -1
	global_inv scope:SCOPE_SE
	s_clause 0x8
	scratch_load_b128 v[2:5], off, off offset:352
	scratch_load_b128 v[6:9], off, off offset:368
	;; [unrolled: 1-line block ×9, first 2 shown]
	ds_load_b128 v[38:41], v1 offset:1216
	ds_load_b128 v[42:45], v1 offset:1232
	s_clause 0x1
	scratch_load_b128 v[157:160], off, off offset:336
	scratch_load_b128 v[161:164], off, off offset:496
	s_mov_b32 s0, exec_lo
	s_wait_loadcnt_dscnt 0xa01
	v_mul_f64_e32 v[165:166], v[40:41], v[4:5]
	v_mul_f64_e32 v[4:5], v[38:39], v[4:5]
	s_wait_loadcnt_dscnt 0x900
	v_mul_f64_e32 v[169:170], v[42:43], v[8:9]
	v_mul_f64_e32 v[8:9], v[44:45], v[8:9]
	s_delay_alu instid0(VALU_DEP_4) | instskip(NEXT) | instid1(VALU_DEP_4)
	v_fma_f64 v[171:172], v[38:39], v[2:3], -v[165:166]
	v_fma_f64 v[173:174], v[40:41], v[2:3], v[4:5]
	ds_load_b128 v[2:5], v1 offset:1248
	ds_load_b128 v[165:168], v1 offset:1264
	scratch_load_b128 v[38:41], off, off offset:512
	v_fma_f64 v[44:45], v[44:45], v[6:7], v[169:170]
	v_fma_f64 v[42:43], v[42:43], v[6:7], -v[8:9]
	scratch_load_b128 v[6:9], off, off offset:528
	s_wait_loadcnt_dscnt 0xa01
	v_mul_f64_e32 v[175:176], v[2:3], v[12:13]
	v_mul_f64_e32 v[12:13], v[4:5], v[12:13]
	v_add_f64_e32 v[169:170], 0, v[171:172]
	v_add_f64_e32 v[171:172], 0, v[173:174]
	s_wait_loadcnt_dscnt 0x900
	v_mul_f64_e32 v[173:174], v[165:166], v[16:17]
	v_mul_f64_e32 v[16:17], v[167:168], v[16:17]
	v_fma_f64 v[175:176], v[4:5], v[10:11], v[175:176]
	v_fma_f64 v[177:178], v[2:3], v[10:11], -v[12:13]
	ds_load_b128 v[2:5], v1 offset:1280
	scratch_load_b128 v[10:13], off, off offset:544
	v_add_f64_e32 v[169:170], v[169:170], v[42:43]
	v_add_f64_e32 v[171:172], v[171:172], v[44:45]
	ds_load_b128 v[42:45], v1 offset:1296
	v_fma_f64 v[167:168], v[167:168], v[14:15], v[173:174]
	v_fma_f64 v[165:166], v[165:166], v[14:15], -v[16:17]
	scratch_load_b128 v[14:17], off, off offset:560
	s_wait_loadcnt_dscnt 0xa01
	v_mul_f64_e32 v[179:180], v[2:3], v[20:21]
	v_mul_f64_e32 v[20:21], v[4:5], v[20:21]
	s_wait_loadcnt_dscnt 0x900
	v_mul_f64_e32 v[173:174], v[42:43], v[24:25]
	v_mul_f64_e32 v[24:25], v[44:45], v[24:25]
	v_add_f64_e32 v[169:170], v[169:170], v[177:178]
	v_add_f64_e32 v[171:172], v[171:172], v[175:176]
	v_fma_f64 v[175:176], v[4:5], v[18:19], v[179:180]
	v_fma_f64 v[177:178], v[2:3], v[18:19], -v[20:21]
	ds_load_b128 v[2:5], v1 offset:1312
	scratch_load_b128 v[18:21], off, off offset:576
	v_fma_f64 v[44:45], v[44:45], v[22:23], v[173:174]
	v_fma_f64 v[42:43], v[42:43], v[22:23], -v[24:25]
	scratch_load_b128 v[22:25], off, off offset:592
	v_add_f64_e32 v[169:170], v[169:170], v[165:166]
	v_add_f64_e32 v[171:172], v[171:172], v[167:168]
	ds_load_b128 v[165:168], v1 offset:1328
	s_wait_loadcnt_dscnt 0xa01
	v_mul_f64_e32 v[179:180], v[2:3], v[28:29]
	v_mul_f64_e32 v[28:29], v[4:5], v[28:29]
	s_wait_loadcnt_dscnt 0x900
	v_mul_f64_e32 v[173:174], v[165:166], v[32:33]
	v_mul_f64_e32 v[32:33], v[167:168], v[32:33]
	v_add_f64_e32 v[169:170], v[169:170], v[177:178]
	v_add_f64_e32 v[171:172], v[171:172], v[175:176]
	v_fma_f64 v[175:176], v[4:5], v[26:27], v[179:180]
	v_fma_f64 v[177:178], v[2:3], v[26:27], -v[28:29]
	ds_load_b128 v[2:5], v1 offset:1344
	scratch_load_b128 v[26:29], off, off offset:608
	v_fma_f64 v[167:168], v[167:168], v[30:31], v[173:174]
	v_fma_f64 v[165:166], v[165:166], v[30:31], -v[32:33]
	scratch_load_b128 v[30:33], off, off offset:624
	v_add_f64_e32 v[169:170], v[169:170], v[42:43]
	v_add_f64_e32 v[171:172], v[171:172], v[44:45]
	ds_load_b128 v[42:45], v1 offset:1360
	s_wait_loadcnt_dscnt 0xa01
	v_mul_f64_e32 v[179:180], v[2:3], v[36:37]
	v_mul_f64_e32 v[36:37], v[4:5], v[36:37]
	s_wait_loadcnt_dscnt 0x800
	v_mul_f64_e32 v[173:174], v[42:43], v[163:164]
	v_add_f64_e32 v[169:170], v[169:170], v[177:178]
	v_add_f64_e32 v[171:172], v[171:172], v[175:176]
	v_mul_f64_e32 v[175:176], v[44:45], v[163:164]
	v_fma_f64 v[177:178], v[4:5], v[34:35], v[179:180]
	v_fma_f64 v[179:180], v[2:3], v[34:35], -v[36:37]
	ds_load_b128 v[2:5], v1 offset:1376
	scratch_load_b128 v[34:37], off, off offset:640
	v_fma_f64 v[44:45], v[44:45], v[161:162], v[173:174]
	v_add_f64_e32 v[169:170], v[169:170], v[165:166]
	v_add_f64_e32 v[167:168], v[171:172], v[167:168]
	ds_load_b128 v[163:166], v1 offset:1392
	v_fma_f64 v[161:162], v[42:43], v[161:162], -v[175:176]
	s_wait_loadcnt_dscnt 0x801
	v_mul_f64_e32 v[171:172], v[2:3], v[40:41]
	v_mul_f64_e32 v[181:182], v[4:5], v[40:41]
	scratch_load_b128 v[40:43], off, off offset:656
	s_wait_loadcnt_dscnt 0x800
	v_mul_f64_e32 v[175:176], v[163:164], v[8:9]
	v_mul_f64_e32 v[8:9], v[165:166], v[8:9]
	v_add_f64_e32 v[169:170], v[169:170], v[179:180]
	v_add_f64_e32 v[167:168], v[167:168], v[177:178]
	v_fma_f64 v[177:178], v[4:5], v[38:39], v[171:172]
	v_fma_f64 v[38:39], v[2:3], v[38:39], -v[181:182]
	ds_load_b128 v[2:5], v1 offset:1408
	ds_load_b128 v[171:174], v1 offset:1424
	v_fma_f64 v[165:166], v[165:166], v[6:7], v[175:176]
	v_fma_f64 v[163:164], v[163:164], v[6:7], -v[8:9]
	scratch_load_b128 v[6:9], off, off offset:688
	v_add_f64_e32 v[161:162], v[169:170], v[161:162]
	v_add_f64_e32 v[44:45], v[167:168], v[44:45]
	scratch_load_b128 v[167:170], off, off offset:672
	s_wait_loadcnt_dscnt 0x901
	v_mul_f64_e32 v[179:180], v[2:3], v[12:13]
	v_mul_f64_e32 v[12:13], v[4:5], v[12:13]
	s_wait_loadcnt_dscnt 0x800
	v_mul_f64_e32 v[175:176], v[171:172], v[16:17]
	v_mul_f64_e32 v[16:17], v[173:174], v[16:17]
	v_add_f64_e32 v[38:39], v[161:162], v[38:39]
	v_add_f64_e32 v[44:45], v[44:45], v[177:178]
	v_fma_f64 v[177:178], v[4:5], v[10:11], v[179:180]
	v_fma_f64 v[179:180], v[2:3], v[10:11], -v[12:13]
	ds_load_b128 v[2:5], v1 offset:1440
	scratch_load_b128 v[10:13], off, off offset:704
	v_fma_f64 v[173:174], v[173:174], v[14:15], v[175:176]
	v_fma_f64 v[171:172], v[171:172], v[14:15], -v[16:17]
	scratch_load_b128 v[14:17], off, off offset:720
	v_add_f64_e32 v[38:39], v[38:39], v[163:164]
	v_add_f64_e32 v[44:45], v[44:45], v[165:166]
	ds_load_b128 v[161:164], v1 offset:1456
	s_wait_loadcnt_dscnt 0x901
	v_mul_f64_e32 v[165:166], v[2:3], v[20:21]
	v_mul_f64_e32 v[20:21], v[4:5], v[20:21]
	s_wait_loadcnt_dscnt 0x800
	v_mul_f64_e32 v[175:176], v[161:162], v[24:25]
	v_mul_f64_e32 v[24:25], v[163:164], v[24:25]
	v_add_f64_e32 v[38:39], v[38:39], v[179:180]
	v_add_f64_e32 v[44:45], v[44:45], v[177:178]
	v_fma_f64 v[165:166], v[4:5], v[18:19], v[165:166]
	v_fma_f64 v[177:178], v[2:3], v[18:19], -v[20:21]
	ds_load_b128 v[2:5], v1 offset:1472
	scratch_load_b128 v[18:21], off, off offset:736
	v_fma_f64 v[163:164], v[163:164], v[22:23], v[175:176]
	v_fma_f64 v[161:162], v[161:162], v[22:23], -v[24:25]
	scratch_load_b128 v[22:25], off, off offset:752
	v_add_f64_e32 v[38:39], v[38:39], v[171:172]
	v_add_f64_e32 v[44:45], v[44:45], v[173:174]
	ds_load_b128 v[171:174], v1 offset:1488
	s_wait_loadcnt_dscnt 0x901
	v_mul_f64_e32 v[179:180], v[2:3], v[28:29]
	v_mul_f64_e32 v[28:29], v[4:5], v[28:29]
	v_add_f64_e32 v[38:39], v[38:39], v[177:178]
	v_add_f64_e32 v[44:45], v[44:45], v[165:166]
	s_wait_loadcnt_dscnt 0x800
	v_mul_f64_e32 v[165:166], v[171:172], v[32:33]
	v_mul_f64_e32 v[32:33], v[173:174], v[32:33]
	v_fma_f64 v[175:176], v[4:5], v[26:27], v[179:180]
	v_fma_f64 v[177:178], v[2:3], v[26:27], -v[28:29]
	ds_load_b128 v[2:5], v1 offset:1504
	scratch_load_b128 v[26:29], off, off offset:768
	v_add_f64_e32 v[38:39], v[38:39], v[161:162]
	v_add_f64_e32 v[44:45], v[44:45], v[163:164]
	ds_load_b128 v[161:164], v1 offset:1520
	s_wait_loadcnt_dscnt 0x801
	v_mul_f64_e32 v[179:180], v[2:3], v[36:37]
	v_mul_f64_e32 v[36:37], v[4:5], v[36:37]
	v_fma_f64 v[165:166], v[173:174], v[30:31], v[165:166]
	v_fma_f64 v[171:172], v[171:172], v[30:31], -v[32:33]
	scratch_load_b128 v[30:33], off, off offset:784
	s_wait_loadcnt_dscnt 0x800
	v_mul_f64_e32 v[173:174], v[161:162], v[42:43]
	v_add_f64_e32 v[38:39], v[38:39], v[177:178]
	v_add_f64_e32 v[44:45], v[44:45], v[175:176]
	v_mul_f64_e32 v[175:176], v[163:164], v[42:43]
	v_fma_f64 v[177:178], v[4:5], v[34:35], v[179:180]
	v_fma_f64 v[179:180], v[2:3], v[34:35], -v[36:37]
	ds_load_b128 v[2:5], v1 offset:1536
	scratch_load_b128 v[34:37], off, off offset:800
	v_fma_f64 v[163:164], v[163:164], v[40:41], v[173:174]
	v_add_f64_e32 v[38:39], v[38:39], v[171:172]
	v_add_f64_e32 v[165:166], v[44:45], v[165:166]
	ds_load_b128 v[42:45], v1 offset:1552
	v_fma_f64 v[161:162], v[161:162], v[40:41], -v[175:176]
	s_wait_loadcnt_dscnt 0x701
	v_mul_f64_e32 v[171:172], v[2:3], v[169:170]
	v_mul_f64_e32 v[169:170], v[4:5], v[169:170]
	s_wait_dscnt 0x0
	v_mul_f64_e32 v[175:176], v[42:43], v[8:9]
	v_mul_f64_e32 v[8:9], v[44:45], v[8:9]
	v_add_f64_e32 v[173:174], v[38:39], v[179:180]
	v_add_f64_e32 v[165:166], v[165:166], v[177:178]
	scratch_load_b128 v[38:41], off, off offset:816
	v_fma_f64 v[171:172], v[4:5], v[167:168], v[171:172]
	v_fma_f64 v[169:170], v[2:3], v[167:168], -v[169:170]
	ds_load_b128 v[2:5], v1 offset:1568
	v_fma_f64 v[44:45], v[44:45], v[6:7], v[175:176]
	v_fma_f64 v[42:43], v[42:43], v[6:7], -v[8:9]
	scratch_load_b128 v[6:9], off, off offset:848
	v_add_f64_e32 v[173:174], v[173:174], v[161:162]
	v_add_f64_e32 v[177:178], v[165:166], v[163:164]
	scratch_load_b128 v[161:164], off, off offset:832
	ds_load_b128 v[165:168], v1 offset:1584
	s_wait_loadcnt_dscnt 0x901
	v_mul_f64_e32 v[179:180], v[2:3], v[12:13]
	v_mul_f64_e32 v[12:13], v[4:5], v[12:13]
	v_add_f64_e32 v[169:170], v[173:174], v[169:170]
	v_add_f64_e32 v[171:172], v[177:178], v[171:172]
	s_wait_loadcnt_dscnt 0x800
	v_mul_f64_e32 v[173:174], v[165:166], v[16:17]
	v_mul_f64_e32 v[16:17], v[167:168], v[16:17]
	v_fma_f64 v[175:176], v[4:5], v[10:11], v[179:180]
	v_fma_f64 v[177:178], v[2:3], v[10:11], -v[12:13]
	ds_load_b128 v[2:5], v1 offset:1600
	scratch_load_b128 v[10:13], off, off offset:864
	v_add_f64_e32 v[169:170], v[169:170], v[42:43]
	v_add_f64_e32 v[171:172], v[171:172], v[44:45]
	ds_load_b128 v[42:45], v1 offset:1616
	s_wait_loadcnt_dscnt 0x801
	v_mul_f64_e32 v[179:180], v[2:3], v[20:21]
	v_mul_f64_e32 v[20:21], v[4:5], v[20:21]
	v_fma_f64 v[167:168], v[167:168], v[14:15], v[173:174]
	v_fma_f64 v[165:166], v[165:166], v[14:15], -v[16:17]
	scratch_load_b128 v[14:17], off, off offset:880
	s_wait_loadcnt_dscnt 0x800
	v_mul_f64_e32 v[173:174], v[42:43], v[24:25]
	v_mul_f64_e32 v[24:25], v[44:45], v[24:25]
	v_add_f64_e32 v[169:170], v[169:170], v[177:178]
	v_add_f64_e32 v[171:172], v[171:172], v[175:176]
	v_fma_f64 v[175:176], v[4:5], v[18:19], v[179:180]
	v_fma_f64 v[177:178], v[2:3], v[18:19], -v[20:21]
	ds_load_b128 v[2:5], v1 offset:1632
	ds_load_b128 v[18:21], v1 offset:1648
	v_fma_f64 v[44:45], v[44:45], v[22:23], v[173:174]
	v_fma_f64 v[22:23], v[42:43], v[22:23], -v[24:25]
	v_add_f64_e32 v[165:166], v[169:170], v[165:166]
	v_add_f64_e32 v[167:168], v[171:172], v[167:168]
	s_wait_loadcnt_dscnt 0x701
	v_mul_f64_e32 v[169:170], v[2:3], v[28:29]
	v_mul_f64_e32 v[28:29], v[4:5], v[28:29]
	s_delay_alu instid0(VALU_DEP_4) | instskip(NEXT) | instid1(VALU_DEP_4)
	v_add_f64_e32 v[24:25], v[165:166], v[177:178]
	v_add_f64_e32 v[42:43], v[167:168], v[175:176]
	s_wait_loadcnt_dscnt 0x600
	v_mul_f64_e32 v[165:166], v[18:19], v[32:33]
	v_mul_f64_e32 v[32:33], v[20:21], v[32:33]
	v_fma_f64 v[167:168], v[4:5], v[26:27], v[169:170]
	v_fma_f64 v[26:27], v[2:3], v[26:27], -v[28:29]
	v_add_f64_e32 v[28:29], v[24:25], v[22:23]
	v_add_f64_e32 v[42:43], v[42:43], v[44:45]
	ds_load_b128 v[2:5], v1 offset:1664
	ds_load_b128 v[22:25], v1 offset:1680
	v_fma_f64 v[20:21], v[20:21], v[30:31], v[165:166]
	v_fma_f64 v[18:19], v[18:19], v[30:31], -v[32:33]
	s_wait_loadcnt_dscnt 0x501
	v_mul_f64_e32 v[44:45], v[2:3], v[36:37]
	v_mul_f64_e32 v[36:37], v[4:5], v[36:37]
	v_add_f64_e32 v[26:27], v[28:29], v[26:27]
	v_add_f64_e32 v[28:29], v[42:43], v[167:168]
	s_wait_loadcnt_dscnt 0x400
	v_mul_f64_e32 v[30:31], v[22:23], v[40:41]
	v_mul_f64_e32 v[32:33], v[24:25], v[40:41]
	v_fma_f64 v[40:41], v[4:5], v[34:35], v[44:45]
	v_fma_f64 v[34:35], v[2:3], v[34:35], -v[36:37]
	v_add_f64_e32 v[26:27], v[26:27], v[18:19]
	v_add_f64_e32 v[28:29], v[28:29], v[20:21]
	ds_load_b128 v[2:5], v1 offset:1696
	ds_load_b128 v[18:21], v1 offset:1712
	v_fma_f64 v[24:25], v[24:25], v[38:39], v[30:31]
	v_fma_f64 v[22:23], v[22:23], v[38:39], -v[32:33]
	s_wait_loadcnt_dscnt 0x201
	v_mul_f64_e32 v[36:37], v[2:3], v[163:164]
	v_mul_f64_e32 v[42:43], v[4:5], v[163:164]
	s_wait_dscnt 0x0
	v_mul_f64_e32 v[30:31], v[18:19], v[8:9]
	v_mul_f64_e32 v[8:9], v[20:21], v[8:9]
	v_add_f64_e32 v[26:27], v[26:27], v[34:35]
	v_add_f64_e32 v[28:29], v[28:29], v[40:41]
	v_fma_f64 v[32:33], v[4:5], v[161:162], v[36:37]
	v_fma_f64 v[34:35], v[2:3], v[161:162], -v[42:43]
	v_fma_f64 v[20:21], v[20:21], v[6:7], v[30:31]
	v_fma_f64 v[6:7], v[18:19], v[6:7], -v[8:9]
	v_add_f64_e32 v[26:27], v[26:27], v[22:23]
	v_add_f64_e32 v[28:29], v[28:29], v[24:25]
	ds_load_b128 v[2:5], v1 offset:1728
	ds_load_b128 v[22:25], v1 offset:1744
	s_wait_loadcnt_dscnt 0x101
	v_mul_f64_e32 v[36:37], v[2:3], v[12:13]
	v_mul_f64_e32 v[12:13], v[4:5], v[12:13]
	v_add_f64_e32 v[8:9], v[26:27], v[34:35]
	v_add_f64_e32 v[18:19], v[28:29], v[32:33]
	s_wait_loadcnt_dscnt 0x0
	v_mul_f64_e32 v[26:27], v[22:23], v[16:17]
	v_mul_f64_e32 v[16:17], v[24:25], v[16:17]
	v_fma_f64 v[4:5], v[4:5], v[10:11], v[36:37]
	v_fma_f64 v[1:2], v[2:3], v[10:11], -v[12:13]
	v_add_f64_e32 v[6:7], v[8:9], v[6:7]
	v_add_f64_e32 v[8:9], v[18:19], v[20:21]
	v_fma_f64 v[10:11], v[24:25], v[14:15], v[26:27]
	v_fma_f64 v[12:13], v[22:23], v[14:15], -v[16:17]
	s_delay_alu instid0(VALU_DEP_4) | instskip(NEXT) | instid1(VALU_DEP_4)
	v_add_f64_e32 v[1:2], v[6:7], v[1:2]
	v_add_f64_e32 v[3:4], v[8:9], v[4:5]
	s_delay_alu instid0(VALU_DEP_2) | instskip(NEXT) | instid1(VALU_DEP_2)
	v_add_f64_e32 v[1:2], v[1:2], v[12:13]
	v_add_f64_e32 v[3:4], v[3:4], v[10:11]
	s_delay_alu instid0(VALU_DEP_2) | instskip(NEXT) | instid1(VALU_DEP_2)
	v_add_f64_e64 v[1:2], v[157:158], -v[1:2]
	v_add_f64_e64 v[3:4], v[159:160], -v[3:4]
	scratch_store_b128 off, v[1:4], off offset:336
	v_cmpx_lt_u32_e32 19, v0
	s_cbranch_execz .LBB118_305
; %bb.304:
	scratch_load_b128 v[1:4], off, s49
	v_mov_b32_e32 v5, 0
	s_delay_alu instid0(VALU_DEP_1)
	v_dual_mov_b32 v6, v5 :: v_dual_mov_b32 v7, v5
	v_mov_b32_e32 v8, v5
	scratch_store_b128 off, v[5:8], off offset:320
	s_wait_loadcnt 0x0
	ds_store_b128 v156, v[1:4]
.LBB118_305:
	s_wait_alu 0xfffe
	s_or_b32 exec_lo, exec_lo, s0
	s_wait_storecnt_dscnt 0x0
	s_barrier_signal -1
	s_barrier_wait -1
	global_inv scope:SCOPE_SE
	s_clause 0x7
	scratch_load_b128 v[2:5], off, off offset:336
	scratch_load_b128 v[6:9], off, off offset:352
	;; [unrolled: 1-line block ×8, first 2 shown]
	v_mov_b32_e32 v1, 0
	s_mov_b32 s0, exec_lo
	ds_load_b128 v[38:41], v1 offset:1200
	s_clause 0x1
	scratch_load_b128 v[34:37], off, off offset:464
	scratch_load_b128 v[42:45], off, off offset:320
	ds_load_b128 v[157:160], v1 offset:1216
	scratch_load_b128 v[161:164], off, off offset:480
	s_wait_loadcnt_dscnt 0xa01
	v_mul_f64_e32 v[165:166], v[40:41], v[4:5]
	v_mul_f64_e32 v[4:5], v[38:39], v[4:5]
	s_delay_alu instid0(VALU_DEP_2) | instskip(NEXT) | instid1(VALU_DEP_2)
	v_fma_f64 v[171:172], v[38:39], v[2:3], -v[165:166]
	v_fma_f64 v[173:174], v[40:41], v[2:3], v[4:5]
	ds_load_b128 v[2:5], v1 offset:1232
	s_wait_loadcnt_dscnt 0x901
	v_mul_f64_e32 v[169:170], v[157:158], v[8:9]
	v_mul_f64_e32 v[8:9], v[159:160], v[8:9]
	scratch_load_b128 v[38:41], off, off offset:496
	ds_load_b128 v[165:168], v1 offset:1248
	s_wait_loadcnt_dscnt 0x901
	v_mul_f64_e32 v[175:176], v[2:3], v[12:13]
	v_mul_f64_e32 v[12:13], v[4:5], v[12:13]
	v_fma_f64 v[159:160], v[159:160], v[6:7], v[169:170]
	v_fma_f64 v[157:158], v[157:158], v[6:7], -v[8:9]
	v_add_f64_e32 v[169:170], 0, v[171:172]
	v_add_f64_e32 v[171:172], 0, v[173:174]
	scratch_load_b128 v[6:9], off, off offset:512
	v_fma_f64 v[175:176], v[4:5], v[10:11], v[175:176]
	v_fma_f64 v[177:178], v[2:3], v[10:11], -v[12:13]
	ds_load_b128 v[2:5], v1 offset:1264
	s_wait_loadcnt_dscnt 0x901
	v_mul_f64_e32 v[173:174], v[165:166], v[16:17]
	v_mul_f64_e32 v[16:17], v[167:168], v[16:17]
	scratch_load_b128 v[10:13], off, off offset:528
	v_add_f64_e32 v[169:170], v[169:170], v[157:158]
	v_add_f64_e32 v[171:172], v[171:172], v[159:160]
	s_wait_loadcnt_dscnt 0x900
	v_mul_f64_e32 v[179:180], v[2:3], v[20:21]
	v_mul_f64_e32 v[20:21], v[4:5], v[20:21]
	ds_load_b128 v[157:160], v1 offset:1280
	v_fma_f64 v[167:168], v[167:168], v[14:15], v[173:174]
	v_fma_f64 v[165:166], v[165:166], v[14:15], -v[16:17]
	scratch_load_b128 v[14:17], off, off offset:544
	v_add_f64_e32 v[169:170], v[169:170], v[177:178]
	v_add_f64_e32 v[171:172], v[171:172], v[175:176]
	v_fma_f64 v[175:176], v[4:5], v[18:19], v[179:180]
	v_fma_f64 v[177:178], v[2:3], v[18:19], -v[20:21]
	ds_load_b128 v[2:5], v1 offset:1296
	s_wait_loadcnt_dscnt 0x901
	v_mul_f64_e32 v[173:174], v[157:158], v[24:25]
	v_mul_f64_e32 v[24:25], v[159:160], v[24:25]
	scratch_load_b128 v[18:21], off, off offset:560
	s_wait_loadcnt_dscnt 0x900
	v_mul_f64_e32 v[179:180], v[2:3], v[28:29]
	v_mul_f64_e32 v[28:29], v[4:5], v[28:29]
	v_add_f64_e32 v[169:170], v[169:170], v[165:166]
	v_add_f64_e32 v[171:172], v[171:172], v[167:168]
	ds_load_b128 v[165:168], v1 offset:1312
	v_fma_f64 v[159:160], v[159:160], v[22:23], v[173:174]
	v_fma_f64 v[157:158], v[157:158], v[22:23], -v[24:25]
	scratch_load_b128 v[22:25], off, off offset:576
	v_add_f64_e32 v[169:170], v[169:170], v[177:178]
	v_add_f64_e32 v[171:172], v[171:172], v[175:176]
	v_fma_f64 v[175:176], v[4:5], v[26:27], v[179:180]
	v_fma_f64 v[177:178], v[2:3], v[26:27], -v[28:29]
	ds_load_b128 v[2:5], v1 offset:1328
	s_wait_loadcnt_dscnt 0x901
	v_mul_f64_e32 v[173:174], v[165:166], v[32:33]
	v_mul_f64_e32 v[32:33], v[167:168], v[32:33]
	scratch_load_b128 v[26:29], off, off offset:592
	s_wait_loadcnt_dscnt 0x900
	v_mul_f64_e32 v[179:180], v[2:3], v[36:37]
	v_mul_f64_e32 v[36:37], v[4:5], v[36:37]
	v_add_f64_e32 v[169:170], v[169:170], v[157:158]
	v_add_f64_e32 v[171:172], v[171:172], v[159:160]
	ds_load_b128 v[157:160], v1 offset:1344
	v_fma_f64 v[167:168], v[167:168], v[30:31], v[173:174]
	v_fma_f64 v[165:166], v[165:166], v[30:31], -v[32:33]
	scratch_load_b128 v[30:33], off, off offset:608
	v_add_f64_e32 v[169:170], v[169:170], v[177:178]
	v_add_f64_e32 v[171:172], v[171:172], v[175:176]
	v_fma_f64 v[177:178], v[4:5], v[34:35], v[179:180]
	v_fma_f64 v[179:180], v[2:3], v[34:35], -v[36:37]
	ds_load_b128 v[2:5], v1 offset:1360
	s_wait_loadcnt_dscnt 0x801
	v_mul_f64_e32 v[173:174], v[157:158], v[163:164]
	v_mul_f64_e32 v[175:176], v[159:160], v[163:164]
	scratch_load_b128 v[34:37], off, off offset:624
	v_add_f64_e32 v[169:170], v[169:170], v[165:166]
	v_add_f64_e32 v[167:168], v[171:172], v[167:168]
	ds_load_b128 v[163:166], v1 offset:1376
	v_fma_f64 v[173:174], v[159:160], v[161:162], v[173:174]
	v_fma_f64 v[161:162], v[157:158], v[161:162], -v[175:176]
	scratch_load_b128 v[157:160], off, off offset:640
	s_wait_loadcnt_dscnt 0x901
	v_mul_f64_e32 v[171:172], v[2:3], v[40:41]
	v_mul_f64_e32 v[40:41], v[4:5], v[40:41]
	v_add_f64_e32 v[169:170], v[169:170], v[179:180]
	v_add_f64_e32 v[167:168], v[167:168], v[177:178]
	s_delay_alu instid0(VALU_DEP_4) | instskip(NEXT) | instid1(VALU_DEP_4)
	v_fma_f64 v[171:172], v[4:5], v[38:39], v[171:172]
	v_fma_f64 v[177:178], v[2:3], v[38:39], -v[40:41]
	ds_load_b128 v[2:5], v1 offset:1392
	s_wait_loadcnt_dscnt 0x801
	v_mul_f64_e32 v[175:176], v[163:164], v[8:9]
	v_mul_f64_e32 v[8:9], v[165:166], v[8:9]
	scratch_load_b128 v[38:41], off, off offset:656
	s_wait_loadcnt_dscnt 0x800
	v_mul_f64_e32 v[179:180], v[2:3], v[12:13]
	v_add_f64_e32 v[161:162], v[169:170], v[161:162]
	v_add_f64_e32 v[173:174], v[167:168], v[173:174]
	v_mul_f64_e32 v[12:13], v[4:5], v[12:13]
	ds_load_b128 v[167:170], v1 offset:1408
	v_fma_f64 v[165:166], v[165:166], v[6:7], v[175:176]
	v_fma_f64 v[163:164], v[163:164], v[6:7], -v[8:9]
	scratch_load_b128 v[6:9], off, off offset:672
	v_fma_f64 v[175:176], v[4:5], v[10:11], v[179:180]
	v_add_f64_e32 v[161:162], v[161:162], v[177:178]
	v_add_f64_e32 v[171:172], v[173:174], v[171:172]
	v_fma_f64 v[177:178], v[2:3], v[10:11], -v[12:13]
	ds_load_b128 v[2:5], v1 offset:1424
	s_wait_loadcnt_dscnt 0x801
	v_mul_f64_e32 v[173:174], v[167:168], v[16:17]
	v_mul_f64_e32 v[16:17], v[169:170], v[16:17]
	scratch_load_b128 v[10:13], off, off offset:688
	v_add_f64_e32 v[179:180], v[161:162], v[163:164]
	v_add_f64_e32 v[165:166], v[171:172], v[165:166]
	s_wait_loadcnt_dscnt 0x800
	v_mul_f64_e32 v[171:172], v[2:3], v[20:21]
	v_mul_f64_e32 v[20:21], v[4:5], v[20:21]
	v_fma_f64 v[169:170], v[169:170], v[14:15], v[173:174]
	v_fma_f64 v[167:168], v[167:168], v[14:15], -v[16:17]
	ds_load_b128 v[161:164], v1 offset:1440
	scratch_load_b128 v[14:17], off, off offset:704
	v_add_f64_e32 v[173:174], v[179:180], v[177:178]
	v_add_f64_e32 v[165:166], v[165:166], v[175:176]
	v_fma_f64 v[171:172], v[4:5], v[18:19], v[171:172]
	v_fma_f64 v[177:178], v[2:3], v[18:19], -v[20:21]
	ds_load_b128 v[2:5], v1 offset:1456
	s_wait_loadcnt_dscnt 0x801
	v_mul_f64_e32 v[175:176], v[161:162], v[24:25]
	v_mul_f64_e32 v[24:25], v[163:164], v[24:25]
	scratch_load_b128 v[18:21], off, off offset:720
	s_wait_loadcnt_dscnt 0x800
	v_mul_f64_e32 v[179:180], v[2:3], v[28:29]
	v_mul_f64_e32 v[28:29], v[4:5], v[28:29]
	v_add_f64_e32 v[173:174], v[173:174], v[167:168]
	v_add_f64_e32 v[169:170], v[165:166], v[169:170]
	ds_load_b128 v[165:168], v1 offset:1472
	v_fma_f64 v[163:164], v[163:164], v[22:23], v[175:176]
	v_fma_f64 v[161:162], v[161:162], v[22:23], -v[24:25]
	scratch_load_b128 v[22:25], off, off offset:736
	v_fma_f64 v[175:176], v[4:5], v[26:27], v[179:180]
	v_add_f64_e32 v[173:174], v[173:174], v[177:178]
	v_add_f64_e32 v[169:170], v[169:170], v[171:172]
	v_fma_f64 v[177:178], v[2:3], v[26:27], -v[28:29]
	ds_load_b128 v[2:5], v1 offset:1488
	s_wait_loadcnt_dscnt 0x801
	v_mul_f64_e32 v[171:172], v[165:166], v[32:33]
	v_mul_f64_e32 v[32:33], v[167:168], v[32:33]
	scratch_load_b128 v[26:29], off, off offset:752
	s_wait_loadcnt_dscnt 0x800
	v_mul_f64_e32 v[179:180], v[2:3], v[36:37]
	v_mul_f64_e32 v[36:37], v[4:5], v[36:37]
	v_add_f64_e32 v[173:174], v[173:174], v[161:162]
	v_add_f64_e32 v[169:170], v[169:170], v[163:164]
	ds_load_b128 v[161:164], v1 offset:1504
	v_fma_f64 v[167:168], v[167:168], v[30:31], v[171:172]
	v_fma_f64 v[165:166], v[165:166], v[30:31], -v[32:33]
	scratch_load_b128 v[30:33], off, off offset:768
	v_add_f64_e32 v[171:172], v[173:174], v[177:178]
	v_add_f64_e32 v[169:170], v[169:170], v[175:176]
	v_fma_f64 v[175:176], v[4:5], v[34:35], v[179:180]
	v_fma_f64 v[177:178], v[2:3], v[34:35], -v[36:37]
	ds_load_b128 v[2:5], v1 offset:1520
	s_wait_loadcnt_dscnt 0x801
	v_mul_f64_e32 v[173:174], v[161:162], v[159:160]
	v_mul_f64_e32 v[159:160], v[163:164], v[159:160]
	scratch_load_b128 v[34:37], off, off offset:784
	s_wait_loadcnt_dscnt 0x800
	v_mul_f64_e32 v[179:180], v[2:3], v[40:41]
	v_mul_f64_e32 v[40:41], v[4:5], v[40:41]
	v_add_f64_e32 v[171:172], v[171:172], v[165:166]
	v_add_f64_e32 v[169:170], v[169:170], v[167:168]
	ds_load_b128 v[165:168], v1 offset:1536
	v_fma_f64 v[163:164], v[163:164], v[157:158], v[173:174]
	v_fma_f64 v[161:162], v[161:162], v[157:158], -v[159:160]
	scratch_load_b128 v[157:160], off, off offset:800
	v_add_f64_e32 v[171:172], v[171:172], v[177:178]
	v_add_f64_e32 v[169:170], v[169:170], v[175:176]
	v_fma_f64 v[175:176], v[4:5], v[38:39], v[179:180]
	;; [unrolled: 18-line block ×4, first 2 shown]
	v_fma_f64 v[177:178], v[2:3], v[18:19], -v[20:21]
	ds_load_b128 v[2:5], v1 offset:1616
	s_wait_loadcnt_dscnt 0x801
	v_mul_f64_e32 v[173:174], v[165:166], v[24:25]
	v_mul_f64_e32 v[24:25], v[167:168], v[24:25]
	scratch_load_b128 v[18:21], off, off offset:880
	s_wait_loadcnt_dscnt 0x800
	v_mul_f64_e32 v[179:180], v[2:3], v[28:29]
	v_mul_f64_e32 v[28:29], v[4:5], v[28:29]
	v_add_f64_e32 v[171:172], v[171:172], v[161:162]
	v_add_f64_e32 v[169:170], v[169:170], v[163:164]
	ds_load_b128 v[161:164], v1 offset:1632
	v_fma_f64 v[167:168], v[167:168], v[22:23], v[173:174]
	v_fma_f64 v[22:23], v[165:166], v[22:23], -v[24:25]
	v_add_f64_e32 v[24:25], v[171:172], v[177:178]
	v_add_f64_e32 v[165:166], v[169:170], v[175:176]
	s_wait_loadcnt_dscnt 0x700
	v_mul_f64_e32 v[169:170], v[161:162], v[32:33]
	v_mul_f64_e32 v[32:33], v[163:164], v[32:33]
	v_fma_f64 v[171:172], v[4:5], v[26:27], v[179:180]
	v_fma_f64 v[26:27], v[2:3], v[26:27], -v[28:29]
	v_add_f64_e32 v[28:29], v[24:25], v[22:23]
	v_add_f64_e32 v[165:166], v[165:166], v[167:168]
	ds_load_b128 v[2:5], v1 offset:1648
	ds_load_b128 v[22:25], v1 offset:1664
	v_fma_f64 v[163:164], v[163:164], v[30:31], v[169:170]
	v_fma_f64 v[30:31], v[161:162], v[30:31], -v[32:33]
	s_wait_loadcnt_dscnt 0x601
	v_mul_f64_e32 v[167:168], v[2:3], v[36:37]
	v_mul_f64_e32 v[36:37], v[4:5], v[36:37]
	s_wait_loadcnt_dscnt 0x500
	v_mul_f64_e32 v[32:33], v[22:23], v[159:160]
	v_mul_f64_e32 v[159:160], v[24:25], v[159:160]
	v_add_f64_e32 v[26:27], v[28:29], v[26:27]
	v_add_f64_e32 v[28:29], v[165:166], v[171:172]
	v_fma_f64 v[161:162], v[4:5], v[34:35], v[167:168]
	v_fma_f64 v[34:35], v[2:3], v[34:35], -v[36:37]
	v_fma_f64 v[24:25], v[24:25], v[157:158], v[32:33]
	v_fma_f64 v[22:23], v[22:23], v[157:158], -v[159:160]
	v_add_f64_e32 v[30:31], v[26:27], v[30:31]
	v_add_f64_e32 v[36:37], v[28:29], v[163:164]
	ds_load_b128 v[2:5], v1 offset:1680
	ds_load_b128 v[26:29], v1 offset:1696
	s_wait_loadcnt_dscnt 0x401
	v_mul_f64_e32 v[163:164], v[2:3], v[40:41]
	v_mul_f64_e32 v[40:41], v[4:5], v[40:41]
	v_add_f64_e32 v[30:31], v[30:31], v[34:35]
	v_add_f64_e32 v[32:33], v[36:37], v[161:162]
	s_wait_loadcnt_dscnt 0x300
	v_mul_f64_e32 v[34:35], v[26:27], v[8:9]
	v_mul_f64_e32 v[8:9], v[28:29], v[8:9]
	v_fma_f64 v[36:37], v[4:5], v[38:39], v[163:164]
	v_fma_f64 v[38:39], v[2:3], v[38:39], -v[40:41]
	v_add_f64_e32 v[30:31], v[30:31], v[22:23]
	v_add_f64_e32 v[32:33], v[32:33], v[24:25]
	ds_load_b128 v[2:5], v1 offset:1712
	ds_load_b128 v[22:25], v1 offset:1728
	v_fma_f64 v[28:29], v[28:29], v[6:7], v[34:35]
	v_fma_f64 v[6:7], v[26:27], v[6:7], -v[8:9]
	s_wait_loadcnt_dscnt 0x201
	v_mul_f64_e32 v[40:41], v[2:3], v[12:13]
	v_mul_f64_e32 v[12:13], v[4:5], v[12:13]
	v_add_f64_e32 v[8:9], v[30:31], v[38:39]
	v_add_f64_e32 v[26:27], v[32:33], v[36:37]
	s_wait_loadcnt_dscnt 0x100
	v_mul_f64_e32 v[30:31], v[22:23], v[16:17]
	v_mul_f64_e32 v[16:17], v[24:25], v[16:17]
	v_fma_f64 v[32:33], v[4:5], v[10:11], v[40:41]
	v_fma_f64 v[10:11], v[2:3], v[10:11], -v[12:13]
	ds_load_b128 v[2:5], v1 offset:1744
	v_add_f64_e32 v[6:7], v[8:9], v[6:7]
	v_add_f64_e32 v[8:9], v[26:27], v[28:29]
	v_fma_f64 v[24:25], v[24:25], v[14:15], v[30:31]
	v_fma_f64 v[14:15], v[22:23], v[14:15], -v[16:17]
	s_wait_loadcnt_dscnt 0x0
	v_mul_f64_e32 v[12:13], v[2:3], v[20:21]
	v_mul_f64_e32 v[20:21], v[4:5], v[20:21]
	v_add_f64_e32 v[6:7], v[6:7], v[10:11]
	v_add_f64_e32 v[8:9], v[8:9], v[32:33]
	s_delay_alu instid0(VALU_DEP_4) | instskip(NEXT) | instid1(VALU_DEP_4)
	v_fma_f64 v[4:5], v[4:5], v[18:19], v[12:13]
	v_fma_f64 v[2:3], v[2:3], v[18:19], -v[20:21]
	s_delay_alu instid0(VALU_DEP_4) | instskip(NEXT) | instid1(VALU_DEP_4)
	v_add_f64_e32 v[6:7], v[6:7], v[14:15]
	v_add_f64_e32 v[8:9], v[8:9], v[24:25]
	s_delay_alu instid0(VALU_DEP_2) | instskip(NEXT) | instid1(VALU_DEP_2)
	v_add_f64_e32 v[2:3], v[6:7], v[2:3]
	v_add_f64_e32 v[4:5], v[8:9], v[4:5]
	s_delay_alu instid0(VALU_DEP_2) | instskip(NEXT) | instid1(VALU_DEP_2)
	v_add_f64_e64 v[2:3], v[42:43], -v[2:3]
	v_add_f64_e64 v[4:5], v[44:45], -v[4:5]
	scratch_store_b128 off, v[2:5], off offset:320
	v_cmpx_lt_u32_e32 18, v0
	s_cbranch_execz .LBB118_307
; %bb.306:
	scratch_load_b128 v[5:8], off, s50
	v_dual_mov_b32 v2, v1 :: v_dual_mov_b32 v3, v1
	v_mov_b32_e32 v4, v1
	scratch_store_b128 off, v[1:4], off offset:304
	s_wait_loadcnt 0x0
	ds_store_b128 v156, v[5:8]
.LBB118_307:
	s_wait_alu 0xfffe
	s_or_b32 exec_lo, exec_lo, s0
	s_wait_storecnt_dscnt 0x0
	s_barrier_signal -1
	s_barrier_wait -1
	global_inv scope:SCOPE_SE
	s_clause 0x8
	scratch_load_b128 v[2:5], off, off offset:320
	scratch_load_b128 v[6:9], off, off offset:336
	;; [unrolled: 1-line block ×9, first 2 shown]
	ds_load_b128 v[38:41], v1 offset:1184
	ds_load_b128 v[42:45], v1 offset:1200
	s_clause 0x1
	scratch_load_b128 v[157:160], off, off offset:304
	scratch_load_b128 v[161:164], off, off offset:464
	s_mov_b32 s0, exec_lo
	s_wait_loadcnt_dscnt 0xa01
	v_mul_f64_e32 v[165:166], v[40:41], v[4:5]
	v_mul_f64_e32 v[4:5], v[38:39], v[4:5]
	s_wait_loadcnt_dscnt 0x900
	v_mul_f64_e32 v[169:170], v[42:43], v[8:9]
	v_mul_f64_e32 v[8:9], v[44:45], v[8:9]
	s_delay_alu instid0(VALU_DEP_4) | instskip(NEXT) | instid1(VALU_DEP_4)
	v_fma_f64 v[171:172], v[38:39], v[2:3], -v[165:166]
	v_fma_f64 v[173:174], v[40:41], v[2:3], v[4:5]
	ds_load_b128 v[2:5], v1 offset:1216
	ds_load_b128 v[165:168], v1 offset:1232
	scratch_load_b128 v[38:41], off, off offset:480
	v_fma_f64 v[44:45], v[44:45], v[6:7], v[169:170]
	v_fma_f64 v[42:43], v[42:43], v[6:7], -v[8:9]
	scratch_load_b128 v[6:9], off, off offset:496
	s_wait_loadcnt_dscnt 0xa01
	v_mul_f64_e32 v[175:176], v[2:3], v[12:13]
	v_mul_f64_e32 v[12:13], v[4:5], v[12:13]
	v_add_f64_e32 v[169:170], 0, v[171:172]
	v_add_f64_e32 v[171:172], 0, v[173:174]
	s_wait_loadcnt_dscnt 0x900
	v_mul_f64_e32 v[173:174], v[165:166], v[16:17]
	v_mul_f64_e32 v[16:17], v[167:168], v[16:17]
	v_fma_f64 v[175:176], v[4:5], v[10:11], v[175:176]
	v_fma_f64 v[177:178], v[2:3], v[10:11], -v[12:13]
	ds_load_b128 v[2:5], v1 offset:1248
	scratch_load_b128 v[10:13], off, off offset:512
	v_add_f64_e32 v[169:170], v[169:170], v[42:43]
	v_add_f64_e32 v[171:172], v[171:172], v[44:45]
	ds_load_b128 v[42:45], v1 offset:1264
	v_fma_f64 v[167:168], v[167:168], v[14:15], v[173:174]
	v_fma_f64 v[165:166], v[165:166], v[14:15], -v[16:17]
	scratch_load_b128 v[14:17], off, off offset:528
	s_wait_loadcnt_dscnt 0xa01
	v_mul_f64_e32 v[179:180], v[2:3], v[20:21]
	v_mul_f64_e32 v[20:21], v[4:5], v[20:21]
	s_wait_loadcnt_dscnt 0x900
	v_mul_f64_e32 v[173:174], v[42:43], v[24:25]
	v_mul_f64_e32 v[24:25], v[44:45], v[24:25]
	v_add_f64_e32 v[169:170], v[169:170], v[177:178]
	v_add_f64_e32 v[171:172], v[171:172], v[175:176]
	v_fma_f64 v[175:176], v[4:5], v[18:19], v[179:180]
	v_fma_f64 v[177:178], v[2:3], v[18:19], -v[20:21]
	ds_load_b128 v[2:5], v1 offset:1280
	scratch_load_b128 v[18:21], off, off offset:544
	v_fma_f64 v[44:45], v[44:45], v[22:23], v[173:174]
	v_fma_f64 v[42:43], v[42:43], v[22:23], -v[24:25]
	scratch_load_b128 v[22:25], off, off offset:560
	v_add_f64_e32 v[169:170], v[169:170], v[165:166]
	v_add_f64_e32 v[171:172], v[171:172], v[167:168]
	ds_load_b128 v[165:168], v1 offset:1296
	s_wait_loadcnt_dscnt 0xa01
	v_mul_f64_e32 v[179:180], v[2:3], v[28:29]
	v_mul_f64_e32 v[28:29], v[4:5], v[28:29]
	s_wait_loadcnt_dscnt 0x900
	v_mul_f64_e32 v[173:174], v[165:166], v[32:33]
	v_mul_f64_e32 v[32:33], v[167:168], v[32:33]
	v_add_f64_e32 v[169:170], v[169:170], v[177:178]
	v_add_f64_e32 v[171:172], v[171:172], v[175:176]
	v_fma_f64 v[175:176], v[4:5], v[26:27], v[179:180]
	v_fma_f64 v[177:178], v[2:3], v[26:27], -v[28:29]
	ds_load_b128 v[2:5], v1 offset:1312
	scratch_load_b128 v[26:29], off, off offset:576
	v_fma_f64 v[167:168], v[167:168], v[30:31], v[173:174]
	v_fma_f64 v[165:166], v[165:166], v[30:31], -v[32:33]
	scratch_load_b128 v[30:33], off, off offset:592
	v_add_f64_e32 v[169:170], v[169:170], v[42:43]
	v_add_f64_e32 v[171:172], v[171:172], v[44:45]
	ds_load_b128 v[42:45], v1 offset:1328
	s_wait_loadcnt_dscnt 0xa01
	v_mul_f64_e32 v[179:180], v[2:3], v[36:37]
	v_mul_f64_e32 v[36:37], v[4:5], v[36:37]
	s_wait_loadcnt_dscnt 0x800
	v_mul_f64_e32 v[173:174], v[42:43], v[163:164]
	v_add_f64_e32 v[169:170], v[169:170], v[177:178]
	v_add_f64_e32 v[171:172], v[171:172], v[175:176]
	v_mul_f64_e32 v[175:176], v[44:45], v[163:164]
	v_fma_f64 v[177:178], v[4:5], v[34:35], v[179:180]
	v_fma_f64 v[179:180], v[2:3], v[34:35], -v[36:37]
	ds_load_b128 v[2:5], v1 offset:1344
	scratch_load_b128 v[34:37], off, off offset:608
	v_fma_f64 v[44:45], v[44:45], v[161:162], v[173:174]
	v_add_f64_e32 v[169:170], v[169:170], v[165:166]
	v_add_f64_e32 v[167:168], v[171:172], v[167:168]
	ds_load_b128 v[163:166], v1 offset:1360
	v_fma_f64 v[161:162], v[42:43], v[161:162], -v[175:176]
	s_wait_loadcnt_dscnt 0x801
	v_mul_f64_e32 v[171:172], v[2:3], v[40:41]
	v_mul_f64_e32 v[181:182], v[4:5], v[40:41]
	scratch_load_b128 v[40:43], off, off offset:624
	s_wait_loadcnt_dscnt 0x800
	v_mul_f64_e32 v[175:176], v[163:164], v[8:9]
	v_mul_f64_e32 v[8:9], v[165:166], v[8:9]
	v_add_f64_e32 v[169:170], v[169:170], v[179:180]
	v_add_f64_e32 v[167:168], v[167:168], v[177:178]
	v_fma_f64 v[177:178], v[4:5], v[38:39], v[171:172]
	v_fma_f64 v[38:39], v[2:3], v[38:39], -v[181:182]
	ds_load_b128 v[2:5], v1 offset:1376
	ds_load_b128 v[171:174], v1 offset:1392
	v_fma_f64 v[165:166], v[165:166], v[6:7], v[175:176]
	v_fma_f64 v[163:164], v[163:164], v[6:7], -v[8:9]
	scratch_load_b128 v[6:9], off, off offset:656
	v_add_f64_e32 v[161:162], v[169:170], v[161:162]
	v_add_f64_e32 v[44:45], v[167:168], v[44:45]
	scratch_load_b128 v[167:170], off, off offset:640
	s_wait_loadcnt_dscnt 0x901
	v_mul_f64_e32 v[179:180], v[2:3], v[12:13]
	v_mul_f64_e32 v[12:13], v[4:5], v[12:13]
	s_wait_loadcnt_dscnt 0x800
	v_mul_f64_e32 v[175:176], v[171:172], v[16:17]
	v_mul_f64_e32 v[16:17], v[173:174], v[16:17]
	v_add_f64_e32 v[38:39], v[161:162], v[38:39]
	v_add_f64_e32 v[44:45], v[44:45], v[177:178]
	v_fma_f64 v[177:178], v[4:5], v[10:11], v[179:180]
	v_fma_f64 v[179:180], v[2:3], v[10:11], -v[12:13]
	ds_load_b128 v[2:5], v1 offset:1408
	scratch_load_b128 v[10:13], off, off offset:672
	v_fma_f64 v[173:174], v[173:174], v[14:15], v[175:176]
	v_fma_f64 v[171:172], v[171:172], v[14:15], -v[16:17]
	scratch_load_b128 v[14:17], off, off offset:688
	v_add_f64_e32 v[38:39], v[38:39], v[163:164]
	v_add_f64_e32 v[44:45], v[44:45], v[165:166]
	ds_load_b128 v[161:164], v1 offset:1424
	s_wait_loadcnt_dscnt 0x901
	v_mul_f64_e32 v[165:166], v[2:3], v[20:21]
	v_mul_f64_e32 v[20:21], v[4:5], v[20:21]
	s_wait_loadcnt_dscnt 0x800
	v_mul_f64_e32 v[175:176], v[161:162], v[24:25]
	v_mul_f64_e32 v[24:25], v[163:164], v[24:25]
	v_add_f64_e32 v[38:39], v[38:39], v[179:180]
	v_add_f64_e32 v[44:45], v[44:45], v[177:178]
	v_fma_f64 v[165:166], v[4:5], v[18:19], v[165:166]
	v_fma_f64 v[177:178], v[2:3], v[18:19], -v[20:21]
	ds_load_b128 v[2:5], v1 offset:1440
	scratch_load_b128 v[18:21], off, off offset:704
	v_fma_f64 v[163:164], v[163:164], v[22:23], v[175:176]
	v_fma_f64 v[161:162], v[161:162], v[22:23], -v[24:25]
	scratch_load_b128 v[22:25], off, off offset:720
	v_add_f64_e32 v[38:39], v[38:39], v[171:172]
	v_add_f64_e32 v[44:45], v[44:45], v[173:174]
	ds_load_b128 v[171:174], v1 offset:1456
	s_wait_loadcnt_dscnt 0x901
	v_mul_f64_e32 v[179:180], v[2:3], v[28:29]
	v_mul_f64_e32 v[28:29], v[4:5], v[28:29]
	v_add_f64_e32 v[38:39], v[38:39], v[177:178]
	v_add_f64_e32 v[44:45], v[44:45], v[165:166]
	s_wait_loadcnt_dscnt 0x800
	v_mul_f64_e32 v[165:166], v[171:172], v[32:33]
	v_mul_f64_e32 v[32:33], v[173:174], v[32:33]
	v_fma_f64 v[175:176], v[4:5], v[26:27], v[179:180]
	v_fma_f64 v[177:178], v[2:3], v[26:27], -v[28:29]
	ds_load_b128 v[2:5], v1 offset:1472
	scratch_load_b128 v[26:29], off, off offset:736
	v_add_f64_e32 v[38:39], v[38:39], v[161:162]
	v_add_f64_e32 v[44:45], v[44:45], v[163:164]
	ds_load_b128 v[161:164], v1 offset:1488
	s_wait_loadcnt_dscnt 0x801
	v_mul_f64_e32 v[179:180], v[2:3], v[36:37]
	v_mul_f64_e32 v[36:37], v[4:5], v[36:37]
	v_fma_f64 v[165:166], v[173:174], v[30:31], v[165:166]
	v_fma_f64 v[171:172], v[171:172], v[30:31], -v[32:33]
	scratch_load_b128 v[30:33], off, off offset:752
	s_wait_loadcnt_dscnt 0x800
	v_mul_f64_e32 v[173:174], v[161:162], v[42:43]
	v_add_f64_e32 v[38:39], v[38:39], v[177:178]
	v_add_f64_e32 v[44:45], v[44:45], v[175:176]
	v_mul_f64_e32 v[175:176], v[163:164], v[42:43]
	v_fma_f64 v[177:178], v[4:5], v[34:35], v[179:180]
	v_fma_f64 v[179:180], v[2:3], v[34:35], -v[36:37]
	ds_load_b128 v[2:5], v1 offset:1504
	scratch_load_b128 v[34:37], off, off offset:768
	v_fma_f64 v[163:164], v[163:164], v[40:41], v[173:174]
	v_add_f64_e32 v[38:39], v[38:39], v[171:172]
	v_add_f64_e32 v[165:166], v[44:45], v[165:166]
	ds_load_b128 v[42:45], v1 offset:1520
	v_fma_f64 v[161:162], v[161:162], v[40:41], -v[175:176]
	s_wait_loadcnt_dscnt 0x701
	v_mul_f64_e32 v[171:172], v[2:3], v[169:170]
	v_mul_f64_e32 v[169:170], v[4:5], v[169:170]
	s_wait_dscnt 0x0
	v_mul_f64_e32 v[175:176], v[42:43], v[8:9]
	v_mul_f64_e32 v[8:9], v[44:45], v[8:9]
	v_add_f64_e32 v[173:174], v[38:39], v[179:180]
	v_add_f64_e32 v[165:166], v[165:166], v[177:178]
	scratch_load_b128 v[38:41], off, off offset:784
	v_fma_f64 v[171:172], v[4:5], v[167:168], v[171:172]
	v_fma_f64 v[169:170], v[2:3], v[167:168], -v[169:170]
	ds_load_b128 v[2:5], v1 offset:1536
	v_fma_f64 v[44:45], v[44:45], v[6:7], v[175:176]
	v_fma_f64 v[42:43], v[42:43], v[6:7], -v[8:9]
	scratch_load_b128 v[6:9], off, off offset:816
	v_add_f64_e32 v[173:174], v[173:174], v[161:162]
	v_add_f64_e32 v[177:178], v[165:166], v[163:164]
	scratch_load_b128 v[161:164], off, off offset:800
	ds_load_b128 v[165:168], v1 offset:1552
	s_wait_loadcnt_dscnt 0x901
	v_mul_f64_e32 v[179:180], v[2:3], v[12:13]
	v_mul_f64_e32 v[12:13], v[4:5], v[12:13]
	v_add_f64_e32 v[169:170], v[173:174], v[169:170]
	v_add_f64_e32 v[171:172], v[177:178], v[171:172]
	s_wait_loadcnt_dscnt 0x800
	v_mul_f64_e32 v[173:174], v[165:166], v[16:17]
	v_mul_f64_e32 v[16:17], v[167:168], v[16:17]
	v_fma_f64 v[175:176], v[4:5], v[10:11], v[179:180]
	v_fma_f64 v[177:178], v[2:3], v[10:11], -v[12:13]
	ds_load_b128 v[2:5], v1 offset:1568
	scratch_load_b128 v[10:13], off, off offset:832
	v_add_f64_e32 v[169:170], v[169:170], v[42:43]
	v_add_f64_e32 v[171:172], v[171:172], v[44:45]
	ds_load_b128 v[42:45], v1 offset:1584
	s_wait_loadcnt_dscnt 0x801
	v_mul_f64_e32 v[179:180], v[2:3], v[20:21]
	v_mul_f64_e32 v[20:21], v[4:5], v[20:21]
	v_fma_f64 v[167:168], v[167:168], v[14:15], v[173:174]
	v_fma_f64 v[165:166], v[165:166], v[14:15], -v[16:17]
	scratch_load_b128 v[14:17], off, off offset:848
	s_wait_loadcnt_dscnt 0x800
	v_mul_f64_e32 v[173:174], v[42:43], v[24:25]
	v_mul_f64_e32 v[24:25], v[44:45], v[24:25]
	v_add_f64_e32 v[169:170], v[169:170], v[177:178]
	v_add_f64_e32 v[171:172], v[171:172], v[175:176]
	v_fma_f64 v[175:176], v[4:5], v[18:19], v[179:180]
	v_fma_f64 v[177:178], v[2:3], v[18:19], -v[20:21]
	ds_load_b128 v[2:5], v1 offset:1600
	scratch_load_b128 v[18:21], off, off offset:864
	v_fma_f64 v[44:45], v[44:45], v[22:23], v[173:174]
	v_fma_f64 v[42:43], v[42:43], v[22:23], -v[24:25]
	scratch_load_b128 v[22:25], off, off offset:880
	v_add_f64_e32 v[169:170], v[169:170], v[165:166]
	v_add_f64_e32 v[171:172], v[171:172], v[167:168]
	ds_load_b128 v[165:168], v1 offset:1616
	s_wait_loadcnt_dscnt 0x901
	v_mul_f64_e32 v[179:180], v[2:3], v[28:29]
	v_mul_f64_e32 v[28:29], v[4:5], v[28:29]
	s_wait_loadcnt_dscnt 0x800
	v_mul_f64_e32 v[173:174], v[165:166], v[32:33]
	v_mul_f64_e32 v[32:33], v[167:168], v[32:33]
	v_add_f64_e32 v[169:170], v[169:170], v[177:178]
	v_add_f64_e32 v[171:172], v[171:172], v[175:176]
	v_fma_f64 v[175:176], v[4:5], v[26:27], v[179:180]
	v_fma_f64 v[177:178], v[2:3], v[26:27], -v[28:29]
	ds_load_b128 v[2:5], v1 offset:1632
	ds_load_b128 v[26:29], v1 offset:1648
	v_fma_f64 v[167:168], v[167:168], v[30:31], v[173:174]
	v_fma_f64 v[30:31], v[165:166], v[30:31], -v[32:33]
	v_add_f64_e32 v[42:43], v[169:170], v[42:43]
	v_add_f64_e32 v[44:45], v[171:172], v[44:45]
	s_wait_loadcnt_dscnt 0x701
	v_mul_f64_e32 v[169:170], v[2:3], v[36:37]
	v_mul_f64_e32 v[36:37], v[4:5], v[36:37]
	s_delay_alu instid0(VALU_DEP_4) | instskip(NEXT) | instid1(VALU_DEP_4)
	v_add_f64_e32 v[32:33], v[42:43], v[177:178]
	v_add_f64_e32 v[42:43], v[44:45], v[175:176]
	s_delay_alu instid0(VALU_DEP_4) | instskip(NEXT) | instid1(VALU_DEP_4)
	v_fma_f64 v[165:166], v[4:5], v[34:35], v[169:170]
	v_fma_f64 v[34:35], v[2:3], v[34:35], -v[36:37]
	s_wait_loadcnt_dscnt 0x600
	v_mul_f64_e32 v[44:45], v[26:27], v[40:41]
	v_mul_f64_e32 v[40:41], v[28:29], v[40:41]
	v_add_f64_e32 v[36:37], v[32:33], v[30:31]
	v_add_f64_e32 v[42:43], v[42:43], v[167:168]
	ds_load_b128 v[2:5], v1 offset:1664
	ds_load_b128 v[30:33], v1 offset:1680
	v_fma_f64 v[28:29], v[28:29], v[38:39], v[44:45]
	v_fma_f64 v[26:27], v[26:27], v[38:39], -v[40:41]
	s_wait_loadcnt_dscnt 0x401
	v_mul_f64_e32 v[167:168], v[2:3], v[163:164]
	v_mul_f64_e32 v[163:164], v[4:5], v[163:164]
	s_wait_dscnt 0x0
	v_mul_f64_e32 v[38:39], v[30:31], v[8:9]
	v_mul_f64_e32 v[8:9], v[32:33], v[8:9]
	v_add_f64_e32 v[34:35], v[36:37], v[34:35]
	v_add_f64_e32 v[36:37], v[42:43], v[165:166]
	v_fma_f64 v[40:41], v[4:5], v[161:162], v[167:168]
	v_fma_f64 v[42:43], v[2:3], v[161:162], -v[163:164]
	v_fma_f64 v[32:33], v[32:33], v[6:7], v[38:39]
	v_fma_f64 v[6:7], v[30:31], v[6:7], -v[8:9]
	v_add_f64_e32 v[34:35], v[34:35], v[26:27]
	v_add_f64_e32 v[36:37], v[36:37], v[28:29]
	ds_load_b128 v[2:5], v1 offset:1696
	ds_load_b128 v[26:29], v1 offset:1712
	s_wait_loadcnt_dscnt 0x301
	v_mul_f64_e32 v[44:45], v[2:3], v[12:13]
	v_mul_f64_e32 v[12:13], v[4:5], v[12:13]
	v_add_f64_e32 v[8:9], v[34:35], v[42:43]
	v_add_f64_e32 v[30:31], v[36:37], v[40:41]
	s_wait_loadcnt_dscnt 0x200
	v_mul_f64_e32 v[34:35], v[26:27], v[16:17]
	v_mul_f64_e32 v[16:17], v[28:29], v[16:17]
	v_fma_f64 v[36:37], v[4:5], v[10:11], v[44:45]
	v_fma_f64 v[10:11], v[2:3], v[10:11], -v[12:13]
	v_add_f64_e32 v[12:13], v[8:9], v[6:7]
	v_add_f64_e32 v[30:31], v[30:31], v[32:33]
	ds_load_b128 v[2:5], v1 offset:1728
	ds_load_b128 v[6:9], v1 offset:1744
	v_fma_f64 v[28:29], v[28:29], v[14:15], v[34:35]
	v_fma_f64 v[14:15], v[26:27], v[14:15], -v[16:17]
	s_wait_loadcnt_dscnt 0x101
	v_mul_f64_e32 v[32:33], v[2:3], v[20:21]
	v_mul_f64_e32 v[20:21], v[4:5], v[20:21]
	s_wait_loadcnt_dscnt 0x0
	v_mul_f64_e32 v[16:17], v[6:7], v[24:25]
	v_mul_f64_e32 v[24:25], v[8:9], v[24:25]
	v_add_f64_e32 v[10:11], v[12:13], v[10:11]
	v_add_f64_e32 v[12:13], v[30:31], v[36:37]
	v_fma_f64 v[4:5], v[4:5], v[18:19], v[32:33]
	v_fma_f64 v[1:2], v[2:3], v[18:19], -v[20:21]
	v_fma_f64 v[8:9], v[8:9], v[22:23], v[16:17]
	v_fma_f64 v[6:7], v[6:7], v[22:23], -v[24:25]
	v_add_f64_e32 v[10:11], v[10:11], v[14:15]
	v_add_f64_e32 v[12:13], v[12:13], v[28:29]
	s_delay_alu instid0(VALU_DEP_2) | instskip(NEXT) | instid1(VALU_DEP_2)
	v_add_f64_e32 v[1:2], v[10:11], v[1:2]
	v_add_f64_e32 v[3:4], v[12:13], v[4:5]
	s_delay_alu instid0(VALU_DEP_2) | instskip(NEXT) | instid1(VALU_DEP_2)
	;; [unrolled: 3-line block ×3, first 2 shown]
	v_add_f64_e64 v[1:2], v[157:158], -v[1:2]
	v_add_f64_e64 v[3:4], v[159:160], -v[3:4]
	scratch_store_b128 off, v[1:4], off offset:304
	v_cmpx_lt_u32_e32 17, v0
	s_cbranch_execz .LBB118_309
; %bb.308:
	scratch_load_b128 v[1:4], off, s51
	v_mov_b32_e32 v5, 0
	s_delay_alu instid0(VALU_DEP_1)
	v_dual_mov_b32 v6, v5 :: v_dual_mov_b32 v7, v5
	v_mov_b32_e32 v8, v5
	scratch_store_b128 off, v[5:8], off offset:288
	s_wait_loadcnt 0x0
	ds_store_b128 v156, v[1:4]
.LBB118_309:
	s_wait_alu 0xfffe
	s_or_b32 exec_lo, exec_lo, s0
	s_wait_storecnt_dscnt 0x0
	s_barrier_signal -1
	s_barrier_wait -1
	global_inv scope:SCOPE_SE
	s_clause 0x7
	scratch_load_b128 v[2:5], off, off offset:304
	scratch_load_b128 v[6:9], off, off offset:320
	;; [unrolled: 1-line block ×8, first 2 shown]
	v_mov_b32_e32 v1, 0
	s_mov_b32 s0, exec_lo
	ds_load_b128 v[38:41], v1 offset:1168
	s_clause 0x1
	scratch_load_b128 v[34:37], off, off offset:432
	scratch_load_b128 v[42:45], off, off offset:288
	ds_load_b128 v[157:160], v1 offset:1184
	scratch_load_b128 v[161:164], off, off offset:448
	s_wait_loadcnt_dscnt 0xa01
	v_mul_f64_e32 v[165:166], v[40:41], v[4:5]
	v_mul_f64_e32 v[4:5], v[38:39], v[4:5]
	s_delay_alu instid0(VALU_DEP_2) | instskip(NEXT) | instid1(VALU_DEP_2)
	v_fma_f64 v[171:172], v[38:39], v[2:3], -v[165:166]
	v_fma_f64 v[173:174], v[40:41], v[2:3], v[4:5]
	ds_load_b128 v[2:5], v1 offset:1200
	s_wait_loadcnt_dscnt 0x901
	v_mul_f64_e32 v[169:170], v[157:158], v[8:9]
	v_mul_f64_e32 v[8:9], v[159:160], v[8:9]
	scratch_load_b128 v[38:41], off, off offset:464
	ds_load_b128 v[165:168], v1 offset:1216
	s_wait_loadcnt_dscnt 0x901
	v_mul_f64_e32 v[175:176], v[2:3], v[12:13]
	v_mul_f64_e32 v[12:13], v[4:5], v[12:13]
	v_fma_f64 v[159:160], v[159:160], v[6:7], v[169:170]
	v_fma_f64 v[157:158], v[157:158], v[6:7], -v[8:9]
	v_add_f64_e32 v[169:170], 0, v[171:172]
	v_add_f64_e32 v[171:172], 0, v[173:174]
	scratch_load_b128 v[6:9], off, off offset:480
	v_fma_f64 v[175:176], v[4:5], v[10:11], v[175:176]
	v_fma_f64 v[177:178], v[2:3], v[10:11], -v[12:13]
	ds_load_b128 v[2:5], v1 offset:1232
	s_wait_loadcnt_dscnt 0x901
	v_mul_f64_e32 v[173:174], v[165:166], v[16:17]
	v_mul_f64_e32 v[16:17], v[167:168], v[16:17]
	scratch_load_b128 v[10:13], off, off offset:496
	v_add_f64_e32 v[169:170], v[169:170], v[157:158]
	v_add_f64_e32 v[171:172], v[171:172], v[159:160]
	s_wait_loadcnt_dscnt 0x900
	v_mul_f64_e32 v[179:180], v[2:3], v[20:21]
	v_mul_f64_e32 v[20:21], v[4:5], v[20:21]
	ds_load_b128 v[157:160], v1 offset:1248
	v_fma_f64 v[167:168], v[167:168], v[14:15], v[173:174]
	v_fma_f64 v[165:166], v[165:166], v[14:15], -v[16:17]
	scratch_load_b128 v[14:17], off, off offset:512
	v_add_f64_e32 v[169:170], v[169:170], v[177:178]
	v_add_f64_e32 v[171:172], v[171:172], v[175:176]
	v_fma_f64 v[175:176], v[4:5], v[18:19], v[179:180]
	v_fma_f64 v[177:178], v[2:3], v[18:19], -v[20:21]
	ds_load_b128 v[2:5], v1 offset:1264
	s_wait_loadcnt_dscnt 0x901
	v_mul_f64_e32 v[173:174], v[157:158], v[24:25]
	v_mul_f64_e32 v[24:25], v[159:160], v[24:25]
	scratch_load_b128 v[18:21], off, off offset:528
	s_wait_loadcnt_dscnt 0x900
	v_mul_f64_e32 v[179:180], v[2:3], v[28:29]
	v_mul_f64_e32 v[28:29], v[4:5], v[28:29]
	v_add_f64_e32 v[169:170], v[169:170], v[165:166]
	v_add_f64_e32 v[171:172], v[171:172], v[167:168]
	ds_load_b128 v[165:168], v1 offset:1280
	v_fma_f64 v[159:160], v[159:160], v[22:23], v[173:174]
	v_fma_f64 v[157:158], v[157:158], v[22:23], -v[24:25]
	scratch_load_b128 v[22:25], off, off offset:544
	v_add_f64_e32 v[169:170], v[169:170], v[177:178]
	v_add_f64_e32 v[171:172], v[171:172], v[175:176]
	v_fma_f64 v[175:176], v[4:5], v[26:27], v[179:180]
	v_fma_f64 v[177:178], v[2:3], v[26:27], -v[28:29]
	ds_load_b128 v[2:5], v1 offset:1296
	s_wait_loadcnt_dscnt 0x901
	v_mul_f64_e32 v[173:174], v[165:166], v[32:33]
	v_mul_f64_e32 v[32:33], v[167:168], v[32:33]
	scratch_load_b128 v[26:29], off, off offset:560
	s_wait_loadcnt_dscnt 0x900
	v_mul_f64_e32 v[179:180], v[2:3], v[36:37]
	v_mul_f64_e32 v[36:37], v[4:5], v[36:37]
	v_add_f64_e32 v[169:170], v[169:170], v[157:158]
	v_add_f64_e32 v[171:172], v[171:172], v[159:160]
	ds_load_b128 v[157:160], v1 offset:1312
	v_fma_f64 v[167:168], v[167:168], v[30:31], v[173:174]
	v_fma_f64 v[165:166], v[165:166], v[30:31], -v[32:33]
	scratch_load_b128 v[30:33], off, off offset:576
	v_add_f64_e32 v[169:170], v[169:170], v[177:178]
	v_add_f64_e32 v[171:172], v[171:172], v[175:176]
	v_fma_f64 v[177:178], v[4:5], v[34:35], v[179:180]
	v_fma_f64 v[179:180], v[2:3], v[34:35], -v[36:37]
	ds_load_b128 v[2:5], v1 offset:1328
	s_wait_loadcnt_dscnt 0x801
	v_mul_f64_e32 v[173:174], v[157:158], v[163:164]
	v_mul_f64_e32 v[175:176], v[159:160], v[163:164]
	scratch_load_b128 v[34:37], off, off offset:592
	v_add_f64_e32 v[169:170], v[169:170], v[165:166]
	v_add_f64_e32 v[167:168], v[171:172], v[167:168]
	ds_load_b128 v[163:166], v1 offset:1344
	v_fma_f64 v[173:174], v[159:160], v[161:162], v[173:174]
	v_fma_f64 v[161:162], v[157:158], v[161:162], -v[175:176]
	scratch_load_b128 v[157:160], off, off offset:608
	s_wait_loadcnt_dscnt 0x901
	v_mul_f64_e32 v[171:172], v[2:3], v[40:41]
	v_mul_f64_e32 v[40:41], v[4:5], v[40:41]
	v_add_f64_e32 v[169:170], v[169:170], v[179:180]
	v_add_f64_e32 v[167:168], v[167:168], v[177:178]
	s_delay_alu instid0(VALU_DEP_4) | instskip(NEXT) | instid1(VALU_DEP_4)
	v_fma_f64 v[171:172], v[4:5], v[38:39], v[171:172]
	v_fma_f64 v[177:178], v[2:3], v[38:39], -v[40:41]
	ds_load_b128 v[2:5], v1 offset:1360
	s_wait_loadcnt_dscnt 0x801
	v_mul_f64_e32 v[175:176], v[163:164], v[8:9]
	v_mul_f64_e32 v[8:9], v[165:166], v[8:9]
	scratch_load_b128 v[38:41], off, off offset:624
	s_wait_loadcnt_dscnt 0x800
	v_mul_f64_e32 v[179:180], v[2:3], v[12:13]
	v_add_f64_e32 v[161:162], v[169:170], v[161:162]
	v_add_f64_e32 v[173:174], v[167:168], v[173:174]
	v_mul_f64_e32 v[12:13], v[4:5], v[12:13]
	ds_load_b128 v[167:170], v1 offset:1376
	v_fma_f64 v[165:166], v[165:166], v[6:7], v[175:176]
	v_fma_f64 v[163:164], v[163:164], v[6:7], -v[8:9]
	scratch_load_b128 v[6:9], off, off offset:640
	v_fma_f64 v[175:176], v[4:5], v[10:11], v[179:180]
	v_add_f64_e32 v[161:162], v[161:162], v[177:178]
	v_add_f64_e32 v[171:172], v[173:174], v[171:172]
	v_fma_f64 v[177:178], v[2:3], v[10:11], -v[12:13]
	ds_load_b128 v[2:5], v1 offset:1392
	s_wait_loadcnt_dscnt 0x801
	v_mul_f64_e32 v[173:174], v[167:168], v[16:17]
	v_mul_f64_e32 v[16:17], v[169:170], v[16:17]
	scratch_load_b128 v[10:13], off, off offset:656
	v_add_f64_e32 v[179:180], v[161:162], v[163:164]
	v_add_f64_e32 v[165:166], v[171:172], v[165:166]
	s_wait_loadcnt_dscnt 0x800
	v_mul_f64_e32 v[171:172], v[2:3], v[20:21]
	v_mul_f64_e32 v[20:21], v[4:5], v[20:21]
	v_fma_f64 v[169:170], v[169:170], v[14:15], v[173:174]
	v_fma_f64 v[167:168], v[167:168], v[14:15], -v[16:17]
	ds_load_b128 v[161:164], v1 offset:1408
	scratch_load_b128 v[14:17], off, off offset:672
	v_add_f64_e32 v[173:174], v[179:180], v[177:178]
	v_add_f64_e32 v[165:166], v[165:166], v[175:176]
	v_fma_f64 v[171:172], v[4:5], v[18:19], v[171:172]
	v_fma_f64 v[177:178], v[2:3], v[18:19], -v[20:21]
	ds_load_b128 v[2:5], v1 offset:1424
	s_wait_loadcnt_dscnt 0x801
	v_mul_f64_e32 v[175:176], v[161:162], v[24:25]
	v_mul_f64_e32 v[24:25], v[163:164], v[24:25]
	scratch_load_b128 v[18:21], off, off offset:688
	s_wait_loadcnt_dscnt 0x800
	v_mul_f64_e32 v[179:180], v[2:3], v[28:29]
	v_mul_f64_e32 v[28:29], v[4:5], v[28:29]
	v_add_f64_e32 v[173:174], v[173:174], v[167:168]
	v_add_f64_e32 v[169:170], v[165:166], v[169:170]
	ds_load_b128 v[165:168], v1 offset:1440
	v_fma_f64 v[163:164], v[163:164], v[22:23], v[175:176]
	v_fma_f64 v[161:162], v[161:162], v[22:23], -v[24:25]
	scratch_load_b128 v[22:25], off, off offset:704
	v_fma_f64 v[175:176], v[4:5], v[26:27], v[179:180]
	v_add_f64_e32 v[173:174], v[173:174], v[177:178]
	v_add_f64_e32 v[169:170], v[169:170], v[171:172]
	v_fma_f64 v[177:178], v[2:3], v[26:27], -v[28:29]
	ds_load_b128 v[2:5], v1 offset:1456
	s_wait_loadcnt_dscnt 0x801
	v_mul_f64_e32 v[171:172], v[165:166], v[32:33]
	v_mul_f64_e32 v[32:33], v[167:168], v[32:33]
	scratch_load_b128 v[26:29], off, off offset:720
	s_wait_loadcnt_dscnt 0x800
	v_mul_f64_e32 v[179:180], v[2:3], v[36:37]
	v_mul_f64_e32 v[36:37], v[4:5], v[36:37]
	v_add_f64_e32 v[173:174], v[173:174], v[161:162]
	v_add_f64_e32 v[169:170], v[169:170], v[163:164]
	ds_load_b128 v[161:164], v1 offset:1472
	v_fma_f64 v[167:168], v[167:168], v[30:31], v[171:172]
	v_fma_f64 v[165:166], v[165:166], v[30:31], -v[32:33]
	scratch_load_b128 v[30:33], off, off offset:736
	v_add_f64_e32 v[171:172], v[173:174], v[177:178]
	v_add_f64_e32 v[169:170], v[169:170], v[175:176]
	v_fma_f64 v[175:176], v[4:5], v[34:35], v[179:180]
	v_fma_f64 v[177:178], v[2:3], v[34:35], -v[36:37]
	ds_load_b128 v[2:5], v1 offset:1488
	s_wait_loadcnt_dscnt 0x801
	v_mul_f64_e32 v[173:174], v[161:162], v[159:160]
	v_mul_f64_e32 v[159:160], v[163:164], v[159:160]
	scratch_load_b128 v[34:37], off, off offset:752
	s_wait_loadcnt_dscnt 0x800
	v_mul_f64_e32 v[179:180], v[2:3], v[40:41]
	v_mul_f64_e32 v[40:41], v[4:5], v[40:41]
	v_add_f64_e32 v[171:172], v[171:172], v[165:166]
	v_add_f64_e32 v[169:170], v[169:170], v[167:168]
	ds_load_b128 v[165:168], v1 offset:1504
	v_fma_f64 v[163:164], v[163:164], v[157:158], v[173:174]
	v_fma_f64 v[161:162], v[161:162], v[157:158], -v[159:160]
	scratch_load_b128 v[157:160], off, off offset:768
	v_add_f64_e32 v[171:172], v[171:172], v[177:178]
	v_add_f64_e32 v[169:170], v[169:170], v[175:176]
	v_fma_f64 v[175:176], v[4:5], v[38:39], v[179:180]
	;; [unrolled: 18-line block ×5, first 2 shown]
	v_fma_f64 v[177:178], v[2:3], v[26:27], -v[28:29]
	ds_load_b128 v[2:5], v1 offset:1616
	s_wait_loadcnt_dscnt 0x801
	v_mul_f64_e32 v[173:174], v[161:162], v[32:33]
	v_mul_f64_e32 v[32:33], v[163:164], v[32:33]
	scratch_load_b128 v[26:29], off, off offset:880
	s_wait_loadcnt_dscnt 0x800
	v_mul_f64_e32 v[179:180], v[2:3], v[36:37]
	v_mul_f64_e32 v[36:37], v[4:5], v[36:37]
	v_add_f64_e32 v[171:172], v[171:172], v[165:166]
	v_add_f64_e32 v[169:170], v[169:170], v[167:168]
	ds_load_b128 v[165:168], v1 offset:1632
	v_fma_f64 v[163:164], v[163:164], v[30:31], v[173:174]
	v_fma_f64 v[30:31], v[161:162], v[30:31], -v[32:33]
	v_add_f64_e32 v[32:33], v[171:172], v[177:178]
	v_add_f64_e32 v[161:162], v[169:170], v[175:176]
	s_wait_loadcnt_dscnt 0x700
	v_mul_f64_e32 v[169:170], v[165:166], v[159:160]
	v_mul_f64_e32 v[159:160], v[167:168], v[159:160]
	v_fma_f64 v[171:172], v[4:5], v[34:35], v[179:180]
	v_fma_f64 v[34:35], v[2:3], v[34:35], -v[36:37]
	v_add_f64_e32 v[36:37], v[32:33], v[30:31]
	v_add_f64_e32 v[161:162], v[161:162], v[163:164]
	ds_load_b128 v[2:5], v1 offset:1648
	ds_load_b128 v[30:33], v1 offset:1664
	v_fma_f64 v[167:168], v[167:168], v[157:158], v[169:170]
	v_fma_f64 v[157:158], v[165:166], v[157:158], -v[159:160]
	s_wait_loadcnt_dscnt 0x601
	v_mul_f64_e32 v[163:164], v[2:3], v[40:41]
	v_mul_f64_e32 v[40:41], v[4:5], v[40:41]
	s_wait_loadcnt_dscnt 0x500
	v_mul_f64_e32 v[159:160], v[30:31], v[8:9]
	v_mul_f64_e32 v[8:9], v[32:33], v[8:9]
	v_add_f64_e32 v[34:35], v[36:37], v[34:35]
	v_add_f64_e32 v[36:37], v[161:162], v[171:172]
	v_fma_f64 v[161:162], v[4:5], v[38:39], v[163:164]
	v_fma_f64 v[38:39], v[2:3], v[38:39], -v[40:41]
	v_fma_f64 v[32:33], v[32:33], v[6:7], v[159:160]
	v_fma_f64 v[6:7], v[30:31], v[6:7], -v[8:9]
	v_add_f64_e32 v[40:41], v[34:35], v[157:158]
	v_add_f64_e32 v[157:158], v[36:37], v[167:168]
	ds_load_b128 v[2:5], v1 offset:1680
	ds_load_b128 v[34:37], v1 offset:1696
	s_wait_loadcnt_dscnt 0x401
	v_mul_f64_e32 v[163:164], v[2:3], v[12:13]
	v_mul_f64_e32 v[12:13], v[4:5], v[12:13]
	v_add_f64_e32 v[8:9], v[40:41], v[38:39]
	v_add_f64_e32 v[30:31], v[157:158], v[161:162]
	s_wait_loadcnt_dscnt 0x300
	v_mul_f64_e32 v[38:39], v[34:35], v[16:17]
	v_mul_f64_e32 v[16:17], v[36:37], v[16:17]
	v_fma_f64 v[40:41], v[4:5], v[10:11], v[163:164]
	v_fma_f64 v[10:11], v[2:3], v[10:11], -v[12:13]
	v_add_f64_e32 v[12:13], v[8:9], v[6:7]
	v_add_f64_e32 v[30:31], v[30:31], v[32:33]
	ds_load_b128 v[2:5], v1 offset:1712
	ds_load_b128 v[6:9], v1 offset:1728
	v_fma_f64 v[36:37], v[36:37], v[14:15], v[38:39]
	v_fma_f64 v[14:15], v[34:35], v[14:15], -v[16:17]
	s_wait_loadcnt_dscnt 0x201
	v_mul_f64_e32 v[32:33], v[2:3], v[20:21]
	v_mul_f64_e32 v[20:21], v[4:5], v[20:21]
	s_wait_loadcnt_dscnt 0x100
	v_mul_f64_e32 v[16:17], v[6:7], v[24:25]
	v_mul_f64_e32 v[24:25], v[8:9], v[24:25]
	v_add_f64_e32 v[10:11], v[12:13], v[10:11]
	v_add_f64_e32 v[12:13], v[30:31], v[40:41]
	v_fma_f64 v[30:31], v[4:5], v[18:19], v[32:33]
	v_fma_f64 v[18:19], v[2:3], v[18:19], -v[20:21]
	ds_load_b128 v[2:5], v1 offset:1744
	v_fma_f64 v[8:9], v[8:9], v[22:23], v[16:17]
	v_fma_f64 v[6:7], v[6:7], v[22:23], -v[24:25]
	v_add_f64_e32 v[10:11], v[10:11], v[14:15]
	v_add_f64_e32 v[12:13], v[12:13], v[36:37]
	s_wait_loadcnt_dscnt 0x0
	v_mul_f64_e32 v[14:15], v[2:3], v[28:29]
	v_mul_f64_e32 v[20:21], v[4:5], v[28:29]
	s_delay_alu instid0(VALU_DEP_4) | instskip(NEXT) | instid1(VALU_DEP_4)
	v_add_f64_e32 v[10:11], v[10:11], v[18:19]
	v_add_f64_e32 v[12:13], v[12:13], v[30:31]
	s_delay_alu instid0(VALU_DEP_4) | instskip(NEXT) | instid1(VALU_DEP_4)
	v_fma_f64 v[4:5], v[4:5], v[26:27], v[14:15]
	v_fma_f64 v[2:3], v[2:3], v[26:27], -v[20:21]
	s_delay_alu instid0(VALU_DEP_4) | instskip(NEXT) | instid1(VALU_DEP_4)
	v_add_f64_e32 v[6:7], v[10:11], v[6:7]
	v_add_f64_e32 v[8:9], v[12:13], v[8:9]
	s_delay_alu instid0(VALU_DEP_2) | instskip(NEXT) | instid1(VALU_DEP_2)
	v_add_f64_e32 v[2:3], v[6:7], v[2:3]
	v_add_f64_e32 v[4:5], v[8:9], v[4:5]
	s_delay_alu instid0(VALU_DEP_2) | instskip(NEXT) | instid1(VALU_DEP_2)
	v_add_f64_e64 v[2:3], v[42:43], -v[2:3]
	v_add_f64_e64 v[4:5], v[44:45], -v[4:5]
	scratch_store_b128 off, v[2:5], off offset:288
	v_cmpx_lt_u32_e32 16, v0
	s_cbranch_execz .LBB118_311
; %bb.310:
	scratch_load_b128 v[5:8], off, s52
	v_dual_mov_b32 v2, v1 :: v_dual_mov_b32 v3, v1
	v_mov_b32_e32 v4, v1
	scratch_store_b128 off, v[1:4], off offset:272
	s_wait_loadcnt 0x0
	ds_store_b128 v156, v[5:8]
.LBB118_311:
	s_wait_alu 0xfffe
	s_or_b32 exec_lo, exec_lo, s0
	s_wait_storecnt_dscnt 0x0
	s_barrier_signal -1
	s_barrier_wait -1
	global_inv scope:SCOPE_SE
	s_clause 0x8
	scratch_load_b128 v[2:5], off, off offset:288
	scratch_load_b128 v[6:9], off, off offset:304
	scratch_load_b128 v[10:13], off, off offset:320
	scratch_load_b128 v[14:17], off, off offset:336
	scratch_load_b128 v[18:21], off, off offset:352
	scratch_load_b128 v[22:25], off, off offset:368
	scratch_load_b128 v[26:29], off, off offset:384
	scratch_load_b128 v[30:33], off, off offset:400
	scratch_load_b128 v[34:37], off, off offset:416
	ds_load_b128 v[42:45], v1 offset:1152
	ds_load_b128 v[38:41], v1 offset:1168
	s_clause 0x1
	scratch_load_b128 v[157:160], off, off offset:272
	scratch_load_b128 v[161:164], off, off offset:432
	s_mov_b32 s0, exec_lo
	s_wait_loadcnt_dscnt 0xa01
	v_mul_f64_e32 v[165:166], v[44:45], v[4:5]
	v_mul_f64_e32 v[4:5], v[42:43], v[4:5]
	s_wait_loadcnt_dscnt 0x900
	v_mul_f64_e32 v[169:170], v[38:39], v[8:9]
	v_mul_f64_e32 v[8:9], v[40:41], v[8:9]
	s_delay_alu instid0(VALU_DEP_4) | instskip(NEXT) | instid1(VALU_DEP_4)
	v_fma_f64 v[171:172], v[42:43], v[2:3], -v[165:166]
	v_fma_f64 v[173:174], v[44:45], v[2:3], v[4:5]
	ds_load_b128 v[2:5], v1 offset:1184
	ds_load_b128 v[165:168], v1 offset:1200
	scratch_load_b128 v[42:45], off, off offset:448
	v_fma_f64 v[40:41], v[40:41], v[6:7], v[169:170]
	v_fma_f64 v[38:39], v[38:39], v[6:7], -v[8:9]
	scratch_load_b128 v[6:9], off, off offset:464
	s_wait_loadcnt_dscnt 0xa01
	v_mul_f64_e32 v[175:176], v[2:3], v[12:13]
	v_mul_f64_e32 v[12:13], v[4:5], v[12:13]
	v_add_f64_e32 v[169:170], 0, v[171:172]
	v_add_f64_e32 v[171:172], 0, v[173:174]
	s_wait_loadcnt_dscnt 0x900
	v_mul_f64_e32 v[173:174], v[165:166], v[16:17]
	v_mul_f64_e32 v[16:17], v[167:168], v[16:17]
	v_fma_f64 v[175:176], v[4:5], v[10:11], v[175:176]
	v_fma_f64 v[177:178], v[2:3], v[10:11], -v[12:13]
	ds_load_b128 v[2:5], v1 offset:1216
	scratch_load_b128 v[10:13], off, off offset:480
	v_add_f64_e32 v[169:170], v[169:170], v[38:39]
	v_add_f64_e32 v[171:172], v[171:172], v[40:41]
	ds_load_b128 v[38:41], v1 offset:1232
	v_fma_f64 v[167:168], v[167:168], v[14:15], v[173:174]
	v_fma_f64 v[165:166], v[165:166], v[14:15], -v[16:17]
	scratch_load_b128 v[14:17], off, off offset:496
	s_wait_loadcnt_dscnt 0xa01
	v_mul_f64_e32 v[179:180], v[2:3], v[20:21]
	v_mul_f64_e32 v[20:21], v[4:5], v[20:21]
	s_wait_loadcnt_dscnt 0x900
	v_mul_f64_e32 v[173:174], v[38:39], v[24:25]
	v_mul_f64_e32 v[24:25], v[40:41], v[24:25]
	v_add_f64_e32 v[169:170], v[169:170], v[177:178]
	v_add_f64_e32 v[171:172], v[171:172], v[175:176]
	v_fma_f64 v[175:176], v[4:5], v[18:19], v[179:180]
	v_fma_f64 v[177:178], v[2:3], v[18:19], -v[20:21]
	ds_load_b128 v[2:5], v1 offset:1248
	scratch_load_b128 v[18:21], off, off offset:512
	v_fma_f64 v[40:41], v[40:41], v[22:23], v[173:174]
	v_fma_f64 v[38:39], v[38:39], v[22:23], -v[24:25]
	scratch_load_b128 v[22:25], off, off offset:528
	v_add_f64_e32 v[169:170], v[169:170], v[165:166]
	v_add_f64_e32 v[171:172], v[171:172], v[167:168]
	ds_load_b128 v[165:168], v1 offset:1264
	s_wait_loadcnt_dscnt 0xa01
	v_mul_f64_e32 v[179:180], v[2:3], v[28:29]
	v_mul_f64_e32 v[28:29], v[4:5], v[28:29]
	s_wait_loadcnt_dscnt 0x900
	v_mul_f64_e32 v[173:174], v[165:166], v[32:33]
	v_mul_f64_e32 v[32:33], v[167:168], v[32:33]
	v_add_f64_e32 v[169:170], v[169:170], v[177:178]
	v_add_f64_e32 v[171:172], v[171:172], v[175:176]
	v_fma_f64 v[175:176], v[4:5], v[26:27], v[179:180]
	v_fma_f64 v[177:178], v[2:3], v[26:27], -v[28:29]
	ds_load_b128 v[2:5], v1 offset:1280
	scratch_load_b128 v[26:29], off, off offset:544
	v_fma_f64 v[167:168], v[167:168], v[30:31], v[173:174]
	v_fma_f64 v[165:166], v[165:166], v[30:31], -v[32:33]
	scratch_load_b128 v[30:33], off, off offset:560
	v_add_f64_e32 v[169:170], v[169:170], v[38:39]
	v_add_f64_e32 v[171:172], v[171:172], v[40:41]
	ds_load_b128 v[38:41], v1 offset:1296
	s_wait_loadcnt_dscnt 0xa01
	v_mul_f64_e32 v[179:180], v[2:3], v[36:37]
	v_mul_f64_e32 v[36:37], v[4:5], v[36:37]
	s_wait_loadcnt_dscnt 0x800
	v_mul_f64_e32 v[173:174], v[38:39], v[163:164]
	v_add_f64_e32 v[169:170], v[169:170], v[177:178]
	v_add_f64_e32 v[171:172], v[171:172], v[175:176]
	v_mul_f64_e32 v[175:176], v[40:41], v[163:164]
	v_fma_f64 v[177:178], v[4:5], v[34:35], v[179:180]
	v_fma_f64 v[179:180], v[2:3], v[34:35], -v[36:37]
	ds_load_b128 v[2:5], v1 offset:1312
	scratch_load_b128 v[34:37], off, off offset:576
	v_fma_f64 v[173:174], v[40:41], v[161:162], v[173:174]
	v_add_f64_e32 v[169:170], v[169:170], v[165:166]
	v_add_f64_e32 v[167:168], v[171:172], v[167:168]
	ds_load_b128 v[163:166], v1 offset:1328
	v_fma_f64 v[161:162], v[38:39], v[161:162], -v[175:176]
	scratch_load_b128 v[38:41], off, off offset:592
	s_wait_loadcnt_dscnt 0x901
	v_mul_f64_e32 v[171:172], v[2:3], v[44:45]
	v_mul_f64_e32 v[44:45], v[4:5], v[44:45]
	s_wait_loadcnt_dscnt 0x800
	v_mul_f64_e32 v[175:176], v[163:164], v[8:9]
	v_mul_f64_e32 v[8:9], v[165:166], v[8:9]
	v_add_f64_e32 v[169:170], v[169:170], v[179:180]
	v_add_f64_e32 v[167:168], v[167:168], v[177:178]
	v_fma_f64 v[171:172], v[4:5], v[42:43], v[171:172]
	v_fma_f64 v[177:178], v[2:3], v[42:43], -v[44:45]
	ds_load_b128 v[2:5], v1 offset:1344
	scratch_load_b128 v[42:45], off, off offset:608
	v_fma_f64 v[165:166], v[165:166], v[6:7], v[175:176]
	v_fma_f64 v[163:164], v[163:164], v[6:7], -v[8:9]
	scratch_load_b128 v[6:9], off, off offset:624
	v_add_f64_e32 v[161:162], v[169:170], v[161:162]
	v_add_f64_e32 v[173:174], v[167:168], v[173:174]
	ds_load_b128 v[167:170], v1 offset:1360
	s_wait_loadcnt_dscnt 0x901
	v_mul_f64_e32 v[179:180], v[2:3], v[12:13]
	v_mul_f64_e32 v[12:13], v[4:5], v[12:13]
	v_add_f64_e32 v[161:162], v[161:162], v[177:178]
	v_add_f64_e32 v[171:172], v[173:174], v[171:172]
	s_wait_loadcnt_dscnt 0x800
	v_mul_f64_e32 v[173:174], v[167:168], v[16:17]
	v_mul_f64_e32 v[16:17], v[169:170], v[16:17]
	v_fma_f64 v[175:176], v[4:5], v[10:11], v[179:180]
	v_fma_f64 v[177:178], v[2:3], v[10:11], -v[12:13]
	ds_load_b128 v[2:5], v1 offset:1376
	scratch_load_b128 v[10:13], off, off offset:640
	v_add_f64_e32 v[179:180], v[161:162], v[163:164]
	v_add_f64_e32 v[165:166], v[171:172], v[165:166]
	ds_load_b128 v[161:164], v1 offset:1392
	s_wait_loadcnt_dscnt 0x801
	v_mul_f64_e32 v[171:172], v[2:3], v[20:21]
	v_mul_f64_e32 v[20:21], v[4:5], v[20:21]
	v_fma_f64 v[169:170], v[169:170], v[14:15], v[173:174]
	v_fma_f64 v[167:168], v[167:168], v[14:15], -v[16:17]
	scratch_load_b128 v[14:17], off, off offset:656
	v_add_f64_e32 v[173:174], v[179:180], v[177:178]
	v_add_f64_e32 v[165:166], v[165:166], v[175:176]
	s_wait_loadcnt_dscnt 0x800
	v_mul_f64_e32 v[175:176], v[161:162], v[24:25]
	v_mul_f64_e32 v[24:25], v[163:164], v[24:25]
	v_fma_f64 v[171:172], v[4:5], v[18:19], v[171:172]
	v_fma_f64 v[177:178], v[2:3], v[18:19], -v[20:21]
	ds_load_b128 v[2:5], v1 offset:1408
	scratch_load_b128 v[18:21], off, off offset:672
	v_add_f64_e32 v[173:174], v[173:174], v[167:168]
	v_add_f64_e32 v[169:170], v[165:166], v[169:170]
	ds_load_b128 v[165:168], v1 offset:1424
	s_wait_loadcnt_dscnt 0x801
	v_mul_f64_e32 v[179:180], v[2:3], v[28:29]
	v_mul_f64_e32 v[28:29], v[4:5], v[28:29]
	v_fma_f64 v[163:164], v[163:164], v[22:23], v[175:176]
	v_fma_f64 v[161:162], v[161:162], v[22:23], -v[24:25]
	scratch_load_b128 v[22:25], off, off offset:688
	;; [unrolled: 18-line block ×4, first 2 shown]
	s_wait_loadcnt_dscnt 0x800
	v_mul_f64_e32 v[173:174], v[165:166], v[8:9]
	v_mul_f64_e32 v[8:9], v[167:168], v[8:9]
	v_add_f64_e32 v[171:172], v[171:172], v[177:178]
	v_add_f64_e32 v[169:170], v[169:170], v[175:176]
	v_fma_f64 v[175:176], v[4:5], v[42:43], v[179:180]
	v_fma_f64 v[177:178], v[2:3], v[42:43], -v[44:45]
	ds_load_b128 v[2:5], v1 offset:1504
	scratch_load_b128 v[42:45], off, off offset:768
	v_fma_f64 v[167:168], v[167:168], v[6:7], v[173:174]
	v_fma_f64 v[165:166], v[165:166], v[6:7], -v[8:9]
	scratch_load_b128 v[6:9], off, off offset:784
	v_add_f64_e32 v[171:172], v[171:172], v[161:162]
	v_add_f64_e32 v[169:170], v[169:170], v[163:164]
	ds_load_b128 v[161:164], v1 offset:1520
	s_wait_loadcnt_dscnt 0x901
	v_mul_f64_e32 v[179:180], v[2:3], v[12:13]
	v_mul_f64_e32 v[12:13], v[4:5], v[12:13]
	s_wait_loadcnt_dscnt 0x800
	v_mul_f64_e32 v[173:174], v[161:162], v[16:17]
	v_mul_f64_e32 v[16:17], v[163:164], v[16:17]
	v_add_f64_e32 v[171:172], v[171:172], v[177:178]
	v_add_f64_e32 v[169:170], v[169:170], v[175:176]
	v_fma_f64 v[175:176], v[4:5], v[10:11], v[179:180]
	v_fma_f64 v[177:178], v[2:3], v[10:11], -v[12:13]
	ds_load_b128 v[2:5], v1 offset:1536
	scratch_load_b128 v[10:13], off, off offset:800
	v_fma_f64 v[163:164], v[163:164], v[14:15], v[173:174]
	v_fma_f64 v[161:162], v[161:162], v[14:15], -v[16:17]
	scratch_load_b128 v[14:17], off, off offset:816
	v_add_f64_e32 v[171:172], v[171:172], v[165:166]
	v_add_f64_e32 v[169:170], v[169:170], v[167:168]
	ds_load_b128 v[165:168], v1 offset:1552
	s_wait_loadcnt_dscnt 0x901
	v_mul_f64_e32 v[179:180], v[2:3], v[20:21]
	v_mul_f64_e32 v[20:21], v[4:5], v[20:21]
	;; [unrolled: 18-line block ×4, first 2 shown]
	s_wait_loadcnt_dscnt 0x800
	v_mul_f64_e32 v[173:174], v[165:166], v[40:41]
	v_mul_f64_e32 v[40:41], v[167:168], v[40:41]
	v_add_f64_e32 v[171:172], v[171:172], v[177:178]
	v_add_f64_e32 v[169:170], v[169:170], v[175:176]
	v_fma_f64 v[175:176], v[4:5], v[34:35], v[179:180]
	v_fma_f64 v[177:178], v[2:3], v[34:35], -v[36:37]
	ds_load_b128 v[2:5], v1 offset:1632
	ds_load_b128 v[34:37], v1 offset:1648
	v_fma_f64 v[167:168], v[167:168], v[38:39], v[173:174]
	v_fma_f64 v[38:39], v[165:166], v[38:39], -v[40:41]
	v_add_f64_e32 v[161:162], v[171:172], v[161:162]
	v_add_f64_e32 v[163:164], v[169:170], v[163:164]
	s_wait_loadcnt_dscnt 0x701
	v_mul_f64_e32 v[169:170], v[2:3], v[44:45]
	v_mul_f64_e32 v[44:45], v[4:5], v[44:45]
	s_delay_alu instid0(VALU_DEP_4) | instskip(NEXT) | instid1(VALU_DEP_4)
	v_add_f64_e32 v[40:41], v[161:162], v[177:178]
	v_add_f64_e32 v[161:162], v[163:164], v[175:176]
	s_wait_loadcnt_dscnt 0x600
	v_mul_f64_e32 v[163:164], v[34:35], v[8:9]
	v_mul_f64_e32 v[8:9], v[36:37], v[8:9]
	v_fma_f64 v[165:166], v[4:5], v[42:43], v[169:170]
	v_fma_f64 v[42:43], v[2:3], v[42:43], -v[44:45]
	v_add_f64_e32 v[44:45], v[40:41], v[38:39]
	v_add_f64_e32 v[161:162], v[161:162], v[167:168]
	ds_load_b128 v[2:5], v1 offset:1664
	ds_load_b128 v[38:41], v1 offset:1680
	v_fma_f64 v[36:37], v[36:37], v[6:7], v[163:164]
	v_fma_f64 v[6:7], v[34:35], v[6:7], -v[8:9]
	s_wait_loadcnt_dscnt 0x501
	v_mul_f64_e32 v[167:168], v[2:3], v[12:13]
	v_mul_f64_e32 v[12:13], v[4:5], v[12:13]
	v_add_f64_e32 v[8:9], v[44:45], v[42:43]
	v_add_f64_e32 v[34:35], v[161:162], v[165:166]
	s_wait_loadcnt_dscnt 0x400
	v_mul_f64_e32 v[42:43], v[38:39], v[16:17]
	v_mul_f64_e32 v[16:17], v[40:41], v[16:17]
	v_fma_f64 v[44:45], v[4:5], v[10:11], v[167:168]
	v_fma_f64 v[10:11], v[2:3], v[10:11], -v[12:13]
	v_add_f64_e32 v[12:13], v[8:9], v[6:7]
	v_add_f64_e32 v[34:35], v[34:35], v[36:37]
	ds_load_b128 v[2:5], v1 offset:1696
	ds_load_b128 v[6:9], v1 offset:1712
	v_fma_f64 v[40:41], v[40:41], v[14:15], v[42:43]
	v_fma_f64 v[14:15], v[38:39], v[14:15], -v[16:17]
	s_wait_loadcnt_dscnt 0x301
	v_mul_f64_e32 v[36:37], v[2:3], v[20:21]
	v_mul_f64_e32 v[20:21], v[4:5], v[20:21]
	s_wait_loadcnt_dscnt 0x200
	v_mul_f64_e32 v[16:17], v[6:7], v[24:25]
	v_mul_f64_e32 v[24:25], v[8:9], v[24:25]
	v_add_f64_e32 v[10:11], v[12:13], v[10:11]
	v_add_f64_e32 v[12:13], v[34:35], v[44:45]
	v_fma_f64 v[34:35], v[4:5], v[18:19], v[36:37]
	v_fma_f64 v[18:19], v[2:3], v[18:19], -v[20:21]
	v_fma_f64 v[8:9], v[8:9], v[22:23], v[16:17]
	v_fma_f64 v[6:7], v[6:7], v[22:23], -v[24:25]
	v_add_f64_e32 v[14:15], v[10:11], v[14:15]
	v_add_f64_e32 v[20:21], v[12:13], v[40:41]
	ds_load_b128 v[2:5], v1 offset:1728
	ds_load_b128 v[10:13], v1 offset:1744
	s_wait_loadcnt_dscnt 0x101
	v_mul_f64_e32 v[36:37], v[2:3], v[28:29]
	v_mul_f64_e32 v[28:29], v[4:5], v[28:29]
	v_add_f64_e32 v[14:15], v[14:15], v[18:19]
	v_add_f64_e32 v[16:17], v[20:21], v[34:35]
	s_wait_loadcnt_dscnt 0x0
	v_mul_f64_e32 v[18:19], v[10:11], v[32:33]
	v_mul_f64_e32 v[20:21], v[12:13], v[32:33]
	v_fma_f64 v[4:5], v[4:5], v[26:27], v[36:37]
	v_fma_f64 v[1:2], v[2:3], v[26:27], -v[28:29]
	v_add_f64_e32 v[6:7], v[14:15], v[6:7]
	v_add_f64_e32 v[8:9], v[16:17], v[8:9]
	v_fma_f64 v[12:13], v[12:13], v[30:31], v[18:19]
	v_fma_f64 v[10:11], v[10:11], v[30:31], -v[20:21]
	s_delay_alu instid0(VALU_DEP_4) | instskip(NEXT) | instid1(VALU_DEP_4)
	v_add_f64_e32 v[1:2], v[6:7], v[1:2]
	v_add_f64_e32 v[3:4], v[8:9], v[4:5]
	s_delay_alu instid0(VALU_DEP_2) | instskip(NEXT) | instid1(VALU_DEP_2)
	v_add_f64_e32 v[1:2], v[1:2], v[10:11]
	v_add_f64_e32 v[3:4], v[3:4], v[12:13]
	s_delay_alu instid0(VALU_DEP_2) | instskip(NEXT) | instid1(VALU_DEP_2)
	v_add_f64_e64 v[1:2], v[157:158], -v[1:2]
	v_add_f64_e64 v[3:4], v[159:160], -v[3:4]
	scratch_store_b128 off, v[1:4], off offset:272
	v_cmpx_lt_u32_e32 15, v0
	s_cbranch_execz .LBB118_313
; %bb.312:
	scratch_load_b128 v[1:4], off, s53
	v_mov_b32_e32 v5, 0
	s_delay_alu instid0(VALU_DEP_1)
	v_dual_mov_b32 v6, v5 :: v_dual_mov_b32 v7, v5
	v_mov_b32_e32 v8, v5
	scratch_store_b128 off, v[5:8], off offset:256
	s_wait_loadcnt 0x0
	ds_store_b128 v156, v[1:4]
.LBB118_313:
	s_wait_alu 0xfffe
	s_or_b32 exec_lo, exec_lo, s0
	s_wait_storecnt_dscnt 0x0
	s_barrier_signal -1
	s_barrier_wait -1
	global_inv scope:SCOPE_SE
	s_clause 0x7
	scratch_load_b128 v[2:5], off, off offset:272
	scratch_load_b128 v[6:9], off, off offset:288
	;; [unrolled: 1-line block ×8, first 2 shown]
	v_mov_b32_e32 v1, 0
	s_mov_b32 s0, exec_lo
	ds_load_b128 v[38:41], v1 offset:1136
	s_clause 0x1
	scratch_load_b128 v[34:37], off, off offset:400
	scratch_load_b128 v[42:45], off, off offset:256
	ds_load_b128 v[157:160], v1 offset:1152
	scratch_load_b128 v[161:164], off, off offset:416
	s_wait_loadcnt_dscnt 0xa01
	v_mul_f64_e32 v[165:166], v[40:41], v[4:5]
	v_mul_f64_e32 v[4:5], v[38:39], v[4:5]
	s_delay_alu instid0(VALU_DEP_2) | instskip(NEXT) | instid1(VALU_DEP_2)
	v_fma_f64 v[171:172], v[38:39], v[2:3], -v[165:166]
	v_fma_f64 v[173:174], v[40:41], v[2:3], v[4:5]
	ds_load_b128 v[2:5], v1 offset:1168
	s_wait_loadcnt_dscnt 0x901
	v_mul_f64_e32 v[169:170], v[157:158], v[8:9]
	v_mul_f64_e32 v[8:9], v[159:160], v[8:9]
	scratch_load_b128 v[38:41], off, off offset:432
	ds_load_b128 v[165:168], v1 offset:1184
	s_wait_loadcnt_dscnt 0x901
	v_mul_f64_e32 v[175:176], v[2:3], v[12:13]
	v_mul_f64_e32 v[12:13], v[4:5], v[12:13]
	v_fma_f64 v[159:160], v[159:160], v[6:7], v[169:170]
	v_fma_f64 v[157:158], v[157:158], v[6:7], -v[8:9]
	v_add_f64_e32 v[169:170], 0, v[171:172]
	v_add_f64_e32 v[171:172], 0, v[173:174]
	scratch_load_b128 v[6:9], off, off offset:448
	v_fma_f64 v[175:176], v[4:5], v[10:11], v[175:176]
	v_fma_f64 v[177:178], v[2:3], v[10:11], -v[12:13]
	ds_load_b128 v[2:5], v1 offset:1200
	s_wait_loadcnt_dscnt 0x901
	v_mul_f64_e32 v[173:174], v[165:166], v[16:17]
	v_mul_f64_e32 v[16:17], v[167:168], v[16:17]
	scratch_load_b128 v[10:13], off, off offset:464
	v_add_f64_e32 v[169:170], v[169:170], v[157:158]
	v_add_f64_e32 v[171:172], v[171:172], v[159:160]
	s_wait_loadcnt_dscnt 0x900
	v_mul_f64_e32 v[179:180], v[2:3], v[20:21]
	v_mul_f64_e32 v[20:21], v[4:5], v[20:21]
	ds_load_b128 v[157:160], v1 offset:1216
	v_fma_f64 v[167:168], v[167:168], v[14:15], v[173:174]
	v_fma_f64 v[165:166], v[165:166], v[14:15], -v[16:17]
	scratch_load_b128 v[14:17], off, off offset:480
	v_add_f64_e32 v[169:170], v[169:170], v[177:178]
	v_add_f64_e32 v[171:172], v[171:172], v[175:176]
	v_fma_f64 v[175:176], v[4:5], v[18:19], v[179:180]
	v_fma_f64 v[177:178], v[2:3], v[18:19], -v[20:21]
	ds_load_b128 v[2:5], v1 offset:1232
	s_wait_loadcnt_dscnt 0x901
	v_mul_f64_e32 v[173:174], v[157:158], v[24:25]
	v_mul_f64_e32 v[24:25], v[159:160], v[24:25]
	scratch_load_b128 v[18:21], off, off offset:496
	s_wait_loadcnt_dscnt 0x900
	v_mul_f64_e32 v[179:180], v[2:3], v[28:29]
	v_mul_f64_e32 v[28:29], v[4:5], v[28:29]
	v_add_f64_e32 v[169:170], v[169:170], v[165:166]
	v_add_f64_e32 v[171:172], v[171:172], v[167:168]
	ds_load_b128 v[165:168], v1 offset:1248
	v_fma_f64 v[159:160], v[159:160], v[22:23], v[173:174]
	v_fma_f64 v[157:158], v[157:158], v[22:23], -v[24:25]
	scratch_load_b128 v[22:25], off, off offset:512
	v_add_f64_e32 v[169:170], v[169:170], v[177:178]
	v_add_f64_e32 v[171:172], v[171:172], v[175:176]
	v_fma_f64 v[175:176], v[4:5], v[26:27], v[179:180]
	v_fma_f64 v[177:178], v[2:3], v[26:27], -v[28:29]
	ds_load_b128 v[2:5], v1 offset:1264
	s_wait_loadcnt_dscnt 0x901
	v_mul_f64_e32 v[173:174], v[165:166], v[32:33]
	v_mul_f64_e32 v[32:33], v[167:168], v[32:33]
	scratch_load_b128 v[26:29], off, off offset:528
	s_wait_loadcnt_dscnt 0x900
	v_mul_f64_e32 v[179:180], v[2:3], v[36:37]
	v_mul_f64_e32 v[36:37], v[4:5], v[36:37]
	v_add_f64_e32 v[169:170], v[169:170], v[157:158]
	v_add_f64_e32 v[171:172], v[171:172], v[159:160]
	ds_load_b128 v[157:160], v1 offset:1280
	v_fma_f64 v[167:168], v[167:168], v[30:31], v[173:174]
	v_fma_f64 v[165:166], v[165:166], v[30:31], -v[32:33]
	scratch_load_b128 v[30:33], off, off offset:544
	v_add_f64_e32 v[169:170], v[169:170], v[177:178]
	v_add_f64_e32 v[171:172], v[171:172], v[175:176]
	v_fma_f64 v[177:178], v[4:5], v[34:35], v[179:180]
	v_fma_f64 v[179:180], v[2:3], v[34:35], -v[36:37]
	ds_load_b128 v[2:5], v1 offset:1296
	s_wait_loadcnt_dscnt 0x801
	v_mul_f64_e32 v[173:174], v[157:158], v[163:164]
	v_mul_f64_e32 v[175:176], v[159:160], v[163:164]
	scratch_load_b128 v[34:37], off, off offset:560
	v_add_f64_e32 v[169:170], v[169:170], v[165:166]
	v_add_f64_e32 v[167:168], v[171:172], v[167:168]
	ds_load_b128 v[163:166], v1 offset:1312
	v_fma_f64 v[173:174], v[159:160], v[161:162], v[173:174]
	v_fma_f64 v[161:162], v[157:158], v[161:162], -v[175:176]
	scratch_load_b128 v[157:160], off, off offset:576
	s_wait_loadcnt_dscnt 0x901
	v_mul_f64_e32 v[171:172], v[2:3], v[40:41]
	v_mul_f64_e32 v[40:41], v[4:5], v[40:41]
	v_add_f64_e32 v[169:170], v[169:170], v[179:180]
	v_add_f64_e32 v[167:168], v[167:168], v[177:178]
	s_delay_alu instid0(VALU_DEP_4) | instskip(NEXT) | instid1(VALU_DEP_4)
	v_fma_f64 v[171:172], v[4:5], v[38:39], v[171:172]
	v_fma_f64 v[177:178], v[2:3], v[38:39], -v[40:41]
	ds_load_b128 v[2:5], v1 offset:1328
	s_wait_loadcnt_dscnt 0x801
	v_mul_f64_e32 v[175:176], v[163:164], v[8:9]
	v_mul_f64_e32 v[8:9], v[165:166], v[8:9]
	scratch_load_b128 v[38:41], off, off offset:592
	s_wait_loadcnt_dscnt 0x800
	v_mul_f64_e32 v[179:180], v[2:3], v[12:13]
	v_add_f64_e32 v[161:162], v[169:170], v[161:162]
	v_add_f64_e32 v[173:174], v[167:168], v[173:174]
	v_mul_f64_e32 v[12:13], v[4:5], v[12:13]
	ds_load_b128 v[167:170], v1 offset:1344
	v_fma_f64 v[165:166], v[165:166], v[6:7], v[175:176]
	v_fma_f64 v[163:164], v[163:164], v[6:7], -v[8:9]
	scratch_load_b128 v[6:9], off, off offset:608
	v_fma_f64 v[175:176], v[4:5], v[10:11], v[179:180]
	v_add_f64_e32 v[161:162], v[161:162], v[177:178]
	v_add_f64_e32 v[171:172], v[173:174], v[171:172]
	v_fma_f64 v[177:178], v[2:3], v[10:11], -v[12:13]
	ds_load_b128 v[2:5], v1 offset:1360
	s_wait_loadcnt_dscnt 0x801
	v_mul_f64_e32 v[173:174], v[167:168], v[16:17]
	v_mul_f64_e32 v[16:17], v[169:170], v[16:17]
	scratch_load_b128 v[10:13], off, off offset:624
	v_add_f64_e32 v[179:180], v[161:162], v[163:164]
	v_add_f64_e32 v[165:166], v[171:172], v[165:166]
	s_wait_loadcnt_dscnt 0x800
	v_mul_f64_e32 v[171:172], v[2:3], v[20:21]
	v_mul_f64_e32 v[20:21], v[4:5], v[20:21]
	v_fma_f64 v[169:170], v[169:170], v[14:15], v[173:174]
	v_fma_f64 v[167:168], v[167:168], v[14:15], -v[16:17]
	ds_load_b128 v[161:164], v1 offset:1376
	scratch_load_b128 v[14:17], off, off offset:640
	v_add_f64_e32 v[173:174], v[179:180], v[177:178]
	v_add_f64_e32 v[165:166], v[165:166], v[175:176]
	v_fma_f64 v[171:172], v[4:5], v[18:19], v[171:172]
	v_fma_f64 v[177:178], v[2:3], v[18:19], -v[20:21]
	ds_load_b128 v[2:5], v1 offset:1392
	s_wait_loadcnt_dscnt 0x801
	v_mul_f64_e32 v[175:176], v[161:162], v[24:25]
	v_mul_f64_e32 v[24:25], v[163:164], v[24:25]
	scratch_load_b128 v[18:21], off, off offset:656
	s_wait_loadcnt_dscnt 0x800
	v_mul_f64_e32 v[179:180], v[2:3], v[28:29]
	v_mul_f64_e32 v[28:29], v[4:5], v[28:29]
	v_add_f64_e32 v[173:174], v[173:174], v[167:168]
	v_add_f64_e32 v[169:170], v[165:166], v[169:170]
	ds_load_b128 v[165:168], v1 offset:1408
	v_fma_f64 v[163:164], v[163:164], v[22:23], v[175:176]
	v_fma_f64 v[161:162], v[161:162], v[22:23], -v[24:25]
	scratch_load_b128 v[22:25], off, off offset:672
	v_fma_f64 v[175:176], v[4:5], v[26:27], v[179:180]
	v_add_f64_e32 v[173:174], v[173:174], v[177:178]
	v_add_f64_e32 v[169:170], v[169:170], v[171:172]
	v_fma_f64 v[177:178], v[2:3], v[26:27], -v[28:29]
	ds_load_b128 v[2:5], v1 offset:1424
	s_wait_loadcnt_dscnt 0x801
	v_mul_f64_e32 v[171:172], v[165:166], v[32:33]
	v_mul_f64_e32 v[32:33], v[167:168], v[32:33]
	scratch_load_b128 v[26:29], off, off offset:688
	s_wait_loadcnt_dscnt 0x800
	v_mul_f64_e32 v[179:180], v[2:3], v[36:37]
	v_mul_f64_e32 v[36:37], v[4:5], v[36:37]
	v_add_f64_e32 v[173:174], v[173:174], v[161:162]
	v_add_f64_e32 v[169:170], v[169:170], v[163:164]
	ds_load_b128 v[161:164], v1 offset:1440
	v_fma_f64 v[167:168], v[167:168], v[30:31], v[171:172]
	v_fma_f64 v[165:166], v[165:166], v[30:31], -v[32:33]
	scratch_load_b128 v[30:33], off, off offset:704
	v_add_f64_e32 v[171:172], v[173:174], v[177:178]
	v_add_f64_e32 v[169:170], v[169:170], v[175:176]
	v_fma_f64 v[175:176], v[4:5], v[34:35], v[179:180]
	v_fma_f64 v[177:178], v[2:3], v[34:35], -v[36:37]
	ds_load_b128 v[2:5], v1 offset:1456
	s_wait_loadcnt_dscnt 0x801
	v_mul_f64_e32 v[173:174], v[161:162], v[159:160]
	v_mul_f64_e32 v[159:160], v[163:164], v[159:160]
	scratch_load_b128 v[34:37], off, off offset:720
	s_wait_loadcnt_dscnt 0x800
	v_mul_f64_e32 v[179:180], v[2:3], v[40:41]
	v_mul_f64_e32 v[40:41], v[4:5], v[40:41]
	v_add_f64_e32 v[171:172], v[171:172], v[165:166]
	v_add_f64_e32 v[169:170], v[169:170], v[167:168]
	ds_load_b128 v[165:168], v1 offset:1472
	v_fma_f64 v[163:164], v[163:164], v[157:158], v[173:174]
	v_fma_f64 v[161:162], v[161:162], v[157:158], -v[159:160]
	scratch_load_b128 v[157:160], off, off offset:736
	v_add_f64_e32 v[171:172], v[171:172], v[177:178]
	v_add_f64_e32 v[169:170], v[169:170], v[175:176]
	v_fma_f64 v[175:176], v[4:5], v[38:39], v[179:180]
	;; [unrolled: 18-line block ×6, first 2 shown]
	v_fma_f64 v[179:180], v[2:3], v[34:35], -v[36:37]
	ds_load_b128 v[2:5], v1 offset:1616
	s_wait_loadcnt_dscnt 0x801
	v_mul_f64_e32 v[173:174], v[165:166], v[159:160]
	v_mul_f64_e32 v[175:176], v[167:168], v[159:160]
	scratch_load_b128 v[34:37], off, off offset:880
	v_add_f64_e32 v[171:172], v[171:172], v[161:162]
	v_add_f64_e32 v[163:164], v[169:170], v[163:164]
	s_wait_loadcnt_dscnt 0x800
	v_mul_f64_e32 v[169:170], v[2:3], v[40:41]
	v_mul_f64_e32 v[40:41], v[4:5], v[40:41]
	ds_load_b128 v[159:162], v1 offset:1632
	v_fma_f64 v[167:168], v[167:168], v[157:158], v[173:174]
	v_fma_f64 v[157:158], v[165:166], v[157:158], -v[175:176]
	v_add_f64_e32 v[165:166], v[171:172], v[179:180]
	v_add_f64_e32 v[163:164], v[163:164], v[177:178]
	s_wait_loadcnt_dscnt 0x700
	v_mul_f64_e32 v[171:172], v[159:160], v[8:9]
	v_mul_f64_e32 v[8:9], v[161:162], v[8:9]
	v_fma_f64 v[169:170], v[4:5], v[38:39], v[169:170]
	v_fma_f64 v[173:174], v[2:3], v[38:39], -v[40:41]
	ds_load_b128 v[2:5], v1 offset:1648
	ds_load_b128 v[38:41], v1 offset:1664
	v_add_f64_e32 v[157:158], v[165:166], v[157:158]
	v_add_f64_e32 v[163:164], v[163:164], v[167:168]
	s_wait_loadcnt_dscnt 0x601
	v_mul_f64_e32 v[165:166], v[2:3], v[12:13]
	v_mul_f64_e32 v[12:13], v[4:5], v[12:13]
	v_fma_f64 v[161:162], v[161:162], v[6:7], v[171:172]
	v_fma_f64 v[6:7], v[159:160], v[6:7], -v[8:9]
	s_wait_loadcnt_dscnt 0x500
	v_mul_f64_e32 v[159:160], v[38:39], v[16:17]
	v_mul_f64_e32 v[16:17], v[40:41], v[16:17]
	v_add_f64_e32 v[8:9], v[157:158], v[173:174]
	v_add_f64_e32 v[157:158], v[163:164], v[169:170]
	v_fma_f64 v[163:164], v[4:5], v[10:11], v[165:166]
	v_fma_f64 v[10:11], v[2:3], v[10:11], -v[12:13]
	v_fma_f64 v[40:41], v[40:41], v[14:15], v[159:160]
	v_fma_f64 v[14:15], v[38:39], v[14:15], -v[16:17]
	v_add_f64_e32 v[12:13], v[8:9], v[6:7]
	v_add_f64_e32 v[157:158], v[157:158], v[161:162]
	ds_load_b128 v[2:5], v1 offset:1680
	ds_load_b128 v[6:9], v1 offset:1696
	s_wait_loadcnt_dscnt 0x401
	v_mul_f64_e32 v[161:162], v[2:3], v[20:21]
	v_mul_f64_e32 v[20:21], v[4:5], v[20:21]
	s_wait_loadcnt_dscnt 0x300
	v_mul_f64_e32 v[16:17], v[6:7], v[24:25]
	v_mul_f64_e32 v[24:25], v[8:9], v[24:25]
	v_add_f64_e32 v[10:11], v[12:13], v[10:11]
	v_add_f64_e32 v[12:13], v[157:158], v[163:164]
	v_fma_f64 v[38:39], v[4:5], v[18:19], v[161:162]
	v_fma_f64 v[18:19], v[2:3], v[18:19], -v[20:21]
	v_fma_f64 v[8:9], v[8:9], v[22:23], v[16:17]
	v_fma_f64 v[6:7], v[6:7], v[22:23], -v[24:25]
	v_add_f64_e32 v[14:15], v[10:11], v[14:15]
	v_add_f64_e32 v[20:21], v[12:13], v[40:41]
	ds_load_b128 v[2:5], v1 offset:1712
	ds_load_b128 v[10:13], v1 offset:1728
	s_wait_loadcnt_dscnt 0x201
	v_mul_f64_e32 v[40:41], v[2:3], v[28:29]
	v_mul_f64_e32 v[28:29], v[4:5], v[28:29]
	v_add_f64_e32 v[14:15], v[14:15], v[18:19]
	v_add_f64_e32 v[16:17], v[20:21], v[38:39]
	s_wait_loadcnt_dscnt 0x100
	v_mul_f64_e32 v[18:19], v[10:11], v[32:33]
	v_mul_f64_e32 v[20:21], v[12:13], v[32:33]
	v_fma_f64 v[22:23], v[4:5], v[26:27], v[40:41]
	v_fma_f64 v[24:25], v[2:3], v[26:27], -v[28:29]
	ds_load_b128 v[2:5], v1 offset:1744
	v_add_f64_e32 v[6:7], v[14:15], v[6:7]
	v_add_f64_e32 v[8:9], v[16:17], v[8:9]
	v_fma_f64 v[12:13], v[12:13], v[30:31], v[18:19]
	v_fma_f64 v[10:11], v[10:11], v[30:31], -v[20:21]
	s_wait_loadcnt_dscnt 0x0
	v_mul_f64_e32 v[14:15], v[2:3], v[36:37]
	v_mul_f64_e32 v[16:17], v[4:5], v[36:37]
	v_add_f64_e32 v[6:7], v[6:7], v[24:25]
	v_add_f64_e32 v[8:9], v[8:9], v[22:23]
	s_delay_alu instid0(VALU_DEP_4) | instskip(NEXT) | instid1(VALU_DEP_4)
	v_fma_f64 v[4:5], v[4:5], v[34:35], v[14:15]
	v_fma_f64 v[2:3], v[2:3], v[34:35], -v[16:17]
	s_delay_alu instid0(VALU_DEP_4) | instskip(NEXT) | instid1(VALU_DEP_4)
	v_add_f64_e32 v[6:7], v[6:7], v[10:11]
	v_add_f64_e32 v[8:9], v[8:9], v[12:13]
	s_delay_alu instid0(VALU_DEP_2) | instskip(NEXT) | instid1(VALU_DEP_2)
	v_add_f64_e32 v[2:3], v[6:7], v[2:3]
	v_add_f64_e32 v[4:5], v[8:9], v[4:5]
	s_delay_alu instid0(VALU_DEP_2) | instskip(NEXT) | instid1(VALU_DEP_2)
	v_add_f64_e64 v[2:3], v[42:43], -v[2:3]
	v_add_f64_e64 v[4:5], v[44:45], -v[4:5]
	scratch_store_b128 off, v[2:5], off offset:256
	v_cmpx_lt_u32_e32 14, v0
	s_cbranch_execz .LBB118_315
; %bb.314:
	scratch_load_b128 v[5:8], off, s54
	v_dual_mov_b32 v2, v1 :: v_dual_mov_b32 v3, v1
	v_mov_b32_e32 v4, v1
	scratch_store_b128 off, v[1:4], off offset:240
	s_wait_loadcnt 0x0
	ds_store_b128 v156, v[5:8]
.LBB118_315:
	s_wait_alu 0xfffe
	s_or_b32 exec_lo, exec_lo, s0
	s_wait_storecnt_dscnt 0x0
	s_barrier_signal -1
	s_barrier_wait -1
	global_inv scope:SCOPE_SE
	s_clause 0x8
	scratch_load_b128 v[2:5], off, off offset:256
	scratch_load_b128 v[6:9], off, off offset:272
	;; [unrolled: 1-line block ×9, first 2 shown]
	ds_load_b128 v[42:45], v1 offset:1120
	ds_load_b128 v[38:41], v1 offset:1136
	s_clause 0x1
	scratch_load_b128 v[157:160], off, off offset:240
	scratch_load_b128 v[161:164], off, off offset:400
	s_mov_b32 s0, exec_lo
	s_wait_loadcnt_dscnt 0xa01
	v_mul_f64_e32 v[165:166], v[44:45], v[4:5]
	v_mul_f64_e32 v[4:5], v[42:43], v[4:5]
	s_wait_loadcnt_dscnt 0x900
	v_mul_f64_e32 v[169:170], v[38:39], v[8:9]
	v_mul_f64_e32 v[8:9], v[40:41], v[8:9]
	s_delay_alu instid0(VALU_DEP_4) | instskip(NEXT) | instid1(VALU_DEP_4)
	v_fma_f64 v[171:172], v[42:43], v[2:3], -v[165:166]
	v_fma_f64 v[173:174], v[44:45], v[2:3], v[4:5]
	ds_load_b128 v[2:5], v1 offset:1152
	ds_load_b128 v[165:168], v1 offset:1168
	scratch_load_b128 v[42:45], off, off offset:416
	v_fma_f64 v[40:41], v[40:41], v[6:7], v[169:170]
	v_fma_f64 v[38:39], v[38:39], v[6:7], -v[8:9]
	scratch_load_b128 v[6:9], off, off offset:432
	s_wait_loadcnt_dscnt 0xa01
	v_mul_f64_e32 v[175:176], v[2:3], v[12:13]
	v_mul_f64_e32 v[12:13], v[4:5], v[12:13]
	v_add_f64_e32 v[169:170], 0, v[171:172]
	v_add_f64_e32 v[171:172], 0, v[173:174]
	s_wait_loadcnt_dscnt 0x900
	v_mul_f64_e32 v[173:174], v[165:166], v[16:17]
	v_mul_f64_e32 v[16:17], v[167:168], v[16:17]
	v_fma_f64 v[175:176], v[4:5], v[10:11], v[175:176]
	v_fma_f64 v[177:178], v[2:3], v[10:11], -v[12:13]
	ds_load_b128 v[2:5], v1 offset:1184
	scratch_load_b128 v[10:13], off, off offset:448
	v_add_f64_e32 v[169:170], v[169:170], v[38:39]
	v_add_f64_e32 v[171:172], v[171:172], v[40:41]
	ds_load_b128 v[38:41], v1 offset:1200
	v_fma_f64 v[167:168], v[167:168], v[14:15], v[173:174]
	v_fma_f64 v[165:166], v[165:166], v[14:15], -v[16:17]
	scratch_load_b128 v[14:17], off, off offset:464
	s_wait_loadcnt_dscnt 0xa01
	v_mul_f64_e32 v[179:180], v[2:3], v[20:21]
	v_mul_f64_e32 v[20:21], v[4:5], v[20:21]
	s_wait_loadcnt_dscnt 0x900
	v_mul_f64_e32 v[173:174], v[38:39], v[24:25]
	v_mul_f64_e32 v[24:25], v[40:41], v[24:25]
	v_add_f64_e32 v[169:170], v[169:170], v[177:178]
	v_add_f64_e32 v[171:172], v[171:172], v[175:176]
	v_fma_f64 v[175:176], v[4:5], v[18:19], v[179:180]
	v_fma_f64 v[177:178], v[2:3], v[18:19], -v[20:21]
	ds_load_b128 v[2:5], v1 offset:1216
	scratch_load_b128 v[18:21], off, off offset:480
	v_fma_f64 v[40:41], v[40:41], v[22:23], v[173:174]
	v_fma_f64 v[38:39], v[38:39], v[22:23], -v[24:25]
	scratch_load_b128 v[22:25], off, off offset:496
	v_add_f64_e32 v[169:170], v[169:170], v[165:166]
	v_add_f64_e32 v[171:172], v[171:172], v[167:168]
	ds_load_b128 v[165:168], v1 offset:1232
	s_wait_loadcnt_dscnt 0xa01
	v_mul_f64_e32 v[179:180], v[2:3], v[28:29]
	v_mul_f64_e32 v[28:29], v[4:5], v[28:29]
	s_wait_loadcnt_dscnt 0x900
	v_mul_f64_e32 v[173:174], v[165:166], v[32:33]
	v_mul_f64_e32 v[32:33], v[167:168], v[32:33]
	v_add_f64_e32 v[169:170], v[169:170], v[177:178]
	v_add_f64_e32 v[171:172], v[171:172], v[175:176]
	v_fma_f64 v[175:176], v[4:5], v[26:27], v[179:180]
	v_fma_f64 v[177:178], v[2:3], v[26:27], -v[28:29]
	ds_load_b128 v[2:5], v1 offset:1248
	scratch_load_b128 v[26:29], off, off offset:512
	v_fma_f64 v[167:168], v[167:168], v[30:31], v[173:174]
	v_fma_f64 v[165:166], v[165:166], v[30:31], -v[32:33]
	scratch_load_b128 v[30:33], off, off offset:528
	v_add_f64_e32 v[169:170], v[169:170], v[38:39]
	v_add_f64_e32 v[171:172], v[171:172], v[40:41]
	ds_load_b128 v[38:41], v1 offset:1264
	s_wait_loadcnt_dscnt 0xa01
	v_mul_f64_e32 v[179:180], v[2:3], v[36:37]
	v_mul_f64_e32 v[36:37], v[4:5], v[36:37]
	s_wait_loadcnt_dscnt 0x800
	v_mul_f64_e32 v[173:174], v[38:39], v[163:164]
	v_add_f64_e32 v[169:170], v[169:170], v[177:178]
	v_add_f64_e32 v[171:172], v[171:172], v[175:176]
	v_mul_f64_e32 v[175:176], v[40:41], v[163:164]
	v_fma_f64 v[177:178], v[4:5], v[34:35], v[179:180]
	v_fma_f64 v[179:180], v[2:3], v[34:35], -v[36:37]
	ds_load_b128 v[2:5], v1 offset:1280
	scratch_load_b128 v[34:37], off, off offset:544
	v_fma_f64 v[173:174], v[40:41], v[161:162], v[173:174]
	v_add_f64_e32 v[169:170], v[169:170], v[165:166]
	v_add_f64_e32 v[167:168], v[171:172], v[167:168]
	ds_load_b128 v[163:166], v1 offset:1296
	v_fma_f64 v[161:162], v[38:39], v[161:162], -v[175:176]
	scratch_load_b128 v[38:41], off, off offset:560
	s_wait_loadcnt_dscnt 0x901
	v_mul_f64_e32 v[171:172], v[2:3], v[44:45]
	v_mul_f64_e32 v[44:45], v[4:5], v[44:45]
	s_wait_loadcnt_dscnt 0x800
	v_mul_f64_e32 v[175:176], v[163:164], v[8:9]
	v_mul_f64_e32 v[8:9], v[165:166], v[8:9]
	v_add_f64_e32 v[169:170], v[169:170], v[179:180]
	v_add_f64_e32 v[167:168], v[167:168], v[177:178]
	v_fma_f64 v[171:172], v[4:5], v[42:43], v[171:172]
	v_fma_f64 v[177:178], v[2:3], v[42:43], -v[44:45]
	ds_load_b128 v[2:5], v1 offset:1312
	scratch_load_b128 v[42:45], off, off offset:576
	v_fma_f64 v[165:166], v[165:166], v[6:7], v[175:176]
	v_fma_f64 v[163:164], v[163:164], v[6:7], -v[8:9]
	scratch_load_b128 v[6:9], off, off offset:592
	v_add_f64_e32 v[161:162], v[169:170], v[161:162]
	v_add_f64_e32 v[173:174], v[167:168], v[173:174]
	ds_load_b128 v[167:170], v1 offset:1328
	s_wait_loadcnt_dscnt 0x901
	v_mul_f64_e32 v[179:180], v[2:3], v[12:13]
	v_mul_f64_e32 v[12:13], v[4:5], v[12:13]
	v_add_f64_e32 v[161:162], v[161:162], v[177:178]
	v_add_f64_e32 v[171:172], v[173:174], v[171:172]
	s_wait_loadcnt_dscnt 0x800
	v_mul_f64_e32 v[173:174], v[167:168], v[16:17]
	v_mul_f64_e32 v[16:17], v[169:170], v[16:17]
	v_fma_f64 v[175:176], v[4:5], v[10:11], v[179:180]
	v_fma_f64 v[177:178], v[2:3], v[10:11], -v[12:13]
	ds_load_b128 v[2:5], v1 offset:1344
	scratch_load_b128 v[10:13], off, off offset:608
	v_add_f64_e32 v[179:180], v[161:162], v[163:164]
	v_add_f64_e32 v[165:166], v[171:172], v[165:166]
	ds_load_b128 v[161:164], v1 offset:1360
	s_wait_loadcnt_dscnt 0x801
	v_mul_f64_e32 v[171:172], v[2:3], v[20:21]
	v_mul_f64_e32 v[20:21], v[4:5], v[20:21]
	v_fma_f64 v[169:170], v[169:170], v[14:15], v[173:174]
	v_fma_f64 v[167:168], v[167:168], v[14:15], -v[16:17]
	scratch_load_b128 v[14:17], off, off offset:624
	v_add_f64_e32 v[173:174], v[179:180], v[177:178]
	v_add_f64_e32 v[165:166], v[165:166], v[175:176]
	s_wait_loadcnt_dscnt 0x800
	v_mul_f64_e32 v[175:176], v[161:162], v[24:25]
	v_mul_f64_e32 v[24:25], v[163:164], v[24:25]
	v_fma_f64 v[171:172], v[4:5], v[18:19], v[171:172]
	v_fma_f64 v[177:178], v[2:3], v[18:19], -v[20:21]
	ds_load_b128 v[2:5], v1 offset:1376
	scratch_load_b128 v[18:21], off, off offset:640
	v_add_f64_e32 v[173:174], v[173:174], v[167:168]
	v_add_f64_e32 v[169:170], v[165:166], v[169:170]
	ds_load_b128 v[165:168], v1 offset:1392
	s_wait_loadcnt_dscnt 0x801
	v_mul_f64_e32 v[179:180], v[2:3], v[28:29]
	v_mul_f64_e32 v[28:29], v[4:5], v[28:29]
	v_fma_f64 v[163:164], v[163:164], v[22:23], v[175:176]
	v_fma_f64 v[161:162], v[161:162], v[22:23], -v[24:25]
	scratch_load_b128 v[22:25], off, off offset:656
	;; [unrolled: 18-line block ×4, first 2 shown]
	s_wait_loadcnt_dscnt 0x800
	v_mul_f64_e32 v[173:174], v[165:166], v[8:9]
	v_mul_f64_e32 v[8:9], v[167:168], v[8:9]
	v_add_f64_e32 v[171:172], v[171:172], v[177:178]
	v_add_f64_e32 v[169:170], v[169:170], v[175:176]
	v_fma_f64 v[175:176], v[4:5], v[42:43], v[179:180]
	v_fma_f64 v[177:178], v[2:3], v[42:43], -v[44:45]
	ds_load_b128 v[2:5], v1 offset:1472
	scratch_load_b128 v[42:45], off, off offset:736
	v_fma_f64 v[167:168], v[167:168], v[6:7], v[173:174]
	v_fma_f64 v[165:166], v[165:166], v[6:7], -v[8:9]
	scratch_load_b128 v[6:9], off, off offset:752
	v_add_f64_e32 v[171:172], v[171:172], v[161:162]
	v_add_f64_e32 v[169:170], v[169:170], v[163:164]
	ds_load_b128 v[161:164], v1 offset:1488
	s_wait_loadcnt_dscnt 0x901
	v_mul_f64_e32 v[179:180], v[2:3], v[12:13]
	v_mul_f64_e32 v[12:13], v[4:5], v[12:13]
	s_wait_loadcnt_dscnt 0x800
	v_mul_f64_e32 v[173:174], v[161:162], v[16:17]
	v_mul_f64_e32 v[16:17], v[163:164], v[16:17]
	v_add_f64_e32 v[171:172], v[171:172], v[177:178]
	v_add_f64_e32 v[169:170], v[169:170], v[175:176]
	v_fma_f64 v[175:176], v[4:5], v[10:11], v[179:180]
	v_fma_f64 v[177:178], v[2:3], v[10:11], -v[12:13]
	ds_load_b128 v[2:5], v1 offset:1504
	scratch_load_b128 v[10:13], off, off offset:768
	v_fma_f64 v[163:164], v[163:164], v[14:15], v[173:174]
	v_fma_f64 v[161:162], v[161:162], v[14:15], -v[16:17]
	scratch_load_b128 v[14:17], off, off offset:784
	v_add_f64_e32 v[171:172], v[171:172], v[165:166]
	v_add_f64_e32 v[169:170], v[169:170], v[167:168]
	ds_load_b128 v[165:168], v1 offset:1520
	s_wait_loadcnt_dscnt 0x901
	v_mul_f64_e32 v[179:180], v[2:3], v[20:21]
	v_mul_f64_e32 v[20:21], v[4:5], v[20:21]
	;; [unrolled: 18-line block ×5, first 2 shown]
	s_wait_loadcnt_dscnt 0x800
	v_mul_f64_e32 v[173:174], v[161:162], v[8:9]
	v_mul_f64_e32 v[8:9], v[163:164], v[8:9]
	v_add_f64_e32 v[171:172], v[171:172], v[177:178]
	v_add_f64_e32 v[169:170], v[169:170], v[175:176]
	v_fma_f64 v[175:176], v[4:5], v[42:43], v[179:180]
	v_fma_f64 v[177:178], v[2:3], v[42:43], -v[44:45]
	ds_load_b128 v[2:5], v1 offset:1632
	ds_load_b128 v[42:45], v1 offset:1648
	v_fma_f64 v[163:164], v[163:164], v[6:7], v[173:174]
	v_fma_f64 v[6:7], v[161:162], v[6:7], -v[8:9]
	v_add_f64_e32 v[165:166], v[171:172], v[165:166]
	v_add_f64_e32 v[167:168], v[169:170], v[167:168]
	s_wait_loadcnt_dscnt 0x701
	v_mul_f64_e32 v[169:170], v[2:3], v[12:13]
	v_mul_f64_e32 v[12:13], v[4:5], v[12:13]
	s_delay_alu instid0(VALU_DEP_4) | instskip(NEXT) | instid1(VALU_DEP_4)
	v_add_f64_e32 v[8:9], v[165:166], v[177:178]
	v_add_f64_e32 v[161:162], v[167:168], v[175:176]
	s_wait_loadcnt_dscnt 0x600
	v_mul_f64_e32 v[165:166], v[42:43], v[16:17]
	v_mul_f64_e32 v[16:17], v[44:45], v[16:17]
	v_fma_f64 v[167:168], v[4:5], v[10:11], v[169:170]
	v_fma_f64 v[10:11], v[2:3], v[10:11], -v[12:13]
	v_add_f64_e32 v[12:13], v[8:9], v[6:7]
	v_add_f64_e32 v[161:162], v[161:162], v[163:164]
	ds_load_b128 v[2:5], v1 offset:1664
	ds_load_b128 v[6:9], v1 offset:1680
	v_fma_f64 v[44:45], v[44:45], v[14:15], v[165:166]
	v_fma_f64 v[14:15], v[42:43], v[14:15], -v[16:17]
	s_wait_loadcnt_dscnt 0x501
	v_mul_f64_e32 v[163:164], v[2:3], v[20:21]
	v_mul_f64_e32 v[20:21], v[4:5], v[20:21]
	s_wait_loadcnt_dscnt 0x400
	v_mul_f64_e32 v[16:17], v[6:7], v[24:25]
	v_mul_f64_e32 v[24:25], v[8:9], v[24:25]
	v_add_f64_e32 v[10:11], v[12:13], v[10:11]
	v_add_f64_e32 v[12:13], v[161:162], v[167:168]
	v_fma_f64 v[42:43], v[4:5], v[18:19], v[163:164]
	v_fma_f64 v[18:19], v[2:3], v[18:19], -v[20:21]
	v_fma_f64 v[8:9], v[8:9], v[22:23], v[16:17]
	v_fma_f64 v[6:7], v[6:7], v[22:23], -v[24:25]
	v_add_f64_e32 v[14:15], v[10:11], v[14:15]
	v_add_f64_e32 v[20:21], v[12:13], v[44:45]
	ds_load_b128 v[2:5], v1 offset:1696
	ds_load_b128 v[10:13], v1 offset:1712
	s_wait_loadcnt_dscnt 0x301
	v_mul_f64_e32 v[44:45], v[2:3], v[28:29]
	v_mul_f64_e32 v[28:29], v[4:5], v[28:29]
	v_add_f64_e32 v[14:15], v[14:15], v[18:19]
	v_add_f64_e32 v[16:17], v[20:21], v[42:43]
	s_wait_loadcnt_dscnt 0x200
	v_mul_f64_e32 v[18:19], v[10:11], v[32:33]
	v_mul_f64_e32 v[20:21], v[12:13], v[32:33]
	v_fma_f64 v[22:23], v[4:5], v[26:27], v[44:45]
	v_fma_f64 v[24:25], v[2:3], v[26:27], -v[28:29]
	v_add_f64_e32 v[14:15], v[14:15], v[6:7]
	v_add_f64_e32 v[16:17], v[16:17], v[8:9]
	ds_load_b128 v[2:5], v1 offset:1728
	ds_load_b128 v[6:9], v1 offset:1744
	v_fma_f64 v[12:13], v[12:13], v[30:31], v[18:19]
	v_fma_f64 v[10:11], v[10:11], v[30:31], -v[20:21]
	s_wait_loadcnt_dscnt 0x101
	v_mul_f64_e32 v[26:27], v[2:3], v[36:37]
	v_mul_f64_e32 v[28:29], v[4:5], v[36:37]
	s_wait_loadcnt_dscnt 0x0
	v_mul_f64_e32 v[18:19], v[6:7], v[40:41]
	v_mul_f64_e32 v[20:21], v[8:9], v[40:41]
	v_add_f64_e32 v[14:15], v[14:15], v[24:25]
	v_add_f64_e32 v[16:17], v[16:17], v[22:23]
	v_fma_f64 v[4:5], v[4:5], v[34:35], v[26:27]
	v_fma_f64 v[1:2], v[2:3], v[34:35], -v[28:29]
	v_fma_f64 v[8:9], v[8:9], v[38:39], v[18:19]
	v_fma_f64 v[6:7], v[6:7], v[38:39], -v[20:21]
	v_add_f64_e32 v[10:11], v[14:15], v[10:11]
	v_add_f64_e32 v[12:13], v[16:17], v[12:13]
	s_delay_alu instid0(VALU_DEP_2) | instskip(NEXT) | instid1(VALU_DEP_2)
	v_add_f64_e32 v[1:2], v[10:11], v[1:2]
	v_add_f64_e32 v[3:4], v[12:13], v[4:5]
	s_delay_alu instid0(VALU_DEP_2) | instskip(NEXT) | instid1(VALU_DEP_2)
	;; [unrolled: 3-line block ×3, first 2 shown]
	v_add_f64_e64 v[1:2], v[157:158], -v[1:2]
	v_add_f64_e64 v[3:4], v[159:160], -v[3:4]
	scratch_store_b128 off, v[1:4], off offset:240
	v_cmpx_lt_u32_e32 13, v0
	s_cbranch_execz .LBB118_317
; %bb.316:
	scratch_load_b128 v[1:4], off, s55
	v_mov_b32_e32 v5, 0
	s_delay_alu instid0(VALU_DEP_1)
	v_dual_mov_b32 v6, v5 :: v_dual_mov_b32 v7, v5
	v_mov_b32_e32 v8, v5
	scratch_store_b128 off, v[5:8], off offset:224
	s_wait_loadcnt 0x0
	ds_store_b128 v156, v[1:4]
.LBB118_317:
	s_wait_alu 0xfffe
	s_or_b32 exec_lo, exec_lo, s0
	s_wait_storecnt_dscnt 0x0
	s_barrier_signal -1
	s_barrier_wait -1
	global_inv scope:SCOPE_SE
	s_clause 0x7
	scratch_load_b128 v[2:5], off, off offset:240
	scratch_load_b128 v[6:9], off, off offset:256
	;; [unrolled: 1-line block ×8, first 2 shown]
	v_mov_b32_e32 v1, 0
	s_mov_b32 s0, exec_lo
	ds_load_b128 v[38:41], v1 offset:1104
	s_clause 0x1
	scratch_load_b128 v[34:37], off, off offset:368
	scratch_load_b128 v[42:45], off, off offset:224
	ds_load_b128 v[157:160], v1 offset:1120
	scratch_load_b128 v[161:164], off, off offset:384
	s_wait_loadcnt_dscnt 0xa01
	v_mul_f64_e32 v[165:166], v[40:41], v[4:5]
	v_mul_f64_e32 v[4:5], v[38:39], v[4:5]
	s_delay_alu instid0(VALU_DEP_2) | instskip(NEXT) | instid1(VALU_DEP_2)
	v_fma_f64 v[171:172], v[38:39], v[2:3], -v[165:166]
	v_fma_f64 v[173:174], v[40:41], v[2:3], v[4:5]
	ds_load_b128 v[2:5], v1 offset:1136
	s_wait_loadcnt_dscnt 0x901
	v_mul_f64_e32 v[169:170], v[157:158], v[8:9]
	v_mul_f64_e32 v[8:9], v[159:160], v[8:9]
	scratch_load_b128 v[38:41], off, off offset:400
	ds_load_b128 v[165:168], v1 offset:1152
	s_wait_loadcnt_dscnt 0x901
	v_mul_f64_e32 v[175:176], v[2:3], v[12:13]
	v_mul_f64_e32 v[12:13], v[4:5], v[12:13]
	v_fma_f64 v[159:160], v[159:160], v[6:7], v[169:170]
	v_fma_f64 v[157:158], v[157:158], v[6:7], -v[8:9]
	v_add_f64_e32 v[169:170], 0, v[171:172]
	v_add_f64_e32 v[171:172], 0, v[173:174]
	scratch_load_b128 v[6:9], off, off offset:416
	v_fma_f64 v[175:176], v[4:5], v[10:11], v[175:176]
	v_fma_f64 v[177:178], v[2:3], v[10:11], -v[12:13]
	ds_load_b128 v[2:5], v1 offset:1168
	s_wait_loadcnt_dscnt 0x901
	v_mul_f64_e32 v[173:174], v[165:166], v[16:17]
	v_mul_f64_e32 v[16:17], v[167:168], v[16:17]
	scratch_load_b128 v[10:13], off, off offset:432
	v_add_f64_e32 v[169:170], v[169:170], v[157:158]
	v_add_f64_e32 v[171:172], v[171:172], v[159:160]
	s_wait_loadcnt_dscnt 0x900
	v_mul_f64_e32 v[179:180], v[2:3], v[20:21]
	v_mul_f64_e32 v[20:21], v[4:5], v[20:21]
	ds_load_b128 v[157:160], v1 offset:1184
	v_fma_f64 v[167:168], v[167:168], v[14:15], v[173:174]
	v_fma_f64 v[165:166], v[165:166], v[14:15], -v[16:17]
	scratch_load_b128 v[14:17], off, off offset:448
	v_add_f64_e32 v[169:170], v[169:170], v[177:178]
	v_add_f64_e32 v[171:172], v[171:172], v[175:176]
	v_fma_f64 v[175:176], v[4:5], v[18:19], v[179:180]
	v_fma_f64 v[177:178], v[2:3], v[18:19], -v[20:21]
	ds_load_b128 v[2:5], v1 offset:1200
	s_wait_loadcnt_dscnt 0x901
	v_mul_f64_e32 v[173:174], v[157:158], v[24:25]
	v_mul_f64_e32 v[24:25], v[159:160], v[24:25]
	scratch_load_b128 v[18:21], off, off offset:464
	s_wait_loadcnt_dscnt 0x900
	v_mul_f64_e32 v[179:180], v[2:3], v[28:29]
	v_mul_f64_e32 v[28:29], v[4:5], v[28:29]
	v_add_f64_e32 v[169:170], v[169:170], v[165:166]
	v_add_f64_e32 v[171:172], v[171:172], v[167:168]
	ds_load_b128 v[165:168], v1 offset:1216
	v_fma_f64 v[159:160], v[159:160], v[22:23], v[173:174]
	v_fma_f64 v[157:158], v[157:158], v[22:23], -v[24:25]
	scratch_load_b128 v[22:25], off, off offset:480
	v_add_f64_e32 v[169:170], v[169:170], v[177:178]
	v_add_f64_e32 v[171:172], v[171:172], v[175:176]
	v_fma_f64 v[175:176], v[4:5], v[26:27], v[179:180]
	v_fma_f64 v[177:178], v[2:3], v[26:27], -v[28:29]
	ds_load_b128 v[2:5], v1 offset:1232
	s_wait_loadcnt_dscnt 0x901
	v_mul_f64_e32 v[173:174], v[165:166], v[32:33]
	v_mul_f64_e32 v[32:33], v[167:168], v[32:33]
	scratch_load_b128 v[26:29], off, off offset:496
	s_wait_loadcnt_dscnt 0x900
	v_mul_f64_e32 v[179:180], v[2:3], v[36:37]
	v_mul_f64_e32 v[36:37], v[4:5], v[36:37]
	v_add_f64_e32 v[169:170], v[169:170], v[157:158]
	v_add_f64_e32 v[171:172], v[171:172], v[159:160]
	ds_load_b128 v[157:160], v1 offset:1248
	v_fma_f64 v[167:168], v[167:168], v[30:31], v[173:174]
	v_fma_f64 v[165:166], v[165:166], v[30:31], -v[32:33]
	scratch_load_b128 v[30:33], off, off offset:512
	v_add_f64_e32 v[169:170], v[169:170], v[177:178]
	v_add_f64_e32 v[171:172], v[171:172], v[175:176]
	v_fma_f64 v[177:178], v[4:5], v[34:35], v[179:180]
	v_fma_f64 v[179:180], v[2:3], v[34:35], -v[36:37]
	ds_load_b128 v[2:5], v1 offset:1264
	s_wait_loadcnt_dscnt 0x801
	v_mul_f64_e32 v[173:174], v[157:158], v[163:164]
	v_mul_f64_e32 v[175:176], v[159:160], v[163:164]
	scratch_load_b128 v[34:37], off, off offset:528
	v_add_f64_e32 v[169:170], v[169:170], v[165:166]
	v_add_f64_e32 v[167:168], v[171:172], v[167:168]
	ds_load_b128 v[163:166], v1 offset:1280
	v_fma_f64 v[173:174], v[159:160], v[161:162], v[173:174]
	v_fma_f64 v[161:162], v[157:158], v[161:162], -v[175:176]
	scratch_load_b128 v[157:160], off, off offset:544
	s_wait_loadcnt_dscnt 0x901
	v_mul_f64_e32 v[171:172], v[2:3], v[40:41]
	v_mul_f64_e32 v[40:41], v[4:5], v[40:41]
	v_add_f64_e32 v[169:170], v[169:170], v[179:180]
	v_add_f64_e32 v[167:168], v[167:168], v[177:178]
	s_delay_alu instid0(VALU_DEP_4) | instskip(NEXT) | instid1(VALU_DEP_4)
	v_fma_f64 v[171:172], v[4:5], v[38:39], v[171:172]
	v_fma_f64 v[177:178], v[2:3], v[38:39], -v[40:41]
	ds_load_b128 v[2:5], v1 offset:1296
	s_wait_loadcnt_dscnt 0x801
	v_mul_f64_e32 v[175:176], v[163:164], v[8:9]
	v_mul_f64_e32 v[8:9], v[165:166], v[8:9]
	scratch_load_b128 v[38:41], off, off offset:560
	s_wait_loadcnt_dscnt 0x800
	v_mul_f64_e32 v[179:180], v[2:3], v[12:13]
	v_add_f64_e32 v[161:162], v[169:170], v[161:162]
	v_add_f64_e32 v[173:174], v[167:168], v[173:174]
	v_mul_f64_e32 v[12:13], v[4:5], v[12:13]
	ds_load_b128 v[167:170], v1 offset:1312
	v_fma_f64 v[165:166], v[165:166], v[6:7], v[175:176]
	v_fma_f64 v[163:164], v[163:164], v[6:7], -v[8:9]
	scratch_load_b128 v[6:9], off, off offset:576
	v_fma_f64 v[175:176], v[4:5], v[10:11], v[179:180]
	v_add_f64_e32 v[161:162], v[161:162], v[177:178]
	v_add_f64_e32 v[171:172], v[173:174], v[171:172]
	v_fma_f64 v[177:178], v[2:3], v[10:11], -v[12:13]
	ds_load_b128 v[2:5], v1 offset:1328
	s_wait_loadcnt_dscnt 0x801
	v_mul_f64_e32 v[173:174], v[167:168], v[16:17]
	v_mul_f64_e32 v[16:17], v[169:170], v[16:17]
	scratch_load_b128 v[10:13], off, off offset:592
	v_add_f64_e32 v[179:180], v[161:162], v[163:164]
	v_add_f64_e32 v[165:166], v[171:172], v[165:166]
	s_wait_loadcnt_dscnt 0x800
	v_mul_f64_e32 v[171:172], v[2:3], v[20:21]
	v_mul_f64_e32 v[20:21], v[4:5], v[20:21]
	v_fma_f64 v[169:170], v[169:170], v[14:15], v[173:174]
	v_fma_f64 v[167:168], v[167:168], v[14:15], -v[16:17]
	ds_load_b128 v[161:164], v1 offset:1344
	scratch_load_b128 v[14:17], off, off offset:608
	v_add_f64_e32 v[173:174], v[179:180], v[177:178]
	v_add_f64_e32 v[165:166], v[165:166], v[175:176]
	v_fma_f64 v[171:172], v[4:5], v[18:19], v[171:172]
	v_fma_f64 v[177:178], v[2:3], v[18:19], -v[20:21]
	ds_load_b128 v[2:5], v1 offset:1360
	s_wait_loadcnt_dscnt 0x801
	v_mul_f64_e32 v[175:176], v[161:162], v[24:25]
	v_mul_f64_e32 v[24:25], v[163:164], v[24:25]
	scratch_load_b128 v[18:21], off, off offset:624
	s_wait_loadcnt_dscnt 0x800
	v_mul_f64_e32 v[179:180], v[2:3], v[28:29]
	v_mul_f64_e32 v[28:29], v[4:5], v[28:29]
	v_add_f64_e32 v[173:174], v[173:174], v[167:168]
	v_add_f64_e32 v[169:170], v[165:166], v[169:170]
	ds_load_b128 v[165:168], v1 offset:1376
	v_fma_f64 v[163:164], v[163:164], v[22:23], v[175:176]
	v_fma_f64 v[161:162], v[161:162], v[22:23], -v[24:25]
	scratch_load_b128 v[22:25], off, off offset:640
	v_fma_f64 v[175:176], v[4:5], v[26:27], v[179:180]
	v_add_f64_e32 v[173:174], v[173:174], v[177:178]
	v_add_f64_e32 v[169:170], v[169:170], v[171:172]
	v_fma_f64 v[177:178], v[2:3], v[26:27], -v[28:29]
	ds_load_b128 v[2:5], v1 offset:1392
	s_wait_loadcnt_dscnt 0x801
	v_mul_f64_e32 v[171:172], v[165:166], v[32:33]
	v_mul_f64_e32 v[32:33], v[167:168], v[32:33]
	scratch_load_b128 v[26:29], off, off offset:656
	s_wait_loadcnt_dscnt 0x800
	v_mul_f64_e32 v[179:180], v[2:3], v[36:37]
	v_mul_f64_e32 v[36:37], v[4:5], v[36:37]
	v_add_f64_e32 v[173:174], v[173:174], v[161:162]
	v_add_f64_e32 v[169:170], v[169:170], v[163:164]
	ds_load_b128 v[161:164], v1 offset:1408
	v_fma_f64 v[167:168], v[167:168], v[30:31], v[171:172]
	v_fma_f64 v[165:166], v[165:166], v[30:31], -v[32:33]
	scratch_load_b128 v[30:33], off, off offset:672
	v_add_f64_e32 v[171:172], v[173:174], v[177:178]
	v_add_f64_e32 v[169:170], v[169:170], v[175:176]
	v_fma_f64 v[175:176], v[4:5], v[34:35], v[179:180]
	v_fma_f64 v[177:178], v[2:3], v[34:35], -v[36:37]
	ds_load_b128 v[2:5], v1 offset:1424
	s_wait_loadcnt_dscnt 0x801
	v_mul_f64_e32 v[173:174], v[161:162], v[159:160]
	v_mul_f64_e32 v[159:160], v[163:164], v[159:160]
	scratch_load_b128 v[34:37], off, off offset:688
	s_wait_loadcnt_dscnt 0x800
	v_mul_f64_e32 v[179:180], v[2:3], v[40:41]
	v_mul_f64_e32 v[40:41], v[4:5], v[40:41]
	v_add_f64_e32 v[171:172], v[171:172], v[165:166]
	v_add_f64_e32 v[169:170], v[169:170], v[167:168]
	ds_load_b128 v[165:168], v1 offset:1440
	v_fma_f64 v[163:164], v[163:164], v[157:158], v[173:174]
	v_fma_f64 v[161:162], v[161:162], v[157:158], -v[159:160]
	scratch_load_b128 v[157:160], off, off offset:704
	v_add_f64_e32 v[171:172], v[171:172], v[177:178]
	v_add_f64_e32 v[169:170], v[169:170], v[175:176]
	v_fma_f64 v[175:176], v[4:5], v[38:39], v[179:180]
	;; [unrolled: 18-line block ×6, first 2 shown]
	v_fma_f64 v[179:180], v[2:3], v[34:35], -v[36:37]
	ds_load_b128 v[2:5], v1 offset:1584
	s_wait_loadcnt_dscnt 0x801
	v_mul_f64_e32 v[173:174], v[165:166], v[159:160]
	v_mul_f64_e32 v[175:176], v[167:168], v[159:160]
	scratch_load_b128 v[34:37], off, off offset:848
	v_add_f64_e32 v[171:172], v[171:172], v[161:162]
	v_add_f64_e32 v[163:164], v[169:170], v[163:164]
	s_wait_loadcnt_dscnt 0x800
	v_mul_f64_e32 v[169:170], v[2:3], v[40:41]
	v_mul_f64_e32 v[40:41], v[4:5], v[40:41]
	ds_load_b128 v[159:162], v1 offset:1600
	v_fma_f64 v[167:168], v[167:168], v[157:158], v[173:174]
	v_fma_f64 v[157:158], v[165:166], v[157:158], -v[175:176]
	v_add_f64_e32 v[171:172], v[171:172], v[179:180]
	v_add_f64_e32 v[173:174], v[163:164], v[177:178]
	scratch_load_b128 v[163:166], off, off offset:864
	v_fma_f64 v[177:178], v[4:5], v[38:39], v[169:170]
	v_fma_f64 v[179:180], v[2:3], v[38:39], -v[40:41]
	ds_load_b128 v[2:5], v1 offset:1616
	s_wait_loadcnt_dscnt 0x801
	v_mul_f64_e32 v[175:176], v[159:160], v[8:9]
	v_mul_f64_e32 v[8:9], v[161:162], v[8:9]
	scratch_load_b128 v[38:41], off, off offset:880
	v_add_f64_e32 v[157:158], v[171:172], v[157:158]
	v_add_f64_e32 v[171:172], v[173:174], v[167:168]
	s_wait_loadcnt_dscnt 0x800
	v_mul_f64_e32 v[173:174], v[2:3], v[12:13]
	v_mul_f64_e32 v[12:13], v[4:5], v[12:13]
	ds_load_b128 v[167:170], v1 offset:1632
	v_fma_f64 v[161:162], v[161:162], v[6:7], v[175:176]
	v_fma_f64 v[6:7], v[159:160], v[6:7], -v[8:9]
	s_wait_loadcnt_dscnt 0x700
	v_mul_f64_e32 v[159:160], v[167:168], v[16:17]
	v_mul_f64_e32 v[16:17], v[169:170], v[16:17]
	v_add_f64_e32 v[8:9], v[157:158], v[179:180]
	v_add_f64_e32 v[157:158], v[171:172], v[177:178]
	v_fma_f64 v[171:172], v[4:5], v[10:11], v[173:174]
	v_fma_f64 v[10:11], v[2:3], v[10:11], -v[12:13]
	v_fma_f64 v[159:160], v[169:170], v[14:15], v[159:160]
	v_fma_f64 v[14:15], v[167:168], v[14:15], -v[16:17]
	v_add_f64_e32 v[12:13], v[8:9], v[6:7]
	v_add_f64_e32 v[157:158], v[157:158], v[161:162]
	ds_load_b128 v[2:5], v1 offset:1648
	ds_load_b128 v[6:9], v1 offset:1664
	s_wait_loadcnt_dscnt 0x601
	v_mul_f64_e32 v[161:162], v[2:3], v[20:21]
	v_mul_f64_e32 v[20:21], v[4:5], v[20:21]
	s_wait_loadcnt_dscnt 0x500
	v_mul_f64_e32 v[16:17], v[6:7], v[24:25]
	v_mul_f64_e32 v[24:25], v[8:9], v[24:25]
	v_add_f64_e32 v[10:11], v[12:13], v[10:11]
	v_add_f64_e32 v[12:13], v[157:158], v[171:172]
	v_fma_f64 v[157:158], v[4:5], v[18:19], v[161:162]
	v_fma_f64 v[18:19], v[2:3], v[18:19], -v[20:21]
	v_fma_f64 v[8:9], v[8:9], v[22:23], v[16:17]
	v_fma_f64 v[6:7], v[6:7], v[22:23], -v[24:25]
	v_add_f64_e32 v[14:15], v[10:11], v[14:15]
	v_add_f64_e32 v[20:21], v[12:13], v[159:160]
	ds_load_b128 v[2:5], v1 offset:1680
	ds_load_b128 v[10:13], v1 offset:1696
	s_wait_loadcnt_dscnt 0x401
	v_mul_f64_e32 v[159:160], v[2:3], v[28:29]
	v_mul_f64_e32 v[28:29], v[4:5], v[28:29]
	v_add_f64_e32 v[14:15], v[14:15], v[18:19]
	v_add_f64_e32 v[16:17], v[20:21], v[157:158]
	s_wait_loadcnt_dscnt 0x300
	v_mul_f64_e32 v[18:19], v[10:11], v[32:33]
	v_mul_f64_e32 v[20:21], v[12:13], v[32:33]
	v_fma_f64 v[22:23], v[4:5], v[26:27], v[159:160]
	v_fma_f64 v[24:25], v[2:3], v[26:27], -v[28:29]
	v_add_f64_e32 v[14:15], v[14:15], v[6:7]
	v_add_f64_e32 v[16:17], v[16:17], v[8:9]
	ds_load_b128 v[2:5], v1 offset:1712
	ds_load_b128 v[6:9], v1 offset:1728
	v_fma_f64 v[12:13], v[12:13], v[30:31], v[18:19]
	v_fma_f64 v[10:11], v[10:11], v[30:31], -v[20:21]
	s_wait_loadcnt_dscnt 0x201
	v_mul_f64_e32 v[26:27], v[2:3], v[36:37]
	v_mul_f64_e32 v[28:29], v[4:5], v[36:37]
	v_add_f64_e32 v[14:15], v[14:15], v[24:25]
	v_add_f64_e32 v[16:17], v[16:17], v[22:23]
	s_wait_loadcnt_dscnt 0x100
	v_mul_f64_e32 v[18:19], v[6:7], v[165:166]
	v_mul_f64_e32 v[20:21], v[8:9], v[165:166]
	v_fma_f64 v[22:23], v[4:5], v[34:35], v[26:27]
	v_fma_f64 v[24:25], v[2:3], v[34:35], -v[28:29]
	ds_load_b128 v[2:5], v1 offset:1744
	v_add_f64_e32 v[10:11], v[14:15], v[10:11]
	v_add_f64_e32 v[12:13], v[16:17], v[12:13]
	s_wait_loadcnt_dscnt 0x0
	v_mul_f64_e32 v[14:15], v[2:3], v[40:41]
	v_mul_f64_e32 v[16:17], v[4:5], v[40:41]
	v_fma_f64 v[8:9], v[8:9], v[163:164], v[18:19]
	v_fma_f64 v[6:7], v[6:7], v[163:164], -v[20:21]
	v_add_f64_e32 v[10:11], v[10:11], v[24:25]
	v_add_f64_e32 v[12:13], v[12:13], v[22:23]
	v_fma_f64 v[4:5], v[4:5], v[38:39], v[14:15]
	v_fma_f64 v[2:3], v[2:3], v[38:39], -v[16:17]
	s_delay_alu instid0(VALU_DEP_4) | instskip(NEXT) | instid1(VALU_DEP_4)
	v_add_f64_e32 v[6:7], v[10:11], v[6:7]
	v_add_f64_e32 v[8:9], v[12:13], v[8:9]
	s_delay_alu instid0(VALU_DEP_2) | instskip(NEXT) | instid1(VALU_DEP_2)
	v_add_f64_e32 v[2:3], v[6:7], v[2:3]
	v_add_f64_e32 v[4:5], v[8:9], v[4:5]
	s_delay_alu instid0(VALU_DEP_2) | instskip(NEXT) | instid1(VALU_DEP_2)
	v_add_f64_e64 v[2:3], v[42:43], -v[2:3]
	v_add_f64_e64 v[4:5], v[44:45], -v[4:5]
	scratch_store_b128 off, v[2:5], off offset:224
	v_cmpx_lt_u32_e32 12, v0
	s_cbranch_execz .LBB118_319
; %bb.318:
	scratch_load_b128 v[5:8], off, s56
	v_dual_mov_b32 v2, v1 :: v_dual_mov_b32 v3, v1
	v_mov_b32_e32 v4, v1
	scratch_store_b128 off, v[1:4], off offset:208
	s_wait_loadcnt 0x0
	ds_store_b128 v156, v[5:8]
.LBB118_319:
	s_wait_alu 0xfffe
	s_or_b32 exec_lo, exec_lo, s0
	s_wait_storecnt_dscnt 0x0
	s_barrier_signal -1
	s_barrier_wait -1
	global_inv scope:SCOPE_SE
	s_clause 0x8
	scratch_load_b128 v[2:5], off, off offset:224
	scratch_load_b128 v[6:9], off, off offset:240
	;; [unrolled: 1-line block ×9, first 2 shown]
	ds_load_b128 v[42:45], v1 offset:1088
	ds_load_b128 v[38:41], v1 offset:1104
	s_clause 0x1
	scratch_load_b128 v[157:160], off, off offset:208
	scratch_load_b128 v[161:164], off, off offset:368
	s_mov_b32 s0, exec_lo
	s_wait_loadcnt_dscnt 0xa01
	v_mul_f64_e32 v[165:166], v[44:45], v[4:5]
	v_mul_f64_e32 v[4:5], v[42:43], v[4:5]
	s_wait_loadcnt_dscnt 0x900
	v_mul_f64_e32 v[169:170], v[38:39], v[8:9]
	v_mul_f64_e32 v[8:9], v[40:41], v[8:9]
	s_delay_alu instid0(VALU_DEP_4) | instskip(NEXT) | instid1(VALU_DEP_4)
	v_fma_f64 v[171:172], v[42:43], v[2:3], -v[165:166]
	v_fma_f64 v[173:174], v[44:45], v[2:3], v[4:5]
	ds_load_b128 v[2:5], v1 offset:1120
	ds_load_b128 v[165:168], v1 offset:1136
	scratch_load_b128 v[42:45], off, off offset:384
	v_fma_f64 v[40:41], v[40:41], v[6:7], v[169:170]
	v_fma_f64 v[38:39], v[38:39], v[6:7], -v[8:9]
	scratch_load_b128 v[6:9], off, off offset:400
	s_wait_loadcnt_dscnt 0xa01
	v_mul_f64_e32 v[175:176], v[2:3], v[12:13]
	v_mul_f64_e32 v[12:13], v[4:5], v[12:13]
	v_add_f64_e32 v[169:170], 0, v[171:172]
	v_add_f64_e32 v[171:172], 0, v[173:174]
	s_wait_loadcnt_dscnt 0x900
	v_mul_f64_e32 v[173:174], v[165:166], v[16:17]
	v_mul_f64_e32 v[16:17], v[167:168], v[16:17]
	v_fma_f64 v[175:176], v[4:5], v[10:11], v[175:176]
	v_fma_f64 v[177:178], v[2:3], v[10:11], -v[12:13]
	ds_load_b128 v[2:5], v1 offset:1152
	scratch_load_b128 v[10:13], off, off offset:416
	v_add_f64_e32 v[169:170], v[169:170], v[38:39]
	v_add_f64_e32 v[171:172], v[171:172], v[40:41]
	ds_load_b128 v[38:41], v1 offset:1168
	v_fma_f64 v[167:168], v[167:168], v[14:15], v[173:174]
	v_fma_f64 v[165:166], v[165:166], v[14:15], -v[16:17]
	scratch_load_b128 v[14:17], off, off offset:432
	s_wait_loadcnt_dscnt 0xa01
	v_mul_f64_e32 v[179:180], v[2:3], v[20:21]
	v_mul_f64_e32 v[20:21], v[4:5], v[20:21]
	s_wait_loadcnt_dscnt 0x900
	v_mul_f64_e32 v[173:174], v[38:39], v[24:25]
	v_mul_f64_e32 v[24:25], v[40:41], v[24:25]
	v_add_f64_e32 v[169:170], v[169:170], v[177:178]
	v_add_f64_e32 v[171:172], v[171:172], v[175:176]
	v_fma_f64 v[175:176], v[4:5], v[18:19], v[179:180]
	v_fma_f64 v[177:178], v[2:3], v[18:19], -v[20:21]
	ds_load_b128 v[2:5], v1 offset:1184
	scratch_load_b128 v[18:21], off, off offset:448
	v_fma_f64 v[40:41], v[40:41], v[22:23], v[173:174]
	v_fma_f64 v[38:39], v[38:39], v[22:23], -v[24:25]
	scratch_load_b128 v[22:25], off, off offset:464
	v_add_f64_e32 v[169:170], v[169:170], v[165:166]
	v_add_f64_e32 v[171:172], v[171:172], v[167:168]
	ds_load_b128 v[165:168], v1 offset:1200
	s_wait_loadcnt_dscnt 0xa01
	v_mul_f64_e32 v[179:180], v[2:3], v[28:29]
	v_mul_f64_e32 v[28:29], v[4:5], v[28:29]
	s_wait_loadcnt_dscnt 0x900
	v_mul_f64_e32 v[173:174], v[165:166], v[32:33]
	v_mul_f64_e32 v[32:33], v[167:168], v[32:33]
	v_add_f64_e32 v[169:170], v[169:170], v[177:178]
	v_add_f64_e32 v[171:172], v[171:172], v[175:176]
	v_fma_f64 v[175:176], v[4:5], v[26:27], v[179:180]
	v_fma_f64 v[177:178], v[2:3], v[26:27], -v[28:29]
	ds_load_b128 v[2:5], v1 offset:1216
	scratch_load_b128 v[26:29], off, off offset:480
	v_fma_f64 v[167:168], v[167:168], v[30:31], v[173:174]
	v_fma_f64 v[165:166], v[165:166], v[30:31], -v[32:33]
	scratch_load_b128 v[30:33], off, off offset:496
	v_add_f64_e32 v[169:170], v[169:170], v[38:39]
	v_add_f64_e32 v[171:172], v[171:172], v[40:41]
	ds_load_b128 v[38:41], v1 offset:1232
	s_wait_loadcnt_dscnt 0xa01
	v_mul_f64_e32 v[179:180], v[2:3], v[36:37]
	v_mul_f64_e32 v[36:37], v[4:5], v[36:37]
	s_wait_loadcnt_dscnt 0x800
	v_mul_f64_e32 v[173:174], v[38:39], v[163:164]
	v_add_f64_e32 v[169:170], v[169:170], v[177:178]
	v_add_f64_e32 v[171:172], v[171:172], v[175:176]
	v_mul_f64_e32 v[175:176], v[40:41], v[163:164]
	v_fma_f64 v[177:178], v[4:5], v[34:35], v[179:180]
	v_fma_f64 v[179:180], v[2:3], v[34:35], -v[36:37]
	ds_load_b128 v[2:5], v1 offset:1248
	scratch_load_b128 v[34:37], off, off offset:512
	v_fma_f64 v[173:174], v[40:41], v[161:162], v[173:174]
	v_add_f64_e32 v[169:170], v[169:170], v[165:166]
	v_add_f64_e32 v[167:168], v[171:172], v[167:168]
	ds_load_b128 v[163:166], v1 offset:1264
	v_fma_f64 v[161:162], v[38:39], v[161:162], -v[175:176]
	scratch_load_b128 v[38:41], off, off offset:528
	s_wait_loadcnt_dscnt 0x901
	v_mul_f64_e32 v[171:172], v[2:3], v[44:45]
	v_mul_f64_e32 v[44:45], v[4:5], v[44:45]
	s_wait_loadcnt_dscnt 0x800
	v_mul_f64_e32 v[175:176], v[163:164], v[8:9]
	v_mul_f64_e32 v[8:9], v[165:166], v[8:9]
	v_add_f64_e32 v[169:170], v[169:170], v[179:180]
	v_add_f64_e32 v[167:168], v[167:168], v[177:178]
	v_fma_f64 v[171:172], v[4:5], v[42:43], v[171:172]
	v_fma_f64 v[177:178], v[2:3], v[42:43], -v[44:45]
	ds_load_b128 v[2:5], v1 offset:1280
	scratch_load_b128 v[42:45], off, off offset:544
	v_fma_f64 v[165:166], v[165:166], v[6:7], v[175:176]
	v_fma_f64 v[163:164], v[163:164], v[6:7], -v[8:9]
	scratch_load_b128 v[6:9], off, off offset:560
	v_add_f64_e32 v[161:162], v[169:170], v[161:162]
	v_add_f64_e32 v[173:174], v[167:168], v[173:174]
	ds_load_b128 v[167:170], v1 offset:1296
	s_wait_loadcnt_dscnt 0x901
	v_mul_f64_e32 v[179:180], v[2:3], v[12:13]
	v_mul_f64_e32 v[12:13], v[4:5], v[12:13]
	v_add_f64_e32 v[161:162], v[161:162], v[177:178]
	v_add_f64_e32 v[171:172], v[173:174], v[171:172]
	s_wait_loadcnt_dscnt 0x800
	v_mul_f64_e32 v[173:174], v[167:168], v[16:17]
	v_mul_f64_e32 v[16:17], v[169:170], v[16:17]
	v_fma_f64 v[175:176], v[4:5], v[10:11], v[179:180]
	v_fma_f64 v[177:178], v[2:3], v[10:11], -v[12:13]
	ds_load_b128 v[2:5], v1 offset:1312
	scratch_load_b128 v[10:13], off, off offset:576
	v_add_f64_e32 v[179:180], v[161:162], v[163:164]
	v_add_f64_e32 v[165:166], v[171:172], v[165:166]
	ds_load_b128 v[161:164], v1 offset:1328
	s_wait_loadcnt_dscnt 0x801
	v_mul_f64_e32 v[171:172], v[2:3], v[20:21]
	v_mul_f64_e32 v[20:21], v[4:5], v[20:21]
	v_fma_f64 v[169:170], v[169:170], v[14:15], v[173:174]
	v_fma_f64 v[167:168], v[167:168], v[14:15], -v[16:17]
	scratch_load_b128 v[14:17], off, off offset:592
	v_add_f64_e32 v[173:174], v[179:180], v[177:178]
	v_add_f64_e32 v[165:166], v[165:166], v[175:176]
	s_wait_loadcnt_dscnt 0x800
	v_mul_f64_e32 v[175:176], v[161:162], v[24:25]
	v_mul_f64_e32 v[24:25], v[163:164], v[24:25]
	v_fma_f64 v[171:172], v[4:5], v[18:19], v[171:172]
	v_fma_f64 v[177:178], v[2:3], v[18:19], -v[20:21]
	ds_load_b128 v[2:5], v1 offset:1344
	scratch_load_b128 v[18:21], off, off offset:608
	v_add_f64_e32 v[173:174], v[173:174], v[167:168]
	v_add_f64_e32 v[169:170], v[165:166], v[169:170]
	ds_load_b128 v[165:168], v1 offset:1360
	s_wait_loadcnt_dscnt 0x801
	v_mul_f64_e32 v[179:180], v[2:3], v[28:29]
	v_mul_f64_e32 v[28:29], v[4:5], v[28:29]
	v_fma_f64 v[163:164], v[163:164], v[22:23], v[175:176]
	v_fma_f64 v[161:162], v[161:162], v[22:23], -v[24:25]
	scratch_load_b128 v[22:25], off, off offset:624
	;; [unrolled: 18-line block ×4, first 2 shown]
	s_wait_loadcnt_dscnt 0x800
	v_mul_f64_e32 v[173:174], v[165:166], v[8:9]
	v_mul_f64_e32 v[8:9], v[167:168], v[8:9]
	v_add_f64_e32 v[171:172], v[171:172], v[177:178]
	v_add_f64_e32 v[169:170], v[169:170], v[175:176]
	v_fma_f64 v[175:176], v[4:5], v[42:43], v[179:180]
	v_fma_f64 v[177:178], v[2:3], v[42:43], -v[44:45]
	ds_load_b128 v[2:5], v1 offset:1440
	scratch_load_b128 v[42:45], off, off offset:704
	v_fma_f64 v[167:168], v[167:168], v[6:7], v[173:174]
	v_fma_f64 v[165:166], v[165:166], v[6:7], -v[8:9]
	scratch_load_b128 v[6:9], off, off offset:720
	v_add_f64_e32 v[171:172], v[171:172], v[161:162]
	v_add_f64_e32 v[169:170], v[169:170], v[163:164]
	ds_load_b128 v[161:164], v1 offset:1456
	s_wait_loadcnt_dscnt 0x901
	v_mul_f64_e32 v[179:180], v[2:3], v[12:13]
	v_mul_f64_e32 v[12:13], v[4:5], v[12:13]
	s_wait_loadcnt_dscnt 0x800
	v_mul_f64_e32 v[173:174], v[161:162], v[16:17]
	v_mul_f64_e32 v[16:17], v[163:164], v[16:17]
	v_add_f64_e32 v[171:172], v[171:172], v[177:178]
	v_add_f64_e32 v[169:170], v[169:170], v[175:176]
	v_fma_f64 v[175:176], v[4:5], v[10:11], v[179:180]
	v_fma_f64 v[177:178], v[2:3], v[10:11], -v[12:13]
	ds_load_b128 v[2:5], v1 offset:1472
	scratch_load_b128 v[10:13], off, off offset:736
	v_fma_f64 v[163:164], v[163:164], v[14:15], v[173:174]
	v_fma_f64 v[161:162], v[161:162], v[14:15], -v[16:17]
	scratch_load_b128 v[14:17], off, off offset:752
	v_add_f64_e32 v[171:172], v[171:172], v[165:166]
	v_add_f64_e32 v[169:170], v[169:170], v[167:168]
	ds_load_b128 v[165:168], v1 offset:1488
	s_wait_loadcnt_dscnt 0x901
	v_mul_f64_e32 v[179:180], v[2:3], v[20:21]
	v_mul_f64_e32 v[20:21], v[4:5], v[20:21]
	;; [unrolled: 18-line block ×6, first 2 shown]
	s_wait_loadcnt_dscnt 0x800
	v_mul_f64_e32 v[173:174], v[165:166], v[16:17]
	v_mul_f64_e32 v[16:17], v[167:168], v[16:17]
	v_add_f64_e32 v[171:172], v[171:172], v[177:178]
	v_add_f64_e32 v[169:170], v[169:170], v[175:176]
	v_fma_f64 v[175:176], v[4:5], v[10:11], v[179:180]
	v_fma_f64 v[177:178], v[2:3], v[10:11], -v[12:13]
	ds_load_b128 v[2:5], v1 offset:1632
	ds_load_b128 v[10:13], v1 offset:1648
	v_fma_f64 v[167:168], v[167:168], v[14:15], v[173:174]
	v_fma_f64 v[14:15], v[165:166], v[14:15], -v[16:17]
	v_add_f64_e32 v[161:162], v[171:172], v[161:162]
	v_add_f64_e32 v[163:164], v[169:170], v[163:164]
	s_wait_loadcnt_dscnt 0x701
	v_mul_f64_e32 v[169:170], v[2:3], v[20:21]
	v_mul_f64_e32 v[20:21], v[4:5], v[20:21]
	s_delay_alu instid0(VALU_DEP_4) | instskip(NEXT) | instid1(VALU_DEP_4)
	v_add_f64_e32 v[16:17], v[161:162], v[177:178]
	v_add_f64_e32 v[161:162], v[163:164], v[175:176]
	s_wait_loadcnt_dscnt 0x600
	v_mul_f64_e32 v[163:164], v[10:11], v[24:25]
	v_mul_f64_e32 v[24:25], v[12:13], v[24:25]
	v_fma_f64 v[165:166], v[4:5], v[18:19], v[169:170]
	v_fma_f64 v[18:19], v[2:3], v[18:19], -v[20:21]
	v_add_f64_e32 v[20:21], v[16:17], v[14:15]
	v_add_f64_e32 v[161:162], v[161:162], v[167:168]
	ds_load_b128 v[2:5], v1 offset:1664
	ds_load_b128 v[14:17], v1 offset:1680
	v_fma_f64 v[12:13], v[12:13], v[22:23], v[163:164]
	v_fma_f64 v[10:11], v[10:11], v[22:23], -v[24:25]
	s_wait_loadcnt_dscnt 0x501
	v_mul_f64_e32 v[167:168], v[2:3], v[28:29]
	v_mul_f64_e32 v[28:29], v[4:5], v[28:29]
	s_wait_loadcnt_dscnt 0x400
	v_mul_f64_e32 v[22:23], v[14:15], v[32:33]
	v_mul_f64_e32 v[24:25], v[16:17], v[32:33]
	v_add_f64_e32 v[18:19], v[20:21], v[18:19]
	v_add_f64_e32 v[20:21], v[161:162], v[165:166]
	v_fma_f64 v[32:33], v[4:5], v[26:27], v[167:168]
	v_fma_f64 v[26:27], v[2:3], v[26:27], -v[28:29]
	v_fma_f64 v[16:17], v[16:17], v[30:31], v[22:23]
	v_fma_f64 v[14:15], v[14:15], v[30:31], -v[24:25]
	v_add_f64_e32 v[18:19], v[18:19], v[10:11]
	v_add_f64_e32 v[20:21], v[20:21], v[12:13]
	ds_load_b128 v[2:5], v1 offset:1696
	ds_load_b128 v[10:13], v1 offset:1712
	s_wait_loadcnt_dscnt 0x301
	v_mul_f64_e32 v[28:29], v[2:3], v[36:37]
	v_mul_f64_e32 v[36:37], v[4:5], v[36:37]
	s_wait_loadcnt_dscnt 0x200
	v_mul_f64_e32 v[22:23], v[10:11], v[40:41]
	v_mul_f64_e32 v[24:25], v[12:13], v[40:41]
	v_add_f64_e32 v[18:19], v[18:19], v[26:27]
	v_add_f64_e32 v[20:21], v[20:21], v[32:33]
	v_fma_f64 v[26:27], v[4:5], v[34:35], v[28:29]
	v_fma_f64 v[28:29], v[2:3], v[34:35], -v[36:37]
	v_fma_f64 v[12:13], v[12:13], v[38:39], v[22:23]
	v_fma_f64 v[10:11], v[10:11], v[38:39], -v[24:25]
	v_add_f64_e32 v[18:19], v[18:19], v[14:15]
	v_add_f64_e32 v[20:21], v[20:21], v[16:17]
	ds_load_b128 v[2:5], v1 offset:1728
	ds_load_b128 v[14:17], v1 offset:1744
	s_wait_loadcnt_dscnt 0x101
	v_mul_f64_e32 v[30:31], v[2:3], v[44:45]
	v_mul_f64_e32 v[32:33], v[4:5], v[44:45]
	s_wait_loadcnt_dscnt 0x0
	v_mul_f64_e32 v[22:23], v[14:15], v[8:9]
	v_mul_f64_e32 v[8:9], v[16:17], v[8:9]
	v_add_f64_e32 v[18:19], v[18:19], v[28:29]
	v_add_f64_e32 v[20:21], v[20:21], v[26:27]
	v_fma_f64 v[4:5], v[4:5], v[42:43], v[30:31]
	v_fma_f64 v[1:2], v[2:3], v[42:43], -v[32:33]
	v_fma_f64 v[16:17], v[16:17], v[6:7], v[22:23]
	v_fma_f64 v[6:7], v[14:15], v[6:7], -v[8:9]
	v_add_f64_e32 v[10:11], v[18:19], v[10:11]
	v_add_f64_e32 v[12:13], v[20:21], v[12:13]
	s_delay_alu instid0(VALU_DEP_2) | instskip(NEXT) | instid1(VALU_DEP_2)
	v_add_f64_e32 v[1:2], v[10:11], v[1:2]
	v_add_f64_e32 v[3:4], v[12:13], v[4:5]
	s_delay_alu instid0(VALU_DEP_2) | instskip(NEXT) | instid1(VALU_DEP_2)
	;; [unrolled: 3-line block ×3, first 2 shown]
	v_add_f64_e64 v[1:2], v[157:158], -v[1:2]
	v_add_f64_e64 v[3:4], v[159:160], -v[3:4]
	scratch_store_b128 off, v[1:4], off offset:208
	v_cmpx_lt_u32_e32 11, v0
	s_cbranch_execz .LBB118_321
; %bb.320:
	scratch_load_b128 v[1:4], off, s57
	v_mov_b32_e32 v5, 0
	s_delay_alu instid0(VALU_DEP_1)
	v_dual_mov_b32 v6, v5 :: v_dual_mov_b32 v7, v5
	v_mov_b32_e32 v8, v5
	scratch_store_b128 off, v[5:8], off offset:192
	s_wait_loadcnt 0x0
	ds_store_b128 v156, v[1:4]
.LBB118_321:
	s_wait_alu 0xfffe
	s_or_b32 exec_lo, exec_lo, s0
	s_wait_storecnt_dscnt 0x0
	s_barrier_signal -1
	s_barrier_wait -1
	global_inv scope:SCOPE_SE
	s_clause 0x7
	scratch_load_b128 v[2:5], off, off offset:208
	scratch_load_b128 v[6:9], off, off offset:224
	;; [unrolled: 1-line block ×8, first 2 shown]
	v_mov_b32_e32 v1, 0
	s_mov_b32 s0, exec_lo
	ds_load_b128 v[38:41], v1 offset:1072
	s_clause 0x1
	scratch_load_b128 v[34:37], off, off offset:336
	scratch_load_b128 v[42:45], off, off offset:192
	ds_load_b128 v[157:160], v1 offset:1088
	scratch_load_b128 v[161:164], off, off offset:352
	s_wait_loadcnt_dscnt 0xa01
	v_mul_f64_e32 v[165:166], v[40:41], v[4:5]
	v_mul_f64_e32 v[4:5], v[38:39], v[4:5]
	s_delay_alu instid0(VALU_DEP_2) | instskip(NEXT) | instid1(VALU_DEP_2)
	v_fma_f64 v[171:172], v[38:39], v[2:3], -v[165:166]
	v_fma_f64 v[173:174], v[40:41], v[2:3], v[4:5]
	ds_load_b128 v[2:5], v1 offset:1104
	s_wait_loadcnt_dscnt 0x901
	v_mul_f64_e32 v[169:170], v[157:158], v[8:9]
	v_mul_f64_e32 v[8:9], v[159:160], v[8:9]
	scratch_load_b128 v[38:41], off, off offset:368
	ds_load_b128 v[165:168], v1 offset:1120
	s_wait_loadcnt_dscnt 0x901
	v_mul_f64_e32 v[175:176], v[2:3], v[12:13]
	v_mul_f64_e32 v[12:13], v[4:5], v[12:13]
	v_fma_f64 v[159:160], v[159:160], v[6:7], v[169:170]
	v_fma_f64 v[157:158], v[157:158], v[6:7], -v[8:9]
	v_add_f64_e32 v[169:170], 0, v[171:172]
	v_add_f64_e32 v[171:172], 0, v[173:174]
	scratch_load_b128 v[6:9], off, off offset:384
	v_fma_f64 v[175:176], v[4:5], v[10:11], v[175:176]
	v_fma_f64 v[177:178], v[2:3], v[10:11], -v[12:13]
	ds_load_b128 v[2:5], v1 offset:1136
	s_wait_loadcnt_dscnt 0x901
	v_mul_f64_e32 v[173:174], v[165:166], v[16:17]
	v_mul_f64_e32 v[16:17], v[167:168], v[16:17]
	scratch_load_b128 v[10:13], off, off offset:400
	v_add_f64_e32 v[169:170], v[169:170], v[157:158]
	v_add_f64_e32 v[171:172], v[171:172], v[159:160]
	s_wait_loadcnt_dscnt 0x900
	v_mul_f64_e32 v[179:180], v[2:3], v[20:21]
	v_mul_f64_e32 v[20:21], v[4:5], v[20:21]
	ds_load_b128 v[157:160], v1 offset:1152
	v_fma_f64 v[167:168], v[167:168], v[14:15], v[173:174]
	v_fma_f64 v[165:166], v[165:166], v[14:15], -v[16:17]
	scratch_load_b128 v[14:17], off, off offset:416
	v_add_f64_e32 v[169:170], v[169:170], v[177:178]
	v_add_f64_e32 v[171:172], v[171:172], v[175:176]
	v_fma_f64 v[175:176], v[4:5], v[18:19], v[179:180]
	v_fma_f64 v[177:178], v[2:3], v[18:19], -v[20:21]
	ds_load_b128 v[2:5], v1 offset:1168
	s_wait_loadcnt_dscnt 0x901
	v_mul_f64_e32 v[173:174], v[157:158], v[24:25]
	v_mul_f64_e32 v[24:25], v[159:160], v[24:25]
	scratch_load_b128 v[18:21], off, off offset:432
	s_wait_loadcnt_dscnt 0x900
	v_mul_f64_e32 v[179:180], v[2:3], v[28:29]
	v_mul_f64_e32 v[28:29], v[4:5], v[28:29]
	v_add_f64_e32 v[169:170], v[169:170], v[165:166]
	v_add_f64_e32 v[171:172], v[171:172], v[167:168]
	ds_load_b128 v[165:168], v1 offset:1184
	v_fma_f64 v[159:160], v[159:160], v[22:23], v[173:174]
	v_fma_f64 v[157:158], v[157:158], v[22:23], -v[24:25]
	scratch_load_b128 v[22:25], off, off offset:448
	v_add_f64_e32 v[169:170], v[169:170], v[177:178]
	v_add_f64_e32 v[171:172], v[171:172], v[175:176]
	v_fma_f64 v[175:176], v[4:5], v[26:27], v[179:180]
	v_fma_f64 v[177:178], v[2:3], v[26:27], -v[28:29]
	ds_load_b128 v[2:5], v1 offset:1200
	s_wait_loadcnt_dscnt 0x901
	v_mul_f64_e32 v[173:174], v[165:166], v[32:33]
	v_mul_f64_e32 v[32:33], v[167:168], v[32:33]
	scratch_load_b128 v[26:29], off, off offset:464
	s_wait_loadcnt_dscnt 0x900
	v_mul_f64_e32 v[179:180], v[2:3], v[36:37]
	v_mul_f64_e32 v[36:37], v[4:5], v[36:37]
	v_add_f64_e32 v[169:170], v[169:170], v[157:158]
	v_add_f64_e32 v[171:172], v[171:172], v[159:160]
	ds_load_b128 v[157:160], v1 offset:1216
	v_fma_f64 v[167:168], v[167:168], v[30:31], v[173:174]
	v_fma_f64 v[165:166], v[165:166], v[30:31], -v[32:33]
	scratch_load_b128 v[30:33], off, off offset:480
	v_add_f64_e32 v[169:170], v[169:170], v[177:178]
	v_add_f64_e32 v[171:172], v[171:172], v[175:176]
	v_fma_f64 v[177:178], v[4:5], v[34:35], v[179:180]
	v_fma_f64 v[179:180], v[2:3], v[34:35], -v[36:37]
	ds_load_b128 v[2:5], v1 offset:1232
	s_wait_loadcnt_dscnt 0x801
	v_mul_f64_e32 v[173:174], v[157:158], v[163:164]
	v_mul_f64_e32 v[175:176], v[159:160], v[163:164]
	scratch_load_b128 v[34:37], off, off offset:496
	v_add_f64_e32 v[169:170], v[169:170], v[165:166]
	v_add_f64_e32 v[167:168], v[171:172], v[167:168]
	ds_load_b128 v[163:166], v1 offset:1248
	v_fma_f64 v[173:174], v[159:160], v[161:162], v[173:174]
	v_fma_f64 v[161:162], v[157:158], v[161:162], -v[175:176]
	scratch_load_b128 v[157:160], off, off offset:512
	s_wait_loadcnt_dscnt 0x901
	v_mul_f64_e32 v[171:172], v[2:3], v[40:41]
	v_mul_f64_e32 v[40:41], v[4:5], v[40:41]
	v_add_f64_e32 v[169:170], v[169:170], v[179:180]
	v_add_f64_e32 v[167:168], v[167:168], v[177:178]
	s_delay_alu instid0(VALU_DEP_4) | instskip(NEXT) | instid1(VALU_DEP_4)
	v_fma_f64 v[171:172], v[4:5], v[38:39], v[171:172]
	v_fma_f64 v[177:178], v[2:3], v[38:39], -v[40:41]
	ds_load_b128 v[2:5], v1 offset:1264
	s_wait_loadcnt_dscnt 0x801
	v_mul_f64_e32 v[175:176], v[163:164], v[8:9]
	v_mul_f64_e32 v[8:9], v[165:166], v[8:9]
	scratch_load_b128 v[38:41], off, off offset:528
	s_wait_loadcnt_dscnt 0x800
	v_mul_f64_e32 v[179:180], v[2:3], v[12:13]
	v_add_f64_e32 v[161:162], v[169:170], v[161:162]
	v_add_f64_e32 v[173:174], v[167:168], v[173:174]
	v_mul_f64_e32 v[12:13], v[4:5], v[12:13]
	ds_load_b128 v[167:170], v1 offset:1280
	v_fma_f64 v[165:166], v[165:166], v[6:7], v[175:176]
	v_fma_f64 v[163:164], v[163:164], v[6:7], -v[8:9]
	scratch_load_b128 v[6:9], off, off offset:544
	v_fma_f64 v[175:176], v[4:5], v[10:11], v[179:180]
	v_add_f64_e32 v[161:162], v[161:162], v[177:178]
	v_add_f64_e32 v[171:172], v[173:174], v[171:172]
	v_fma_f64 v[177:178], v[2:3], v[10:11], -v[12:13]
	ds_load_b128 v[2:5], v1 offset:1296
	s_wait_loadcnt_dscnt 0x801
	v_mul_f64_e32 v[173:174], v[167:168], v[16:17]
	v_mul_f64_e32 v[16:17], v[169:170], v[16:17]
	scratch_load_b128 v[10:13], off, off offset:560
	v_add_f64_e32 v[179:180], v[161:162], v[163:164]
	v_add_f64_e32 v[165:166], v[171:172], v[165:166]
	s_wait_loadcnt_dscnt 0x800
	v_mul_f64_e32 v[171:172], v[2:3], v[20:21]
	v_mul_f64_e32 v[20:21], v[4:5], v[20:21]
	v_fma_f64 v[169:170], v[169:170], v[14:15], v[173:174]
	v_fma_f64 v[167:168], v[167:168], v[14:15], -v[16:17]
	ds_load_b128 v[161:164], v1 offset:1312
	scratch_load_b128 v[14:17], off, off offset:576
	v_add_f64_e32 v[173:174], v[179:180], v[177:178]
	v_add_f64_e32 v[165:166], v[165:166], v[175:176]
	v_fma_f64 v[171:172], v[4:5], v[18:19], v[171:172]
	v_fma_f64 v[177:178], v[2:3], v[18:19], -v[20:21]
	ds_load_b128 v[2:5], v1 offset:1328
	s_wait_loadcnt_dscnt 0x801
	v_mul_f64_e32 v[175:176], v[161:162], v[24:25]
	v_mul_f64_e32 v[24:25], v[163:164], v[24:25]
	scratch_load_b128 v[18:21], off, off offset:592
	s_wait_loadcnt_dscnt 0x800
	v_mul_f64_e32 v[179:180], v[2:3], v[28:29]
	v_mul_f64_e32 v[28:29], v[4:5], v[28:29]
	v_add_f64_e32 v[173:174], v[173:174], v[167:168]
	v_add_f64_e32 v[169:170], v[165:166], v[169:170]
	ds_load_b128 v[165:168], v1 offset:1344
	v_fma_f64 v[163:164], v[163:164], v[22:23], v[175:176]
	v_fma_f64 v[161:162], v[161:162], v[22:23], -v[24:25]
	scratch_load_b128 v[22:25], off, off offset:608
	v_fma_f64 v[175:176], v[4:5], v[26:27], v[179:180]
	v_add_f64_e32 v[173:174], v[173:174], v[177:178]
	v_add_f64_e32 v[169:170], v[169:170], v[171:172]
	v_fma_f64 v[177:178], v[2:3], v[26:27], -v[28:29]
	ds_load_b128 v[2:5], v1 offset:1360
	s_wait_loadcnt_dscnt 0x801
	v_mul_f64_e32 v[171:172], v[165:166], v[32:33]
	v_mul_f64_e32 v[32:33], v[167:168], v[32:33]
	scratch_load_b128 v[26:29], off, off offset:624
	s_wait_loadcnt_dscnt 0x800
	v_mul_f64_e32 v[179:180], v[2:3], v[36:37]
	v_mul_f64_e32 v[36:37], v[4:5], v[36:37]
	v_add_f64_e32 v[173:174], v[173:174], v[161:162]
	v_add_f64_e32 v[169:170], v[169:170], v[163:164]
	ds_load_b128 v[161:164], v1 offset:1376
	v_fma_f64 v[167:168], v[167:168], v[30:31], v[171:172]
	v_fma_f64 v[165:166], v[165:166], v[30:31], -v[32:33]
	scratch_load_b128 v[30:33], off, off offset:640
	v_add_f64_e32 v[171:172], v[173:174], v[177:178]
	v_add_f64_e32 v[169:170], v[169:170], v[175:176]
	v_fma_f64 v[175:176], v[4:5], v[34:35], v[179:180]
	v_fma_f64 v[177:178], v[2:3], v[34:35], -v[36:37]
	ds_load_b128 v[2:5], v1 offset:1392
	s_wait_loadcnt_dscnt 0x801
	v_mul_f64_e32 v[173:174], v[161:162], v[159:160]
	v_mul_f64_e32 v[159:160], v[163:164], v[159:160]
	scratch_load_b128 v[34:37], off, off offset:656
	s_wait_loadcnt_dscnt 0x800
	v_mul_f64_e32 v[179:180], v[2:3], v[40:41]
	v_mul_f64_e32 v[40:41], v[4:5], v[40:41]
	v_add_f64_e32 v[171:172], v[171:172], v[165:166]
	v_add_f64_e32 v[169:170], v[169:170], v[167:168]
	ds_load_b128 v[165:168], v1 offset:1408
	v_fma_f64 v[163:164], v[163:164], v[157:158], v[173:174]
	v_fma_f64 v[161:162], v[161:162], v[157:158], -v[159:160]
	scratch_load_b128 v[157:160], off, off offset:672
	v_add_f64_e32 v[171:172], v[171:172], v[177:178]
	v_add_f64_e32 v[169:170], v[169:170], v[175:176]
	v_fma_f64 v[175:176], v[4:5], v[38:39], v[179:180]
	;; [unrolled: 18-line block ×6, first 2 shown]
	v_fma_f64 v[179:180], v[2:3], v[34:35], -v[36:37]
	ds_load_b128 v[2:5], v1 offset:1552
	s_wait_loadcnt_dscnt 0x801
	v_mul_f64_e32 v[173:174], v[165:166], v[159:160]
	v_mul_f64_e32 v[175:176], v[167:168], v[159:160]
	scratch_load_b128 v[34:37], off, off offset:816
	v_add_f64_e32 v[171:172], v[171:172], v[161:162]
	v_add_f64_e32 v[163:164], v[169:170], v[163:164]
	s_wait_loadcnt_dscnt 0x800
	v_mul_f64_e32 v[169:170], v[2:3], v[40:41]
	v_mul_f64_e32 v[40:41], v[4:5], v[40:41]
	ds_load_b128 v[159:162], v1 offset:1568
	v_fma_f64 v[167:168], v[167:168], v[157:158], v[173:174]
	v_fma_f64 v[157:158], v[165:166], v[157:158], -v[175:176]
	v_add_f64_e32 v[171:172], v[171:172], v[179:180]
	v_add_f64_e32 v[173:174], v[163:164], v[177:178]
	scratch_load_b128 v[163:166], off, off offset:832
	v_fma_f64 v[177:178], v[4:5], v[38:39], v[169:170]
	v_fma_f64 v[179:180], v[2:3], v[38:39], -v[40:41]
	ds_load_b128 v[2:5], v1 offset:1584
	s_wait_loadcnt_dscnt 0x801
	v_mul_f64_e32 v[175:176], v[159:160], v[8:9]
	v_mul_f64_e32 v[8:9], v[161:162], v[8:9]
	scratch_load_b128 v[38:41], off, off offset:848
	v_add_f64_e32 v[157:158], v[171:172], v[157:158]
	v_add_f64_e32 v[171:172], v[173:174], v[167:168]
	s_wait_loadcnt_dscnt 0x800
	v_mul_f64_e32 v[173:174], v[2:3], v[12:13]
	v_mul_f64_e32 v[12:13], v[4:5], v[12:13]
	ds_load_b128 v[167:170], v1 offset:1600
	v_fma_f64 v[161:162], v[161:162], v[6:7], v[175:176]
	v_fma_f64 v[159:160], v[159:160], v[6:7], -v[8:9]
	scratch_load_b128 v[6:9], off, off offset:864
	v_add_f64_e32 v[157:158], v[157:158], v[179:180]
	v_add_f64_e32 v[171:172], v[171:172], v[177:178]
	v_fma_f64 v[173:174], v[4:5], v[10:11], v[173:174]
	v_fma_f64 v[177:178], v[2:3], v[10:11], -v[12:13]
	ds_load_b128 v[2:5], v1 offset:1616
	s_wait_loadcnt_dscnt 0x801
	v_mul_f64_e32 v[175:176], v[167:168], v[16:17]
	v_mul_f64_e32 v[16:17], v[169:170], v[16:17]
	scratch_load_b128 v[10:13], off, off offset:880
	v_add_f64_e32 v[179:180], v[157:158], v[159:160]
	v_add_f64_e32 v[161:162], v[171:172], v[161:162]
	s_wait_loadcnt_dscnt 0x800
	v_mul_f64_e32 v[171:172], v[2:3], v[20:21]
	v_mul_f64_e32 v[20:21], v[4:5], v[20:21]
	ds_load_b128 v[157:160], v1 offset:1632
	v_fma_f64 v[169:170], v[169:170], v[14:15], v[175:176]
	v_fma_f64 v[14:15], v[167:168], v[14:15], -v[16:17]
	s_wait_loadcnt_dscnt 0x700
	v_mul_f64_e32 v[167:168], v[157:158], v[24:25]
	v_mul_f64_e32 v[24:25], v[159:160], v[24:25]
	v_add_f64_e32 v[16:17], v[179:180], v[177:178]
	v_add_f64_e32 v[161:162], v[161:162], v[173:174]
	v_fma_f64 v[171:172], v[4:5], v[18:19], v[171:172]
	v_fma_f64 v[18:19], v[2:3], v[18:19], -v[20:21]
	v_fma_f64 v[159:160], v[159:160], v[22:23], v[167:168]
	v_fma_f64 v[22:23], v[157:158], v[22:23], -v[24:25]
	v_add_f64_e32 v[20:21], v[16:17], v[14:15]
	v_add_f64_e32 v[161:162], v[161:162], v[169:170]
	ds_load_b128 v[2:5], v1 offset:1648
	ds_load_b128 v[14:17], v1 offset:1664
	s_wait_loadcnt_dscnt 0x601
	v_mul_f64_e32 v[169:170], v[2:3], v[28:29]
	v_mul_f64_e32 v[28:29], v[4:5], v[28:29]
	s_wait_loadcnt_dscnt 0x500
	v_mul_f64_e32 v[24:25], v[14:15], v[32:33]
	v_mul_f64_e32 v[32:33], v[16:17], v[32:33]
	v_add_f64_e32 v[18:19], v[20:21], v[18:19]
	v_add_f64_e32 v[20:21], v[161:162], v[171:172]
	v_fma_f64 v[157:158], v[4:5], v[26:27], v[169:170]
	v_fma_f64 v[26:27], v[2:3], v[26:27], -v[28:29]
	v_fma_f64 v[16:17], v[16:17], v[30:31], v[24:25]
	v_fma_f64 v[14:15], v[14:15], v[30:31], -v[32:33]
	v_add_f64_e32 v[22:23], v[18:19], v[22:23]
	v_add_f64_e32 v[28:29], v[20:21], v[159:160]
	ds_load_b128 v[2:5], v1 offset:1680
	ds_load_b128 v[18:21], v1 offset:1696
	s_wait_loadcnt_dscnt 0x401
	v_mul_f64_e32 v[159:160], v[2:3], v[36:37]
	v_mul_f64_e32 v[36:37], v[4:5], v[36:37]
	v_add_f64_e32 v[22:23], v[22:23], v[26:27]
	v_add_f64_e32 v[24:25], v[28:29], v[157:158]
	s_wait_loadcnt_dscnt 0x300
	v_mul_f64_e32 v[26:27], v[18:19], v[165:166]
	v_mul_f64_e32 v[28:29], v[20:21], v[165:166]
	v_fma_f64 v[30:31], v[4:5], v[34:35], v[159:160]
	v_fma_f64 v[32:33], v[2:3], v[34:35], -v[36:37]
	v_add_f64_e32 v[22:23], v[22:23], v[14:15]
	v_add_f64_e32 v[24:25], v[24:25], v[16:17]
	ds_load_b128 v[2:5], v1 offset:1712
	ds_load_b128 v[14:17], v1 offset:1728
	v_fma_f64 v[20:21], v[20:21], v[163:164], v[26:27]
	v_fma_f64 v[18:19], v[18:19], v[163:164], -v[28:29]
	s_wait_loadcnt_dscnt 0x201
	v_mul_f64_e32 v[34:35], v[2:3], v[40:41]
	v_mul_f64_e32 v[36:37], v[4:5], v[40:41]
	s_wait_loadcnt_dscnt 0x100
	v_mul_f64_e32 v[26:27], v[14:15], v[8:9]
	v_mul_f64_e32 v[8:9], v[16:17], v[8:9]
	v_add_f64_e32 v[22:23], v[22:23], v[32:33]
	v_add_f64_e32 v[24:25], v[24:25], v[30:31]
	v_fma_f64 v[28:29], v[4:5], v[38:39], v[34:35]
	v_fma_f64 v[30:31], v[2:3], v[38:39], -v[36:37]
	ds_load_b128 v[2:5], v1 offset:1744
	v_fma_f64 v[16:17], v[16:17], v[6:7], v[26:27]
	v_fma_f64 v[6:7], v[14:15], v[6:7], -v[8:9]
	v_add_f64_e32 v[18:19], v[22:23], v[18:19]
	v_add_f64_e32 v[20:21], v[24:25], v[20:21]
	s_wait_loadcnt_dscnt 0x0
	v_mul_f64_e32 v[22:23], v[2:3], v[12:13]
	v_mul_f64_e32 v[12:13], v[4:5], v[12:13]
	s_delay_alu instid0(VALU_DEP_4) | instskip(NEXT) | instid1(VALU_DEP_4)
	v_add_f64_e32 v[8:9], v[18:19], v[30:31]
	v_add_f64_e32 v[14:15], v[20:21], v[28:29]
	s_delay_alu instid0(VALU_DEP_4) | instskip(NEXT) | instid1(VALU_DEP_4)
	v_fma_f64 v[4:5], v[4:5], v[10:11], v[22:23]
	v_fma_f64 v[2:3], v[2:3], v[10:11], -v[12:13]
	s_delay_alu instid0(VALU_DEP_4) | instskip(NEXT) | instid1(VALU_DEP_4)
	v_add_f64_e32 v[6:7], v[8:9], v[6:7]
	v_add_f64_e32 v[8:9], v[14:15], v[16:17]
	s_delay_alu instid0(VALU_DEP_2) | instskip(NEXT) | instid1(VALU_DEP_2)
	v_add_f64_e32 v[2:3], v[6:7], v[2:3]
	v_add_f64_e32 v[4:5], v[8:9], v[4:5]
	s_delay_alu instid0(VALU_DEP_2) | instskip(NEXT) | instid1(VALU_DEP_2)
	v_add_f64_e64 v[2:3], v[42:43], -v[2:3]
	v_add_f64_e64 v[4:5], v[44:45], -v[4:5]
	scratch_store_b128 off, v[2:5], off offset:192
	v_cmpx_lt_u32_e32 10, v0
	s_cbranch_execz .LBB118_323
; %bb.322:
	scratch_load_b128 v[5:8], off, s58
	v_dual_mov_b32 v2, v1 :: v_dual_mov_b32 v3, v1
	v_mov_b32_e32 v4, v1
	scratch_store_b128 off, v[1:4], off offset:176
	s_wait_loadcnt 0x0
	ds_store_b128 v156, v[5:8]
.LBB118_323:
	s_wait_alu 0xfffe
	s_or_b32 exec_lo, exec_lo, s0
	s_wait_storecnt_dscnt 0x0
	s_barrier_signal -1
	s_barrier_wait -1
	global_inv scope:SCOPE_SE
	s_clause 0x8
	scratch_load_b128 v[2:5], off, off offset:192
	scratch_load_b128 v[6:9], off, off offset:208
	;; [unrolled: 1-line block ×9, first 2 shown]
	ds_load_b128 v[42:45], v1 offset:1056
	ds_load_b128 v[38:41], v1 offset:1072
	s_clause 0x1
	scratch_load_b128 v[157:160], off, off offset:176
	scratch_load_b128 v[161:164], off, off offset:336
	s_mov_b32 s0, exec_lo
	s_wait_loadcnt_dscnt 0xa01
	v_mul_f64_e32 v[165:166], v[44:45], v[4:5]
	v_mul_f64_e32 v[4:5], v[42:43], v[4:5]
	s_wait_loadcnt_dscnt 0x900
	v_mul_f64_e32 v[169:170], v[38:39], v[8:9]
	v_mul_f64_e32 v[8:9], v[40:41], v[8:9]
	s_delay_alu instid0(VALU_DEP_4) | instskip(NEXT) | instid1(VALU_DEP_4)
	v_fma_f64 v[171:172], v[42:43], v[2:3], -v[165:166]
	v_fma_f64 v[173:174], v[44:45], v[2:3], v[4:5]
	ds_load_b128 v[2:5], v1 offset:1088
	ds_load_b128 v[165:168], v1 offset:1104
	scratch_load_b128 v[42:45], off, off offset:352
	v_fma_f64 v[40:41], v[40:41], v[6:7], v[169:170]
	v_fma_f64 v[38:39], v[38:39], v[6:7], -v[8:9]
	scratch_load_b128 v[6:9], off, off offset:368
	s_wait_loadcnt_dscnt 0xa01
	v_mul_f64_e32 v[175:176], v[2:3], v[12:13]
	v_mul_f64_e32 v[12:13], v[4:5], v[12:13]
	v_add_f64_e32 v[169:170], 0, v[171:172]
	v_add_f64_e32 v[171:172], 0, v[173:174]
	s_wait_loadcnt_dscnt 0x900
	v_mul_f64_e32 v[173:174], v[165:166], v[16:17]
	v_mul_f64_e32 v[16:17], v[167:168], v[16:17]
	v_fma_f64 v[175:176], v[4:5], v[10:11], v[175:176]
	v_fma_f64 v[177:178], v[2:3], v[10:11], -v[12:13]
	ds_load_b128 v[2:5], v1 offset:1120
	scratch_load_b128 v[10:13], off, off offset:384
	v_add_f64_e32 v[169:170], v[169:170], v[38:39]
	v_add_f64_e32 v[171:172], v[171:172], v[40:41]
	ds_load_b128 v[38:41], v1 offset:1136
	v_fma_f64 v[167:168], v[167:168], v[14:15], v[173:174]
	v_fma_f64 v[165:166], v[165:166], v[14:15], -v[16:17]
	scratch_load_b128 v[14:17], off, off offset:400
	s_wait_loadcnt_dscnt 0xa01
	v_mul_f64_e32 v[179:180], v[2:3], v[20:21]
	v_mul_f64_e32 v[20:21], v[4:5], v[20:21]
	s_wait_loadcnt_dscnt 0x900
	v_mul_f64_e32 v[173:174], v[38:39], v[24:25]
	v_mul_f64_e32 v[24:25], v[40:41], v[24:25]
	v_add_f64_e32 v[169:170], v[169:170], v[177:178]
	v_add_f64_e32 v[171:172], v[171:172], v[175:176]
	v_fma_f64 v[175:176], v[4:5], v[18:19], v[179:180]
	v_fma_f64 v[177:178], v[2:3], v[18:19], -v[20:21]
	ds_load_b128 v[2:5], v1 offset:1152
	scratch_load_b128 v[18:21], off, off offset:416
	v_fma_f64 v[40:41], v[40:41], v[22:23], v[173:174]
	v_fma_f64 v[38:39], v[38:39], v[22:23], -v[24:25]
	scratch_load_b128 v[22:25], off, off offset:432
	v_add_f64_e32 v[169:170], v[169:170], v[165:166]
	v_add_f64_e32 v[171:172], v[171:172], v[167:168]
	ds_load_b128 v[165:168], v1 offset:1168
	s_wait_loadcnt_dscnt 0xa01
	v_mul_f64_e32 v[179:180], v[2:3], v[28:29]
	v_mul_f64_e32 v[28:29], v[4:5], v[28:29]
	s_wait_loadcnt_dscnt 0x900
	v_mul_f64_e32 v[173:174], v[165:166], v[32:33]
	v_mul_f64_e32 v[32:33], v[167:168], v[32:33]
	v_add_f64_e32 v[169:170], v[169:170], v[177:178]
	v_add_f64_e32 v[171:172], v[171:172], v[175:176]
	v_fma_f64 v[175:176], v[4:5], v[26:27], v[179:180]
	v_fma_f64 v[177:178], v[2:3], v[26:27], -v[28:29]
	ds_load_b128 v[2:5], v1 offset:1184
	scratch_load_b128 v[26:29], off, off offset:448
	v_fma_f64 v[167:168], v[167:168], v[30:31], v[173:174]
	v_fma_f64 v[165:166], v[165:166], v[30:31], -v[32:33]
	scratch_load_b128 v[30:33], off, off offset:464
	v_add_f64_e32 v[169:170], v[169:170], v[38:39]
	v_add_f64_e32 v[171:172], v[171:172], v[40:41]
	ds_load_b128 v[38:41], v1 offset:1200
	s_wait_loadcnt_dscnt 0xa01
	v_mul_f64_e32 v[179:180], v[2:3], v[36:37]
	v_mul_f64_e32 v[36:37], v[4:5], v[36:37]
	s_wait_loadcnt_dscnt 0x800
	v_mul_f64_e32 v[173:174], v[38:39], v[163:164]
	v_add_f64_e32 v[169:170], v[169:170], v[177:178]
	v_add_f64_e32 v[171:172], v[171:172], v[175:176]
	v_mul_f64_e32 v[175:176], v[40:41], v[163:164]
	v_fma_f64 v[177:178], v[4:5], v[34:35], v[179:180]
	v_fma_f64 v[179:180], v[2:3], v[34:35], -v[36:37]
	ds_load_b128 v[2:5], v1 offset:1216
	scratch_load_b128 v[34:37], off, off offset:480
	v_fma_f64 v[173:174], v[40:41], v[161:162], v[173:174]
	v_add_f64_e32 v[169:170], v[169:170], v[165:166]
	v_add_f64_e32 v[167:168], v[171:172], v[167:168]
	ds_load_b128 v[163:166], v1 offset:1232
	v_fma_f64 v[161:162], v[38:39], v[161:162], -v[175:176]
	scratch_load_b128 v[38:41], off, off offset:496
	s_wait_loadcnt_dscnt 0x901
	v_mul_f64_e32 v[171:172], v[2:3], v[44:45]
	v_mul_f64_e32 v[44:45], v[4:5], v[44:45]
	s_wait_loadcnt_dscnt 0x800
	v_mul_f64_e32 v[175:176], v[163:164], v[8:9]
	v_mul_f64_e32 v[8:9], v[165:166], v[8:9]
	v_add_f64_e32 v[169:170], v[169:170], v[179:180]
	v_add_f64_e32 v[167:168], v[167:168], v[177:178]
	v_fma_f64 v[171:172], v[4:5], v[42:43], v[171:172]
	v_fma_f64 v[177:178], v[2:3], v[42:43], -v[44:45]
	ds_load_b128 v[2:5], v1 offset:1248
	scratch_load_b128 v[42:45], off, off offset:512
	v_fma_f64 v[165:166], v[165:166], v[6:7], v[175:176]
	v_fma_f64 v[163:164], v[163:164], v[6:7], -v[8:9]
	scratch_load_b128 v[6:9], off, off offset:528
	v_add_f64_e32 v[161:162], v[169:170], v[161:162]
	v_add_f64_e32 v[173:174], v[167:168], v[173:174]
	ds_load_b128 v[167:170], v1 offset:1264
	s_wait_loadcnt_dscnt 0x901
	v_mul_f64_e32 v[179:180], v[2:3], v[12:13]
	v_mul_f64_e32 v[12:13], v[4:5], v[12:13]
	v_add_f64_e32 v[161:162], v[161:162], v[177:178]
	v_add_f64_e32 v[171:172], v[173:174], v[171:172]
	s_wait_loadcnt_dscnt 0x800
	v_mul_f64_e32 v[173:174], v[167:168], v[16:17]
	v_mul_f64_e32 v[16:17], v[169:170], v[16:17]
	v_fma_f64 v[175:176], v[4:5], v[10:11], v[179:180]
	v_fma_f64 v[177:178], v[2:3], v[10:11], -v[12:13]
	ds_load_b128 v[2:5], v1 offset:1280
	scratch_load_b128 v[10:13], off, off offset:544
	v_add_f64_e32 v[179:180], v[161:162], v[163:164]
	v_add_f64_e32 v[165:166], v[171:172], v[165:166]
	ds_load_b128 v[161:164], v1 offset:1296
	s_wait_loadcnt_dscnt 0x801
	v_mul_f64_e32 v[171:172], v[2:3], v[20:21]
	v_mul_f64_e32 v[20:21], v[4:5], v[20:21]
	v_fma_f64 v[169:170], v[169:170], v[14:15], v[173:174]
	v_fma_f64 v[167:168], v[167:168], v[14:15], -v[16:17]
	scratch_load_b128 v[14:17], off, off offset:560
	v_add_f64_e32 v[173:174], v[179:180], v[177:178]
	v_add_f64_e32 v[165:166], v[165:166], v[175:176]
	s_wait_loadcnt_dscnt 0x800
	v_mul_f64_e32 v[175:176], v[161:162], v[24:25]
	v_mul_f64_e32 v[24:25], v[163:164], v[24:25]
	v_fma_f64 v[171:172], v[4:5], v[18:19], v[171:172]
	v_fma_f64 v[177:178], v[2:3], v[18:19], -v[20:21]
	ds_load_b128 v[2:5], v1 offset:1312
	scratch_load_b128 v[18:21], off, off offset:576
	v_add_f64_e32 v[173:174], v[173:174], v[167:168]
	v_add_f64_e32 v[169:170], v[165:166], v[169:170]
	ds_load_b128 v[165:168], v1 offset:1328
	s_wait_loadcnt_dscnt 0x801
	v_mul_f64_e32 v[179:180], v[2:3], v[28:29]
	v_mul_f64_e32 v[28:29], v[4:5], v[28:29]
	v_fma_f64 v[163:164], v[163:164], v[22:23], v[175:176]
	v_fma_f64 v[161:162], v[161:162], v[22:23], -v[24:25]
	scratch_load_b128 v[22:25], off, off offset:592
	;; [unrolled: 18-line block ×4, first 2 shown]
	s_wait_loadcnt_dscnt 0x800
	v_mul_f64_e32 v[173:174], v[165:166], v[8:9]
	v_mul_f64_e32 v[8:9], v[167:168], v[8:9]
	v_add_f64_e32 v[171:172], v[171:172], v[177:178]
	v_add_f64_e32 v[169:170], v[169:170], v[175:176]
	v_fma_f64 v[175:176], v[4:5], v[42:43], v[179:180]
	v_fma_f64 v[177:178], v[2:3], v[42:43], -v[44:45]
	ds_load_b128 v[2:5], v1 offset:1408
	scratch_load_b128 v[42:45], off, off offset:672
	v_fma_f64 v[167:168], v[167:168], v[6:7], v[173:174]
	v_fma_f64 v[165:166], v[165:166], v[6:7], -v[8:9]
	scratch_load_b128 v[6:9], off, off offset:688
	v_add_f64_e32 v[171:172], v[171:172], v[161:162]
	v_add_f64_e32 v[169:170], v[169:170], v[163:164]
	ds_load_b128 v[161:164], v1 offset:1424
	s_wait_loadcnt_dscnt 0x901
	v_mul_f64_e32 v[179:180], v[2:3], v[12:13]
	v_mul_f64_e32 v[12:13], v[4:5], v[12:13]
	s_wait_loadcnt_dscnt 0x800
	v_mul_f64_e32 v[173:174], v[161:162], v[16:17]
	v_mul_f64_e32 v[16:17], v[163:164], v[16:17]
	v_add_f64_e32 v[171:172], v[171:172], v[177:178]
	v_add_f64_e32 v[169:170], v[169:170], v[175:176]
	v_fma_f64 v[175:176], v[4:5], v[10:11], v[179:180]
	v_fma_f64 v[177:178], v[2:3], v[10:11], -v[12:13]
	ds_load_b128 v[2:5], v1 offset:1440
	scratch_load_b128 v[10:13], off, off offset:704
	v_fma_f64 v[163:164], v[163:164], v[14:15], v[173:174]
	v_fma_f64 v[161:162], v[161:162], v[14:15], -v[16:17]
	scratch_load_b128 v[14:17], off, off offset:720
	v_add_f64_e32 v[171:172], v[171:172], v[165:166]
	v_add_f64_e32 v[169:170], v[169:170], v[167:168]
	ds_load_b128 v[165:168], v1 offset:1456
	s_wait_loadcnt_dscnt 0x901
	v_mul_f64_e32 v[179:180], v[2:3], v[20:21]
	v_mul_f64_e32 v[20:21], v[4:5], v[20:21]
	;; [unrolled: 18-line block ×7, first 2 shown]
	s_wait_loadcnt_dscnt 0x800
	v_mul_f64_e32 v[173:174], v[161:162], v[24:25]
	v_mul_f64_e32 v[24:25], v[163:164], v[24:25]
	v_add_f64_e32 v[171:172], v[171:172], v[177:178]
	v_add_f64_e32 v[169:170], v[169:170], v[175:176]
	v_fma_f64 v[175:176], v[4:5], v[18:19], v[179:180]
	v_fma_f64 v[177:178], v[2:3], v[18:19], -v[20:21]
	ds_load_b128 v[2:5], v1 offset:1632
	ds_load_b128 v[18:21], v1 offset:1648
	v_fma_f64 v[163:164], v[163:164], v[22:23], v[173:174]
	v_fma_f64 v[22:23], v[161:162], v[22:23], -v[24:25]
	v_add_f64_e32 v[165:166], v[171:172], v[165:166]
	v_add_f64_e32 v[167:168], v[169:170], v[167:168]
	s_wait_loadcnt_dscnt 0x701
	v_mul_f64_e32 v[169:170], v[2:3], v[28:29]
	v_mul_f64_e32 v[28:29], v[4:5], v[28:29]
	s_delay_alu instid0(VALU_DEP_4) | instskip(NEXT) | instid1(VALU_DEP_4)
	v_add_f64_e32 v[24:25], v[165:166], v[177:178]
	v_add_f64_e32 v[161:162], v[167:168], v[175:176]
	s_wait_loadcnt_dscnt 0x600
	v_mul_f64_e32 v[165:166], v[18:19], v[32:33]
	v_mul_f64_e32 v[32:33], v[20:21], v[32:33]
	v_fma_f64 v[167:168], v[4:5], v[26:27], v[169:170]
	v_fma_f64 v[26:27], v[2:3], v[26:27], -v[28:29]
	v_add_f64_e32 v[28:29], v[24:25], v[22:23]
	v_add_f64_e32 v[161:162], v[161:162], v[163:164]
	ds_load_b128 v[2:5], v1 offset:1664
	ds_load_b128 v[22:25], v1 offset:1680
	v_fma_f64 v[20:21], v[20:21], v[30:31], v[165:166]
	v_fma_f64 v[18:19], v[18:19], v[30:31], -v[32:33]
	s_wait_loadcnt_dscnt 0x501
	v_mul_f64_e32 v[163:164], v[2:3], v[36:37]
	v_mul_f64_e32 v[36:37], v[4:5], v[36:37]
	s_wait_loadcnt_dscnt 0x400
	v_mul_f64_e32 v[30:31], v[22:23], v[40:41]
	v_mul_f64_e32 v[32:33], v[24:25], v[40:41]
	v_add_f64_e32 v[26:27], v[28:29], v[26:27]
	v_add_f64_e32 v[28:29], v[161:162], v[167:168]
	v_fma_f64 v[40:41], v[4:5], v[34:35], v[163:164]
	v_fma_f64 v[34:35], v[2:3], v[34:35], -v[36:37]
	v_fma_f64 v[24:25], v[24:25], v[38:39], v[30:31]
	v_fma_f64 v[22:23], v[22:23], v[38:39], -v[32:33]
	v_add_f64_e32 v[26:27], v[26:27], v[18:19]
	v_add_f64_e32 v[28:29], v[28:29], v[20:21]
	ds_load_b128 v[2:5], v1 offset:1696
	ds_load_b128 v[18:21], v1 offset:1712
	s_wait_loadcnt_dscnt 0x301
	v_mul_f64_e32 v[36:37], v[2:3], v[44:45]
	v_mul_f64_e32 v[44:45], v[4:5], v[44:45]
	s_wait_loadcnt_dscnt 0x200
	v_mul_f64_e32 v[30:31], v[18:19], v[8:9]
	v_mul_f64_e32 v[8:9], v[20:21], v[8:9]
	v_add_f64_e32 v[26:27], v[26:27], v[34:35]
	v_add_f64_e32 v[28:29], v[28:29], v[40:41]
	v_fma_f64 v[32:33], v[4:5], v[42:43], v[36:37]
	v_fma_f64 v[34:35], v[2:3], v[42:43], -v[44:45]
	v_fma_f64 v[20:21], v[20:21], v[6:7], v[30:31]
	v_fma_f64 v[6:7], v[18:19], v[6:7], -v[8:9]
	v_add_f64_e32 v[26:27], v[26:27], v[22:23]
	v_add_f64_e32 v[28:29], v[28:29], v[24:25]
	ds_load_b128 v[2:5], v1 offset:1728
	ds_load_b128 v[22:25], v1 offset:1744
	s_wait_loadcnt_dscnt 0x101
	v_mul_f64_e32 v[36:37], v[2:3], v[12:13]
	v_mul_f64_e32 v[12:13], v[4:5], v[12:13]
	v_add_f64_e32 v[8:9], v[26:27], v[34:35]
	v_add_f64_e32 v[18:19], v[28:29], v[32:33]
	s_wait_loadcnt_dscnt 0x0
	v_mul_f64_e32 v[26:27], v[22:23], v[16:17]
	v_mul_f64_e32 v[16:17], v[24:25], v[16:17]
	v_fma_f64 v[4:5], v[4:5], v[10:11], v[36:37]
	v_fma_f64 v[1:2], v[2:3], v[10:11], -v[12:13]
	v_add_f64_e32 v[6:7], v[8:9], v[6:7]
	v_add_f64_e32 v[8:9], v[18:19], v[20:21]
	v_fma_f64 v[10:11], v[24:25], v[14:15], v[26:27]
	v_fma_f64 v[12:13], v[22:23], v[14:15], -v[16:17]
	s_delay_alu instid0(VALU_DEP_4) | instskip(NEXT) | instid1(VALU_DEP_4)
	v_add_f64_e32 v[1:2], v[6:7], v[1:2]
	v_add_f64_e32 v[3:4], v[8:9], v[4:5]
	s_delay_alu instid0(VALU_DEP_2) | instskip(NEXT) | instid1(VALU_DEP_2)
	v_add_f64_e32 v[1:2], v[1:2], v[12:13]
	v_add_f64_e32 v[3:4], v[3:4], v[10:11]
	s_delay_alu instid0(VALU_DEP_2) | instskip(NEXT) | instid1(VALU_DEP_2)
	v_add_f64_e64 v[1:2], v[157:158], -v[1:2]
	v_add_f64_e64 v[3:4], v[159:160], -v[3:4]
	scratch_store_b128 off, v[1:4], off offset:176
	v_cmpx_lt_u32_e32 9, v0
	s_cbranch_execz .LBB118_325
; %bb.324:
	scratch_load_b128 v[1:4], off, s59
	v_mov_b32_e32 v5, 0
	s_delay_alu instid0(VALU_DEP_1)
	v_dual_mov_b32 v6, v5 :: v_dual_mov_b32 v7, v5
	v_mov_b32_e32 v8, v5
	scratch_store_b128 off, v[5:8], off offset:160
	s_wait_loadcnt 0x0
	ds_store_b128 v156, v[1:4]
.LBB118_325:
	s_wait_alu 0xfffe
	s_or_b32 exec_lo, exec_lo, s0
	s_wait_storecnt_dscnt 0x0
	s_barrier_signal -1
	s_barrier_wait -1
	global_inv scope:SCOPE_SE
	s_clause 0x7
	scratch_load_b128 v[2:5], off, off offset:176
	scratch_load_b128 v[6:9], off, off offset:192
	;; [unrolled: 1-line block ×8, first 2 shown]
	v_mov_b32_e32 v1, 0
	s_mov_b32 s0, exec_lo
	ds_load_b128 v[38:41], v1 offset:1040
	s_clause 0x1
	scratch_load_b128 v[34:37], off, off offset:304
	scratch_load_b128 v[42:45], off, off offset:160
	ds_load_b128 v[157:160], v1 offset:1056
	scratch_load_b128 v[161:164], off, off offset:320
	s_wait_loadcnt_dscnt 0xa01
	v_mul_f64_e32 v[165:166], v[40:41], v[4:5]
	v_mul_f64_e32 v[4:5], v[38:39], v[4:5]
	s_delay_alu instid0(VALU_DEP_2) | instskip(NEXT) | instid1(VALU_DEP_2)
	v_fma_f64 v[171:172], v[38:39], v[2:3], -v[165:166]
	v_fma_f64 v[173:174], v[40:41], v[2:3], v[4:5]
	ds_load_b128 v[2:5], v1 offset:1072
	s_wait_loadcnt_dscnt 0x901
	v_mul_f64_e32 v[169:170], v[157:158], v[8:9]
	v_mul_f64_e32 v[8:9], v[159:160], v[8:9]
	scratch_load_b128 v[38:41], off, off offset:336
	ds_load_b128 v[165:168], v1 offset:1088
	s_wait_loadcnt_dscnt 0x901
	v_mul_f64_e32 v[175:176], v[2:3], v[12:13]
	v_mul_f64_e32 v[12:13], v[4:5], v[12:13]
	v_fma_f64 v[159:160], v[159:160], v[6:7], v[169:170]
	v_fma_f64 v[157:158], v[157:158], v[6:7], -v[8:9]
	v_add_f64_e32 v[169:170], 0, v[171:172]
	v_add_f64_e32 v[171:172], 0, v[173:174]
	scratch_load_b128 v[6:9], off, off offset:352
	v_fma_f64 v[175:176], v[4:5], v[10:11], v[175:176]
	v_fma_f64 v[177:178], v[2:3], v[10:11], -v[12:13]
	ds_load_b128 v[2:5], v1 offset:1104
	s_wait_loadcnt_dscnt 0x901
	v_mul_f64_e32 v[173:174], v[165:166], v[16:17]
	v_mul_f64_e32 v[16:17], v[167:168], v[16:17]
	scratch_load_b128 v[10:13], off, off offset:368
	v_add_f64_e32 v[169:170], v[169:170], v[157:158]
	v_add_f64_e32 v[171:172], v[171:172], v[159:160]
	s_wait_loadcnt_dscnt 0x900
	v_mul_f64_e32 v[179:180], v[2:3], v[20:21]
	v_mul_f64_e32 v[20:21], v[4:5], v[20:21]
	ds_load_b128 v[157:160], v1 offset:1120
	v_fma_f64 v[167:168], v[167:168], v[14:15], v[173:174]
	v_fma_f64 v[165:166], v[165:166], v[14:15], -v[16:17]
	scratch_load_b128 v[14:17], off, off offset:384
	v_add_f64_e32 v[169:170], v[169:170], v[177:178]
	v_add_f64_e32 v[171:172], v[171:172], v[175:176]
	v_fma_f64 v[175:176], v[4:5], v[18:19], v[179:180]
	v_fma_f64 v[177:178], v[2:3], v[18:19], -v[20:21]
	ds_load_b128 v[2:5], v1 offset:1136
	s_wait_loadcnt_dscnt 0x901
	v_mul_f64_e32 v[173:174], v[157:158], v[24:25]
	v_mul_f64_e32 v[24:25], v[159:160], v[24:25]
	scratch_load_b128 v[18:21], off, off offset:400
	s_wait_loadcnt_dscnt 0x900
	v_mul_f64_e32 v[179:180], v[2:3], v[28:29]
	v_mul_f64_e32 v[28:29], v[4:5], v[28:29]
	v_add_f64_e32 v[169:170], v[169:170], v[165:166]
	v_add_f64_e32 v[171:172], v[171:172], v[167:168]
	ds_load_b128 v[165:168], v1 offset:1152
	v_fma_f64 v[159:160], v[159:160], v[22:23], v[173:174]
	v_fma_f64 v[157:158], v[157:158], v[22:23], -v[24:25]
	scratch_load_b128 v[22:25], off, off offset:416
	v_add_f64_e32 v[169:170], v[169:170], v[177:178]
	v_add_f64_e32 v[171:172], v[171:172], v[175:176]
	v_fma_f64 v[175:176], v[4:5], v[26:27], v[179:180]
	v_fma_f64 v[177:178], v[2:3], v[26:27], -v[28:29]
	ds_load_b128 v[2:5], v1 offset:1168
	s_wait_loadcnt_dscnt 0x901
	v_mul_f64_e32 v[173:174], v[165:166], v[32:33]
	v_mul_f64_e32 v[32:33], v[167:168], v[32:33]
	scratch_load_b128 v[26:29], off, off offset:432
	s_wait_loadcnt_dscnt 0x900
	v_mul_f64_e32 v[179:180], v[2:3], v[36:37]
	v_mul_f64_e32 v[36:37], v[4:5], v[36:37]
	v_add_f64_e32 v[169:170], v[169:170], v[157:158]
	v_add_f64_e32 v[171:172], v[171:172], v[159:160]
	ds_load_b128 v[157:160], v1 offset:1184
	v_fma_f64 v[167:168], v[167:168], v[30:31], v[173:174]
	v_fma_f64 v[165:166], v[165:166], v[30:31], -v[32:33]
	scratch_load_b128 v[30:33], off, off offset:448
	v_add_f64_e32 v[169:170], v[169:170], v[177:178]
	v_add_f64_e32 v[171:172], v[171:172], v[175:176]
	v_fma_f64 v[177:178], v[4:5], v[34:35], v[179:180]
	v_fma_f64 v[179:180], v[2:3], v[34:35], -v[36:37]
	ds_load_b128 v[2:5], v1 offset:1200
	s_wait_loadcnt_dscnt 0x801
	v_mul_f64_e32 v[173:174], v[157:158], v[163:164]
	v_mul_f64_e32 v[175:176], v[159:160], v[163:164]
	scratch_load_b128 v[34:37], off, off offset:464
	v_add_f64_e32 v[169:170], v[169:170], v[165:166]
	v_add_f64_e32 v[167:168], v[171:172], v[167:168]
	ds_load_b128 v[163:166], v1 offset:1216
	v_fma_f64 v[173:174], v[159:160], v[161:162], v[173:174]
	v_fma_f64 v[161:162], v[157:158], v[161:162], -v[175:176]
	scratch_load_b128 v[157:160], off, off offset:480
	s_wait_loadcnt_dscnt 0x901
	v_mul_f64_e32 v[171:172], v[2:3], v[40:41]
	v_mul_f64_e32 v[40:41], v[4:5], v[40:41]
	v_add_f64_e32 v[169:170], v[169:170], v[179:180]
	v_add_f64_e32 v[167:168], v[167:168], v[177:178]
	s_delay_alu instid0(VALU_DEP_4) | instskip(NEXT) | instid1(VALU_DEP_4)
	v_fma_f64 v[171:172], v[4:5], v[38:39], v[171:172]
	v_fma_f64 v[177:178], v[2:3], v[38:39], -v[40:41]
	ds_load_b128 v[2:5], v1 offset:1232
	s_wait_loadcnt_dscnt 0x801
	v_mul_f64_e32 v[175:176], v[163:164], v[8:9]
	v_mul_f64_e32 v[8:9], v[165:166], v[8:9]
	scratch_load_b128 v[38:41], off, off offset:496
	s_wait_loadcnt_dscnt 0x800
	v_mul_f64_e32 v[179:180], v[2:3], v[12:13]
	v_add_f64_e32 v[161:162], v[169:170], v[161:162]
	v_add_f64_e32 v[173:174], v[167:168], v[173:174]
	v_mul_f64_e32 v[12:13], v[4:5], v[12:13]
	ds_load_b128 v[167:170], v1 offset:1248
	v_fma_f64 v[165:166], v[165:166], v[6:7], v[175:176]
	v_fma_f64 v[163:164], v[163:164], v[6:7], -v[8:9]
	scratch_load_b128 v[6:9], off, off offset:512
	v_fma_f64 v[175:176], v[4:5], v[10:11], v[179:180]
	v_add_f64_e32 v[161:162], v[161:162], v[177:178]
	v_add_f64_e32 v[171:172], v[173:174], v[171:172]
	v_fma_f64 v[177:178], v[2:3], v[10:11], -v[12:13]
	ds_load_b128 v[2:5], v1 offset:1264
	s_wait_loadcnt_dscnt 0x801
	v_mul_f64_e32 v[173:174], v[167:168], v[16:17]
	v_mul_f64_e32 v[16:17], v[169:170], v[16:17]
	scratch_load_b128 v[10:13], off, off offset:528
	v_add_f64_e32 v[179:180], v[161:162], v[163:164]
	v_add_f64_e32 v[165:166], v[171:172], v[165:166]
	s_wait_loadcnt_dscnt 0x800
	v_mul_f64_e32 v[171:172], v[2:3], v[20:21]
	v_mul_f64_e32 v[20:21], v[4:5], v[20:21]
	v_fma_f64 v[169:170], v[169:170], v[14:15], v[173:174]
	v_fma_f64 v[167:168], v[167:168], v[14:15], -v[16:17]
	ds_load_b128 v[161:164], v1 offset:1280
	scratch_load_b128 v[14:17], off, off offset:544
	v_add_f64_e32 v[173:174], v[179:180], v[177:178]
	v_add_f64_e32 v[165:166], v[165:166], v[175:176]
	v_fma_f64 v[171:172], v[4:5], v[18:19], v[171:172]
	v_fma_f64 v[177:178], v[2:3], v[18:19], -v[20:21]
	ds_load_b128 v[2:5], v1 offset:1296
	s_wait_loadcnt_dscnt 0x801
	v_mul_f64_e32 v[175:176], v[161:162], v[24:25]
	v_mul_f64_e32 v[24:25], v[163:164], v[24:25]
	scratch_load_b128 v[18:21], off, off offset:560
	s_wait_loadcnt_dscnt 0x800
	v_mul_f64_e32 v[179:180], v[2:3], v[28:29]
	v_mul_f64_e32 v[28:29], v[4:5], v[28:29]
	v_add_f64_e32 v[173:174], v[173:174], v[167:168]
	v_add_f64_e32 v[169:170], v[165:166], v[169:170]
	ds_load_b128 v[165:168], v1 offset:1312
	v_fma_f64 v[163:164], v[163:164], v[22:23], v[175:176]
	v_fma_f64 v[161:162], v[161:162], v[22:23], -v[24:25]
	scratch_load_b128 v[22:25], off, off offset:576
	v_fma_f64 v[175:176], v[4:5], v[26:27], v[179:180]
	v_add_f64_e32 v[173:174], v[173:174], v[177:178]
	v_add_f64_e32 v[169:170], v[169:170], v[171:172]
	v_fma_f64 v[177:178], v[2:3], v[26:27], -v[28:29]
	ds_load_b128 v[2:5], v1 offset:1328
	s_wait_loadcnt_dscnt 0x801
	v_mul_f64_e32 v[171:172], v[165:166], v[32:33]
	v_mul_f64_e32 v[32:33], v[167:168], v[32:33]
	scratch_load_b128 v[26:29], off, off offset:592
	s_wait_loadcnt_dscnt 0x800
	v_mul_f64_e32 v[179:180], v[2:3], v[36:37]
	v_mul_f64_e32 v[36:37], v[4:5], v[36:37]
	v_add_f64_e32 v[173:174], v[173:174], v[161:162]
	v_add_f64_e32 v[169:170], v[169:170], v[163:164]
	ds_load_b128 v[161:164], v1 offset:1344
	v_fma_f64 v[167:168], v[167:168], v[30:31], v[171:172]
	v_fma_f64 v[165:166], v[165:166], v[30:31], -v[32:33]
	scratch_load_b128 v[30:33], off, off offset:608
	v_add_f64_e32 v[171:172], v[173:174], v[177:178]
	v_add_f64_e32 v[169:170], v[169:170], v[175:176]
	v_fma_f64 v[175:176], v[4:5], v[34:35], v[179:180]
	v_fma_f64 v[177:178], v[2:3], v[34:35], -v[36:37]
	ds_load_b128 v[2:5], v1 offset:1360
	s_wait_loadcnt_dscnt 0x801
	v_mul_f64_e32 v[173:174], v[161:162], v[159:160]
	v_mul_f64_e32 v[159:160], v[163:164], v[159:160]
	scratch_load_b128 v[34:37], off, off offset:624
	s_wait_loadcnt_dscnt 0x800
	v_mul_f64_e32 v[179:180], v[2:3], v[40:41]
	v_mul_f64_e32 v[40:41], v[4:5], v[40:41]
	v_add_f64_e32 v[171:172], v[171:172], v[165:166]
	v_add_f64_e32 v[169:170], v[169:170], v[167:168]
	ds_load_b128 v[165:168], v1 offset:1376
	v_fma_f64 v[163:164], v[163:164], v[157:158], v[173:174]
	v_fma_f64 v[161:162], v[161:162], v[157:158], -v[159:160]
	scratch_load_b128 v[157:160], off, off offset:640
	v_add_f64_e32 v[171:172], v[171:172], v[177:178]
	v_add_f64_e32 v[169:170], v[169:170], v[175:176]
	v_fma_f64 v[175:176], v[4:5], v[38:39], v[179:180]
	;; [unrolled: 18-line block ×6, first 2 shown]
	v_fma_f64 v[179:180], v[2:3], v[34:35], -v[36:37]
	ds_load_b128 v[2:5], v1 offset:1520
	s_wait_loadcnt_dscnt 0x801
	v_mul_f64_e32 v[173:174], v[165:166], v[159:160]
	v_mul_f64_e32 v[175:176], v[167:168], v[159:160]
	scratch_load_b128 v[34:37], off, off offset:784
	v_add_f64_e32 v[171:172], v[171:172], v[161:162]
	v_add_f64_e32 v[163:164], v[169:170], v[163:164]
	s_wait_loadcnt_dscnt 0x800
	v_mul_f64_e32 v[169:170], v[2:3], v[40:41]
	v_mul_f64_e32 v[40:41], v[4:5], v[40:41]
	ds_load_b128 v[159:162], v1 offset:1536
	v_fma_f64 v[167:168], v[167:168], v[157:158], v[173:174]
	v_fma_f64 v[157:158], v[165:166], v[157:158], -v[175:176]
	v_add_f64_e32 v[171:172], v[171:172], v[179:180]
	v_add_f64_e32 v[173:174], v[163:164], v[177:178]
	scratch_load_b128 v[163:166], off, off offset:800
	v_fma_f64 v[177:178], v[4:5], v[38:39], v[169:170]
	v_fma_f64 v[179:180], v[2:3], v[38:39], -v[40:41]
	ds_load_b128 v[2:5], v1 offset:1552
	s_wait_loadcnt_dscnt 0x801
	v_mul_f64_e32 v[175:176], v[159:160], v[8:9]
	v_mul_f64_e32 v[8:9], v[161:162], v[8:9]
	scratch_load_b128 v[38:41], off, off offset:816
	v_add_f64_e32 v[157:158], v[171:172], v[157:158]
	v_add_f64_e32 v[171:172], v[173:174], v[167:168]
	s_wait_loadcnt_dscnt 0x800
	v_mul_f64_e32 v[173:174], v[2:3], v[12:13]
	v_mul_f64_e32 v[12:13], v[4:5], v[12:13]
	ds_load_b128 v[167:170], v1 offset:1568
	v_fma_f64 v[161:162], v[161:162], v[6:7], v[175:176]
	v_fma_f64 v[159:160], v[159:160], v[6:7], -v[8:9]
	scratch_load_b128 v[6:9], off, off offset:832
	v_add_f64_e32 v[157:158], v[157:158], v[179:180]
	v_add_f64_e32 v[171:172], v[171:172], v[177:178]
	v_fma_f64 v[173:174], v[4:5], v[10:11], v[173:174]
	v_fma_f64 v[177:178], v[2:3], v[10:11], -v[12:13]
	ds_load_b128 v[2:5], v1 offset:1584
	s_wait_loadcnt_dscnt 0x801
	v_mul_f64_e32 v[175:176], v[167:168], v[16:17]
	v_mul_f64_e32 v[16:17], v[169:170], v[16:17]
	scratch_load_b128 v[10:13], off, off offset:848
	v_add_f64_e32 v[179:180], v[157:158], v[159:160]
	v_add_f64_e32 v[161:162], v[171:172], v[161:162]
	s_wait_loadcnt_dscnt 0x800
	v_mul_f64_e32 v[171:172], v[2:3], v[20:21]
	v_mul_f64_e32 v[20:21], v[4:5], v[20:21]
	ds_load_b128 v[157:160], v1 offset:1600
	v_fma_f64 v[169:170], v[169:170], v[14:15], v[175:176]
	v_fma_f64 v[167:168], v[167:168], v[14:15], -v[16:17]
	scratch_load_b128 v[14:17], off, off offset:864
	v_add_f64_e32 v[175:176], v[179:180], v[177:178]
	v_add_f64_e32 v[161:162], v[161:162], v[173:174]
	v_fma_f64 v[171:172], v[4:5], v[18:19], v[171:172]
	v_fma_f64 v[177:178], v[2:3], v[18:19], -v[20:21]
	ds_load_b128 v[2:5], v1 offset:1616
	s_wait_loadcnt_dscnt 0x801
	v_mul_f64_e32 v[173:174], v[157:158], v[24:25]
	v_mul_f64_e32 v[24:25], v[159:160], v[24:25]
	scratch_load_b128 v[18:21], off, off offset:880
	s_wait_loadcnt_dscnt 0x800
	v_mul_f64_e32 v[179:180], v[2:3], v[28:29]
	v_mul_f64_e32 v[28:29], v[4:5], v[28:29]
	v_add_f64_e32 v[175:176], v[175:176], v[167:168]
	v_add_f64_e32 v[161:162], v[161:162], v[169:170]
	ds_load_b128 v[167:170], v1 offset:1632
	v_fma_f64 v[159:160], v[159:160], v[22:23], v[173:174]
	v_fma_f64 v[22:23], v[157:158], v[22:23], -v[24:25]
	v_add_f64_e32 v[24:25], v[175:176], v[177:178]
	v_add_f64_e32 v[157:158], v[161:162], v[171:172]
	s_wait_loadcnt_dscnt 0x700
	v_mul_f64_e32 v[161:162], v[167:168], v[32:33]
	v_mul_f64_e32 v[32:33], v[169:170], v[32:33]
	v_fma_f64 v[171:172], v[4:5], v[26:27], v[179:180]
	v_fma_f64 v[26:27], v[2:3], v[26:27], -v[28:29]
	v_add_f64_e32 v[28:29], v[24:25], v[22:23]
	v_add_f64_e32 v[157:158], v[157:158], v[159:160]
	ds_load_b128 v[2:5], v1 offset:1648
	ds_load_b128 v[22:25], v1 offset:1664
	v_fma_f64 v[161:162], v[169:170], v[30:31], v[161:162]
	v_fma_f64 v[30:31], v[167:168], v[30:31], -v[32:33]
	s_wait_loadcnt_dscnt 0x601
	v_mul_f64_e32 v[159:160], v[2:3], v[36:37]
	v_mul_f64_e32 v[36:37], v[4:5], v[36:37]
	v_add_f64_e32 v[26:27], v[28:29], v[26:27]
	v_add_f64_e32 v[28:29], v[157:158], v[171:172]
	s_wait_loadcnt_dscnt 0x500
	v_mul_f64_e32 v[32:33], v[22:23], v[165:166]
	v_mul_f64_e32 v[157:158], v[24:25], v[165:166]
	v_fma_f64 v[159:160], v[4:5], v[34:35], v[159:160]
	v_fma_f64 v[34:35], v[2:3], v[34:35], -v[36:37]
	v_add_f64_e32 v[30:31], v[26:27], v[30:31]
	v_add_f64_e32 v[36:37], v[28:29], v[161:162]
	ds_load_b128 v[2:5], v1 offset:1680
	ds_load_b128 v[26:29], v1 offset:1696
	v_fma_f64 v[24:25], v[24:25], v[163:164], v[32:33]
	v_fma_f64 v[22:23], v[22:23], v[163:164], -v[157:158]
	s_wait_loadcnt_dscnt 0x401
	v_mul_f64_e32 v[161:162], v[2:3], v[40:41]
	v_mul_f64_e32 v[40:41], v[4:5], v[40:41]
	;; [unrolled: 16-line block ×3, first 2 shown]
	v_add_f64_e32 v[8:9], v[30:31], v[38:39]
	v_add_f64_e32 v[26:27], v[32:33], v[36:37]
	s_wait_loadcnt_dscnt 0x100
	v_mul_f64_e32 v[30:31], v[22:23], v[16:17]
	v_mul_f64_e32 v[16:17], v[24:25], v[16:17]
	v_fma_f64 v[32:33], v[4:5], v[10:11], v[40:41]
	v_fma_f64 v[10:11], v[2:3], v[10:11], -v[12:13]
	ds_load_b128 v[2:5], v1 offset:1744
	v_add_f64_e32 v[6:7], v[8:9], v[6:7]
	v_add_f64_e32 v[8:9], v[26:27], v[28:29]
	v_fma_f64 v[24:25], v[24:25], v[14:15], v[30:31]
	v_fma_f64 v[14:15], v[22:23], v[14:15], -v[16:17]
	s_wait_loadcnt_dscnt 0x0
	v_mul_f64_e32 v[12:13], v[2:3], v[20:21]
	v_mul_f64_e32 v[20:21], v[4:5], v[20:21]
	v_add_f64_e32 v[6:7], v[6:7], v[10:11]
	v_add_f64_e32 v[8:9], v[8:9], v[32:33]
	s_delay_alu instid0(VALU_DEP_4) | instskip(NEXT) | instid1(VALU_DEP_4)
	v_fma_f64 v[4:5], v[4:5], v[18:19], v[12:13]
	v_fma_f64 v[2:3], v[2:3], v[18:19], -v[20:21]
	s_delay_alu instid0(VALU_DEP_4) | instskip(NEXT) | instid1(VALU_DEP_4)
	v_add_f64_e32 v[6:7], v[6:7], v[14:15]
	v_add_f64_e32 v[8:9], v[8:9], v[24:25]
	s_delay_alu instid0(VALU_DEP_2) | instskip(NEXT) | instid1(VALU_DEP_2)
	v_add_f64_e32 v[2:3], v[6:7], v[2:3]
	v_add_f64_e32 v[4:5], v[8:9], v[4:5]
	s_delay_alu instid0(VALU_DEP_2) | instskip(NEXT) | instid1(VALU_DEP_2)
	v_add_f64_e64 v[2:3], v[42:43], -v[2:3]
	v_add_f64_e64 v[4:5], v[44:45], -v[4:5]
	scratch_store_b128 off, v[2:5], off offset:160
	v_cmpx_lt_u32_e32 8, v0
	s_cbranch_execz .LBB118_327
; %bb.326:
	scratch_load_b128 v[5:8], off, s60
	v_dual_mov_b32 v2, v1 :: v_dual_mov_b32 v3, v1
	v_mov_b32_e32 v4, v1
	scratch_store_b128 off, v[1:4], off offset:144
	s_wait_loadcnt 0x0
	ds_store_b128 v156, v[5:8]
.LBB118_327:
	s_wait_alu 0xfffe
	s_or_b32 exec_lo, exec_lo, s0
	s_wait_storecnt_dscnt 0x0
	s_barrier_signal -1
	s_barrier_wait -1
	global_inv scope:SCOPE_SE
	s_clause 0x8
	scratch_load_b128 v[2:5], off, off offset:160
	scratch_load_b128 v[6:9], off, off offset:176
	scratch_load_b128 v[10:13], off, off offset:192
	scratch_load_b128 v[14:17], off, off offset:208
	scratch_load_b128 v[18:21], off, off offset:224
	scratch_load_b128 v[22:25], off, off offset:240
	scratch_load_b128 v[26:29], off, off offset:256
	scratch_load_b128 v[30:33], off, off offset:272
	scratch_load_b128 v[34:37], off, off offset:288
	ds_load_b128 v[42:45], v1 offset:1024
	ds_load_b128 v[38:41], v1 offset:1040
	s_clause 0x1
	scratch_load_b128 v[157:160], off, off offset:144
	scratch_load_b128 v[161:164], off, off offset:304
	s_mov_b32 s0, exec_lo
	s_wait_loadcnt_dscnt 0xa01
	v_mul_f64_e32 v[165:166], v[44:45], v[4:5]
	v_mul_f64_e32 v[4:5], v[42:43], v[4:5]
	s_wait_loadcnt_dscnt 0x900
	v_mul_f64_e32 v[169:170], v[38:39], v[8:9]
	v_mul_f64_e32 v[8:9], v[40:41], v[8:9]
	s_delay_alu instid0(VALU_DEP_4) | instskip(NEXT) | instid1(VALU_DEP_4)
	v_fma_f64 v[171:172], v[42:43], v[2:3], -v[165:166]
	v_fma_f64 v[173:174], v[44:45], v[2:3], v[4:5]
	ds_load_b128 v[2:5], v1 offset:1056
	ds_load_b128 v[165:168], v1 offset:1072
	scratch_load_b128 v[42:45], off, off offset:320
	v_fma_f64 v[40:41], v[40:41], v[6:7], v[169:170]
	v_fma_f64 v[38:39], v[38:39], v[6:7], -v[8:9]
	scratch_load_b128 v[6:9], off, off offset:336
	s_wait_loadcnt_dscnt 0xa01
	v_mul_f64_e32 v[175:176], v[2:3], v[12:13]
	v_mul_f64_e32 v[12:13], v[4:5], v[12:13]
	v_add_f64_e32 v[169:170], 0, v[171:172]
	v_add_f64_e32 v[171:172], 0, v[173:174]
	s_wait_loadcnt_dscnt 0x900
	v_mul_f64_e32 v[173:174], v[165:166], v[16:17]
	v_mul_f64_e32 v[16:17], v[167:168], v[16:17]
	v_fma_f64 v[175:176], v[4:5], v[10:11], v[175:176]
	v_fma_f64 v[177:178], v[2:3], v[10:11], -v[12:13]
	ds_load_b128 v[2:5], v1 offset:1088
	scratch_load_b128 v[10:13], off, off offset:352
	v_add_f64_e32 v[169:170], v[169:170], v[38:39]
	v_add_f64_e32 v[171:172], v[171:172], v[40:41]
	ds_load_b128 v[38:41], v1 offset:1104
	v_fma_f64 v[167:168], v[167:168], v[14:15], v[173:174]
	v_fma_f64 v[165:166], v[165:166], v[14:15], -v[16:17]
	scratch_load_b128 v[14:17], off, off offset:368
	s_wait_loadcnt_dscnt 0xa01
	v_mul_f64_e32 v[179:180], v[2:3], v[20:21]
	v_mul_f64_e32 v[20:21], v[4:5], v[20:21]
	s_wait_loadcnt_dscnt 0x900
	v_mul_f64_e32 v[173:174], v[38:39], v[24:25]
	v_mul_f64_e32 v[24:25], v[40:41], v[24:25]
	v_add_f64_e32 v[169:170], v[169:170], v[177:178]
	v_add_f64_e32 v[171:172], v[171:172], v[175:176]
	v_fma_f64 v[175:176], v[4:5], v[18:19], v[179:180]
	v_fma_f64 v[177:178], v[2:3], v[18:19], -v[20:21]
	ds_load_b128 v[2:5], v1 offset:1120
	scratch_load_b128 v[18:21], off, off offset:384
	v_fma_f64 v[40:41], v[40:41], v[22:23], v[173:174]
	v_fma_f64 v[38:39], v[38:39], v[22:23], -v[24:25]
	scratch_load_b128 v[22:25], off, off offset:400
	v_add_f64_e32 v[169:170], v[169:170], v[165:166]
	v_add_f64_e32 v[171:172], v[171:172], v[167:168]
	ds_load_b128 v[165:168], v1 offset:1136
	s_wait_loadcnt_dscnt 0xa01
	v_mul_f64_e32 v[179:180], v[2:3], v[28:29]
	v_mul_f64_e32 v[28:29], v[4:5], v[28:29]
	s_wait_loadcnt_dscnt 0x900
	v_mul_f64_e32 v[173:174], v[165:166], v[32:33]
	v_mul_f64_e32 v[32:33], v[167:168], v[32:33]
	v_add_f64_e32 v[169:170], v[169:170], v[177:178]
	v_add_f64_e32 v[171:172], v[171:172], v[175:176]
	v_fma_f64 v[175:176], v[4:5], v[26:27], v[179:180]
	v_fma_f64 v[177:178], v[2:3], v[26:27], -v[28:29]
	ds_load_b128 v[2:5], v1 offset:1152
	scratch_load_b128 v[26:29], off, off offset:416
	v_fma_f64 v[167:168], v[167:168], v[30:31], v[173:174]
	v_fma_f64 v[165:166], v[165:166], v[30:31], -v[32:33]
	scratch_load_b128 v[30:33], off, off offset:432
	v_add_f64_e32 v[169:170], v[169:170], v[38:39]
	v_add_f64_e32 v[171:172], v[171:172], v[40:41]
	ds_load_b128 v[38:41], v1 offset:1168
	s_wait_loadcnt_dscnt 0xa01
	v_mul_f64_e32 v[179:180], v[2:3], v[36:37]
	v_mul_f64_e32 v[36:37], v[4:5], v[36:37]
	s_wait_loadcnt_dscnt 0x800
	v_mul_f64_e32 v[173:174], v[38:39], v[163:164]
	v_add_f64_e32 v[169:170], v[169:170], v[177:178]
	v_add_f64_e32 v[171:172], v[171:172], v[175:176]
	v_mul_f64_e32 v[175:176], v[40:41], v[163:164]
	v_fma_f64 v[177:178], v[4:5], v[34:35], v[179:180]
	v_fma_f64 v[179:180], v[2:3], v[34:35], -v[36:37]
	ds_load_b128 v[2:5], v1 offset:1184
	scratch_load_b128 v[34:37], off, off offset:448
	v_fma_f64 v[173:174], v[40:41], v[161:162], v[173:174]
	v_add_f64_e32 v[169:170], v[169:170], v[165:166]
	v_add_f64_e32 v[167:168], v[171:172], v[167:168]
	ds_load_b128 v[163:166], v1 offset:1200
	v_fma_f64 v[161:162], v[38:39], v[161:162], -v[175:176]
	scratch_load_b128 v[38:41], off, off offset:464
	s_wait_loadcnt_dscnt 0x901
	v_mul_f64_e32 v[171:172], v[2:3], v[44:45]
	v_mul_f64_e32 v[44:45], v[4:5], v[44:45]
	s_wait_loadcnt_dscnt 0x800
	v_mul_f64_e32 v[175:176], v[163:164], v[8:9]
	v_mul_f64_e32 v[8:9], v[165:166], v[8:9]
	v_add_f64_e32 v[169:170], v[169:170], v[179:180]
	v_add_f64_e32 v[167:168], v[167:168], v[177:178]
	v_fma_f64 v[171:172], v[4:5], v[42:43], v[171:172]
	v_fma_f64 v[177:178], v[2:3], v[42:43], -v[44:45]
	ds_load_b128 v[2:5], v1 offset:1216
	scratch_load_b128 v[42:45], off, off offset:480
	v_fma_f64 v[165:166], v[165:166], v[6:7], v[175:176]
	v_fma_f64 v[163:164], v[163:164], v[6:7], -v[8:9]
	scratch_load_b128 v[6:9], off, off offset:496
	v_add_f64_e32 v[161:162], v[169:170], v[161:162]
	v_add_f64_e32 v[173:174], v[167:168], v[173:174]
	ds_load_b128 v[167:170], v1 offset:1232
	s_wait_loadcnt_dscnt 0x901
	v_mul_f64_e32 v[179:180], v[2:3], v[12:13]
	v_mul_f64_e32 v[12:13], v[4:5], v[12:13]
	v_add_f64_e32 v[161:162], v[161:162], v[177:178]
	v_add_f64_e32 v[171:172], v[173:174], v[171:172]
	s_wait_loadcnt_dscnt 0x800
	v_mul_f64_e32 v[173:174], v[167:168], v[16:17]
	v_mul_f64_e32 v[16:17], v[169:170], v[16:17]
	v_fma_f64 v[175:176], v[4:5], v[10:11], v[179:180]
	v_fma_f64 v[177:178], v[2:3], v[10:11], -v[12:13]
	ds_load_b128 v[2:5], v1 offset:1248
	scratch_load_b128 v[10:13], off, off offset:512
	v_add_f64_e32 v[179:180], v[161:162], v[163:164]
	v_add_f64_e32 v[165:166], v[171:172], v[165:166]
	ds_load_b128 v[161:164], v1 offset:1264
	s_wait_loadcnt_dscnt 0x801
	v_mul_f64_e32 v[171:172], v[2:3], v[20:21]
	v_mul_f64_e32 v[20:21], v[4:5], v[20:21]
	v_fma_f64 v[169:170], v[169:170], v[14:15], v[173:174]
	v_fma_f64 v[167:168], v[167:168], v[14:15], -v[16:17]
	scratch_load_b128 v[14:17], off, off offset:528
	v_add_f64_e32 v[173:174], v[179:180], v[177:178]
	v_add_f64_e32 v[165:166], v[165:166], v[175:176]
	s_wait_loadcnt_dscnt 0x800
	v_mul_f64_e32 v[175:176], v[161:162], v[24:25]
	v_mul_f64_e32 v[24:25], v[163:164], v[24:25]
	v_fma_f64 v[171:172], v[4:5], v[18:19], v[171:172]
	v_fma_f64 v[177:178], v[2:3], v[18:19], -v[20:21]
	ds_load_b128 v[2:5], v1 offset:1280
	scratch_load_b128 v[18:21], off, off offset:544
	v_add_f64_e32 v[173:174], v[173:174], v[167:168]
	v_add_f64_e32 v[169:170], v[165:166], v[169:170]
	ds_load_b128 v[165:168], v1 offset:1296
	s_wait_loadcnt_dscnt 0x801
	v_mul_f64_e32 v[179:180], v[2:3], v[28:29]
	v_mul_f64_e32 v[28:29], v[4:5], v[28:29]
	v_fma_f64 v[163:164], v[163:164], v[22:23], v[175:176]
	v_fma_f64 v[161:162], v[161:162], v[22:23], -v[24:25]
	scratch_load_b128 v[22:25], off, off offset:560
	;; [unrolled: 18-line block ×4, first 2 shown]
	s_wait_loadcnt_dscnt 0x800
	v_mul_f64_e32 v[173:174], v[165:166], v[8:9]
	v_mul_f64_e32 v[8:9], v[167:168], v[8:9]
	v_add_f64_e32 v[171:172], v[171:172], v[177:178]
	v_add_f64_e32 v[169:170], v[169:170], v[175:176]
	v_fma_f64 v[175:176], v[4:5], v[42:43], v[179:180]
	v_fma_f64 v[177:178], v[2:3], v[42:43], -v[44:45]
	ds_load_b128 v[2:5], v1 offset:1376
	scratch_load_b128 v[42:45], off, off offset:640
	v_fma_f64 v[167:168], v[167:168], v[6:7], v[173:174]
	v_fma_f64 v[165:166], v[165:166], v[6:7], -v[8:9]
	scratch_load_b128 v[6:9], off, off offset:656
	v_add_f64_e32 v[171:172], v[171:172], v[161:162]
	v_add_f64_e32 v[169:170], v[169:170], v[163:164]
	ds_load_b128 v[161:164], v1 offset:1392
	s_wait_loadcnt_dscnt 0x901
	v_mul_f64_e32 v[179:180], v[2:3], v[12:13]
	v_mul_f64_e32 v[12:13], v[4:5], v[12:13]
	s_wait_loadcnt_dscnt 0x800
	v_mul_f64_e32 v[173:174], v[161:162], v[16:17]
	v_mul_f64_e32 v[16:17], v[163:164], v[16:17]
	v_add_f64_e32 v[171:172], v[171:172], v[177:178]
	v_add_f64_e32 v[169:170], v[169:170], v[175:176]
	v_fma_f64 v[175:176], v[4:5], v[10:11], v[179:180]
	v_fma_f64 v[177:178], v[2:3], v[10:11], -v[12:13]
	ds_load_b128 v[2:5], v1 offset:1408
	scratch_load_b128 v[10:13], off, off offset:672
	v_fma_f64 v[163:164], v[163:164], v[14:15], v[173:174]
	v_fma_f64 v[161:162], v[161:162], v[14:15], -v[16:17]
	scratch_load_b128 v[14:17], off, off offset:688
	v_add_f64_e32 v[171:172], v[171:172], v[165:166]
	v_add_f64_e32 v[169:170], v[169:170], v[167:168]
	ds_load_b128 v[165:168], v1 offset:1424
	s_wait_loadcnt_dscnt 0x901
	v_mul_f64_e32 v[179:180], v[2:3], v[20:21]
	v_mul_f64_e32 v[20:21], v[4:5], v[20:21]
	;; [unrolled: 18-line block ×8, first 2 shown]
	s_wait_loadcnt_dscnt 0x800
	v_mul_f64_e32 v[173:174], v[165:166], v[32:33]
	v_mul_f64_e32 v[32:33], v[167:168], v[32:33]
	v_add_f64_e32 v[171:172], v[171:172], v[177:178]
	v_add_f64_e32 v[169:170], v[169:170], v[175:176]
	v_fma_f64 v[175:176], v[4:5], v[26:27], v[179:180]
	v_fma_f64 v[177:178], v[2:3], v[26:27], -v[28:29]
	ds_load_b128 v[2:5], v1 offset:1632
	ds_load_b128 v[26:29], v1 offset:1648
	v_fma_f64 v[167:168], v[167:168], v[30:31], v[173:174]
	v_fma_f64 v[30:31], v[165:166], v[30:31], -v[32:33]
	v_add_f64_e32 v[161:162], v[171:172], v[161:162]
	v_add_f64_e32 v[163:164], v[169:170], v[163:164]
	s_wait_loadcnt_dscnt 0x701
	v_mul_f64_e32 v[169:170], v[2:3], v[36:37]
	v_mul_f64_e32 v[36:37], v[4:5], v[36:37]
	s_delay_alu instid0(VALU_DEP_4) | instskip(NEXT) | instid1(VALU_DEP_4)
	v_add_f64_e32 v[32:33], v[161:162], v[177:178]
	v_add_f64_e32 v[161:162], v[163:164], v[175:176]
	s_wait_loadcnt_dscnt 0x600
	v_mul_f64_e32 v[163:164], v[26:27], v[40:41]
	v_mul_f64_e32 v[40:41], v[28:29], v[40:41]
	v_fma_f64 v[165:166], v[4:5], v[34:35], v[169:170]
	v_fma_f64 v[34:35], v[2:3], v[34:35], -v[36:37]
	v_add_f64_e32 v[36:37], v[32:33], v[30:31]
	v_add_f64_e32 v[161:162], v[161:162], v[167:168]
	ds_load_b128 v[2:5], v1 offset:1664
	ds_load_b128 v[30:33], v1 offset:1680
	v_fma_f64 v[28:29], v[28:29], v[38:39], v[163:164]
	v_fma_f64 v[26:27], v[26:27], v[38:39], -v[40:41]
	s_wait_loadcnt_dscnt 0x501
	v_mul_f64_e32 v[167:168], v[2:3], v[44:45]
	v_mul_f64_e32 v[44:45], v[4:5], v[44:45]
	s_wait_loadcnt_dscnt 0x400
	v_mul_f64_e32 v[38:39], v[30:31], v[8:9]
	v_mul_f64_e32 v[8:9], v[32:33], v[8:9]
	v_add_f64_e32 v[34:35], v[36:37], v[34:35]
	v_add_f64_e32 v[36:37], v[161:162], v[165:166]
	v_fma_f64 v[40:41], v[4:5], v[42:43], v[167:168]
	v_fma_f64 v[42:43], v[2:3], v[42:43], -v[44:45]
	v_fma_f64 v[32:33], v[32:33], v[6:7], v[38:39]
	v_fma_f64 v[6:7], v[30:31], v[6:7], -v[8:9]
	v_add_f64_e32 v[34:35], v[34:35], v[26:27]
	v_add_f64_e32 v[36:37], v[36:37], v[28:29]
	ds_load_b128 v[2:5], v1 offset:1696
	ds_load_b128 v[26:29], v1 offset:1712
	s_wait_loadcnt_dscnt 0x301
	v_mul_f64_e32 v[44:45], v[2:3], v[12:13]
	v_mul_f64_e32 v[12:13], v[4:5], v[12:13]
	v_add_f64_e32 v[8:9], v[34:35], v[42:43]
	v_add_f64_e32 v[30:31], v[36:37], v[40:41]
	s_wait_loadcnt_dscnt 0x200
	v_mul_f64_e32 v[34:35], v[26:27], v[16:17]
	v_mul_f64_e32 v[16:17], v[28:29], v[16:17]
	v_fma_f64 v[36:37], v[4:5], v[10:11], v[44:45]
	v_fma_f64 v[10:11], v[2:3], v[10:11], -v[12:13]
	v_add_f64_e32 v[12:13], v[8:9], v[6:7]
	v_add_f64_e32 v[30:31], v[30:31], v[32:33]
	ds_load_b128 v[2:5], v1 offset:1728
	ds_load_b128 v[6:9], v1 offset:1744
	v_fma_f64 v[28:29], v[28:29], v[14:15], v[34:35]
	v_fma_f64 v[14:15], v[26:27], v[14:15], -v[16:17]
	s_wait_loadcnt_dscnt 0x101
	v_mul_f64_e32 v[32:33], v[2:3], v[20:21]
	v_mul_f64_e32 v[20:21], v[4:5], v[20:21]
	s_wait_loadcnt_dscnt 0x0
	v_mul_f64_e32 v[16:17], v[6:7], v[24:25]
	v_mul_f64_e32 v[24:25], v[8:9], v[24:25]
	v_add_f64_e32 v[10:11], v[12:13], v[10:11]
	v_add_f64_e32 v[12:13], v[30:31], v[36:37]
	v_fma_f64 v[4:5], v[4:5], v[18:19], v[32:33]
	v_fma_f64 v[1:2], v[2:3], v[18:19], -v[20:21]
	v_fma_f64 v[8:9], v[8:9], v[22:23], v[16:17]
	v_fma_f64 v[6:7], v[6:7], v[22:23], -v[24:25]
	v_add_f64_e32 v[10:11], v[10:11], v[14:15]
	v_add_f64_e32 v[12:13], v[12:13], v[28:29]
	s_delay_alu instid0(VALU_DEP_2) | instskip(NEXT) | instid1(VALU_DEP_2)
	v_add_f64_e32 v[1:2], v[10:11], v[1:2]
	v_add_f64_e32 v[3:4], v[12:13], v[4:5]
	s_delay_alu instid0(VALU_DEP_2) | instskip(NEXT) | instid1(VALU_DEP_2)
	v_add_f64_e32 v[1:2], v[1:2], v[6:7]
	v_add_f64_e32 v[3:4], v[3:4], v[8:9]
	s_delay_alu instid0(VALU_DEP_2) | instskip(NEXT) | instid1(VALU_DEP_2)
	v_add_f64_e64 v[1:2], v[157:158], -v[1:2]
	v_add_f64_e64 v[3:4], v[159:160], -v[3:4]
	scratch_store_b128 off, v[1:4], off offset:144
	v_cmpx_lt_u32_e32 7, v0
	s_cbranch_execz .LBB118_329
; %bb.328:
	scratch_load_b128 v[1:4], off, s61
	v_mov_b32_e32 v5, 0
	s_delay_alu instid0(VALU_DEP_1)
	v_dual_mov_b32 v6, v5 :: v_dual_mov_b32 v7, v5
	v_mov_b32_e32 v8, v5
	scratch_store_b128 off, v[5:8], off offset:128
	s_wait_loadcnt 0x0
	ds_store_b128 v156, v[1:4]
.LBB118_329:
	s_wait_alu 0xfffe
	s_or_b32 exec_lo, exec_lo, s0
	s_wait_storecnt_dscnt 0x0
	s_barrier_signal -1
	s_barrier_wait -1
	global_inv scope:SCOPE_SE
	s_clause 0x7
	scratch_load_b128 v[2:5], off, off offset:144
	scratch_load_b128 v[6:9], off, off offset:160
	;; [unrolled: 1-line block ×8, first 2 shown]
	v_mov_b32_e32 v1, 0
	s_mov_b32 s0, exec_lo
	ds_load_b128 v[38:41], v1 offset:1008
	s_clause 0x1
	scratch_load_b128 v[34:37], off, off offset:272
	scratch_load_b128 v[42:45], off, off offset:128
	ds_load_b128 v[157:160], v1 offset:1024
	scratch_load_b128 v[161:164], off, off offset:288
	s_wait_loadcnt_dscnt 0xa01
	v_mul_f64_e32 v[165:166], v[40:41], v[4:5]
	v_mul_f64_e32 v[4:5], v[38:39], v[4:5]
	s_delay_alu instid0(VALU_DEP_2) | instskip(NEXT) | instid1(VALU_DEP_2)
	v_fma_f64 v[171:172], v[38:39], v[2:3], -v[165:166]
	v_fma_f64 v[173:174], v[40:41], v[2:3], v[4:5]
	ds_load_b128 v[2:5], v1 offset:1040
	s_wait_loadcnt_dscnt 0x901
	v_mul_f64_e32 v[169:170], v[157:158], v[8:9]
	v_mul_f64_e32 v[8:9], v[159:160], v[8:9]
	scratch_load_b128 v[38:41], off, off offset:304
	ds_load_b128 v[165:168], v1 offset:1056
	s_wait_loadcnt_dscnt 0x901
	v_mul_f64_e32 v[175:176], v[2:3], v[12:13]
	v_mul_f64_e32 v[12:13], v[4:5], v[12:13]
	v_fma_f64 v[159:160], v[159:160], v[6:7], v[169:170]
	v_fma_f64 v[157:158], v[157:158], v[6:7], -v[8:9]
	v_add_f64_e32 v[169:170], 0, v[171:172]
	v_add_f64_e32 v[171:172], 0, v[173:174]
	scratch_load_b128 v[6:9], off, off offset:320
	v_fma_f64 v[175:176], v[4:5], v[10:11], v[175:176]
	v_fma_f64 v[177:178], v[2:3], v[10:11], -v[12:13]
	ds_load_b128 v[2:5], v1 offset:1072
	s_wait_loadcnt_dscnt 0x901
	v_mul_f64_e32 v[173:174], v[165:166], v[16:17]
	v_mul_f64_e32 v[16:17], v[167:168], v[16:17]
	scratch_load_b128 v[10:13], off, off offset:336
	v_add_f64_e32 v[169:170], v[169:170], v[157:158]
	v_add_f64_e32 v[171:172], v[171:172], v[159:160]
	s_wait_loadcnt_dscnt 0x900
	v_mul_f64_e32 v[179:180], v[2:3], v[20:21]
	v_mul_f64_e32 v[20:21], v[4:5], v[20:21]
	ds_load_b128 v[157:160], v1 offset:1088
	v_fma_f64 v[167:168], v[167:168], v[14:15], v[173:174]
	v_fma_f64 v[165:166], v[165:166], v[14:15], -v[16:17]
	scratch_load_b128 v[14:17], off, off offset:352
	v_add_f64_e32 v[169:170], v[169:170], v[177:178]
	v_add_f64_e32 v[171:172], v[171:172], v[175:176]
	v_fma_f64 v[175:176], v[4:5], v[18:19], v[179:180]
	v_fma_f64 v[177:178], v[2:3], v[18:19], -v[20:21]
	ds_load_b128 v[2:5], v1 offset:1104
	s_wait_loadcnt_dscnt 0x901
	v_mul_f64_e32 v[173:174], v[157:158], v[24:25]
	v_mul_f64_e32 v[24:25], v[159:160], v[24:25]
	scratch_load_b128 v[18:21], off, off offset:368
	s_wait_loadcnt_dscnt 0x900
	v_mul_f64_e32 v[179:180], v[2:3], v[28:29]
	v_mul_f64_e32 v[28:29], v[4:5], v[28:29]
	v_add_f64_e32 v[169:170], v[169:170], v[165:166]
	v_add_f64_e32 v[171:172], v[171:172], v[167:168]
	ds_load_b128 v[165:168], v1 offset:1120
	v_fma_f64 v[159:160], v[159:160], v[22:23], v[173:174]
	v_fma_f64 v[157:158], v[157:158], v[22:23], -v[24:25]
	scratch_load_b128 v[22:25], off, off offset:384
	v_add_f64_e32 v[169:170], v[169:170], v[177:178]
	v_add_f64_e32 v[171:172], v[171:172], v[175:176]
	v_fma_f64 v[175:176], v[4:5], v[26:27], v[179:180]
	v_fma_f64 v[177:178], v[2:3], v[26:27], -v[28:29]
	ds_load_b128 v[2:5], v1 offset:1136
	s_wait_loadcnt_dscnt 0x901
	v_mul_f64_e32 v[173:174], v[165:166], v[32:33]
	v_mul_f64_e32 v[32:33], v[167:168], v[32:33]
	scratch_load_b128 v[26:29], off, off offset:400
	s_wait_loadcnt_dscnt 0x900
	v_mul_f64_e32 v[179:180], v[2:3], v[36:37]
	v_mul_f64_e32 v[36:37], v[4:5], v[36:37]
	v_add_f64_e32 v[169:170], v[169:170], v[157:158]
	v_add_f64_e32 v[171:172], v[171:172], v[159:160]
	ds_load_b128 v[157:160], v1 offset:1152
	v_fma_f64 v[167:168], v[167:168], v[30:31], v[173:174]
	v_fma_f64 v[165:166], v[165:166], v[30:31], -v[32:33]
	scratch_load_b128 v[30:33], off, off offset:416
	v_add_f64_e32 v[169:170], v[169:170], v[177:178]
	v_add_f64_e32 v[171:172], v[171:172], v[175:176]
	v_fma_f64 v[177:178], v[4:5], v[34:35], v[179:180]
	v_fma_f64 v[179:180], v[2:3], v[34:35], -v[36:37]
	ds_load_b128 v[2:5], v1 offset:1168
	s_wait_loadcnt_dscnt 0x801
	v_mul_f64_e32 v[173:174], v[157:158], v[163:164]
	v_mul_f64_e32 v[175:176], v[159:160], v[163:164]
	scratch_load_b128 v[34:37], off, off offset:432
	v_add_f64_e32 v[169:170], v[169:170], v[165:166]
	v_add_f64_e32 v[167:168], v[171:172], v[167:168]
	ds_load_b128 v[163:166], v1 offset:1184
	v_fma_f64 v[173:174], v[159:160], v[161:162], v[173:174]
	v_fma_f64 v[161:162], v[157:158], v[161:162], -v[175:176]
	scratch_load_b128 v[157:160], off, off offset:448
	s_wait_loadcnt_dscnt 0x901
	v_mul_f64_e32 v[171:172], v[2:3], v[40:41]
	v_mul_f64_e32 v[40:41], v[4:5], v[40:41]
	v_add_f64_e32 v[169:170], v[169:170], v[179:180]
	v_add_f64_e32 v[167:168], v[167:168], v[177:178]
	s_delay_alu instid0(VALU_DEP_4) | instskip(NEXT) | instid1(VALU_DEP_4)
	v_fma_f64 v[171:172], v[4:5], v[38:39], v[171:172]
	v_fma_f64 v[177:178], v[2:3], v[38:39], -v[40:41]
	ds_load_b128 v[2:5], v1 offset:1200
	s_wait_loadcnt_dscnt 0x801
	v_mul_f64_e32 v[175:176], v[163:164], v[8:9]
	v_mul_f64_e32 v[8:9], v[165:166], v[8:9]
	scratch_load_b128 v[38:41], off, off offset:464
	s_wait_loadcnt_dscnt 0x800
	v_mul_f64_e32 v[179:180], v[2:3], v[12:13]
	v_add_f64_e32 v[161:162], v[169:170], v[161:162]
	v_add_f64_e32 v[173:174], v[167:168], v[173:174]
	v_mul_f64_e32 v[12:13], v[4:5], v[12:13]
	ds_load_b128 v[167:170], v1 offset:1216
	v_fma_f64 v[165:166], v[165:166], v[6:7], v[175:176]
	v_fma_f64 v[163:164], v[163:164], v[6:7], -v[8:9]
	scratch_load_b128 v[6:9], off, off offset:480
	v_fma_f64 v[175:176], v[4:5], v[10:11], v[179:180]
	v_add_f64_e32 v[161:162], v[161:162], v[177:178]
	v_add_f64_e32 v[171:172], v[173:174], v[171:172]
	v_fma_f64 v[177:178], v[2:3], v[10:11], -v[12:13]
	ds_load_b128 v[2:5], v1 offset:1232
	s_wait_loadcnt_dscnt 0x801
	v_mul_f64_e32 v[173:174], v[167:168], v[16:17]
	v_mul_f64_e32 v[16:17], v[169:170], v[16:17]
	scratch_load_b128 v[10:13], off, off offset:496
	v_add_f64_e32 v[179:180], v[161:162], v[163:164]
	v_add_f64_e32 v[165:166], v[171:172], v[165:166]
	s_wait_loadcnt_dscnt 0x800
	v_mul_f64_e32 v[171:172], v[2:3], v[20:21]
	v_mul_f64_e32 v[20:21], v[4:5], v[20:21]
	v_fma_f64 v[169:170], v[169:170], v[14:15], v[173:174]
	v_fma_f64 v[167:168], v[167:168], v[14:15], -v[16:17]
	ds_load_b128 v[161:164], v1 offset:1248
	scratch_load_b128 v[14:17], off, off offset:512
	v_add_f64_e32 v[173:174], v[179:180], v[177:178]
	v_add_f64_e32 v[165:166], v[165:166], v[175:176]
	v_fma_f64 v[171:172], v[4:5], v[18:19], v[171:172]
	v_fma_f64 v[177:178], v[2:3], v[18:19], -v[20:21]
	ds_load_b128 v[2:5], v1 offset:1264
	s_wait_loadcnt_dscnt 0x801
	v_mul_f64_e32 v[175:176], v[161:162], v[24:25]
	v_mul_f64_e32 v[24:25], v[163:164], v[24:25]
	scratch_load_b128 v[18:21], off, off offset:528
	s_wait_loadcnt_dscnt 0x800
	v_mul_f64_e32 v[179:180], v[2:3], v[28:29]
	v_mul_f64_e32 v[28:29], v[4:5], v[28:29]
	v_add_f64_e32 v[173:174], v[173:174], v[167:168]
	v_add_f64_e32 v[169:170], v[165:166], v[169:170]
	ds_load_b128 v[165:168], v1 offset:1280
	v_fma_f64 v[163:164], v[163:164], v[22:23], v[175:176]
	v_fma_f64 v[161:162], v[161:162], v[22:23], -v[24:25]
	scratch_load_b128 v[22:25], off, off offset:544
	v_fma_f64 v[175:176], v[4:5], v[26:27], v[179:180]
	v_add_f64_e32 v[173:174], v[173:174], v[177:178]
	v_add_f64_e32 v[169:170], v[169:170], v[171:172]
	v_fma_f64 v[177:178], v[2:3], v[26:27], -v[28:29]
	ds_load_b128 v[2:5], v1 offset:1296
	s_wait_loadcnt_dscnt 0x801
	v_mul_f64_e32 v[171:172], v[165:166], v[32:33]
	v_mul_f64_e32 v[32:33], v[167:168], v[32:33]
	scratch_load_b128 v[26:29], off, off offset:560
	s_wait_loadcnt_dscnt 0x800
	v_mul_f64_e32 v[179:180], v[2:3], v[36:37]
	v_mul_f64_e32 v[36:37], v[4:5], v[36:37]
	v_add_f64_e32 v[173:174], v[173:174], v[161:162]
	v_add_f64_e32 v[169:170], v[169:170], v[163:164]
	ds_load_b128 v[161:164], v1 offset:1312
	v_fma_f64 v[167:168], v[167:168], v[30:31], v[171:172]
	v_fma_f64 v[165:166], v[165:166], v[30:31], -v[32:33]
	scratch_load_b128 v[30:33], off, off offset:576
	v_add_f64_e32 v[171:172], v[173:174], v[177:178]
	v_add_f64_e32 v[169:170], v[169:170], v[175:176]
	v_fma_f64 v[175:176], v[4:5], v[34:35], v[179:180]
	v_fma_f64 v[177:178], v[2:3], v[34:35], -v[36:37]
	ds_load_b128 v[2:5], v1 offset:1328
	s_wait_loadcnt_dscnt 0x801
	v_mul_f64_e32 v[173:174], v[161:162], v[159:160]
	v_mul_f64_e32 v[159:160], v[163:164], v[159:160]
	scratch_load_b128 v[34:37], off, off offset:592
	s_wait_loadcnt_dscnt 0x800
	v_mul_f64_e32 v[179:180], v[2:3], v[40:41]
	v_mul_f64_e32 v[40:41], v[4:5], v[40:41]
	v_add_f64_e32 v[171:172], v[171:172], v[165:166]
	v_add_f64_e32 v[169:170], v[169:170], v[167:168]
	ds_load_b128 v[165:168], v1 offset:1344
	v_fma_f64 v[163:164], v[163:164], v[157:158], v[173:174]
	v_fma_f64 v[161:162], v[161:162], v[157:158], -v[159:160]
	scratch_load_b128 v[157:160], off, off offset:608
	v_add_f64_e32 v[171:172], v[171:172], v[177:178]
	v_add_f64_e32 v[169:170], v[169:170], v[175:176]
	v_fma_f64 v[175:176], v[4:5], v[38:39], v[179:180]
	;; [unrolled: 18-line block ×6, first 2 shown]
	v_fma_f64 v[179:180], v[2:3], v[34:35], -v[36:37]
	ds_load_b128 v[2:5], v1 offset:1488
	s_wait_loadcnt_dscnt 0x801
	v_mul_f64_e32 v[173:174], v[165:166], v[159:160]
	v_mul_f64_e32 v[175:176], v[167:168], v[159:160]
	scratch_load_b128 v[34:37], off, off offset:752
	v_add_f64_e32 v[171:172], v[171:172], v[161:162]
	v_add_f64_e32 v[163:164], v[169:170], v[163:164]
	s_wait_loadcnt_dscnt 0x800
	v_mul_f64_e32 v[169:170], v[2:3], v[40:41]
	v_mul_f64_e32 v[40:41], v[4:5], v[40:41]
	ds_load_b128 v[159:162], v1 offset:1504
	v_fma_f64 v[167:168], v[167:168], v[157:158], v[173:174]
	v_fma_f64 v[157:158], v[165:166], v[157:158], -v[175:176]
	v_add_f64_e32 v[171:172], v[171:172], v[179:180]
	v_add_f64_e32 v[173:174], v[163:164], v[177:178]
	scratch_load_b128 v[163:166], off, off offset:768
	v_fma_f64 v[177:178], v[4:5], v[38:39], v[169:170]
	v_fma_f64 v[179:180], v[2:3], v[38:39], -v[40:41]
	ds_load_b128 v[2:5], v1 offset:1520
	s_wait_loadcnt_dscnt 0x801
	v_mul_f64_e32 v[175:176], v[159:160], v[8:9]
	v_mul_f64_e32 v[8:9], v[161:162], v[8:9]
	scratch_load_b128 v[38:41], off, off offset:784
	v_add_f64_e32 v[157:158], v[171:172], v[157:158]
	v_add_f64_e32 v[171:172], v[173:174], v[167:168]
	s_wait_loadcnt_dscnt 0x800
	v_mul_f64_e32 v[173:174], v[2:3], v[12:13]
	v_mul_f64_e32 v[12:13], v[4:5], v[12:13]
	ds_load_b128 v[167:170], v1 offset:1536
	v_fma_f64 v[161:162], v[161:162], v[6:7], v[175:176]
	v_fma_f64 v[159:160], v[159:160], v[6:7], -v[8:9]
	scratch_load_b128 v[6:9], off, off offset:800
	v_add_f64_e32 v[157:158], v[157:158], v[179:180]
	v_add_f64_e32 v[171:172], v[171:172], v[177:178]
	v_fma_f64 v[173:174], v[4:5], v[10:11], v[173:174]
	v_fma_f64 v[177:178], v[2:3], v[10:11], -v[12:13]
	ds_load_b128 v[2:5], v1 offset:1552
	s_wait_loadcnt_dscnt 0x801
	v_mul_f64_e32 v[175:176], v[167:168], v[16:17]
	v_mul_f64_e32 v[16:17], v[169:170], v[16:17]
	scratch_load_b128 v[10:13], off, off offset:816
	v_add_f64_e32 v[179:180], v[157:158], v[159:160]
	v_add_f64_e32 v[161:162], v[171:172], v[161:162]
	s_wait_loadcnt_dscnt 0x800
	v_mul_f64_e32 v[171:172], v[2:3], v[20:21]
	v_mul_f64_e32 v[20:21], v[4:5], v[20:21]
	ds_load_b128 v[157:160], v1 offset:1568
	v_fma_f64 v[169:170], v[169:170], v[14:15], v[175:176]
	v_fma_f64 v[167:168], v[167:168], v[14:15], -v[16:17]
	scratch_load_b128 v[14:17], off, off offset:832
	v_add_f64_e32 v[175:176], v[179:180], v[177:178]
	v_add_f64_e32 v[161:162], v[161:162], v[173:174]
	v_fma_f64 v[171:172], v[4:5], v[18:19], v[171:172]
	v_fma_f64 v[177:178], v[2:3], v[18:19], -v[20:21]
	ds_load_b128 v[2:5], v1 offset:1584
	s_wait_loadcnt_dscnt 0x801
	v_mul_f64_e32 v[173:174], v[157:158], v[24:25]
	v_mul_f64_e32 v[24:25], v[159:160], v[24:25]
	scratch_load_b128 v[18:21], off, off offset:848
	s_wait_loadcnt_dscnt 0x800
	v_mul_f64_e32 v[179:180], v[2:3], v[28:29]
	v_mul_f64_e32 v[28:29], v[4:5], v[28:29]
	v_add_f64_e32 v[175:176], v[175:176], v[167:168]
	v_add_f64_e32 v[161:162], v[161:162], v[169:170]
	ds_load_b128 v[167:170], v1 offset:1600
	v_fma_f64 v[159:160], v[159:160], v[22:23], v[173:174]
	v_fma_f64 v[157:158], v[157:158], v[22:23], -v[24:25]
	scratch_load_b128 v[22:25], off, off offset:864
	v_add_f64_e32 v[173:174], v[175:176], v[177:178]
	v_add_f64_e32 v[161:162], v[161:162], v[171:172]
	v_fma_f64 v[175:176], v[4:5], v[26:27], v[179:180]
	v_fma_f64 v[177:178], v[2:3], v[26:27], -v[28:29]
	ds_load_b128 v[2:5], v1 offset:1616
	s_wait_loadcnt_dscnt 0x801
	v_mul_f64_e32 v[171:172], v[167:168], v[32:33]
	v_mul_f64_e32 v[32:33], v[169:170], v[32:33]
	scratch_load_b128 v[26:29], off, off offset:880
	s_wait_loadcnt_dscnt 0x800
	v_mul_f64_e32 v[179:180], v[2:3], v[36:37]
	v_mul_f64_e32 v[36:37], v[4:5], v[36:37]
	v_add_f64_e32 v[173:174], v[173:174], v[157:158]
	v_add_f64_e32 v[161:162], v[161:162], v[159:160]
	ds_load_b128 v[157:160], v1 offset:1632
	v_fma_f64 v[169:170], v[169:170], v[30:31], v[171:172]
	v_fma_f64 v[30:31], v[167:168], v[30:31], -v[32:33]
	v_fma_f64 v[171:172], v[4:5], v[34:35], v[179:180]
	v_fma_f64 v[34:35], v[2:3], v[34:35], -v[36:37]
	v_add_f64_e32 v[32:33], v[173:174], v[177:178]
	v_add_f64_e32 v[161:162], v[161:162], v[175:176]
	s_wait_loadcnt_dscnt 0x700
	v_mul_f64_e32 v[167:168], v[157:158], v[165:166]
	v_mul_f64_e32 v[165:166], v[159:160], v[165:166]
	s_delay_alu instid0(VALU_DEP_4) | instskip(NEXT) | instid1(VALU_DEP_4)
	v_add_f64_e32 v[36:37], v[32:33], v[30:31]
	v_add_f64_e32 v[161:162], v[161:162], v[169:170]
	ds_load_b128 v[2:5], v1 offset:1648
	ds_load_b128 v[30:33], v1 offset:1664
	v_fma_f64 v[159:160], v[159:160], v[163:164], v[167:168]
	v_fma_f64 v[157:158], v[157:158], v[163:164], -v[165:166]
	s_wait_loadcnt_dscnt 0x601
	v_mul_f64_e32 v[169:170], v[2:3], v[40:41]
	v_mul_f64_e32 v[40:41], v[4:5], v[40:41]
	v_add_f64_e32 v[34:35], v[36:37], v[34:35]
	v_add_f64_e32 v[36:37], v[161:162], v[171:172]
	s_wait_loadcnt_dscnt 0x500
	v_mul_f64_e32 v[161:162], v[30:31], v[8:9]
	v_mul_f64_e32 v[8:9], v[32:33], v[8:9]
	v_fma_f64 v[163:164], v[4:5], v[38:39], v[169:170]
	v_fma_f64 v[38:39], v[2:3], v[38:39], -v[40:41]
	v_add_f64_e32 v[40:41], v[34:35], v[157:158]
	v_add_f64_e32 v[157:158], v[36:37], v[159:160]
	ds_load_b128 v[2:5], v1 offset:1680
	ds_load_b128 v[34:37], v1 offset:1696
	v_fma_f64 v[32:33], v[32:33], v[6:7], v[161:162]
	v_fma_f64 v[6:7], v[30:31], v[6:7], -v[8:9]
	s_wait_loadcnt_dscnt 0x401
	v_mul_f64_e32 v[159:160], v[2:3], v[12:13]
	v_mul_f64_e32 v[12:13], v[4:5], v[12:13]
	v_add_f64_e32 v[8:9], v[40:41], v[38:39]
	v_add_f64_e32 v[30:31], v[157:158], v[163:164]
	s_wait_loadcnt_dscnt 0x300
	v_mul_f64_e32 v[38:39], v[34:35], v[16:17]
	v_mul_f64_e32 v[16:17], v[36:37], v[16:17]
	v_fma_f64 v[40:41], v[4:5], v[10:11], v[159:160]
	v_fma_f64 v[10:11], v[2:3], v[10:11], -v[12:13]
	v_add_f64_e32 v[12:13], v[8:9], v[6:7]
	v_add_f64_e32 v[30:31], v[30:31], v[32:33]
	ds_load_b128 v[2:5], v1 offset:1712
	ds_load_b128 v[6:9], v1 offset:1728
	v_fma_f64 v[36:37], v[36:37], v[14:15], v[38:39]
	v_fma_f64 v[14:15], v[34:35], v[14:15], -v[16:17]
	s_wait_loadcnt_dscnt 0x201
	v_mul_f64_e32 v[32:33], v[2:3], v[20:21]
	v_mul_f64_e32 v[20:21], v[4:5], v[20:21]
	s_wait_loadcnt_dscnt 0x100
	v_mul_f64_e32 v[16:17], v[6:7], v[24:25]
	v_mul_f64_e32 v[24:25], v[8:9], v[24:25]
	v_add_f64_e32 v[10:11], v[12:13], v[10:11]
	v_add_f64_e32 v[12:13], v[30:31], v[40:41]
	v_fma_f64 v[30:31], v[4:5], v[18:19], v[32:33]
	v_fma_f64 v[18:19], v[2:3], v[18:19], -v[20:21]
	ds_load_b128 v[2:5], v1 offset:1744
	v_fma_f64 v[8:9], v[8:9], v[22:23], v[16:17]
	v_fma_f64 v[6:7], v[6:7], v[22:23], -v[24:25]
	v_add_f64_e32 v[10:11], v[10:11], v[14:15]
	v_add_f64_e32 v[12:13], v[12:13], v[36:37]
	s_wait_loadcnt_dscnt 0x0
	v_mul_f64_e32 v[14:15], v[2:3], v[28:29]
	v_mul_f64_e32 v[20:21], v[4:5], v[28:29]
	s_delay_alu instid0(VALU_DEP_4) | instskip(NEXT) | instid1(VALU_DEP_4)
	v_add_f64_e32 v[10:11], v[10:11], v[18:19]
	v_add_f64_e32 v[12:13], v[12:13], v[30:31]
	s_delay_alu instid0(VALU_DEP_4) | instskip(NEXT) | instid1(VALU_DEP_4)
	v_fma_f64 v[4:5], v[4:5], v[26:27], v[14:15]
	v_fma_f64 v[2:3], v[2:3], v[26:27], -v[20:21]
	s_delay_alu instid0(VALU_DEP_4) | instskip(NEXT) | instid1(VALU_DEP_4)
	v_add_f64_e32 v[6:7], v[10:11], v[6:7]
	v_add_f64_e32 v[8:9], v[12:13], v[8:9]
	s_delay_alu instid0(VALU_DEP_2) | instskip(NEXT) | instid1(VALU_DEP_2)
	v_add_f64_e32 v[2:3], v[6:7], v[2:3]
	v_add_f64_e32 v[4:5], v[8:9], v[4:5]
	s_delay_alu instid0(VALU_DEP_2) | instskip(NEXT) | instid1(VALU_DEP_2)
	v_add_f64_e64 v[2:3], v[42:43], -v[2:3]
	v_add_f64_e64 v[4:5], v[44:45], -v[4:5]
	scratch_store_b128 off, v[2:5], off offset:128
	v_cmpx_lt_u32_e32 6, v0
	s_cbranch_execz .LBB118_331
; %bb.330:
	scratch_load_b128 v[5:8], off, s62
	v_dual_mov_b32 v2, v1 :: v_dual_mov_b32 v3, v1
	v_mov_b32_e32 v4, v1
	scratch_store_b128 off, v[1:4], off offset:112
	s_wait_loadcnt 0x0
	ds_store_b128 v156, v[5:8]
.LBB118_331:
	s_wait_alu 0xfffe
	s_or_b32 exec_lo, exec_lo, s0
	s_wait_storecnt_dscnt 0x0
	s_barrier_signal -1
	s_barrier_wait -1
	global_inv scope:SCOPE_SE
	s_clause 0x8
	scratch_load_b128 v[2:5], off, off offset:128
	scratch_load_b128 v[6:9], off, off offset:144
	;; [unrolled: 1-line block ×9, first 2 shown]
	ds_load_b128 v[42:45], v1 offset:992
	ds_load_b128 v[38:41], v1 offset:1008
	s_clause 0x1
	scratch_load_b128 v[157:160], off, off offset:112
	scratch_load_b128 v[161:164], off, off offset:272
	s_mov_b32 s0, exec_lo
	s_wait_loadcnt_dscnt 0xa01
	v_mul_f64_e32 v[165:166], v[44:45], v[4:5]
	v_mul_f64_e32 v[4:5], v[42:43], v[4:5]
	s_wait_loadcnt_dscnt 0x900
	v_mul_f64_e32 v[169:170], v[38:39], v[8:9]
	v_mul_f64_e32 v[8:9], v[40:41], v[8:9]
	s_delay_alu instid0(VALU_DEP_4) | instskip(NEXT) | instid1(VALU_DEP_4)
	v_fma_f64 v[171:172], v[42:43], v[2:3], -v[165:166]
	v_fma_f64 v[173:174], v[44:45], v[2:3], v[4:5]
	ds_load_b128 v[2:5], v1 offset:1024
	ds_load_b128 v[165:168], v1 offset:1040
	scratch_load_b128 v[42:45], off, off offset:288
	v_fma_f64 v[40:41], v[40:41], v[6:7], v[169:170]
	v_fma_f64 v[38:39], v[38:39], v[6:7], -v[8:9]
	scratch_load_b128 v[6:9], off, off offset:304
	s_wait_loadcnt_dscnt 0xa01
	v_mul_f64_e32 v[175:176], v[2:3], v[12:13]
	v_mul_f64_e32 v[12:13], v[4:5], v[12:13]
	v_add_f64_e32 v[169:170], 0, v[171:172]
	v_add_f64_e32 v[171:172], 0, v[173:174]
	s_wait_loadcnt_dscnt 0x900
	v_mul_f64_e32 v[173:174], v[165:166], v[16:17]
	v_mul_f64_e32 v[16:17], v[167:168], v[16:17]
	v_fma_f64 v[175:176], v[4:5], v[10:11], v[175:176]
	v_fma_f64 v[177:178], v[2:3], v[10:11], -v[12:13]
	ds_load_b128 v[2:5], v1 offset:1056
	scratch_load_b128 v[10:13], off, off offset:320
	v_add_f64_e32 v[169:170], v[169:170], v[38:39]
	v_add_f64_e32 v[171:172], v[171:172], v[40:41]
	ds_load_b128 v[38:41], v1 offset:1072
	v_fma_f64 v[167:168], v[167:168], v[14:15], v[173:174]
	v_fma_f64 v[165:166], v[165:166], v[14:15], -v[16:17]
	scratch_load_b128 v[14:17], off, off offset:336
	s_wait_loadcnt_dscnt 0xa01
	v_mul_f64_e32 v[179:180], v[2:3], v[20:21]
	v_mul_f64_e32 v[20:21], v[4:5], v[20:21]
	s_wait_loadcnt_dscnt 0x900
	v_mul_f64_e32 v[173:174], v[38:39], v[24:25]
	v_mul_f64_e32 v[24:25], v[40:41], v[24:25]
	v_add_f64_e32 v[169:170], v[169:170], v[177:178]
	v_add_f64_e32 v[171:172], v[171:172], v[175:176]
	v_fma_f64 v[175:176], v[4:5], v[18:19], v[179:180]
	v_fma_f64 v[177:178], v[2:3], v[18:19], -v[20:21]
	ds_load_b128 v[2:5], v1 offset:1088
	scratch_load_b128 v[18:21], off, off offset:352
	v_fma_f64 v[40:41], v[40:41], v[22:23], v[173:174]
	v_fma_f64 v[38:39], v[38:39], v[22:23], -v[24:25]
	scratch_load_b128 v[22:25], off, off offset:368
	v_add_f64_e32 v[169:170], v[169:170], v[165:166]
	v_add_f64_e32 v[171:172], v[171:172], v[167:168]
	ds_load_b128 v[165:168], v1 offset:1104
	s_wait_loadcnt_dscnt 0xa01
	v_mul_f64_e32 v[179:180], v[2:3], v[28:29]
	v_mul_f64_e32 v[28:29], v[4:5], v[28:29]
	s_wait_loadcnt_dscnt 0x900
	v_mul_f64_e32 v[173:174], v[165:166], v[32:33]
	v_mul_f64_e32 v[32:33], v[167:168], v[32:33]
	v_add_f64_e32 v[169:170], v[169:170], v[177:178]
	v_add_f64_e32 v[171:172], v[171:172], v[175:176]
	v_fma_f64 v[175:176], v[4:5], v[26:27], v[179:180]
	v_fma_f64 v[177:178], v[2:3], v[26:27], -v[28:29]
	ds_load_b128 v[2:5], v1 offset:1120
	scratch_load_b128 v[26:29], off, off offset:384
	v_fma_f64 v[167:168], v[167:168], v[30:31], v[173:174]
	v_fma_f64 v[165:166], v[165:166], v[30:31], -v[32:33]
	scratch_load_b128 v[30:33], off, off offset:400
	v_add_f64_e32 v[169:170], v[169:170], v[38:39]
	v_add_f64_e32 v[171:172], v[171:172], v[40:41]
	ds_load_b128 v[38:41], v1 offset:1136
	s_wait_loadcnt_dscnt 0xa01
	v_mul_f64_e32 v[179:180], v[2:3], v[36:37]
	v_mul_f64_e32 v[36:37], v[4:5], v[36:37]
	s_wait_loadcnt_dscnt 0x800
	v_mul_f64_e32 v[173:174], v[38:39], v[163:164]
	v_add_f64_e32 v[169:170], v[169:170], v[177:178]
	v_add_f64_e32 v[171:172], v[171:172], v[175:176]
	v_mul_f64_e32 v[175:176], v[40:41], v[163:164]
	v_fma_f64 v[177:178], v[4:5], v[34:35], v[179:180]
	v_fma_f64 v[179:180], v[2:3], v[34:35], -v[36:37]
	ds_load_b128 v[2:5], v1 offset:1152
	scratch_load_b128 v[34:37], off, off offset:416
	v_fma_f64 v[173:174], v[40:41], v[161:162], v[173:174]
	v_add_f64_e32 v[169:170], v[169:170], v[165:166]
	v_add_f64_e32 v[167:168], v[171:172], v[167:168]
	ds_load_b128 v[163:166], v1 offset:1168
	v_fma_f64 v[161:162], v[38:39], v[161:162], -v[175:176]
	scratch_load_b128 v[38:41], off, off offset:432
	s_wait_loadcnt_dscnt 0x901
	v_mul_f64_e32 v[171:172], v[2:3], v[44:45]
	v_mul_f64_e32 v[44:45], v[4:5], v[44:45]
	s_wait_loadcnt_dscnt 0x800
	v_mul_f64_e32 v[175:176], v[163:164], v[8:9]
	v_mul_f64_e32 v[8:9], v[165:166], v[8:9]
	v_add_f64_e32 v[169:170], v[169:170], v[179:180]
	v_add_f64_e32 v[167:168], v[167:168], v[177:178]
	v_fma_f64 v[171:172], v[4:5], v[42:43], v[171:172]
	v_fma_f64 v[177:178], v[2:3], v[42:43], -v[44:45]
	ds_load_b128 v[2:5], v1 offset:1184
	scratch_load_b128 v[42:45], off, off offset:448
	v_fma_f64 v[165:166], v[165:166], v[6:7], v[175:176]
	v_fma_f64 v[163:164], v[163:164], v[6:7], -v[8:9]
	scratch_load_b128 v[6:9], off, off offset:464
	v_add_f64_e32 v[161:162], v[169:170], v[161:162]
	v_add_f64_e32 v[173:174], v[167:168], v[173:174]
	ds_load_b128 v[167:170], v1 offset:1200
	s_wait_loadcnt_dscnt 0x901
	v_mul_f64_e32 v[179:180], v[2:3], v[12:13]
	v_mul_f64_e32 v[12:13], v[4:5], v[12:13]
	v_add_f64_e32 v[161:162], v[161:162], v[177:178]
	v_add_f64_e32 v[171:172], v[173:174], v[171:172]
	s_wait_loadcnt_dscnt 0x800
	v_mul_f64_e32 v[173:174], v[167:168], v[16:17]
	v_mul_f64_e32 v[16:17], v[169:170], v[16:17]
	v_fma_f64 v[175:176], v[4:5], v[10:11], v[179:180]
	v_fma_f64 v[177:178], v[2:3], v[10:11], -v[12:13]
	ds_load_b128 v[2:5], v1 offset:1216
	scratch_load_b128 v[10:13], off, off offset:480
	v_add_f64_e32 v[179:180], v[161:162], v[163:164]
	v_add_f64_e32 v[165:166], v[171:172], v[165:166]
	ds_load_b128 v[161:164], v1 offset:1232
	s_wait_loadcnt_dscnt 0x801
	v_mul_f64_e32 v[171:172], v[2:3], v[20:21]
	v_mul_f64_e32 v[20:21], v[4:5], v[20:21]
	v_fma_f64 v[169:170], v[169:170], v[14:15], v[173:174]
	v_fma_f64 v[167:168], v[167:168], v[14:15], -v[16:17]
	scratch_load_b128 v[14:17], off, off offset:496
	v_add_f64_e32 v[173:174], v[179:180], v[177:178]
	v_add_f64_e32 v[165:166], v[165:166], v[175:176]
	s_wait_loadcnt_dscnt 0x800
	v_mul_f64_e32 v[175:176], v[161:162], v[24:25]
	v_mul_f64_e32 v[24:25], v[163:164], v[24:25]
	v_fma_f64 v[171:172], v[4:5], v[18:19], v[171:172]
	v_fma_f64 v[177:178], v[2:3], v[18:19], -v[20:21]
	ds_load_b128 v[2:5], v1 offset:1248
	scratch_load_b128 v[18:21], off, off offset:512
	v_add_f64_e32 v[173:174], v[173:174], v[167:168]
	v_add_f64_e32 v[169:170], v[165:166], v[169:170]
	ds_load_b128 v[165:168], v1 offset:1264
	s_wait_loadcnt_dscnt 0x801
	v_mul_f64_e32 v[179:180], v[2:3], v[28:29]
	v_mul_f64_e32 v[28:29], v[4:5], v[28:29]
	v_fma_f64 v[163:164], v[163:164], v[22:23], v[175:176]
	v_fma_f64 v[161:162], v[161:162], v[22:23], -v[24:25]
	scratch_load_b128 v[22:25], off, off offset:528
	;; [unrolled: 18-line block ×4, first 2 shown]
	s_wait_loadcnt_dscnt 0x800
	v_mul_f64_e32 v[173:174], v[165:166], v[8:9]
	v_mul_f64_e32 v[8:9], v[167:168], v[8:9]
	v_add_f64_e32 v[171:172], v[171:172], v[177:178]
	v_add_f64_e32 v[169:170], v[169:170], v[175:176]
	v_fma_f64 v[175:176], v[4:5], v[42:43], v[179:180]
	v_fma_f64 v[177:178], v[2:3], v[42:43], -v[44:45]
	ds_load_b128 v[2:5], v1 offset:1344
	scratch_load_b128 v[42:45], off, off offset:608
	v_fma_f64 v[167:168], v[167:168], v[6:7], v[173:174]
	v_fma_f64 v[165:166], v[165:166], v[6:7], -v[8:9]
	scratch_load_b128 v[6:9], off, off offset:624
	v_add_f64_e32 v[171:172], v[171:172], v[161:162]
	v_add_f64_e32 v[169:170], v[169:170], v[163:164]
	ds_load_b128 v[161:164], v1 offset:1360
	s_wait_loadcnt_dscnt 0x901
	v_mul_f64_e32 v[179:180], v[2:3], v[12:13]
	v_mul_f64_e32 v[12:13], v[4:5], v[12:13]
	s_wait_loadcnt_dscnt 0x800
	v_mul_f64_e32 v[173:174], v[161:162], v[16:17]
	v_mul_f64_e32 v[16:17], v[163:164], v[16:17]
	v_add_f64_e32 v[171:172], v[171:172], v[177:178]
	v_add_f64_e32 v[169:170], v[169:170], v[175:176]
	v_fma_f64 v[175:176], v[4:5], v[10:11], v[179:180]
	v_fma_f64 v[177:178], v[2:3], v[10:11], -v[12:13]
	ds_load_b128 v[2:5], v1 offset:1376
	scratch_load_b128 v[10:13], off, off offset:640
	v_fma_f64 v[163:164], v[163:164], v[14:15], v[173:174]
	v_fma_f64 v[161:162], v[161:162], v[14:15], -v[16:17]
	scratch_load_b128 v[14:17], off, off offset:656
	v_add_f64_e32 v[171:172], v[171:172], v[165:166]
	v_add_f64_e32 v[169:170], v[169:170], v[167:168]
	ds_load_b128 v[165:168], v1 offset:1392
	s_wait_loadcnt_dscnt 0x901
	v_mul_f64_e32 v[179:180], v[2:3], v[20:21]
	v_mul_f64_e32 v[20:21], v[4:5], v[20:21]
	;; [unrolled: 18-line block ×9, first 2 shown]
	s_wait_loadcnt_dscnt 0x800
	v_mul_f64_e32 v[173:174], v[161:162], v[40:41]
	v_mul_f64_e32 v[40:41], v[163:164], v[40:41]
	v_add_f64_e32 v[171:172], v[171:172], v[177:178]
	v_add_f64_e32 v[169:170], v[169:170], v[175:176]
	v_fma_f64 v[175:176], v[4:5], v[34:35], v[179:180]
	v_fma_f64 v[177:178], v[2:3], v[34:35], -v[36:37]
	ds_load_b128 v[2:5], v1 offset:1632
	ds_load_b128 v[34:37], v1 offset:1648
	v_fma_f64 v[163:164], v[163:164], v[38:39], v[173:174]
	v_fma_f64 v[38:39], v[161:162], v[38:39], -v[40:41]
	v_add_f64_e32 v[165:166], v[171:172], v[165:166]
	v_add_f64_e32 v[167:168], v[169:170], v[167:168]
	s_wait_loadcnt_dscnt 0x701
	v_mul_f64_e32 v[169:170], v[2:3], v[44:45]
	v_mul_f64_e32 v[44:45], v[4:5], v[44:45]
	s_delay_alu instid0(VALU_DEP_4) | instskip(NEXT) | instid1(VALU_DEP_4)
	v_add_f64_e32 v[40:41], v[165:166], v[177:178]
	v_add_f64_e32 v[161:162], v[167:168], v[175:176]
	s_wait_loadcnt_dscnt 0x600
	v_mul_f64_e32 v[165:166], v[34:35], v[8:9]
	v_mul_f64_e32 v[8:9], v[36:37], v[8:9]
	v_fma_f64 v[167:168], v[4:5], v[42:43], v[169:170]
	v_fma_f64 v[42:43], v[2:3], v[42:43], -v[44:45]
	v_add_f64_e32 v[44:45], v[40:41], v[38:39]
	v_add_f64_e32 v[161:162], v[161:162], v[163:164]
	ds_load_b128 v[2:5], v1 offset:1664
	ds_load_b128 v[38:41], v1 offset:1680
	v_fma_f64 v[36:37], v[36:37], v[6:7], v[165:166]
	v_fma_f64 v[6:7], v[34:35], v[6:7], -v[8:9]
	s_wait_loadcnt_dscnt 0x501
	v_mul_f64_e32 v[163:164], v[2:3], v[12:13]
	v_mul_f64_e32 v[12:13], v[4:5], v[12:13]
	v_add_f64_e32 v[8:9], v[44:45], v[42:43]
	v_add_f64_e32 v[34:35], v[161:162], v[167:168]
	s_wait_loadcnt_dscnt 0x400
	v_mul_f64_e32 v[42:43], v[38:39], v[16:17]
	v_mul_f64_e32 v[16:17], v[40:41], v[16:17]
	v_fma_f64 v[44:45], v[4:5], v[10:11], v[163:164]
	v_fma_f64 v[10:11], v[2:3], v[10:11], -v[12:13]
	v_add_f64_e32 v[12:13], v[8:9], v[6:7]
	v_add_f64_e32 v[34:35], v[34:35], v[36:37]
	ds_load_b128 v[2:5], v1 offset:1696
	ds_load_b128 v[6:9], v1 offset:1712
	v_fma_f64 v[40:41], v[40:41], v[14:15], v[42:43]
	v_fma_f64 v[14:15], v[38:39], v[14:15], -v[16:17]
	s_wait_loadcnt_dscnt 0x301
	v_mul_f64_e32 v[36:37], v[2:3], v[20:21]
	v_mul_f64_e32 v[20:21], v[4:5], v[20:21]
	s_wait_loadcnt_dscnt 0x200
	v_mul_f64_e32 v[16:17], v[6:7], v[24:25]
	v_mul_f64_e32 v[24:25], v[8:9], v[24:25]
	v_add_f64_e32 v[10:11], v[12:13], v[10:11]
	v_add_f64_e32 v[12:13], v[34:35], v[44:45]
	v_fma_f64 v[34:35], v[4:5], v[18:19], v[36:37]
	v_fma_f64 v[18:19], v[2:3], v[18:19], -v[20:21]
	v_fma_f64 v[8:9], v[8:9], v[22:23], v[16:17]
	v_fma_f64 v[6:7], v[6:7], v[22:23], -v[24:25]
	v_add_f64_e32 v[14:15], v[10:11], v[14:15]
	v_add_f64_e32 v[20:21], v[12:13], v[40:41]
	ds_load_b128 v[2:5], v1 offset:1728
	ds_load_b128 v[10:13], v1 offset:1744
	s_wait_loadcnt_dscnt 0x101
	v_mul_f64_e32 v[36:37], v[2:3], v[28:29]
	v_mul_f64_e32 v[28:29], v[4:5], v[28:29]
	v_add_f64_e32 v[14:15], v[14:15], v[18:19]
	v_add_f64_e32 v[16:17], v[20:21], v[34:35]
	s_wait_loadcnt_dscnt 0x0
	v_mul_f64_e32 v[18:19], v[10:11], v[32:33]
	v_mul_f64_e32 v[20:21], v[12:13], v[32:33]
	v_fma_f64 v[4:5], v[4:5], v[26:27], v[36:37]
	v_fma_f64 v[1:2], v[2:3], v[26:27], -v[28:29]
	v_add_f64_e32 v[6:7], v[14:15], v[6:7]
	v_add_f64_e32 v[8:9], v[16:17], v[8:9]
	v_fma_f64 v[12:13], v[12:13], v[30:31], v[18:19]
	v_fma_f64 v[10:11], v[10:11], v[30:31], -v[20:21]
	s_delay_alu instid0(VALU_DEP_4) | instskip(NEXT) | instid1(VALU_DEP_4)
	v_add_f64_e32 v[1:2], v[6:7], v[1:2]
	v_add_f64_e32 v[3:4], v[8:9], v[4:5]
	s_delay_alu instid0(VALU_DEP_2) | instskip(NEXT) | instid1(VALU_DEP_2)
	v_add_f64_e32 v[1:2], v[1:2], v[10:11]
	v_add_f64_e32 v[3:4], v[3:4], v[12:13]
	s_delay_alu instid0(VALU_DEP_2) | instskip(NEXT) | instid1(VALU_DEP_2)
	v_add_f64_e64 v[1:2], v[157:158], -v[1:2]
	v_add_f64_e64 v[3:4], v[159:160], -v[3:4]
	scratch_store_b128 off, v[1:4], off offset:112
	v_cmpx_lt_u32_e32 5, v0
	s_cbranch_execz .LBB118_333
; %bb.332:
	scratch_load_b128 v[1:4], off, s63
	v_mov_b32_e32 v5, 0
	s_delay_alu instid0(VALU_DEP_1)
	v_dual_mov_b32 v6, v5 :: v_dual_mov_b32 v7, v5
	v_mov_b32_e32 v8, v5
	scratch_store_b128 off, v[5:8], off offset:96
	s_wait_loadcnt 0x0
	ds_store_b128 v156, v[1:4]
.LBB118_333:
	s_wait_alu 0xfffe
	s_or_b32 exec_lo, exec_lo, s0
	s_wait_storecnt_dscnt 0x0
	s_barrier_signal -1
	s_barrier_wait -1
	global_inv scope:SCOPE_SE
	s_clause 0x7
	scratch_load_b128 v[2:5], off, off offset:112
	scratch_load_b128 v[6:9], off, off offset:128
	;; [unrolled: 1-line block ×8, first 2 shown]
	v_mov_b32_e32 v1, 0
	s_mov_b32 s0, exec_lo
	ds_load_b128 v[38:41], v1 offset:976
	s_clause 0x1
	scratch_load_b128 v[34:37], off, off offset:240
	scratch_load_b128 v[42:45], off, off offset:96
	ds_load_b128 v[157:160], v1 offset:992
	scratch_load_b128 v[161:164], off, off offset:256
	s_wait_loadcnt_dscnt 0xa01
	v_mul_f64_e32 v[165:166], v[40:41], v[4:5]
	v_mul_f64_e32 v[4:5], v[38:39], v[4:5]
	s_delay_alu instid0(VALU_DEP_2) | instskip(NEXT) | instid1(VALU_DEP_2)
	v_fma_f64 v[171:172], v[38:39], v[2:3], -v[165:166]
	v_fma_f64 v[173:174], v[40:41], v[2:3], v[4:5]
	ds_load_b128 v[2:5], v1 offset:1008
	s_wait_loadcnt_dscnt 0x901
	v_mul_f64_e32 v[169:170], v[157:158], v[8:9]
	v_mul_f64_e32 v[8:9], v[159:160], v[8:9]
	scratch_load_b128 v[38:41], off, off offset:272
	ds_load_b128 v[165:168], v1 offset:1024
	s_wait_loadcnt_dscnt 0x901
	v_mul_f64_e32 v[175:176], v[2:3], v[12:13]
	v_mul_f64_e32 v[12:13], v[4:5], v[12:13]
	v_fma_f64 v[159:160], v[159:160], v[6:7], v[169:170]
	v_fma_f64 v[157:158], v[157:158], v[6:7], -v[8:9]
	v_add_f64_e32 v[169:170], 0, v[171:172]
	v_add_f64_e32 v[171:172], 0, v[173:174]
	scratch_load_b128 v[6:9], off, off offset:288
	v_fma_f64 v[175:176], v[4:5], v[10:11], v[175:176]
	v_fma_f64 v[177:178], v[2:3], v[10:11], -v[12:13]
	ds_load_b128 v[2:5], v1 offset:1040
	s_wait_loadcnt_dscnt 0x901
	v_mul_f64_e32 v[173:174], v[165:166], v[16:17]
	v_mul_f64_e32 v[16:17], v[167:168], v[16:17]
	scratch_load_b128 v[10:13], off, off offset:304
	v_add_f64_e32 v[169:170], v[169:170], v[157:158]
	v_add_f64_e32 v[171:172], v[171:172], v[159:160]
	s_wait_loadcnt_dscnt 0x900
	v_mul_f64_e32 v[179:180], v[2:3], v[20:21]
	v_mul_f64_e32 v[20:21], v[4:5], v[20:21]
	ds_load_b128 v[157:160], v1 offset:1056
	v_fma_f64 v[167:168], v[167:168], v[14:15], v[173:174]
	v_fma_f64 v[165:166], v[165:166], v[14:15], -v[16:17]
	scratch_load_b128 v[14:17], off, off offset:320
	v_add_f64_e32 v[169:170], v[169:170], v[177:178]
	v_add_f64_e32 v[171:172], v[171:172], v[175:176]
	v_fma_f64 v[175:176], v[4:5], v[18:19], v[179:180]
	v_fma_f64 v[177:178], v[2:3], v[18:19], -v[20:21]
	ds_load_b128 v[2:5], v1 offset:1072
	s_wait_loadcnt_dscnt 0x901
	v_mul_f64_e32 v[173:174], v[157:158], v[24:25]
	v_mul_f64_e32 v[24:25], v[159:160], v[24:25]
	scratch_load_b128 v[18:21], off, off offset:336
	s_wait_loadcnt_dscnt 0x900
	v_mul_f64_e32 v[179:180], v[2:3], v[28:29]
	v_mul_f64_e32 v[28:29], v[4:5], v[28:29]
	v_add_f64_e32 v[169:170], v[169:170], v[165:166]
	v_add_f64_e32 v[171:172], v[171:172], v[167:168]
	ds_load_b128 v[165:168], v1 offset:1088
	v_fma_f64 v[159:160], v[159:160], v[22:23], v[173:174]
	v_fma_f64 v[157:158], v[157:158], v[22:23], -v[24:25]
	scratch_load_b128 v[22:25], off, off offset:352
	v_add_f64_e32 v[169:170], v[169:170], v[177:178]
	v_add_f64_e32 v[171:172], v[171:172], v[175:176]
	v_fma_f64 v[175:176], v[4:5], v[26:27], v[179:180]
	v_fma_f64 v[177:178], v[2:3], v[26:27], -v[28:29]
	ds_load_b128 v[2:5], v1 offset:1104
	s_wait_loadcnt_dscnt 0x901
	v_mul_f64_e32 v[173:174], v[165:166], v[32:33]
	v_mul_f64_e32 v[32:33], v[167:168], v[32:33]
	scratch_load_b128 v[26:29], off, off offset:368
	s_wait_loadcnt_dscnt 0x900
	v_mul_f64_e32 v[179:180], v[2:3], v[36:37]
	v_mul_f64_e32 v[36:37], v[4:5], v[36:37]
	v_add_f64_e32 v[169:170], v[169:170], v[157:158]
	v_add_f64_e32 v[171:172], v[171:172], v[159:160]
	ds_load_b128 v[157:160], v1 offset:1120
	v_fma_f64 v[167:168], v[167:168], v[30:31], v[173:174]
	v_fma_f64 v[165:166], v[165:166], v[30:31], -v[32:33]
	scratch_load_b128 v[30:33], off, off offset:384
	v_add_f64_e32 v[169:170], v[169:170], v[177:178]
	v_add_f64_e32 v[171:172], v[171:172], v[175:176]
	v_fma_f64 v[177:178], v[4:5], v[34:35], v[179:180]
	v_fma_f64 v[179:180], v[2:3], v[34:35], -v[36:37]
	ds_load_b128 v[2:5], v1 offset:1136
	s_wait_loadcnt_dscnt 0x801
	v_mul_f64_e32 v[173:174], v[157:158], v[163:164]
	v_mul_f64_e32 v[175:176], v[159:160], v[163:164]
	scratch_load_b128 v[34:37], off, off offset:400
	v_add_f64_e32 v[169:170], v[169:170], v[165:166]
	v_add_f64_e32 v[167:168], v[171:172], v[167:168]
	ds_load_b128 v[163:166], v1 offset:1152
	v_fma_f64 v[173:174], v[159:160], v[161:162], v[173:174]
	v_fma_f64 v[161:162], v[157:158], v[161:162], -v[175:176]
	scratch_load_b128 v[157:160], off, off offset:416
	s_wait_loadcnt_dscnt 0x901
	v_mul_f64_e32 v[171:172], v[2:3], v[40:41]
	v_mul_f64_e32 v[40:41], v[4:5], v[40:41]
	v_add_f64_e32 v[169:170], v[169:170], v[179:180]
	v_add_f64_e32 v[167:168], v[167:168], v[177:178]
	s_delay_alu instid0(VALU_DEP_4) | instskip(NEXT) | instid1(VALU_DEP_4)
	v_fma_f64 v[171:172], v[4:5], v[38:39], v[171:172]
	v_fma_f64 v[177:178], v[2:3], v[38:39], -v[40:41]
	ds_load_b128 v[2:5], v1 offset:1168
	s_wait_loadcnt_dscnt 0x801
	v_mul_f64_e32 v[175:176], v[163:164], v[8:9]
	v_mul_f64_e32 v[8:9], v[165:166], v[8:9]
	scratch_load_b128 v[38:41], off, off offset:432
	s_wait_loadcnt_dscnt 0x800
	v_mul_f64_e32 v[179:180], v[2:3], v[12:13]
	v_add_f64_e32 v[161:162], v[169:170], v[161:162]
	v_add_f64_e32 v[173:174], v[167:168], v[173:174]
	v_mul_f64_e32 v[12:13], v[4:5], v[12:13]
	ds_load_b128 v[167:170], v1 offset:1184
	v_fma_f64 v[165:166], v[165:166], v[6:7], v[175:176]
	v_fma_f64 v[163:164], v[163:164], v[6:7], -v[8:9]
	scratch_load_b128 v[6:9], off, off offset:448
	v_fma_f64 v[175:176], v[4:5], v[10:11], v[179:180]
	v_add_f64_e32 v[161:162], v[161:162], v[177:178]
	v_add_f64_e32 v[171:172], v[173:174], v[171:172]
	v_fma_f64 v[177:178], v[2:3], v[10:11], -v[12:13]
	ds_load_b128 v[2:5], v1 offset:1200
	s_wait_loadcnt_dscnt 0x801
	v_mul_f64_e32 v[173:174], v[167:168], v[16:17]
	v_mul_f64_e32 v[16:17], v[169:170], v[16:17]
	scratch_load_b128 v[10:13], off, off offset:464
	v_add_f64_e32 v[179:180], v[161:162], v[163:164]
	v_add_f64_e32 v[165:166], v[171:172], v[165:166]
	s_wait_loadcnt_dscnt 0x800
	v_mul_f64_e32 v[171:172], v[2:3], v[20:21]
	v_mul_f64_e32 v[20:21], v[4:5], v[20:21]
	v_fma_f64 v[169:170], v[169:170], v[14:15], v[173:174]
	v_fma_f64 v[167:168], v[167:168], v[14:15], -v[16:17]
	ds_load_b128 v[161:164], v1 offset:1216
	scratch_load_b128 v[14:17], off, off offset:480
	v_add_f64_e32 v[173:174], v[179:180], v[177:178]
	v_add_f64_e32 v[165:166], v[165:166], v[175:176]
	v_fma_f64 v[171:172], v[4:5], v[18:19], v[171:172]
	v_fma_f64 v[177:178], v[2:3], v[18:19], -v[20:21]
	ds_load_b128 v[2:5], v1 offset:1232
	s_wait_loadcnt_dscnt 0x801
	v_mul_f64_e32 v[175:176], v[161:162], v[24:25]
	v_mul_f64_e32 v[24:25], v[163:164], v[24:25]
	scratch_load_b128 v[18:21], off, off offset:496
	s_wait_loadcnt_dscnt 0x800
	v_mul_f64_e32 v[179:180], v[2:3], v[28:29]
	v_mul_f64_e32 v[28:29], v[4:5], v[28:29]
	v_add_f64_e32 v[173:174], v[173:174], v[167:168]
	v_add_f64_e32 v[169:170], v[165:166], v[169:170]
	ds_load_b128 v[165:168], v1 offset:1248
	v_fma_f64 v[163:164], v[163:164], v[22:23], v[175:176]
	v_fma_f64 v[161:162], v[161:162], v[22:23], -v[24:25]
	scratch_load_b128 v[22:25], off, off offset:512
	v_fma_f64 v[175:176], v[4:5], v[26:27], v[179:180]
	v_add_f64_e32 v[173:174], v[173:174], v[177:178]
	v_add_f64_e32 v[169:170], v[169:170], v[171:172]
	v_fma_f64 v[177:178], v[2:3], v[26:27], -v[28:29]
	ds_load_b128 v[2:5], v1 offset:1264
	s_wait_loadcnt_dscnt 0x801
	v_mul_f64_e32 v[171:172], v[165:166], v[32:33]
	v_mul_f64_e32 v[32:33], v[167:168], v[32:33]
	scratch_load_b128 v[26:29], off, off offset:528
	s_wait_loadcnt_dscnt 0x800
	v_mul_f64_e32 v[179:180], v[2:3], v[36:37]
	v_mul_f64_e32 v[36:37], v[4:5], v[36:37]
	v_add_f64_e32 v[173:174], v[173:174], v[161:162]
	v_add_f64_e32 v[169:170], v[169:170], v[163:164]
	ds_load_b128 v[161:164], v1 offset:1280
	v_fma_f64 v[167:168], v[167:168], v[30:31], v[171:172]
	v_fma_f64 v[165:166], v[165:166], v[30:31], -v[32:33]
	scratch_load_b128 v[30:33], off, off offset:544
	v_add_f64_e32 v[171:172], v[173:174], v[177:178]
	v_add_f64_e32 v[169:170], v[169:170], v[175:176]
	v_fma_f64 v[175:176], v[4:5], v[34:35], v[179:180]
	v_fma_f64 v[177:178], v[2:3], v[34:35], -v[36:37]
	ds_load_b128 v[2:5], v1 offset:1296
	s_wait_loadcnt_dscnt 0x801
	v_mul_f64_e32 v[173:174], v[161:162], v[159:160]
	v_mul_f64_e32 v[159:160], v[163:164], v[159:160]
	scratch_load_b128 v[34:37], off, off offset:560
	s_wait_loadcnt_dscnt 0x800
	v_mul_f64_e32 v[179:180], v[2:3], v[40:41]
	v_mul_f64_e32 v[40:41], v[4:5], v[40:41]
	v_add_f64_e32 v[171:172], v[171:172], v[165:166]
	v_add_f64_e32 v[169:170], v[169:170], v[167:168]
	ds_load_b128 v[165:168], v1 offset:1312
	v_fma_f64 v[163:164], v[163:164], v[157:158], v[173:174]
	v_fma_f64 v[161:162], v[161:162], v[157:158], -v[159:160]
	scratch_load_b128 v[157:160], off, off offset:576
	v_add_f64_e32 v[171:172], v[171:172], v[177:178]
	v_add_f64_e32 v[169:170], v[169:170], v[175:176]
	v_fma_f64 v[175:176], v[4:5], v[38:39], v[179:180]
	;; [unrolled: 18-line block ×6, first 2 shown]
	v_fma_f64 v[179:180], v[2:3], v[34:35], -v[36:37]
	ds_load_b128 v[2:5], v1 offset:1456
	s_wait_loadcnt_dscnt 0x801
	v_mul_f64_e32 v[173:174], v[165:166], v[159:160]
	v_mul_f64_e32 v[175:176], v[167:168], v[159:160]
	scratch_load_b128 v[34:37], off, off offset:720
	v_add_f64_e32 v[171:172], v[171:172], v[161:162]
	v_add_f64_e32 v[163:164], v[169:170], v[163:164]
	s_wait_loadcnt_dscnt 0x800
	v_mul_f64_e32 v[169:170], v[2:3], v[40:41]
	v_mul_f64_e32 v[40:41], v[4:5], v[40:41]
	ds_load_b128 v[159:162], v1 offset:1472
	v_fma_f64 v[167:168], v[167:168], v[157:158], v[173:174]
	v_fma_f64 v[157:158], v[165:166], v[157:158], -v[175:176]
	v_add_f64_e32 v[171:172], v[171:172], v[179:180]
	v_add_f64_e32 v[173:174], v[163:164], v[177:178]
	scratch_load_b128 v[163:166], off, off offset:736
	v_fma_f64 v[177:178], v[4:5], v[38:39], v[169:170]
	v_fma_f64 v[179:180], v[2:3], v[38:39], -v[40:41]
	ds_load_b128 v[2:5], v1 offset:1488
	s_wait_loadcnt_dscnt 0x801
	v_mul_f64_e32 v[175:176], v[159:160], v[8:9]
	v_mul_f64_e32 v[8:9], v[161:162], v[8:9]
	scratch_load_b128 v[38:41], off, off offset:752
	v_add_f64_e32 v[157:158], v[171:172], v[157:158]
	v_add_f64_e32 v[171:172], v[173:174], v[167:168]
	s_wait_loadcnt_dscnt 0x800
	v_mul_f64_e32 v[173:174], v[2:3], v[12:13]
	v_mul_f64_e32 v[12:13], v[4:5], v[12:13]
	ds_load_b128 v[167:170], v1 offset:1504
	v_fma_f64 v[161:162], v[161:162], v[6:7], v[175:176]
	v_fma_f64 v[159:160], v[159:160], v[6:7], -v[8:9]
	scratch_load_b128 v[6:9], off, off offset:768
	v_add_f64_e32 v[157:158], v[157:158], v[179:180]
	v_add_f64_e32 v[171:172], v[171:172], v[177:178]
	v_fma_f64 v[173:174], v[4:5], v[10:11], v[173:174]
	v_fma_f64 v[177:178], v[2:3], v[10:11], -v[12:13]
	ds_load_b128 v[2:5], v1 offset:1520
	s_wait_loadcnt_dscnt 0x801
	v_mul_f64_e32 v[175:176], v[167:168], v[16:17]
	v_mul_f64_e32 v[16:17], v[169:170], v[16:17]
	scratch_load_b128 v[10:13], off, off offset:784
	v_add_f64_e32 v[179:180], v[157:158], v[159:160]
	v_add_f64_e32 v[161:162], v[171:172], v[161:162]
	s_wait_loadcnt_dscnt 0x800
	v_mul_f64_e32 v[171:172], v[2:3], v[20:21]
	v_mul_f64_e32 v[20:21], v[4:5], v[20:21]
	ds_load_b128 v[157:160], v1 offset:1536
	v_fma_f64 v[169:170], v[169:170], v[14:15], v[175:176]
	v_fma_f64 v[167:168], v[167:168], v[14:15], -v[16:17]
	scratch_load_b128 v[14:17], off, off offset:800
	v_add_f64_e32 v[175:176], v[179:180], v[177:178]
	v_add_f64_e32 v[161:162], v[161:162], v[173:174]
	v_fma_f64 v[171:172], v[4:5], v[18:19], v[171:172]
	v_fma_f64 v[177:178], v[2:3], v[18:19], -v[20:21]
	ds_load_b128 v[2:5], v1 offset:1552
	s_wait_loadcnt_dscnt 0x801
	v_mul_f64_e32 v[173:174], v[157:158], v[24:25]
	v_mul_f64_e32 v[24:25], v[159:160], v[24:25]
	scratch_load_b128 v[18:21], off, off offset:816
	s_wait_loadcnt_dscnt 0x800
	v_mul_f64_e32 v[179:180], v[2:3], v[28:29]
	v_mul_f64_e32 v[28:29], v[4:5], v[28:29]
	v_add_f64_e32 v[175:176], v[175:176], v[167:168]
	v_add_f64_e32 v[161:162], v[161:162], v[169:170]
	ds_load_b128 v[167:170], v1 offset:1568
	v_fma_f64 v[159:160], v[159:160], v[22:23], v[173:174]
	v_fma_f64 v[157:158], v[157:158], v[22:23], -v[24:25]
	scratch_load_b128 v[22:25], off, off offset:832
	v_add_f64_e32 v[173:174], v[175:176], v[177:178]
	v_add_f64_e32 v[161:162], v[161:162], v[171:172]
	v_fma_f64 v[175:176], v[4:5], v[26:27], v[179:180]
	v_fma_f64 v[177:178], v[2:3], v[26:27], -v[28:29]
	ds_load_b128 v[2:5], v1 offset:1584
	s_wait_loadcnt_dscnt 0x801
	v_mul_f64_e32 v[171:172], v[167:168], v[32:33]
	v_mul_f64_e32 v[32:33], v[169:170], v[32:33]
	scratch_load_b128 v[26:29], off, off offset:848
	s_wait_loadcnt_dscnt 0x800
	v_mul_f64_e32 v[179:180], v[2:3], v[36:37]
	v_mul_f64_e32 v[36:37], v[4:5], v[36:37]
	v_add_f64_e32 v[173:174], v[173:174], v[157:158]
	v_add_f64_e32 v[161:162], v[161:162], v[159:160]
	ds_load_b128 v[157:160], v1 offset:1600
	v_fma_f64 v[169:170], v[169:170], v[30:31], v[171:172]
	v_fma_f64 v[167:168], v[167:168], v[30:31], -v[32:33]
	scratch_load_b128 v[30:33], off, off offset:864
	v_add_f64_e32 v[171:172], v[173:174], v[177:178]
	v_add_f64_e32 v[161:162], v[161:162], v[175:176]
	v_fma_f64 v[177:178], v[4:5], v[34:35], v[179:180]
	v_fma_f64 v[179:180], v[2:3], v[34:35], -v[36:37]
	ds_load_b128 v[2:5], v1 offset:1616
	scratch_load_b128 v[34:37], off, off offset:880
	s_wait_loadcnt_dscnt 0x901
	v_mul_f64_e32 v[173:174], v[157:158], v[165:166]
	v_mul_f64_e32 v[175:176], v[159:160], v[165:166]
	v_add_f64_e32 v[171:172], v[171:172], v[167:168]
	v_add_f64_e32 v[161:162], v[161:162], v[169:170]
	s_wait_loadcnt_dscnt 0x800
	v_mul_f64_e32 v[169:170], v[2:3], v[40:41]
	v_mul_f64_e32 v[40:41], v[4:5], v[40:41]
	ds_load_b128 v[165:168], v1 offset:1632
	v_fma_f64 v[159:160], v[159:160], v[163:164], v[173:174]
	v_fma_f64 v[157:158], v[157:158], v[163:164], -v[175:176]
	v_add_f64_e32 v[163:164], v[171:172], v[179:180]
	v_add_f64_e32 v[161:162], v[161:162], v[177:178]
	s_wait_loadcnt_dscnt 0x700
	v_mul_f64_e32 v[171:172], v[165:166], v[8:9]
	v_mul_f64_e32 v[8:9], v[167:168], v[8:9]
	v_fma_f64 v[169:170], v[4:5], v[38:39], v[169:170]
	v_fma_f64 v[173:174], v[2:3], v[38:39], -v[40:41]
	ds_load_b128 v[2:5], v1 offset:1648
	ds_load_b128 v[38:41], v1 offset:1664
	v_add_f64_e32 v[157:158], v[163:164], v[157:158]
	v_add_f64_e32 v[159:160], v[161:162], v[159:160]
	s_wait_loadcnt_dscnt 0x601
	v_mul_f64_e32 v[161:162], v[2:3], v[12:13]
	v_mul_f64_e32 v[12:13], v[4:5], v[12:13]
	v_fma_f64 v[163:164], v[167:168], v[6:7], v[171:172]
	v_fma_f64 v[6:7], v[165:166], v[6:7], -v[8:9]
	v_add_f64_e32 v[8:9], v[157:158], v[173:174]
	v_add_f64_e32 v[157:158], v[159:160], v[169:170]
	s_wait_loadcnt_dscnt 0x500
	v_mul_f64_e32 v[159:160], v[38:39], v[16:17]
	v_mul_f64_e32 v[16:17], v[40:41], v[16:17]
	v_fma_f64 v[161:162], v[4:5], v[10:11], v[161:162]
	v_fma_f64 v[10:11], v[2:3], v[10:11], -v[12:13]
	v_add_f64_e32 v[12:13], v[8:9], v[6:7]
	v_add_f64_e32 v[157:158], v[157:158], v[163:164]
	ds_load_b128 v[2:5], v1 offset:1680
	ds_load_b128 v[6:9], v1 offset:1696
	v_fma_f64 v[40:41], v[40:41], v[14:15], v[159:160]
	v_fma_f64 v[14:15], v[38:39], v[14:15], -v[16:17]
	s_wait_loadcnt_dscnt 0x401
	v_mul_f64_e32 v[163:164], v[2:3], v[20:21]
	v_mul_f64_e32 v[20:21], v[4:5], v[20:21]
	s_wait_loadcnt_dscnt 0x300
	v_mul_f64_e32 v[16:17], v[6:7], v[24:25]
	v_mul_f64_e32 v[24:25], v[8:9], v[24:25]
	v_add_f64_e32 v[10:11], v[12:13], v[10:11]
	v_add_f64_e32 v[12:13], v[157:158], v[161:162]
	v_fma_f64 v[38:39], v[4:5], v[18:19], v[163:164]
	v_fma_f64 v[18:19], v[2:3], v[18:19], -v[20:21]
	v_fma_f64 v[8:9], v[8:9], v[22:23], v[16:17]
	v_fma_f64 v[6:7], v[6:7], v[22:23], -v[24:25]
	v_add_f64_e32 v[14:15], v[10:11], v[14:15]
	v_add_f64_e32 v[20:21], v[12:13], v[40:41]
	ds_load_b128 v[2:5], v1 offset:1712
	ds_load_b128 v[10:13], v1 offset:1728
	s_wait_loadcnt_dscnt 0x201
	v_mul_f64_e32 v[40:41], v[2:3], v[28:29]
	v_mul_f64_e32 v[28:29], v[4:5], v[28:29]
	v_add_f64_e32 v[14:15], v[14:15], v[18:19]
	v_add_f64_e32 v[16:17], v[20:21], v[38:39]
	s_wait_loadcnt_dscnt 0x100
	v_mul_f64_e32 v[18:19], v[10:11], v[32:33]
	v_mul_f64_e32 v[20:21], v[12:13], v[32:33]
	v_fma_f64 v[22:23], v[4:5], v[26:27], v[40:41]
	v_fma_f64 v[24:25], v[2:3], v[26:27], -v[28:29]
	ds_load_b128 v[2:5], v1 offset:1744
	v_add_f64_e32 v[6:7], v[14:15], v[6:7]
	v_add_f64_e32 v[8:9], v[16:17], v[8:9]
	v_fma_f64 v[12:13], v[12:13], v[30:31], v[18:19]
	v_fma_f64 v[10:11], v[10:11], v[30:31], -v[20:21]
	s_wait_loadcnt_dscnt 0x0
	v_mul_f64_e32 v[14:15], v[2:3], v[36:37]
	v_mul_f64_e32 v[16:17], v[4:5], v[36:37]
	v_add_f64_e32 v[6:7], v[6:7], v[24:25]
	v_add_f64_e32 v[8:9], v[8:9], v[22:23]
	s_delay_alu instid0(VALU_DEP_4) | instskip(NEXT) | instid1(VALU_DEP_4)
	v_fma_f64 v[4:5], v[4:5], v[34:35], v[14:15]
	v_fma_f64 v[2:3], v[2:3], v[34:35], -v[16:17]
	s_delay_alu instid0(VALU_DEP_4) | instskip(NEXT) | instid1(VALU_DEP_4)
	v_add_f64_e32 v[6:7], v[6:7], v[10:11]
	v_add_f64_e32 v[8:9], v[8:9], v[12:13]
	s_delay_alu instid0(VALU_DEP_2) | instskip(NEXT) | instid1(VALU_DEP_2)
	v_add_f64_e32 v[2:3], v[6:7], v[2:3]
	v_add_f64_e32 v[4:5], v[8:9], v[4:5]
	s_delay_alu instid0(VALU_DEP_2) | instskip(NEXT) | instid1(VALU_DEP_2)
	v_add_f64_e64 v[2:3], v[42:43], -v[2:3]
	v_add_f64_e64 v[4:5], v[44:45], -v[4:5]
	scratch_store_b128 off, v[2:5], off offset:96
	v_cmpx_lt_u32_e32 4, v0
	s_cbranch_execz .LBB118_335
; %bb.334:
	scratch_load_b128 v[5:8], off, s4
	v_dual_mov_b32 v2, v1 :: v_dual_mov_b32 v3, v1
	v_mov_b32_e32 v4, v1
	scratch_store_b128 off, v[1:4], off offset:80
	s_wait_loadcnt 0x0
	ds_store_b128 v156, v[5:8]
.LBB118_335:
	s_wait_alu 0xfffe
	s_or_b32 exec_lo, exec_lo, s0
	s_wait_storecnt_dscnt 0x0
	s_barrier_signal -1
	s_barrier_wait -1
	global_inv scope:SCOPE_SE
	s_clause 0x8
	scratch_load_b128 v[2:5], off, off offset:96
	scratch_load_b128 v[6:9], off, off offset:112
	scratch_load_b128 v[10:13], off, off offset:128
	scratch_load_b128 v[14:17], off, off offset:144
	scratch_load_b128 v[18:21], off, off offset:160
	scratch_load_b128 v[22:25], off, off offset:176
	scratch_load_b128 v[26:29], off, off offset:192
	scratch_load_b128 v[30:33], off, off offset:208
	scratch_load_b128 v[34:37], off, off offset:224
	ds_load_b128 v[42:45], v1 offset:960
	ds_load_b128 v[38:41], v1 offset:976
	s_clause 0x1
	scratch_load_b128 v[157:160], off, off offset:80
	scratch_load_b128 v[161:164], off, off offset:240
	s_mov_b32 s0, exec_lo
	s_wait_loadcnt_dscnt 0xa01
	v_mul_f64_e32 v[165:166], v[44:45], v[4:5]
	v_mul_f64_e32 v[4:5], v[42:43], v[4:5]
	s_wait_loadcnt_dscnt 0x900
	v_mul_f64_e32 v[169:170], v[38:39], v[8:9]
	v_mul_f64_e32 v[8:9], v[40:41], v[8:9]
	s_delay_alu instid0(VALU_DEP_4) | instskip(NEXT) | instid1(VALU_DEP_4)
	v_fma_f64 v[171:172], v[42:43], v[2:3], -v[165:166]
	v_fma_f64 v[173:174], v[44:45], v[2:3], v[4:5]
	ds_load_b128 v[2:5], v1 offset:992
	ds_load_b128 v[165:168], v1 offset:1008
	scratch_load_b128 v[42:45], off, off offset:256
	v_fma_f64 v[40:41], v[40:41], v[6:7], v[169:170]
	v_fma_f64 v[38:39], v[38:39], v[6:7], -v[8:9]
	scratch_load_b128 v[6:9], off, off offset:272
	s_wait_loadcnt_dscnt 0xa01
	v_mul_f64_e32 v[175:176], v[2:3], v[12:13]
	v_mul_f64_e32 v[12:13], v[4:5], v[12:13]
	v_add_f64_e32 v[169:170], 0, v[171:172]
	v_add_f64_e32 v[171:172], 0, v[173:174]
	s_wait_loadcnt_dscnt 0x900
	v_mul_f64_e32 v[173:174], v[165:166], v[16:17]
	v_mul_f64_e32 v[16:17], v[167:168], v[16:17]
	v_fma_f64 v[175:176], v[4:5], v[10:11], v[175:176]
	v_fma_f64 v[177:178], v[2:3], v[10:11], -v[12:13]
	ds_load_b128 v[2:5], v1 offset:1024
	scratch_load_b128 v[10:13], off, off offset:288
	v_add_f64_e32 v[169:170], v[169:170], v[38:39]
	v_add_f64_e32 v[171:172], v[171:172], v[40:41]
	ds_load_b128 v[38:41], v1 offset:1040
	v_fma_f64 v[167:168], v[167:168], v[14:15], v[173:174]
	v_fma_f64 v[165:166], v[165:166], v[14:15], -v[16:17]
	scratch_load_b128 v[14:17], off, off offset:304
	s_wait_loadcnt_dscnt 0xa01
	v_mul_f64_e32 v[179:180], v[2:3], v[20:21]
	v_mul_f64_e32 v[20:21], v[4:5], v[20:21]
	s_wait_loadcnt_dscnt 0x900
	v_mul_f64_e32 v[173:174], v[38:39], v[24:25]
	v_mul_f64_e32 v[24:25], v[40:41], v[24:25]
	v_add_f64_e32 v[169:170], v[169:170], v[177:178]
	v_add_f64_e32 v[171:172], v[171:172], v[175:176]
	v_fma_f64 v[175:176], v[4:5], v[18:19], v[179:180]
	v_fma_f64 v[177:178], v[2:3], v[18:19], -v[20:21]
	ds_load_b128 v[2:5], v1 offset:1056
	scratch_load_b128 v[18:21], off, off offset:320
	v_fma_f64 v[40:41], v[40:41], v[22:23], v[173:174]
	v_fma_f64 v[38:39], v[38:39], v[22:23], -v[24:25]
	scratch_load_b128 v[22:25], off, off offset:336
	v_add_f64_e32 v[169:170], v[169:170], v[165:166]
	v_add_f64_e32 v[171:172], v[171:172], v[167:168]
	ds_load_b128 v[165:168], v1 offset:1072
	s_wait_loadcnt_dscnt 0xa01
	v_mul_f64_e32 v[179:180], v[2:3], v[28:29]
	v_mul_f64_e32 v[28:29], v[4:5], v[28:29]
	s_wait_loadcnt_dscnt 0x900
	v_mul_f64_e32 v[173:174], v[165:166], v[32:33]
	v_mul_f64_e32 v[32:33], v[167:168], v[32:33]
	v_add_f64_e32 v[169:170], v[169:170], v[177:178]
	v_add_f64_e32 v[171:172], v[171:172], v[175:176]
	v_fma_f64 v[175:176], v[4:5], v[26:27], v[179:180]
	v_fma_f64 v[177:178], v[2:3], v[26:27], -v[28:29]
	ds_load_b128 v[2:5], v1 offset:1088
	scratch_load_b128 v[26:29], off, off offset:352
	v_fma_f64 v[167:168], v[167:168], v[30:31], v[173:174]
	v_fma_f64 v[165:166], v[165:166], v[30:31], -v[32:33]
	scratch_load_b128 v[30:33], off, off offset:368
	v_add_f64_e32 v[169:170], v[169:170], v[38:39]
	v_add_f64_e32 v[171:172], v[171:172], v[40:41]
	ds_load_b128 v[38:41], v1 offset:1104
	s_wait_loadcnt_dscnt 0xa01
	v_mul_f64_e32 v[179:180], v[2:3], v[36:37]
	v_mul_f64_e32 v[36:37], v[4:5], v[36:37]
	s_wait_loadcnt_dscnt 0x800
	v_mul_f64_e32 v[173:174], v[38:39], v[163:164]
	v_add_f64_e32 v[169:170], v[169:170], v[177:178]
	v_add_f64_e32 v[171:172], v[171:172], v[175:176]
	v_mul_f64_e32 v[175:176], v[40:41], v[163:164]
	v_fma_f64 v[177:178], v[4:5], v[34:35], v[179:180]
	v_fma_f64 v[179:180], v[2:3], v[34:35], -v[36:37]
	ds_load_b128 v[2:5], v1 offset:1120
	scratch_load_b128 v[34:37], off, off offset:384
	v_fma_f64 v[173:174], v[40:41], v[161:162], v[173:174]
	v_add_f64_e32 v[169:170], v[169:170], v[165:166]
	v_add_f64_e32 v[167:168], v[171:172], v[167:168]
	ds_load_b128 v[163:166], v1 offset:1136
	v_fma_f64 v[161:162], v[38:39], v[161:162], -v[175:176]
	scratch_load_b128 v[38:41], off, off offset:400
	s_wait_loadcnt_dscnt 0x901
	v_mul_f64_e32 v[171:172], v[2:3], v[44:45]
	v_mul_f64_e32 v[44:45], v[4:5], v[44:45]
	s_wait_loadcnt_dscnt 0x800
	v_mul_f64_e32 v[175:176], v[163:164], v[8:9]
	v_mul_f64_e32 v[8:9], v[165:166], v[8:9]
	v_add_f64_e32 v[169:170], v[169:170], v[179:180]
	v_add_f64_e32 v[167:168], v[167:168], v[177:178]
	v_fma_f64 v[171:172], v[4:5], v[42:43], v[171:172]
	v_fma_f64 v[177:178], v[2:3], v[42:43], -v[44:45]
	ds_load_b128 v[2:5], v1 offset:1152
	scratch_load_b128 v[42:45], off, off offset:416
	v_fma_f64 v[165:166], v[165:166], v[6:7], v[175:176]
	v_fma_f64 v[163:164], v[163:164], v[6:7], -v[8:9]
	scratch_load_b128 v[6:9], off, off offset:432
	v_add_f64_e32 v[161:162], v[169:170], v[161:162]
	v_add_f64_e32 v[173:174], v[167:168], v[173:174]
	ds_load_b128 v[167:170], v1 offset:1168
	s_wait_loadcnt_dscnt 0x901
	v_mul_f64_e32 v[179:180], v[2:3], v[12:13]
	v_mul_f64_e32 v[12:13], v[4:5], v[12:13]
	v_add_f64_e32 v[161:162], v[161:162], v[177:178]
	v_add_f64_e32 v[171:172], v[173:174], v[171:172]
	s_wait_loadcnt_dscnt 0x800
	v_mul_f64_e32 v[173:174], v[167:168], v[16:17]
	v_mul_f64_e32 v[16:17], v[169:170], v[16:17]
	v_fma_f64 v[175:176], v[4:5], v[10:11], v[179:180]
	v_fma_f64 v[177:178], v[2:3], v[10:11], -v[12:13]
	ds_load_b128 v[2:5], v1 offset:1184
	scratch_load_b128 v[10:13], off, off offset:448
	v_add_f64_e32 v[179:180], v[161:162], v[163:164]
	v_add_f64_e32 v[165:166], v[171:172], v[165:166]
	ds_load_b128 v[161:164], v1 offset:1200
	s_wait_loadcnt_dscnt 0x801
	v_mul_f64_e32 v[171:172], v[2:3], v[20:21]
	v_mul_f64_e32 v[20:21], v[4:5], v[20:21]
	v_fma_f64 v[169:170], v[169:170], v[14:15], v[173:174]
	v_fma_f64 v[167:168], v[167:168], v[14:15], -v[16:17]
	scratch_load_b128 v[14:17], off, off offset:464
	v_add_f64_e32 v[173:174], v[179:180], v[177:178]
	v_add_f64_e32 v[165:166], v[165:166], v[175:176]
	s_wait_loadcnt_dscnt 0x800
	v_mul_f64_e32 v[175:176], v[161:162], v[24:25]
	v_mul_f64_e32 v[24:25], v[163:164], v[24:25]
	v_fma_f64 v[171:172], v[4:5], v[18:19], v[171:172]
	v_fma_f64 v[177:178], v[2:3], v[18:19], -v[20:21]
	ds_load_b128 v[2:5], v1 offset:1216
	scratch_load_b128 v[18:21], off, off offset:480
	v_add_f64_e32 v[173:174], v[173:174], v[167:168]
	v_add_f64_e32 v[169:170], v[165:166], v[169:170]
	ds_load_b128 v[165:168], v1 offset:1232
	s_wait_loadcnt_dscnt 0x801
	v_mul_f64_e32 v[179:180], v[2:3], v[28:29]
	v_mul_f64_e32 v[28:29], v[4:5], v[28:29]
	v_fma_f64 v[163:164], v[163:164], v[22:23], v[175:176]
	v_fma_f64 v[161:162], v[161:162], v[22:23], -v[24:25]
	scratch_load_b128 v[22:25], off, off offset:496
	;; [unrolled: 18-line block ×4, first 2 shown]
	s_wait_loadcnt_dscnt 0x800
	v_mul_f64_e32 v[173:174], v[165:166], v[8:9]
	v_mul_f64_e32 v[8:9], v[167:168], v[8:9]
	v_add_f64_e32 v[171:172], v[171:172], v[177:178]
	v_add_f64_e32 v[169:170], v[169:170], v[175:176]
	v_fma_f64 v[175:176], v[4:5], v[42:43], v[179:180]
	v_fma_f64 v[177:178], v[2:3], v[42:43], -v[44:45]
	ds_load_b128 v[2:5], v1 offset:1312
	scratch_load_b128 v[42:45], off, off offset:576
	v_fma_f64 v[167:168], v[167:168], v[6:7], v[173:174]
	v_fma_f64 v[165:166], v[165:166], v[6:7], -v[8:9]
	scratch_load_b128 v[6:9], off, off offset:592
	v_add_f64_e32 v[171:172], v[171:172], v[161:162]
	v_add_f64_e32 v[169:170], v[169:170], v[163:164]
	ds_load_b128 v[161:164], v1 offset:1328
	s_wait_loadcnt_dscnt 0x901
	v_mul_f64_e32 v[179:180], v[2:3], v[12:13]
	v_mul_f64_e32 v[12:13], v[4:5], v[12:13]
	s_wait_loadcnt_dscnt 0x800
	v_mul_f64_e32 v[173:174], v[161:162], v[16:17]
	v_mul_f64_e32 v[16:17], v[163:164], v[16:17]
	v_add_f64_e32 v[171:172], v[171:172], v[177:178]
	v_add_f64_e32 v[169:170], v[169:170], v[175:176]
	v_fma_f64 v[175:176], v[4:5], v[10:11], v[179:180]
	v_fma_f64 v[177:178], v[2:3], v[10:11], -v[12:13]
	ds_load_b128 v[2:5], v1 offset:1344
	scratch_load_b128 v[10:13], off, off offset:608
	v_fma_f64 v[163:164], v[163:164], v[14:15], v[173:174]
	v_fma_f64 v[161:162], v[161:162], v[14:15], -v[16:17]
	scratch_load_b128 v[14:17], off, off offset:624
	v_add_f64_e32 v[171:172], v[171:172], v[165:166]
	v_add_f64_e32 v[169:170], v[169:170], v[167:168]
	ds_load_b128 v[165:168], v1 offset:1360
	s_wait_loadcnt_dscnt 0x901
	v_mul_f64_e32 v[179:180], v[2:3], v[20:21]
	v_mul_f64_e32 v[20:21], v[4:5], v[20:21]
	s_wait_loadcnt_dscnt 0x800
	v_mul_f64_e32 v[173:174], v[165:166], v[24:25]
	v_mul_f64_e32 v[24:25], v[167:168], v[24:25]
	v_add_f64_e32 v[171:172], v[171:172], v[177:178]
	v_add_f64_e32 v[169:170], v[169:170], v[175:176]
	v_fma_f64 v[175:176], v[4:5], v[18:19], v[179:180]
	v_fma_f64 v[177:178], v[2:3], v[18:19], -v[20:21]
	ds_load_b128 v[2:5], v1 offset:1376
	scratch_load_b128 v[18:21], off, off offset:640
	v_fma_f64 v[167:168], v[167:168], v[22:23], v[173:174]
	v_fma_f64 v[165:166], v[165:166], v[22:23], -v[24:25]
	scratch_load_b128 v[22:25], off, off offset:656
	v_add_f64_e32 v[171:172], v[171:172], v[161:162]
	v_add_f64_e32 v[169:170], v[169:170], v[163:164]
	ds_load_b128 v[161:164], v1 offset:1392
	s_wait_loadcnt_dscnt 0x901
	v_mul_f64_e32 v[179:180], v[2:3], v[28:29]
	v_mul_f64_e32 v[28:29], v[4:5], v[28:29]
	s_wait_loadcnt_dscnt 0x800
	v_mul_f64_e32 v[173:174], v[161:162], v[32:33]
	v_mul_f64_e32 v[32:33], v[163:164], v[32:33]
	v_add_f64_e32 v[171:172], v[171:172], v[177:178]
	v_add_f64_e32 v[169:170], v[169:170], v[175:176]
	v_fma_f64 v[175:176], v[4:5], v[26:27], v[179:180]
	v_fma_f64 v[177:178], v[2:3], v[26:27], -v[28:29]
	ds_load_b128 v[2:5], v1 offset:1408
	scratch_load_b128 v[26:29], off, off offset:672
	v_fma_f64 v[163:164], v[163:164], v[30:31], v[173:174]
	v_fma_f64 v[161:162], v[161:162], v[30:31], -v[32:33]
	scratch_load_b128 v[30:33], off, off offset:688
	v_add_f64_e32 v[171:172], v[171:172], v[165:166]
	v_add_f64_e32 v[169:170], v[169:170], v[167:168]
	ds_load_b128 v[165:168], v1 offset:1424
	s_wait_loadcnt_dscnt 0x901
	v_mul_f64_e32 v[179:180], v[2:3], v[36:37]
	v_mul_f64_e32 v[36:37], v[4:5], v[36:37]
	s_wait_loadcnt_dscnt 0x800
	v_mul_f64_e32 v[173:174], v[165:166], v[40:41]
	v_mul_f64_e32 v[40:41], v[167:168], v[40:41]
	v_add_f64_e32 v[171:172], v[171:172], v[177:178]
	v_add_f64_e32 v[169:170], v[169:170], v[175:176]
	v_fma_f64 v[175:176], v[4:5], v[34:35], v[179:180]
	v_fma_f64 v[177:178], v[2:3], v[34:35], -v[36:37]
	ds_load_b128 v[2:5], v1 offset:1440
	scratch_load_b128 v[34:37], off, off offset:704
	v_fma_f64 v[167:168], v[167:168], v[38:39], v[173:174]
	v_fma_f64 v[165:166], v[165:166], v[38:39], -v[40:41]
	scratch_load_b128 v[38:41], off, off offset:720
	v_add_f64_e32 v[171:172], v[171:172], v[161:162]
	v_add_f64_e32 v[169:170], v[169:170], v[163:164]
	ds_load_b128 v[161:164], v1 offset:1456
	s_wait_loadcnt_dscnt 0x901
	v_mul_f64_e32 v[179:180], v[2:3], v[44:45]
	v_mul_f64_e32 v[44:45], v[4:5], v[44:45]
	s_wait_loadcnt_dscnt 0x800
	v_mul_f64_e32 v[173:174], v[161:162], v[8:9]
	v_mul_f64_e32 v[8:9], v[163:164], v[8:9]
	v_add_f64_e32 v[171:172], v[171:172], v[177:178]
	v_add_f64_e32 v[169:170], v[169:170], v[175:176]
	v_fma_f64 v[175:176], v[4:5], v[42:43], v[179:180]
	v_fma_f64 v[177:178], v[2:3], v[42:43], -v[44:45]
	ds_load_b128 v[2:5], v1 offset:1472
	scratch_load_b128 v[42:45], off, off offset:736
	v_fma_f64 v[163:164], v[163:164], v[6:7], v[173:174]
	v_fma_f64 v[161:162], v[161:162], v[6:7], -v[8:9]
	scratch_load_b128 v[6:9], off, off offset:752
	v_add_f64_e32 v[171:172], v[171:172], v[165:166]
	v_add_f64_e32 v[169:170], v[169:170], v[167:168]
	ds_load_b128 v[165:168], v1 offset:1488
	s_wait_loadcnt_dscnt 0x901
	v_mul_f64_e32 v[179:180], v[2:3], v[12:13]
	v_mul_f64_e32 v[12:13], v[4:5], v[12:13]
	s_wait_loadcnt_dscnt 0x800
	v_mul_f64_e32 v[173:174], v[165:166], v[16:17]
	v_mul_f64_e32 v[16:17], v[167:168], v[16:17]
	v_add_f64_e32 v[171:172], v[171:172], v[177:178]
	v_add_f64_e32 v[169:170], v[169:170], v[175:176]
	v_fma_f64 v[175:176], v[4:5], v[10:11], v[179:180]
	v_fma_f64 v[177:178], v[2:3], v[10:11], -v[12:13]
	ds_load_b128 v[2:5], v1 offset:1504
	scratch_load_b128 v[10:13], off, off offset:768
	v_fma_f64 v[167:168], v[167:168], v[14:15], v[173:174]
	v_fma_f64 v[165:166], v[165:166], v[14:15], -v[16:17]
	scratch_load_b128 v[14:17], off, off offset:784
	v_add_f64_e32 v[171:172], v[171:172], v[161:162]
	v_add_f64_e32 v[169:170], v[169:170], v[163:164]
	ds_load_b128 v[161:164], v1 offset:1520
	s_wait_loadcnt_dscnt 0x901
	v_mul_f64_e32 v[179:180], v[2:3], v[20:21]
	v_mul_f64_e32 v[20:21], v[4:5], v[20:21]
	s_wait_loadcnt_dscnt 0x800
	v_mul_f64_e32 v[173:174], v[161:162], v[24:25]
	v_mul_f64_e32 v[24:25], v[163:164], v[24:25]
	v_add_f64_e32 v[171:172], v[171:172], v[177:178]
	v_add_f64_e32 v[169:170], v[169:170], v[175:176]
	v_fma_f64 v[175:176], v[4:5], v[18:19], v[179:180]
	v_fma_f64 v[177:178], v[2:3], v[18:19], -v[20:21]
	ds_load_b128 v[2:5], v1 offset:1536
	scratch_load_b128 v[18:21], off, off offset:800
	v_fma_f64 v[163:164], v[163:164], v[22:23], v[173:174]
	v_fma_f64 v[161:162], v[161:162], v[22:23], -v[24:25]
	scratch_load_b128 v[22:25], off, off offset:816
	v_add_f64_e32 v[171:172], v[171:172], v[165:166]
	v_add_f64_e32 v[169:170], v[169:170], v[167:168]
	ds_load_b128 v[165:168], v1 offset:1552
	s_wait_loadcnt_dscnt 0x901
	v_mul_f64_e32 v[179:180], v[2:3], v[28:29]
	v_mul_f64_e32 v[28:29], v[4:5], v[28:29]
	s_wait_loadcnt_dscnt 0x800
	v_mul_f64_e32 v[173:174], v[165:166], v[32:33]
	v_mul_f64_e32 v[32:33], v[167:168], v[32:33]
	v_add_f64_e32 v[171:172], v[171:172], v[177:178]
	v_add_f64_e32 v[169:170], v[169:170], v[175:176]
	v_fma_f64 v[175:176], v[4:5], v[26:27], v[179:180]
	v_fma_f64 v[177:178], v[2:3], v[26:27], -v[28:29]
	ds_load_b128 v[2:5], v1 offset:1568
	scratch_load_b128 v[26:29], off, off offset:832
	v_fma_f64 v[167:168], v[167:168], v[30:31], v[173:174]
	v_fma_f64 v[165:166], v[165:166], v[30:31], -v[32:33]
	scratch_load_b128 v[30:33], off, off offset:848
	v_add_f64_e32 v[171:172], v[171:172], v[161:162]
	v_add_f64_e32 v[169:170], v[169:170], v[163:164]
	ds_load_b128 v[161:164], v1 offset:1584
	s_wait_loadcnt_dscnt 0x901
	v_mul_f64_e32 v[179:180], v[2:3], v[36:37]
	v_mul_f64_e32 v[36:37], v[4:5], v[36:37]
	s_wait_loadcnt_dscnt 0x800
	v_mul_f64_e32 v[173:174], v[161:162], v[40:41]
	v_mul_f64_e32 v[40:41], v[163:164], v[40:41]
	v_add_f64_e32 v[171:172], v[171:172], v[177:178]
	v_add_f64_e32 v[169:170], v[169:170], v[175:176]
	v_fma_f64 v[175:176], v[4:5], v[34:35], v[179:180]
	v_fma_f64 v[177:178], v[2:3], v[34:35], -v[36:37]
	ds_load_b128 v[2:5], v1 offset:1600
	scratch_load_b128 v[34:37], off, off offset:864
	v_fma_f64 v[163:164], v[163:164], v[38:39], v[173:174]
	v_fma_f64 v[161:162], v[161:162], v[38:39], -v[40:41]
	scratch_load_b128 v[38:41], off, off offset:880
	v_add_f64_e32 v[171:172], v[171:172], v[165:166]
	v_add_f64_e32 v[169:170], v[169:170], v[167:168]
	ds_load_b128 v[165:168], v1 offset:1616
	s_wait_loadcnt_dscnt 0x901
	v_mul_f64_e32 v[179:180], v[2:3], v[44:45]
	v_mul_f64_e32 v[44:45], v[4:5], v[44:45]
	s_wait_loadcnt_dscnt 0x800
	v_mul_f64_e32 v[173:174], v[165:166], v[8:9]
	v_mul_f64_e32 v[8:9], v[167:168], v[8:9]
	v_add_f64_e32 v[171:172], v[171:172], v[177:178]
	v_add_f64_e32 v[169:170], v[169:170], v[175:176]
	v_fma_f64 v[175:176], v[4:5], v[42:43], v[179:180]
	v_fma_f64 v[177:178], v[2:3], v[42:43], -v[44:45]
	ds_load_b128 v[2:5], v1 offset:1632
	ds_load_b128 v[42:45], v1 offset:1648
	v_fma_f64 v[167:168], v[167:168], v[6:7], v[173:174]
	v_fma_f64 v[6:7], v[165:166], v[6:7], -v[8:9]
	v_add_f64_e32 v[161:162], v[171:172], v[161:162]
	v_add_f64_e32 v[163:164], v[169:170], v[163:164]
	s_wait_loadcnt_dscnt 0x701
	v_mul_f64_e32 v[169:170], v[2:3], v[12:13]
	v_mul_f64_e32 v[12:13], v[4:5], v[12:13]
	s_delay_alu instid0(VALU_DEP_4) | instskip(NEXT) | instid1(VALU_DEP_4)
	v_add_f64_e32 v[8:9], v[161:162], v[177:178]
	v_add_f64_e32 v[161:162], v[163:164], v[175:176]
	s_wait_loadcnt_dscnt 0x600
	v_mul_f64_e32 v[163:164], v[42:43], v[16:17]
	v_mul_f64_e32 v[16:17], v[44:45], v[16:17]
	v_fma_f64 v[165:166], v[4:5], v[10:11], v[169:170]
	v_fma_f64 v[10:11], v[2:3], v[10:11], -v[12:13]
	v_add_f64_e32 v[12:13], v[8:9], v[6:7]
	v_add_f64_e32 v[161:162], v[161:162], v[167:168]
	ds_load_b128 v[2:5], v1 offset:1664
	ds_load_b128 v[6:9], v1 offset:1680
	v_fma_f64 v[44:45], v[44:45], v[14:15], v[163:164]
	v_fma_f64 v[14:15], v[42:43], v[14:15], -v[16:17]
	s_wait_loadcnt_dscnt 0x501
	v_mul_f64_e32 v[167:168], v[2:3], v[20:21]
	v_mul_f64_e32 v[20:21], v[4:5], v[20:21]
	s_wait_loadcnt_dscnt 0x400
	v_mul_f64_e32 v[16:17], v[6:7], v[24:25]
	v_mul_f64_e32 v[24:25], v[8:9], v[24:25]
	v_add_f64_e32 v[10:11], v[12:13], v[10:11]
	v_add_f64_e32 v[12:13], v[161:162], v[165:166]
	v_fma_f64 v[42:43], v[4:5], v[18:19], v[167:168]
	v_fma_f64 v[18:19], v[2:3], v[18:19], -v[20:21]
	v_fma_f64 v[8:9], v[8:9], v[22:23], v[16:17]
	v_fma_f64 v[6:7], v[6:7], v[22:23], -v[24:25]
	v_add_f64_e32 v[14:15], v[10:11], v[14:15]
	v_add_f64_e32 v[20:21], v[12:13], v[44:45]
	ds_load_b128 v[2:5], v1 offset:1696
	ds_load_b128 v[10:13], v1 offset:1712
	s_wait_loadcnt_dscnt 0x301
	v_mul_f64_e32 v[44:45], v[2:3], v[28:29]
	v_mul_f64_e32 v[28:29], v[4:5], v[28:29]
	v_add_f64_e32 v[14:15], v[14:15], v[18:19]
	v_add_f64_e32 v[16:17], v[20:21], v[42:43]
	s_wait_loadcnt_dscnt 0x200
	v_mul_f64_e32 v[18:19], v[10:11], v[32:33]
	v_mul_f64_e32 v[20:21], v[12:13], v[32:33]
	v_fma_f64 v[22:23], v[4:5], v[26:27], v[44:45]
	v_fma_f64 v[24:25], v[2:3], v[26:27], -v[28:29]
	v_add_f64_e32 v[14:15], v[14:15], v[6:7]
	v_add_f64_e32 v[16:17], v[16:17], v[8:9]
	ds_load_b128 v[2:5], v1 offset:1728
	ds_load_b128 v[6:9], v1 offset:1744
	v_fma_f64 v[12:13], v[12:13], v[30:31], v[18:19]
	v_fma_f64 v[10:11], v[10:11], v[30:31], -v[20:21]
	s_wait_loadcnt_dscnt 0x101
	v_mul_f64_e32 v[26:27], v[2:3], v[36:37]
	v_mul_f64_e32 v[28:29], v[4:5], v[36:37]
	s_wait_loadcnt_dscnt 0x0
	v_mul_f64_e32 v[18:19], v[6:7], v[40:41]
	v_mul_f64_e32 v[20:21], v[8:9], v[40:41]
	v_add_f64_e32 v[14:15], v[14:15], v[24:25]
	v_add_f64_e32 v[16:17], v[16:17], v[22:23]
	v_fma_f64 v[4:5], v[4:5], v[34:35], v[26:27]
	v_fma_f64 v[1:2], v[2:3], v[34:35], -v[28:29]
	v_fma_f64 v[8:9], v[8:9], v[38:39], v[18:19]
	v_fma_f64 v[6:7], v[6:7], v[38:39], -v[20:21]
	v_add_f64_e32 v[10:11], v[14:15], v[10:11]
	v_add_f64_e32 v[12:13], v[16:17], v[12:13]
	s_delay_alu instid0(VALU_DEP_2) | instskip(NEXT) | instid1(VALU_DEP_2)
	v_add_f64_e32 v[1:2], v[10:11], v[1:2]
	v_add_f64_e32 v[3:4], v[12:13], v[4:5]
	s_delay_alu instid0(VALU_DEP_2) | instskip(NEXT) | instid1(VALU_DEP_2)
	;; [unrolled: 3-line block ×3, first 2 shown]
	v_add_f64_e64 v[1:2], v[157:158], -v[1:2]
	v_add_f64_e64 v[3:4], v[159:160], -v[3:4]
	scratch_store_b128 off, v[1:4], off offset:80
	v_cmpx_lt_u32_e32 3, v0
	s_cbranch_execz .LBB118_337
; %bb.336:
	scratch_load_b128 v[1:4], off, s10
	v_mov_b32_e32 v5, 0
	s_delay_alu instid0(VALU_DEP_1)
	v_dual_mov_b32 v6, v5 :: v_dual_mov_b32 v7, v5
	v_mov_b32_e32 v8, v5
	scratch_store_b128 off, v[5:8], off offset:64
	s_wait_loadcnt 0x0
	ds_store_b128 v156, v[1:4]
.LBB118_337:
	s_wait_alu 0xfffe
	s_or_b32 exec_lo, exec_lo, s0
	s_wait_storecnt_dscnt 0x0
	s_barrier_signal -1
	s_barrier_wait -1
	global_inv scope:SCOPE_SE
	s_clause 0x7
	scratch_load_b128 v[2:5], off, off offset:80
	scratch_load_b128 v[6:9], off, off offset:96
	scratch_load_b128 v[10:13], off, off offset:112
	scratch_load_b128 v[14:17], off, off offset:128
	scratch_load_b128 v[18:21], off, off offset:144
	scratch_load_b128 v[22:25], off, off offset:160
	scratch_load_b128 v[26:29], off, off offset:176
	scratch_load_b128 v[30:33], off, off offset:192
	v_mov_b32_e32 v1, 0
	s_mov_b32 s0, exec_lo
	ds_load_b128 v[38:41], v1 offset:944
	s_clause 0x1
	scratch_load_b128 v[34:37], off, off offset:208
	scratch_load_b128 v[42:45], off, off offset:64
	ds_load_b128 v[157:160], v1 offset:960
	scratch_load_b128 v[161:164], off, off offset:224
	s_wait_loadcnt_dscnt 0xa01
	v_mul_f64_e32 v[165:166], v[40:41], v[4:5]
	v_mul_f64_e32 v[4:5], v[38:39], v[4:5]
	s_delay_alu instid0(VALU_DEP_2) | instskip(NEXT) | instid1(VALU_DEP_2)
	v_fma_f64 v[171:172], v[38:39], v[2:3], -v[165:166]
	v_fma_f64 v[173:174], v[40:41], v[2:3], v[4:5]
	ds_load_b128 v[2:5], v1 offset:976
	s_wait_loadcnt_dscnt 0x901
	v_mul_f64_e32 v[169:170], v[157:158], v[8:9]
	v_mul_f64_e32 v[8:9], v[159:160], v[8:9]
	scratch_load_b128 v[38:41], off, off offset:240
	ds_load_b128 v[165:168], v1 offset:992
	s_wait_loadcnt_dscnt 0x901
	v_mul_f64_e32 v[175:176], v[2:3], v[12:13]
	v_mul_f64_e32 v[12:13], v[4:5], v[12:13]
	v_fma_f64 v[159:160], v[159:160], v[6:7], v[169:170]
	v_fma_f64 v[157:158], v[157:158], v[6:7], -v[8:9]
	v_add_f64_e32 v[169:170], 0, v[171:172]
	v_add_f64_e32 v[171:172], 0, v[173:174]
	scratch_load_b128 v[6:9], off, off offset:256
	v_fma_f64 v[175:176], v[4:5], v[10:11], v[175:176]
	v_fma_f64 v[177:178], v[2:3], v[10:11], -v[12:13]
	ds_load_b128 v[2:5], v1 offset:1008
	s_wait_loadcnt_dscnt 0x901
	v_mul_f64_e32 v[173:174], v[165:166], v[16:17]
	v_mul_f64_e32 v[16:17], v[167:168], v[16:17]
	scratch_load_b128 v[10:13], off, off offset:272
	v_add_f64_e32 v[169:170], v[169:170], v[157:158]
	v_add_f64_e32 v[171:172], v[171:172], v[159:160]
	s_wait_loadcnt_dscnt 0x900
	v_mul_f64_e32 v[179:180], v[2:3], v[20:21]
	v_mul_f64_e32 v[20:21], v[4:5], v[20:21]
	ds_load_b128 v[157:160], v1 offset:1024
	v_fma_f64 v[167:168], v[167:168], v[14:15], v[173:174]
	v_fma_f64 v[165:166], v[165:166], v[14:15], -v[16:17]
	scratch_load_b128 v[14:17], off, off offset:288
	v_add_f64_e32 v[169:170], v[169:170], v[177:178]
	v_add_f64_e32 v[171:172], v[171:172], v[175:176]
	v_fma_f64 v[175:176], v[4:5], v[18:19], v[179:180]
	v_fma_f64 v[177:178], v[2:3], v[18:19], -v[20:21]
	ds_load_b128 v[2:5], v1 offset:1040
	s_wait_loadcnt_dscnt 0x901
	v_mul_f64_e32 v[173:174], v[157:158], v[24:25]
	v_mul_f64_e32 v[24:25], v[159:160], v[24:25]
	scratch_load_b128 v[18:21], off, off offset:304
	s_wait_loadcnt_dscnt 0x900
	v_mul_f64_e32 v[179:180], v[2:3], v[28:29]
	v_mul_f64_e32 v[28:29], v[4:5], v[28:29]
	v_add_f64_e32 v[169:170], v[169:170], v[165:166]
	v_add_f64_e32 v[171:172], v[171:172], v[167:168]
	ds_load_b128 v[165:168], v1 offset:1056
	v_fma_f64 v[159:160], v[159:160], v[22:23], v[173:174]
	v_fma_f64 v[157:158], v[157:158], v[22:23], -v[24:25]
	scratch_load_b128 v[22:25], off, off offset:320
	v_add_f64_e32 v[169:170], v[169:170], v[177:178]
	v_add_f64_e32 v[171:172], v[171:172], v[175:176]
	v_fma_f64 v[175:176], v[4:5], v[26:27], v[179:180]
	v_fma_f64 v[177:178], v[2:3], v[26:27], -v[28:29]
	ds_load_b128 v[2:5], v1 offset:1072
	s_wait_loadcnt_dscnt 0x901
	v_mul_f64_e32 v[173:174], v[165:166], v[32:33]
	v_mul_f64_e32 v[32:33], v[167:168], v[32:33]
	scratch_load_b128 v[26:29], off, off offset:336
	s_wait_loadcnt_dscnt 0x900
	v_mul_f64_e32 v[179:180], v[2:3], v[36:37]
	v_mul_f64_e32 v[36:37], v[4:5], v[36:37]
	v_add_f64_e32 v[169:170], v[169:170], v[157:158]
	v_add_f64_e32 v[171:172], v[171:172], v[159:160]
	ds_load_b128 v[157:160], v1 offset:1088
	v_fma_f64 v[167:168], v[167:168], v[30:31], v[173:174]
	v_fma_f64 v[165:166], v[165:166], v[30:31], -v[32:33]
	scratch_load_b128 v[30:33], off, off offset:352
	v_add_f64_e32 v[169:170], v[169:170], v[177:178]
	v_add_f64_e32 v[171:172], v[171:172], v[175:176]
	v_fma_f64 v[177:178], v[4:5], v[34:35], v[179:180]
	v_fma_f64 v[179:180], v[2:3], v[34:35], -v[36:37]
	ds_load_b128 v[2:5], v1 offset:1104
	s_wait_loadcnt_dscnt 0x801
	v_mul_f64_e32 v[173:174], v[157:158], v[163:164]
	v_mul_f64_e32 v[175:176], v[159:160], v[163:164]
	scratch_load_b128 v[34:37], off, off offset:368
	v_add_f64_e32 v[169:170], v[169:170], v[165:166]
	v_add_f64_e32 v[167:168], v[171:172], v[167:168]
	ds_load_b128 v[163:166], v1 offset:1120
	v_fma_f64 v[173:174], v[159:160], v[161:162], v[173:174]
	v_fma_f64 v[161:162], v[157:158], v[161:162], -v[175:176]
	scratch_load_b128 v[157:160], off, off offset:384
	s_wait_loadcnt_dscnt 0x901
	v_mul_f64_e32 v[171:172], v[2:3], v[40:41]
	v_mul_f64_e32 v[40:41], v[4:5], v[40:41]
	v_add_f64_e32 v[169:170], v[169:170], v[179:180]
	v_add_f64_e32 v[167:168], v[167:168], v[177:178]
	s_delay_alu instid0(VALU_DEP_4) | instskip(NEXT) | instid1(VALU_DEP_4)
	v_fma_f64 v[171:172], v[4:5], v[38:39], v[171:172]
	v_fma_f64 v[177:178], v[2:3], v[38:39], -v[40:41]
	ds_load_b128 v[2:5], v1 offset:1136
	s_wait_loadcnt_dscnt 0x801
	v_mul_f64_e32 v[175:176], v[163:164], v[8:9]
	v_mul_f64_e32 v[8:9], v[165:166], v[8:9]
	scratch_load_b128 v[38:41], off, off offset:400
	s_wait_loadcnt_dscnt 0x800
	v_mul_f64_e32 v[179:180], v[2:3], v[12:13]
	v_add_f64_e32 v[161:162], v[169:170], v[161:162]
	v_add_f64_e32 v[173:174], v[167:168], v[173:174]
	v_mul_f64_e32 v[12:13], v[4:5], v[12:13]
	ds_load_b128 v[167:170], v1 offset:1152
	v_fma_f64 v[165:166], v[165:166], v[6:7], v[175:176]
	v_fma_f64 v[163:164], v[163:164], v[6:7], -v[8:9]
	scratch_load_b128 v[6:9], off, off offset:416
	v_fma_f64 v[175:176], v[4:5], v[10:11], v[179:180]
	v_add_f64_e32 v[161:162], v[161:162], v[177:178]
	v_add_f64_e32 v[171:172], v[173:174], v[171:172]
	v_fma_f64 v[177:178], v[2:3], v[10:11], -v[12:13]
	ds_load_b128 v[2:5], v1 offset:1168
	s_wait_loadcnt_dscnt 0x801
	v_mul_f64_e32 v[173:174], v[167:168], v[16:17]
	v_mul_f64_e32 v[16:17], v[169:170], v[16:17]
	scratch_load_b128 v[10:13], off, off offset:432
	v_add_f64_e32 v[179:180], v[161:162], v[163:164]
	v_add_f64_e32 v[165:166], v[171:172], v[165:166]
	s_wait_loadcnt_dscnt 0x800
	v_mul_f64_e32 v[171:172], v[2:3], v[20:21]
	v_mul_f64_e32 v[20:21], v[4:5], v[20:21]
	v_fma_f64 v[169:170], v[169:170], v[14:15], v[173:174]
	v_fma_f64 v[167:168], v[167:168], v[14:15], -v[16:17]
	ds_load_b128 v[161:164], v1 offset:1184
	scratch_load_b128 v[14:17], off, off offset:448
	v_add_f64_e32 v[173:174], v[179:180], v[177:178]
	v_add_f64_e32 v[165:166], v[165:166], v[175:176]
	v_fma_f64 v[171:172], v[4:5], v[18:19], v[171:172]
	v_fma_f64 v[177:178], v[2:3], v[18:19], -v[20:21]
	ds_load_b128 v[2:5], v1 offset:1200
	s_wait_loadcnt_dscnt 0x801
	v_mul_f64_e32 v[175:176], v[161:162], v[24:25]
	v_mul_f64_e32 v[24:25], v[163:164], v[24:25]
	scratch_load_b128 v[18:21], off, off offset:464
	s_wait_loadcnt_dscnt 0x800
	v_mul_f64_e32 v[179:180], v[2:3], v[28:29]
	v_mul_f64_e32 v[28:29], v[4:5], v[28:29]
	v_add_f64_e32 v[173:174], v[173:174], v[167:168]
	v_add_f64_e32 v[169:170], v[165:166], v[169:170]
	ds_load_b128 v[165:168], v1 offset:1216
	v_fma_f64 v[163:164], v[163:164], v[22:23], v[175:176]
	v_fma_f64 v[161:162], v[161:162], v[22:23], -v[24:25]
	scratch_load_b128 v[22:25], off, off offset:480
	v_fma_f64 v[175:176], v[4:5], v[26:27], v[179:180]
	v_add_f64_e32 v[173:174], v[173:174], v[177:178]
	v_add_f64_e32 v[169:170], v[169:170], v[171:172]
	v_fma_f64 v[177:178], v[2:3], v[26:27], -v[28:29]
	ds_load_b128 v[2:5], v1 offset:1232
	s_wait_loadcnt_dscnt 0x801
	v_mul_f64_e32 v[171:172], v[165:166], v[32:33]
	v_mul_f64_e32 v[32:33], v[167:168], v[32:33]
	scratch_load_b128 v[26:29], off, off offset:496
	s_wait_loadcnt_dscnt 0x800
	v_mul_f64_e32 v[179:180], v[2:3], v[36:37]
	v_mul_f64_e32 v[36:37], v[4:5], v[36:37]
	v_add_f64_e32 v[173:174], v[173:174], v[161:162]
	v_add_f64_e32 v[169:170], v[169:170], v[163:164]
	ds_load_b128 v[161:164], v1 offset:1248
	v_fma_f64 v[167:168], v[167:168], v[30:31], v[171:172]
	v_fma_f64 v[165:166], v[165:166], v[30:31], -v[32:33]
	scratch_load_b128 v[30:33], off, off offset:512
	v_add_f64_e32 v[171:172], v[173:174], v[177:178]
	v_add_f64_e32 v[169:170], v[169:170], v[175:176]
	v_fma_f64 v[175:176], v[4:5], v[34:35], v[179:180]
	v_fma_f64 v[177:178], v[2:3], v[34:35], -v[36:37]
	ds_load_b128 v[2:5], v1 offset:1264
	s_wait_loadcnt_dscnt 0x801
	v_mul_f64_e32 v[173:174], v[161:162], v[159:160]
	v_mul_f64_e32 v[159:160], v[163:164], v[159:160]
	scratch_load_b128 v[34:37], off, off offset:528
	s_wait_loadcnt_dscnt 0x800
	v_mul_f64_e32 v[179:180], v[2:3], v[40:41]
	v_mul_f64_e32 v[40:41], v[4:5], v[40:41]
	v_add_f64_e32 v[171:172], v[171:172], v[165:166]
	v_add_f64_e32 v[169:170], v[169:170], v[167:168]
	ds_load_b128 v[165:168], v1 offset:1280
	v_fma_f64 v[163:164], v[163:164], v[157:158], v[173:174]
	v_fma_f64 v[161:162], v[161:162], v[157:158], -v[159:160]
	scratch_load_b128 v[157:160], off, off offset:544
	v_add_f64_e32 v[171:172], v[171:172], v[177:178]
	v_add_f64_e32 v[169:170], v[169:170], v[175:176]
	v_fma_f64 v[175:176], v[4:5], v[38:39], v[179:180]
	;; [unrolled: 18-line block ×6, first 2 shown]
	v_fma_f64 v[179:180], v[2:3], v[34:35], -v[36:37]
	ds_load_b128 v[2:5], v1 offset:1424
	s_wait_loadcnt_dscnt 0x801
	v_mul_f64_e32 v[173:174], v[165:166], v[159:160]
	v_mul_f64_e32 v[175:176], v[167:168], v[159:160]
	scratch_load_b128 v[34:37], off, off offset:688
	v_add_f64_e32 v[171:172], v[171:172], v[161:162]
	v_add_f64_e32 v[163:164], v[169:170], v[163:164]
	s_wait_loadcnt_dscnt 0x800
	v_mul_f64_e32 v[169:170], v[2:3], v[40:41]
	v_mul_f64_e32 v[40:41], v[4:5], v[40:41]
	ds_load_b128 v[159:162], v1 offset:1440
	v_fma_f64 v[167:168], v[167:168], v[157:158], v[173:174]
	v_fma_f64 v[157:158], v[165:166], v[157:158], -v[175:176]
	v_add_f64_e32 v[171:172], v[171:172], v[179:180]
	v_add_f64_e32 v[173:174], v[163:164], v[177:178]
	scratch_load_b128 v[163:166], off, off offset:704
	v_fma_f64 v[177:178], v[4:5], v[38:39], v[169:170]
	v_fma_f64 v[179:180], v[2:3], v[38:39], -v[40:41]
	ds_load_b128 v[2:5], v1 offset:1456
	s_wait_loadcnt_dscnt 0x801
	v_mul_f64_e32 v[175:176], v[159:160], v[8:9]
	v_mul_f64_e32 v[8:9], v[161:162], v[8:9]
	scratch_load_b128 v[38:41], off, off offset:720
	v_add_f64_e32 v[157:158], v[171:172], v[157:158]
	v_add_f64_e32 v[171:172], v[173:174], v[167:168]
	s_wait_loadcnt_dscnt 0x800
	v_mul_f64_e32 v[173:174], v[2:3], v[12:13]
	v_mul_f64_e32 v[12:13], v[4:5], v[12:13]
	ds_load_b128 v[167:170], v1 offset:1472
	v_fma_f64 v[161:162], v[161:162], v[6:7], v[175:176]
	v_fma_f64 v[159:160], v[159:160], v[6:7], -v[8:9]
	scratch_load_b128 v[6:9], off, off offset:736
	v_add_f64_e32 v[157:158], v[157:158], v[179:180]
	v_add_f64_e32 v[171:172], v[171:172], v[177:178]
	v_fma_f64 v[173:174], v[4:5], v[10:11], v[173:174]
	v_fma_f64 v[177:178], v[2:3], v[10:11], -v[12:13]
	ds_load_b128 v[2:5], v1 offset:1488
	s_wait_loadcnt_dscnt 0x801
	v_mul_f64_e32 v[175:176], v[167:168], v[16:17]
	v_mul_f64_e32 v[16:17], v[169:170], v[16:17]
	scratch_load_b128 v[10:13], off, off offset:752
	v_add_f64_e32 v[179:180], v[157:158], v[159:160]
	v_add_f64_e32 v[161:162], v[171:172], v[161:162]
	s_wait_loadcnt_dscnt 0x800
	v_mul_f64_e32 v[171:172], v[2:3], v[20:21]
	v_mul_f64_e32 v[20:21], v[4:5], v[20:21]
	ds_load_b128 v[157:160], v1 offset:1504
	v_fma_f64 v[169:170], v[169:170], v[14:15], v[175:176]
	v_fma_f64 v[167:168], v[167:168], v[14:15], -v[16:17]
	scratch_load_b128 v[14:17], off, off offset:768
	v_add_f64_e32 v[175:176], v[179:180], v[177:178]
	v_add_f64_e32 v[161:162], v[161:162], v[173:174]
	v_fma_f64 v[171:172], v[4:5], v[18:19], v[171:172]
	v_fma_f64 v[177:178], v[2:3], v[18:19], -v[20:21]
	ds_load_b128 v[2:5], v1 offset:1520
	s_wait_loadcnt_dscnt 0x801
	v_mul_f64_e32 v[173:174], v[157:158], v[24:25]
	v_mul_f64_e32 v[24:25], v[159:160], v[24:25]
	scratch_load_b128 v[18:21], off, off offset:784
	s_wait_loadcnt_dscnt 0x800
	v_mul_f64_e32 v[179:180], v[2:3], v[28:29]
	v_mul_f64_e32 v[28:29], v[4:5], v[28:29]
	v_add_f64_e32 v[175:176], v[175:176], v[167:168]
	v_add_f64_e32 v[161:162], v[161:162], v[169:170]
	ds_load_b128 v[167:170], v1 offset:1536
	v_fma_f64 v[159:160], v[159:160], v[22:23], v[173:174]
	v_fma_f64 v[157:158], v[157:158], v[22:23], -v[24:25]
	scratch_load_b128 v[22:25], off, off offset:800
	v_add_f64_e32 v[173:174], v[175:176], v[177:178]
	v_add_f64_e32 v[161:162], v[161:162], v[171:172]
	v_fma_f64 v[175:176], v[4:5], v[26:27], v[179:180]
	v_fma_f64 v[177:178], v[2:3], v[26:27], -v[28:29]
	ds_load_b128 v[2:5], v1 offset:1552
	s_wait_loadcnt_dscnt 0x801
	v_mul_f64_e32 v[171:172], v[167:168], v[32:33]
	v_mul_f64_e32 v[32:33], v[169:170], v[32:33]
	scratch_load_b128 v[26:29], off, off offset:816
	s_wait_loadcnt_dscnt 0x800
	v_mul_f64_e32 v[179:180], v[2:3], v[36:37]
	v_mul_f64_e32 v[36:37], v[4:5], v[36:37]
	v_add_f64_e32 v[173:174], v[173:174], v[157:158]
	v_add_f64_e32 v[161:162], v[161:162], v[159:160]
	ds_load_b128 v[157:160], v1 offset:1568
	v_fma_f64 v[169:170], v[169:170], v[30:31], v[171:172]
	v_fma_f64 v[167:168], v[167:168], v[30:31], -v[32:33]
	scratch_load_b128 v[30:33], off, off offset:832
	v_add_f64_e32 v[171:172], v[173:174], v[177:178]
	v_add_f64_e32 v[161:162], v[161:162], v[175:176]
	v_fma_f64 v[177:178], v[4:5], v[34:35], v[179:180]
	v_fma_f64 v[179:180], v[2:3], v[34:35], -v[36:37]
	ds_load_b128 v[2:5], v1 offset:1584
	scratch_load_b128 v[34:37], off, off offset:848
	s_wait_loadcnt_dscnt 0x901
	v_mul_f64_e32 v[173:174], v[157:158], v[165:166]
	v_mul_f64_e32 v[175:176], v[159:160], v[165:166]
	v_add_f64_e32 v[171:172], v[171:172], v[167:168]
	v_add_f64_e32 v[161:162], v[161:162], v[169:170]
	s_wait_loadcnt_dscnt 0x800
	v_mul_f64_e32 v[169:170], v[2:3], v[40:41]
	v_mul_f64_e32 v[40:41], v[4:5], v[40:41]
	ds_load_b128 v[165:168], v1 offset:1600
	v_fma_f64 v[173:174], v[159:160], v[163:164], v[173:174]
	v_fma_f64 v[163:164], v[157:158], v[163:164], -v[175:176]
	scratch_load_b128 v[157:160], off, off offset:864
	v_add_f64_e32 v[171:172], v[171:172], v[179:180]
	v_add_f64_e32 v[161:162], v[161:162], v[177:178]
	v_fma_f64 v[169:170], v[4:5], v[38:39], v[169:170]
	v_fma_f64 v[177:178], v[2:3], v[38:39], -v[40:41]
	ds_load_b128 v[2:5], v1 offset:1616
	s_wait_loadcnt_dscnt 0x801
	v_mul_f64_e32 v[175:176], v[165:166], v[8:9]
	v_mul_f64_e32 v[8:9], v[167:168], v[8:9]
	scratch_load_b128 v[38:41], off, off offset:880
	s_wait_loadcnt_dscnt 0x800
	v_mul_f64_e32 v[179:180], v[2:3], v[12:13]
	v_mul_f64_e32 v[12:13], v[4:5], v[12:13]
	v_add_f64_e32 v[171:172], v[171:172], v[163:164]
	v_add_f64_e32 v[173:174], v[161:162], v[173:174]
	ds_load_b128 v[161:164], v1 offset:1632
	v_fma_f64 v[167:168], v[167:168], v[6:7], v[175:176]
	v_fma_f64 v[6:7], v[165:166], v[6:7], -v[8:9]
	v_add_f64_e32 v[8:9], v[171:172], v[177:178]
	v_add_f64_e32 v[165:166], v[173:174], v[169:170]
	s_wait_loadcnt_dscnt 0x700
	v_mul_f64_e32 v[169:170], v[161:162], v[16:17]
	v_mul_f64_e32 v[16:17], v[163:164], v[16:17]
	v_fma_f64 v[171:172], v[4:5], v[10:11], v[179:180]
	v_fma_f64 v[10:11], v[2:3], v[10:11], -v[12:13]
	v_add_f64_e32 v[12:13], v[8:9], v[6:7]
	v_add_f64_e32 v[165:166], v[165:166], v[167:168]
	ds_load_b128 v[2:5], v1 offset:1648
	ds_load_b128 v[6:9], v1 offset:1664
	v_fma_f64 v[163:164], v[163:164], v[14:15], v[169:170]
	v_fma_f64 v[14:15], v[161:162], v[14:15], -v[16:17]
	s_wait_loadcnt_dscnt 0x601
	v_mul_f64_e32 v[167:168], v[2:3], v[20:21]
	v_mul_f64_e32 v[20:21], v[4:5], v[20:21]
	s_wait_loadcnt_dscnt 0x500
	v_mul_f64_e32 v[16:17], v[6:7], v[24:25]
	v_mul_f64_e32 v[24:25], v[8:9], v[24:25]
	v_add_f64_e32 v[10:11], v[12:13], v[10:11]
	v_add_f64_e32 v[12:13], v[165:166], v[171:172]
	v_fma_f64 v[161:162], v[4:5], v[18:19], v[167:168]
	v_fma_f64 v[18:19], v[2:3], v[18:19], -v[20:21]
	v_fma_f64 v[8:9], v[8:9], v[22:23], v[16:17]
	v_fma_f64 v[6:7], v[6:7], v[22:23], -v[24:25]
	v_add_f64_e32 v[14:15], v[10:11], v[14:15]
	v_add_f64_e32 v[20:21], v[12:13], v[163:164]
	ds_load_b128 v[2:5], v1 offset:1680
	ds_load_b128 v[10:13], v1 offset:1696
	s_wait_loadcnt_dscnt 0x401
	v_mul_f64_e32 v[163:164], v[2:3], v[28:29]
	v_mul_f64_e32 v[28:29], v[4:5], v[28:29]
	v_add_f64_e32 v[14:15], v[14:15], v[18:19]
	v_add_f64_e32 v[16:17], v[20:21], v[161:162]
	s_wait_loadcnt_dscnt 0x300
	v_mul_f64_e32 v[18:19], v[10:11], v[32:33]
	v_mul_f64_e32 v[20:21], v[12:13], v[32:33]
	v_fma_f64 v[22:23], v[4:5], v[26:27], v[163:164]
	v_fma_f64 v[24:25], v[2:3], v[26:27], -v[28:29]
	v_add_f64_e32 v[14:15], v[14:15], v[6:7]
	v_add_f64_e32 v[16:17], v[16:17], v[8:9]
	ds_load_b128 v[2:5], v1 offset:1712
	ds_load_b128 v[6:9], v1 offset:1728
	v_fma_f64 v[12:13], v[12:13], v[30:31], v[18:19]
	v_fma_f64 v[10:11], v[10:11], v[30:31], -v[20:21]
	s_wait_loadcnt_dscnt 0x201
	v_mul_f64_e32 v[26:27], v[2:3], v[36:37]
	v_mul_f64_e32 v[28:29], v[4:5], v[36:37]
	s_wait_loadcnt_dscnt 0x100
	v_mul_f64_e32 v[18:19], v[6:7], v[159:160]
	v_mul_f64_e32 v[20:21], v[8:9], v[159:160]
	v_add_f64_e32 v[14:15], v[14:15], v[24:25]
	v_add_f64_e32 v[16:17], v[16:17], v[22:23]
	v_fma_f64 v[22:23], v[4:5], v[34:35], v[26:27]
	v_fma_f64 v[24:25], v[2:3], v[34:35], -v[28:29]
	ds_load_b128 v[2:5], v1 offset:1744
	v_fma_f64 v[8:9], v[8:9], v[157:158], v[18:19]
	v_fma_f64 v[6:7], v[6:7], v[157:158], -v[20:21]
	v_add_f64_e32 v[10:11], v[14:15], v[10:11]
	v_add_f64_e32 v[12:13], v[16:17], v[12:13]
	s_wait_loadcnt_dscnt 0x0
	v_mul_f64_e32 v[14:15], v[2:3], v[40:41]
	v_mul_f64_e32 v[16:17], v[4:5], v[40:41]
	s_delay_alu instid0(VALU_DEP_4) | instskip(NEXT) | instid1(VALU_DEP_4)
	v_add_f64_e32 v[10:11], v[10:11], v[24:25]
	v_add_f64_e32 v[12:13], v[12:13], v[22:23]
	s_delay_alu instid0(VALU_DEP_4) | instskip(NEXT) | instid1(VALU_DEP_4)
	v_fma_f64 v[4:5], v[4:5], v[38:39], v[14:15]
	v_fma_f64 v[2:3], v[2:3], v[38:39], -v[16:17]
	s_delay_alu instid0(VALU_DEP_4) | instskip(NEXT) | instid1(VALU_DEP_4)
	v_add_f64_e32 v[6:7], v[10:11], v[6:7]
	v_add_f64_e32 v[8:9], v[12:13], v[8:9]
	s_delay_alu instid0(VALU_DEP_2) | instskip(NEXT) | instid1(VALU_DEP_2)
	v_add_f64_e32 v[2:3], v[6:7], v[2:3]
	v_add_f64_e32 v[4:5], v[8:9], v[4:5]
	s_delay_alu instid0(VALU_DEP_2) | instskip(NEXT) | instid1(VALU_DEP_2)
	v_add_f64_e64 v[2:3], v[42:43], -v[2:3]
	v_add_f64_e64 v[4:5], v[44:45], -v[4:5]
	scratch_store_b128 off, v[2:5], off offset:64
	v_cmpx_lt_u32_e32 2, v0
	s_cbranch_execz .LBB118_339
; %bb.338:
	scratch_load_b128 v[5:8], off, s13
	v_dual_mov_b32 v2, v1 :: v_dual_mov_b32 v3, v1
	v_mov_b32_e32 v4, v1
	scratch_store_b128 off, v[1:4], off offset:48
	s_wait_loadcnt 0x0
	ds_store_b128 v156, v[5:8]
.LBB118_339:
	s_wait_alu 0xfffe
	s_or_b32 exec_lo, exec_lo, s0
	s_wait_storecnt_dscnt 0x0
	s_barrier_signal -1
	s_barrier_wait -1
	global_inv scope:SCOPE_SE
	s_clause 0x8
	scratch_load_b128 v[2:5], off, off offset:64
	scratch_load_b128 v[6:9], off, off offset:80
	;; [unrolled: 1-line block ×9, first 2 shown]
	ds_load_b128 v[42:45], v1 offset:928
	ds_load_b128 v[38:41], v1 offset:944
	s_clause 0x1
	scratch_load_b128 v[157:160], off, off offset:48
	scratch_load_b128 v[161:164], off, off offset:208
	s_mov_b32 s0, exec_lo
	s_wait_loadcnt_dscnt 0xa01
	v_mul_f64_e32 v[165:166], v[44:45], v[4:5]
	v_mul_f64_e32 v[4:5], v[42:43], v[4:5]
	s_wait_loadcnt_dscnt 0x900
	v_mul_f64_e32 v[169:170], v[38:39], v[8:9]
	v_mul_f64_e32 v[8:9], v[40:41], v[8:9]
	s_delay_alu instid0(VALU_DEP_4) | instskip(NEXT) | instid1(VALU_DEP_4)
	v_fma_f64 v[171:172], v[42:43], v[2:3], -v[165:166]
	v_fma_f64 v[173:174], v[44:45], v[2:3], v[4:5]
	ds_load_b128 v[2:5], v1 offset:960
	ds_load_b128 v[165:168], v1 offset:976
	scratch_load_b128 v[42:45], off, off offset:224
	v_fma_f64 v[40:41], v[40:41], v[6:7], v[169:170]
	v_fma_f64 v[38:39], v[38:39], v[6:7], -v[8:9]
	scratch_load_b128 v[6:9], off, off offset:240
	s_wait_loadcnt_dscnt 0xa01
	v_mul_f64_e32 v[175:176], v[2:3], v[12:13]
	v_mul_f64_e32 v[12:13], v[4:5], v[12:13]
	v_add_f64_e32 v[169:170], 0, v[171:172]
	v_add_f64_e32 v[171:172], 0, v[173:174]
	s_wait_loadcnt_dscnt 0x900
	v_mul_f64_e32 v[173:174], v[165:166], v[16:17]
	v_mul_f64_e32 v[16:17], v[167:168], v[16:17]
	v_fma_f64 v[175:176], v[4:5], v[10:11], v[175:176]
	v_fma_f64 v[177:178], v[2:3], v[10:11], -v[12:13]
	ds_load_b128 v[2:5], v1 offset:992
	scratch_load_b128 v[10:13], off, off offset:256
	v_add_f64_e32 v[169:170], v[169:170], v[38:39]
	v_add_f64_e32 v[171:172], v[171:172], v[40:41]
	ds_load_b128 v[38:41], v1 offset:1008
	v_fma_f64 v[167:168], v[167:168], v[14:15], v[173:174]
	v_fma_f64 v[165:166], v[165:166], v[14:15], -v[16:17]
	scratch_load_b128 v[14:17], off, off offset:272
	s_wait_loadcnt_dscnt 0xa01
	v_mul_f64_e32 v[179:180], v[2:3], v[20:21]
	v_mul_f64_e32 v[20:21], v[4:5], v[20:21]
	s_wait_loadcnt_dscnt 0x900
	v_mul_f64_e32 v[173:174], v[38:39], v[24:25]
	v_mul_f64_e32 v[24:25], v[40:41], v[24:25]
	v_add_f64_e32 v[169:170], v[169:170], v[177:178]
	v_add_f64_e32 v[171:172], v[171:172], v[175:176]
	v_fma_f64 v[175:176], v[4:5], v[18:19], v[179:180]
	v_fma_f64 v[177:178], v[2:3], v[18:19], -v[20:21]
	ds_load_b128 v[2:5], v1 offset:1024
	scratch_load_b128 v[18:21], off, off offset:288
	v_fma_f64 v[40:41], v[40:41], v[22:23], v[173:174]
	v_fma_f64 v[38:39], v[38:39], v[22:23], -v[24:25]
	scratch_load_b128 v[22:25], off, off offset:304
	v_add_f64_e32 v[169:170], v[169:170], v[165:166]
	v_add_f64_e32 v[171:172], v[171:172], v[167:168]
	ds_load_b128 v[165:168], v1 offset:1040
	s_wait_loadcnt_dscnt 0xa01
	v_mul_f64_e32 v[179:180], v[2:3], v[28:29]
	v_mul_f64_e32 v[28:29], v[4:5], v[28:29]
	s_wait_loadcnt_dscnt 0x900
	v_mul_f64_e32 v[173:174], v[165:166], v[32:33]
	v_mul_f64_e32 v[32:33], v[167:168], v[32:33]
	v_add_f64_e32 v[169:170], v[169:170], v[177:178]
	v_add_f64_e32 v[171:172], v[171:172], v[175:176]
	v_fma_f64 v[175:176], v[4:5], v[26:27], v[179:180]
	v_fma_f64 v[177:178], v[2:3], v[26:27], -v[28:29]
	ds_load_b128 v[2:5], v1 offset:1056
	scratch_load_b128 v[26:29], off, off offset:320
	v_fma_f64 v[167:168], v[167:168], v[30:31], v[173:174]
	v_fma_f64 v[165:166], v[165:166], v[30:31], -v[32:33]
	scratch_load_b128 v[30:33], off, off offset:336
	v_add_f64_e32 v[169:170], v[169:170], v[38:39]
	v_add_f64_e32 v[171:172], v[171:172], v[40:41]
	ds_load_b128 v[38:41], v1 offset:1072
	s_wait_loadcnt_dscnt 0xa01
	v_mul_f64_e32 v[179:180], v[2:3], v[36:37]
	v_mul_f64_e32 v[36:37], v[4:5], v[36:37]
	s_wait_loadcnt_dscnt 0x800
	v_mul_f64_e32 v[173:174], v[38:39], v[163:164]
	v_add_f64_e32 v[169:170], v[169:170], v[177:178]
	v_add_f64_e32 v[171:172], v[171:172], v[175:176]
	v_mul_f64_e32 v[175:176], v[40:41], v[163:164]
	v_fma_f64 v[177:178], v[4:5], v[34:35], v[179:180]
	v_fma_f64 v[179:180], v[2:3], v[34:35], -v[36:37]
	ds_load_b128 v[2:5], v1 offset:1088
	scratch_load_b128 v[34:37], off, off offset:352
	v_fma_f64 v[173:174], v[40:41], v[161:162], v[173:174]
	v_add_f64_e32 v[169:170], v[169:170], v[165:166]
	v_add_f64_e32 v[167:168], v[171:172], v[167:168]
	ds_load_b128 v[163:166], v1 offset:1104
	v_fma_f64 v[161:162], v[38:39], v[161:162], -v[175:176]
	scratch_load_b128 v[38:41], off, off offset:368
	s_wait_loadcnt_dscnt 0x901
	v_mul_f64_e32 v[171:172], v[2:3], v[44:45]
	v_mul_f64_e32 v[44:45], v[4:5], v[44:45]
	s_wait_loadcnt_dscnt 0x800
	v_mul_f64_e32 v[175:176], v[163:164], v[8:9]
	v_mul_f64_e32 v[8:9], v[165:166], v[8:9]
	v_add_f64_e32 v[169:170], v[169:170], v[179:180]
	v_add_f64_e32 v[167:168], v[167:168], v[177:178]
	v_fma_f64 v[171:172], v[4:5], v[42:43], v[171:172]
	v_fma_f64 v[177:178], v[2:3], v[42:43], -v[44:45]
	ds_load_b128 v[2:5], v1 offset:1120
	scratch_load_b128 v[42:45], off, off offset:384
	v_fma_f64 v[165:166], v[165:166], v[6:7], v[175:176]
	v_fma_f64 v[163:164], v[163:164], v[6:7], -v[8:9]
	scratch_load_b128 v[6:9], off, off offset:400
	v_add_f64_e32 v[161:162], v[169:170], v[161:162]
	v_add_f64_e32 v[173:174], v[167:168], v[173:174]
	ds_load_b128 v[167:170], v1 offset:1136
	s_wait_loadcnt_dscnt 0x901
	v_mul_f64_e32 v[179:180], v[2:3], v[12:13]
	v_mul_f64_e32 v[12:13], v[4:5], v[12:13]
	v_add_f64_e32 v[161:162], v[161:162], v[177:178]
	v_add_f64_e32 v[171:172], v[173:174], v[171:172]
	s_wait_loadcnt_dscnt 0x800
	v_mul_f64_e32 v[173:174], v[167:168], v[16:17]
	v_mul_f64_e32 v[16:17], v[169:170], v[16:17]
	v_fma_f64 v[175:176], v[4:5], v[10:11], v[179:180]
	v_fma_f64 v[177:178], v[2:3], v[10:11], -v[12:13]
	ds_load_b128 v[2:5], v1 offset:1152
	scratch_load_b128 v[10:13], off, off offset:416
	v_add_f64_e32 v[179:180], v[161:162], v[163:164]
	v_add_f64_e32 v[165:166], v[171:172], v[165:166]
	ds_load_b128 v[161:164], v1 offset:1168
	s_wait_loadcnt_dscnt 0x801
	v_mul_f64_e32 v[171:172], v[2:3], v[20:21]
	v_mul_f64_e32 v[20:21], v[4:5], v[20:21]
	v_fma_f64 v[169:170], v[169:170], v[14:15], v[173:174]
	v_fma_f64 v[167:168], v[167:168], v[14:15], -v[16:17]
	scratch_load_b128 v[14:17], off, off offset:432
	v_add_f64_e32 v[173:174], v[179:180], v[177:178]
	v_add_f64_e32 v[165:166], v[165:166], v[175:176]
	s_wait_loadcnt_dscnt 0x800
	v_mul_f64_e32 v[175:176], v[161:162], v[24:25]
	v_mul_f64_e32 v[24:25], v[163:164], v[24:25]
	v_fma_f64 v[171:172], v[4:5], v[18:19], v[171:172]
	v_fma_f64 v[177:178], v[2:3], v[18:19], -v[20:21]
	ds_load_b128 v[2:5], v1 offset:1184
	scratch_load_b128 v[18:21], off, off offset:448
	v_add_f64_e32 v[173:174], v[173:174], v[167:168]
	v_add_f64_e32 v[169:170], v[165:166], v[169:170]
	ds_load_b128 v[165:168], v1 offset:1200
	s_wait_loadcnt_dscnt 0x801
	v_mul_f64_e32 v[179:180], v[2:3], v[28:29]
	v_mul_f64_e32 v[28:29], v[4:5], v[28:29]
	v_fma_f64 v[163:164], v[163:164], v[22:23], v[175:176]
	v_fma_f64 v[161:162], v[161:162], v[22:23], -v[24:25]
	scratch_load_b128 v[22:25], off, off offset:464
	;; [unrolled: 18-line block ×4, first 2 shown]
	s_wait_loadcnt_dscnt 0x800
	v_mul_f64_e32 v[173:174], v[165:166], v[8:9]
	v_mul_f64_e32 v[8:9], v[167:168], v[8:9]
	v_add_f64_e32 v[171:172], v[171:172], v[177:178]
	v_add_f64_e32 v[169:170], v[169:170], v[175:176]
	v_fma_f64 v[175:176], v[4:5], v[42:43], v[179:180]
	v_fma_f64 v[177:178], v[2:3], v[42:43], -v[44:45]
	ds_load_b128 v[2:5], v1 offset:1280
	scratch_load_b128 v[42:45], off, off offset:544
	v_fma_f64 v[167:168], v[167:168], v[6:7], v[173:174]
	v_fma_f64 v[165:166], v[165:166], v[6:7], -v[8:9]
	scratch_load_b128 v[6:9], off, off offset:560
	v_add_f64_e32 v[171:172], v[171:172], v[161:162]
	v_add_f64_e32 v[169:170], v[169:170], v[163:164]
	ds_load_b128 v[161:164], v1 offset:1296
	s_wait_loadcnt_dscnt 0x901
	v_mul_f64_e32 v[179:180], v[2:3], v[12:13]
	v_mul_f64_e32 v[12:13], v[4:5], v[12:13]
	s_wait_loadcnt_dscnt 0x800
	v_mul_f64_e32 v[173:174], v[161:162], v[16:17]
	v_mul_f64_e32 v[16:17], v[163:164], v[16:17]
	v_add_f64_e32 v[171:172], v[171:172], v[177:178]
	v_add_f64_e32 v[169:170], v[169:170], v[175:176]
	v_fma_f64 v[175:176], v[4:5], v[10:11], v[179:180]
	v_fma_f64 v[177:178], v[2:3], v[10:11], -v[12:13]
	ds_load_b128 v[2:5], v1 offset:1312
	scratch_load_b128 v[10:13], off, off offset:576
	v_fma_f64 v[163:164], v[163:164], v[14:15], v[173:174]
	v_fma_f64 v[161:162], v[161:162], v[14:15], -v[16:17]
	scratch_load_b128 v[14:17], off, off offset:592
	v_add_f64_e32 v[171:172], v[171:172], v[165:166]
	v_add_f64_e32 v[169:170], v[169:170], v[167:168]
	ds_load_b128 v[165:168], v1 offset:1328
	s_wait_loadcnt_dscnt 0x901
	v_mul_f64_e32 v[179:180], v[2:3], v[20:21]
	v_mul_f64_e32 v[20:21], v[4:5], v[20:21]
	;; [unrolled: 18-line block ×11, first 2 shown]
	s_wait_loadcnt_dscnt 0x800
	v_mul_f64_e32 v[173:174], v[161:162], v[16:17]
	v_mul_f64_e32 v[16:17], v[163:164], v[16:17]
	v_add_f64_e32 v[171:172], v[171:172], v[177:178]
	v_add_f64_e32 v[169:170], v[169:170], v[175:176]
	v_fma_f64 v[175:176], v[4:5], v[10:11], v[179:180]
	v_fma_f64 v[177:178], v[2:3], v[10:11], -v[12:13]
	ds_load_b128 v[2:5], v1 offset:1632
	ds_load_b128 v[10:13], v1 offset:1648
	v_fma_f64 v[163:164], v[163:164], v[14:15], v[173:174]
	v_fma_f64 v[14:15], v[161:162], v[14:15], -v[16:17]
	v_add_f64_e32 v[165:166], v[171:172], v[165:166]
	v_add_f64_e32 v[167:168], v[169:170], v[167:168]
	s_wait_loadcnt_dscnt 0x701
	v_mul_f64_e32 v[169:170], v[2:3], v[20:21]
	v_mul_f64_e32 v[20:21], v[4:5], v[20:21]
	s_delay_alu instid0(VALU_DEP_4) | instskip(NEXT) | instid1(VALU_DEP_4)
	v_add_f64_e32 v[16:17], v[165:166], v[177:178]
	v_add_f64_e32 v[161:162], v[167:168], v[175:176]
	s_wait_loadcnt_dscnt 0x600
	v_mul_f64_e32 v[165:166], v[10:11], v[24:25]
	v_mul_f64_e32 v[24:25], v[12:13], v[24:25]
	v_fma_f64 v[167:168], v[4:5], v[18:19], v[169:170]
	v_fma_f64 v[18:19], v[2:3], v[18:19], -v[20:21]
	v_add_f64_e32 v[20:21], v[16:17], v[14:15]
	v_add_f64_e32 v[161:162], v[161:162], v[163:164]
	ds_load_b128 v[2:5], v1 offset:1664
	ds_load_b128 v[14:17], v1 offset:1680
	v_fma_f64 v[12:13], v[12:13], v[22:23], v[165:166]
	v_fma_f64 v[10:11], v[10:11], v[22:23], -v[24:25]
	s_wait_loadcnt_dscnt 0x501
	v_mul_f64_e32 v[163:164], v[2:3], v[28:29]
	v_mul_f64_e32 v[28:29], v[4:5], v[28:29]
	s_wait_loadcnt_dscnt 0x400
	v_mul_f64_e32 v[22:23], v[14:15], v[32:33]
	v_mul_f64_e32 v[24:25], v[16:17], v[32:33]
	v_add_f64_e32 v[18:19], v[20:21], v[18:19]
	v_add_f64_e32 v[20:21], v[161:162], v[167:168]
	v_fma_f64 v[32:33], v[4:5], v[26:27], v[163:164]
	v_fma_f64 v[26:27], v[2:3], v[26:27], -v[28:29]
	v_fma_f64 v[16:17], v[16:17], v[30:31], v[22:23]
	v_fma_f64 v[14:15], v[14:15], v[30:31], -v[24:25]
	v_add_f64_e32 v[18:19], v[18:19], v[10:11]
	v_add_f64_e32 v[20:21], v[20:21], v[12:13]
	ds_load_b128 v[2:5], v1 offset:1696
	ds_load_b128 v[10:13], v1 offset:1712
	s_wait_loadcnt_dscnt 0x301
	v_mul_f64_e32 v[28:29], v[2:3], v[36:37]
	v_mul_f64_e32 v[36:37], v[4:5], v[36:37]
	s_wait_loadcnt_dscnt 0x200
	v_mul_f64_e32 v[22:23], v[10:11], v[40:41]
	v_mul_f64_e32 v[24:25], v[12:13], v[40:41]
	v_add_f64_e32 v[18:19], v[18:19], v[26:27]
	v_add_f64_e32 v[20:21], v[20:21], v[32:33]
	v_fma_f64 v[26:27], v[4:5], v[34:35], v[28:29]
	v_fma_f64 v[28:29], v[2:3], v[34:35], -v[36:37]
	v_fma_f64 v[12:13], v[12:13], v[38:39], v[22:23]
	v_fma_f64 v[10:11], v[10:11], v[38:39], -v[24:25]
	v_add_f64_e32 v[18:19], v[18:19], v[14:15]
	v_add_f64_e32 v[20:21], v[20:21], v[16:17]
	ds_load_b128 v[2:5], v1 offset:1728
	ds_load_b128 v[14:17], v1 offset:1744
	s_wait_loadcnt_dscnt 0x101
	v_mul_f64_e32 v[30:31], v[2:3], v[44:45]
	v_mul_f64_e32 v[32:33], v[4:5], v[44:45]
	s_wait_loadcnt_dscnt 0x0
	v_mul_f64_e32 v[22:23], v[14:15], v[8:9]
	v_mul_f64_e32 v[8:9], v[16:17], v[8:9]
	v_add_f64_e32 v[18:19], v[18:19], v[28:29]
	v_add_f64_e32 v[20:21], v[20:21], v[26:27]
	v_fma_f64 v[4:5], v[4:5], v[42:43], v[30:31]
	v_fma_f64 v[1:2], v[2:3], v[42:43], -v[32:33]
	v_fma_f64 v[16:17], v[16:17], v[6:7], v[22:23]
	v_fma_f64 v[6:7], v[14:15], v[6:7], -v[8:9]
	v_add_f64_e32 v[10:11], v[18:19], v[10:11]
	v_add_f64_e32 v[12:13], v[20:21], v[12:13]
	s_delay_alu instid0(VALU_DEP_2) | instskip(NEXT) | instid1(VALU_DEP_2)
	v_add_f64_e32 v[1:2], v[10:11], v[1:2]
	v_add_f64_e32 v[3:4], v[12:13], v[4:5]
	s_delay_alu instid0(VALU_DEP_2) | instskip(NEXT) | instid1(VALU_DEP_2)
	;; [unrolled: 3-line block ×3, first 2 shown]
	v_add_f64_e64 v[1:2], v[157:158], -v[1:2]
	v_add_f64_e64 v[3:4], v[159:160], -v[3:4]
	scratch_store_b128 off, v[1:4], off offset:48
	v_cmpx_lt_u32_e32 1, v0
	s_cbranch_execz .LBB118_341
; %bb.340:
	scratch_load_b128 v[1:4], off, s15
	v_mov_b32_e32 v5, 0
	s_delay_alu instid0(VALU_DEP_1)
	v_dual_mov_b32 v6, v5 :: v_dual_mov_b32 v7, v5
	v_mov_b32_e32 v8, v5
	scratch_store_b128 off, v[5:8], off offset:32
	s_wait_loadcnt 0x0
	ds_store_b128 v156, v[1:4]
.LBB118_341:
	s_wait_alu 0xfffe
	s_or_b32 exec_lo, exec_lo, s0
	s_wait_storecnt_dscnt 0x0
	s_barrier_signal -1
	s_barrier_wait -1
	global_inv scope:SCOPE_SE
	s_clause 0x7
	scratch_load_b128 v[2:5], off, off offset:48
	scratch_load_b128 v[6:9], off, off offset:64
	;; [unrolled: 1-line block ×8, first 2 shown]
	v_mov_b32_e32 v1, 0
	s_mov_b32 s0, exec_lo
	ds_load_b128 v[38:41], v1 offset:912
	s_clause 0x1
	scratch_load_b128 v[34:37], off, off offset:176
	scratch_load_b128 v[42:45], off, off offset:32
	ds_load_b128 v[157:160], v1 offset:928
	scratch_load_b128 v[161:164], off, off offset:192
	s_wait_loadcnt_dscnt 0xa01
	v_mul_f64_e32 v[165:166], v[40:41], v[4:5]
	v_mul_f64_e32 v[4:5], v[38:39], v[4:5]
	s_delay_alu instid0(VALU_DEP_2) | instskip(NEXT) | instid1(VALU_DEP_2)
	v_fma_f64 v[171:172], v[38:39], v[2:3], -v[165:166]
	v_fma_f64 v[173:174], v[40:41], v[2:3], v[4:5]
	ds_load_b128 v[2:5], v1 offset:944
	s_wait_loadcnt_dscnt 0x901
	v_mul_f64_e32 v[169:170], v[157:158], v[8:9]
	v_mul_f64_e32 v[8:9], v[159:160], v[8:9]
	scratch_load_b128 v[38:41], off, off offset:208
	ds_load_b128 v[165:168], v1 offset:960
	s_wait_loadcnt_dscnt 0x901
	v_mul_f64_e32 v[175:176], v[2:3], v[12:13]
	v_mul_f64_e32 v[12:13], v[4:5], v[12:13]
	v_fma_f64 v[159:160], v[159:160], v[6:7], v[169:170]
	v_fma_f64 v[157:158], v[157:158], v[6:7], -v[8:9]
	v_add_f64_e32 v[169:170], 0, v[171:172]
	v_add_f64_e32 v[171:172], 0, v[173:174]
	scratch_load_b128 v[6:9], off, off offset:224
	v_fma_f64 v[175:176], v[4:5], v[10:11], v[175:176]
	v_fma_f64 v[177:178], v[2:3], v[10:11], -v[12:13]
	ds_load_b128 v[2:5], v1 offset:976
	s_wait_loadcnt_dscnt 0x901
	v_mul_f64_e32 v[173:174], v[165:166], v[16:17]
	v_mul_f64_e32 v[16:17], v[167:168], v[16:17]
	scratch_load_b128 v[10:13], off, off offset:240
	v_add_f64_e32 v[169:170], v[169:170], v[157:158]
	v_add_f64_e32 v[171:172], v[171:172], v[159:160]
	s_wait_loadcnt_dscnt 0x900
	v_mul_f64_e32 v[179:180], v[2:3], v[20:21]
	v_mul_f64_e32 v[20:21], v[4:5], v[20:21]
	ds_load_b128 v[157:160], v1 offset:992
	v_fma_f64 v[167:168], v[167:168], v[14:15], v[173:174]
	v_fma_f64 v[165:166], v[165:166], v[14:15], -v[16:17]
	scratch_load_b128 v[14:17], off, off offset:256
	v_add_f64_e32 v[169:170], v[169:170], v[177:178]
	v_add_f64_e32 v[171:172], v[171:172], v[175:176]
	v_fma_f64 v[175:176], v[4:5], v[18:19], v[179:180]
	v_fma_f64 v[177:178], v[2:3], v[18:19], -v[20:21]
	ds_load_b128 v[2:5], v1 offset:1008
	s_wait_loadcnt_dscnt 0x901
	v_mul_f64_e32 v[173:174], v[157:158], v[24:25]
	v_mul_f64_e32 v[24:25], v[159:160], v[24:25]
	scratch_load_b128 v[18:21], off, off offset:272
	s_wait_loadcnt_dscnt 0x900
	v_mul_f64_e32 v[179:180], v[2:3], v[28:29]
	v_mul_f64_e32 v[28:29], v[4:5], v[28:29]
	v_add_f64_e32 v[169:170], v[169:170], v[165:166]
	v_add_f64_e32 v[171:172], v[171:172], v[167:168]
	ds_load_b128 v[165:168], v1 offset:1024
	v_fma_f64 v[159:160], v[159:160], v[22:23], v[173:174]
	v_fma_f64 v[157:158], v[157:158], v[22:23], -v[24:25]
	scratch_load_b128 v[22:25], off, off offset:288
	v_add_f64_e32 v[169:170], v[169:170], v[177:178]
	v_add_f64_e32 v[171:172], v[171:172], v[175:176]
	v_fma_f64 v[175:176], v[4:5], v[26:27], v[179:180]
	v_fma_f64 v[177:178], v[2:3], v[26:27], -v[28:29]
	ds_load_b128 v[2:5], v1 offset:1040
	s_wait_loadcnt_dscnt 0x901
	v_mul_f64_e32 v[173:174], v[165:166], v[32:33]
	v_mul_f64_e32 v[32:33], v[167:168], v[32:33]
	scratch_load_b128 v[26:29], off, off offset:304
	s_wait_loadcnt_dscnt 0x900
	v_mul_f64_e32 v[179:180], v[2:3], v[36:37]
	v_mul_f64_e32 v[36:37], v[4:5], v[36:37]
	v_add_f64_e32 v[169:170], v[169:170], v[157:158]
	v_add_f64_e32 v[171:172], v[171:172], v[159:160]
	ds_load_b128 v[157:160], v1 offset:1056
	v_fma_f64 v[167:168], v[167:168], v[30:31], v[173:174]
	v_fma_f64 v[165:166], v[165:166], v[30:31], -v[32:33]
	scratch_load_b128 v[30:33], off, off offset:320
	v_add_f64_e32 v[169:170], v[169:170], v[177:178]
	v_add_f64_e32 v[171:172], v[171:172], v[175:176]
	v_fma_f64 v[177:178], v[4:5], v[34:35], v[179:180]
	v_fma_f64 v[179:180], v[2:3], v[34:35], -v[36:37]
	ds_load_b128 v[2:5], v1 offset:1072
	s_wait_loadcnt_dscnt 0x801
	v_mul_f64_e32 v[173:174], v[157:158], v[163:164]
	v_mul_f64_e32 v[175:176], v[159:160], v[163:164]
	scratch_load_b128 v[34:37], off, off offset:336
	v_add_f64_e32 v[169:170], v[169:170], v[165:166]
	v_add_f64_e32 v[167:168], v[171:172], v[167:168]
	ds_load_b128 v[163:166], v1 offset:1088
	v_fma_f64 v[173:174], v[159:160], v[161:162], v[173:174]
	v_fma_f64 v[161:162], v[157:158], v[161:162], -v[175:176]
	scratch_load_b128 v[157:160], off, off offset:352
	s_wait_loadcnt_dscnt 0x901
	v_mul_f64_e32 v[171:172], v[2:3], v[40:41]
	v_mul_f64_e32 v[40:41], v[4:5], v[40:41]
	v_add_f64_e32 v[169:170], v[169:170], v[179:180]
	v_add_f64_e32 v[167:168], v[167:168], v[177:178]
	s_delay_alu instid0(VALU_DEP_4) | instskip(NEXT) | instid1(VALU_DEP_4)
	v_fma_f64 v[171:172], v[4:5], v[38:39], v[171:172]
	v_fma_f64 v[177:178], v[2:3], v[38:39], -v[40:41]
	ds_load_b128 v[2:5], v1 offset:1104
	s_wait_loadcnt_dscnt 0x801
	v_mul_f64_e32 v[175:176], v[163:164], v[8:9]
	v_mul_f64_e32 v[8:9], v[165:166], v[8:9]
	scratch_load_b128 v[38:41], off, off offset:368
	s_wait_loadcnt_dscnt 0x800
	v_mul_f64_e32 v[179:180], v[2:3], v[12:13]
	v_add_f64_e32 v[161:162], v[169:170], v[161:162]
	v_add_f64_e32 v[173:174], v[167:168], v[173:174]
	v_mul_f64_e32 v[12:13], v[4:5], v[12:13]
	ds_load_b128 v[167:170], v1 offset:1120
	v_fma_f64 v[165:166], v[165:166], v[6:7], v[175:176]
	v_fma_f64 v[163:164], v[163:164], v[6:7], -v[8:9]
	scratch_load_b128 v[6:9], off, off offset:384
	v_fma_f64 v[175:176], v[4:5], v[10:11], v[179:180]
	v_add_f64_e32 v[161:162], v[161:162], v[177:178]
	v_add_f64_e32 v[171:172], v[173:174], v[171:172]
	v_fma_f64 v[177:178], v[2:3], v[10:11], -v[12:13]
	ds_load_b128 v[2:5], v1 offset:1136
	s_wait_loadcnt_dscnt 0x801
	v_mul_f64_e32 v[173:174], v[167:168], v[16:17]
	v_mul_f64_e32 v[16:17], v[169:170], v[16:17]
	scratch_load_b128 v[10:13], off, off offset:400
	v_add_f64_e32 v[179:180], v[161:162], v[163:164]
	v_add_f64_e32 v[165:166], v[171:172], v[165:166]
	s_wait_loadcnt_dscnt 0x800
	v_mul_f64_e32 v[171:172], v[2:3], v[20:21]
	v_mul_f64_e32 v[20:21], v[4:5], v[20:21]
	v_fma_f64 v[169:170], v[169:170], v[14:15], v[173:174]
	v_fma_f64 v[167:168], v[167:168], v[14:15], -v[16:17]
	ds_load_b128 v[161:164], v1 offset:1152
	scratch_load_b128 v[14:17], off, off offset:416
	v_add_f64_e32 v[173:174], v[179:180], v[177:178]
	v_add_f64_e32 v[165:166], v[165:166], v[175:176]
	v_fma_f64 v[171:172], v[4:5], v[18:19], v[171:172]
	v_fma_f64 v[177:178], v[2:3], v[18:19], -v[20:21]
	ds_load_b128 v[2:5], v1 offset:1168
	s_wait_loadcnt_dscnt 0x801
	v_mul_f64_e32 v[175:176], v[161:162], v[24:25]
	v_mul_f64_e32 v[24:25], v[163:164], v[24:25]
	scratch_load_b128 v[18:21], off, off offset:432
	s_wait_loadcnt_dscnt 0x800
	v_mul_f64_e32 v[179:180], v[2:3], v[28:29]
	v_mul_f64_e32 v[28:29], v[4:5], v[28:29]
	v_add_f64_e32 v[173:174], v[173:174], v[167:168]
	v_add_f64_e32 v[169:170], v[165:166], v[169:170]
	ds_load_b128 v[165:168], v1 offset:1184
	v_fma_f64 v[163:164], v[163:164], v[22:23], v[175:176]
	v_fma_f64 v[161:162], v[161:162], v[22:23], -v[24:25]
	scratch_load_b128 v[22:25], off, off offset:448
	v_fma_f64 v[175:176], v[4:5], v[26:27], v[179:180]
	v_add_f64_e32 v[173:174], v[173:174], v[177:178]
	v_add_f64_e32 v[169:170], v[169:170], v[171:172]
	v_fma_f64 v[177:178], v[2:3], v[26:27], -v[28:29]
	ds_load_b128 v[2:5], v1 offset:1200
	s_wait_loadcnt_dscnt 0x801
	v_mul_f64_e32 v[171:172], v[165:166], v[32:33]
	v_mul_f64_e32 v[32:33], v[167:168], v[32:33]
	scratch_load_b128 v[26:29], off, off offset:464
	s_wait_loadcnt_dscnt 0x800
	v_mul_f64_e32 v[179:180], v[2:3], v[36:37]
	v_mul_f64_e32 v[36:37], v[4:5], v[36:37]
	v_add_f64_e32 v[173:174], v[173:174], v[161:162]
	v_add_f64_e32 v[169:170], v[169:170], v[163:164]
	ds_load_b128 v[161:164], v1 offset:1216
	v_fma_f64 v[167:168], v[167:168], v[30:31], v[171:172]
	v_fma_f64 v[165:166], v[165:166], v[30:31], -v[32:33]
	scratch_load_b128 v[30:33], off, off offset:480
	v_add_f64_e32 v[171:172], v[173:174], v[177:178]
	v_add_f64_e32 v[169:170], v[169:170], v[175:176]
	v_fma_f64 v[175:176], v[4:5], v[34:35], v[179:180]
	v_fma_f64 v[177:178], v[2:3], v[34:35], -v[36:37]
	ds_load_b128 v[2:5], v1 offset:1232
	s_wait_loadcnt_dscnt 0x801
	v_mul_f64_e32 v[173:174], v[161:162], v[159:160]
	v_mul_f64_e32 v[159:160], v[163:164], v[159:160]
	scratch_load_b128 v[34:37], off, off offset:496
	s_wait_loadcnt_dscnt 0x800
	v_mul_f64_e32 v[179:180], v[2:3], v[40:41]
	v_mul_f64_e32 v[40:41], v[4:5], v[40:41]
	v_add_f64_e32 v[171:172], v[171:172], v[165:166]
	v_add_f64_e32 v[169:170], v[169:170], v[167:168]
	ds_load_b128 v[165:168], v1 offset:1248
	v_fma_f64 v[163:164], v[163:164], v[157:158], v[173:174]
	v_fma_f64 v[161:162], v[161:162], v[157:158], -v[159:160]
	scratch_load_b128 v[157:160], off, off offset:512
	v_add_f64_e32 v[171:172], v[171:172], v[177:178]
	v_add_f64_e32 v[169:170], v[169:170], v[175:176]
	v_fma_f64 v[175:176], v[4:5], v[38:39], v[179:180]
	;; [unrolled: 18-line block ×6, first 2 shown]
	v_fma_f64 v[179:180], v[2:3], v[34:35], -v[36:37]
	ds_load_b128 v[2:5], v1 offset:1392
	s_wait_loadcnt_dscnt 0x801
	v_mul_f64_e32 v[173:174], v[165:166], v[159:160]
	v_mul_f64_e32 v[175:176], v[167:168], v[159:160]
	scratch_load_b128 v[34:37], off, off offset:656
	v_add_f64_e32 v[171:172], v[171:172], v[161:162]
	v_add_f64_e32 v[163:164], v[169:170], v[163:164]
	s_wait_loadcnt_dscnt 0x800
	v_mul_f64_e32 v[169:170], v[2:3], v[40:41]
	v_mul_f64_e32 v[40:41], v[4:5], v[40:41]
	ds_load_b128 v[159:162], v1 offset:1408
	v_fma_f64 v[167:168], v[167:168], v[157:158], v[173:174]
	v_fma_f64 v[157:158], v[165:166], v[157:158], -v[175:176]
	v_add_f64_e32 v[171:172], v[171:172], v[179:180]
	v_add_f64_e32 v[173:174], v[163:164], v[177:178]
	scratch_load_b128 v[163:166], off, off offset:672
	v_fma_f64 v[177:178], v[4:5], v[38:39], v[169:170]
	v_fma_f64 v[179:180], v[2:3], v[38:39], -v[40:41]
	ds_load_b128 v[2:5], v1 offset:1424
	s_wait_loadcnt_dscnt 0x801
	v_mul_f64_e32 v[175:176], v[159:160], v[8:9]
	v_mul_f64_e32 v[8:9], v[161:162], v[8:9]
	scratch_load_b128 v[38:41], off, off offset:688
	v_add_f64_e32 v[157:158], v[171:172], v[157:158]
	v_add_f64_e32 v[171:172], v[173:174], v[167:168]
	s_wait_loadcnt_dscnt 0x800
	v_mul_f64_e32 v[173:174], v[2:3], v[12:13]
	v_mul_f64_e32 v[12:13], v[4:5], v[12:13]
	ds_load_b128 v[167:170], v1 offset:1440
	v_fma_f64 v[161:162], v[161:162], v[6:7], v[175:176]
	v_fma_f64 v[159:160], v[159:160], v[6:7], -v[8:9]
	scratch_load_b128 v[6:9], off, off offset:704
	v_add_f64_e32 v[157:158], v[157:158], v[179:180]
	v_add_f64_e32 v[171:172], v[171:172], v[177:178]
	v_fma_f64 v[173:174], v[4:5], v[10:11], v[173:174]
	v_fma_f64 v[177:178], v[2:3], v[10:11], -v[12:13]
	ds_load_b128 v[2:5], v1 offset:1456
	s_wait_loadcnt_dscnt 0x801
	v_mul_f64_e32 v[175:176], v[167:168], v[16:17]
	v_mul_f64_e32 v[16:17], v[169:170], v[16:17]
	scratch_load_b128 v[10:13], off, off offset:720
	v_add_f64_e32 v[179:180], v[157:158], v[159:160]
	v_add_f64_e32 v[161:162], v[171:172], v[161:162]
	s_wait_loadcnt_dscnt 0x800
	v_mul_f64_e32 v[171:172], v[2:3], v[20:21]
	v_mul_f64_e32 v[20:21], v[4:5], v[20:21]
	ds_load_b128 v[157:160], v1 offset:1472
	v_fma_f64 v[169:170], v[169:170], v[14:15], v[175:176]
	v_fma_f64 v[167:168], v[167:168], v[14:15], -v[16:17]
	scratch_load_b128 v[14:17], off, off offset:736
	v_add_f64_e32 v[175:176], v[179:180], v[177:178]
	v_add_f64_e32 v[161:162], v[161:162], v[173:174]
	v_fma_f64 v[171:172], v[4:5], v[18:19], v[171:172]
	v_fma_f64 v[177:178], v[2:3], v[18:19], -v[20:21]
	ds_load_b128 v[2:5], v1 offset:1488
	s_wait_loadcnt_dscnt 0x801
	v_mul_f64_e32 v[173:174], v[157:158], v[24:25]
	v_mul_f64_e32 v[24:25], v[159:160], v[24:25]
	scratch_load_b128 v[18:21], off, off offset:752
	s_wait_loadcnt_dscnt 0x800
	v_mul_f64_e32 v[179:180], v[2:3], v[28:29]
	v_mul_f64_e32 v[28:29], v[4:5], v[28:29]
	v_add_f64_e32 v[175:176], v[175:176], v[167:168]
	v_add_f64_e32 v[161:162], v[161:162], v[169:170]
	ds_load_b128 v[167:170], v1 offset:1504
	v_fma_f64 v[159:160], v[159:160], v[22:23], v[173:174]
	v_fma_f64 v[157:158], v[157:158], v[22:23], -v[24:25]
	scratch_load_b128 v[22:25], off, off offset:768
	v_add_f64_e32 v[173:174], v[175:176], v[177:178]
	v_add_f64_e32 v[161:162], v[161:162], v[171:172]
	v_fma_f64 v[175:176], v[4:5], v[26:27], v[179:180]
	v_fma_f64 v[177:178], v[2:3], v[26:27], -v[28:29]
	ds_load_b128 v[2:5], v1 offset:1520
	s_wait_loadcnt_dscnt 0x801
	v_mul_f64_e32 v[171:172], v[167:168], v[32:33]
	v_mul_f64_e32 v[32:33], v[169:170], v[32:33]
	scratch_load_b128 v[26:29], off, off offset:784
	s_wait_loadcnt_dscnt 0x800
	v_mul_f64_e32 v[179:180], v[2:3], v[36:37]
	v_mul_f64_e32 v[36:37], v[4:5], v[36:37]
	v_add_f64_e32 v[173:174], v[173:174], v[157:158]
	v_add_f64_e32 v[161:162], v[161:162], v[159:160]
	ds_load_b128 v[157:160], v1 offset:1536
	v_fma_f64 v[169:170], v[169:170], v[30:31], v[171:172]
	v_fma_f64 v[167:168], v[167:168], v[30:31], -v[32:33]
	scratch_load_b128 v[30:33], off, off offset:800
	v_add_f64_e32 v[171:172], v[173:174], v[177:178]
	v_add_f64_e32 v[161:162], v[161:162], v[175:176]
	v_fma_f64 v[177:178], v[4:5], v[34:35], v[179:180]
	v_fma_f64 v[179:180], v[2:3], v[34:35], -v[36:37]
	ds_load_b128 v[2:5], v1 offset:1552
	scratch_load_b128 v[34:37], off, off offset:816
	s_wait_loadcnt_dscnt 0x901
	v_mul_f64_e32 v[173:174], v[157:158], v[165:166]
	v_mul_f64_e32 v[175:176], v[159:160], v[165:166]
	v_add_f64_e32 v[171:172], v[171:172], v[167:168]
	v_add_f64_e32 v[161:162], v[161:162], v[169:170]
	s_wait_loadcnt_dscnt 0x800
	v_mul_f64_e32 v[169:170], v[2:3], v[40:41]
	v_mul_f64_e32 v[40:41], v[4:5], v[40:41]
	ds_load_b128 v[165:168], v1 offset:1568
	v_fma_f64 v[173:174], v[159:160], v[163:164], v[173:174]
	v_fma_f64 v[163:164], v[157:158], v[163:164], -v[175:176]
	scratch_load_b128 v[157:160], off, off offset:832
	v_add_f64_e32 v[171:172], v[171:172], v[179:180]
	v_add_f64_e32 v[161:162], v[161:162], v[177:178]
	v_fma_f64 v[169:170], v[4:5], v[38:39], v[169:170]
	v_fma_f64 v[177:178], v[2:3], v[38:39], -v[40:41]
	ds_load_b128 v[2:5], v1 offset:1584
	s_wait_loadcnt_dscnt 0x801
	v_mul_f64_e32 v[175:176], v[165:166], v[8:9]
	v_mul_f64_e32 v[8:9], v[167:168], v[8:9]
	scratch_load_b128 v[38:41], off, off offset:848
	s_wait_loadcnt_dscnt 0x800
	v_mul_f64_e32 v[179:180], v[2:3], v[12:13]
	v_mul_f64_e32 v[12:13], v[4:5], v[12:13]
	v_add_f64_e32 v[171:172], v[171:172], v[163:164]
	v_add_f64_e32 v[173:174], v[161:162], v[173:174]
	ds_load_b128 v[161:164], v1 offset:1600
	v_fma_f64 v[167:168], v[167:168], v[6:7], v[175:176]
	v_fma_f64 v[165:166], v[165:166], v[6:7], -v[8:9]
	scratch_load_b128 v[6:9], off, off offset:864
	v_fma_f64 v[175:176], v[4:5], v[10:11], v[179:180]
	v_add_f64_e32 v[171:172], v[171:172], v[177:178]
	v_add_f64_e32 v[169:170], v[173:174], v[169:170]
	v_fma_f64 v[177:178], v[2:3], v[10:11], -v[12:13]
	ds_load_b128 v[2:5], v1 offset:1616
	s_wait_loadcnt_dscnt 0x801
	v_mul_f64_e32 v[173:174], v[161:162], v[16:17]
	v_mul_f64_e32 v[16:17], v[163:164], v[16:17]
	scratch_load_b128 v[10:13], off, off offset:880
	s_wait_loadcnt_dscnt 0x800
	v_mul_f64_e32 v[179:180], v[2:3], v[20:21]
	v_mul_f64_e32 v[20:21], v[4:5], v[20:21]
	v_add_f64_e32 v[171:172], v[171:172], v[165:166]
	v_add_f64_e32 v[169:170], v[169:170], v[167:168]
	ds_load_b128 v[165:168], v1 offset:1632
	v_fma_f64 v[163:164], v[163:164], v[14:15], v[173:174]
	v_fma_f64 v[14:15], v[161:162], v[14:15], -v[16:17]
	v_add_f64_e32 v[16:17], v[171:172], v[177:178]
	v_add_f64_e32 v[161:162], v[169:170], v[175:176]
	s_wait_loadcnt_dscnt 0x700
	v_mul_f64_e32 v[169:170], v[165:166], v[24:25]
	v_mul_f64_e32 v[24:25], v[167:168], v[24:25]
	v_fma_f64 v[171:172], v[4:5], v[18:19], v[179:180]
	v_fma_f64 v[18:19], v[2:3], v[18:19], -v[20:21]
	v_add_f64_e32 v[20:21], v[16:17], v[14:15]
	v_add_f64_e32 v[161:162], v[161:162], v[163:164]
	ds_load_b128 v[2:5], v1 offset:1648
	ds_load_b128 v[14:17], v1 offset:1664
	v_fma_f64 v[167:168], v[167:168], v[22:23], v[169:170]
	v_fma_f64 v[22:23], v[165:166], v[22:23], -v[24:25]
	s_wait_loadcnt_dscnt 0x601
	v_mul_f64_e32 v[163:164], v[2:3], v[28:29]
	v_mul_f64_e32 v[28:29], v[4:5], v[28:29]
	s_wait_loadcnt_dscnt 0x500
	v_mul_f64_e32 v[24:25], v[14:15], v[32:33]
	v_mul_f64_e32 v[32:33], v[16:17], v[32:33]
	v_add_f64_e32 v[18:19], v[20:21], v[18:19]
	v_add_f64_e32 v[20:21], v[161:162], v[171:172]
	v_fma_f64 v[161:162], v[4:5], v[26:27], v[163:164]
	v_fma_f64 v[26:27], v[2:3], v[26:27], -v[28:29]
	v_fma_f64 v[16:17], v[16:17], v[30:31], v[24:25]
	v_fma_f64 v[14:15], v[14:15], v[30:31], -v[32:33]
	v_add_f64_e32 v[22:23], v[18:19], v[22:23]
	v_add_f64_e32 v[28:29], v[20:21], v[167:168]
	ds_load_b128 v[2:5], v1 offset:1680
	ds_load_b128 v[18:21], v1 offset:1696
	s_wait_loadcnt_dscnt 0x401
	v_mul_f64_e32 v[163:164], v[2:3], v[36:37]
	v_mul_f64_e32 v[36:37], v[4:5], v[36:37]
	v_add_f64_e32 v[22:23], v[22:23], v[26:27]
	v_add_f64_e32 v[24:25], v[28:29], v[161:162]
	s_wait_loadcnt_dscnt 0x300
	v_mul_f64_e32 v[26:27], v[18:19], v[159:160]
	v_mul_f64_e32 v[28:29], v[20:21], v[159:160]
	v_fma_f64 v[30:31], v[4:5], v[34:35], v[163:164]
	v_fma_f64 v[32:33], v[2:3], v[34:35], -v[36:37]
	v_add_f64_e32 v[22:23], v[22:23], v[14:15]
	v_add_f64_e32 v[24:25], v[24:25], v[16:17]
	ds_load_b128 v[2:5], v1 offset:1712
	ds_load_b128 v[14:17], v1 offset:1728
	v_fma_f64 v[20:21], v[20:21], v[157:158], v[26:27]
	v_fma_f64 v[18:19], v[18:19], v[157:158], -v[28:29]
	s_wait_loadcnt_dscnt 0x201
	v_mul_f64_e32 v[34:35], v[2:3], v[40:41]
	v_mul_f64_e32 v[36:37], v[4:5], v[40:41]
	s_wait_loadcnt_dscnt 0x100
	v_mul_f64_e32 v[26:27], v[14:15], v[8:9]
	v_mul_f64_e32 v[8:9], v[16:17], v[8:9]
	v_add_f64_e32 v[22:23], v[22:23], v[32:33]
	v_add_f64_e32 v[24:25], v[24:25], v[30:31]
	v_fma_f64 v[28:29], v[4:5], v[38:39], v[34:35]
	v_fma_f64 v[30:31], v[2:3], v[38:39], -v[36:37]
	ds_load_b128 v[2:5], v1 offset:1744
	v_fma_f64 v[16:17], v[16:17], v[6:7], v[26:27]
	v_fma_f64 v[6:7], v[14:15], v[6:7], -v[8:9]
	v_add_f64_e32 v[18:19], v[22:23], v[18:19]
	v_add_f64_e32 v[20:21], v[24:25], v[20:21]
	s_wait_loadcnt_dscnt 0x0
	v_mul_f64_e32 v[22:23], v[2:3], v[12:13]
	v_mul_f64_e32 v[12:13], v[4:5], v[12:13]
	s_delay_alu instid0(VALU_DEP_4) | instskip(NEXT) | instid1(VALU_DEP_4)
	v_add_f64_e32 v[8:9], v[18:19], v[30:31]
	v_add_f64_e32 v[14:15], v[20:21], v[28:29]
	s_delay_alu instid0(VALU_DEP_4) | instskip(NEXT) | instid1(VALU_DEP_4)
	v_fma_f64 v[4:5], v[4:5], v[10:11], v[22:23]
	v_fma_f64 v[2:3], v[2:3], v[10:11], -v[12:13]
	s_delay_alu instid0(VALU_DEP_4) | instskip(NEXT) | instid1(VALU_DEP_4)
	v_add_f64_e32 v[6:7], v[8:9], v[6:7]
	v_add_f64_e32 v[8:9], v[14:15], v[16:17]
	s_delay_alu instid0(VALU_DEP_2) | instskip(NEXT) | instid1(VALU_DEP_2)
	v_add_f64_e32 v[2:3], v[6:7], v[2:3]
	v_add_f64_e32 v[4:5], v[8:9], v[4:5]
	s_delay_alu instid0(VALU_DEP_2) | instskip(NEXT) | instid1(VALU_DEP_2)
	v_add_f64_e64 v[2:3], v[42:43], -v[2:3]
	v_add_f64_e64 v[4:5], v[44:45], -v[4:5]
	scratch_store_b128 off, v[2:5], off offset:32
	v_cmpx_ne_u32_e32 0, v0
	s_cbranch_execz .LBB118_343
; %bb.342:
	scratch_load_b128 v[5:8], off, off offset:16
	v_dual_mov_b32 v2, v1 :: v_dual_mov_b32 v3, v1
	v_mov_b32_e32 v4, v1
	scratch_store_b128 off, v[1:4], off offset:16
	s_wait_loadcnt 0x0
	ds_store_b128 v156, v[5:8]
.LBB118_343:
	s_wait_alu 0xfffe
	s_or_b32 exec_lo, exec_lo, s0
	s_wait_storecnt_dscnt 0x0
	s_barrier_signal -1
	s_barrier_wait -1
	global_inv scope:SCOPE_SE
	s_clause 0x8
	scratch_load_b128 v[2:5], off, off offset:32
	scratch_load_b128 v[6:9], off, off offset:48
	;; [unrolled: 1-line block ×9, first 2 shown]
	ds_load_b128 v[42:45], v1 offset:896
	ds_load_b128 v[38:41], v1 offset:912
	s_clause 0x1
	scratch_load_b128 v[156:159], off, off offset:16
	scratch_load_b128 v[160:163], off, off offset:176
	s_and_b32 vcc_lo, exec_lo, s12
	s_wait_loadcnt_dscnt 0xa01
	v_mul_f64_e32 v[164:165], v[44:45], v[4:5]
	v_mul_f64_e32 v[4:5], v[42:43], v[4:5]
	s_wait_loadcnt_dscnt 0x900
	v_mul_f64_e32 v[168:169], v[38:39], v[8:9]
	v_mul_f64_e32 v[8:9], v[40:41], v[8:9]
	s_delay_alu instid0(VALU_DEP_4) | instskip(NEXT) | instid1(VALU_DEP_4)
	v_fma_f64 v[170:171], v[42:43], v[2:3], -v[164:165]
	v_fma_f64 v[172:173], v[44:45], v[2:3], v[4:5]
	ds_load_b128 v[2:5], v1 offset:928
	ds_load_b128 v[164:167], v1 offset:944
	scratch_load_b128 v[42:45], off, off offset:192
	v_fma_f64 v[40:41], v[40:41], v[6:7], v[168:169]
	v_fma_f64 v[38:39], v[38:39], v[6:7], -v[8:9]
	scratch_load_b128 v[6:9], off, off offset:208
	s_wait_loadcnt_dscnt 0xa01
	v_mul_f64_e32 v[174:175], v[2:3], v[12:13]
	v_mul_f64_e32 v[12:13], v[4:5], v[12:13]
	v_add_f64_e32 v[168:169], 0, v[170:171]
	v_add_f64_e32 v[170:171], 0, v[172:173]
	s_wait_loadcnt_dscnt 0x900
	v_mul_f64_e32 v[172:173], v[164:165], v[16:17]
	v_mul_f64_e32 v[16:17], v[166:167], v[16:17]
	v_fma_f64 v[174:175], v[4:5], v[10:11], v[174:175]
	v_fma_f64 v[176:177], v[2:3], v[10:11], -v[12:13]
	ds_load_b128 v[2:5], v1 offset:960
	scratch_load_b128 v[10:13], off, off offset:224
	v_add_f64_e32 v[168:169], v[168:169], v[38:39]
	v_add_f64_e32 v[170:171], v[170:171], v[40:41]
	ds_load_b128 v[38:41], v1 offset:976
	v_fma_f64 v[166:167], v[166:167], v[14:15], v[172:173]
	v_fma_f64 v[164:165], v[164:165], v[14:15], -v[16:17]
	scratch_load_b128 v[14:17], off, off offset:240
	s_wait_loadcnt_dscnt 0xa01
	v_mul_f64_e32 v[178:179], v[2:3], v[20:21]
	v_mul_f64_e32 v[20:21], v[4:5], v[20:21]
	s_wait_loadcnt_dscnt 0x900
	v_mul_f64_e32 v[172:173], v[38:39], v[24:25]
	v_mul_f64_e32 v[24:25], v[40:41], v[24:25]
	v_add_f64_e32 v[168:169], v[168:169], v[176:177]
	v_add_f64_e32 v[170:171], v[170:171], v[174:175]
	v_fma_f64 v[174:175], v[4:5], v[18:19], v[178:179]
	v_fma_f64 v[176:177], v[2:3], v[18:19], -v[20:21]
	ds_load_b128 v[2:5], v1 offset:992
	scratch_load_b128 v[18:21], off, off offset:256
	v_fma_f64 v[40:41], v[40:41], v[22:23], v[172:173]
	v_fma_f64 v[38:39], v[38:39], v[22:23], -v[24:25]
	scratch_load_b128 v[22:25], off, off offset:272
	v_add_f64_e32 v[168:169], v[168:169], v[164:165]
	v_add_f64_e32 v[170:171], v[170:171], v[166:167]
	ds_load_b128 v[164:167], v1 offset:1008
	s_wait_loadcnt_dscnt 0xa01
	v_mul_f64_e32 v[178:179], v[2:3], v[28:29]
	v_mul_f64_e32 v[28:29], v[4:5], v[28:29]
	s_wait_loadcnt_dscnt 0x900
	v_mul_f64_e32 v[172:173], v[164:165], v[32:33]
	v_mul_f64_e32 v[32:33], v[166:167], v[32:33]
	v_add_f64_e32 v[168:169], v[168:169], v[176:177]
	v_add_f64_e32 v[170:171], v[170:171], v[174:175]
	v_fma_f64 v[174:175], v[4:5], v[26:27], v[178:179]
	v_fma_f64 v[176:177], v[2:3], v[26:27], -v[28:29]
	ds_load_b128 v[2:5], v1 offset:1024
	scratch_load_b128 v[26:29], off, off offset:288
	v_fma_f64 v[166:167], v[166:167], v[30:31], v[172:173]
	v_fma_f64 v[164:165], v[164:165], v[30:31], -v[32:33]
	scratch_load_b128 v[30:33], off, off offset:304
	v_add_f64_e32 v[168:169], v[168:169], v[38:39]
	v_add_f64_e32 v[170:171], v[170:171], v[40:41]
	ds_load_b128 v[38:41], v1 offset:1040
	s_wait_loadcnt_dscnt 0xa01
	v_mul_f64_e32 v[178:179], v[2:3], v[36:37]
	v_mul_f64_e32 v[36:37], v[4:5], v[36:37]
	s_wait_loadcnt_dscnt 0x800
	v_mul_f64_e32 v[172:173], v[38:39], v[162:163]
	v_add_f64_e32 v[168:169], v[168:169], v[176:177]
	v_add_f64_e32 v[170:171], v[170:171], v[174:175]
	v_mul_f64_e32 v[174:175], v[40:41], v[162:163]
	v_fma_f64 v[176:177], v[4:5], v[34:35], v[178:179]
	v_fma_f64 v[178:179], v[2:3], v[34:35], -v[36:37]
	ds_load_b128 v[2:5], v1 offset:1056
	scratch_load_b128 v[34:37], off, off offset:320
	v_fma_f64 v[172:173], v[40:41], v[160:161], v[172:173]
	v_add_f64_e32 v[168:169], v[168:169], v[164:165]
	v_add_f64_e32 v[166:167], v[170:171], v[166:167]
	ds_load_b128 v[162:165], v1 offset:1072
	v_fma_f64 v[160:161], v[38:39], v[160:161], -v[174:175]
	scratch_load_b128 v[38:41], off, off offset:336
	s_wait_loadcnt_dscnt 0x901
	v_mul_f64_e32 v[170:171], v[2:3], v[44:45]
	v_mul_f64_e32 v[44:45], v[4:5], v[44:45]
	s_wait_loadcnt_dscnt 0x800
	v_mul_f64_e32 v[174:175], v[162:163], v[8:9]
	v_mul_f64_e32 v[8:9], v[164:165], v[8:9]
	v_add_f64_e32 v[168:169], v[168:169], v[178:179]
	v_add_f64_e32 v[166:167], v[166:167], v[176:177]
	v_fma_f64 v[170:171], v[4:5], v[42:43], v[170:171]
	v_fma_f64 v[176:177], v[2:3], v[42:43], -v[44:45]
	ds_load_b128 v[2:5], v1 offset:1088
	scratch_load_b128 v[42:45], off, off offset:352
	v_fma_f64 v[164:165], v[164:165], v[6:7], v[174:175]
	v_fma_f64 v[162:163], v[162:163], v[6:7], -v[8:9]
	scratch_load_b128 v[6:9], off, off offset:368
	v_add_f64_e32 v[160:161], v[168:169], v[160:161]
	v_add_f64_e32 v[172:173], v[166:167], v[172:173]
	ds_load_b128 v[166:169], v1 offset:1104
	s_wait_loadcnt_dscnt 0x901
	v_mul_f64_e32 v[178:179], v[2:3], v[12:13]
	v_mul_f64_e32 v[12:13], v[4:5], v[12:13]
	v_add_f64_e32 v[160:161], v[160:161], v[176:177]
	v_add_f64_e32 v[170:171], v[172:173], v[170:171]
	s_wait_loadcnt_dscnt 0x800
	v_mul_f64_e32 v[172:173], v[166:167], v[16:17]
	v_mul_f64_e32 v[16:17], v[168:169], v[16:17]
	v_fma_f64 v[174:175], v[4:5], v[10:11], v[178:179]
	v_fma_f64 v[176:177], v[2:3], v[10:11], -v[12:13]
	ds_load_b128 v[2:5], v1 offset:1120
	scratch_load_b128 v[10:13], off, off offset:384
	v_add_f64_e32 v[178:179], v[160:161], v[162:163]
	v_add_f64_e32 v[164:165], v[170:171], v[164:165]
	ds_load_b128 v[160:163], v1 offset:1136
	s_wait_loadcnt_dscnt 0x801
	v_mul_f64_e32 v[170:171], v[2:3], v[20:21]
	v_mul_f64_e32 v[20:21], v[4:5], v[20:21]
	v_fma_f64 v[168:169], v[168:169], v[14:15], v[172:173]
	v_fma_f64 v[166:167], v[166:167], v[14:15], -v[16:17]
	scratch_load_b128 v[14:17], off, off offset:400
	v_add_f64_e32 v[172:173], v[178:179], v[176:177]
	v_add_f64_e32 v[164:165], v[164:165], v[174:175]
	s_wait_loadcnt_dscnt 0x800
	v_mul_f64_e32 v[174:175], v[160:161], v[24:25]
	v_mul_f64_e32 v[24:25], v[162:163], v[24:25]
	v_fma_f64 v[170:171], v[4:5], v[18:19], v[170:171]
	v_fma_f64 v[176:177], v[2:3], v[18:19], -v[20:21]
	ds_load_b128 v[2:5], v1 offset:1152
	scratch_load_b128 v[18:21], off, off offset:416
	v_add_f64_e32 v[172:173], v[172:173], v[166:167]
	v_add_f64_e32 v[168:169], v[164:165], v[168:169]
	ds_load_b128 v[164:167], v1 offset:1168
	s_wait_loadcnt_dscnt 0x801
	v_mul_f64_e32 v[178:179], v[2:3], v[28:29]
	v_mul_f64_e32 v[28:29], v[4:5], v[28:29]
	v_fma_f64 v[162:163], v[162:163], v[22:23], v[174:175]
	v_fma_f64 v[160:161], v[160:161], v[22:23], -v[24:25]
	scratch_load_b128 v[22:25], off, off offset:432
	;; [unrolled: 18-line block ×4, first 2 shown]
	s_wait_loadcnt_dscnt 0x800
	v_mul_f64_e32 v[172:173], v[164:165], v[8:9]
	v_mul_f64_e32 v[8:9], v[166:167], v[8:9]
	v_add_f64_e32 v[170:171], v[170:171], v[176:177]
	v_add_f64_e32 v[168:169], v[168:169], v[174:175]
	v_fma_f64 v[174:175], v[4:5], v[42:43], v[178:179]
	v_fma_f64 v[176:177], v[2:3], v[42:43], -v[44:45]
	ds_load_b128 v[2:5], v1 offset:1248
	scratch_load_b128 v[42:45], off, off offset:512
	v_fma_f64 v[166:167], v[166:167], v[6:7], v[172:173]
	v_fma_f64 v[164:165], v[164:165], v[6:7], -v[8:9]
	scratch_load_b128 v[6:9], off, off offset:528
	v_add_f64_e32 v[170:171], v[170:171], v[160:161]
	v_add_f64_e32 v[168:169], v[168:169], v[162:163]
	ds_load_b128 v[160:163], v1 offset:1264
	s_wait_loadcnt_dscnt 0x901
	v_mul_f64_e32 v[178:179], v[2:3], v[12:13]
	v_mul_f64_e32 v[12:13], v[4:5], v[12:13]
	s_wait_loadcnt_dscnt 0x800
	v_mul_f64_e32 v[172:173], v[160:161], v[16:17]
	v_mul_f64_e32 v[16:17], v[162:163], v[16:17]
	v_add_f64_e32 v[170:171], v[170:171], v[176:177]
	v_add_f64_e32 v[168:169], v[168:169], v[174:175]
	v_fma_f64 v[174:175], v[4:5], v[10:11], v[178:179]
	v_fma_f64 v[176:177], v[2:3], v[10:11], -v[12:13]
	ds_load_b128 v[2:5], v1 offset:1280
	scratch_load_b128 v[10:13], off, off offset:544
	v_fma_f64 v[162:163], v[162:163], v[14:15], v[172:173]
	v_fma_f64 v[160:161], v[160:161], v[14:15], -v[16:17]
	scratch_load_b128 v[14:17], off, off offset:560
	v_add_f64_e32 v[170:171], v[170:171], v[164:165]
	v_add_f64_e32 v[168:169], v[168:169], v[166:167]
	ds_load_b128 v[164:167], v1 offset:1296
	s_wait_loadcnt_dscnt 0x901
	v_mul_f64_e32 v[178:179], v[2:3], v[20:21]
	v_mul_f64_e32 v[20:21], v[4:5], v[20:21]
	;; [unrolled: 18-line block ×12, first 2 shown]
	s_wait_loadcnt_dscnt 0x800
	v_mul_f64_e32 v[172:173], v[164:165], v[24:25]
	v_mul_f64_e32 v[24:25], v[166:167], v[24:25]
	v_add_f64_e32 v[170:171], v[170:171], v[176:177]
	v_add_f64_e32 v[168:169], v[168:169], v[174:175]
	v_fma_f64 v[174:175], v[4:5], v[18:19], v[178:179]
	v_fma_f64 v[176:177], v[2:3], v[18:19], -v[20:21]
	ds_load_b128 v[2:5], v1 offset:1632
	ds_load_b128 v[18:21], v1 offset:1648
	v_fma_f64 v[166:167], v[166:167], v[22:23], v[172:173]
	v_fma_f64 v[22:23], v[164:165], v[22:23], -v[24:25]
	v_add_f64_e32 v[160:161], v[170:171], v[160:161]
	v_add_f64_e32 v[162:163], v[168:169], v[162:163]
	s_wait_loadcnt_dscnt 0x701
	v_mul_f64_e32 v[168:169], v[2:3], v[28:29]
	v_mul_f64_e32 v[28:29], v[4:5], v[28:29]
	s_delay_alu instid0(VALU_DEP_4) | instskip(NEXT) | instid1(VALU_DEP_4)
	v_add_f64_e32 v[24:25], v[160:161], v[176:177]
	v_add_f64_e32 v[160:161], v[162:163], v[174:175]
	s_wait_loadcnt_dscnt 0x600
	v_mul_f64_e32 v[162:163], v[18:19], v[32:33]
	v_mul_f64_e32 v[32:33], v[20:21], v[32:33]
	v_fma_f64 v[164:165], v[4:5], v[26:27], v[168:169]
	v_fma_f64 v[26:27], v[2:3], v[26:27], -v[28:29]
	v_add_f64_e32 v[28:29], v[24:25], v[22:23]
	v_add_f64_e32 v[160:161], v[160:161], v[166:167]
	ds_load_b128 v[2:5], v1 offset:1664
	ds_load_b128 v[22:25], v1 offset:1680
	v_fma_f64 v[20:21], v[20:21], v[30:31], v[162:163]
	v_fma_f64 v[18:19], v[18:19], v[30:31], -v[32:33]
	s_wait_loadcnt_dscnt 0x501
	v_mul_f64_e32 v[166:167], v[2:3], v[36:37]
	v_mul_f64_e32 v[36:37], v[4:5], v[36:37]
	s_wait_loadcnt_dscnt 0x400
	v_mul_f64_e32 v[30:31], v[22:23], v[40:41]
	v_mul_f64_e32 v[32:33], v[24:25], v[40:41]
	v_add_f64_e32 v[26:27], v[28:29], v[26:27]
	v_add_f64_e32 v[28:29], v[160:161], v[164:165]
	v_fma_f64 v[40:41], v[4:5], v[34:35], v[166:167]
	v_fma_f64 v[34:35], v[2:3], v[34:35], -v[36:37]
	v_fma_f64 v[24:25], v[24:25], v[38:39], v[30:31]
	v_fma_f64 v[22:23], v[22:23], v[38:39], -v[32:33]
	v_add_f64_e32 v[26:27], v[26:27], v[18:19]
	v_add_f64_e32 v[28:29], v[28:29], v[20:21]
	ds_load_b128 v[2:5], v1 offset:1696
	ds_load_b128 v[18:21], v1 offset:1712
	s_wait_loadcnt_dscnt 0x301
	v_mul_f64_e32 v[36:37], v[2:3], v[44:45]
	v_mul_f64_e32 v[44:45], v[4:5], v[44:45]
	s_wait_loadcnt_dscnt 0x200
	v_mul_f64_e32 v[30:31], v[18:19], v[8:9]
	v_mul_f64_e32 v[8:9], v[20:21], v[8:9]
	v_add_f64_e32 v[26:27], v[26:27], v[34:35]
	v_add_f64_e32 v[28:29], v[28:29], v[40:41]
	v_fma_f64 v[32:33], v[4:5], v[42:43], v[36:37]
	v_fma_f64 v[34:35], v[2:3], v[42:43], -v[44:45]
	v_fma_f64 v[20:21], v[20:21], v[6:7], v[30:31]
	v_fma_f64 v[6:7], v[18:19], v[6:7], -v[8:9]
	v_add_f64_e32 v[26:27], v[26:27], v[22:23]
	v_add_f64_e32 v[28:29], v[28:29], v[24:25]
	ds_load_b128 v[2:5], v1 offset:1728
	ds_load_b128 v[22:25], v1 offset:1744
	s_wait_loadcnt_dscnt 0x101
	v_mul_f64_e32 v[0:1], v[2:3], v[12:13]
	v_mul_f64_e32 v[12:13], v[4:5], v[12:13]
	v_add_f64_e32 v[8:9], v[26:27], v[34:35]
	v_add_f64_e32 v[18:19], v[28:29], v[32:33]
	s_wait_loadcnt_dscnt 0x0
	v_mul_f64_e32 v[26:27], v[22:23], v[16:17]
	v_mul_f64_e32 v[16:17], v[24:25], v[16:17]
	v_fma_f64 v[0:1], v[4:5], v[10:11], v[0:1]
	v_fma_f64 v[2:3], v[2:3], v[10:11], -v[12:13]
	v_add_f64_e32 v[4:5], v[8:9], v[6:7]
	v_add_f64_e32 v[6:7], v[18:19], v[20:21]
	v_fma_f64 v[8:9], v[24:25], v[14:15], v[26:27]
	v_fma_f64 v[10:11], v[22:23], v[14:15], -v[16:17]
	s_delay_alu instid0(VALU_DEP_4) | instskip(NEXT) | instid1(VALU_DEP_4)
	v_add_f64_e32 v[2:3], v[4:5], v[2:3]
	v_add_f64_e32 v[0:1], v[6:7], v[0:1]
	s_delay_alu instid0(VALU_DEP_2) | instskip(NEXT) | instid1(VALU_DEP_2)
	v_add_f64_e32 v[2:3], v[2:3], v[10:11]
	v_add_f64_e32 v[4:5], v[0:1], v[8:9]
	s_delay_alu instid0(VALU_DEP_2) | instskip(NEXT) | instid1(VALU_DEP_2)
	v_add_f64_e64 v[0:1], v[156:157], -v[2:3]
	v_add_f64_e64 v[2:3], v[158:159], -v[4:5]
	scratch_store_b128 off, v[0:3], off offset:16
	s_wait_alu 0xfffe
	s_cbranch_vccz .LBB118_452
; %bb.344:
	v_mov_b32_e32 v0, 0
	global_load_b32 v1, v0, s[2:3] offset:212
	s_wait_loadcnt 0x0
	v_cmp_ne_u32_e32 vcc_lo, 54, v1
	s_cbranch_vccz .LBB118_346
; %bb.345:
	v_lshlrev_b32_e32 v1, 4, v1
	s_delay_alu instid0(VALU_DEP_1)
	v_add_nc_u32_e32 v9, 16, v1
	s_clause 0x1
	scratch_load_b128 v[1:4], v9, off offset:-16
	scratch_load_b128 v[5:8], off, s11
	s_wait_loadcnt 0x1
	scratch_store_b128 off, v[1:4], s11
	s_wait_loadcnt 0x0
	scratch_store_b128 v9, v[5:8], off offset:-16
.LBB118_346:
	global_load_b32 v0, v0, s[2:3] offset:208
	s_wait_loadcnt 0x0
	v_cmp_eq_u32_e32 vcc_lo, 53, v0
	s_cbranch_vccnz .LBB118_348
; %bb.347:
	v_lshlrev_b32_e32 v0, 4, v0
	s_delay_alu instid0(VALU_DEP_1)
	v_add_nc_u32_e32 v8, 16, v0
	s_clause 0x1
	scratch_load_b128 v[0:3], v8, off offset:-16
	scratch_load_b128 v[4:7], off, s14
	s_wait_loadcnt 0x1
	scratch_store_b128 off, v[0:3], s14
	s_wait_loadcnt 0x0
	scratch_store_b128 v8, v[4:7], off offset:-16
.LBB118_348:
	v_mov_b32_e32 v0, 0
	global_load_b32 v1, v0, s[2:3] offset:204
	s_wait_loadcnt 0x0
	v_cmp_eq_u32_e32 vcc_lo, 52, v1
	s_cbranch_vccnz .LBB118_350
; %bb.349:
	v_lshlrev_b32_e32 v1, 4, v1
	s_delay_alu instid0(VALU_DEP_1)
	v_add_nc_u32_e32 v9, 16, v1
	s_clause 0x1
	scratch_load_b128 v[1:4], v9, off offset:-16
	scratch_load_b128 v[5:8], off, s16
	s_wait_loadcnt 0x1
	scratch_store_b128 off, v[1:4], s16
	s_wait_loadcnt 0x0
	scratch_store_b128 v9, v[5:8], off offset:-16
.LBB118_350:
	global_load_b32 v0, v0, s[2:3] offset:200
	s_wait_loadcnt 0x0
	v_cmp_eq_u32_e32 vcc_lo, 51, v0
	s_cbranch_vccnz .LBB118_352
; %bb.351:
	v_lshlrev_b32_e32 v0, 4, v0
	s_delay_alu instid0(VALU_DEP_1)
	v_add_nc_u32_e32 v8, 16, v0
	s_clause 0x1
	scratch_load_b128 v[0:3], v8, off offset:-16
	scratch_load_b128 v[4:7], off, s17
	s_wait_loadcnt 0x1
	scratch_store_b128 off, v[0:3], s17
	s_wait_loadcnt 0x0
	scratch_store_b128 v8, v[4:7], off offset:-16
.LBB118_352:
	v_mov_b32_e32 v0, 0
	global_load_b32 v1, v0, s[2:3] offset:196
	s_wait_loadcnt 0x0
	v_cmp_eq_u32_e32 vcc_lo, 50, v1
	s_cbranch_vccnz .LBB118_354
; %bb.353:
	v_lshlrev_b32_e32 v1, 4, v1
	s_delay_alu instid0(VALU_DEP_1)
	v_add_nc_u32_e32 v9, 16, v1
	s_clause 0x1
	scratch_load_b128 v[1:4], v9, off offset:-16
	scratch_load_b128 v[5:8], off, s18
	s_wait_loadcnt 0x1
	scratch_store_b128 off, v[1:4], s18
	s_wait_loadcnt 0x0
	scratch_store_b128 v9, v[5:8], off offset:-16
.LBB118_354:
	;; [unrolled: 33-line block ×26, first 2 shown]
	global_load_b32 v0, v0, s[2:3]
	s_wait_loadcnt 0x0
	v_cmp_eq_u32_e32 vcc_lo, 1, v0
	s_cbranch_vccnz .LBB118_452
; %bb.451:
	v_lshlrev_b32_e32 v0, 4, v0
	s_delay_alu instid0(VALU_DEP_1)
	v_add_nc_u32_e32 v8, 16, v0
	scratch_load_b128 v[0:3], v8, off offset:-16
	scratch_load_b128 v[4:7], off, off offset:16
	s_wait_loadcnt 0x1
	scratch_store_b128 off, v[0:3], off offset:16
	s_wait_loadcnt 0x0
	scratch_store_b128 v8, v[4:7], off offset:-16
.LBB118_452:
	scratch_load_b128 v[0:3], off, off offset:16
	s_wait_loadcnt 0x0
	flat_store_b128 v[46:47], v[0:3]
	scratch_load_b128 v[0:3], off, s15
	s_wait_loadcnt 0x0
	flat_store_b128 v[48:49], v[0:3]
	scratch_load_b128 v[0:3], off, s13
	;; [unrolled: 3-line block ×54, first 2 shown]
	s_wait_loadcnt 0x0
	flat_store_b128 v[154:155], v[0:3]
	s_nop 0
	s_sendmsg sendmsg(MSG_DEALLOC_VGPRS)
	s_endpgm
	.section	.rodata,"a",@progbits
	.p2align	6, 0x0
	.amdhsa_kernel _ZN9rocsolver6v33100L18getri_kernel_smallILi55E19rocblas_complex_numIdEPKPS3_EEvT1_iilPiilS8_bb
		.amdhsa_group_segment_fixed_size 1768
		.amdhsa_private_segment_fixed_size 912
		.amdhsa_kernarg_size 60
		.amdhsa_user_sgpr_count 2
		.amdhsa_user_sgpr_dispatch_ptr 0
		.amdhsa_user_sgpr_queue_ptr 0
		.amdhsa_user_sgpr_kernarg_segment_ptr 1
		.amdhsa_user_sgpr_dispatch_id 0
		.amdhsa_user_sgpr_private_segment_size 0
		.amdhsa_wavefront_size32 1
		.amdhsa_uses_dynamic_stack 0
		.amdhsa_enable_private_segment 1
		.amdhsa_system_sgpr_workgroup_id_x 1
		.amdhsa_system_sgpr_workgroup_id_y 0
		.amdhsa_system_sgpr_workgroup_id_z 0
		.amdhsa_system_sgpr_workgroup_info 0
		.amdhsa_system_vgpr_workitem_id 0
		.amdhsa_next_free_vgpr 183
		.amdhsa_next_free_sgpr 89
		.amdhsa_reserve_vcc 1
		.amdhsa_float_round_mode_32 0
		.amdhsa_float_round_mode_16_64 0
		.amdhsa_float_denorm_mode_32 3
		.amdhsa_float_denorm_mode_16_64 3
		.amdhsa_fp16_overflow 0
		.amdhsa_workgroup_processor_mode 1
		.amdhsa_memory_ordered 1
		.amdhsa_forward_progress 1
		.amdhsa_inst_pref_size 255
		.amdhsa_round_robin_scheduling 0
		.amdhsa_exception_fp_ieee_invalid_op 0
		.amdhsa_exception_fp_denorm_src 0
		.amdhsa_exception_fp_ieee_div_zero 0
		.amdhsa_exception_fp_ieee_overflow 0
		.amdhsa_exception_fp_ieee_underflow 0
		.amdhsa_exception_fp_ieee_inexact 0
		.amdhsa_exception_int_div_zero 0
	.end_amdhsa_kernel
	.section	.text._ZN9rocsolver6v33100L18getri_kernel_smallILi55E19rocblas_complex_numIdEPKPS3_EEvT1_iilPiilS8_bb,"axG",@progbits,_ZN9rocsolver6v33100L18getri_kernel_smallILi55E19rocblas_complex_numIdEPKPS3_EEvT1_iilPiilS8_bb,comdat
.Lfunc_end118:
	.size	_ZN9rocsolver6v33100L18getri_kernel_smallILi55E19rocblas_complex_numIdEPKPS3_EEvT1_iilPiilS8_bb, .Lfunc_end118-_ZN9rocsolver6v33100L18getri_kernel_smallILi55E19rocblas_complex_numIdEPKPS3_EEvT1_iilPiilS8_bb
                                        ; -- End function
	.set _ZN9rocsolver6v33100L18getri_kernel_smallILi55E19rocblas_complex_numIdEPKPS3_EEvT1_iilPiilS8_bb.num_vgpr, 183
	.set _ZN9rocsolver6v33100L18getri_kernel_smallILi55E19rocblas_complex_numIdEPKPS3_EEvT1_iilPiilS8_bb.num_agpr, 0
	.set _ZN9rocsolver6v33100L18getri_kernel_smallILi55E19rocblas_complex_numIdEPKPS3_EEvT1_iilPiilS8_bb.numbered_sgpr, 89
	.set _ZN9rocsolver6v33100L18getri_kernel_smallILi55E19rocblas_complex_numIdEPKPS3_EEvT1_iilPiilS8_bb.num_named_barrier, 0
	.set _ZN9rocsolver6v33100L18getri_kernel_smallILi55E19rocblas_complex_numIdEPKPS3_EEvT1_iilPiilS8_bb.private_seg_size, 912
	.set _ZN9rocsolver6v33100L18getri_kernel_smallILi55E19rocblas_complex_numIdEPKPS3_EEvT1_iilPiilS8_bb.uses_vcc, 1
	.set _ZN9rocsolver6v33100L18getri_kernel_smallILi55E19rocblas_complex_numIdEPKPS3_EEvT1_iilPiilS8_bb.uses_flat_scratch, 1
	.set _ZN9rocsolver6v33100L18getri_kernel_smallILi55E19rocblas_complex_numIdEPKPS3_EEvT1_iilPiilS8_bb.has_dyn_sized_stack, 0
	.set _ZN9rocsolver6v33100L18getri_kernel_smallILi55E19rocblas_complex_numIdEPKPS3_EEvT1_iilPiilS8_bb.has_recursion, 0
	.set _ZN9rocsolver6v33100L18getri_kernel_smallILi55E19rocblas_complex_numIdEPKPS3_EEvT1_iilPiilS8_bb.has_indirect_call, 0
	.section	.AMDGPU.csdata,"",@progbits
; Kernel info:
; codeLenInByte = 120208
; TotalNumSgprs: 91
; NumVgprs: 183
; ScratchSize: 912
; MemoryBound: 0
; FloatMode: 240
; IeeeMode: 1
; LDSByteSize: 1768 bytes/workgroup (compile time only)
; SGPRBlocks: 0
; VGPRBlocks: 22
; NumSGPRsForWavesPerEU: 91
; NumVGPRsForWavesPerEU: 183
; Occupancy: 8
; WaveLimiterHint : 1
; COMPUTE_PGM_RSRC2:SCRATCH_EN: 1
; COMPUTE_PGM_RSRC2:USER_SGPR: 2
; COMPUTE_PGM_RSRC2:TRAP_HANDLER: 0
; COMPUTE_PGM_RSRC2:TGID_X_EN: 1
; COMPUTE_PGM_RSRC2:TGID_Y_EN: 0
; COMPUTE_PGM_RSRC2:TGID_Z_EN: 0
; COMPUTE_PGM_RSRC2:TIDIG_COMP_CNT: 0
	.section	.text._ZN9rocsolver6v33100L18getri_kernel_smallILi56E19rocblas_complex_numIdEPKPS3_EEvT1_iilPiilS8_bb,"axG",@progbits,_ZN9rocsolver6v33100L18getri_kernel_smallILi56E19rocblas_complex_numIdEPKPS3_EEvT1_iilPiilS8_bb,comdat
	.globl	_ZN9rocsolver6v33100L18getri_kernel_smallILi56E19rocblas_complex_numIdEPKPS3_EEvT1_iilPiilS8_bb ; -- Begin function _ZN9rocsolver6v33100L18getri_kernel_smallILi56E19rocblas_complex_numIdEPKPS3_EEvT1_iilPiilS8_bb
	.p2align	8
	.type	_ZN9rocsolver6v33100L18getri_kernel_smallILi56E19rocblas_complex_numIdEPKPS3_EEvT1_iilPiilS8_bb,@function
_ZN9rocsolver6v33100L18getri_kernel_smallILi56E19rocblas_complex_numIdEPKPS3_EEvT1_iilPiilS8_bb: ; @_ZN9rocsolver6v33100L18getri_kernel_smallILi56E19rocblas_complex_numIdEPKPS3_EEvT1_iilPiilS8_bb
; %bb.0:
	s_mov_b32 s2, exec_lo
	v_cmpx_gt_u32_e32 56, v0
	s_cbranch_execz .LBB119_238
; %bb.1:
	s_clause 0x1
	s_load_b32 s13, s[0:1], 0x38
	s_load_b64 s[2:3], s[0:1], 0x0
	s_mov_b32 s8, ttmp9
	s_load_b128 s[4:7], s[0:1], 0x28
	s_wait_kmcnt 0x0
	s_bitcmp1_b32 s13, 8
	s_cselect_b32 s12, -1, 0
	s_ashr_i32 s9, ttmp9, 31
	s_delay_alu instid0(SALU_CYCLE_1) | instskip(NEXT) | instid1(SALU_CYCLE_1)
	s_lshl_b64 s[10:11], s[8:9], 3
	s_add_nc_u64 s[2:3], s[2:3], s[10:11]
	s_load_b64 s[10:11], s[2:3], 0x0
	s_bfe_u32 s2, s13, 0x10008
	s_delay_alu instid0(SALU_CYCLE_1)
	s_cmp_eq_u32 s2, 0
                                        ; implicit-def: $sgpr2_sgpr3
	s_cbranch_scc1 .LBB119_3
; %bb.2:
	s_load_b96 s[16:18], s[0:1], 0x18
	s_mul_u64 s[2:3], s[4:5], s[8:9]
	s_delay_alu instid0(SALU_CYCLE_1)
	s_lshl_b64 s[2:3], s[2:3], 2
	s_wait_kmcnt 0x0
	s_ashr_i32 s5, s18, 31
	s_mov_b32 s4, s18
	s_add_nc_u64 s[2:3], s[16:17], s[2:3]
	s_lshl_b64 s[4:5], s[4:5], 2
	s_delay_alu instid0(SALU_CYCLE_1)
	s_add_nc_u64 s[2:3], s[2:3], s[4:5]
.LBB119_3:
	s_clause 0x1
	s_load_b64 s[4:5], s[0:1], 0x8
	s_load_b32 s65, s[0:1], 0x38
	v_lshlrev_b32_e32 v13, 4, v0
	s_movk_i32 s14, 0x90
	s_movk_i32 s16, 0xa0
	;; [unrolled: 1-line block ×17, first 2 shown]
	s_wait_kmcnt 0x0
	s_ashr_i32 s1, s4, 31
	s_mov_b32 s0, s4
	v_add3_u32 v5, s5, s5, v0
	s_lshl_b64 s[0:1], s[0:1], 4
	s_movk_i32 s33, 0x1a0
	s_add_nc_u64 s[0:1], s[10:11], s[0:1]
	s_ashr_i32 s11, s5, 31
	v_add_co_u32 v46, s4, s0, v13
	s_wait_alu 0xf1ff
	v_add_co_ci_u32_e64 v47, null, s1, 0, s4
	s_mov_b32 s10, s5
	v_ashrrev_i32_e32 v6, 31, v5
	s_lshl_b64 s[10:11], s[10:11], 4
	flat_load_b128 v[1:4], v[46:47]
	v_add_co_u32 v48, vcc_lo, v46, s10
	s_delay_alu instid0(VALU_DEP_1)
	v_add_co_ci_u32_e64 v49, null, s11, v47, vcc_lo
	v_lshlrev_b64_e32 v[6:7], 4, v[5:6]
	v_add_nc_u32_e32 v5, s5, v5
	s_movk_i32 s11, 0x80
	s_movk_i32 s34, 0x1b0
	s_movk_i32 s35, 0x1c0
	s_movk_i32 s36, 0x1d0
	v_add_co_u32 v50, vcc_lo, s0, v6
	s_wait_alu 0xfffd
	v_add_co_ci_u32_e64 v51, null, s1, v7, vcc_lo
	v_ashrrev_i32_e32 v6, 31, v5
	s_movk_i32 s37, 0x1e0
	s_movk_i32 s38, 0x1f0
	s_movk_i32 s66, 0x200
	s_movk_i32 s67, 0x210
	v_lshlrev_b64_e32 v[6:7], 4, v[5:6]
	v_add_nc_u32_e32 v5, s5, v5
	s_movk_i32 s68, 0x220
	s_movk_i32 s69, 0x230
	s_movk_i32 s70, 0x240
	s_movk_i32 s71, 0x250
	v_add_co_u32 v52, vcc_lo, s0, v6
	s_wait_alu 0xfffd
	v_add_co_ci_u32_e64 v53, null, s1, v7, vcc_lo
	v_ashrrev_i32_e32 v6, 31, v5
	s_movk_i32 s72, 0x260
	s_movk_i32 s73, 0x270
	s_movk_i32 s74, 0x280
	s_movk_i32 s75, 0x290
	;; [unrolled: 14-line block ×3, first 2 shown]
	v_lshlrev_b64_e32 v[6:7], 4, v[5:6]
	v_add_nc_u32_e32 v5, s5, v5
	s_movk_i32 s84, 0x320
	s_movk_i32 s85, 0x330
	;; [unrolled: 1-line block ×4, first 2 shown]
	v_add_co_u32 v56, vcc_lo, s0, v6
	s_wait_alu 0xfffd
	v_add_co_ci_u32_e64 v57, null, s1, v7, vcc_lo
	v_ashrrev_i32_e32 v6, 31, v5
	s_movk_i32 s88, 0x360
	s_movk_i32 s89, 0x370
	s_wait_alu 0xfffe
	s_add_co_i32 s61, s11, 16
	s_add_co_i32 s60, s14, 16
	v_lshlrev_b64_e32 v[6:7], 4, v[5:6]
	v_add_nc_u32_e32 v5, s5, v5
	s_add_co_i32 s59, s16, 16
	s_add_co_i32 s58, s17, 16
	s_add_co_i32 s57, s18, 16
	s_add_co_i32 s56, s19, 16
	v_add_co_u32 v58, vcc_lo, s0, v6
	s_wait_alu 0xfffd
	v_add_co_ci_u32_e64 v59, null, s1, v7, vcc_lo
	v_ashrrev_i32_e32 v6, 31, v5
	s_add_co_i32 s55, s20, 16
	s_add_co_i32 s54, s21, 16
	s_add_co_i32 s53, s22, 16
	s_add_co_i32 s52, s23, 16
	v_lshlrev_b64_e32 v[6:7], 4, v[5:6]
	v_add_nc_u32_e32 v5, s5, v5
	s_add_co_i32 s51, s24, 16
	s_add_co_i32 s50, s25, 16
	s_add_co_i32 s49, s26, 16
	s_add_co_i32 s48, s27, 16
	v_add_co_u32 v60, vcc_lo, s0, v6
	s_wait_alu 0xfffd
	v_add_co_ci_u32_e64 v61, null, s1, v7, vcc_lo
	v_ashrrev_i32_e32 v6, 31, v5
	s_add_co_i32 s47, s28, 16
	s_add_co_i32 s46, s29, 16
	;; [unrolled: 14-line block ×5, first 2 shown]
	s_add_co_i32 s20, s82, 16
	s_add_co_i32 s19, s83, 16
	v_lshlrev_b64_e32 v[6:7], 4, v[5:6]
	v_add_nc_u32_e32 v5, s5, v5
	s_add_co_i32 s18, s84, 16
	s_add_co_i32 s17, s85, 16
	;; [unrolled: 1-line block ×4, first 2 shown]
	v_add_co_u32 v68, vcc_lo, s0, v6
	s_wait_alu 0xfffd
	v_add_co_ci_u32_e64 v69, null, s1, v7, vcc_lo
	v_ashrrev_i32_e32 v6, 31, v5
	s_add_co_i32 s11, s88, 16
	s_mov_b32 s15, 32
	s_mov_b32 s13, 48
	;; [unrolled: 1-line block ×3, first 2 shown]
	v_lshlrev_b64_e32 v[6:7], 4, v[5:6]
	v_add_nc_u32_e32 v5, s5, v5
	s_movk_i32 s4, 0x50
	s_delay_alu instid0(VALU_DEP_2) | instskip(SKIP_1) | instid1(VALU_DEP_3)
	v_add_co_u32 v70, vcc_lo, s0, v6
	s_wait_alu 0xfffd
	v_add_co_ci_u32_e64 v71, null, s1, v7, vcc_lo
	v_ashrrev_i32_e32 v6, 31, v5
	s_delay_alu instid0(VALU_DEP_1) | instskip(SKIP_1) | instid1(VALU_DEP_2)
	v_lshlrev_b64_e32 v[6:7], 4, v[5:6]
	v_add_nc_u32_e32 v5, s5, v5
	v_add_co_u32 v72, vcc_lo, s0, v6
	s_wait_alu 0xfffd
	s_delay_alu instid0(VALU_DEP_3) | instskip(NEXT) | instid1(VALU_DEP_3)
	v_add_co_ci_u32_e64 v73, null, s1, v7, vcc_lo
	v_ashrrev_i32_e32 v6, 31, v5
	s_delay_alu instid0(VALU_DEP_1) | instskip(SKIP_1) | instid1(VALU_DEP_2)
	v_lshlrev_b64_e32 v[6:7], 4, v[5:6]
	v_add_nc_u32_e32 v5, s5, v5
	v_add_co_u32 v74, vcc_lo, s0, v6
	s_wait_alu 0xfffd
	s_delay_alu instid0(VALU_DEP_3) | instskip(NEXT) | instid1(VALU_DEP_3)
	;; [unrolled: 8-line block ×10, first 2 shown]
	v_add_co_ci_u32_e64 v91, null, s1, v7, vcc_lo
	v_ashrrev_i32_e32 v6, 31, v5
	s_delay_alu instid0(VALU_DEP_1)
	v_lshlrev_b64_e32 v[6:7], 4, v[5:6]
	s_wait_loadcnt_dscnt 0x0
	scratch_store_b128 off, v[1:4], off offset:16
	flat_load_b128 v[1:4], v[48:49]
	v_add_nc_u32_e32 v5, s5, v5
	v_add_co_u32 v92, vcc_lo, s0, v6
	s_wait_alu 0xfffd
	v_add_co_ci_u32_e64 v93, null, s1, v7, vcc_lo
	s_delay_alu instid0(VALU_DEP_3) | instskip(NEXT) | instid1(VALU_DEP_1)
	v_ashrrev_i32_e32 v6, 31, v5
	v_lshlrev_b64_e32 v[6:7], 4, v[5:6]
	v_add_nc_u32_e32 v5, s5, v5
	s_delay_alu instid0(VALU_DEP_2) | instskip(SKIP_1) | instid1(VALU_DEP_3)
	v_add_co_u32 v94, vcc_lo, s0, v6
	s_wait_alu 0xfffd
	v_add_co_ci_u32_e64 v95, null, s1, v7, vcc_lo
	s_delay_alu instid0(VALU_DEP_3) | instskip(NEXT) | instid1(VALU_DEP_1)
	v_ashrrev_i32_e32 v6, 31, v5
	v_lshlrev_b64_e32 v[6:7], 4, v[5:6]
	v_add_nc_u32_e32 v5, s5, v5
	s_delay_alu instid0(VALU_DEP_2) | instskip(SKIP_1) | instid1(VALU_DEP_3)
	;; [unrolled: 8-line block ×20, first 2 shown]
	v_add_co_u32 v132, vcc_lo, s0, v6
	s_wait_alu 0xfffd
	v_add_co_ci_u32_e64 v133, null, s1, v7, vcc_lo
	s_delay_alu instid0(VALU_DEP_3) | instskip(NEXT) | instid1(VALU_DEP_1)
	v_ashrrev_i32_e32 v6, 31, v5
	v_lshlrev_b64_e32 v[6:7], 4, v[5:6]
	v_add_nc_u32_e32 v5, s5, v5
	s_delay_alu instid0(VALU_DEP_2)
	v_add_co_u32 v134, vcc_lo, s0, v6
	s_wait_loadcnt_dscnt 0x0
	scratch_store_b128 off, v[1:4], off offset:32
	flat_load_b128 v[1:4], v[50:51]
	s_wait_alu 0xfffd
	v_add_co_ci_u32_e64 v135, null, s1, v7, vcc_lo
	v_ashrrev_i32_e32 v6, 31, v5
	s_delay_alu instid0(VALU_DEP_1) | instskip(SKIP_1) | instid1(VALU_DEP_2)
	v_lshlrev_b64_e32 v[6:7], 4, v[5:6]
	v_add_nc_u32_e32 v5, s5, v5
	v_add_co_u32 v136, vcc_lo, s0, v6
	s_wait_alu 0xfffd
	s_delay_alu instid0(VALU_DEP_3) | instskip(NEXT) | instid1(VALU_DEP_3)
	v_add_co_ci_u32_e64 v137, null, s1, v7, vcc_lo
	v_ashrrev_i32_e32 v6, 31, v5
	s_delay_alu instid0(VALU_DEP_1) | instskip(SKIP_1) | instid1(VALU_DEP_2)
	v_lshlrev_b64_e32 v[6:7], 4, v[5:6]
	v_add_nc_u32_e32 v5, s5, v5
	v_add_co_u32 v138, vcc_lo, s0, v6
	s_wait_alu 0xfffd
	s_delay_alu instid0(VALU_DEP_3) | instskip(NEXT) | instid1(VALU_DEP_3)
	;; [unrolled: 8-line block ×9, first 2 shown]
	v_add_co_ci_u32_e64 v153, null, s1, v7, vcc_lo
	v_ashrrev_i32_e32 v6, 31, v5
	s_delay_alu instid0(VALU_DEP_1)
	v_lshlrev_b64_e32 v[6:7], 4, v[5:6]
	v_add_nc_u32_e32 v5, s5, v5
	s_movk_i32 s5, 0x70
	s_wait_alu 0xfffe
	s_add_co_i32 s62, s5, 16
	s_add_co_i32 s5, s89, 16
	v_add_co_u32 v154, vcc_lo, s0, v6
	s_wait_alu 0xfffd
	v_add_co_ci_u32_e64 v155, null, s1, v7, vcc_lo
	v_ashrrev_i32_e32 v6, 31, v5
	s_delay_alu instid0(VALU_DEP_1) | instskip(NEXT) | instid1(VALU_DEP_1)
	v_lshlrev_b64_e32 v[5:6], 4, v[5:6]
	v_add_co_u32 v156, vcc_lo, s0, v5
	s_wait_alu 0xfffd
	s_delay_alu instid0(VALU_DEP_2)
	v_add_co_ci_u32_e64 v157, null, s1, v6, vcc_lo
	s_movk_i32 s0, 0x50
	s_movk_i32 s1, 0x60
	s_wait_alu 0xfffe
	s_add_co_i32 s64, s0, 16
	s_add_co_i32 s63, s1, 16
	s_bitcmp0_b32 s65, 0
	s_mov_b32 s1, -1
	s_wait_loadcnt_dscnt 0x0
	scratch_store_b128 off, v[1:4], off offset:48
	flat_load_b128 v[1:4], v[52:53]
	s_wait_loadcnt_dscnt 0x0
	scratch_store_b128 off, v[1:4], off offset:64
	flat_load_b128 v[1:4], v[54:55]
	;; [unrolled: 3-line block ×53, first 2 shown]
	s_wait_loadcnt_dscnt 0x0
	scratch_store_b128 off, v[1:4], off offset:896
	s_cbranch_scc1 .LBB119_236
; %bb.4:
	v_cmp_eq_u32_e64 s0, 0, v0
	s_and_saveexec_b32 s1, s0
; %bb.5:
	v_mov_b32_e32 v1, 0
	ds_store_b32 v1, v1 offset:1792
; %bb.6:
	s_wait_alu 0xfffe
	s_or_b32 exec_lo, exec_lo, s1
	s_wait_storecnt_dscnt 0x0
	s_barrier_signal -1
	s_barrier_wait -1
	global_inv scope:SCOPE_SE
	scratch_load_b128 v[1:4], v13, off offset:16
	s_wait_loadcnt 0x0
	v_cmp_eq_f64_e32 vcc_lo, 0, v[1:2]
	v_cmp_eq_f64_e64 s1, 0, v[3:4]
	s_and_b32 s1, vcc_lo, s1
	s_wait_alu 0xfffe
	s_and_saveexec_b32 s65, s1
	s_cbranch_execz .LBB119_10
; %bb.7:
	v_mov_b32_e32 v1, 0
	s_mov_b32 s66, 0
	ds_load_b32 v2, v1 offset:1792
	s_wait_dscnt 0x0
	v_readfirstlane_b32 s1, v2
	v_add_nc_u32_e32 v2, 1, v0
	s_cmp_eq_u32 s1, 0
	s_delay_alu instid0(VALU_DEP_1) | instskip(SKIP_1) | instid1(SALU_CYCLE_1)
	v_cmp_gt_i32_e32 vcc_lo, s1, v2
	s_cselect_b32 s67, -1, 0
	s_or_b32 s67, s67, vcc_lo
	s_delay_alu instid0(SALU_CYCLE_1)
	s_and_b32 exec_lo, exec_lo, s67
	s_cbranch_execz .LBB119_10
; %bb.8:
	v_mov_b32_e32 v3, s1
.LBB119_9:                              ; =>This Inner Loop Header: Depth=1
	ds_cmpstore_rtn_b32 v3, v1, v2, v3 offset:1792
	s_wait_dscnt 0x0
	v_cmp_ne_u32_e32 vcc_lo, 0, v3
	v_cmp_le_i32_e64 s1, v3, v2
	s_and_b32 s1, vcc_lo, s1
	s_wait_alu 0xfffe
	s_and_b32 s1, exec_lo, s1
	s_wait_alu 0xfffe
	s_or_b32 s66, s1, s66
	s_delay_alu instid0(SALU_CYCLE_1)
	s_and_not1_b32 exec_lo, exec_lo, s66
	s_cbranch_execnz .LBB119_9
.LBB119_10:
	s_or_b32 exec_lo, exec_lo, s65
	v_mov_b32_e32 v1, 0
	s_barrier_signal -1
	s_barrier_wait -1
	global_inv scope:SCOPE_SE
	ds_load_b32 v2, v1 offset:1792
	s_and_saveexec_b32 s1, s0
	s_cbranch_execz .LBB119_12
; %bb.11:
	s_lshl_b64 s[66:67], s[8:9], 2
	s_delay_alu instid0(SALU_CYCLE_1)
	s_add_nc_u64 s[66:67], s[6:7], s[66:67]
	s_wait_dscnt 0x0
	global_store_b32 v1, v2, s[66:67]
.LBB119_12:
	s_wait_alu 0xfffe
	s_or_b32 exec_lo, exec_lo, s1
	s_wait_dscnt 0x0
	v_cmp_ne_u32_e32 vcc_lo, 0, v2
	s_mov_b32 s1, 0
	s_cbranch_vccnz .LBB119_236
; %bb.13:
	v_add_nc_u32_e32 v14, 16, v13
                                        ; implicit-def: $vgpr1_vgpr2
                                        ; implicit-def: $vgpr9_vgpr10
	scratch_load_b128 v[5:8], v14, off
	s_wait_loadcnt 0x0
	v_cmp_ngt_f64_e64 s1, |v[5:6]|, |v[7:8]|
	s_wait_alu 0xfffe
	s_and_saveexec_b32 s65, s1
	s_delay_alu instid0(SALU_CYCLE_1)
	s_xor_b32 s1, exec_lo, s65
	s_cbranch_execz .LBB119_15
; %bb.14:
	v_div_scale_f64 v[1:2], null, v[7:8], v[7:8], v[5:6]
	v_div_scale_f64 v[11:12], vcc_lo, v[5:6], v[7:8], v[5:6]
	s_delay_alu instid0(VALU_DEP_2) | instskip(NEXT) | instid1(TRANS32_DEP_1)
	v_rcp_f64_e32 v[3:4], v[1:2]
	v_fma_f64 v[9:10], -v[1:2], v[3:4], 1.0
	s_delay_alu instid0(VALU_DEP_1) | instskip(NEXT) | instid1(VALU_DEP_1)
	v_fma_f64 v[3:4], v[3:4], v[9:10], v[3:4]
	v_fma_f64 v[9:10], -v[1:2], v[3:4], 1.0
	s_delay_alu instid0(VALU_DEP_1) | instskip(NEXT) | instid1(VALU_DEP_1)
	v_fma_f64 v[3:4], v[3:4], v[9:10], v[3:4]
	v_mul_f64_e32 v[9:10], v[11:12], v[3:4]
	s_delay_alu instid0(VALU_DEP_1) | instskip(SKIP_1) | instid1(VALU_DEP_1)
	v_fma_f64 v[1:2], -v[1:2], v[9:10], v[11:12]
	s_wait_alu 0xfffd
	v_div_fmas_f64 v[1:2], v[1:2], v[3:4], v[9:10]
	s_delay_alu instid0(VALU_DEP_1) | instskip(NEXT) | instid1(VALU_DEP_1)
	v_div_fixup_f64 v[1:2], v[1:2], v[7:8], v[5:6]
	v_fma_f64 v[3:4], v[5:6], v[1:2], v[7:8]
	s_delay_alu instid0(VALU_DEP_1) | instskip(SKIP_1) | instid1(VALU_DEP_2)
	v_div_scale_f64 v[5:6], null, v[3:4], v[3:4], 1.0
	v_div_scale_f64 v[11:12], vcc_lo, 1.0, v[3:4], 1.0
	v_rcp_f64_e32 v[7:8], v[5:6]
	s_delay_alu instid0(TRANS32_DEP_1) | instskip(NEXT) | instid1(VALU_DEP_1)
	v_fma_f64 v[9:10], -v[5:6], v[7:8], 1.0
	v_fma_f64 v[7:8], v[7:8], v[9:10], v[7:8]
	s_delay_alu instid0(VALU_DEP_1) | instskip(NEXT) | instid1(VALU_DEP_1)
	v_fma_f64 v[9:10], -v[5:6], v[7:8], 1.0
	v_fma_f64 v[7:8], v[7:8], v[9:10], v[7:8]
	s_delay_alu instid0(VALU_DEP_1) | instskip(NEXT) | instid1(VALU_DEP_1)
	v_mul_f64_e32 v[9:10], v[11:12], v[7:8]
	v_fma_f64 v[5:6], -v[5:6], v[9:10], v[11:12]
	s_wait_alu 0xfffd
	s_delay_alu instid0(VALU_DEP_1) | instskip(NEXT) | instid1(VALU_DEP_1)
	v_div_fmas_f64 v[5:6], v[5:6], v[7:8], v[9:10]
	v_div_fixup_f64 v[3:4], v[5:6], v[3:4], 1.0
                                        ; implicit-def: $vgpr5_vgpr6
	s_delay_alu instid0(VALU_DEP_1) | instskip(SKIP_1) | instid1(VALU_DEP_2)
	v_mul_f64_e32 v[1:2], v[1:2], v[3:4]
	v_xor_b32_e32 v4, 0x80000000, v4
	v_xor_b32_e32 v10, 0x80000000, v2
	s_delay_alu instid0(VALU_DEP_3)
	v_mov_b32_e32 v9, v1
.LBB119_15:
	s_wait_alu 0xfffe
	s_and_not1_saveexec_b32 s1, s1
	s_cbranch_execz .LBB119_17
; %bb.16:
	v_div_scale_f64 v[1:2], null, v[5:6], v[5:6], v[7:8]
	v_div_scale_f64 v[11:12], vcc_lo, v[7:8], v[5:6], v[7:8]
	s_delay_alu instid0(VALU_DEP_2) | instskip(NEXT) | instid1(TRANS32_DEP_1)
	v_rcp_f64_e32 v[3:4], v[1:2]
	v_fma_f64 v[9:10], -v[1:2], v[3:4], 1.0
	s_delay_alu instid0(VALU_DEP_1) | instskip(NEXT) | instid1(VALU_DEP_1)
	v_fma_f64 v[3:4], v[3:4], v[9:10], v[3:4]
	v_fma_f64 v[9:10], -v[1:2], v[3:4], 1.0
	s_delay_alu instid0(VALU_DEP_1) | instskip(NEXT) | instid1(VALU_DEP_1)
	v_fma_f64 v[3:4], v[3:4], v[9:10], v[3:4]
	v_mul_f64_e32 v[9:10], v[11:12], v[3:4]
	s_delay_alu instid0(VALU_DEP_1) | instskip(SKIP_1) | instid1(VALU_DEP_1)
	v_fma_f64 v[1:2], -v[1:2], v[9:10], v[11:12]
	s_wait_alu 0xfffd
	v_div_fmas_f64 v[1:2], v[1:2], v[3:4], v[9:10]
	s_delay_alu instid0(VALU_DEP_1) | instskip(NEXT) | instid1(VALU_DEP_1)
	v_div_fixup_f64 v[3:4], v[1:2], v[5:6], v[7:8]
	v_fma_f64 v[1:2], v[7:8], v[3:4], v[5:6]
	s_delay_alu instid0(VALU_DEP_1) | instskip(NEXT) | instid1(VALU_DEP_1)
	v_div_scale_f64 v[5:6], null, v[1:2], v[1:2], 1.0
	v_rcp_f64_e32 v[7:8], v[5:6]
	s_delay_alu instid0(TRANS32_DEP_1) | instskip(NEXT) | instid1(VALU_DEP_1)
	v_fma_f64 v[9:10], -v[5:6], v[7:8], 1.0
	v_fma_f64 v[7:8], v[7:8], v[9:10], v[7:8]
	s_delay_alu instid0(VALU_DEP_1) | instskip(NEXT) | instid1(VALU_DEP_1)
	v_fma_f64 v[9:10], -v[5:6], v[7:8], 1.0
	v_fma_f64 v[7:8], v[7:8], v[9:10], v[7:8]
	v_div_scale_f64 v[9:10], vcc_lo, 1.0, v[1:2], 1.0
	s_delay_alu instid0(VALU_DEP_1) | instskip(NEXT) | instid1(VALU_DEP_1)
	v_mul_f64_e32 v[11:12], v[9:10], v[7:8]
	v_fma_f64 v[5:6], -v[5:6], v[11:12], v[9:10]
	s_wait_alu 0xfffd
	s_delay_alu instid0(VALU_DEP_1) | instskip(NEXT) | instid1(VALU_DEP_1)
	v_div_fmas_f64 v[5:6], v[5:6], v[7:8], v[11:12]
	v_div_fixup_f64 v[1:2], v[5:6], v[1:2], 1.0
	s_delay_alu instid0(VALU_DEP_1)
	v_mul_f64_e64 v[3:4], v[3:4], -v[1:2]
	v_xor_b32_e32 v10, 0x80000000, v2
	v_mov_b32_e32 v9, v1
.LBB119_17:
	s_wait_alu 0xfffe
	s_or_b32 exec_lo, exec_lo, s1
	scratch_store_b128 v14, v[1:4], off
	scratch_load_b128 v[15:18], off, s15
	v_xor_b32_e32 v12, 0x80000000, v4
	v_mov_b32_e32 v11, v3
	v_add_nc_u32_e32 v5, 0x380, v13
	ds_store_b128 v13, v[9:12]
	s_wait_loadcnt 0x0
	ds_store_b128 v13, v[15:18] offset:896
	s_wait_storecnt_dscnt 0x0
	s_barrier_signal -1
	s_barrier_wait -1
	global_inv scope:SCOPE_SE
	s_and_saveexec_b32 s1, s0
	s_cbranch_execz .LBB119_19
; %bb.18:
	scratch_load_b128 v[1:4], v14, off
	ds_load_b128 v[6:9], v5
	v_mov_b32_e32 v10, 0
	ds_load_b128 v[15:18], v10 offset:16
	s_wait_loadcnt_dscnt 0x1
	v_mul_f64_e32 v[10:11], v[6:7], v[3:4]
	v_mul_f64_e32 v[3:4], v[8:9], v[3:4]
	s_delay_alu instid0(VALU_DEP_2) | instskip(NEXT) | instid1(VALU_DEP_2)
	v_fma_f64 v[8:9], v[8:9], v[1:2], v[10:11]
	v_fma_f64 v[1:2], v[6:7], v[1:2], -v[3:4]
	s_delay_alu instid0(VALU_DEP_2) | instskip(NEXT) | instid1(VALU_DEP_2)
	v_add_f64_e32 v[3:4], 0, v[8:9]
	v_add_f64_e32 v[1:2], 0, v[1:2]
	s_wait_dscnt 0x0
	s_delay_alu instid0(VALU_DEP_2) | instskip(NEXT) | instid1(VALU_DEP_2)
	v_mul_f64_e32 v[6:7], v[3:4], v[17:18]
	v_mul_f64_e32 v[8:9], v[1:2], v[17:18]
	s_delay_alu instid0(VALU_DEP_2) | instskip(NEXT) | instid1(VALU_DEP_2)
	v_fma_f64 v[1:2], v[1:2], v[15:16], -v[6:7]
	v_fma_f64 v[3:4], v[3:4], v[15:16], v[8:9]
	scratch_store_b128 off, v[1:4], off offset:32
.LBB119_19:
	s_wait_alu 0xfffe
	s_or_b32 exec_lo, exec_lo, s1
	s_wait_loadcnt 0x0
	s_wait_storecnt 0x0
	s_barrier_signal -1
	s_barrier_wait -1
	global_inv scope:SCOPE_SE
	scratch_load_b128 v[1:4], off, s13
	s_mov_b32 s1, exec_lo
	s_wait_loadcnt 0x0
	ds_store_b128 v5, v[1:4]
	s_wait_dscnt 0x0
	s_barrier_signal -1
	s_barrier_wait -1
	global_inv scope:SCOPE_SE
	v_cmpx_gt_u32_e32 2, v0
	s_cbranch_execz .LBB119_23
; %bb.20:
	scratch_load_b128 v[1:4], v14, off
	ds_load_b128 v[6:9], v5
	s_wait_loadcnt_dscnt 0x0
	v_mul_f64_e32 v[10:11], v[8:9], v[3:4]
	v_mul_f64_e32 v[3:4], v[6:7], v[3:4]
	s_delay_alu instid0(VALU_DEP_2) | instskip(NEXT) | instid1(VALU_DEP_2)
	v_fma_f64 v[6:7], v[6:7], v[1:2], -v[10:11]
	v_fma_f64 v[3:4], v[8:9], v[1:2], v[3:4]
	s_delay_alu instid0(VALU_DEP_2) | instskip(NEXT) | instid1(VALU_DEP_2)
	v_add_f64_e32 v[1:2], 0, v[6:7]
	v_add_f64_e32 v[3:4], 0, v[3:4]
	s_and_saveexec_b32 s65, s0
	s_cbranch_execz .LBB119_22
; %bb.21:
	scratch_load_b128 v[6:9], off, off offset:32
	v_mov_b32_e32 v10, 0
	ds_load_b128 v[15:18], v10 offset:912
	s_wait_loadcnt_dscnt 0x0
	v_mul_f64_e32 v[10:11], v[15:16], v[8:9]
	v_mul_f64_e32 v[8:9], v[17:18], v[8:9]
	s_delay_alu instid0(VALU_DEP_2) | instskip(NEXT) | instid1(VALU_DEP_2)
	v_fma_f64 v[10:11], v[17:18], v[6:7], v[10:11]
	v_fma_f64 v[6:7], v[15:16], v[6:7], -v[8:9]
	s_delay_alu instid0(VALU_DEP_2) | instskip(NEXT) | instid1(VALU_DEP_2)
	v_add_f64_e32 v[3:4], v[3:4], v[10:11]
	v_add_f64_e32 v[1:2], v[1:2], v[6:7]
.LBB119_22:
	s_or_b32 exec_lo, exec_lo, s65
	v_mov_b32_e32 v6, 0
	ds_load_b128 v[6:9], v6 offset:32
	s_wait_dscnt 0x0
	v_mul_f64_e32 v[10:11], v[3:4], v[8:9]
	v_mul_f64_e32 v[8:9], v[1:2], v[8:9]
	s_delay_alu instid0(VALU_DEP_2) | instskip(NEXT) | instid1(VALU_DEP_2)
	v_fma_f64 v[1:2], v[1:2], v[6:7], -v[10:11]
	v_fma_f64 v[3:4], v[3:4], v[6:7], v[8:9]
	scratch_store_b128 off, v[1:4], off offset:48
.LBB119_23:
	s_wait_alu 0xfffe
	s_or_b32 exec_lo, exec_lo, s1
	s_wait_loadcnt 0x0
	s_wait_storecnt 0x0
	s_barrier_signal -1
	s_barrier_wait -1
	global_inv scope:SCOPE_SE
	scratch_load_b128 v[1:4], off, s10
	v_add_nc_u32_e32 v6, -1, v0
	s_mov_b32 s0, exec_lo
	s_wait_loadcnt 0x0
	ds_store_b128 v5, v[1:4]
	s_wait_dscnt 0x0
	s_barrier_signal -1
	s_barrier_wait -1
	global_inv scope:SCOPE_SE
	v_cmpx_gt_u32_e32 3, v0
	s_cbranch_execz .LBB119_27
; %bb.24:
	v_dual_mov_b32 v1, 0 :: v_dual_add_nc_u32 v8, 0x380, v13
	v_mov_b32_e32 v3, 0
	v_dual_mov_b32 v2, 0 :: v_dual_add_nc_u32 v7, -1, v0
	v_mov_b32_e32 v4, 0
	v_or_b32_e32 v9, 8, v14
	s_mov_b32 s1, 0
.LBB119_25:                             ; =>This Inner Loop Header: Depth=1
	scratch_load_b128 v[15:18], v9, off offset:-8
	ds_load_b128 v[19:22], v8
	v_add_nc_u32_e32 v7, 1, v7
	v_add_nc_u32_e32 v8, 16, v8
	v_add_nc_u32_e32 v9, 16, v9
	s_delay_alu instid0(VALU_DEP_3)
	v_cmp_lt_u32_e32 vcc_lo, 1, v7
	s_wait_alu 0xfffe
	s_or_b32 s1, vcc_lo, s1
	s_wait_loadcnt_dscnt 0x0
	v_mul_f64_e32 v[10:11], v[21:22], v[17:18]
	v_mul_f64_e32 v[17:18], v[19:20], v[17:18]
	s_delay_alu instid0(VALU_DEP_2) | instskip(NEXT) | instid1(VALU_DEP_2)
	v_fma_f64 v[10:11], v[19:20], v[15:16], -v[10:11]
	v_fma_f64 v[15:16], v[21:22], v[15:16], v[17:18]
	s_delay_alu instid0(VALU_DEP_2) | instskip(NEXT) | instid1(VALU_DEP_2)
	v_add_f64_e32 v[3:4], v[3:4], v[10:11]
	v_add_f64_e32 v[1:2], v[1:2], v[15:16]
	s_wait_alu 0xfffe
	s_and_not1_b32 exec_lo, exec_lo, s1
	s_cbranch_execnz .LBB119_25
; %bb.26:
	s_or_b32 exec_lo, exec_lo, s1
	v_mov_b32_e32 v7, 0
	ds_load_b128 v[7:10], v7 offset:48
	s_wait_dscnt 0x0
	v_mul_f64_e32 v[11:12], v[1:2], v[9:10]
	v_mul_f64_e32 v[15:16], v[3:4], v[9:10]
	s_delay_alu instid0(VALU_DEP_2) | instskip(NEXT) | instid1(VALU_DEP_2)
	v_fma_f64 v[9:10], v[3:4], v[7:8], -v[11:12]
	v_fma_f64 v[11:12], v[1:2], v[7:8], v[15:16]
	scratch_store_b128 off, v[9:12], off offset:64
.LBB119_27:
	s_wait_alu 0xfffe
	s_or_b32 exec_lo, exec_lo, s0
	s_wait_loadcnt 0x0
	s_wait_storecnt 0x0
	s_barrier_signal -1
	s_barrier_wait -1
	global_inv scope:SCOPE_SE
	scratch_load_b128 v[1:4], off, s4
	s_mov_b32 s0, exec_lo
	s_wait_loadcnt 0x0
	ds_store_b128 v5, v[1:4]
	s_wait_dscnt 0x0
	s_barrier_signal -1
	s_barrier_wait -1
	global_inv scope:SCOPE_SE
	v_cmpx_gt_u32_e32 4, v0
	s_cbranch_execz .LBB119_31
; %bb.28:
	v_dual_mov_b32 v1, 0 :: v_dual_add_nc_u32 v8, 0x380, v13
	v_mov_b32_e32 v3, 0
	v_dual_mov_b32 v2, 0 :: v_dual_add_nc_u32 v7, -1, v0
	v_mov_b32_e32 v4, 0
	v_or_b32_e32 v9, 8, v14
	s_mov_b32 s1, 0
.LBB119_29:                             ; =>This Inner Loop Header: Depth=1
	scratch_load_b128 v[15:18], v9, off offset:-8
	ds_load_b128 v[19:22], v8
	v_add_nc_u32_e32 v7, 1, v7
	v_add_nc_u32_e32 v8, 16, v8
	v_add_nc_u32_e32 v9, 16, v9
	s_delay_alu instid0(VALU_DEP_3)
	v_cmp_lt_u32_e32 vcc_lo, 2, v7
	s_wait_alu 0xfffe
	s_or_b32 s1, vcc_lo, s1
	s_wait_loadcnt_dscnt 0x0
	v_mul_f64_e32 v[10:11], v[21:22], v[17:18]
	v_mul_f64_e32 v[17:18], v[19:20], v[17:18]
	s_delay_alu instid0(VALU_DEP_2) | instskip(NEXT) | instid1(VALU_DEP_2)
	v_fma_f64 v[10:11], v[19:20], v[15:16], -v[10:11]
	v_fma_f64 v[15:16], v[21:22], v[15:16], v[17:18]
	s_delay_alu instid0(VALU_DEP_2) | instskip(NEXT) | instid1(VALU_DEP_2)
	v_add_f64_e32 v[3:4], v[3:4], v[10:11]
	v_add_f64_e32 v[1:2], v[1:2], v[15:16]
	s_wait_alu 0xfffe
	s_and_not1_b32 exec_lo, exec_lo, s1
	s_cbranch_execnz .LBB119_29
; %bb.30:
	s_or_b32 exec_lo, exec_lo, s1
	v_mov_b32_e32 v7, 0
	ds_load_b128 v[7:10], v7 offset:64
	s_wait_dscnt 0x0
	v_mul_f64_e32 v[11:12], v[1:2], v[9:10]
	v_mul_f64_e32 v[15:16], v[3:4], v[9:10]
	s_delay_alu instid0(VALU_DEP_2) | instskip(NEXT) | instid1(VALU_DEP_2)
	v_fma_f64 v[9:10], v[3:4], v[7:8], -v[11:12]
	v_fma_f64 v[11:12], v[1:2], v[7:8], v[15:16]
	scratch_store_b128 off, v[9:12], off offset:80
.LBB119_31:
	s_wait_alu 0xfffe
	s_or_b32 exec_lo, exec_lo, s0
	s_wait_loadcnt 0x0
	s_wait_storecnt 0x0
	s_barrier_signal -1
	s_barrier_wait -1
	global_inv scope:SCOPE_SE
	scratch_load_b128 v[1:4], off, s64
	;; [unrolled: 58-line block ×19, first 2 shown]
	s_mov_b32 s0, exec_lo
	s_wait_loadcnt 0x0
	ds_store_b128 v5, v[1:4]
	s_wait_dscnt 0x0
	s_barrier_signal -1
	s_barrier_wait -1
	global_inv scope:SCOPE_SE
	v_cmpx_gt_u32_e32 22, v0
	s_cbranch_execz .LBB119_103
; %bb.100:
	v_dual_mov_b32 v1, 0 :: v_dual_add_nc_u32 v8, 0x380, v13
	v_mov_b32_e32 v3, 0
	v_dual_mov_b32 v2, 0 :: v_dual_add_nc_u32 v7, -1, v0
	v_mov_b32_e32 v4, 0
	v_or_b32_e32 v9, 8, v14
	s_mov_b32 s1, 0
.LBB119_101:                            ; =>This Inner Loop Header: Depth=1
	scratch_load_b128 v[15:18], v9, off offset:-8
	ds_load_b128 v[19:22], v8
	v_add_nc_u32_e32 v7, 1, v7
	v_add_nc_u32_e32 v8, 16, v8
	v_add_nc_u32_e32 v9, 16, v9
	s_delay_alu instid0(VALU_DEP_3)
	v_cmp_lt_u32_e32 vcc_lo, 20, v7
	s_wait_alu 0xfffe
	s_or_b32 s1, vcc_lo, s1
	s_wait_loadcnt_dscnt 0x0
	v_mul_f64_e32 v[10:11], v[21:22], v[17:18]
	v_mul_f64_e32 v[17:18], v[19:20], v[17:18]
	s_delay_alu instid0(VALU_DEP_2) | instskip(NEXT) | instid1(VALU_DEP_2)
	v_fma_f64 v[10:11], v[19:20], v[15:16], -v[10:11]
	v_fma_f64 v[15:16], v[21:22], v[15:16], v[17:18]
	s_delay_alu instid0(VALU_DEP_2) | instskip(NEXT) | instid1(VALU_DEP_2)
	v_add_f64_e32 v[3:4], v[3:4], v[10:11]
	v_add_f64_e32 v[1:2], v[1:2], v[15:16]
	s_wait_alu 0xfffe
	s_and_not1_b32 exec_lo, exec_lo, s1
	s_cbranch_execnz .LBB119_101
; %bb.102:
	s_or_b32 exec_lo, exec_lo, s1
	v_mov_b32_e32 v7, 0
	ds_load_b128 v[7:10], v7 offset:352
	s_wait_dscnt 0x0
	v_mul_f64_e32 v[11:12], v[1:2], v[9:10]
	v_mul_f64_e32 v[15:16], v[3:4], v[9:10]
	s_delay_alu instid0(VALU_DEP_2) | instskip(NEXT) | instid1(VALU_DEP_2)
	v_fma_f64 v[9:10], v[3:4], v[7:8], -v[11:12]
	v_fma_f64 v[11:12], v[1:2], v[7:8], v[15:16]
	scratch_store_b128 off, v[9:12], off offset:368
.LBB119_103:
	s_wait_alu 0xfffe
	s_or_b32 exec_lo, exec_lo, s0
	s_wait_loadcnt 0x0
	s_wait_storecnt 0x0
	s_barrier_signal -1
	s_barrier_wait -1
	global_inv scope:SCOPE_SE
	scratch_load_b128 v[1:4], off, s46
	s_mov_b32 s0, exec_lo
	s_wait_loadcnt 0x0
	ds_store_b128 v5, v[1:4]
	s_wait_dscnt 0x0
	s_barrier_signal -1
	s_barrier_wait -1
	global_inv scope:SCOPE_SE
	v_cmpx_gt_u32_e32 23, v0
	s_cbranch_execz .LBB119_107
; %bb.104:
	v_dual_mov_b32 v1, 0 :: v_dual_add_nc_u32 v8, 0x380, v13
	v_mov_b32_e32 v3, 0
	v_dual_mov_b32 v2, 0 :: v_dual_add_nc_u32 v7, -1, v0
	v_mov_b32_e32 v4, 0
	v_or_b32_e32 v9, 8, v14
	s_mov_b32 s1, 0
.LBB119_105:                            ; =>This Inner Loop Header: Depth=1
	scratch_load_b128 v[15:18], v9, off offset:-8
	ds_load_b128 v[19:22], v8
	v_add_nc_u32_e32 v7, 1, v7
	v_add_nc_u32_e32 v8, 16, v8
	v_add_nc_u32_e32 v9, 16, v9
	s_delay_alu instid0(VALU_DEP_3)
	v_cmp_lt_u32_e32 vcc_lo, 21, v7
	s_wait_alu 0xfffe
	s_or_b32 s1, vcc_lo, s1
	s_wait_loadcnt_dscnt 0x0
	v_mul_f64_e32 v[10:11], v[21:22], v[17:18]
	v_mul_f64_e32 v[17:18], v[19:20], v[17:18]
	s_delay_alu instid0(VALU_DEP_2) | instskip(NEXT) | instid1(VALU_DEP_2)
	v_fma_f64 v[10:11], v[19:20], v[15:16], -v[10:11]
	v_fma_f64 v[15:16], v[21:22], v[15:16], v[17:18]
	s_delay_alu instid0(VALU_DEP_2) | instskip(NEXT) | instid1(VALU_DEP_2)
	v_add_f64_e32 v[3:4], v[3:4], v[10:11]
	v_add_f64_e32 v[1:2], v[1:2], v[15:16]
	s_wait_alu 0xfffe
	s_and_not1_b32 exec_lo, exec_lo, s1
	s_cbranch_execnz .LBB119_105
; %bb.106:
	s_or_b32 exec_lo, exec_lo, s1
	v_mov_b32_e32 v7, 0
	ds_load_b128 v[7:10], v7 offset:368
	s_wait_dscnt 0x0
	v_mul_f64_e32 v[11:12], v[1:2], v[9:10]
	v_mul_f64_e32 v[15:16], v[3:4], v[9:10]
	s_delay_alu instid0(VALU_DEP_2) | instskip(NEXT) | instid1(VALU_DEP_2)
	v_fma_f64 v[9:10], v[3:4], v[7:8], -v[11:12]
	v_fma_f64 v[11:12], v[1:2], v[7:8], v[15:16]
	scratch_store_b128 off, v[9:12], off offset:384
.LBB119_107:
	s_wait_alu 0xfffe
	s_or_b32 exec_lo, exec_lo, s0
	s_wait_loadcnt 0x0
	s_wait_storecnt 0x0
	s_barrier_signal -1
	s_barrier_wait -1
	global_inv scope:SCOPE_SE
	scratch_load_b128 v[1:4], off, s45
	;; [unrolled: 58-line block ×33, first 2 shown]
	s_mov_b32 s0, exec_lo
	s_wait_loadcnt 0x0
	ds_store_b128 v5, v[1:4]
	s_wait_dscnt 0x0
	s_barrier_signal -1
	s_barrier_wait -1
	global_inv scope:SCOPE_SE
	v_cmpx_ne_u32_e32 55, v0
	s_cbranch_execz .LBB119_235
; %bb.232:
	v_mov_b32_e32 v1, 0
	v_dual_mov_b32 v2, 0 :: v_dual_mov_b32 v3, 0
	v_mov_b32_e32 v4, 0
	v_or_b32_e32 v7, 8, v14
	s_mov_b32 s1, 0
.LBB119_233:                            ; =>This Inner Loop Header: Depth=1
	scratch_load_b128 v[8:11], v7, off offset:-8
	ds_load_b128 v[12:15], v5
	v_add_nc_u32_e32 v6, 1, v6
	v_add_nc_u32_e32 v5, 16, v5
	v_add_nc_u32_e32 v7, 16, v7
	s_delay_alu instid0(VALU_DEP_3)
	v_cmp_lt_u32_e32 vcc_lo, 53, v6
	s_wait_alu 0xfffe
	s_or_b32 s1, vcc_lo, s1
	s_wait_loadcnt_dscnt 0x0
	v_mul_f64_e32 v[16:17], v[14:15], v[10:11]
	v_mul_f64_e32 v[10:11], v[12:13], v[10:11]
	s_delay_alu instid0(VALU_DEP_2) | instskip(NEXT) | instid1(VALU_DEP_2)
	v_fma_f64 v[12:13], v[12:13], v[8:9], -v[16:17]
	v_fma_f64 v[8:9], v[14:15], v[8:9], v[10:11]
	s_delay_alu instid0(VALU_DEP_2) | instskip(NEXT) | instid1(VALU_DEP_2)
	v_add_f64_e32 v[3:4], v[3:4], v[12:13]
	v_add_f64_e32 v[1:2], v[1:2], v[8:9]
	s_wait_alu 0xfffe
	s_and_not1_b32 exec_lo, exec_lo, s1
	s_cbranch_execnz .LBB119_233
; %bb.234:
	s_or_b32 exec_lo, exec_lo, s1
	v_mov_b32_e32 v5, 0
	ds_load_b128 v[5:8], v5 offset:880
	s_wait_dscnt 0x0
	v_mul_f64_e32 v[9:10], v[1:2], v[7:8]
	v_mul_f64_e32 v[7:8], v[3:4], v[7:8]
	s_delay_alu instid0(VALU_DEP_2) | instskip(NEXT) | instid1(VALU_DEP_2)
	v_fma_f64 v[3:4], v[3:4], v[5:6], -v[9:10]
	v_fma_f64 v[5:6], v[1:2], v[5:6], v[7:8]
	scratch_store_b128 off, v[3:6], off offset:896
.LBB119_235:
	s_wait_alu 0xfffe
	s_or_b32 exec_lo, exec_lo, s0
	s_mov_b32 s1, -1
	s_wait_loadcnt 0x0
	s_wait_storecnt 0x0
	s_barrier_signal -1
	s_barrier_wait -1
	global_inv scope:SCOPE_SE
.LBB119_236:
	s_wait_alu 0xfffe
	s_and_b32 vcc_lo, exec_lo, s1
	s_wait_alu 0xfffe
	s_cbranch_vccz .LBB119_238
; %bb.237:
	v_mov_b32_e32 v1, 0
	s_lshl_b64 s[0:1], s[8:9], 2
	s_wait_alu 0xfffe
	s_add_nc_u64 s[0:1], s[6:7], s[0:1]
	global_load_b32 v1, v1, s[0:1]
	s_wait_loadcnt 0x0
	v_cmp_ne_u32_e32 vcc_lo, 0, v1
	s_cbranch_vccz .LBB119_239
.LBB119_238:
	s_nop 0
	s_sendmsg sendmsg(MSG_DEALLOC_VGPRS)
	s_endpgm
.LBB119_239:
	v_lshl_add_u32 v158, v0, 4, 0x380
	s_mov_b32 s0, exec_lo
	v_cmpx_eq_u32_e32 55, v0
	s_cbranch_execz .LBB119_241
; %bb.240:
	scratch_load_b128 v[1:4], off, s11
	v_mov_b32_e32 v5, 0
	s_delay_alu instid0(VALU_DEP_1)
	v_dual_mov_b32 v6, v5 :: v_dual_mov_b32 v7, v5
	v_mov_b32_e32 v8, v5
	scratch_store_b128 off, v[5:8], off offset:880
	s_wait_loadcnt 0x0
	ds_store_b128 v158, v[1:4]
.LBB119_241:
	s_wait_alu 0xfffe
	s_or_b32 exec_lo, exec_lo, s0
	s_wait_storecnt_dscnt 0x0
	s_barrier_signal -1
	s_barrier_wait -1
	global_inv scope:SCOPE_SE
	s_clause 0x1
	scratch_load_b128 v[2:5], off, off offset:896
	scratch_load_b128 v[6:9], off, off offset:880
	v_mov_b32_e32 v1, 0
	s_mov_b32 s0, exec_lo
	ds_load_b128 v[10:13], v1 offset:1776
	s_wait_loadcnt_dscnt 0x100
	v_mul_f64_e32 v[14:15], v[12:13], v[4:5]
	v_mul_f64_e32 v[4:5], v[10:11], v[4:5]
	s_delay_alu instid0(VALU_DEP_2) | instskip(NEXT) | instid1(VALU_DEP_2)
	v_fma_f64 v[10:11], v[10:11], v[2:3], -v[14:15]
	v_fma_f64 v[2:3], v[12:13], v[2:3], v[4:5]
	s_delay_alu instid0(VALU_DEP_2) | instskip(NEXT) | instid1(VALU_DEP_2)
	v_add_f64_e32 v[4:5], 0, v[10:11]
	v_add_f64_e32 v[10:11], 0, v[2:3]
	s_wait_loadcnt 0x0
	s_delay_alu instid0(VALU_DEP_2) | instskip(NEXT) | instid1(VALU_DEP_2)
	v_add_f64_e64 v[2:3], v[6:7], -v[4:5]
	v_add_f64_e64 v[4:5], v[8:9], -v[10:11]
	scratch_store_b128 off, v[2:5], off offset:880
	v_cmpx_lt_u32_e32 53, v0
	s_cbranch_execz .LBB119_243
; %bb.242:
	scratch_load_b128 v[5:8], off, s14
	v_dual_mov_b32 v2, v1 :: v_dual_mov_b32 v3, v1
	v_mov_b32_e32 v4, v1
	scratch_store_b128 off, v[1:4], off offset:864
	s_wait_loadcnt 0x0
	ds_store_b128 v158, v[5:8]
.LBB119_243:
	s_wait_alu 0xfffe
	s_or_b32 exec_lo, exec_lo, s0
	s_wait_storecnt_dscnt 0x0
	s_barrier_signal -1
	s_barrier_wait -1
	global_inv scope:SCOPE_SE
	s_clause 0x2
	scratch_load_b128 v[2:5], off, off offset:880
	scratch_load_b128 v[6:9], off, off offset:896
	;; [unrolled: 1-line block ×3, first 2 shown]
	ds_load_b128 v[14:17], v1 offset:1760
	ds_load_b128 v[18:21], v1 offset:1776
	s_mov_b32 s0, exec_lo
	s_wait_loadcnt_dscnt 0x201
	v_mul_f64_e32 v[22:23], v[16:17], v[4:5]
	v_mul_f64_e32 v[4:5], v[14:15], v[4:5]
	s_wait_loadcnt_dscnt 0x100
	v_mul_f64_e32 v[24:25], v[18:19], v[8:9]
	v_mul_f64_e32 v[8:9], v[20:21], v[8:9]
	s_delay_alu instid0(VALU_DEP_4) | instskip(NEXT) | instid1(VALU_DEP_4)
	v_fma_f64 v[14:15], v[14:15], v[2:3], -v[22:23]
	v_fma_f64 v[1:2], v[16:17], v[2:3], v[4:5]
	s_delay_alu instid0(VALU_DEP_4) | instskip(NEXT) | instid1(VALU_DEP_4)
	v_fma_f64 v[3:4], v[20:21], v[6:7], v[24:25]
	v_fma_f64 v[5:6], v[18:19], v[6:7], -v[8:9]
	s_delay_alu instid0(VALU_DEP_4) | instskip(NEXT) | instid1(VALU_DEP_4)
	v_add_f64_e32 v[7:8], 0, v[14:15]
	v_add_f64_e32 v[1:2], 0, v[1:2]
	s_delay_alu instid0(VALU_DEP_2) | instskip(NEXT) | instid1(VALU_DEP_2)
	v_add_f64_e32 v[5:6], v[7:8], v[5:6]
	v_add_f64_e32 v[3:4], v[1:2], v[3:4]
	s_wait_loadcnt 0x0
	s_delay_alu instid0(VALU_DEP_2) | instskip(NEXT) | instid1(VALU_DEP_2)
	v_add_f64_e64 v[1:2], v[10:11], -v[5:6]
	v_add_f64_e64 v[3:4], v[12:13], -v[3:4]
	scratch_store_b128 off, v[1:4], off offset:864
	v_cmpx_lt_u32_e32 52, v0
	s_cbranch_execz .LBB119_245
; %bb.244:
	scratch_load_b128 v[1:4], off, s16
	v_mov_b32_e32 v5, 0
	s_delay_alu instid0(VALU_DEP_1)
	v_dual_mov_b32 v6, v5 :: v_dual_mov_b32 v7, v5
	v_mov_b32_e32 v8, v5
	scratch_store_b128 off, v[5:8], off offset:848
	s_wait_loadcnt 0x0
	ds_store_b128 v158, v[1:4]
.LBB119_245:
	s_wait_alu 0xfffe
	s_or_b32 exec_lo, exec_lo, s0
	s_wait_storecnt_dscnt 0x0
	s_barrier_signal -1
	s_barrier_wait -1
	global_inv scope:SCOPE_SE
	s_clause 0x3
	scratch_load_b128 v[2:5], off, off offset:864
	scratch_load_b128 v[6:9], off, off offset:880
	;; [unrolled: 1-line block ×4, first 2 shown]
	v_mov_b32_e32 v1, 0
	ds_load_b128 v[18:21], v1 offset:1744
	ds_load_b128 v[22:25], v1 offset:1760
	s_mov_b32 s0, exec_lo
	s_wait_loadcnt_dscnt 0x301
	v_mul_f64_e32 v[26:27], v[20:21], v[4:5]
	v_mul_f64_e32 v[4:5], v[18:19], v[4:5]
	s_wait_loadcnt_dscnt 0x200
	v_mul_f64_e32 v[28:29], v[22:23], v[8:9]
	v_mul_f64_e32 v[8:9], v[24:25], v[8:9]
	s_delay_alu instid0(VALU_DEP_4) | instskip(NEXT) | instid1(VALU_DEP_4)
	v_fma_f64 v[18:19], v[18:19], v[2:3], -v[26:27]
	v_fma_f64 v[20:21], v[20:21], v[2:3], v[4:5]
	ds_load_b128 v[2:5], v1 offset:1776
	v_fma_f64 v[24:25], v[24:25], v[6:7], v[28:29]
	v_fma_f64 v[6:7], v[22:23], v[6:7], -v[8:9]
	s_wait_loadcnt_dscnt 0x100
	v_mul_f64_e32 v[26:27], v[2:3], v[12:13]
	v_mul_f64_e32 v[12:13], v[4:5], v[12:13]
	v_add_f64_e32 v[8:9], 0, v[18:19]
	v_add_f64_e32 v[18:19], 0, v[20:21]
	s_delay_alu instid0(VALU_DEP_4) | instskip(NEXT) | instid1(VALU_DEP_4)
	v_fma_f64 v[4:5], v[4:5], v[10:11], v[26:27]
	v_fma_f64 v[2:3], v[2:3], v[10:11], -v[12:13]
	s_delay_alu instid0(VALU_DEP_4) | instskip(NEXT) | instid1(VALU_DEP_4)
	v_add_f64_e32 v[6:7], v[8:9], v[6:7]
	v_add_f64_e32 v[8:9], v[18:19], v[24:25]
	s_delay_alu instid0(VALU_DEP_2) | instskip(NEXT) | instid1(VALU_DEP_2)
	v_add_f64_e32 v[2:3], v[6:7], v[2:3]
	v_add_f64_e32 v[4:5], v[8:9], v[4:5]
	s_wait_loadcnt 0x0
	s_delay_alu instid0(VALU_DEP_2) | instskip(NEXT) | instid1(VALU_DEP_2)
	v_add_f64_e64 v[2:3], v[14:15], -v[2:3]
	v_add_f64_e64 v[4:5], v[16:17], -v[4:5]
	scratch_store_b128 off, v[2:5], off offset:848
	v_cmpx_lt_u32_e32 51, v0
	s_cbranch_execz .LBB119_247
; %bb.246:
	scratch_load_b128 v[5:8], off, s17
	v_dual_mov_b32 v2, v1 :: v_dual_mov_b32 v3, v1
	v_mov_b32_e32 v4, v1
	scratch_store_b128 off, v[1:4], off offset:832
	s_wait_loadcnt 0x0
	ds_store_b128 v158, v[5:8]
.LBB119_247:
	s_wait_alu 0xfffe
	s_or_b32 exec_lo, exec_lo, s0
	s_wait_storecnt_dscnt 0x0
	s_barrier_signal -1
	s_barrier_wait -1
	global_inv scope:SCOPE_SE
	s_clause 0x4
	scratch_load_b128 v[2:5], off, off offset:848
	scratch_load_b128 v[6:9], off, off offset:864
	;; [unrolled: 1-line block ×5, first 2 shown]
	ds_load_b128 v[22:25], v1 offset:1728
	ds_load_b128 v[26:29], v1 offset:1744
	s_mov_b32 s0, exec_lo
	s_wait_loadcnt_dscnt 0x401
	v_mul_f64_e32 v[30:31], v[24:25], v[4:5]
	v_mul_f64_e32 v[4:5], v[22:23], v[4:5]
	s_wait_loadcnt_dscnt 0x300
	v_mul_f64_e32 v[32:33], v[26:27], v[8:9]
	v_mul_f64_e32 v[8:9], v[28:29], v[8:9]
	s_delay_alu instid0(VALU_DEP_4) | instskip(NEXT) | instid1(VALU_DEP_4)
	v_fma_f64 v[30:31], v[22:23], v[2:3], -v[30:31]
	v_fma_f64 v[34:35], v[24:25], v[2:3], v[4:5]
	ds_load_b128 v[2:5], v1 offset:1760
	ds_load_b128 v[22:25], v1 offset:1776
	v_fma_f64 v[28:29], v[28:29], v[6:7], v[32:33]
	v_fma_f64 v[6:7], v[26:27], v[6:7], -v[8:9]
	s_wait_loadcnt_dscnt 0x201
	v_mul_f64_e32 v[36:37], v[2:3], v[12:13]
	v_mul_f64_e32 v[12:13], v[4:5], v[12:13]
	v_add_f64_e32 v[8:9], 0, v[30:31]
	v_add_f64_e32 v[26:27], 0, v[34:35]
	s_wait_loadcnt_dscnt 0x100
	v_mul_f64_e32 v[30:31], v[22:23], v[16:17]
	v_mul_f64_e32 v[16:17], v[24:25], v[16:17]
	v_fma_f64 v[4:5], v[4:5], v[10:11], v[36:37]
	v_fma_f64 v[1:2], v[2:3], v[10:11], -v[12:13]
	v_add_f64_e32 v[6:7], v[8:9], v[6:7]
	v_add_f64_e32 v[8:9], v[26:27], v[28:29]
	v_fma_f64 v[10:11], v[24:25], v[14:15], v[30:31]
	v_fma_f64 v[12:13], v[22:23], v[14:15], -v[16:17]
	s_delay_alu instid0(VALU_DEP_4) | instskip(NEXT) | instid1(VALU_DEP_4)
	v_add_f64_e32 v[1:2], v[6:7], v[1:2]
	v_add_f64_e32 v[3:4], v[8:9], v[4:5]
	s_delay_alu instid0(VALU_DEP_2) | instskip(NEXT) | instid1(VALU_DEP_2)
	v_add_f64_e32 v[1:2], v[1:2], v[12:13]
	v_add_f64_e32 v[3:4], v[3:4], v[10:11]
	s_wait_loadcnt 0x0
	s_delay_alu instid0(VALU_DEP_2) | instskip(NEXT) | instid1(VALU_DEP_2)
	v_add_f64_e64 v[1:2], v[18:19], -v[1:2]
	v_add_f64_e64 v[3:4], v[20:21], -v[3:4]
	scratch_store_b128 off, v[1:4], off offset:832
	v_cmpx_lt_u32_e32 50, v0
	s_cbranch_execz .LBB119_249
; %bb.248:
	scratch_load_b128 v[1:4], off, s18
	v_mov_b32_e32 v5, 0
	s_delay_alu instid0(VALU_DEP_1)
	v_dual_mov_b32 v6, v5 :: v_dual_mov_b32 v7, v5
	v_mov_b32_e32 v8, v5
	scratch_store_b128 off, v[5:8], off offset:816
	s_wait_loadcnt 0x0
	ds_store_b128 v158, v[1:4]
.LBB119_249:
	s_wait_alu 0xfffe
	s_or_b32 exec_lo, exec_lo, s0
	s_wait_storecnt_dscnt 0x0
	s_barrier_signal -1
	s_barrier_wait -1
	global_inv scope:SCOPE_SE
	s_clause 0x5
	scratch_load_b128 v[2:5], off, off offset:832
	scratch_load_b128 v[6:9], off, off offset:848
	;; [unrolled: 1-line block ×6, first 2 shown]
	v_mov_b32_e32 v1, 0
	ds_load_b128 v[26:29], v1 offset:1712
	ds_load_b128 v[30:33], v1 offset:1728
	s_mov_b32 s0, exec_lo
	s_wait_loadcnt_dscnt 0x501
	v_mul_f64_e32 v[34:35], v[28:29], v[4:5]
	v_mul_f64_e32 v[4:5], v[26:27], v[4:5]
	s_wait_loadcnt_dscnt 0x400
	v_mul_f64_e32 v[36:37], v[30:31], v[8:9]
	v_mul_f64_e32 v[8:9], v[32:33], v[8:9]
	s_delay_alu instid0(VALU_DEP_4) | instskip(NEXT) | instid1(VALU_DEP_4)
	v_fma_f64 v[34:35], v[26:27], v[2:3], -v[34:35]
	v_fma_f64 v[38:39], v[28:29], v[2:3], v[4:5]
	ds_load_b128 v[2:5], v1 offset:1744
	ds_load_b128 v[26:29], v1 offset:1760
	v_fma_f64 v[32:33], v[32:33], v[6:7], v[36:37]
	v_fma_f64 v[6:7], v[30:31], v[6:7], -v[8:9]
	s_wait_loadcnt_dscnt 0x301
	v_mul_f64_e32 v[40:41], v[2:3], v[12:13]
	v_mul_f64_e32 v[12:13], v[4:5], v[12:13]
	v_add_f64_e32 v[8:9], 0, v[34:35]
	v_add_f64_e32 v[30:31], 0, v[38:39]
	s_wait_loadcnt_dscnt 0x200
	v_mul_f64_e32 v[34:35], v[26:27], v[16:17]
	v_mul_f64_e32 v[16:17], v[28:29], v[16:17]
	v_fma_f64 v[36:37], v[4:5], v[10:11], v[40:41]
	v_fma_f64 v[10:11], v[2:3], v[10:11], -v[12:13]
	ds_load_b128 v[2:5], v1 offset:1776
	v_add_f64_e32 v[6:7], v[8:9], v[6:7]
	v_add_f64_e32 v[8:9], v[30:31], v[32:33]
	v_fma_f64 v[28:29], v[28:29], v[14:15], v[34:35]
	v_fma_f64 v[14:15], v[26:27], v[14:15], -v[16:17]
	s_wait_loadcnt_dscnt 0x100
	v_mul_f64_e32 v[12:13], v[2:3], v[20:21]
	v_mul_f64_e32 v[20:21], v[4:5], v[20:21]
	v_add_f64_e32 v[6:7], v[6:7], v[10:11]
	v_add_f64_e32 v[8:9], v[8:9], v[36:37]
	s_delay_alu instid0(VALU_DEP_4) | instskip(NEXT) | instid1(VALU_DEP_4)
	v_fma_f64 v[4:5], v[4:5], v[18:19], v[12:13]
	v_fma_f64 v[2:3], v[2:3], v[18:19], -v[20:21]
	s_delay_alu instid0(VALU_DEP_4) | instskip(NEXT) | instid1(VALU_DEP_4)
	v_add_f64_e32 v[6:7], v[6:7], v[14:15]
	v_add_f64_e32 v[8:9], v[8:9], v[28:29]
	s_delay_alu instid0(VALU_DEP_2) | instskip(NEXT) | instid1(VALU_DEP_2)
	v_add_f64_e32 v[2:3], v[6:7], v[2:3]
	v_add_f64_e32 v[4:5], v[8:9], v[4:5]
	s_wait_loadcnt 0x0
	s_delay_alu instid0(VALU_DEP_2) | instskip(NEXT) | instid1(VALU_DEP_2)
	v_add_f64_e64 v[2:3], v[22:23], -v[2:3]
	v_add_f64_e64 v[4:5], v[24:25], -v[4:5]
	scratch_store_b128 off, v[2:5], off offset:816
	v_cmpx_lt_u32_e32 49, v0
	s_cbranch_execz .LBB119_251
; %bb.250:
	scratch_load_b128 v[5:8], off, s19
	v_dual_mov_b32 v2, v1 :: v_dual_mov_b32 v3, v1
	v_mov_b32_e32 v4, v1
	scratch_store_b128 off, v[1:4], off offset:800
	s_wait_loadcnt 0x0
	ds_store_b128 v158, v[5:8]
.LBB119_251:
	s_wait_alu 0xfffe
	s_or_b32 exec_lo, exec_lo, s0
	s_wait_storecnt_dscnt 0x0
	s_barrier_signal -1
	s_barrier_wait -1
	global_inv scope:SCOPE_SE
	s_clause 0x5
	scratch_load_b128 v[2:5], off, off offset:816
	scratch_load_b128 v[6:9], off, off offset:832
	;; [unrolled: 1-line block ×6, first 2 shown]
	ds_load_b128 v[26:29], v1 offset:1696
	ds_load_b128 v[34:37], v1 offset:1712
	scratch_load_b128 v[30:33], off, off offset:800
	s_mov_b32 s0, exec_lo
	s_wait_loadcnt_dscnt 0x601
	v_mul_f64_e32 v[38:39], v[28:29], v[4:5]
	v_mul_f64_e32 v[4:5], v[26:27], v[4:5]
	s_wait_loadcnt_dscnt 0x500
	v_mul_f64_e32 v[40:41], v[34:35], v[8:9]
	v_mul_f64_e32 v[8:9], v[36:37], v[8:9]
	s_delay_alu instid0(VALU_DEP_4) | instskip(NEXT) | instid1(VALU_DEP_4)
	v_fma_f64 v[38:39], v[26:27], v[2:3], -v[38:39]
	v_fma_f64 v[42:43], v[28:29], v[2:3], v[4:5]
	ds_load_b128 v[2:5], v1 offset:1728
	ds_load_b128 v[26:29], v1 offset:1744
	v_fma_f64 v[36:37], v[36:37], v[6:7], v[40:41]
	v_fma_f64 v[6:7], v[34:35], v[6:7], -v[8:9]
	s_wait_loadcnt_dscnt 0x401
	v_mul_f64_e32 v[44:45], v[2:3], v[12:13]
	v_mul_f64_e32 v[12:13], v[4:5], v[12:13]
	v_add_f64_e32 v[8:9], 0, v[38:39]
	v_add_f64_e32 v[34:35], 0, v[42:43]
	s_wait_loadcnt_dscnt 0x300
	v_mul_f64_e32 v[38:39], v[26:27], v[16:17]
	v_mul_f64_e32 v[16:17], v[28:29], v[16:17]
	v_fma_f64 v[40:41], v[4:5], v[10:11], v[44:45]
	v_fma_f64 v[10:11], v[2:3], v[10:11], -v[12:13]
	v_add_f64_e32 v[12:13], v[8:9], v[6:7]
	v_add_f64_e32 v[34:35], v[34:35], v[36:37]
	ds_load_b128 v[2:5], v1 offset:1760
	ds_load_b128 v[6:9], v1 offset:1776
	v_fma_f64 v[28:29], v[28:29], v[14:15], v[38:39]
	v_fma_f64 v[14:15], v[26:27], v[14:15], -v[16:17]
	s_wait_loadcnt_dscnt 0x201
	v_mul_f64_e32 v[36:37], v[2:3], v[20:21]
	v_mul_f64_e32 v[20:21], v[4:5], v[20:21]
	s_wait_loadcnt_dscnt 0x100
	v_mul_f64_e32 v[16:17], v[6:7], v[24:25]
	v_mul_f64_e32 v[24:25], v[8:9], v[24:25]
	v_add_f64_e32 v[10:11], v[12:13], v[10:11]
	v_add_f64_e32 v[12:13], v[34:35], v[40:41]
	v_fma_f64 v[4:5], v[4:5], v[18:19], v[36:37]
	v_fma_f64 v[1:2], v[2:3], v[18:19], -v[20:21]
	v_fma_f64 v[8:9], v[8:9], v[22:23], v[16:17]
	v_fma_f64 v[6:7], v[6:7], v[22:23], -v[24:25]
	v_add_f64_e32 v[10:11], v[10:11], v[14:15]
	v_add_f64_e32 v[12:13], v[12:13], v[28:29]
	s_delay_alu instid0(VALU_DEP_2) | instskip(NEXT) | instid1(VALU_DEP_2)
	v_add_f64_e32 v[1:2], v[10:11], v[1:2]
	v_add_f64_e32 v[3:4], v[12:13], v[4:5]
	s_delay_alu instid0(VALU_DEP_2) | instskip(NEXT) | instid1(VALU_DEP_2)
	v_add_f64_e32 v[1:2], v[1:2], v[6:7]
	v_add_f64_e32 v[3:4], v[3:4], v[8:9]
	s_wait_loadcnt 0x0
	s_delay_alu instid0(VALU_DEP_2) | instskip(NEXT) | instid1(VALU_DEP_2)
	v_add_f64_e64 v[1:2], v[30:31], -v[1:2]
	v_add_f64_e64 v[3:4], v[32:33], -v[3:4]
	scratch_store_b128 off, v[1:4], off offset:800
	v_cmpx_lt_u32_e32 48, v0
	s_cbranch_execz .LBB119_253
; %bb.252:
	scratch_load_b128 v[1:4], off, s20
	v_mov_b32_e32 v5, 0
	s_delay_alu instid0(VALU_DEP_1)
	v_dual_mov_b32 v6, v5 :: v_dual_mov_b32 v7, v5
	v_mov_b32_e32 v8, v5
	scratch_store_b128 off, v[5:8], off offset:784
	s_wait_loadcnt 0x0
	ds_store_b128 v158, v[1:4]
.LBB119_253:
	s_wait_alu 0xfffe
	s_or_b32 exec_lo, exec_lo, s0
	s_wait_storecnt_dscnt 0x0
	s_barrier_signal -1
	s_barrier_wait -1
	global_inv scope:SCOPE_SE
	s_clause 0x6
	scratch_load_b128 v[2:5], off, off offset:800
	scratch_load_b128 v[6:9], off, off offset:816
	;; [unrolled: 1-line block ×7, first 2 shown]
	v_mov_b32_e32 v1, 0
	scratch_load_b128 v[34:37], off, off offset:784
	s_mov_b32 s0, exec_lo
	ds_load_b128 v[30:33], v1 offset:1680
	ds_load_b128 v[38:41], v1 offset:1696
	s_wait_loadcnt_dscnt 0x701
	v_mul_f64_e32 v[42:43], v[32:33], v[4:5]
	v_mul_f64_e32 v[4:5], v[30:31], v[4:5]
	s_wait_loadcnt_dscnt 0x600
	v_mul_f64_e32 v[44:45], v[38:39], v[8:9]
	v_mul_f64_e32 v[8:9], v[40:41], v[8:9]
	s_delay_alu instid0(VALU_DEP_4) | instskip(NEXT) | instid1(VALU_DEP_4)
	v_fma_f64 v[42:43], v[30:31], v[2:3], -v[42:43]
	v_fma_f64 v[159:160], v[32:33], v[2:3], v[4:5]
	ds_load_b128 v[2:5], v1 offset:1712
	ds_load_b128 v[30:33], v1 offset:1728
	v_fma_f64 v[40:41], v[40:41], v[6:7], v[44:45]
	v_fma_f64 v[6:7], v[38:39], v[6:7], -v[8:9]
	s_wait_loadcnt_dscnt 0x501
	v_mul_f64_e32 v[161:162], v[2:3], v[12:13]
	v_mul_f64_e32 v[12:13], v[4:5], v[12:13]
	v_add_f64_e32 v[8:9], 0, v[42:43]
	v_add_f64_e32 v[38:39], 0, v[159:160]
	s_wait_loadcnt_dscnt 0x400
	v_mul_f64_e32 v[42:43], v[30:31], v[16:17]
	v_mul_f64_e32 v[16:17], v[32:33], v[16:17]
	v_fma_f64 v[44:45], v[4:5], v[10:11], v[161:162]
	v_fma_f64 v[10:11], v[2:3], v[10:11], -v[12:13]
	v_add_f64_e32 v[12:13], v[8:9], v[6:7]
	v_add_f64_e32 v[38:39], v[38:39], v[40:41]
	ds_load_b128 v[2:5], v1 offset:1744
	ds_load_b128 v[6:9], v1 offset:1760
	v_fma_f64 v[32:33], v[32:33], v[14:15], v[42:43]
	v_fma_f64 v[14:15], v[30:31], v[14:15], -v[16:17]
	s_wait_loadcnt_dscnt 0x301
	v_mul_f64_e32 v[40:41], v[2:3], v[20:21]
	v_mul_f64_e32 v[20:21], v[4:5], v[20:21]
	s_wait_loadcnt_dscnt 0x200
	v_mul_f64_e32 v[16:17], v[6:7], v[24:25]
	v_mul_f64_e32 v[24:25], v[8:9], v[24:25]
	v_add_f64_e32 v[10:11], v[12:13], v[10:11]
	v_add_f64_e32 v[12:13], v[38:39], v[44:45]
	v_fma_f64 v[30:31], v[4:5], v[18:19], v[40:41]
	v_fma_f64 v[18:19], v[2:3], v[18:19], -v[20:21]
	ds_load_b128 v[2:5], v1 offset:1776
	v_fma_f64 v[8:9], v[8:9], v[22:23], v[16:17]
	v_fma_f64 v[6:7], v[6:7], v[22:23], -v[24:25]
	v_add_f64_e32 v[10:11], v[10:11], v[14:15]
	v_add_f64_e32 v[12:13], v[12:13], v[32:33]
	s_wait_loadcnt_dscnt 0x100
	v_mul_f64_e32 v[14:15], v[2:3], v[28:29]
	v_mul_f64_e32 v[20:21], v[4:5], v[28:29]
	s_delay_alu instid0(VALU_DEP_4) | instskip(NEXT) | instid1(VALU_DEP_4)
	v_add_f64_e32 v[10:11], v[10:11], v[18:19]
	v_add_f64_e32 v[12:13], v[12:13], v[30:31]
	s_delay_alu instid0(VALU_DEP_4) | instskip(NEXT) | instid1(VALU_DEP_4)
	v_fma_f64 v[4:5], v[4:5], v[26:27], v[14:15]
	v_fma_f64 v[2:3], v[2:3], v[26:27], -v[20:21]
	s_delay_alu instid0(VALU_DEP_4) | instskip(NEXT) | instid1(VALU_DEP_4)
	v_add_f64_e32 v[6:7], v[10:11], v[6:7]
	v_add_f64_e32 v[8:9], v[12:13], v[8:9]
	s_delay_alu instid0(VALU_DEP_2) | instskip(NEXT) | instid1(VALU_DEP_2)
	v_add_f64_e32 v[2:3], v[6:7], v[2:3]
	v_add_f64_e32 v[4:5], v[8:9], v[4:5]
	s_wait_loadcnt 0x0
	s_delay_alu instid0(VALU_DEP_2) | instskip(NEXT) | instid1(VALU_DEP_2)
	v_add_f64_e64 v[2:3], v[34:35], -v[2:3]
	v_add_f64_e64 v[4:5], v[36:37], -v[4:5]
	scratch_store_b128 off, v[2:5], off offset:784
	v_cmpx_lt_u32_e32 47, v0
	s_cbranch_execz .LBB119_255
; %bb.254:
	scratch_load_b128 v[5:8], off, s21
	v_dual_mov_b32 v2, v1 :: v_dual_mov_b32 v3, v1
	v_mov_b32_e32 v4, v1
	scratch_store_b128 off, v[1:4], off offset:768
	s_wait_loadcnt 0x0
	ds_store_b128 v158, v[5:8]
.LBB119_255:
	s_wait_alu 0xfffe
	s_or_b32 exec_lo, exec_lo, s0
	s_wait_storecnt_dscnt 0x0
	s_barrier_signal -1
	s_barrier_wait -1
	global_inv scope:SCOPE_SE
	s_clause 0x7
	scratch_load_b128 v[2:5], off, off offset:784
	scratch_load_b128 v[6:9], off, off offset:800
	;; [unrolled: 1-line block ×8, first 2 shown]
	ds_load_b128 v[34:37], v1 offset:1664
	ds_load_b128 v[38:41], v1 offset:1680
	s_mov_b32 s0, exec_lo
	s_wait_loadcnt_dscnt 0x701
	v_mul_f64_e32 v[42:43], v[36:37], v[4:5]
	v_mul_f64_e32 v[4:5], v[34:35], v[4:5]
	s_wait_loadcnt_dscnt 0x600
	v_mul_f64_e32 v[44:45], v[38:39], v[8:9]
	v_mul_f64_e32 v[8:9], v[40:41], v[8:9]
	s_delay_alu instid0(VALU_DEP_4) | instskip(NEXT) | instid1(VALU_DEP_4)
	v_fma_f64 v[42:43], v[34:35], v[2:3], -v[42:43]
	v_fma_f64 v[159:160], v[36:37], v[2:3], v[4:5]
	ds_load_b128 v[2:5], v1 offset:1696
	scratch_load_b128 v[34:37], off, off offset:768
	v_fma_f64 v[40:41], v[40:41], v[6:7], v[44:45]
	v_fma_f64 v[38:39], v[38:39], v[6:7], -v[8:9]
	ds_load_b128 v[6:9], v1 offset:1712
	s_wait_loadcnt_dscnt 0x601
	v_mul_f64_e32 v[161:162], v[2:3], v[12:13]
	v_mul_f64_e32 v[12:13], v[4:5], v[12:13]
	v_add_f64_e32 v[42:43], 0, v[42:43]
	v_add_f64_e32 v[44:45], 0, v[159:160]
	s_wait_loadcnt_dscnt 0x500
	v_mul_f64_e32 v[159:160], v[6:7], v[16:17]
	v_mul_f64_e32 v[16:17], v[8:9], v[16:17]
	v_fma_f64 v[161:162], v[4:5], v[10:11], v[161:162]
	v_fma_f64 v[10:11], v[2:3], v[10:11], -v[12:13]
	ds_load_b128 v[2:5], v1 offset:1728
	v_add_f64_e32 v[12:13], v[42:43], v[38:39]
	v_add_f64_e32 v[38:39], v[44:45], v[40:41]
	v_fma_f64 v[42:43], v[8:9], v[14:15], v[159:160]
	v_fma_f64 v[14:15], v[6:7], v[14:15], -v[16:17]
	ds_load_b128 v[6:9], v1 offset:1744
	s_wait_loadcnt_dscnt 0x401
	v_mul_f64_e32 v[40:41], v[2:3], v[20:21]
	v_mul_f64_e32 v[20:21], v[4:5], v[20:21]
	s_wait_loadcnt_dscnt 0x300
	v_mul_f64_e32 v[16:17], v[6:7], v[24:25]
	v_mul_f64_e32 v[24:25], v[8:9], v[24:25]
	v_add_f64_e32 v[10:11], v[12:13], v[10:11]
	v_add_f64_e32 v[12:13], v[38:39], v[161:162]
	v_fma_f64 v[38:39], v[4:5], v[18:19], v[40:41]
	v_fma_f64 v[18:19], v[2:3], v[18:19], -v[20:21]
	ds_load_b128 v[2:5], v1 offset:1760
	v_fma_f64 v[16:17], v[8:9], v[22:23], v[16:17]
	v_fma_f64 v[22:23], v[6:7], v[22:23], -v[24:25]
	ds_load_b128 v[6:9], v1 offset:1776
	s_wait_loadcnt_dscnt 0x201
	v_mul_f64_e32 v[20:21], v[4:5], v[28:29]
	v_add_f64_e32 v[10:11], v[10:11], v[14:15]
	v_add_f64_e32 v[12:13], v[12:13], v[42:43]
	v_mul_f64_e32 v[14:15], v[2:3], v[28:29]
	s_wait_loadcnt_dscnt 0x100
	v_mul_f64_e32 v[24:25], v[8:9], v[32:33]
	v_fma_f64 v[1:2], v[2:3], v[26:27], -v[20:21]
	v_add_f64_e32 v[10:11], v[10:11], v[18:19]
	v_add_f64_e32 v[12:13], v[12:13], v[38:39]
	v_mul_f64_e32 v[18:19], v[6:7], v[32:33]
	v_fma_f64 v[4:5], v[4:5], v[26:27], v[14:15]
	v_fma_f64 v[6:7], v[6:7], v[30:31], -v[24:25]
	v_add_f64_e32 v[10:11], v[10:11], v[22:23]
	v_add_f64_e32 v[12:13], v[12:13], v[16:17]
	v_fma_f64 v[8:9], v[8:9], v[30:31], v[18:19]
	s_delay_alu instid0(VALU_DEP_3) | instskip(NEXT) | instid1(VALU_DEP_3)
	v_add_f64_e32 v[1:2], v[10:11], v[1:2]
	v_add_f64_e32 v[3:4], v[12:13], v[4:5]
	s_delay_alu instid0(VALU_DEP_2) | instskip(NEXT) | instid1(VALU_DEP_2)
	v_add_f64_e32 v[1:2], v[1:2], v[6:7]
	v_add_f64_e32 v[3:4], v[3:4], v[8:9]
	s_wait_loadcnt 0x0
	s_delay_alu instid0(VALU_DEP_2) | instskip(NEXT) | instid1(VALU_DEP_2)
	v_add_f64_e64 v[1:2], v[34:35], -v[1:2]
	v_add_f64_e64 v[3:4], v[36:37], -v[3:4]
	scratch_store_b128 off, v[1:4], off offset:768
	v_cmpx_lt_u32_e32 46, v0
	s_cbranch_execz .LBB119_257
; %bb.256:
	scratch_load_b128 v[1:4], off, s22
	v_mov_b32_e32 v5, 0
	s_delay_alu instid0(VALU_DEP_1)
	v_dual_mov_b32 v6, v5 :: v_dual_mov_b32 v7, v5
	v_mov_b32_e32 v8, v5
	scratch_store_b128 off, v[5:8], off offset:752
	s_wait_loadcnt 0x0
	ds_store_b128 v158, v[1:4]
.LBB119_257:
	s_wait_alu 0xfffe
	s_or_b32 exec_lo, exec_lo, s0
	s_wait_storecnt_dscnt 0x0
	s_barrier_signal -1
	s_barrier_wait -1
	global_inv scope:SCOPE_SE
	s_clause 0x7
	scratch_load_b128 v[2:5], off, off offset:768
	scratch_load_b128 v[6:9], off, off offset:784
	;; [unrolled: 1-line block ×8, first 2 shown]
	v_mov_b32_e32 v1, 0
	scratch_load_b128 v[38:41], off, off offset:896
	s_mov_b32 s0, exec_lo
	ds_load_b128 v[34:37], v1 offset:1648
	ds_load_b128 v[42:45], v1 offset:1664
	s_wait_loadcnt_dscnt 0x801
	v_mul_f64_e32 v[159:160], v[36:37], v[4:5]
	v_mul_f64_e32 v[4:5], v[34:35], v[4:5]
	s_wait_loadcnt_dscnt 0x700
	v_mul_f64_e32 v[161:162], v[42:43], v[8:9]
	v_mul_f64_e32 v[8:9], v[44:45], v[8:9]
	s_delay_alu instid0(VALU_DEP_4) | instskip(NEXT) | instid1(VALU_DEP_4)
	v_fma_f64 v[34:35], v[34:35], v[2:3], -v[159:160]
	v_fma_f64 v[36:37], v[36:37], v[2:3], v[4:5]
	ds_load_b128 v[2:5], v1 offset:1680
	v_fma_f64 v[44:45], v[44:45], v[6:7], v[161:162]
	v_fma_f64 v[42:43], v[42:43], v[6:7], -v[8:9]
	ds_load_b128 v[6:9], v1 offset:1696
	s_wait_loadcnt_dscnt 0x601
	v_mul_f64_e32 v[159:160], v[2:3], v[12:13]
	v_mul_f64_e32 v[12:13], v[4:5], v[12:13]
	s_wait_loadcnt_dscnt 0x500
	v_mul_f64_e32 v[165:166], v[6:7], v[16:17]
	v_mul_f64_e32 v[16:17], v[8:9], v[16:17]
	v_add_f64_e32 v[161:162], 0, v[34:35]
	v_add_f64_e32 v[163:164], 0, v[36:37]
	scratch_load_b128 v[34:37], off, off offset:752
	v_fma_f64 v[159:160], v[4:5], v[10:11], v[159:160]
	v_fma_f64 v[10:11], v[2:3], v[10:11], -v[12:13]
	ds_load_b128 v[2:5], v1 offset:1712
	v_add_f64_e32 v[12:13], v[161:162], v[42:43]
	v_add_f64_e32 v[42:43], v[163:164], v[44:45]
	v_fma_f64 v[161:162], v[8:9], v[14:15], v[165:166]
	v_fma_f64 v[14:15], v[6:7], v[14:15], -v[16:17]
	ds_load_b128 v[6:9], v1 offset:1728
	s_wait_loadcnt_dscnt 0x501
	v_mul_f64_e32 v[44:45], v[2:3], v[20:21]
	v_mul_f64_e32 v[20:21], v[4:5], v[20:21]
	s_wait_loadcnt_dscnt 0x400
	v_mul_f64_e32 v[16:17], v[6:7], v[24:25]
	v_mul_f64_e32 v[24:25], v[8:9], v[24:25]
	v_add_f64_e32 v[10:11], v[12:13], v[10:11]
	v_add_f64_e32 v[12:13], v[42:43], v[159:160]
	v_fma_f64 v[42:43], v[4:5], v[18:19], v[44:45]
	v_fma_f64 v[18:19], v[2:3], v[18:19], -v[20:21]
	ds_load_b128 v[2:5], v1 offset:1744
	v_fma_f64 v[16:17], v[8:9], v[22:23], v[16:17]
	v_fma_f64 v[22:23], v[6:7], v[22:23], -v[24:25]
	ds_load_b128 v[6:9], v1 offset:1760
	s_wait_loadcnt_dscnt 0x301
	v_mul_f64_e32 v[20:21], v[4:5], v[28:29]
	v_add_f64_e32 v[10:11], v[10:11], v[14:15]
	v_add_f64_e32 v[12:13], v[12:13], v[161:162]
	v_mul_f64_e32 v[14:15], v[2:3], v[28:29]
	s_wait_loadcnt_dscnt 0x200
	v_mul_f64_e32 v[24:25], v[8:9], v[32:33]
	v_fma_f64 v[20:21], v[2:3], v[26:27], -v[20:21]
	v_add_f64_e32 v[10:11], v[10:11], v[18:19]
	v_add_f64_e32 v[12:13], v[12:13], v[42:43]
	v_mul_f64_e32 v[18:19], v[6:7], v[32:33]
	v_fma_f64 v[14:15], v[4:5], v[26:27], v[14:15]
	ds_load_b128 v[2:5], v1 offset:1776
	v_fma_f64 v[6:7], v[6:7], v[30:31], -v[24:25]
	v_add_f64_e32 v[10:11], v[10:11], v[22:23]
	v_add_f64_e32 v[12:13], v[12:13], v[16:17]
	s_wait_loadcnt_dscnt 0x100
	v_mul_f64_e32 v[16:17], v[2:3], v[40:41]
	v_mul_f64_e32 v[22:23], v[4:5], v[40:41]
	v_fma_f64 v[8:9], v[8:9], v[30:31], v[18:19]
	v_add_f64_e32 v[10:11], v[10:11], v[20:21]
	v_add_f64_e32 v[12:13], v[12:13], v[14:15]
	v_fma_f64 v[4:5], v[4:5], v[38:39], v[16:17]
	v_fma_f64 v[2:3], v[2:3], v[38:39], -v[22:23]
	s_delay_alu instid0(VALU_DEP_4) | instskip(NEXT) | instid1(VALU_DEP_4)
	v_add_f64_e32 v[6:7], v[10:11], v[6:7]
	v_add_f64_e32 v[8:9], v[12:13], v[8:9]
	s_delay_alu instid0(VALU_DEP_2) | instskip(NEXT) | instid1(VALU_DEP_2)
	v_add_f64_e32 v[2:3], v[6:7], v[2:3]
	v_add_f64_e32 v[4:5], v[8:9], v[4:5]
	s_wait_loadcnt 0x0
	s_delay_alu instid0(VALU_DEP_2) | instskip(NEXT) | instid1(VALU_DEP_2)
	v_add_f64_e64 v[2:3], v[34:35], -v[2:3]
	v_add_f64_e64 v[4:5], v[36:37], -v[4:5]
	scratch_store_b128 off, v[2:5], off offset:752
	v_cmpx_lt_u32_e32 45, v0
	s_cbranch_execz .LBB119_259
; %bb.258:
	scratch_load_b128 v[5:8], off, s23
	v_dual_mov_b32 v2, v1 :: v_dual_mov_b32 v3, v1
	v_mov_b32_e32 v4, v1
	scratch_store_b128 off, v[1:4], off offset:736
	s_wait_loadcnt 0x0
	ds_store_b128 v158, v[5:8]
.LBB119_259:
	s_wait_alu 0xfffe
	s_or_b32 exec_lo, exec_lo, s0
	s_wait_storecnt_dscnt 0x0
	s_barrier_signal -1
	s_barrier_wait -1
	global_inv scope:SCOPE_SE
	s_clause 0x8
	scratch_load_b128 v[2:5], off, off offset:752
	scratch_load_b128 v[6:9], off, off offset:768
	;; [unrolled: 1-line block ×9, first 2 shown]
	ds_load_b128 v[38:41], v1 offset:1632
	ds_load_b128 v[42:45], v1 offset:1648
	s_clause 0x1
	scratch_load_b128 v[159:162], off, off offset:736
	scratch_load_b128 v[163:166], off, off offset:896
	s_mov_b32 s0, exec_lo
	s_wait_loadcnt_dscnt 0xa01
	v_mul_f64_e32 v[167:168], v[40:41], v[4:5]
	v_mul_f64_e32 v[4:5], v[38:39], v[4:5]
	s_wait_loadcnt_dscnt 0x900
	v_mul_f64_e32 v[169:170], v[42:43], v[8:9]
	v_mul_f64_e32 v[8:9], v[44:45], v[8:9]
	s_delay_alu instid0(VALU_DEP_4) | instskip(NEXT) | instid1(VALU_DEP_4)
	v_fma_f64 v[167:168], v[38:39], v[2:3], -v[167:168]
	v_fma_f64 v[171:172], v[40:41], v[2:3], v[4:5]
	ds_load_b128 v[2:5], v1 offset:1664
	ds_load_b128 v[38:41], v1 offset:1680
	v_fma_f64 v[44:45], v[44:45], v[6:7], v[169:170]
	v_fma_f64 v[6:7], v[42:43], v[6:7], -v[8:9]
	s_wait_loadcnt_dscnt 0x801
	v_mul_f64_e32 v[173:174], v[2:3], v[12:13]
	v_mul_f64_e32 v[12:13], v[4:5], v[12:13]
	v_add_f64_e32 v[8:9], 0, v[167:168]
	v_add_f64_e32 v[42:43], 0, v[171:172]
	s_wait_loadcnt_dscnt 0x700
	v_mul_f64_e32 v[167:168], v[38:39], v[16:17]
	v_mul_f64_e32 v[16:17], v[40:41], v[16:17]
	v_fma_f64 v[169:170], v[4:5], v[10:11], v[173:174]
	v_fma_f64 v[10:11], v[2:3], v[10:11], -v[12:13]
	v_add_f64_e32 v[12:13], v[8:9], v[6:7]
	v_add_f64_e32 v[42:43], v[42:43], v[44:45]
	ds_load_b128 v[2:5], v1 offset:1696
	ds_load_b128 v[6:9], v1 offset:1712
	v_fma_f64 v[40:41], v[40:41], v[14:15], v[167:168]
	v_fma_f64 v[14:15], v[38:39], v[14:15], -v[16:17]
	s_wait_loadcnt_dscnt 0x601
	v_mul_f64_e32 v[44:45], v[2:3], v[20:21]
	v_mul_f64_e32 v[20:21], v[4:5], v[20:21]
	s_wait_loadcnt_dscnt 0x500
	v_mul_f64_e32 v[16:17], v[6:7], v[24:25]
	v_mul_f64_e32 v[24:25], v[8:9], v[24:25]
	v_add_f64_e32 v[10:11], v[12:13], v[10:11]
	v_add_f64_e32 v[12:13], v[42:43], v[169:170]
	v_fma_f64 v[38:39], v[4:5], v[18:19], v[44:45]
	v_fma_f64 v[18:19], v[2:3], v[18:19], -v[20:21]
	v_fma_f64 v[8:9], v[8:9], v[22:23], v[16:17]
	v_fma_f64 v[6:7], v[6:7], v[22:23], -v[24:25]
	v_add_f64_e32 v[14:15], v[10:11], v[14:15]
	v_add_f64_e32 v[20:21], v[12:13], v[40:41]
	ds_load_b128 v[2:5], v1 offset:1728
	ds_load_b128 v[10:13], v1 offset:1744
	s_wait_loadcnt_dscnt 0x401
	v_mul_f64_e32 v[40:41], v[2:3], v[28:29]
	v_mul_f64_e32 v[28:29], v[4:5], v[28:29]
	v_add_f64_e32 v[14:15], v[14:15], v[18:19]
	v_add_f64_e32 v[16:17], v[20:21], v[38:39]
	s_wait_loadcnt_dscnt 0x300
	v_mul_f64_e32 v[18:19], v[10:11], v[32:33]
	v_mul_f64_e32 v[20:21], v[12:13], v[32:33]
	v_fma_f64 v[22:23], v[4:5], v[26:27], v[40:41]
	v_fma_f64 v[24:25], v[2:3], v[26:27], -v[28:29]
	v_add_f64_e32 v[14:15], v[14:15], v[6:7]
	v_add_f64_e32 v[16:17], v[16:17], v[8:9]
	ds_load_b128 v[2:5], v1 offset:1760
	ds_load_b128 v[6:9], v1 offset:1776
	v_fma_f64 v[12:13], v[12:13], v[30:31], v[18:19]
	v_fma_f64 v[10:11], v[10:11], v[30:31], -v[20:21]
	s_wait_loadcnt_dscnt 0x201
	v_mul_f64_e32 v[26:27], v[2:3], v[36:37]
	v_mul_f64_e32 v[28:29], v[4:5], v[36:37]
	s_wait_loadcnt_dscnt 0x0
	v_mul_f64_e32 v[18:19], v[6:7], v[165:166]
	v_mul_f64_e32 v[20:21], v[8:9], v[165:166]
	v_add_f64_e32 v[14:15], v[14:15], v[24:25]
	v_add_f64_e32 v[16:17], v[16:17], v[22:23]
	v_fma_f64 v[4:5], v[4:5], v[34:35], v[26:27]
	v_fma_f64 v[1:2], v[2:3], v[34:35], -v[28:29]
	v_fma_f64 v[8:9], v[8:9], v[163:164], v[18:19]
	v_fma_f64 v[6:7], v[6:7], v[163:164], -v[20:21]
	v_add_f64_e32 v[10:11], v[14:15], v[10:11]
	v_add_f64_e32 v[12:13], v[16:17], v[12:13]
	s_delay_alu instid0(VALU_DEP_2) | instskip(NEXT) | instid1(VALU_DEP_2)
	v_add_f64_e32 v[1:2], v[10:11], v[1:2]
	v_add_f64_e32 v[3:4], v[12:13], v[4:5]
	s_delay_alu instid0(VALU_DEP_2) | instskip(NEXT) | instid1(VALU_DEP_2)
	;; [unrolled: 3-line block ×3, first 2 shown]
	v_add_f64_e64 v[1:2], v[159:160], -v[1:2]
	v_add_f64_e64 v[3:4], v[161:162], -v[3:4]
	scratch_store_b128 off, v[1:4], off offset:736
	v_cmpx_lt_u32_e32 44, v0
	s_cbranch_execz .LBB119_261
; %bb.260:
	scratch_load_b128 v[1:4], off, s24
	v_mov_b32_e32 v5, 0
	s_delay_alu instid0(VALU_DEP_1)
	v_dual_mov_b32 v6, v5 :: v_dual_mov_b32 v7, v5
	v_mov_b32_e32 v8, v5
	scratch_store_b128 off, v[5:8], off offset:720
	s_wait_loadcnt 0x0
	ds_store_b128 v158, v[1:4]
.LBB119_261:
	s_wait_alu 0xfffe
	s_or_b32 exec_lo, exec_lo, s0
	s_wait_storecnt_dscnt 0x0
	s_barrier_signal -1
	s_barrier_wait -1
	global_inv scope:SCOPE_SE
	s_clause 0x7
	scratch_load_b128 v[2:5], off, off offset:736
	scratch_load_b128 v[6:9], off, off offset:752
	;; [unrolled: 1-line block ×8, first 2 shown]
	v_mov_b32_e32 v1, 0
	s_mov_b32 s0, exec_lo
	ds_load_b128 v[34:37], v1 offset:1616
	s_clause 0x1
	scratch_load_b128 v[38:41], off, off offset:864
	scratch_load_b128 v[42:45], off, off offset:720
	ds_load_b128 v[159:162], v1 offset:1632
	scratch_load_b128 v[163:166], off, off offset:880
	s_wait_loadcnt_dscnt 0xa01
	v_mul_f64_e32 v[167:168], v[36:37], v[4:5]
	v_mul_f64_e32 v[4:5], v[34:35], v[4:5]
	s_delay_alu instid0(VALU_DEP_2) | instskip(NEXT) | instid1(VALU_DEP_2)
	v_fma_f64 v[173:174], v[34:35], v[2:3], -v[167:168]
	v_fma_f64 v[175:176], v[36:37], v[2:3], v[4:5]
	ds_load_b128 v[2:5], v1 offset:1648
	s_wait_loadcnt_dscnt 0x901
	v_mul_f64_e32 v[171:172], v[159:160], v[8:9]
	v_mul_f64_e32 v[8:9], v[161:162], v[8:9]
	scratch_load_b128 v[34:37], off, off offset:896
	ds_load_b128 v[167:170], v1 offset:1664
	s_wait_loadcnt_dscnt 0x901
	v_mul_f64_e32 v[177:178], v[2:3], v[12:13]
	v_mul_f64_e32 v[12:13], v[4:5], v[12:13]
	v_fma_f64 v[161:162], v[161:162], v[6:7], v[171:172]
	v_fma_f64 v[6:7], v[159:160], v[6:7], -v[8:9]
	v_add_f64_e32 v[8:9], 0, v[173:174]
	v_add_f64_e32 v[159:160], 0, v[175:176]
	s_wait_loadcnt_dscnt 0x800
	v_mul_f64_e32 v[171:172], v[167:168], v[16:17]
	v_mul_f64_e32 v[16:17], v[169:170], v[16:17]
	v_fma_f64 v[173:174], v[4:5], v[10:11], v[177:178]
	v_fma_f64 v[10:11], v[2:3], v[10:11], -v[12:13]
	v_add_f64_e32 v[12:13], v[8:9], v[6:7]
	v_add_f64_e32 v[159:160], v[159:160], v[161:162]
	ds_load_b128 v[2:5], v1 offset:1680
	ds_load_b128 v[6:9], v1 offset:1696
	v_fma_f64 v[169:170], v[169:170], v[14:15], v[171:172]
	v_fma_f64 v[14:15], v[167:168], v[14:15], -v[16:17]
	s_wait_loadcnt_dscnt 0x701
	v_mul_f64_e32 v[161:162], v[2:3], v[20:21]
	v_mul_f64_e32 v[20:21], v[4:5], v[20:21]
	s_wait_loadcnt_dscnt 0x600
	v_mul_f64_e32 v[16:17], v[6:7], v[24:25]
	v_mul_f64_e32 v[24:25], v[8:9], v[24:25]
	v_add_f64_e32 v[10:11], v[12:13], v[10:11]
	v_add_f64_e32 v[12:13], v[159:160], v[173:174]
	v_fma_f64 v[159:160], v[4:5], v[18:19], v[161:162]
	v_fma_f64 v[18:19], v[2:3], v[18:19], -v[20:21]
	v_fma_f64 v[8:9], v[8:9], v[22:23], v[16:17]
	v_fma_f64 v[6:7], v[6:7], v[22:23], -v[24:25]
	v_add_f64_e32 v[14:15], v[10:11], v[14:15]
	v_add_f64_e32 v[20:21], v[12:13], v[169:170]
	ds_load_b128 v[2:5], v1 offset:1712
	ds_load_b128 v[10:13], v1 offset:1728
	s_wait_loadcnt_dscnt 0x501
	v_mul_f64_e32 v[161:162], v[2:3], v[28:29]
	v_mul_f64_e32 v[28:29], v[4:5], v[28:29]
	v_add_f64_e32 v[14:15], v[14:15], v[18:19]
	v_add_f64_e32 v[16:17], v[20:21], v[159:160]
	s_wait_loadcnt_dscnt 0x400
	v_mul_f64_e32 v[18:19], v[10:11], v[32:33]
	v_mul_f64_e32 v[20:21], v[12:13], v[32:33]
	v_fma_f64 v[22:23], v[4:5], v[26:27], v[161:162]
	v_fma_f64 v[24:25], v[2:3], v[26:27], -v[28:29]
	v_add_f64_e32 v[14:15], v[14:15], v[6:7]
	v_add_f64_e32 v[16:17], v[16:17], v[8:9]
	ds_load_b128 v[2:5], v1 offset:1744
	ds_load_b128 v[6:9], v1 offset:1760
	v_fma_f64 v[12:13], v[12:13], v[30:31], v[18:19]
	v_fma_f64 v[10:11], v[10:11], v[30:31], -v[20:21]
	s_wait_loadcnt_dscnt 0x301
	v_mul_f64_e32 v[26:27], v[2:3], v[40:41]
	v_mul_f64_e32 v[28:29], v[4:5], v[40:41]
	s_wait_loadcnt_dscnt 0x100
	v_mul_f64_e32 v[18:19], v[6:7], v[165:166]
	v_mul_f64_e32 v[20:21], v[8:9], v[165:166]
	v_add_f64_e32 v[14:15], v[14:15], v[24:25]
	v_add_f64_e32 v[16:17], v[16:17], v[22:23]
	v_fma_f64 v[22:23], v[4:5], v[38:39], v[26:27]
	v_fma_f64 v[24:25], v[2:3], v[38:39], -v[28:29]
	ds_load_b128 v[2:5], v1 offset:1776
	v_fma_f64 v[8:9], v[8:9], v[163:164], v[18:19]
	v_fma_f64 v[6:7], v[6:7], v[163:164], -v[20:21]
	v_add_f64_e32 v[10:11], v[14:15], v[10:11]
	v_add_f64_e32 v[12:13], v[16:17], v[12:13]
	s_wait_loadcnt_dscnt 0x0
	v_mul_f64_e32 v[14:15], v[2:3], v[36:37]
	v_mul_f64_e32 v[16:17], v[4:5], v[36:37]
	s_delay_alu instid0(VALU_DEP_4) | instskip(NEXT) | instid1(VALU_DEP_4)
	v_add_f64_e32 v[10:11], v[10:11], v[24:25]
	v_add_f64_e32 v[12:13], v[12:13], v[22:23]
	s_delay_alu instid0(VALU_DEP_4) | instskip(NEXT) | instid1(VALU_DEP_4)
	v_fma_f64 v[4:5], v[4:5], v[34:35], v[14:15]
	v_fma_f64 v[2:3], v[2:3], v[34:35], -v[16:17]
	s_delay_alu instid0(VALU_DEP_4) | instskip(NEXT) | instid1(VALU_DEP_4)
	v_add_f64_e32 v[6:7], v[10:11], v[6:7]
	v_add_f64_e32 v[8:9], v[12:13], v[8:9]
	s_delay_alu instid0(VALU_DEP_2) | instskip(NEXT) | instid1(VALU_DEP_2)
	v_add_f64_e32 v[2:3], v[6:7], v[2:3]
	v_add_f64_e32 v[4:5], v[8:9], v[4:5]
	s_delay_alu instid0(VALU_DEP_2) | instskip(NEXT) | instid1(VALU_DEP_2)
	v_add_f64_e64 v[2:3], v[42:43], -v[2:3]
	v_add_f64_e64 v[4:5], v[44:45], -v[4:5]
	scratch_store_b128 off, v[2:5], off offset:720
	v_cmpx_lt_u32_e32 43, v0
	s_cbranch_execz .LBB119_263
; %bb.262:
	scratch_load_b128 v[5:8], off, s25
	v_dual_mov_b32 v2, v1 :: v_dual_mov_b32 v3, v1
	v_mov_b32_e32 v4, v1
	scratch_store_b128 off, v[1:4], off offset:704
	s_wait_loadcnt 0x0
	ds_store_b128 v158, v[5:8]
.LBB119_263:
	s_wait_alu 0xfffe
	s_or_b32 exec_lo, exec_lo, s0
	s_wait_storecnt_dscnt 0x0
	s_barrier_signal -1
	s_barrier_wait -1
	global_inv scope:SCOPE_SE
	s_clause 0x8
	scratch_load_b128 v[2:5], off, off offset:720
	scratch_load_b128 v[6:9], off, off offset:736
	;; [unrolled: 1-line block ×9, first 2 shown]
	ds_load_b128 v[38:41], v1 offset:1600
	ds_load_b128 v[42:45], v1 offset:1616
	s_clause 0x1
	scratch_load_b128 v[159:162], off, off offset:704
	scratch_load_b128 v[163:166], off, off offset:864
	s_mov_b32 s0, exec_lo
	s_wait_loadcnt_dscnt 0xa01
	v_mul_f64_e32 v[167:168], v[40:41], v[4:5]
	v_mul_f64_e32 v[4:5], v[38:39], v[4:5]
	s_wait_loadcnt_dscnt 0x900
	v_mul_f64_e32 v[171:172], v[42:43], v[8:9]
	v_mul_f64_e32 v[8:9], v[44:45], v[8:9]
	s_delay_alu instid0(VALU_DEP_4) | instskip(NEXT) | instid1(VALU_DEP_4)
	v_fma_f64 v[173:174], v[38:39], v[2:3], -v[167:168]
	v_fma_f64 v[175:176], v[40:41], v[2:3], v[4:5]
	ds_load_b128 v[2:5], v1 offset:1632
	ds_load_b128 v[167:170], v1 offset:1648
	scratch_load_b128 v[38:41], off, off offset:880
	v_fma_f64 v[44:45], v[44:45], v[6:7], v[171:172]
	v_fma_f64 v[42:43], v[42:43], v[6:7], -v[8:9]
	scratch_load_b128 v[6:9], off, off offset:896
	s_wait_loadcnt_dscnt 0xa01
	v_mul_f64_e32 v[177:178], v[2:3], v[12:13]
	v_mul_f64_e32 v[12:13], v[4:5], v[12:13]
	v_add_f64_e32 v[171:172], 0, v[173:174]
	v_add_f64_e32 v[173:174], 0, v[175:176]
	s_wait_loadcnt_dscnt 0x900
	v_mul_f64_e32 v[175:176], v[167:168], v[16:17]
	v_mul_f64_e32 v[16:17], v[169:170], v[16:17]
	v_fma_f64 v[177:178], v[4:5], v[10:11], v[177:178]
	v_fma_f64 v[179:180], v[2:3], v[10:11], -v[12:13]
	ds_load_b128 v[2:5], v1 offset:1664
	ds_load_b128 v[10:13], v1 offset:1680
	v_add_f64_e32 v[42:43], v[171:172], v[42:43]
	v_add_f64_e32 v[44:45], v[173:174], v[44:45]
	v_fma_f64 v[169:170], v[169:170], v[14:15], v[175:176]
	v_fma_f64 v[14:15], v[167:168], v[14:15], -v[16:17]
	s_wait_loadcnt_dscnt 0x801
	v_mul_f64_e32 v[171:172], v[2:3], v[20:21]
	v_mul_f64_e32 v[20:21], v[4:5], v[20:21]
	v_add_f64_e32 v[16:17], v[42:43], v[179:180]
	v_add_f64_e32 v[42:43], v[44:45], v[177:178]
	s_wait_loadcnt_dscnt 0x700
	v_mul_f64_e32 v[44:45], v[10:11], v[24:25]
	v_mul_f64_e32 v[24:25], v[12:13], v[24:25]
	v_fma_f64 v[167:168], v[4:5], v[18:19], v[171:172]
	v_fma_f64 v[18:19], v[2:3], v[18:19], -v[20:21]
	v_add_f64_e32 v[20:21], v[16:17], v[14:15]
	v_add_f64_e32 v[42:43], v[42:43], v[169:170]
	ds_load_b128 v[2:5], v1 offset:1696
	ds_load_b128 v[14:17], v1 offset:1712
	v_fma_f64 v[12:13], v[12:13], v[22:23], v[44:45]
	v_fma_f64 v[10:11], v[10:11], v[22:23], -v[24:25]
	s_wait_loadcnt_dscnt 0x601
	v_mul_f64_e32 v[169:170], v[2:3], v[28:29]
	v_mul_f64_e32 v[28:29], v[4:5], v[28:29]
	s_wait_loadcnt_dscnt 0x500
	v_mul_f64_e32 v[22:23], v[14:15], v[32:33]
	v_mul_f64_e32 v[24:25], v[16:17], v[32:33]
	v_add_f64_e32 v[18:19], v[20:21], v[18:19]
	v_add_f64_e32 v[20:21], v[42:43], v[167:168]
	v_fma_f64 v[32:33], v[4:5], v[26:27], v[169:170]
	v_fma_f64 v[26:27], v[2:3], v[26:27], -v[28:29]
	v_fma_f64 v[16:17], v[16:17], v[30:31], v[22:23]
	v_fma_f64 v[14:15], v[14:15], v[30:31], -v[24:25]
	v_add_f64_e32 v[18:19], v[18:19], v[10:11]
	v_add_f64_e32 v[20:21], v[20:21], v[12:13]
	ds_load_b128 v[2:5], v1 offset:1728
	ds_load_b128 v[10:13], v1 offset:1744
	s_wait_loadcnt_dscnt 0x401
	v_mul_f64_e32 v[28:29], v[2:3], v[36:37]
	v_mul_f64_e32 v[36:37], v[4:5], v[36:37]
	s_wait_loadcnt_dscnt 0x200
	v_mul_f64_e32 v[22:23], v[10:11], v[165:166]
	v_mul_f64_e32 v[24:25], v[12:13], v[165:166]
	v_add_f64_e32 v[18:19], v[18:19], v[26:27]
	v_add_f64_e32 v[20:21], v[20:21], v[32:33]
	v_fma_f64 v[26:27], v[4:5], v[34:35], v[28:29]
	v_fma_f64 v[28:29], v[2:3], v[34:35], -v[36:37]
	v_fma_f64 v[12:13], v[12:13], v[163:164], v[22:23]
	v_fma_f64 v[10:11], v[10:11], v[163:164], -v[24:25]
	v_add_f64_e32 v[18:19], v[18:19], v[14:15]
	v_add_f64_e32 v[20:21], v[20:21], v[16:17]
	ds_load_b128 v[2:5], v1 offset:1760
	ds_load_b128 v[14:17], v1 offset:1776
	s_wait_loadcnt_dscnt 0x101
	v_mul_f64_e32 v[30:31], v[2:3], v[40:41]
	v_mul_f64_e32 v[32:33], v[4:5], v[40:41]
	s_wait_loadcnt_dscnt 0x0
	v_mul_f64_e32 v[22:23], v[14:15], v[8:9]
	v_mul_f64_e32 v[8:9], v[16:17], v[8:9]
	v_add_f64_e32 v[18:19], v[18:19], v[28:29]
	v_add_f64_e32 v[20:21], v[20:21], v[26:27]
	v_fma_f64 v[4:5], v[4:5], v[38:39], v[30:31]
	v_fma_f64 v[1:2], v[2:3], v[38:39], -v[32:33]
	v_fma_f64 v[16:17], v[16:17], v[6:7], v[22:23]
	v_fma_f64 v[6:7], v[14:15], v[6:7], -v[8:9]
	v_add_f64_e32 v[10:11], v[18:19], v[10:11]
	v_add_f64_e32 v[12:13], v[20:21], v[12:13]
	s_delay_alu instid0(VALU_DEP_2) | instskip(NEXT) | instid1(VALU_DEP_2)
	v_add_f64_e32 v[1:2], v[10:11], v[1:2]
	v_add_f64_e32 v[3:4], v[12:13], v[4:5]
	s_delay_alu instid0(VALU_DEP_2) | instskip(NEXT) | instid1(VALU_DEP_2)
	;; [unrolled: 3-line block ×3, first 2 shown]
	v_add_f64_e64 v[1:2], v[159:160], -v[1:2]
	v_add_f64_e64 v[3:4], v[161:162], -v[3:4]
	scratch_store_b128 off, v[1:4], off offset:704
	v_cmpx_lt_u32_e32 42, v0
	s_cbranch_execz .LBB119_265
; %bb.264:
	scratch_load_b128 v[1:4], off, s26
	v_mov_b32_e32 v5, 0
	s_delay_alu instid0(VALU_DEP_1)
	v_dual_mov_b32 v6, v5 :: v_dual_mov_b32 v7, v5
	v_mov_b32_e32 v8, v5
	scratch_store_b128 off, v[5:8], off offset:688
	s_wait_loadcnt 0x0
	ds_store_b128 v158, v[1:4]
.LBB119_265:
	s_wait_alu 0xfffe
	s_or_b32 exec_lo, exec_lo, s0
	s_wait_storecnt_dscnt 0x0
	s_barrier_signal -1
	s_barrier_wait -1
	global_inv scope:SCOPE_SE
	s_clause 0x7
	scratch_load_b128 v[2:5], off, off offset:704
	scratch_load_b128 v[6:9], off, off offset:720
	;; [unrolled: 1-line block ×8, first 2 shown]
	v_mov_b32_e32 v1, 0
	s_mov_b32 s0, exec_lo
	ds_load_b128 v[34:37], v1 offset:1584
	s_clause 0x1
	scratch_load_b128 v[38:41], off, off offset:832
	scratch_load_b128 v[42:45], off, off offset:688
	ds_load_b128 v[159:162], v1 offset:1600
	scratch_load_b128 v[163:166], off, off offset:848
	s_wait_loadcnt_dscnt 0xa01
	v_mul_f64_e32 v[167:168], v[36:37], v[4:5]
	v_mul_f64_e32 v[4:5], v[34:35], v[4:5]
	s_delay_alu instid0(VALU_DEP_2) | instskip(NEXT) | instid1(VALU_DEP_2)
	v_fma_f64 v[173:174], v[34:35], v[2:3], -v[167:168]
	v_fma_f64 v[175:176], v[36:37], v[2:3], v[4:5]
	ds_load_b128 v[2:5], v1 offset:1616
	s_wait_loadcnt_dscnt 0x901
	v_mul_f64_e32 v[171:172], v[159:160], v[8:9]
	v_mul_f64_e32 v[8:9], v[161:162], v[8:9]
	scratch_load_b128 v[34:37], off, off offset:864
	ds_load_b128 v[167:170], v1 offset:1632
	s_wait_loadcnt_dscnt 0x901
	v_mul_f64_e32 v[177:178], v[2:3], v[12:13]
	v_mul_f64_e32 v[12:13], v[4:5], v[12:13]
	v_fma_f64 v[161:162], v[161:162], v[6:7], v[171:172]
	v_fma_f64 v[159:160], v[159:160], v[6:7], -v[8:9]
	v_add_f64_e32 v[171:172], 0, v[173:174]
	v_add_f64_e32 v[173:174], 0, v[175:176]
	scratch_load_b128 v[6:9], off, off offset:880
	v_fma_f64 v[177:178], v[4:5], v[10:11], v[177:178]
	v_fma_f64 v[179:180], v[2:3], v[10:11], -v[12:13]
	ds_load_b128 v[2:5], v1 offset:1648
	s_wait_loadcnt_dscnt 0x901
	v_mul_f64_e32 v[175:176], v[167:168], v[16:17]
	v_mul_f64_e32 v[16:17], v[169:170], v[16:17]
	scratch_load_b128 v[10:13], off, off offset:896
	v_add_f64_e32 v[171:172], v[171:172], v[159:160]
	v_add_f64_e32 v[173:174], v[173:174], v[161:162]
	s_wait_loadcnt_dscnt 0x900
	v_mul_f64_e32 v[181:182], v[2:3], v[20:21]
	v_mul_f64_e32 v[20:21], v[4:5], v[20:21]
	ds_load_b128 v[159:162], v1 offset:1664
	v_fma_f64 v[169:170], v[169:170], v[14:15], v[175:176]
	v_fma_f64 v[14:15], v[167:168], v[14:15], -v[16:17]
	v_add_f64_e32 v[16:17], v[171:172], v[179:180]
	v_add_f64_e32 v[167:168], v[173:174], v[177:178]
	s_wait_loadcnt_dscnt 0x800
	v_mul_f64_e32 v[171:172], v[159:160], v[24:25]
	v_mul_f64_e32 v[24:25], v[161:162], v[24:25]
	v_fma_f64 v[173:174], v[4:5], v[18:19], v[181:182]
	v_fma_f64 v[18:19], v[2:3], v[18:19], -v[20:21]
	v_add_f64_e32 v[20:21], v[16:17], v[14:15]
	v_add_f64_e32 v[167:168], v[167:168], v[169:170]
	ds_load_b128 v[2:5], v1 offset:1680
	ds_load_b128 v[14:17], v1 offset:1696
	v_fma_f64 v[161:162], v[161:162], v[22:23], v[171:172]
	v_fma_f64 v[22:23], v[159:160], v[22:23], -v[24:25]
	s_wait_loadcnt_dscnt 0x701
	v_mul_f64_e32 v[169:170], v[2:3], v[28:29]
	v_mul_f64_e32 v[28:29], v[4:5], v[28:29]
	s_wait_loadcnt_dscnt 0x600
	v_mul_f64_e32 v[24:25], v[14:15], v[32:33]
	v_mul_f64_e32 v[32:33], v[16:17], v[32:33]
	v_add_f64_e32 v[18:19], v[20:21], v[18:19]
	v_add_f64_e32 v[20:21], v[167:168], v[173:174]
	v_fma_f64 v[159:160], v[4:5], v[26:27], v[169:170]
	v_fma_f64 v[26:27], v[2:3], v[26:27], -v[28:29]
	v_fma_f64 v[16:17], v[16:17], v[30:31], v[24:25]
	v_fma_f64 v[14:15], v[14:15], v[30:31], -v[32:33]
	v_add_f64_e32 v[22:23], v[18:19], v[22:23]
	v_add_f64_e32 v[28:29], v[20:21], v[161:162]
	ds_load_b128 v[2:5], v1 offset:1712
	ds_load_b128 v[18:21], v1 offset:1728
	s_wait_loadcnt_dscnt 0x501
	v_mul_f64_e32 v[161:162], v[2:3], v[40:41]
	v_mul_f64_e32 v[40:41], v[4:5], v[40:41]
	v_add_f64_e32 v[22:23], v[22:23], v[26:27]
	v_add_f64_e32 v[24:25], v[28:29], v[159:160]
	s_wait_loadcnt_dscnt 0x300
	v_mul_f64_e32 v[26:27], v[18:19], v[165:166]
	v_mul_f64_e32 v[28:29], v[20:21], v[165:166]
	v_fma_f64 v[30:31], v[4:5], v[38:39], v[161:162]
	v_fma_f64 v[32:33], v[2:3], v[38:39], -v[40:41]
	v_add_f64_e32 v[22:23], v[22:23], v[14:15]
	v_add_f64_e32 v[24:25], v[24:25], v[16:17]
	ds_load_b128 v[2:5], v1 offset:1744
	ds_load_b128 v[14:17], v1 offset:1760
	v_fma_f64 v[20:21], v[20:21], v[163:164], v[26:27]
	v_fma_f64 v[18:19], v[18:19], v[163:164], -v[28:29]
	s_wait_loadcnt_dscnt 0x201
	v_mul_f64_e32 v[38:39], v[2:3], v[36:37]
	v_mul_f64_e32 v[36:37], v[4:5], v[36:37]
	v_add_f64_e32 v[22:23], v[22:23], v[32:33]
	v_add_f64_e32 v[24:25], v[24:25], v[30:31]
	s_wait_loadcnt_dscnt 0x100
	v_mul_f64_e32 v[26:27], v[14:15], v[8:9]
	v_mul_f64_e32 v[8:9], v[16:17], v[8:9]
	v_fma_f64 v[28:29], v[4:5], v[34:35], v[38:39]
	v_fma_f64 v[30:31], v[2:3], v[34:35], -v[36:37]
	ds_load_b128 v[2:5], v1 offset:1776
	v_add_f64_e32 v[18:19], v[22:23], v[18:19]
	v_add_f64_e32 v[20:21], v[24:25], v[20:21]
	s_wait_loadcnt_dscnt 0x0
	v_mul_f64_e32 v[22:23], v[2:3], v[12:13]
	v_mul_f64_e32 v[12:13], v[4:5], v[12:13]
	v_fma_f64 v[16:17], v[16:17], v[6:7], v[26:27]
	v_fma_f64 v[6:7], v[14:15], v[6:7], -v[8:9]
	v_add_f64_e32 v[8:9], v[18:19], v[30:31]
	v_add_f64_e32 v[14:15], v[20:21], v[28:29]
	v_fma_f64 v[4:5], v[4:5], v[10:11], v[22:23]
	v_fma_f64 v[2:3], v[2:3], v[10:11], -v[12:13]
	s_delay_alu instid0(VALU_DEP_4) | instskip(NEXT) | instid1(VALU_DEP_4)
	v_add_f64_e32 v[6:7], v[8:9], v[6:7]
	v_add_f64_e32 v[8:9], v[14:15], v[16:17]
	s_delay_alu instid0(VALU_DEP_2) | instskip(NEXT) | instid1(VALU_DEP_2)
	v_add_f64_e32 v[2:3], v[6:7], v[2:3]
	v_add_f64_e32 v[4:5], v[8:9], v[4:5]
	s_delay_alu instid0(VALU_DEP_2) | instskip(NEXT) | instid1(VALU_DEP_2)
	v_add_f64_e64 v[2:3], v[42:43], -v[2:3]
	v_add_f64_e64 v[4:5], v[44:45], -v[4:5]
	scratch_store_b128 off, v[2:5], off offset:688
	v_cmpx_lt_u32_e32 41, v0
	s_cbranch_execz .LBB119_267
; %bb.266:
	scratch_load_b128 v[5:8], off, s27
	v_dual_mov_b32 v2, v1 :: v_dual_mov_b32 v3, v1
	v_mov_b32_e32 v4, v1
	scratch_store_b128 off, v[1:4], off offset:672
	s_wait_loadcnt 0x0
	ds_store_b128 v158, v[5:8]
.LBB119_267:
	s_wait_alu 0xfffe
	s_or_b32 exec_lo, exec_lo, s0
	s_wait_storecnt_dscnt 0x0
	s_barrier_signal -1
	s_barrier_wait -1
	global_inv scope:SCOPE_SE
	s_clause 0x8
	scratch_load_b128 v[2:5], off, off offset:688
	scratch_load_b128 v[6:9], off, off offset:704
	;; [unrolled: 1-line block ×9, first 2 shown]
	ds_load_b128 v[38:41], v1 offset:1568
	ds_load_b128 v[42:45], v1 offset:1584
	s_clause 0x1
	scratch_load_b128 v[159:162], off, off offset:672
	scratch_load_b128 v[163:166], off, off offset:832
	s_mov_b32 s0, exec_lo
	s_wait_loadcnt_dscnt 0xa01
	v_mul_f64_e32 v[167:168], v[40:41], v[4:5]
	v_mul_f64_e32 v[4:5], v[38:39], v[4:5]
	s_wait_loadcnt_dscnt 0x900
	v_mul_f64_e32 v[171:172], v[42:43], v[8:9]
	v_mul_f64_e32 v[8:9], v[44:45], v[8:9]
	s_delay_alu instid0(VALU_DEP_4) | instskip(NEXT) | instid1(VALU_DEP_4)
	v_fma_f64 v[173:174], v[38:39], v[2:3], -v[167:168]
	v_fma_f64 v[175:176], v[40:41], v[2:3], v[4:5]
	ds_load_b128 v[2:5], v1 offset:1600
	ds_load_b128 v[167:170], v1 offset:1616
	scratch_load_b128 v[38:41], off, off offset:848
	v_fma_f64 v[44:45], v[44:45], v[6:7], v[171:172]
	v_fma_f64 v[42:43], v[42:43], v[6:7], -v[8:9]
	scratch_load_b128 v[6:9], off, off offset:864
	s_wait_loadcnt_dscnt 0xa01
	v_mul_f64_e32 v[177:178], v[2:3], v[12:13]
	v_mul_f64_e32 v[12:13], v[4:5], v[12:13]
	v_add_f64_e32 v[171:172], 0, v[173:174]
	v_add_f64_e32 v[173:174], 0, v[175:176]
	s_wait_loadcnt_dscnt 0x900
	v_mul_f64_e32 v[175:176], v[167:168], v[16:17]
	v_mul_f64_e32 v[16:17], v[169:170], v[16:17]
	v_fma_f64 v[177:178], v[4:5], v[10:11], v[177:178]
	v_fma_f64 v[179:180], v[2:3], v[10:11], -v[12:13]
	ds_load_b128 v[2:5], v1 offset:1632
	scratch_load_b128 v[10:13], off, off offset:880
	v_add_f64_e32 v[171:172], v[171:172], v[42:43]
	v_add_f64_e32 v[173:174], v[173:174], v[44:45]
	ds_load_b128 v[42:45], v1 offset:1648
	v_fma_f64 v[169:170], v[169:170], v[14:15], v[175:176]
	v_fma_f64 v[167:168], v[167:168], v[14:15], -v[16:17]
	scratch_load_b128 v[14:17], off, off offset:896
	s_wait_loadcnt_dscnt 0xa01
	v_mul_f64_e32 v[181:182], v[2:3], v[20:21]
	v_mul_f64_e32 v[20:21], v[4:5], v[20:21]
	s_wait_loadcnt_dscnt 0x900
	v_mul_f64_e32 v[175:176], v[42:43], v[24:25]
	v_mul_f64_e32 v[24:25], v[44:45], v[24:25]
	v_add_f64_e32 v[171:172], v[171:172], v[179:180]
	v_add_f64_e32 v[173:174], v[173:174], v[177:178]
	v_fma_f64 v[177:178], v[4:5], v[18:19], v[181:182]
	v_fma_f64 v[179:180], v[2:3], v[18:19], -v[20:21]
	ds_load_b128 v[2:5], v1 offset:1664
	ds_load_b128 v[18:21], v1 offset:1680
	v_fma_f64 v[44:45], v[44:45], v[22:23], v[175:176]
	v_fma_f64 v[22:23], v[42:43], v[22:23], -v[24:25]
	v_add_f64_e32 v[167:168], v[171:172], v[167:168]
	v_add_f64_e32 v[169:170], v[173:174], v[169:170]
	s_wait_loadcnt_dscnt 0x801
	v_mul_f64_e32 v[171:172], v[2:3], v[28:29]
	v_mul_f64_e32 v[28:29], v[4:5], v[28:29]
	s_delay_alu instid0(VALU_DEP_4) | instskip(NEXT) | instid1(VALU_DEP_4)
	v_add_f64_e32 v[24:25], v[167:168], v[179:180]
	v_add_f64_e32 v[42:43], v[169:170], v[177:178]
	s_wait_loadcnt_dscnt 0x700
	v_mul_f64_e32 v[167:168], v[18:19], v[32:33]
	v_mul_f64_e32 v[32:33], v[20:21], v[32:33]
	v_fma_f64 v[169:170], v[4:5], v[26:27], v[171:172]
	v_fma_f64 v[26:27], v[2:3], v[26:27], -v[28:29]
	v_add_f64_e32 v[28:29], v[24:25], v[22:23]
	v_add_f64_e32 v[42:43], v[42:43], v[44:45]
	ds_load_b128 v[2:5], v1 offset:1696
	ds_load_b128 v[22:25], v1 offset:1712
	v_fma_f64 v[20:21], v[20:21], v[30:31], v[167:168]
	v_fma_f64 v[18:19], v[18:19], v[30:31], -v[32:33]
	s_wait_loadcnt_dscnt 0x601
	v_mul_f64_e32 v[44:45], v[2:3], v[36:37]
	v_mul_f64_e32 v[36:37], v[4:5], v[36:37]
	s_wait_loadcnt_dscnt 0x400
	v_mul_f64_e32 v[30:31], v[22:23], v[165:166]
	v_mul_f64_e32 v[32:33], v[24:25], v[165:166]
	v_add_f64_e32 v[26:27], v[28:29], v[26:27]
	v_add_f64_e32 v[28:29], v[42:43], v[169:170]
	v_fma_f64 v[42:43], v[4:5], v[34:35], v[44:45]
	v_fma_f64 v[34:35], v[2:3], v[34:35], -v[36:37]
	v_fma_f64 v[24:25], v[24:25], v[163:164], v[30:31]
	v_fma_f64 v[22:23], v[22:23], v[163:164], -v[32:33]
	v_add_f64_e32 v[26:27], v[26:27], v[18:19]
	v_add_f64_e32 v[28:29], v[28:29], v[20:21]
	ds_load_b128 v[2:5], v1 offset:1728
	ds_load_b128 v[18:21], v1 offset:1744
	s_wait_loadcnt_dscnt 0x301
	v_mul_f64_e32 v[36:37], v[2:3], v[40:41]
	v_mul_f64_e32 v[40:41], v[4:5], v[40:41]
	s_wait_loadcnt_dscnt 0x200
	v_mul_f64_e32 v[30:31], v[18:19], v[8:9]
	v_mul_f64_e32 v[8:9], v[20:21], v[8:9]
	v_add_f64_e32 v[26:27], v[26:27], v[34:35]
	v_add_f64_e32 v[28:29], v[28:29], v[42:43]
	v_fma_f64 v[32:33], v[4:5], v[38:39], v[36:37]
	v_fma_f64 v[34:35], v[2:3], v[38:39], -v[40:41]
	v_fma_f64 v[20:21], v[20:21], v[6:7], v[30:31]
	v_fma_f64 v[6:7], v[18:19], v[6:7], -v[8:9]
	v_add_f64_e32 v[26:27], v[26:27], v[22:23]
	v_add_f64_e32 v[28:29], v[28:29], v[24:25]
	ds_load_b128 v[2:5], v1 offset:1760
	ds_load_b128 v[22:25], v1 offset:1776
	s_wait_loadcnt_dscnt 0x101
	v_mul_f64_e32 v[36:37], v[2:3], v[12:13]
	v_mul_f64_e32 v[12:13], v[4:5], v[12:13]
	v_add_f64_e32 v[8:9], v[26:27], v[34:35]
	v_add_f64_e32 v[18:19], v[28:29], v[32:33]
	s_wait_loadcnt_dscnt 0x0
	v_mul_f64_e32 v[26:27], v[22:23], v[16:17]
	v_mul_f64_e32 v[16:17], v[24:25], v[16:17]
	v_fma_f64 v[4:5], v[4:5], v[10:11], v[36:37]
	v_fma_f64 v[1:2], v[2:3], v[10:11], -v[12:13]
	v_add_f64_e32 v[6:7], v[8:9], v[6:7]
	v_add_f64_e32 v[8:9], v[18:19], v[20:21]
	v_fma_f64 v[10:11], v[24:25], v[14:15], v[26:27]
	v_fma_f64 v[12:13], v[22:23], v[14:15], -v[16:17]
	s_delay_alu instid0(VALU_DEP_4) | instskip(NEXT) | instid1(VALU_DEP_4)
	v_add_f64_e32 v[1:2], v[6:7], v[1:2]
	v_add_f64_e32 v[3:4], v[8:9], v[4:5]
	s_delay_alu instid0(VALU_DEP_2) | instskip(NEXT) | instid1(VALU_DEP_2)
	v_add_f64_e32 v[1:2], v[1:2], v[12:13]
	v_add_f64_e32 v[3:4], v[3:4], v[10:11]
	s_delay_alu instid0(VALU_DEP_2) | instskip(NEXT) | instid1(VALU_DEP_2)
	v_add_f64_e64 v[1:2], v[159:160], -v[1:2]
	v_add_f64_e64 v[3:4], v[161:162], -v[3:4]
	scratch_store_b128 off, v[1:4], off offset:672
	v_cmpx_lt_u32_e32 40, v0
	s_cbranch_execz .LBB119_269
; %bb.268:
	scratch_load_b128 v[1:4], off, s28
	v_mov_b32_e32 v5, 0
	s_delay_alu instid0(VALU_DEP_1)
	v_dual_mov_b32 v6, v5 :: v_dual_mov_b32 v7, v5
	v_mov_b32_e32 v8, v5
	scratch_store_b128 off, v[5:8], off offset:656
	s_wait_loadcnt 0x0
	ds_store_b128 v158, v[1:4]
.LBB119_269:
	s_wait_alu 0xfffe
	s_or_b32 exec_lo, exec_lo, s0
	s_wait_storecnt_dscnt 0x0
	s_barrier_signal -1
	s_barrier_wait -1
	global_inv scope:SCOPE_SE
	s_clause 0x7
	scratch_load_b128 v[2:5], off, off offset:672
	scratch_load_b128 v[6:9], off, off offset:688
	;; [unrolled: 1-line block ×8, first 2 shown]
	v_mov_b32_e32 v1, 0
	s_mov_b32 s0, exec_lo
	ds_load_b128 v[34:37], v1 offset:1552
	s_clause 0x1
	scratch_load_b128 v[38:41], off, off offset:800
	scratch_load_b128 v[42:45], off, off offset:656
	ds_load_b128 v[159:162], v1 offset:1568
	scratch_load_b128 v[163:166], off, off offset:816
	s_wait_loadcnt_dscnt 0xa01
	v_mul_f64_e32 v[167:168], v[36:37], v[4:5]
	v_mul_f64_e32 v[4:5], v[34:35], v[4:5]
	s_delay_alu instid0(VALU_DEP_2) | instskip(NEXT) | instid1(VALU_DEP_2)
	v_fma_f64 v[173:174], v[34:35], v[2:3], -v[167:168]
	v_fma_f64 v[175:176], v[36:37], v[2:3], v[4:5]
	ds_load_b128 v[2:5], v1 offset:1584
	s_wait_loadcnt_dscnt 0x901
	v_mul_f64_e32 v[171:172], v[159:160], v[8:9]
	v_mul_f64_e32 v[8:9], v[161:162], v[8:9]
	scratch_load_b128 v[34:37], off, off offset:832
	ds_load_b128 v[167:170], v1 offset:1600
	s_wait_loadcnt_dscnt 0x901
	v_mul_f64_e32 v[177:178], v[2:3], v[12:13]
	v_mul_f64_e32 v[12:13], v[4:5], v[12:13]
	v_fma_f64 v[161:162], v[161:162], v[6:7], v[171:172]
	v_fma_f64 v[159:160], v[159:160], v[6:7], -v[8:9]
	v_add_f64_e32 v[171:172], 0, v[173:174]
	v_add_f64_e32 v[173:174], 0, v[175:176]
	scratch_load_b128 v[6:9], off, off offset:848
	v_fma_f64 v[177:178], v[4:5], v[10:11], v[177:178]
	v_fma_f64 v[179:180], v[2:3], v[10:11], -v[12:13]
	ds_load_b128 v[2:5], v1 offset:1616
	s_wait_loadcnt_dscnt 0x901
	v_mul_f64_e32 v[175:176], v[167:168], v[16:17]
	v_mul_f64_e32 v[16:17], v[169:170], v[16:17]
	scratch_load_b128 v[10:13], off, off offset:864
	v_add_f64_e32 v[171:172], v[171:172], v[159:160]
	v_add_f64_e32 v[173:174], v[173:174], v[161:162]
	s_wait_loadcnt_dscnt 0x900
	v_mul_f64_e32 v[181:182], v[2:3], v[20:21]
	v_mul_f64_e32 v[20:21], v[4:5], v[20:21]
	ds_load_b128 v[159:162], v1 offset:1632
	v_fma_f64 v[169:170], v[169:170], v[14:15], v[175:176]
	v_fma_f64 v[167:168], v[167:168], v[14:15], -v[16:17]
	scratch_load_b128 v[14:17], off, off offset:880
	v_add_f64_e32 v[171:172], v[171:172], v[179:180]
	v_add_f64_e32 v[173:174], v[173:174], v[177:178]
	v_fma_f64 v[177:178], v[4:5], v[18:19], v[181:182]
	v_fma_f64 v[179:180], v[2:3], v[18:19], -v[20:21]
	ds_load_b128 v[2:5], v1 offset:1648
	s_wait_loadcnt_dscnt 0x901
	v_mul_f64_e32 v[175:176], v[159:160], v[24:25]
	v_mul_f64_e32 v[24:25], v[161:162], v[24:25]
	scratch_load_b128 v[18:21], off, off offset:896
	s_wait_loadcnt_dscnt 0x900
	v_mul_f64_e32 v[181:182], v[2:3], v[28:29]
	v_mul_f64_e32 v[28:29], v[4:5], v[28:29]
	v_add_f64_e32 v[171:172], v[171:172], v[167:168]
	v_add_f64_e32 v[173:174], v[173:174], v[169:170]
	ds_load_b128 v[167:170], v1 offset:1664
	v_fma_f64 v[161:162], v[161:162], v[22:23], v[175:176]
	v_fma_f64 v[22:23], v[159:160], v[22:23], -v[24:25]
	v_add_f64_e32 v[24:25], v[171:172], v[179:180]
	v_add_f64_e32 v[159:160], v[173:174], v[177:178]
	s_wait_loadcnt_dscnt 0x800
	v_mul_f64_e32 v[171:172], v[167:168], v[32:33]
	v_mul_f64_e32 v[32:33], v[169:170], v[32:33]
	v_fma_f64 v[173:174], v[4:5], v[26:27], v[181:182]
	v_fma_f64 v[26:27], v[2:3], v[26:27], -v[28:29]
	v_add_f64_e32 v[28:29], v[24:25], v[22:23]
	v_add_f64_e32 v[159:160], v[159:160], v[161:162]
	ds_load_b128 v[2:5], v1 offset:1680
	ds_load_b128 v[22:25], v1 offset:1696
	v_fma_f64 v[169:170], v[169:170], v[30:31], v[171:172]
	v_fma_f64 v[30:31], v[167:168], v[30:31], -v[32:33]
	s_wait_loadcnt_dscnt 0x701
	v_mul_f64_e32 v[161:162], v[2:3], v[40:41]
	v_mul_f64_e32 v[40:41], v[4:5], v[40:41]
	s_wait_loadcnt_dscnt 0x500
	v_mul_f64_e32 v[32:33], v[22:23], v[165:166]
	v_add_f64_e32 v[26:27], v[28:29], v[26:27]
	v_add_f64_e32 v[28:29], v[159:160], v[173:174]
	v_mul_f64_e32 v[159:160], v[24:25], v[165:166]
	v_fma_f64 v[161:162], v[4:5], v[38:39], v[161:162]
	v_fma_f64 v[38:39], v[2:3], v[38:39], -v[40:41]
	v_fma_f64 v[24:25], v[24:25], v[163:164], v[32:33]
	v_add_f64_e32 v[30:31], v[26:27], v[30:31]
	v_add_f64_e32 v[40:41], v[28:29], v[169:170]
	ds_load_b128 v[2:5], v1 offset:1712
	ds_load_b128 v[26:29], v1 offset:1728
	v_fma_f64 v[22:23], v[22:23], v[163:164], -v[159:160]
	s_wait_loadcnt_dscnt 0x401
	v_mul_f64_e32 v[165:166], v[2:3], v[36:37]
	v_mul_f64_e32 v[36:37], v[4:5], v[36:37]
	v_add_f64_e32 v[30:31], v[30:31], v[38:39]
	v_add_f64_e32 v[32:33], v[40:41], v[161:162]
	s_wait_loadcnt_dscnt 0x300
	v_mul_f64_e32 v[38:39], v[26:27], v[8:9]
	v_mul_f64_e32 v[8:9], v[28:29], v[8:9]
	v_fma_f64 v[40:41], v[4:5], v[34:35], v[165:166]
	v_fma_f64 v[34:35], v[2:3], v[34:35], -v[36:37]
	v_add_f64_e32 v[30:31], v[30:31], v[22:23]
	v_add_f64_e32 v[32:33], v[32:33], v[24:25]
	ds_load_b128 v[2:5], v1 offset:1744
	ds_load_b128 v[22:25], v1 offset:1760
	v_fma_f64 v[28:29], v[28:29], v[6:7], v[38:39]
	v_fma_f64 v[6:7], v[26:27], v[6:7], -v[8:9]
	s_wait_loadcnt_dscnt 0x201
	v_mul_f64_e32 v[36:37], v[2:3], v[12:13]
	v_mul_f64_e32 v[12:13], v[4:5], v[12:13]
	v_add_f64_e32 v[8:9], v[30:31], v[34:35]
	v_add_f64_e32 v[26:27], v[32:33], v[40:41]
	s_wait_loadcnt_dscnt 0x100
	v_mul_f64_e32 v[30:31], v[22:23], v[16:17]
	v_mul_f64_e32 v[16:17], v[24:25], v[16:17]
	v_fma_f64 v[32:33], v[4:5], v[10:11], v[36:37]
	v_fma_f64 v[10:11], v[2:3], v[10:11], -v[12:13]
	ds_load_b128 v[2:5], v1 offset:1776
	v_add_f64_e32 v[6:7], v[8:9], v[6:7]
	v_add_f64_e32 v[8:9], v[26:27], v[28:29]
	v_fma_f64 v[24:25], v[24:25], v[14:15], v[30:31]
	v_fma_f64 v[14:15], v[22:23], v[14:15], -v[16:17]
	s_wait_loadcnt_dscnt 0x0
	v_mul_f64_e32 v[12:13], v[2:3], v[20:21]
	v_mul_f64_e32 v[20:21], v[4:5], v[20:21]
	v_add_f64_e32 v[6:7], v[6:7], v[10:11]
	v_add_f64_e32 v[8:9], v[8:9], v[32:33]
	s_delay_alu instid0(VALU_DEP_4) | instskip(NEXT) | instid1(VALU_DEP_4)
	v_fma_f64 v[4:5], v[4:5], v[18:19], v[12:13]
	v_fma_f64 v[2:3], v[2:3], v[18:19], -v[20:21]
	s_delay_alu instid0(VALU_DEP_4) | instskip(NEXT) | instid1(VALU_DEP_4)
	v_add_f64_e32 v[6:7], v[6:7], v[14:15]
	v_add_f64_e32 v[8:9], v[8:9], v[24:25]
	s_delay_alu instid0(VALU_DEP_2) | instskip(NEXT) | instid1(VALU_DEP_2)
	v_add_f64_e32 v[2:3], v[6:7], v[2:3]
	v_add_f64_e32 v[4:5], v[8:9], v[4:5]
	s_delay_alu instid0(VALU_DEP_2) | instskip(NEXT) | instid1(VALU_DEP_2)
	v_add_f64_e64 v[2:3], v[42:43], -v[2:3]
	v_add_f64_e64 v[4:5], v[44:45], -v[4:5]
	scratch_store_b128 off, v[2:5], off offset:656
	v_cmpx_lt_u32_e32 39, v0
	s_cbranch_execz .LBB119_271
; %bb.270:
	scratch_load_b128 v[5:8], off, s29
	v_dual_mov_b32 v2, v1 :: v_dual_mov_b32 v3, v1
	v_mov_b32_e32 v4, v1
	scratch_store_b128 off, v[1:4], off offset:640
	s_wait_loadcnt 0x0
	ds_store_b128 v158, v[5:8]
.LBB119_271:
	s_wait_alu 0xfffe
	s_or_b32 exec_lo, exec_lo, s0
	s_wait_storecnt_dscnt 0x0
	s_barrier_signal -1
	s_barrier_wait -1
	global_inv scope:SCOPE_SE
	s_clause 0x8
	scratch_load_b128 v[2:5], off, off offset:656
	scratch_load_b128 v[6:9], off, off offset:672
	;; [unrolled: 1-line block ×9, first 2 shown]
	ds_load_b128 v[38:41], v1 offset:1536
	ds_load_b128 v[42:45], v1 offset:1552
	s_clause 0x1
	scratch_load_b128 v[159:162], off, off offset:640
	scratch_load_b128 v[163:166], off, off offset:800
	s_mov_b32 s0, exec_lo
	s_wait_loadcnt_dscnt 0xa01
	v_mul_f64_e32 v[167:168], v[40:41], v[4:5]
	v_mul_f64_e32 v[4:5], v[38:39], v[4:5]
	s_wait_loadcnt_dscnt 0x900
	v_mul_f64_e32 v[171:172], v[42:43], v[8:9]
	v_mul_f64_e32 v[8:9], v[44:45], v[8:9]
	s_delay_alu instid0(VALU_DEP_4) | instskip(NEXT) | instid1(VALU_DEP_4)
	v_fma_f64 v[173:174], v[38:39], v[2:3], -v[167:168]
	v_fma_f64 v[175:176], v[40:41], v[2:3], v[4:5]
	ds_load_b128 v[2:5], v1 offset:1568
	ds_load_b128 v[167:170], v1 offset:1584
	scratch_load_b128 v[38:41], off, off offset:816
	v_fma_f64 v[44:45], v[44:45], v[6:7], v[171:172]
	v_fma_f64 v[42:43], v[42:43], v[6:7], -v[8:9]
	scratch_load_b128 v[6:9], off, off offset:832
	s_wait_loadcnt_dscnt 0xa01
	v_mul_f64_e32 v[177:178], v[2:3], v[12:13]
	v_mul_f64_e32 v[12:13], v[4:5], v[12:13]
	v_add_f64_e32 v[171:172], 0, v[173:174]
	v_add_f64_e32 v[173:174], 0, v[175:176]
	s_wait_loadcnt_dscnt 0x900
	v_mul_f64_e32 v[175:176], v[167:168], v[16:17]
	v_mul_f64_e32 v[16:17], v[169:170], v[16:17]
	v_fma_f64 v[177:178], v[4:5], v[10:11], v[177:178]
	v_fma_f64 v[179:180], v[2:3], v[10:11], -v[12:13]
	ds_load_b128 v[2:5], v1 offset:1600
	scratch_load_b128 v[10:13], off, off offset:848
	v_add_f64_e32 v[171:172], v[171:172], v[42:43]
	v_add_f64_e32 v[173:174], v[173:174], v[44:45]
	ds_load_b128 v[42:45], v1 offset:1616
	v_fma_f64 v[169:170], v[169:170], v[14:15], v[175:176]
	v_fma_f64 v[167:168], v[167:168], v[14:15], -v[16:17]
	scratch_load_b128 v[14:17], off, off offset:864
	s_wait_loadcnt_dscnt 0xa01
	v_mul_f64_e32 v[181:182], v[2:3], v[20:21]
	v_mul_f64_e32 v[20:21], v[4:5], v[20:21]
	s_wait_loadcnt_dscnt 0x900
	v_mul_f64_e32 v[175:176], v[42:43], v[24:25]
	v_mul_f64_e32 v[24:25], v[44:45], v[24:25]
	v_add_f64_e32 v[171:172], v[171:172], v[179:180]
	v_add_f64_e32 v[173:174], v[173:174], v[177:178]
	v_fma_f64 v[177:178], v[4:5], v[18:19], v[181:182]
	v_fma_f64 v[179:180], v[2:3], v[18:19], -v[20:21]
	ds_load_b128 v[2:5], v1 offset:1632
	scratch_load_b128 v[18:21], off, off offset:880
	v_fma_f64 v[44:45], v[44:45], v[22:23], v[175:176]
	v_fma_f64 v[42:43], v[42:43], v[22:23], -v[24:25]
	scratch_load_b128 v[22:25], off, off offset:896
	v_add_f64_e32 v[171:172], v[171:172], v[167:168]
	v_add_f64_e32 v[173:174], v[173:174], v[169:170]
	ds_load_b128 v[167:170], v1 offset:1648
	s_wait_loadcnt_dscnt 0xa01
	v_mul_f64_e32 v[181:182], v[2:3], v[28:29]
	v_mul_f64_e32 v[28:29], v[4:5], v[28:29]
	s_wait_loadcnt_dscnt 0x900
	v_mul_f64_e32 v[175:176], v[167:168], v[32:33]
	v_mul_f64_e32 v[32:33], v[169:170], v[32:33]
	v_add_f64_e32 v[171:172], v[171:172], v[179:180]
	v_add_f64_e32 v[173:174], v[173:174], v[177:178]
	v_fma_f64 v[177:178], v[4:5], v[26:27], v[181:182]
	v_fma_f64 v[179:180], v[2:3], v[26:27], -v[28:29]
	ds_load_b128 v[2:5], v1 offset:1664
	ds_load_b128 v[26:29], v1 offset:1680
	v_fma_f64 v[169:170], v[169:170], v[30:31], v[175:176]
	v_fma_f64 v[30:31], v[167:168], v[30:31], -v[32:33]
	v_add_f64_e32 v[42:43], v[171:172], v[42:43]
	v_add_f64_e32 v[44:45], v[173:174], v[44:45]
	s_wait_loadcnt_dscnt 0x801
	v_mul_f64_e32 v[171:172], v[2:3], v[36:37]
	v_mul_f64_e32 v[36:37], v[4:5], v[36:37]
	s_delay_alu instid0(VALU_DEP_4) | instskip(NEXT) | instid1(VALU_DEP_4)
	v_add_f64_e32 v[32:33], v[42:43], v[179:180]
	v_add_f64_e32 v[42:43], v[44:45], v[177:178]
	s_wait_loadcnt_dscnt 0x600
	v_mul_f64_e32 v[44:45], v[26:27], v[165:166]
	v_mul_f64_e32 v[165:166], v[28:29], v[165:166]
	v_fma_f64 v[167:168], v[4:5], v[34:35], v[171:172]
	v_fma_f64 v[34:35], v[2:3], v[34:35], -v[36:37]
	v_add_f64_e32 v[36:37], v[32:33], v[30:31]
	v_add_f64_e32 v[42:43], v[42:43], v[169:170]
	ds_load_b128 v[2:5], v1 offset:1696
	ds_load_b128 v[30:33], v1 offset:1712
	v_fma_f64 v[28:29], v[28:29], v[163:164], v[44:45]
	v_fma_f64 v[26:27], v[26:27], v[163:164], -v[165:166]
	s_wait_loadcnt_dscnt 0x501
	v_mul_f64_e32 v[169:170], v[2:3], v[40:41]
	v_mul_f64_e32 v[40:41], v[4:5], v[40:41]
	v_add_f64_e32 v[34:35], v[36:37], v[34:35]
	v_add_f64_e32 v[36:37], v[42:43], v[167:168]
	s_wait_loadcnt_dscnt 0x400
	v_mul_f64_e32 v[42:43], v[30:31], v[8:9]
	v_mul_f64_e32 v[8:9], v[32:33], v[8:9]
	v_fma_f64 v[44:45], v[4:5], v[38:39], v[169:170]
	v_fma_f64 v[38:39], v[2:3], v[38:39], -v[40:41]
	v_add_f64_e32 v[34:35], v[34:35], v[26:27]
	v_add_f64_e32 v[36:37], v[36:37], v[28:29]
	ds_load_b128 v[2:5], v1 offset:1728
	ds_load_b128 v[26:29], v1 offset:1744
	v_fma_f64 v[32:33], v[32:33], v[6:7], v[42:43]
	v_fma_f64 v[6:7], v[30:31], v[6:7], -v[8:9]
	s_wait_loadcnt_dscnt 0x301
	v_mul_f64_e32 v[40:41], v[2:3], v[12:13]
	v_mul_f64_e32 v[12:13], v[4:5], v[12:13]
	;; [unrolled: 16-line block ×3, first 2 shown]
	s_wait_loadcnt_dscnt 0x0
	v_mul_f64_e32 v[16:17], v[6:7], v[24:25]
	v_mul_f64_e32 v[24:25], v[8:9], v[24:25]
	v_add_f64_e32 v[10:11], v[12:13], v[10:11]
	v_add_f64_e32 v[12:13], v[30:31], v[36:37]
	v_fma_f64 v[4:5], v[4:5], v[18:19], v[32:33]
	v_fma_f64 v[1:2], v[2:3], v[18:19], -v[20:21]
	v_fma_f64 v[8:9], v[8:9], v[22:23], v[16:17]
	v_fma_f64 v[6:7], v[6:7], v[22:23], -v[24:25]
	v_add_f64_e32 v[10:11], v[10:11], v[14:15]
	v_add_f64_e32 v[12:13], v[12:13], v[28:29]
	s_delay_alu instid0(VALU_DEP_2) | instskip(NEXT) | instid1(VALU_DEP_2)
	v_add_f64_e32 v[1:2], v[10:11], v[1:2]
	v_add_f64_e32 v[3:4], v[12:13], v[4:5]
	s_delay_alu instid0(VALU_DEP_2) | instskip(NEXT) | instid1(VALU_DEP_2)
	;; [unrolled: 3-line block ×3, first 2 shown]
	v_add_f64_e64 v[1:2], v[159:160], -v[1:2]
	v_add_f64_e64 v[3:4], v[161:162], -v[3:4]
	scratch_store_b128 off, v[1:4], off offset:640
	v_cmpx_lt_u32_e32 38, v0
	s_cbranch_execz .LBB119_273
; %bb.272:
	scratch_load_b128 v[1:4], off, s30
	v_mov_b32_e32 v5, 0
	s_delay_alu instid0(VALU_DEP_1)
	v_dual_mov_b32 v6, v5 :: v_dual_mov_b32 v7, v5
	v_mov_b32_e32 v8, v5
	scratch_store_b128 off, v[5:8], off offset:624
	s_wait_loadcnt 0x0
	ds_store_b128 v158, v[1:4]
.LBB119_273:
	s_wait_alu 0xfffe
	s_or_b32 exec_lo, exec_lo, s0
	s_wait_storecnt_dscnt 0x0
	s_barrier_signal -1
	s_barrier_wait -1
	global_inv scope:SCOPE_SE
	s_clause 0x7
	scratch_load_b128 v[2:5], off, off offset:640
	scratch_load_b128 v[6:9], off, off offset:656
	;; [unrolled: 1-line block ×8, first 2 shown]
	v_mov_b32_e32 v1, 0
	s_mov_b32 s0, exec_lo
	ds_load_b128 v[34:37], v1 offset:1520
	s_clause 0x1
	scratch_load_b128 v[38:41], off, off offset:768
	scratch_load_b128 v[42:45], off, off offset:624
	ds_load_b128 v[159:162], v1 offset:1536
	scratch_load_b128 v[163:166], off, off offset:784
	s_wait_loadcnt_dscnt 0xa01
	v_mul_f64_e32 v[167:168], v[36:37], v[4:5]
	v_mul_f64_e32 v[4:5], v[34:35], v[4:5]
	s_delay_alu instid0(VALU_DEP_2) | instskip(NEXT) | instid1(VALU_DEP_2)
	v_fma_f64 v[173:174], v[34:35], v[2:3], -v[167:168]
	v_fma_f64 v[175:176], v[36:37], v[2:3], v[4:5]
	ds_load_b128 v[2:5], v1 offset:1552
	s_wait_loadcnt_dscnt 0x901
	v_mul_f64_e32 v[171:172], v[159:160], v[8:9]
	v_mul_f64_e32 v[8:9], v[161:162], v[8:9]
	scratch_load_b128 v[34:37], off, off offset:800
	ds_load_b128 v[167:170], v1 offset:1568
	s_wait_loadcnt_dscnt 0x901
	v_mul_f64_e32 v[177:178], v[2:3], v[12:13]
	v_mul_f64_e32 v[12:13], v[4:5], v[12:13]
	v_fma_f64 v[161:162], v[161:162], v[6:7], v[171:172]
	v_fma_f64 v[159:160], v[159:160], v[6:7], -v[8:9]
	v_add_f64_e32 v[171:172], 0, v[173:174]
	v_add_f64_e32 v[173:174], 0, v[175:176]
	scratch_load_b128 v[6:9], off, off offset:816
	v_fma_f64 v[177:178], v[4:5], v[10:11], v[177:178]
	v_fma_f64 v[179:180], v[2:3], v[10:11], -v[12:13]
	ds_load_b128 v[2:5], v1 offset:1584
	s_wait_loadcnt_dscnt 0x901
	v_mul_f64_e32 v[175:176], v[167:168], v[16:17]
	v_mul_f64_e32 v[16:17], v[169:170], v[16:17]
	scratch_load_b128 v[10:13], off, off offset:832
	v_add_f64_e32 v[171:172], v[171:172], v[159:160]
	v_add_f64_e32 v[173:174], v[173:174], v[161:162]
	s_wait_loadcnt_dscnt 0x900
	v_mul_f64_e32 v[181:182], v[2:3], v[20:21]
	v_mul_f64_e32 v[20:21], v[4:5], v[20:21]
	ds_load_b128 v[159:162], v1 offset:1600
	v_fma_f64 v[169:170], v[169:170], v[14:15], v[175:176]
	v_fma_f64 v[167:168], v[167:168], v[14:15], -v[16:17]
	scratch_load_b128 v[14:17], off, off offset:848
	v_add_f64_e32 v[171:172], v[171:172], v[179:180]
	v_add_f64_e32 v[173:174], v[173:174], v[177:178]
	v_fma_f64 v[177:178], v[4:5], v[18:19], v[181:182]
	v_fma_f64 v[179:180], v[2:3], v[18:19], -v[20:21]
	ds_load_b128 v[2:5], v1 offset:1616
	s_wait_loadcnt_dscnt 0x901
	v_mul_f64_e32 v[175:176], v[159:160], v[24:25]
	v_mul_f64_e32 v[24:25], v[161:162], v[24:25]
	scratch_load_b128 v[18:21], off, off offset:864
	s_wait_loadcnt_dscnt 0x900
	v_mul_f64_e32 v[181:182], v[2:3], v[28:29]
	v_mul_f64_e32 v[28:29], v[4:5], v[28:29]
	v_add_f64_e32 v[171:172], v[171:172], v[167:168]
	v_add_f64_e32 v[173:174], v[173:174], v[169:170]
	ds_load_b128 v[167:170], v1 offset:1632
	v_fma_f64 v[161:162], v[161:162], v[22:23], v[175:176]
	v_fma_f64 v[159:160], v[159:160], v[22:23], -v[24:25]
	scratch_load_b128 v[22:25], off, off offset:880
	v_add_f64_e32 v[171:172], v[171:172], v[179:180]
	v_add_f64_e32 v[173:174], v[173:174], v[177:178]
	v_fma_f64 v[177:178], v[4:5], v[26:27], v[181:182]
	v_fma_f64 v[179:180], v[2:3], v[26:27], -v[28:29]
	ds_load_b128 v[2:5], v1 offset:1648
	s_wait_loadcnt_dscnt 0x901
	v_mul_f64_e32 v[175:176], v[167:168], v[32:33]
	v_mul_f64_e32 v[32:33], v[169:170], v[32:33]
	scratch_load_b128 v[26:29], off, off offset:896
	s_wait_loadcnt_dscnt 0x900
	v_mul_f64_e32 v[181:182], v[2:3], v[40:41]
	v_mul_f64_e32 v[40:41], v[4:5], v[40:41]
	v_add_f64_e32 v[171:172], v[171:172], v[159:160]
	v_add_f64_e32 v[173:174], v[173:174], v[161:162]
	ds_load_b128 v[159:162], v1 offset:1664
	v_fma_f64 v[169:170], v[169:170], v[30:31], v[175:176]
	v_fma_f64 v[30:31], v[167:168], v[30:31], -v[32:33]
	v_add_f64_e32 v[32:33], v[171:172], v[179:180]
	v_add_f64_e32 v[167:168], v[173:174], v[177:178]
	s_wait_loadcnt_dscnt 0x700
	v_mul_f64_e32 v[171:172], v[159:160], v[165:166]
	v_mul_f64_e32 v[165:166], v[161:162], v[165:166]
	v_fma_f64 v[173:174], v[4:5], v[38:39], v[181:182]
	v_fma_f64 v[38:39], v[2:3], v[38:39], -v[40:41]
	v_add_f64_e32 v[40:41], v[32:33], v[30:31]
	v_add_f64_e32 v[167:168], v[167:168], v[169:170]
	ds_load_b128 v[2:5], v1 offset:1680
	ds_load_b128 v[30:33], v1 offset:1696
	v_fma_f64 v[161:162], v[161:162], v[163:164], v[171:172]
	v_fma_f64 v[159:160], v[159:160], v[163:164], -v[165:166]
	s_wait_loadcnt_dscnt 0x601
	v_mul_f64_e32 v[169:170], v[2:3], v[36:37]
	v_mul_f64_e32 v[36:37], v[4:5], v[36:37]
	v_add_f64_e32 v[38:39], v[40:41], v[38:39]
	v_add_f64_e32 v[40:41], v[167:168], v[173:174]
	s_wait_loadcnt_dscnt 0x500
	v_mul_f64_e32 v[163:164], v[30:31], v[8:9]
	v_mul_f64_e32 v[8:9], v[32:33], v[8:9]
	v_fma_f64 v[165:166], v[4:5], v[34:35], v[169:170]
	v_fma_f64 v[167:168], v[2:3], v[34:35], -v[36:37]
	ds_load_b128 v[2:5], v1 offset:1712
	ds_load_b128 v[34:37], v1 offset:1728
	v_add_f64_e32 v[38:39], v[38:39], v[159:160]
	v_add_f64_e32 v[40:41], v[40:41], v[161:162]
	s_wait_loadcnt_dscnt 0x401
	v_mul_f64_e32 v[159:160], v[2:3], v[12:13]
	v_mul_f64_e32 v[12:13], v[4:5], v[12:13]
	v_fma_f64 v[32:33], v[32:33], v[6:7], v[163:164]
	v_fma_f64 v[6:7], v[30:31], v[6:7], -v[8:9]
	v_add_f64_e32 v[8:9], v[38:39], v[167:168]
	v_add_f64_e32 v[30:31], v[40:41], v[165:166]
	s_wait_loadcnt_dscnt 0x300
	v_mul_f64_e32 v[38:39], v[34:35], v[16:17]
	v_mul_f64_e32 v[16:17], v[36:37], v[16:17]
	v_fma_f64 v[40:41], v[4:5], v[10:11], v[159:160]
	v_fma_f64 v[10:11], v[2:3], v[10:11], -v[12:13]
	v_add_f64_e32 v[12:13], v[8:9], v[6:7]
	v_add_f64_e32 v[30:31], v[30:31], v[32:33]
	ds_load_b128 v[2:5], v1 offset:1744
	ds_load_b128 v[6:9], v1 offset:1760
	v_fma_f64 v[36:37], v[36:37], v[14:15], v[38:39]
	v_fma_f64 v[14:15], v[34:35], v[14:15], -v[16:17]
	s_wait_loadcnt_dscnt 0x201
	v_mul_f64_e32 v[32:33], v[2:3], v[20:21]
	v_mul_f64_e32 v[20:21], v[4:5], v[20:21]
	s_wait_loadcnt_dscnt 0x100
	v_mul_f64_e32 v[16:17], v[6:7], v[24:25]
	v_mul_f64_e32 v[24:25], v[8:9], v[24:25]
	v_add_f64_e32 v[10:11], v[12:13], v[10:11]
	v_add_f64_e32 v[12:13], v[30:31], v[40:41]
	v_fma_f64 v[30:31], v[4:5], v[18:19], v[32:33]
	v_fma_f64 v[18:19], v[2:3], v[18:19], -v[20:21]
	ds_load_b128 v[2:5], v1 offset:1776
	v_fma_f64 v[8:9], v[8:9], v[22:23], v[16:17]
	v_fma_f64 v[6:7], v[6:7], v[22:23], -v[24:25]
	v_add_f64_e32 v[10:11], v[10:11], v[14:15]
	v_add_f64_e32 v[12:13], v[12:13], v[36:37]
	s_wait_loadcnt_dscnt 0x0
	v_mul_f64_e32 v[14:15], v[2:3], v[28:29]
	v_mul_f64_e32 v[20:21], v[4:5], v[28:29]
	s_delay_alu instid0(VALU_DEP_4) | instskip(NEXT) | instid1(VALU_DEP_4)
	v_add_f64_e32 v[10:11], v[10:11], v[18:19]
	v_add_f64_e32 v[12:13], v[12:13], v[30:31]
	s_delay_alu instid0(VALU_DEP_4) | instskip(NEXT) | instid1(VALU_DEP_4)
	v_fma_f64 v[4:5], v[4:5], v[26:27], v[14:15]
	v_fma_f64 v[2:3], v[2:3], v[26:27], -v[20:21]
	s_delay_alu instid0(VALU_DEP_4) | instskip(NEXT) | instid1(VALU_DEP_4)
	v_add_f64_e32 v[6:7], v[10:11], v[6:7]
	v_add_f64_e32 v[8:9], v[12:13], v[8:9]
	s_delay_alu instid0(VALU_DEP_2) | instskip(NEXT) | instid1(VALU_DEP_2)
	v_add_f64_e32 v[2:3], v[6:7], v[2:3]
	v_add_f64_e32 v[4:5], v[8:9], v[4:5]
	s_delay_alu instid0(VALU_DEP_2) | instskip(NEXT) | instid1(VALU_DEP_2)
	v_add_f64_e64 v[2:3], v[42:43], -v[2:3]
	v_add_f64_e64 v[4:5], v[44:45], -v[4:5]
	scratch_store_b128 off, v[2:5], off offset:624
	v_cmpx_lt_u32_e32 37, v0
	s_cbranch_execz .LBB119_275
; %bb.274:
	scratch_load_b128 v[5:8], off, s31
	v_dual_mov_b32 v2, v1 :: v_dual_mov_b32 v3, v1
	v_mov_b32_e32 v4, v1
	scratch_store_b128 off, v[1:4], off offset:608
	s_wait_loadcnt 0x0
	ds_store_b128 v158, v[5:8]
.LBB119_275:
	s_wait_alu 0xfffe
	s_or_b32 exec_lo, exec_lo, s0
	s_wait_storecnt_dscnt 0x0
	s_barrier_signal -1
	s_barrier_wait -1
	global_inv scope:SCOPE_SE
	s_clause 0x8
	scratch_load_b128 v[2:5], off, off offset:624
	scratch_load_b128 v[6:9], off, off offset:640
	;; [unrolled: 1-line block ×9, first 2 shown]
	ds_load_b128 v[38:41], v1 offset:1504
	ds_load_b128 v[42:45], v1 offset:1520
	s_clause 0x1
	scratch_load_b128 v[159:162], off, off offset:608
	scratch_load_b128 v[163:166], off, off offset:768
	s_mov_b32 s0, exec_lo
	s_wait_loadcnt_dscnt 0xa01
	v_mul_f64_e32 v[167:168], v[40:41], v[4:5]
	v_mul_f64_e32 v[4:5], v[38:39], v[4:5]
	s_wait_loadcnt_dscnt 0x900
	v_mul_f64_e32 v[171:172], v[42:43], v[8:9]
	v_mul_f64_e32 v[8:9], v[44:45], v[8:9]
	s_delay_alu instid0(VALU_DEP_4) | instskip(NEXT) | instid1(VALU_DEP_4)
	v_fma_f64 v[173:174], v[38:39], v[2:3], -v[167:168]
	v_fma_f64 v[175:176], v[40:41], v[2:3], v[4:5]
	ds_load_b128 v[2:5], v1 offset:1536
	ds_load_b128 v[167:170], v1 offset:1552
	scratch_load_b128 v[38:41], off, off offset:784
	v_fma_f64 v[44:45], v[44:45], v[6:7], v[171:172]
	v_fma_f64 v[42:43], v[42:43], v[6:7], -v[8:9]
	scratch_load_b128 v[6:9], off, off offset:800
	s_wait_loadcnt_dscnt 0xa01
	v_mul_f64_e32 v[177:178], v[2:3], v[12:13]
	v_mul_f64_e32 v[12:13], v[4:5], v[12:13]
	v_add_f64_e32 v[171:172], 0, v[173:174]
	v_add_f64_e32 v[173:174], 0, v[175:176]
	s_wait_loadcnt_dscnt 0x900
	v_mul_f64_e32 v[175:176], v[167:168], v[16:17]
	v_mul_f64_e32 v[16:17], v[169:170], v[16:17]
	v_fma_f64 v[177:178], v[4:5], v[10:11], v[177:178]
	v_fma_f64 v[179:180], v[2:3], v[10:11], -v[12:13]
	ds_load_b128 v[2:5], v1 offset:1568
	scratch_load_b128 v[10:13], off, off offset:816
	v_add_f64_e32 v[171:172], v[171:172], v[42:43]
	v_add_f64_e32 v[173:174], v[173:174], v[44:45]
	ds_load_b128 v[42:45], v1 offset:1584
	v_fma_f64 v[169:170], v[169:170], v[14:15], v[175:176]
	v_fma_f64 v[167:168], v[167:168], v[14:15], -v[16:17]
	scratch_load_b128 v[14:17], off, off offset:832
	s_wait_loadcnt_dscnt 0xa01
	v_mul_f64_e32 v[181:182], v[2:3], v[20:21]
	v_mul_f64_e32 v[20:21], v[4:5], v[20:21]
	s_wait_loadcnt_dscnt 0x900
	v_mul_f64_e32 v[175:176], v[42:43], v[24:25]
	v_mul_f64_e32 v[24:25], v[44:45], v[24:25]
	v_add_f64_e32 v[171:172], v[171:172], v[179:180]
	v_add_f64_e32 v[173:174], v[173:174], v[177:178]
	v_fma_f64 v[177:178], v[4:5], v[18:19], v[181:182]
	v_fma_f64 v[179:180], v[2:3], v[18:19], -v[20:21]
	ds_load_b128 v[2:5], v1 offset:1600
	scratch_load_b128 v[18:21], off, off offset:848
	v_fma_f64 v[44:45], v[44:45], v[22:23], v[175:176]
	v_fma_f64 v[42:43], v[42:43], v[22:23], -v[24:25]
	scratch_load_b128 v[22:25], off, off offset:864
	v_add_f64_e32 v[171:172], v[171:172], v[167:168]
	v_add_f64_e32 v[173:174], v[173:174], v[169:170]
	ds_load_b128 v[167:170], v1 offset:1616
	s_wait_loadcnt_dscnt 0xa01
	v_mul_f64_e32 v[181:182], v[2:3], v[28:29]
	v_mul_f64_e32 v[28:29], v[4:5], v[28:29]
	s_wait_loadcnt_dscnt 0x900
	v_mul_f64_e32 v[175:176], v[167:168], v[32:33]
	v_mul_f64_e32 v[32:33], v[169:170], v[32:33]
	v_add_f64_e32 v[171:172], v[171:172], v[179:180]
	v_add_f64_e32 v[173:174], v[173:174], v[177:178]
	v_fma_f64 v[177:178], v[4:5], v[26:27], v[181:182]
	v_fma_f64 v[179:180], v[2:3], v[26:27], -v[28:29]
	ds_load_b128 v[2:5], v1 offset:1632
	scratch_load_b128 v[26:29], off, off offset:880
	v_fma_f64 v[169:170], v[169:170], v[30:31], v[175:176]
	v_fma_f64 v[167:168], v[167:168], v[30:31], -v[32:33]
	scratch_load_b128 v[30:33], off, off offset:896
	v_add_f64_e32 v[171:172], v[171:172], v[42:43]
	v_add_f64_e32 v[173:174], v[173:174], v[44:45]
	ds_load_b128 v[42:45], v1 offset:1648
	s_wait_loadcnt_dscnt 0xa01
	v_mul_f64_e32 v[181:182], v[2:3], v[36:37]
	v_mul_f64_e32 v[36:37], v[4:5], v[36:37]
	s_wait_loadcnt_dscnt 0x800
	v_mul_f64_e32 v[175:176], v[42:43], v[165:166]
	v_mul_f64_e32 v[165:166], v[44:45], v[165:166]
	v_add_f64_e32 v[171:172], v[171:172], v[179:180]
	v_add_f64_e32 v[173:174], v[173:174], v[177:178]
	v_fma_f64 v[177:178], v[4:5], v[34:35], v[181:182]
	v_fma_f64 v[179:180], v[2:3], v[34:35], -v[36:37]
	ds_load_b128 v[2:5], v1 offset:1664
	ds_load_b128 v[34:37], v1 offset:1680
	v_fma_f64 v[44:45], v[44:45], v[163:164], v[175:176]
	v_fma_f64 v[42:43], v[42:43], v[163:164], -v[165:166]
	v_add_f64_e32 v[167:168], v[171:172], v[167:168]
	v_add_f64_e32 v[169:170], v[173:174], v[169:170]
	s_wait_loadcnt_dscnt 0x701
	v_mul_f64_e32 v[171:172], v[2:3], v[40:41]
	v_mul_f64_e32 v[40:41], v[4:5], v[40:41]
	s_delay_alu instid0(VALU_DEP_4) | instskip(NEXT) | instid1(VALU_DEP_4)
	v_add_f64_e32 v[163:164], v[167:168], v[179:180]
	v_add_f64_e32 v[165:166], v[169:170], v[177:178]
	s_wait_loadcnt_dscnt 0x600
	v_mul_f64_e32 v[167:168], v[34:35], v[8:9]
	v_mul_f64_e32 v[8:9], v[36:37], v[8:9]
	v_fma_f64 v[169:170], v[4:5], v[38:39], v[171:172]
	v_fma_f64 v[171:172], v[2:3], v[38:39], -v[40:41]
	ds_load_b128 v[2:5], v1 offset:1696
	ds_load_b128 v[38:41], v1 offset:1712
	v_add_f64_e32 v[42:43], v[163:164], v[42:43]
	v_add_f64_e32 v[44:45], v[165:166], v[44:45]
	v_fma_f64 v[36:37], v[36:37], v[6:7], v[167:168]
	s_wait_loadcnt_dscnt 0x501
	v_mul_f64_e32 v[163:164], v[2:3], v[12:13]
	v_mul_f64_e32 v[12:13], v[4:5], v[12:13]
	v_fma_f64 v[6:7], v[34:35], v[6:7], -v[8:9]
	v_add_f64_e32 v[8:9], v[42:43], v[171:172]
	v_add_f64_e32 v[34:35], v[44:45], v[169:170]
	s_wait_loadcnt_dscnt 0x400
	v_mul_f64_e32 v[42:43], v[38:39], v[16:17]
	v_mul_f64_e32 v[16:17], v[40:41], v[16:17]
	v_fma_f64 v[44:45], v[4:5], v[10:11], v[163:164]
	v_fma_f64 v[10:11], v[2:3], v[10:11], -v[12:13]
	v_add_f64_e32 v[12:13], v[8:9], v[6:7]
	v_add_f64_e32 v[34:35], v[34:35], v[36:37]
	ds_load_b128 v[2:5], v1 offset:1728
	ds_load_b128 v[6:9], v1 offset:1744
	v_fma_f64 v[40:41], v[40:41], v[14:15], v[42:43]
	v_fma_f64 v[14:15], v[38:39], v[14:15], -v[16:17]
	s_wait_loadcnt_dscnt 0x301
	v_mul_f64_e32 v[36:37], v[2:3], v[20:21]
	v_mul_f64_e32 v[20:21], v[4:5], v[20:21]
	s_wait_loadcnt_dscnt 0x200
	v_mul_f64_e32 v[16:17], v[6:7], v[24:25]
	v_mul_f64_e32 v[24:25], v[8:9], v[24:25]
	v_add_f64_e32 v[10:11], v[12:13], v[10:11]
	v_add_f64_e32 v[12:13], v[34:35], v[44:45]
	v_fma_f64 v[34:35], v[4:5], v[18:19], v[36:37]
	v_fma_f64 v[18:19], v[2:3], v[18:19], -v[20:21]
	v_fma_f64 v[8:9], v[8:9], v[22:23], v[16:17]
	v_fma_f64 v[6:7], v[6:7], v[22:23], -v[24:25]
	v_add_f64_e32 v[14:15], v[10:11], v[14:15]
	v_add_f64_e32 v[20:21], v[12:13], v[40:41]
	ds_load_b128 v[2:5], v1 offset:1760
	ds_load_b128 v[10:13], v1 offset:1776
	s_wait_loadcnt_dscnt 0x101
	v_mul_f64_e32 v[36:37], v[2:3], v[28:29]
	v_mul_f64_e32 v[28:29], v[4:5], v[28:29]
	v_add_f64_e32 v[14:15], v[14:15], v[18:19]
	v_add_f64_e32 v[16:17], v[20:21], v[34:35]
	s_wait_loadcnt_dscnt 0x0
	v_mul_f64_e32 v[18:19], v[10:11], v[32:33]
	v_mul_f64_e32 v[20:21], v[12:13], v[32:33]
	v_fma_f64 v[4:5], v[4:5], v[26:27], v[36:37]
	v_fma_f64 v[1:2], v[2:3], v[26:27], -v[28:29]
	v_add_f64_e32 v[6:7], v[14:15], v[6:7]
	v_add_f64_e32 v[8:9], v[16:17], v[8:9]
	v_fma_f64 v[12:13], v[12:13], v[30:31], v[18:19]
	v_fma_f64 v[10:11], v[10:11], v[30:31], -v[20:21]
	s_delay_alu instid0(VALU_DEP_4) | instskip(NEXT) | instid1(VALU_DEP_4)
	v_add_f64_e32 v[1:2], v[6:7], v[1:2]
	v_add_f64_e32 v[3:4], v[8:9], v[4:5]
	s_delay_alu instid0(VALU_DEP_2) | instskip(NEXT) | instid1(VALU_DEP_2)
	v_add_f64_e32 v[1:2], v[1:2], v[10:11]
	v_add_f64_e32 v[3:4], v[3:4], v[12:13]
	s_delay_alu instid0(VALU_DEP_2) | instskip(NEXT) | instid1(VALU_DEP_2)
	v_add_f64_e64 v[1:2], v[159:160], -v[1:2]
	v_add_f64_e64 v[3:4], v[161:162], -v[3:4]
	scratch_store_b128 off, v[1:4], off offset:608
	v_cmpx_lt_u32_e32 36, v0
	s_cbranch_execz .LBB119_277
; %bb.276:
	scratch_load_b128 v[1:4], off, s33
	v_mov_b32_e32 v5, 0
	s_delay_alu instid0(VALU_DEP_1)
	v_dual_mov_b32 v6, v5 :: v_dual_mov_b32 v7, v5
	v_mov_b32_e32 v8, v5
	scratch_store_b128 off, v[5:8], off offset:592
	s_wait_loadcnt 0x0
	ds_store_b128 v158, v[1:4]
.LBB119_277:
	s_wait_alu 0xfffe
	s_or_b32 exec_lo, exec_lo, s0
	s_wait_storecnt_dscnt 0x0
	s_barrier_signal -1
	s_barrier_wait -1
	global_inv scope:SCOPE_SE
	s_clause 0x7
	scratch_load_b128 v[2:5], off, off offset:608
	scratch_load_b128 v[6:9], off, off offset:624
	;; [unrolled: 1-line block ×8, first 2 shown]
	v_mov_b32_e32 v1, 0
	s_mov_b32 s0, exec_lo
	ds_load_b128 v[34:37], v1 offset:1488
	s_clause 0x1
	scratch_load_b128 v[38:41], off, off offset:736
	scratch_load_b128 v[42:45], off, off offset:592
	ds_load_b128 v[159:162], v1 offset:1504
	scratch_load_b128 v[163:166], off, off offset:752
	s_wait_loadcnt_dscnt 0xa01
	v_mul_f64_e32 v[167:168], v[36:37], v[4:5]
	v_mul_f64_e32 v[4:5], v[34:35], v[4:5]
	s_delay_alu instid0(VALU_DEP_2) | instskip(NEXT) | instid1(VALU_DEP_2)
	v_fma_f64 v[173:174], v[34:35], v[2:3], -v[167:168]
	v_fma_f64 v[175:176], v[36:37], v[2:3], v[4:5]
	ds_load_b128 v[2:5], v1 offset:1520
	s_wait_loadcnt_dscnt 0x901
	v_mul_f64_e32 v[171:172], v[159:160], v[8:9]
	v_mul_f64_e32 v[8:9], v[161:162], v[8:9]
	scratch_load_b128 v[34:37], off, off offset:768
	ds_load_b128 v[167:170], v1 offset:1536
	s_wait_loadcnt_dscnt 0x901
	v_mul_f64_e32 v[177:178], v[2:3], v[12:13]
	v_mul_f64_e32 v[12:13], v[4:5], v[12:13]
	v_fma_f64 v[161:162], v[161:162], v[6:7], v[171:172]
	v_fma_f64 v[159:160], v[159:160], v[6:7], -v[8:9]
	v_add_f64_e32 v[171:172], 0, v[173:174]
	v_add_f64_e32 v[173:174], 0, v[175:176]
	scratch_load_b128 v[6:9], off, off offset:784
	v_fma_f64 v[177:178], v[4:5], v[10:11], v[177:178]
	v_fma_f64 v[179:180], v[2:3], v[10:11], -v[12:13]
	ds_load_b128 v[2:5], v1 offset:1552
	s_wait_loadcnt_dscnt 0x901
	v_mul_f64_e32 v[175:176], v[167:168], v[16:17]
	v_mul_f64_e32 v[16:17], v[169:170], v[16:17]
	scratch_load_b128 v[10:13], off, off offset:800
	v_add_f64_e32 v[171:172], v[171:172], v[159:160]
	v_add_f64_e32 v[173:174], v[173:174], v[161:162]
	s_wait_loadcnt_dscnt 0x900
	v_mul_f64_e32 v[181:182], v[2:3], v[20:21]
	v_mul_f64_e32 v[20:21], v[4:5], v[20:21]
	ds_load_b128 v[159:162], v1 offset:1568
	v_fma_f64 v[169:170], v[169:170], v[14:15], v[175:176]
	v_fma_f64 v[167:168], v[167:168], v[14:15], -v[16:17]
	scratch_load_b128 v[14:17], off, off offset:816
	v_add_f64_e32 v[171:172], v[171:172], v[179:180]
	v_add_f64_e32 v[173:174], v[173:174], v[177:178]
	v_fma_f64 v[177:178], v[4:5], v[18:19], v[181:182]
	v_fma_f64 v[179:180], v[2:3], v[18:19], -v[20:21]
	ds_load_b128 v[2:5], v1 offset:1584
	s_wait_loadcnt_dscnt 0x901
	v_mul_f64_e32 v[175:176], v[159:160], v[24:25]
	v_mul_f64_e32 v[24:25], v[161:162], v[24:25]
	scratch_load_b128 v[18:21], off, off offset:832
	s_wait_loadcnt_dscnt 0x900
	v_mul_f64_e32 v[181:182], v[2:3], v[28:29]
	v_mul_f64_e32 v[28:29], v[4:5], v[28:29]
	v_add_f64_e32 v[171:172], v[171:172], v[167:168]
	v_add_f64_e32 v[173:174], v[173:174], v[169:170]
	ds_load_b128 v[167:170], v1 offset:1600
	v_fma_f64 v[161:162], v[161:162], v[22:23], v[175:176]
	v_fma_f64 v[159:160], v[159:160], v[22:23], -v[24:25]
	scratch_load_b128 v[22:25], off, off offset:848
	v_add_f64_e32 v[171:172], v[171:172], v[179:180]
	v_add_f64_e32 v[173:174], v[173:174], v[177:178]
	v_fma_f64 v[177:178], v[4:5], v[26:27], v[181:182]
	v_fma_f64 v[179:180], v[2:3], v[26:27], -v[28:29]
	ds_load_b128 v[2:5], v1 offset:1616
	s_wait_loadcnt_dscnt 0x901
	v_mul_f64_e32 v[175:176], v[167:168], v[32:33]
	v_mul_f64_e32 v[32:33], v[169:170], v[32:33]
	scratch_load_b128 v[26:29], off, off offset:864
	s_wait_loadcnt_dscnt 0x900
	v_mul_f64_e32 v[181:182], v[2:3], v[40:41]
	v_mul_f64_e32 v[40:41], v[4:5], v[40:41]
	v_add_f64_e32 v[171:172], v[171:172], v[159:160]
	v_add_f64_e32 v[173:174], v[173:174], v[161:162]
	ds_load_b128 v[159:162], v1 offset:1632
	v_fma_f64 v[169:170], v[169:170], v[30:31], v[175:176]
	v_fma_f64 v[167:168], v[167:168], v[30:31], -v[32:33]
	scratch_load_b128 v[30:33], off, off offset:880
	v_add_f64_e32 v[171:172], v[171:172], v[179:180]
	v_add_f64_e32 v[173:174], v[173:174], v[177:178]
	v_fma_f64 v[179:180], v[4:5], v[38:39], v[181:182]
	v_fma_f64 v[181:182], v[2:3], v[38:39], -v[40:41]
	ds_load_b128 v[2:5], v1 offset:1648
	s_wait_loadcnt_dscnt 0x801
	v_mul_f64_e32 v[175:176], v[159:160], v[165:166]
	v_mul_f64_e32 v[177:178], v[161:162], v[165:166]
	scratch_load_b128 v[38:41], off, off offset:896
	v_add_f64_e32 v[171:172], v[171:172], v[167:168]
	v_add_f64_e32 v[169:170], v[173:174], v[169:170]
	ds_load_b128 v[165:168], v1 offset:1664
	v_fma_f64 v[161:162], v[161:162], v[163:164], v[175:176]
	v_fma_f64 v[159:160], v[159:160], v[163:164], -v[177:178]
	s_wait_loadcnt_dscnt 0x801
	v_mul_f64_e32 v[173:174], v[2:3], v[36:37]
	v_mul_f64_e32 v[36:37], v[4:5], v[36:37]
	v_add_f64_e32 v[163:164], v[171:172], v[181:182]
	v_add_f64_e32 v[169:170], v[169:170], v[179:180]
	s_delay_alu instid0(VALU_DEP_4) | instskip(NEXT) | instid1(VALU_DEP_4)
	v_fma_f64 v[173:174], v[4:5], v[34:35], v[173:174]
	v_fma_f64 v[175:176], v[2:3], v[34:35], -v[36:37]
	s_wait_loadcnt_dscnt 0x700
	v_mul_f64_e32 v[171:172], v[165:166], v[8:9]
	v_mul_f64_e32 v[8:9], v[167:168], v[8:9]
	ds_load_b128 v[2:5], v1 offset:1680
	ds_load_b128 v[34:37], v1 offset:1696
	v_add_f64_e32 v[159:160], v[163:164], v[159:160]
	v_add_f64_e32 v[161:162], v[169:170], v[161:162]
	s_wait_loadcnt_dscnt 0x601
	v_mul_f64_e32 v[163:164], v[2:3], v[12:13]
	v_mul_f64_e32 v[12:13], v[4:5], v[12:13]
	v_fma_f64 v[167:168], v[167:168], v[6:7], v[171:172]
	v_fma_f64 v[6:7], v[165:166], v[6:7], -v[8:9]
	v_add_f64_e32 v[8:9], v[159:160], v[175:176]
	v_add_f64_e32 v[159:160], v[161:162], v[173:174]
	s_wait_loadcnt_dscnt 0x500
	v_mul_f64_e32 v[161:162], v[34:35], v[16:17]
	v_mul_f64_e32 v[16:17], v[36:37], v[16:17]
	v_fma_f64 v[163:164], v[4:5], v[10:11], v[163:164]
	v_fma_f64 v[10:11], v[2:3], v[10:11], -v[12:13]
	v_add_f64_e32 v[12:13], v[8:9], v[6:7]
	v_add_f64_e32 v[159:160], v[159:160], v[167:168]
	ds_load_b128 v[2:5], v1 offset:1712
	ds_load_b128 v[6:9], v1 offset:1728
	v_fma_f64 v[36:37], v[36:37], v[14:15], v[161:162]
	v_fma_f64 v[14:15], v[34:35], v[14:15], -v[16:17]
	s_wait_loadcnt_dscnt 0x401
	v_mul_f64_e32 v[165:166], v[2:3], v[20:21]
	v_mul_f64_e32 v[20:21], v[4:5], v[20:21]
	s_wait_loadcnt_dscnt 0x300
	v_mul_f64_e32 v[16:17], v[6:7], v[24:25]
	v_mul_f64_e32 v[24:25], v[8:9], v[24:25]
	v_add_f64_e32 v[10:11], v[12:13], v[10:11]
	v_add_f64_e32 v[12:13], v[159:160], v[163:164]
	v_fma_f64 v[34:35], v[4:5], v[18:19], v[165:166]
	v_fma_f64 v[18:19], v[2:3], v[18:19], -v[20:21]
	v_fma_f64 v[8:9], v[8:9], v[22:23], v[16:17]
	v_fma_f64 v[6:7], v[6:7], v[22:23], -v[24:25]
	v_add_f64_e32 v[14:15], v[10:11], v[14:15]
	v_add_f64_e32 v[20:21], v[12:13], v[36:37]
	ds_load_b128 v[2:5], v1 offset:1744
	ds_load_b128 v[10:13], v1 offset:1760
	s_wait_loadcnt_dscnt 0x201
	v_mul_f64_e32 v[36:37], v[2:3], v[28:29]
	v_mul_f64_e32 v[28:29], v[4:5], v[28:29]
	v_add_f64_e32 v[14:15], v[14:15], v[18:19]
	v_add_f64_e32 v[16:17], v[20:21], v[34:35]
	s_wait_loadcnt_dscnt 0x100
	v_mul_f64_e32 v[18:19], v[10:11], v[32:33]
	v_mul_f64_e32 v[20:21], v[12:13], v[32:33]
	v_fma_f64 v[22:23], v[4:5], v[26:27], v[36:37]
	v_fma_f64 v[24:25], v[2:3], v[26:27], -v[28:29]
	ds_load_b128 v[2:5], v1 offset:1776
	v_add_f64_e32 v[6:7], v[14:15], v[6:7]
	v_add_f64_e32 v[8:9], v[16:17], v[8:9]
	v_fma_f64 v[12:13], v[12:13], v[30:31], v[18:19]
	v_fma_f64 v[10:11], v[10:11], v[30:31], -v[20:21]
	s_wait_loadcnt_dscnt 0x0
	v_mul_f64_e32 v[14:15], v[2:3], v[40:41]
	v_mul_f64_e32 v[16:17], v[4:5], v[40:41]
	v_add_f64_e32 v[6:7], v[6:7], v[24:25]
	v_add_f64_e32 v[8:9], v[8:9], v[22:23]
	s_delay_alu instid0(VALU_DEP_4) | instskip(NEXT) | instid1(VALU_DEP_4)
	v_fma_f64 v[4:5], v[4:5], v[38:39], v[14:15]
	v_fma_f64 v[2:3], v[2:3], v[38:39], -v[16:17]
	s_delay_alu instid0(VALU_DEP_4) | instskip(NEXT) | instid1(VALU_DEP_4)
	v_add_f64_e32 v[6:7], v[6:7], v[10:11]
	v_add_f64_e32 v[8:9], v[8:9], v[12:13]
	s_delay_alu instid0(VALU_DEP_2) | instskip(NEXT) | instid1(VALU_DEP_2)
	v_add_f64_e32 v[2:3], v[6:7], v[2:3]
	v_add_f64_e32 v[4:5], v[8:9], v[4:5]
	s_delay_alu instid0(VALU_DEP_2) | instskip(NEXT) | instid1(VALU_DEP_2)
	v_add_f64_e64 v[2:3], v[42:43], -v[2:3]
	v_add_f64_e64 v[4:5], v[44:45], -v[4:5]
	scratch_store_b128 off, v[2:5], off offset:592
	v_cmpx_lt_u32_e32 35, v0
	s_cbranch_execz .LBB119_279
; %bb.278:
	scratch_load_b128 v[5:8], off, s34
	v_dual_mov_b32 v2, v1 :: v_dual_mov_b32 v3, v1
	v_mov_b32_e32 v4, v1
	scratch_store_b128 off, v[1:4], off offset:576
	s_wait_loadcnt 0x0
	ds_store_b128 v158, v[5:8]
.LBB119_279:
	s_wait_alu 0xfffe
	s_or_b32 exec_lo, exec_lo, s0
	s_wait_storecnt_dscnt 0x0
	s_barrier_signal -1
	s_barrier_wait -1
	global_inv scope:SCOPE_SE
	s_clause 0x8
	scratch_load_b128 v[2:5], off, off offset:592
	scratch_load_b128 v[6:9], off, off offset:608
	;; [unrolled: 1-line block ×9, first 2 shown]
	ds_load_b128 v[38:41], v1 offset:1472
	ds_load_b128 v[42:45], v1 offset:1488
	s_clause 0x1
	scratch_load_b128 v[159:162], off, off offset:576
	scratch_load_b128 v[163:166], off, off offset:736
	s_mov_b32 s0, exec_lo
	s_wait_loadcnt_dscnt 0xa01
	v_mul_f64_e32 v[167:168], v[40:41], v[4:5]
	v_mul_f64_e32 v[4:5], v[38:39], v[4:5]
	s_wait_loadcnt_dscnt 0x900
	v_mul_f64_e32 v[171:172], v[42:43], v[8:9]
	v_mul_f64_e32 v[8:9], v[44:45], v[8:9]
	s_delay_alu instid0(VALU_DEP_4) | instskip(NEXT) | instid1(VALU_DEP_4)
	v_fma_f64 v[173:174], v[38:39], v[2:3], -v[167:168]
	v_fma_f64 v[175:176], v[40:41], v[2:3], v[4:5]
	ds_load_b128 v[2:5], v1 offset:1504
	ds_load_b128 v[167:170], v1 offset:1520
	scratch_load_b128 v[38:41], off, off offset:752
	v_fma_f64 v[44:45], v[44:45], v[6:7], v[171:172]
	v_fma_f64 v[42:43], v[42:43], v[6:7], -v[8:9]
	scratch_load_b128 v[6:9], off, off offset:768
	s_wait_loadcnt_dscnt 0xa01
	v_mul_f64_e32 v[177:178], v[2:3], v[12:13]
	v_mul_f64_e32 v[12:13], v[4:5], v[12:13]
	v_add_f64_e32 v[171:172], 0, v[173:174]
	v_add_f64_e32 v[173:174], 0, v[175:176]
	s_wait_loadcnt_dscnt 0x900
	v_mul_f64_e32 v[175:176], v[167:168], v[16:17]
	v_mul_f64_e32 v[16:17], v[169:170], v[16:17]
	v_fma_f64 v[177:178], v[4:5], v[10:11], v[177:178]
	v_fma_f64 v[179:180], v[2:3], v[10:11], -v[12:13]
	ds_load_b128 v[2:5], v1 offset:1536
	scratch_load_b128 v[10:13], off, off offset:784
	v_add_f64_e32 v[171:172], v[171:172], v[42:43]
	v_add_f64_e32 v[173:174], v[173:174], v[44:45]
	ds_load_b128 v[42:45], v1 offset:1552
	v_fma_f64 v[169:170], v[169:170], v[14:15], v[175:176]
	v_fma_f64 v[167:168], v[167:168], v[14:15], -v[16:17]
	scratch_load_b128 v[14:17], off, off offset:800
	s_wait_loadcnt_dscnt 0xa01
	v_mul_f64_e32 v[181:182], v[2:3], v[20:21]
	v_mul_f64_e32 v[20:21], v[4:5], v[20:21]
	s_wait_loadcnt_dscnt 0x900
	v_mul_f64_e32 v[175:176], v[42:43], v[24:25]
	v_mul_f64_e32 v[24:25], v[44:45], v[24:25]
	v_add_f64_e32 v[171:172], v[171:172], v[179:180]
	v_add_f64_e32 v[173:174], v[173:174], v[177:178]
	v_fma_f64 v[177:178], v[4:5], v[18:19], v[181:182]
	v_fma_f64 v[179:180], v[2:3], v[18:19], -v[20:21]
	ds_load_b128 v[2:5], v1 offset:1568
	scratch_load_b128 v[18:21], off, off offset:816
	v_fma_f64 v[44:45], v[44:45], v[22:23], v[175:176]
	v_fma_f64 v[42:43], v[42:43], v[22:23], -v[24:25]
	scratch_load_b128 v[22:25], off, off offset:832
	v_add_f64_e32 v[171:172], v[171:172], v[167:168]
	v_add_f64_e32 v[173:174], v[173:174], v[169:170]
	ds_load_b128 v[167:170], v1 offset:1584
	s_wait_loadcnt_dscnt 0xa01
	v_mul_f64_e32 v[181:182], v[2:3], v[28:29]
	v_mul_f64_e32 v[28:29], v[4:5], v[28:29]
	s_wait_loadcnt_dscnt 0x900
	v_mul_f64_e32 v[175:176], v[167:168], v[32:33]
	v_mul_f64_e32 v[32:33], v[169:170], v[32:33]
	v_add_f64_e32 v[171:172], v[171:172], v[179:180]
	v_add_f64_e32 v[173:174], v[173:174], v[177:178]
	v_fma_f64 v[177:178], v[4:5], v[26:27], v[181:182]
	v_fma_f64 v[179:180], v[2:3], v[26:27], -v[28:29]
	ds_load_b128 v[2:5], v1 offset:1600
	scratch_load_b128 v[26:29], off, off offset:848
	v_fma_f64 v[169:170], v[169:170], v[30:31], v[175:176]
	v_fma_f64 v[167:168], v[167:168], v[30:31], -v[32:33]
	scratch_load_b128 v[30:33], off, off offset:864
	v_add_f64_e32 v[171:172], v[171:172], v[42:43]
	v_add_f64_e32 v[173:174], v[173:174], v[44:45]
	ds_load_b128 v[42:45], v1 offset:1616
	s_wait_loadcnt_dscnt 0xa01
	v_mul_f64_e32 v[181:182], v[2:3], v[36:37]
	v_mul_f64_e32 v[36:37], v[4:5], v[36:37]
	s_wait_loadcnt_dscnt 0x800
	v_mul_f64_e32 v[175:176], v[42:43], v[165:166]
	v_add_f64_e32 v[171:172], v[171:172], v[179:180]
	v_add_f64_e32 v[173:174], v[173:174], v[177:178]
	v_mul_f64_e32 v[177:178], v[44:45], v[165:166]
	v_fma_f64 v[179:180], v[4:5], v[34:35], v[181:182]
	v_fma_f64 v[181:182], v[2:3], v[34:35], -v[36:37]
	ds_load_b128 v[2:5], v1 offset:1632
	scratch_load_b128 v[34:37], off, off offset:880
	v_fma_f64 v[44:45], v[44:45], v[163:164], v[175:176]
	v_add_f64_e32 v[171:172], v[171:172], v[167:168]
	v_add_f64_e32 v[169:170], v[173:174], v[169:170]
	ds_load_b128 v[165:168], v1 offset:1648
	v_fma_f64 v[163:164], v[42:43], v[163:164], -v[177:178]
	s_wait_loadcnt_dscnt 0x801
	v_mul_f64_e32 v[173:174], v[2:3], v[40:41]
	v_mul_f64_e32 v[183:184], v[4:5], v[40:41]
	scratch_load_b128 v[40:43], off, off offset:896
	s_wait_loadcnt_dscnt 0x800
	v_mul_f64_e32 v[175:176], v[165:166], v[8:9]
	v_mul_f64_e32 v[8:9], v[167:168], v[8:9]
	v_add_f64_e32 v[171:172], v[171:172], v[181:182]
	v_add_f64_e32 v[169:170], v[169:170], v[179:180]
	v_fma_f64 v[173:174], v[4:5], v[38:39], v[173:174]
	v_fma_f64 v[38:39], v[2:3], v[38:39], -v[183:184]
	v_fma_f64 v[167:168], v[167:168], v[6:7], v[175:176]
	v_fma_f64 v[6:7], v[165:166], v[6:7], -v[8:9]
	v_add_f64_e32 v[163:164], v[171:172], v[163:164]
	v_add_f64_e32 v[44:45], v[169:170], v[44:45]
	ds_load_b128 v[2:5], v1 offset:1664
	ds_load_b128 v[169:172], v1 offset:1680
	s_wait_loadcnt_dscnt 0x701
	v_mul_f64_e32 v[177:178], v[2:3], v[12:13]
	v_mul_f64_e32 v[12:13], v[4:5], v[12:13]
	v_add_f64_e32 v[8:9], v[163:164], v[38:39]
	v_add_f64_e32 v[38:39], v[44:45], v[173:174]
	s_wait_loadcnt_dscnt 0x600
	v_mul_f64_e32 v[44:45], v[169:170], v[16:17]
	v_mul_f64_e32 v[16:17], v[171:172], v[16:17]
	v_fma_f64 v[163:164], v[4:5], v[10:11], v[177:178]
	v_fma_f64 v[10:11], v[2:3], v[10:11], -v[12:13]
	v_add_f64_e32 v[12:13], v[8:9], v[6:7]
	v_add_f64_e32 v[38:39], v[38:39], v[167:168]
	ds_load_b128 v[2:5], v1 offset:1696
	ds_load_b128 v[6:9], v1 offset:1712
	v_fma_f64 v[44:45], v[171:172], v[14:15], v[44:45]
	v_fma_f64 v[14:15], v[169:170], v[14:15], -v[16:17]
	s_wait_loadcnt_dscnt 0x501
	v_mul_f64_e32 v[165:166], v[2:3], v[20:21]
	v_mul_f64_e32 v[20:21], v[4:5], v[20:21]
	s_wait_loadcnt_dscnt 0x400
	v_mul_f64_e32 v[16:17], v[6:7], v[24:25]
	v_mul_f64_e32 v[24:25], v[8:9], v[24:25]
	v_add_f64_e32 v[10:11], v[12:13], v[10:11]
	v_add_f64_e32 v[12:13], v[38:39], v[163:164]
	v_fma_f64 v[38:39], v[4:5], v[18:19], v[165:166]
	v_fma_f64 v[18:19], v[2:3], v[18:19], -v[20:21]
	v_fma_f64 v[8:9], v[8:9], v[22:23], v[16:17]
	v_fma_f64 v[6:7], v[6:7], v[22:23], -v[24:25]
	v_add_f64_e32 v[14:15], v[10:11], v[14:15]
	v_add_f64_e32 v[20:21], v[12:13], v[44:45]
	ds_load_b128 v[2:5], v1 offset:1728
	ds_load_b128 v[10:13], v1 offset:1744
	s_wait_loadcnt_dscnt 0x301
	v_mul_f64_e32 v[44:45], v[2:3], v[28:29]
	v_mul_f64_e32 v[28:29], v[4:5], v[28:29]
	v_add_f64_e32 v[14:15], v[14:15], v[18:19]
	v_add_f64_e32 v[16:17], v[20:21], v[38:39]
	s_wait_loadcnt_dscnt 0x200
	v_mul_f64_e32 v[18:19], v[10:11], v[32:33]
	v_mul_f64_e32 v[20:21], v[12:13], v[32:33]
	v_fma_f64 v[22:23], v[4:5], v[26:27], v[44:45]
	v_fma_f64 v[24:25], v[2:3], v[26:27], -v[28:29]
	v_add_f64_e32 v[14:15], v[14:15], v[6:7]
	v_add_f64_e32 v[16:17], v[16:17], v[8:9]
	ds_load_b128 v[2:5], v1 offset:1760
	ds_load_b128 v[6:9], v1 offset:1776
	v_fma_f64 v[12:13], v[12:13], v[30:31], v[18:19]
	v_fma_f64 v[10:11], v[10:11], v[30:31], -v[20:21]
	s_wait_loadcnt_dscnt 0x101
	v_mul_f64_e32 v[26:27], v[2:3], v[36:37]
	v_mul_f64_e32 v[28:29], v[4:5], v[36:37]
	s_wait_loadcnt_dscnt 0x0
	v_mul_f64_e32 v[18:19], v[6:7], v[42:43]
	v_add_f64_e32 v[14:15], v[14:15], v[24:25]
	v_add_f64_e32 v[16:17], v[16:17], v[22:23]
	v_mul_f64_e32 v[20:21], v[8:9], v[42:43]
	v_fma_f64 v[4:5], v[4:5], v[34:35], v[26:27]
	v_fma_f64 v[1:2], v[2:3], v[34:35], -v[28:29]
	v_fma_f64 v[8:9], v[8:9], v[40:41], v[18:19]
	v_add_f64_e32 v[10:11], v[14:15], v[10:11]
	v_add_f64_e32 v[12:13], v[16:17], v[12:13]
	v_fma_f64 v[6:7], v[6:7], v[40:41], -v[20:21]
	s_delay_alu instid0(VALU_DEP_3) | instskip(NEXT) | instid1(VALU_DEP_3)
	v_add_f64_e32 v[1:2], v[10:11], v[1:2]
	v_add_f64_e32 v[3:4], v[12:13], v[4:5]
	s_delay_alu instid0(VALU_DEP_2) | instskip(NEXT) | instid1(VALU_DEP_2)
	v_add_f64_e32 v[1:2], v[1:2], v[6:7]
	v_add_f64_e32 v[3:4], v[3:4], v[8:9]
	s_delay_alu instid0(VALU_DEP_2) | instskip(NEXT) | instid1(VALU_DEP_2)
	v_add_f64_e64 v[1:2], v[159:160], -v[1:2]
	v_add_f64_e64 v[3:4], v[161:162], -v[3:4]
	scratch_store_b128 off, v[1:4], off offset:576
	v_cmpx_lt_u32_e32 34, v0
	s_cbranch_execz .LBB119_281
; %bb.280:
	scratch_load_b128 v[1:4], off, s35
	v_mov_b32_e32 v5, 0
	s_delay_alu instid0(VALU_DEP_1)
	v_dual_mov_b32 v6, v5 :: v_dual_mov_b32 v7, v5
	v_mov_b32_e32 v8, v5
	scratch_store_b128 off, v[5:8], off offset:560
	s_wait_loadcnt 0x0
	ds_store_b128 v158, v[1:4]
.LBB119_281:
	s_wait_alu 0xfffe
	s_or_b32 exec_lo, exec_lo, s0
	s_wait_storecnt_dscnt 0x0
	s_barrier_signal -1
	s_barrier_wait -1
	global_inv scope:SCOPE_SE
	s_clause 0x7
	scratch_load_b128 v[2:5], off, off offset:576
	scratch_load_b128 v[6:9], off, off offset:592
	;; [unrolled: 1-line block ×8, first 2 shown]
	v_mov_b32_e32 v1, 0
	s_mov_b32 s0, exec_lo
	ds_load_b128 v[34:37], v1 offset:1456
	s_clause 0x1
	scratch_load_b128 v[38:41], off, off offset:704
	scratch_load_b128 v[42:45], off, off offset:560
	ds_load_b128 v[159:162], v1 offset:1472
	scratch_load_b128 v[163:166], off, off offset:720
	s_wait_loadcnt_dscnt 0xa01
	v_mul_f64_e32 v[167:168], v[36:37], v[4:5]
	v_mul_f64_e32 v[4:5], v[34:35], v[4:5]
	s_delay_alu instid0(VALU_DEP_2) | instskip(NEXT) | instid1(VALU_DEP_2)
	v_fma_f64 v[173:174], v[34:35], v[2:3], -v[167:168]
	v_fma_f64 v[175:176], v[36:37], v[2:3], v[4:5]
	ds_load_b128 v[2:5], v1 offset:1488
	s_wait_loadcnt_dscnt 0x901
	v_mul_f64_e32 v[171:172], v[159:160], v[8:9]
	v_mul_f64_e32 v[8:9], v[161:162], v[8:9]
	scratch_load_b128 v[34:37], off, off offset:736
	ds_load_b128 v[167:170], v1 offset:1504
	s_wait_loadcnt_dscnt 0x901
	v_mul_f64_e32 v[177:178], v[2:3], v[12:13]
	v_mul_f64_e32 v[12:13], v[4:5], v[12:13]
	v_fma_f64 v[161:162], v[161:162], v[6:7], v[171:172]
	v_fma_f64 v[159:160], v[159:160], v[6:7], -v[8:9]
	v_add_f64_e32 v[171:172], 0, v[173:174]
	v_add_f64_e32 v[173:174], 0, v[175:176]
	scratch_load_b128 v[6:9], off, off offset:752
	v_fma_f64 v[177:178], v[4:5], v[10:11], v[177:178]
	v_fma_f64 v[179:180], v[2:3], v[10:11], -v[12:13]
	ds_load_b128 v[2:5], v1 offset:1520
	s_wait_loadcnt_dscnt 0x901
	v_mul_f64_e32 v[175:176], v[167:168], v[16:17]
	v_mul_f64_e32 v[16:17], v[169:170], v[16:17]
	scratch_load_b128 v[10:13], off, off offset:768
	v_add_f64_e32 v[171:172], v[171:172], v[159:160]
	v_add_f64_e32 v[173:174], v[173:174], v[161:162]
	s_wait_loadcnt_dscnt 0x900
	v_mul_f64_e32 v[181:182], v[2:3], v[20:21]
	v_mul_f64_e32 v[20:21], v[4:5], v[20:21]
	ds_load_b128 v[159:162], v1 offset:1536
	v_fma_f64 v[169:170], v[169:170], v[14:15], v[175:176]
	v_fma_f64 v[167:168], v[167:168], v[14:15], -v[16:17]
	scratch_load_b128 v[14:17], off, off offset:784
	v_add_f64_e32 v[171:172], v[171:172], v[179:180]
	v_add_f64_e32 v[173:174], v[173:174], v[177:178]
	v_fma_f64 v[177:178], v[4:5], v[18:19], v[181:182]
	v_fma_f64 v[179:180], v[2:3], v[18:19], -v[20:21]
	ds_load_b128 v[2:5], v1 offset:1552
	s_wait_loadcnt_dscnt 0x901
	v_mul_f64_e32 v[175:176], v[159:160], v[24:25]
	v_mul_f64_e32 v[24:25], v[161:162], v[24:25]
	scratch_load_b128 v[18:21], off, off offset:800
	s_wait_loadcnt_dscnt 0x900
	v_mul_f64_e32 v[181:182], v[2:3], v[28:29]
	v_mul_f64_e32 v[28:29], v[4:5], v[28:29]
	v_add_f64_e32 v[171:172], v[171:172], v[167:168]
	v_add_f64_e32 v[173:174], v[173:174], v[169:170]
	ds_load_b128 v[167:170], v1 offset:1568
	v_fma_f64 v[161:162], v[161:162], v[22:23], v[175:176]
	v_fma_f64 v[159:160], v[159:160], v[22:23], -v[24:25]
	scratch_load_b128 v[22:25], off, off offset:816
	v_add_f64_e32 v[171:172], v[171:172], v[179:180]
	v_add_f64_e32 v[173:174], v[173:174], v[177:178]
	v_fma_f64 v[177:178], v[4:5], v[26:27], v[181:182]
	v_fma_f64 v[179:180], v[2:3], v[26:27], -v[28:29]
	ds_load_b128 v[2:5], v1 offset:1584
	s_wait_loadcnt_dscnt 0x901
	v_mul_f64_e32 v[175:176], v[167:168], v[32:33]
	v_mul_f64_e32 v[32:33], v[169:170], v[32:33]
	scratch_load_b128 v[26:29], off, off offset:832
	s_wait_loadcnt_dscnt 0x900
	v_mul_f64_e32 v[181:182], v[2:3], v[40:41]
	v_mul_f64_e32 v[40:41], v[4:5], v[40:41]
	v_add_f64_e32 v[171:172], v[171:172], v[159:160]
	v_add_f64_e32 v[173:174], v[173:174], v[161:162]
	ds_load_b128 v[159:162], v1 offset:1600
	v_fma_f64 v[169:170], v[169:170], v[30:31], v[175:176]
	v_fma_f64 v[167:168], v[167:168], v[30:31], -v[32:33]
	scratch_load_b128 v[30:33], off, off offset:848
	v_add_f64_e32 v[171:172], v[171:172], v[179:180]
	v_add_f64_e32 v[173:174], v[173:174], v[177:178]
	v_fma_f64 v[179:180], v[4:5], v[38:39], v[181:182]
	v_fma_f64 v[181:182], v[2:3], v[38:39], -v[40:41]
	ds_load_b128 v[2:5], v1 offset:1616
	s_wait_loadcnt_dscnt 0x801
	v_mul_f64_e32 v[175:176], v[159:160], v[165:166]
	v_mul_f64_e32 v[177:178], v[161:162], v[165:166]
	scratch_load_b128 v[38:41], off, off offset:864
	v_add_f64_e32 v[171:172], v[171:172], v[167:168]
	v_add_f64_e32 v[169:170], v[173:174], v[169:170]
	ds_load_b128 v[165:168], v1 offset:1632
	v_fma_f64 v[175:176], v[161:162], v[163:164], v[175:176]
	v_fma_f64 v[163:164], v[159:160], v[163:164], -v[177:178]
	scratch_load_b128 v[159:162], off, off offset:880
	s_wait_loadcnt_dscnt 0x901
	v_mul_f64_e32 v[173:174], v[2:3], v[36:37]
	v_mul_f64_e32 v[36:37], v[4:5], v[36:37]
	v_add_f64_e32 v[171:172], v[171:172], v[181:182]
	v_add_f64_e32 v[169:170], v[169:170], v[179:180]
	s_delay_alu instid0(VALU_DEP_4) | instskip(NEXT) | instid1(VALU_DEP_4)
	v_fma_f64 v[173:174], v[4:5], v[34:35], v[173:174]
	v_fma_f64 v[179:180], v[2:3], v[34:35], -v[36:37]
	ds_load_b128 v[2:5], v1 offset:1648
	s_wait_loadcnt_dscnt 0x801
	v_mul_f64_e32 v[177:178], v[165:166], v[8:9]
	v_mul_f64_e32 v[8:9], v[167:168], v[8:9]
	scratch_load_b128 v[34:37], off, off offset:896
	s_wait_loadcnt_dscnt 0x800
	v_mul_f64_e32 v[181:182], v[2:3], v[12:13]
	v_add_f64_e32 v[163:164], v[171:172], v[163:164]
	v_add_f64_e32 v[175:176], v[169:170], v[175:176]
	v_mul_f64_e32 v[12:13], v[4:5], v[12:13]
	ds_load_b128 v[169:172], v1 offset:1664
	v_fma_f64 v[167:168], v[167:168], v[6:7], v[177:178]
	v_fma_f64 v[6:7], v[165:166], v[6:7], -v[8:9]
	s_wait_loadcnt_dscnt 0x700
	v_mul_f64_e32 v[165:166], v[169:170], v[16:17]
	v_add_f64_e32 v[8:9], v[163:164], v[179:180]
	v_add_f64_e32 v[163:164], v[175:176], v[173:174]
	v_mul_f64_e32 v[16:17], v[171:172], v[16:17]
	v_fma_f64 v[173:174], v[4:5], v[10:11], v[181:182]
	v_fma_f64 v[10:11], v[2:3], v[10:11], -v[12:13]
	v_fma_f64 v[165:166], v[171:172], v[14:15], v[165:166]
	v_add_f64_e32 v[12:13], v[8:9], v[6:7]
	v_add_f64_e32 v[163:164], v[163:164], v[167:168]
	ds_load_b128 v[2:5], v1 offset:1680
	ds_load_b128 v[6:9], v1 offset:1696
	v_fma_f64 v[14:15], v[169:170], v[14:15], -v[16:17]
	s_wait_loadcnt_dscnt 0x601
	v_mul_f64_e32 v[167:168], v[2:3], v[20:21]
	v_mul_f64_e32 v[20:21], v[4:5], v[20:21]
	s_wait_loadcnt_dscnt 0x500
	v_mul_f64_e32 v[16:17], v[6:7], v[24:25]
	v_mul_f64_e32 v[24:25], v[8:9], v[24:25]
	v_add_f64_e32 v[10:11], v[12:13], v[10:11]
	v_add_f64_e32 v[12:13], v[163:164], v[173:174]
	v_fma_f64 v[163:164], v[4:5], v[18:19], v[167:168]
	v_fma_f64 v[18:19], v[2:3], v[18:19], -v[20:21]
	v_fma_f64 v[8:9], v[8:9], v[22:23], v[16:17]
	v_fma_f64 v[6:7], v[6:7], v[22:23], -v[24:25]
	v_add_f64_e32 v[14:15], v[10:11], v[14:15]
	v_add_f64_e32 v[20:21], v[12:13], v[165:166]
	ds_load_b128 v[2:5], v1 offset:1712
	ds_load_b128 v[10:13], v1 offset:1728
	s_wait_loadcnt_dscnt 0x401
	v_mul_f64_e32 v[165:166], v[2:3], v[28:29]
	v_mul_f64_e32 v[28:29], v[4:5], v[28:29]
	v_add_f64_e32 v[14:15], v[14:15], v[18:19]
	v_add_f64_e32 v[16:17], v[20:21], v[163:164]
	s_wait_loadcnt_dscnt 0x300
	v_mul_f64_e32 v[18:19], v[10:11], v[32:33]
	v_mul_f64_e32 v[20:21], v[12:13], v[32:33]
	v_fma_f64 v[22:23], v[4:5], v[26:27], v[165:166]
	v_fma_f64 v[24:25], v[2:3], v[26:27], -v[28:29]
	v_add_f64_e32 v[14:15], v[14:15], v[6:7]
	v_add_f64_e32 v[16:17], v[16:17], v[8:9]
	ds_load_b128 v[2:5], v1 offset:1744
	ds_load_b128 v[6:9], v1 offset:1760
	v_fma_f64 v[12:13], v[12:13], v[30:31], v[18:19]
	v_fma_f64 v[10:11], v[10:11], v[30:31], -v[20:21]
	s_wait_loadcnt_dscnt 0x201
	v_mul_f64_e32 v[26:27], v[2:3], v[40:41]
	v_mul_f64_e32 v[28:29], v[4:5], v[40:41]
	s_wait_loadcnt_dscnt 0x100
	v_mul_f64_e32 v[18:19], v[6:7], v[161:162]
	v_mul_f64_e32 v[20:21], v[8:9], v[161:162]
	v_add_f64_e32 v[14:15], v[14:15], v[24:25]
	v_add_f64_e32 v[16:17], v[16:17], v[22:23]
	v_fma_f64 v[22:23], v[4:5], v[38:39], v[26:27]
	v_fma_f64 v[24:25], v[2:3], v[38:39], -v[28:29]
	ds_load_b128 v[2:5], v1 offset:1776
	v_fma_f64 v[8:9], v[8:9], v[159:160], v[18:19]
	v_fma_f64 v[6:7], v[6:7], v[159:160], -v[20:21]
	v_add_f64_e32 v[10:11], v[14:15], v[10:11]
	v_add_f64_e32 v[12:13], v[16:17], v[12:13]
	s_wait_loadcnt_dscnt 0x0
	v_mul_f64_e32 v[14:15], v[2:3], v[36:37]
	v_mul_f64_e32 v[16:17], v[4:5], v[36:37]
	s_delay_alu instid0(VALU_DEP_4) | instskip(NEXT) | instid1(VALU_DEP_4)
	v_add_f64_e32 v[10:11], v[10:11], v[24:25]
	v_add_f64_e32 v[12:13], v[12:13], v[22:23]
	s_delay_alu instid0(VALU_DEP_4) | instskip(NEXT) | instid1(VALU_DEP_4)
	v_fma_f64 v[4:5], v[4:5], v[34:35], v[14:15]
	v_fma_f64 v[2:3], v[2:3], v[34:35], -v[16:17]
	s_delay_alu instid0(VALU_DEP_4) | instskip(NEXT) | instid1(VALU_DEP_4)
	v_add_f64_e32 v[6:7], v[10:11], v[6:7]
	v_add_f64_e32 v[8:9], v[12:13], v[8:9]
	s_delay_alu instid0(VALU_DEP_2) | instskip(NEXT) | instid1(VALU_DEP_2)
	v_add_f64_e32 v[2:3], v[6:7], v[2:3]
	v_add_f64_e32 v[4:5], v[8:9], v[4:5]
	s_delay_alu instid0(VALU_DEP_2) | instskip(NEXT) | instid1(VALU_DEP_2)
	v_add_f64_e64 v[2:3], v[42:43], -v[2:3]
	v_add_f64_e64 v[4:5], v[44:45], -v[4:5]
	scratch_store_b128 off, v[2:5], off offset:560
	v_cmpx_lt_u32_e32 33, v0
	s_cbranch_execz .LBB119_283
; %bb.282:
	scratch_load_b128 v[5:8], off, s36
	v_dual_mov_b32 v2, v1 :: v_dual_mov_b32 v3, v1
	v_mov_b32_e32 v4, v1
	scratch_store_b128 off, v[1:4], off offset:544
	s_wait_loadcnt 0x0
	ds_store_b128 v158, v[5:8]
.LBB119_283:
	s_wait_alu 0xfffe
	s_or_b32 exec_lo, exec_lo, s0
	s_wait_storecnt_dscnt 0x0
	s_barrier_signal -1
	s_barrier_wait -1
	global_inv scope:SCOPE_SE
	s_clause 0x8
	scratch_load_b128 v[2:5], off, off offset:560
	scratch_load_b128 v[6:9], off, off offset:576
	;; [unrolled: 1-line block ×9, first 2 shown]
	ds_load_b128 v[38:41], v1 offset:1440
	ds_load_b128 v[42:45], v1 offset:1456
	s_clause 0x1
	scratch_load_b128 v[159:162], off, off offset:544
	scratch_load_b128 v[163:166], off, off offset:704
	s_mov_b32 s0, exec_lo
	s_wait_loadcnt_dscnt 0xa01
	v_mul_f64_e32 v[167:168], v[40:41], v[4:5]
	v_mul_f64_e32 v[4:5], v[38:39], v[4:5]
	s_wait_loadcnt_dscnt 0x900
	v_mul_f64_e32 v[171:172], v[42:43], v[8:9]
	v_mul_f64_e32 v[8:9], v[44:45], v[8:9]
	s_delay_alu instid0(VALU_DEP_4) | instskip(NEXT) | instid1(VALU_DEP_4)
	v_fma_f64 v[173:174], v[38:39], v[2:3], -v[167:168]
	v_fma_f64 v[175:176], v[40:41], v[2:3], v[4:5]
	ds_load_b128 v[2:5], v1 offset:1472
	ds_load_b128 v[167:170], v1 offset:1488
	scratch_load_b128 v[38:41], off, off offset:720
	v_fma_f64 v[44:45], v[44:45], v[6:7], v[171:172]
	v_fma_f64 v[42:43], v[42:43], v[6:7], -v[8:9]
	scratch_load_b128 v[6:9], off, off offset:736
	s_wait_loadcnt_dscnt 0xa01
	v_mul_f64_e32 v[177:178], v[2:3], v[12:13]
	v_mul_f64_e32 v[12:13], v[4:5], v[12:13]
	v_add_f64_e32 v[171:172], 0, v[173:174]
	v_add_f64_e32 v[173:174], 0, v[175:176]
	s_wait_loadcnt_dscnt 0x900
	v_mul_f64_e32 v[175:176], v[167:168], v[16:17]
	v_mul_f64_e32 v[16:17], v[169:170], v[16:17]
	v_fma_f64 v[177:178], v[4:5], v[10:11], v[177:178]
	v_fma_f64 v[179:180], v[2:3], v[10:11], -v[12:13]
	ds_load_b128 v[2:5], v1 offset:1504
	scratch_load_b128 v[10:13], off, off offset:752
	v_add_f64_e32 v[171:172], v[171:172], v[42:43]
	v_add_f64_e32 v[173:174], v[173:174], v[44:45]
	ds_load_b128 v[42:45], v1 offset:1520
	v_fma_f64 v[169:170], v[169:170], v[14:15], v[175:176]
	v_fma_f64 v[167:168], v[167:168], v[14:15], -v[16:17]
	scratch_load_b128 v[14:17], off, off offset:768
	s_wait_loadcnt_dscnt 0xa01
	v_mul_f64_e32 v[181:182], v[2:3], v[20:21]
	v_mul_f64_e32 v[20:21], v[4:5], v[20:21]
	s_wait_loadcnt_dscnt 0x900
	v_mul_f64_e32 v[175:176], v[42:43], v[24:25]
	v_mul_f64_e32 v[24:25], v[44:45], v[24:25]
	v_add_f64_e32 v[171:172], v[171:172], v[179:180]
	v_add_f64_e32 v[173:174], v[173:174], v[177:178]
	v_fma_f64 v[177:178], v[4:5], v[18:19], v[181:182]
	v_fma_f64 v[179:180], v[2:3], v[18:19], -v[20:21]
	ds_load_b128 v[2:5], v1 offset:1536
	scratch_load_b128 v[18:21], off, off offset:784
	v_fma_f64 v[44:45], v[44:45], v[22:23], v[175:176]
	v_fma_f64 v[42:43], v[42:43], v[22:23], -v[24:25]
	scratch_load_b128 v[22:25], off, off offset:800
	v_add_f64_e32 v[171:172], v[171:172], v[167:168]
	v_add_f64_e32 v[173:174], v[173:174], v[169:170]
	ds_load_b128 v[167:170], v1 offset:1552
	s_wait_loadcnt_dscnt 0xa01
	v_mul_f64_e32 v[181:182], v[2:3], v[28:29]
	v_mul_f64_e32 v[28:29], v[4:5], v[28:29]
	s_wait_loadcnt_dscnt 0x900
	v_mul_f64_e32 v[175:176], v[167:168], v[32:33]
	v_mul_f64_e32 v[32:33], v[169:170], v[32:33]
	v_add_f64_e32 v[171:172], v[171:172], v[179:180]
	v_add_f64_e32 v[173:174], v[173:174], v[177:178]
	v_fma_f64 v[177:178], v[4:5], v[26:27], v[181:182]
	v_fma_f64 v[179:180], v[2:3], v[26:27], -v[28:29]
	ds_load_b128 v[2:5], v1 offset:1568
	scratch_load_b128 v[26:29], off, off offset:816
	v_fma_f64 v[169:170], v[169:170], v[30:31], v[175:176]
	v_fma_f64 v[167:168], v[167:168], v[30:31], -v[32:33]
	scratch_load_b128 v[30:33], off, off offset:832
	v_add_f64_e32 v[171:172], v[171:172], v[42:43]
	v_add_f64_e32 v[173:174], v[173:174], v[44:45]
	ds_load_b128 v[42:45], v1 offset:1584
	s_wait_loadcnt_dscnt 0xa01
	v_mul_f64_e32 v[181:182], v[2:3], v[36:37]
	v_mul_f64_e32 v[36:37], v[4:5], v[36:37]
	s_wait_loadcnt_dscnt 0x800
	v_mul_f64_e32 v[175:176], v[42:43], v[165:166]
	v_add_f64_e32 v[171:172], v[171:172], v[179:180]
	v_add_f64_e32 v[173:174], v[173:174], v[177:178]
	v_mul_f64_e32 v[177:178], v[44:45], v[165:166]
	v_fma_f64 v[179:180], v[4:5], v[34:35], v[181:182]
	v_fma_f64 v[181:182], v[2:3], v[34:35], -v[36:37]
	ds_load_b128 v[2:5], v1 offset:1600
	scratch_load_b128 v[34:37], off, off offset:848
	v_fma_f64 v[44:45], v[44:45], v[163:164], v[175:176]
	v_add_f64_e32 v[171:172], v[171:172], v[167:168]
	v_add_f64_e32 v[169:170], v[173:174], v[169:170]
	ds_load_b128 v[165:168], v1 offset:1616
	v_fma_f64 v[163:164], v[42:43], v[163:164], -v[177:178]
	s_wait_loadcnt_dscnt 0x801
	v_mul_f64_e32 v[173:174], v[2:3], v[40:41]
	v_mul_f64_e32 v[183:184], v[4:5], v[40:41]
	scratch_load_b128 v[40:43], off, off offset:864
	s_wait_loadcnt_dscnt 0x800
	v_mul_f64_e32 v[177:178], v[165:166], v[8:9]
	v_mul_f64_e32 v[8:9], v[167:168], v[8:9]
	v_add_f64_e32 v[171:172], v[171:172], v[181:182]
	v_add_f64_e32 v[169:170], v[169:170], v[179:180]
	v_fma_f64 v[179:180], v[4:5], v[38:39], v[173:174]
	v_fma_f64 v[38:39], v[2:3], v[38:39], -v[183:184]
	ds_load_b128 v[2:5], v1 offset:1632
	ds_load_b128 v[173:176], v1 offset:1648
	v_fma_f64 v[167:168], v[167:168], v[6:7], v[177:178]
	v_fma_f64 v[165:166], v[165:166], v[6:7], -v[8:9]
	scratch_load_b128 v[6:9], off, off offset:896
	v_add_f64_e32 v[163:164], v[171:172], v[163:164]
	v_add_f64_e32 v[44:45], v[169:170], v[44:45]
	scratch_load_b128 v[169:172], off, off offset:880
	s_wait_loadcnt_dscnt 0x901
	v_mul_f64_e32 v[181:182], v[2:3], v[12:13]
	v_mul_f64_e32 v[12:13], v[4:5], v[12:13]
	v_add_f64_e32 v[38:39], v[163:164], v[38:39]
	v_add_f64_e32 v[44:45], v[44:45], v[179:180]
	s_wait_loadcnt_dscnt 0x800
	v_mul_f64_e32 v[163:164], v[173:174], v[16:17]
	v_mul_f64_e32 v[16:17], v[175:176], v[16:17]
	v_fma_f64 v[177:178], v[4:5], v[10:11], v[181:182]
	v_fma_f64 v[179:180], v[2:3], v[10:11], -v[12:13]
	ds_load_b128 v[2:5], v1 offset:1664
	ds_load_b128 v[10:13], v1 offset:1680
	v_add_f64_e32 v[38:39], v[38:39], v[165:166]
	v_add_f64_e32 v[44:45], v[44:45], v[167:168]
	s_wait_loadcnt_dscnt 0x701
	v_mul_f64_e32 v[165:166], v[2:3], v[20:21]
	v_mul_f64_e32 v[20:21], v[4:5], v[20:21]
	v_fma_f64 v[163:164], v[175:176], v[14:15], v[163:164]
	v_fma_f64 v[14:15], v[173:174], v[14:15], -v[16:17]
	v_add_f64_e32 v[16:17], v[38:39], v[179:180]
	v_add_f64_e32 v[38:39], v[44:45], v[177:178]
	s_wait_loadcnt_dscnt 0x600
	v_mul_f64_e32 v[44:45], v[10:11], v[24:25]
	v_mul_f64_e32 v[24:25], v[12:13], v[24:25]
	v_fma_f64 v[165:166], v[4:5], v[18:19], v[165:166]
	v_fma_f64 v[18:19], v[2:3], v[18:19], -v[20:21]
	v_add_f64_e32 v[20:21], v[16:17], v[14:15]
	v_add_f64_e32 v[38:39], v[38:39], v[163:164]
	ds_load_b128 v[2:5], v1 offset:1696
	ds_load_b128 v[14:17], v1 offset:1712
	v_fma_f64 v[12:13], v[12:13], v[22:23], v[44:45]
	v_fma_f64 v[10:11], v[10:11], v[22:23], -v[24:25]
	s_wait_loadcnt_dscnt 0x501
	v_mul_f64_e32 v[163:164], v[2:3], v[28:29]
	v_mul_f64_e32 v[28:29], v[4:5], v[28:29]
	s_wait_loadcnt_dscnt 0x400
	v_mul_f64_e32 v[22:23], v[14:15], v[32:33]
	v_mul_f64_e32 v[24:25], v[16:17], v[32:33]
	v_add_f64_e32 v[18:19], v[20:21], v[18:19]
	v_add_f64_e32 v[20:21], v[38:39], v[165:166]
	v_fma_f64 v[32:33], v[4:5], v[26:27], v[163:164]
	v_fma_f64 v[26:27], v[2:3], v[26:27], -v[28:29]
	v_fma_f64 v[16:17], v[16:17], v[30:31], v[22:23]
	v_fma_f64 v[14:15], v[14:15], v[30:31], -v[24:25]
	v_add_f64_e32 v[18:19], v[18:19], v[10:11]
	v_add_f64_e32 v[20:21], v[20:21], v[12:13]
	ds_load_b128 v[2:5], v1 offset:1728
	ds_load_b128 v[10:13], v1 offset:1744
	s_wait_loadcnt_dscnt 0x301
	v_mul_f64_e32 v[28:29], v[2:3], v[36:37]
	v_mul_f64_e32 v[36:37], v[4:5], v[36:37]
	s_wait_loadcnt_dscnt 0x200
	v_mul_f64_e32 v[22:23], v[10:11], v[42:43]
	v_add_f64_e32 v[18:19], v[18:19], v[26:27]
	v_add_f64_e32 v[20:21], v[20:21], v[32:33]
	v_mul_f64_e32 v[24:25], v[12:13], v[42:43]
	v_fma_f64 v[26:27], v[4:5], v[34:35], v[28:29]
	v_fma_f64 v[28:29], v[2:3], v[34:35], -v[36:37]
	v_fma_f64 v[12:13], v[12:13], v[40:41], v[22:23]
	v_add_f64_e32 v[18:19], v[18:19], v[14:15]
	v_add_f64_e32 v[20:21], v[20:21], v[16:17]
	ds_load_b128 v[2:5], v1 offset:1760
	ds_load_b128 v[14:17], v1 offset:1776
	v_fma_f64 v[10:11], v[10:11], v[40:41], -v[24:25]
	s_wait_loadcnt_dscnt 0x1
	v_mul_f64_e32 v[30:31], v[2:3], v[171:172]
	v_mul_f64_e32 v[32:33], v[4:5], v[171:172]
	s_wait_dscnt 0x0
	v_mul_f64_e32 v[22:23], v[14:15], v[8:9]
	v_mul_f64_e32 v[8:9], v[16:17], v[8:9]
	v_add_f64_e32 v[18:19], v[18:19], v[28:29]
	v_add_f64_e32 v[20:21], v[20:21], v[26:27]
	v_fma_f64 v[4:5], v[4:5], v[169:170], v[30:31]
	v_fma_f64 v[1:2], v[2:3], v[169:170], -v[32:33]
	v_fma_f64 v[16:17], v[16:17], v[6:7], v[22:23]
	v_fma_f64 v[6:7], v[14:15], v[6:7], -v[8:9]
	v_add_f64_e32 v[10:11], v[18:19], v[10:11]
	v_add_f64_e32 v[12:13], v[20:21], v[12:13]
	s_delay_alu instid0(VALU_DEP_2) | instskip(NEXT) | instid1(VALU_DEP_2)
	v_add_f64_e32 v[1:2], v[10:11], v[1:2]
	v_add_f64_e32 v[3:4], v[12:13], v[4:5]
	s_delay_alu instid0(VALU_DEP_2) | instskip(NEXT) | instid1(VALU_DEP_2)
	;; [unrolled: 3-line block ×3, first 2 shown]
	v_add_f64_e64 v[1:2], v[159:160], -v[1:2]
	v_add_f64_e64 v[3:4], v[161:162], -v[3:4]
	scratch_store_b128 off, v[1:4], off offset:544
	v_cmpx_lt_u32_e32 32, v0
	s_cbranch_execz .LBB119_285
; %bb.284:
	scratch_load_b128 v[1:4], off, s37
	v_mov_b32_e32 v5, 0
	s_delay_alu instid0(VALU_DEP_1)
	v_dual_mov_b32 v6, v5 :: v_dual_mov_b32 v7, v5
	v_mov_b32_e32 v8, v5
	scratch_store_b128 off, v[5:8], off offset:528
	s_wait_loadcnt 0x0
	ds_store_b128 v158, v[1:4]
.LBB119_285:
	s_wait_alu 0xfffe
	s_or_b32 exec_lo, exec_lo, s0
	s_wait_storecnt_dscnt 0x0
	s_barrier_signal -1
	s_barrier_wait -1
	global_inv scope:SCOPE_SE
	s_clause 0x7
	scratch_load_b128 v[2:5], off, off offset:544
	scratch_load_b128 v[6:9], off, off offset:560
	;; [unrolled: 1-line block ×8, first 2 shown]
	v_mov_b32_e32 v1, 0
	s_mov_b32 s0, exec_lo
	ds_load_b128 v[34:37], v1 offset:1424
	s_clause 0x1
	scratch_load_b128 v[38:41], off, off offset:672
	scratch_load_b128 v[42:45], off, off offset:528
	ds_load_b128 v[159:162], v1 offset:1440
	scratch_load_b128 v[163:166], off, off offset:688
	s_wait_loadcnt_dscnt 0xa01
	v_mul_f64_e32 v[167:168], v[36:37], v[4:5]
	v_mul_f64_e32 v[4:5], v[34:35], v[4:5]
	s_delay_alu instid0(VALU_DEP_2) | instskip(NEXT) | instid1(VALU_DEP_2)
	v_fma_f64 v[173:174], v[34:35], v[2:3], -v[167:168]
	v_fma_f64 v[175:176], v[36:37], v[2:3], v[4:5]
	ds_load_b128 v[2:5], v1 offset:1456
	s_wait_loadcnt_dscnt 0x901
	v_mul_f64_e32 v[171:172], v[159:160], v[8:9]
	v_mul_f64_e32 v[8:9], v[161:162], v[8:9]
	scratch_load_b128 v[34:37], off, off offset:704
	ds_load_b128 v[167:170], v1 offset:1472
	s_wait_loadcnt_dscnt 0x901
	v_mul_f64_e32 v[177:178], v[2:3], v[12:13]
	v_mul_f64_e32 v[12:13], v[4:5], v[12:13]
	v_fma_f64 v[161:162], v[161:162], v[6:7], v[171:172]
	v_fma_f64 v[159:160], v[159:160], v[6:7], -v[8:9]
	v_add_f64_e32 v[171:172], 0, v[173:174]
	v_add_f64_e32 v[173:174], 0, v[175:176]
	scratch_load_b128 v[6:9], off, off offset:720
	v_fma_f64 v[177:178], v[4:5], v[10:11], v[177:178]
	v_fma_f64 v[179:180], v[2:3], v[10:11], -v[12:13]
	ds_load_b128 v[2:5], v1 offset:1488
	s_wait_loadcnt_dscnt 0x901
	v_mul_f64_e32 v[175:176], v[167:168], v[16:17]
	v_mul_f64_e32 v[16:17], v[169:170], v[16:17]
	scratch_load_b128 v[10:13], off, off offset:736
	v_add_f64_e32 v[171:172], v[171:172], v[159:160]
	v_add_f64_e32 v[173:174], v[173:174], v[161:162]
	s_wait_loadcnt_dscnt 0x900
	v_mul_f64_e32 v[181:182], v[2:3], v[20:21]
	v_mul_f64_e32 v[20:21], v[4:5], v[20:21]
	ds_load_b128 v[159:162], v1 offset:1504
	v_fma_f64 v[169:170], v[169:170], v[14:15], v[175:176]
	v_fma_f64 v[167:168], v[167:168], v[14:15], -v[16:17]
	scratch_load_b128 v[14:17], off, off offset:752
	v_add_f64_e32 v[171:172], v[171:172], v[179:180]
	v_add_f64_e32 v[173:174], v[173:174], v[177:178]
	v_fma_f64 v[177:178], v[4:5], v[18:19], v[181:182]
	v_fma_f64 v[179:180], v[2:3], v[18:19], -v[20:21]
	ds_load_b128 v[2:5], v1 offset:1520
	s_wait_loadcnt_dscnt 0x901
	v_mul_f64_e32 v[175:176], v[159:160], v[24:25]
	v_mul_f64_e32 v[24:25], v[161:162], v[24:25]
	scratch_load_b128 v[18:21], off, off offset:768
	s_wait_loadcnt_dscnt 0x900
	v_mul_f64_e32 v[181:182], v[2:3], v[28:29]
	v_mul_f64_e32 v[28:29], v[4:5], v[28:29]
	v_add_f64_e32 v[171:172], v[171:172], v[167:168]
	v_add_f64_e32 v[173:174], v[173:174], v[169:170]
	ds_load_b128 v[167:170], v1 offset:1536
	v_fma_f64 v[161:162], v[161:162], v[22:23], v[175:176]
	v_fma_f64 v[159:160], v[159:160], v[22:23], -v[24:25]
	scratch_load_b128 v[22:25], off, off offset:784
	v_add_f64_e32 v[171:172], v[171:172], v[179:180]
	v_add_f64_e32 v[173:174], v[173:174], v[177:178]
	v_fma_f64 v[177:178], v[4:5], v[26:27], v[181:182]
	v_fma_f64 v[179:180], v[2:3], v[26:27], -v[28:29]
	ds_load_b128 v[2:5], v1 offset:1552
	s_wait_loadcnt_dscnt 0x901
	v_mul_f64_e32 v[175:176], v[167:168], v[32:33]
	v_mul_f64_e32 v[32:33], v[169:170], v[32:33]
	scratch_load_b128 v[26:29], off, off offset:800
	s_wait_loadcnt_dscnt 0x900
	v_mul_f64_e32 v[181:182], v[2:3], v[40:41]
	v_mul_f64_e32 v[40:41], v[4:5], v[40:41]
	v_add_f64_e32 v[171:172], v[171:172], v[159:160]
	v_add_f64_e32 v[173:174], v[173:174], v[161:162]
	ds_load_b128 v[159:162], v1 offset:1568
	v_fma_f64 v[169:170], v[169:170], v[30:31], v[175:176]
	v_fma_f64 v[167:168], v[167:168], v[30:31], -v[32:33]
	scratch_load_b128 v[30:33], off, off offset:816
	v_add_f64_e32 v[171:172], v[171:172], v[179:180]
	v_add_f64_e32 v[173:174], v[173:174], v[177:178]
	v_fma_f64 v[179:180], v[4:5], v[38:39], v[181:182]
	v_fma_f64 v[181:182], v[2:3], v[38:39], -v[40:41]
	ds_load_b128 v[2:5], v1 offset:1584
	s_wait_loadcnt_dscnt 0x801
	v_mul_f64_e32 v[175:176], v[159:160], v[165:166]
	v_mul_f64_e32 v[177:178], v[161:162], v[165:166]
	scratch_load_b128 v[38:41], off, off offset:832
	v_add_f64_e32 v[171:172], v[171:172], v[167:168]
	v_add_f64_e32 v[169:170], v[173:174], v[169:170]
	ds_load_b128 v[165:168], v1 offset:1600
	v_fma_f64 v[175:176], v[161:162], v[163:164], v[175:176]
	v_fma_f64 v[163:164], v[159:160], v[163:164], -v[177:178]
	scratch_load_b128 v[159:162], off, off offset:848
	s_wait_loadcnt_dscnt 0x901
	v_mul_f64_e32 v[173:174], v[2:3], v[36:37]
	v_mul_f64_e32 v[36:37], v[4:5], v[36:37]
	v_add_f64_e32 v[171:172], v[171:172], v[181:182]
	v_add_f64_e32 v[169:170], v[169:170], v[179:180]
	s_delay_alu instid0(VALU_DEP_4) | instskip(NEXT) | instid1(VALU_DEP_4)
	v_fma_f64 v[173:174], v[4:5], v[34:35], v[173:174]
	v_fma_f64 v[179:180], v[2:3], v[34:35], -v[36:37]
	ds_load_b128 v[2:5], v1 offset:1616
	s_wait_loadcnt_dscnt 0x801
	v_mul_f64_e32 v[177:178], v[165:166], v[8:9]
	v_mul_f64_e32 v[8:9], v[167:168], v[8:9]
	scratch_load_b128 v[34:37], off, off offset:864
	s_wait_loadcnt_dscnt 0x800
	v_mul_f64_e32 v[181:182], v[2:3], v[12:13]
	v_add_f64_e32 v[163:164], v[171:172], v[163:164]
	v_add_f64_e32 v[175:176], v[169:170], v[175:176]
	v_mul_f64_e32 v[12:13], v[4:5], v[12:13]
	ds_load_b128 v[169:172], v1 offset:1632
	v_fma_f64 v[167:168], v[167:168], v[6:7], v[177:178]
	v_fma_f64 v[165:166], v[165:166], v[6:7], -v[8:9]
	scratch_load_b128 v[6:9], off, off offset:880
	v_fma_f64 v[177:178], v[4:5], v[10:11], v[181:182]
	v_add_f64_e32 v[163:164], v[163:164], v[179:180]
	v_add_f64_e32 v[173:174], v[175:176], v[173:174]
	v_fma_f64 v[179:180], v[2:3], v[10:11], -v[12:13]
	ds_load_b128 v[2:5], v1 offset:1648
	s_wait_loadcnt_dscnt 0x801
	v_mul_f64_e32 v[175:176], v[169:170], v[16:17]
	v_mul_f64_e32 v[16:17], v[171:172], v[16:17]
	scratch_load_b128 v[10:13], off, off offset:896
	v_add_f64_e32 v[181:182], v[163:164], v[165:166]
	v_add_f64_e32 v[167:168], v[173:174], v[167:168]
	s_wait_loadcnt_dscnt 0x800
	v_mul_f64_e32 v[173:174], v[2:3], v[20:21]
	v_mul_f64_e32 v[20:21], v[4:5], v[20:21]
	v_fma_f64 v[171:172], v[171:172], v[14:15], v[175:176]
	v_fma_f64 v[14:15], v[169:170], v[14:15], -v[16:17]
	ds_load_b128 v[163:166], v1 offset:1664
	s_wait_loadcnt_dscnt 0x700
	v_mul_f64_e32 v[169:170], v[163:164], v[24:25]
	v_mul_f64_e32 v[24:25], v[165:166], v[24:25]
	v_add_f64_e32 v[16:17], v[181:182], v[179:180]
	v_add_f64_e32 v[167:168], v[167:168], v[177:178]
	v_fma_f64 v[173:174], v[4:5], v[18:19], v[173:174]
	v_fma_f64 v[18:19], v[2:3], v[18:19], -v[20:21]
	v_fma_f64 v[165:166], v[165:166], v[22:23], v[169:170]
	v_fma_f64 v[22:23], v[163:164], v[22:23], -v[24:25]
	v_add_f64_e32 v[20:21], v[16:17], v[14:15]
	v_add_f64_e32 v[167:168], v[167:168], v[171:172]
	ds_load_b128 v[2:5], v1 offset:1680
	ds_load_b128 v[14:17], v1 offset:1696
	s_wait_loadcnt_dscnt 0x601
	v_mul_f64_e32 v[171:172], v[2:3], v[28:29]
	v_mul_f64_e32 v[28:29], v[4:5], v[28:29]
	s_wait_loadcnt_dscnt 0x500
	v_mul_f64_e32 v[24:25], v[14:15], v[32:33]
	v_mul_f64_e32 v[32:33], v[16:17], v[32:33]
	v_add_f64_e32 v[18:19], v[20:21], v[18:19]
	v_add_f64_e32 v[20:21], v[167:168], v[173:174]
	v_fma_f64 v[163:164], v[4:5], v[26:27], v[171:172]
	v_fma_f64 v[26:27], v[2:3], v[26:27], -v[28:29]
	v_fma_f64 v[16:17], v[16:17], v[30:31], v[24:25]
	v_fma_f64 v[14:15], v[14:15], v[30:31], -v[32:33]
	v_add_f64_e32 v[22:23], v[18:19], v[22:23]
	v_add_f64_e32 v[28:29], v[20:21], v[165:166]
	ds_load_b128 v[2:5], v1 offset:1712
	ds_load_b128 v[18:21], v1 offset:1728
	s_wait_loadcnt_dscnt 0x401
	v_mul_f64_e32 v[165:166], v[2:3], v[40:41]
	v_mul_f64_e32 v[40:41], v[4:5], v[40:41]
	v_add_f64_e32 v[22:23], v[22:23], v[26:27]
	v_add_f64_e32 v[24:25], v[28:29], v[163:164]
	s_wait_loadcnt_dscnt 0x300
	v_mul_f64_e32 v[26:27], v[18:19], v[161:162]
	v_mul_f64_e32 v[28:29], v[20:21], v[161:162]
	v_fma_f64 v[30:31], v[4:5], v[38:39], v[165:166]
	v_fma_f64 v[32:33], v[2:3], v[38:39], -v[40:41]
	v_add_f64_e32 v[22:23], v[22:23], v[14:15]
	v_add_f64_e32 v[24:25], v[24:25], v[16:17]
	ds_load_b128 v[2:5], v1 offset:1744
	ds_load_b128 v[14:17], v1 offset:1760
	v_fma_f64 v[20:21], v[20:21], v[159:160], v[26:27]
	v_fma_f64 v[18:19], v[18:19], v[159:160], -v[28:29]
	s_wait_loadcnt_dscnt 0x201
	v_mul_f64_e32 v[38:39], v[2:3], v[36:37]
	v_mul_f64_e32 v[36:37], v[4:5], v[36:37]
	s_wait_loadcnt_dscnt 0x100
	v_mul_f64_e32 v[26:27], v[14:15], v[8:9]
	v_mul_f64_e32 v[8:9], v[16:17], v[8:9]
	v_add_f64_e32 v[22:23], v[22:23], v[32:33]
	v_add_f64_e32 v[24:25], v[24:25], v[30:31]
	v_fma_f64 v[28:29], v[4:5], v[34:35], v[38:39]
	v_fma_f64 v[30:31], v[2:3], v[34:35], -v[36:37]
	ds_load_b128 v[2:5], v1 offset:1776
	v_fma_f64 v[16:17], v[16:17], v[6:7], v[26:27]
	v_fma_f64 v[6:7], v[14:15], v[6:7], -v[8:9]
	v_add_f64_e32 v[18:19], v[22:23], v[18:19]
	v_add_f64_e32 v[20:21], v[24:25], v[20:21]
	s_wait_loadcnt_dscnt 0x0
	v_mul_f64_e32 v[22:23], v[2:3], v[12:13]
	v_mul_f64_e32 v[12:13], v[4:5], v[12:13]
	s_delay_alu instid0(VALU_DEP_4) | instskip(NEXT) | instid1(VALU_DEP_4)
	v_add_f64_e32 v[8:9], v[18:19], v[30:31]
	v_add_f64_e32 v[14:15], v[20:21], v[28:29]
	s_delay_alu instid0(VALU_DEP_4) | instskip(NEXT) | instid1(VALU_DEP_4)
	v_fma_f64 v[4:5], v[4:5], v[10:11], v[22:23]
	v_fma_f64 v[2:3], v[2:3], v[10:11], -v[12:13]
	s_delay_alu instid0(VALU_DEP_4) | instskip(NEXT) | instid1(VALU_DEP_4)
	v_add_f64_e32 v[6:7], v[8:9], v[6:7]
	v_add_f64_e32 v[8:9], v[14:15], v[16:17]
	s_delay_alu instid0(VALU_DEP_2) | instskip(NEXT) | instid1(VALU_DEP_2)
	v_add_f64_e32 v[2:3], v[6:7], v[2:3]
	v_add_f64_e32 v[4:5], v[8:9], v[4:5]
	s_delay_alu instid0(VALU_DEP_2) | instskip(NEXT) | instid1(VALU_DEP_2)
	v_add_f64_e64 v[2:3], v[42:43], -v[2:3]
	v_add_f64_e64 v[4:5], v[44:45], -v[4:5]
	scratch_store_b128 off, v[2:5], off offset:528
	v_cmpx_lt_u32_e32 31, v0
	s_cbranch_execz .LBB119_287
; %bb.286:
	scratch_load_b128 v[5:8], off, s38
	v_dual_mov_b32 v2, v1 :: v_dual_mov_b32 v3, v1
	v_mov_b32_e32 v4, v1
	scratch_store_b128 off, v[1:4], off offset:512
	s_wait_loadcnt 0x0
	ds_store_b128 v158, v[5:8]
.LBB119_287:
	s_wait_alu 0xfffe
	s_or_b32 exec_lo, exec_lo, s0
	s_wait_storecnt_dscnt 0x0
	s_barrier_signal -1
	s_barrier_wait -1
	global_inv scope:SCOPE_SE
	s_clause 0x8
	scratch_load_b128 v[2:5], off, off offset:528
	scratch_load_b128 v[6:9], off, off offset:544
	;; [unrolled: 1-line block ×9, first 2 shown]
	ds_load_b128 v[38:41], v1 offset:1408
	ds_load_b128 v[42:45], v1 offset:1424
	s_clause 0x1
	scratch_load_b128 v[159:162], off, off offset:512
	scratch_load_b128 v[163:166], off, off offset:672
	s_mov_b32 s0, exec_lo
	s_wait_loadcnt_dscnt 0xa01
	v_mul_f64_e32 v[167:168], v[40:41], v[4:5]
	v_mul_f64_e32 v[4:5], v[38:39], v[4:5]
	s_wait_loadcnt_dscnt 0x900
	v_mul_f64_e32 v[171:172], v[42:43], v[8:9]
	v_mul_f64_e32 v[8:9], v[44:45], v[8:9]
	s_delay_alu instid0(VALU_DEP_4) | instskip(NEXT) | instid1(VALU_DEP_4)
	v_fma_f64 v[173:174], v[38:39], v[2:3], -v[167:168]
	v_fma_f64 v[175:176], v[40:41], v[2:3], v[4:5]
	ds_load_b128 v[2:5], v1 offset:1440
	ds_load_b128 v[167:170], v1 offset:1456
	scratch_load_b128 v[38:41], off, off offset:688
	v_fma_f64 v[44:45], v[44:45], v[6:7], v[171:172]
	v_fma_f64 v[42:43], v[42:43], v[6:7], -v[8:9]
	scratch_load_b128 v[6:9], off, off offset:704
	s_wait_loadcnt_dscnt 0xa01
	v_mul_f64_e32 v[177:178], v[2:3], v[12:13]
	v_mul_f64_e32 v[12:13], v[4:5], v[12:13]
	v_add_f64_e32 v[171:172], 0, v[173:174]
	v_add_f64_e32 v[173:174], 0, v[175:176]
	s_wait_loadcnt_dscnt 0x900
	v_mul_f64_e32 v[175:176], v[167:168], v[16:17]
	v_mul_f64_e32 v[16:17], v[169:170], v[16:17]
	v_fma_f64 v[177:178], v[4:5], v[10:11], v[177:178]
	v_fma_f64 v[179:180], v[2:3], v[10:11], -v[12:13]
	ds_load_b128 v[2:5], v1 offset:1472
	scratch_load_b128 v[10:13], off, off offset:720
	v_add_f64_e32 v[171:172], v[171:172], v[42:43]
	v_add_f64_e32 v[173:174], v[173:174], v[44:45]
	ds_load_b128 v[42:45], v1 offset:1488
	v_fma_f64 v[169:170], v[169:170], v[14:15], v[175:176]
	v_fma_f64 v[167:168], v[167:168], v[14:15], -v[16:17]
	scratch_load_b128 v[14:17], off, off offset:736
	s_wait_loadcnt_dscnt 0xa01
	v_mul_f64_e32 v[181:182], v[2:3], v[20:21]
	v_mul_f64_e32 v[20:21], v[4:5], v[20:21]
	s_wait_loadcnt_dscnt 0x900
	v_mul_f64_e32 v[175:176], v[42:43], v[24:25]
	v_mul_f64_e32 v[24:25], v[44:45], v[24:25]
	v_add_f64_e32 v[171:172], v[171:172], v[179:180]
	v_add_f64_e32 v[173:174], v[173:174], v[177:178]
	v_fma_f64 v[177:178], v[4:5], v[18:19], v[181:182]
	v_fma_f64 v[179:180], v[2:3], v[18:19], -v[20:21]
	ds_load_b128 v[2:5], v1 offset:1504
	scratch_load_b128 v[18:21], off, off offset:752
	v_fma_f64 v[44:45], v[44:45], v[22:23], v[175:176]
	v_fma_f64 v[42:43], v[42:43], v[22:23], -v[24:25]
	scratch_load_b128 v[22:25], off, off offset:768
	v_add_f64_e32 v[171:172], v[171:172], v[167:168]
	v_add_f64_e32 v[173:174], v[173:174], v[169:170]
	ds_load_b128 v[167:170], v1 offset:1520
	s_wait_loadcnt_dscnt 0xa01
	v_mul_f64_e32 v[181:182], v[2:3], v[28:29]
	v_mul_f64_e32 v[28:29], v[4:5], v[28:29]
	s_wait_loadcnt_dscnt 0x900
	v_mul_f64_e32 v[175:176], v[167:168], v[32:33]
	v_mul_f64_e32 v[32:33], v[169:170], v[32:33]
	v_add_f64_e32 v[171:172], v[171:172], v[179:180]
	v_add_f64_e32 v[173:174], v[173:174], v[177:178]
	v_fma_f64 v[177:178], v[4:5], v[26:27], v[181:182]
	v_fma_f64 v[179:180], v[2:3], v[26:27], -v[28:29]
	ds_load_b128 v[2:5], v1 offset:1536
	scratch_load_b128 v[26:29], off, off offset:784
	v_fma_f64 v[169:170], v[169:170], v[30:31], v[175:176]
	v_fma_f64 v[167:168], v[167:168], v[30:31], -v[32:33]
	scratch_load_b128 v[30:33], off, off offset:800
	v_add_f64_e32 v[171:172], v[171:172], v[42:43]
	v_add_f64_e32 v[173:174], v[173:174], v[44:45]
	ds_load_b128 v[42:45], v1 offset:1552
	s_wait_loadcnt_dscnt 0xa01
	v_mul_f64_e32 v[181:182], v[2:3], v[36:37]
	v_mul_f64_e32 v[36:37], v[4:5], v[36:37]
	s_wait_loadcnt_dscnt 0x800
	v_mul_f64_e32 v[175:176], v[42:43], v[165:166]
	v_add_f64_e32 v[171:172], v[171:172], v[179:180]
	v_add_f64_e32 v[173:174], v[173:174], v[177:178]
	v_mul_f64_e32 v[177:178], v[44:45], v[165:166]
	v_fma_f64 v[179:180], v[4:5], v[34:35], v[181:182]
	v_fma_f64 v[181:182], v[2:3], v[34:35], -v[36:37]
	ds_load_b128 v[2:5], v1 offset:1568
	scratch_load_b128 v[34:37], off, off offset:816
	v_fma_f64 v[44:45], v[44:45], v[163:164], v[175:176]
	v_add_f64_e32 v[171:172], v[171:172], v[167:168]
	v_add_f64_e32 v[169:170], v[173:174], v[169:170]
	ds_load_b128 v[165:168], v1 offset:1584
	v_fma_f64 v[163:164], v[42:43], v[163:164], -v[177:178]
	s_wait_loadcnt_dscnt 0x801
	v_mul_f64_e32 v[173:174], v[2:3], v[40:41]
	v_mul_f64_e32 v[183:184], v[4:5], v[40:41]
	scratch_load_b128 v[40:43], off, off offset:832
	s_wait_loadcnt_dscnt 0x800
	v_mul_f64_e32 v[177:178], v[165:166], v[8:9]
	v_mul_f64_e32 v[8:9], v[167:168], v[8:9]
	v_add_f64_e32 v[171:172], v[171:172], v[181:182]
	v_add_f64_e32 v[169:170], v[169:170], v[179:180]
	v_fma_f64 v[179:180], v[4:5], v[38:39], v[173:174]
	v_fma_f64 v[38:39], v[2:3], v[38:39], -v[183:184]
	ds_load_b128 v[2:5], v1 offset:1600
	ds_load_b128 v[173:176], v1 offset:1616
	v_fma_f64 v[167:168], v[167:168], v[6:7], v[177:178]
	v_fma_f64 v[165:166], v[165:166], v[6:7], -v[8:9]
	scratch_load_b128 v[6:9], off, off offset:864
	v_add_f64_e32 v[163:164], v[171:172], v[163:164]
	v_add_f64_e32 v[44:45], v[169:170], v[44:45]
	scratch_load_b128 v[169:172], off, off offset:848
	s_wait_loadcnt_dscnt 0x901
	v_mul_f64_e32 v[181:182], v[2:3], v[12:13]
	v_mul_f64_e32 v[12:13], v[4:5], v[12:13]
	s_wait_loadcnt_dscnt 0x800
	v_mul_f64_e32 v[177:178], v[173:174], v[16:17]
	v_mul_f64_e32 v[16:17], v[175:176], v[16:17]
	v_add_f64_e32 v[38:39], v[163:164], v[38:39]
	v_add_f64_e32 v[44:45], v[44:45], v[179:180]
	v_fma_f64 v[179:180], v[4:5], v[10:11], v[181:182]
	v_fma_f64 v[181:182], v[2:3], v[10:11], -v[12:13]
	ds_load_b128 v[2:5], v1 offset:1632
	scratch_load_b128 v[10:13], off, off offset:880
	v_fma_f64 v[175:176], v[175:176], v[14:15], v[177:178]
	v_fma_f64 v[173:174], v[173:174], v[14:15], -v[16:17]
	scratch_load_b128 v[14:17], off, off offset:896
	v_add_f64_e32 v[38:39], v[38:39], v[165:166]
	v_add_f64_e32 v[44:45], v[44:45], v[167:168]
	ds_load_b128 v[163:166], v1 offset:1648
	s_wait_loadcnt_dscnt 0x901
	v_mul_f64_e32 v[167:168], v[2:3], v[20:21]
	v_mul_f64_e32 v[20:21], v[4:5], v[20:21]
	s_wait_loadcnt_dscnt 0x800
	v_mul_f64_e32 v[177:178], v[163:164], v[24:25]
	v_mul_f64_e32 v[24:25], v[165:166], v[24:25]
	v_add_f64_e32 v[38:39], v[38:39], v[181:182]
	v_add_f64_e32 v[44:45], v[44:45], v[179:180]
	v_fma_f64 v[167:168], v[4:5], v[18:19], v[167:168]
	v_fma_f64 v[179:180], v[2:3], v[18:19], -v[20:21]
	ds_load_b128 v[2:5], v1 offset:1664
	ds_load_b128 v[18:21], v1 offset:1680
	v_fma_f64 v[165:166], v[165:166], v[22:23], v[177:178]
	v_fma_f64 v[22:23], v[163:164], v[22:23], -v[24:25]
	v_add_f64_e32 v[38:39], v[38:39], v[173:174]
	v_add_f64_e32 v[44:45], v[44:45], v[175:176]
	s_wait_loadcnt_dscnt 0x701
	v_mul_f64_e32 v[173:174], v[2:3], v[28:29]
	v_mul_f64_e32 v[28:29], v[4:5], v[28:29]
	s_delay_alu instid0(VALU_DEP_4) | instskip(NEXT) | instid1(VALU_DEP_4)
	v_add_f64_e32 v[24:25], v[38:39], v[179:180]
	v_add_f64_e32 v[38:39], v[44:45], v[167:168]
	s_wait_loadcnt_dscnt 0x600
	v_mul_f64_e32 v[44:45], v[18:19], v[32:33]
	v_mul_f64_e32 v[32:33], v[20:21], v[32:33]
	v_fma_f64 v[163:164], v[4:5], v[26:27], v[173:174]
	v_fma_f64 v[26:27], v[2:3], v[26:27], -v[28:29]
	v_add_f64_e32 v[28:29], v[24:25], v[22:23]
	v_add_f64_e32 v[38:39], v[38:39], v[165:166]
	ds_load_b128 v[2:5], v1 offset:1696
	ds_load_b128 v[22:25], v1 offset:1712
	v_fma_f64 v[20:21], v[20:21], v[30:31], v[44:45]
	v_fma_f64 v[18:19], v[18:19], v[30:31], -v[32:33]
	s_wait_loadcnt_dscnt 0x501
	v_mul_f64_e32 v[165:166], v[2:3], v[36:37]
	v_mul_f64_e32 v[36:37], v[4:5], v[36:37]
	s_wait_loadcnt_dscnt 0x400
	v_mul_f64_e32 v[30:31], v[22:23], v[42:43]
	v_add_f64_e32 v[26:27], v[28:29], v[26:27]
	v_add_f64_e32 v[28:29], v[38:39], v[163:164]
	v_mul_f64_e32 v[32:33], v[24:25], v[42:43]
	v_fma_f64 v[38:39], v[4:5], v[34:35], v[165:166]
	v_fma_f64 v[34:35], v[2:3], v[34:35], -v[36:37]
	v_fma_f64 v[24:25], v[24:25], v[40:41], v[30:31]
	v_add_f64_e32 v[26:27], v[26:27], v[18:19]
	v_add_f64_e32 v[28:29], v[28:29], v[20:21]
	ds_load_b128 v[2:5], v1 offset:1728
	ds_load_b128 v[18:21], v1 offset:1744
	v_fma_f64 v[22:23], v[22:23], v[40:41], -v[32:33]
	s_wait_loadcnt_dscnt 0x201
	v_mul_f64_e32 v[36:37], v[2:3], v[171:172]
	v_mul_f64_e32 v[42:43], v[4:5], v[171:172]
	s_wait_dscnt 0x0
	v_mul_f64_e32 v[30:31], v[18:19], v[8:9]
	v_mul_f64_e32 v[8:9], v[20:21], v[8:9]
	v_add_f64_e32 v[26:27], v[26:27], v[34:35]
	v_add_f64_e32 v[28:29], v[28:29], v[38:39]
	v_fma_f64 v[32:33], v[4:5], v[169:170], v[36:37]
	v_fma_f64 v[34:35], v[2:3], v[169:170], -v[42:43]
	v_fma_f64 v[20:21], v[20:21], v[6:7], v[30:31]
	v_fma_f64 v[6:7], v[18:19], v[6:7], -v[8:9]
	v_add_f64_e32 v[26:27], v[26:27], v[22:23]
	v_add_f64_e32 v[28:29], v[28:29], v[24:25]
	ds_load_b128 v[2:5], v1 offset:1760
	ds_load_b128 v[22:25], v1 offset:1776
	s_wait_loadcnt_dscnt 0x101
	v_mul_f64_e32 v[36:37], v[2:3], v[12:13]
	v_mul_f64_e32 v[12:13], v[4:5], v[12:13]
	v_add_f64_e32 v[8:9], v[26:27], v[34:35]
	v_add_f64_e32 v[18:19], v[28:29], v[32:33]
	s_wait_loadcnt_dscnt 0x0
	v_mul_f64_e32 v[26:27], v[22:23], v[16:17]
	v_mul_f64_e32 v[16:17], v[24:25], v[16:17]
	v_fma_f64 v[4:5], v[4:5], v[10:11], v[36:37]
	v_fma_f64 v[1:2], v[2:3], v[10:11], -v[12:13]
	v_add_f64_e32 v[6:7], v[8:9], v[6:7]
	v_add_f64_e32 v[8:9], v[18:19], v[20:21]
	v_fma_f64 v[10:11], v[24:25], v[14:15], v[26:27]
	v_fma_f64 v[12:13], v[22:23], v[14:15], -v[16:17]
	s_delay_alu instid0(VALU_DEP_4) | instskip(NEXT) | instid1(VALU_DEP_4)
	v_add_f64_e32 v[1:2], v[6:7], v[1:2]
	v_add_f64_e32 v[3:4], v[8:9], v[4:5]
	s_delay_alu instid0(VALU_DEP_2) | instskip(NEXT) | instid1(VALU_DEP_2)
	v_add_f64_e32 v[1:2], v[1:2], v[12:13]
	v_add_f64_e32 v[3:4], v[3:4], v[10:11]
	s_delay_alu instid0(VALU_DEP_2) | instskip(NEXT) | instid1(VALU_DEP_2)
	v_add_f64_e64 v[1:2], v[159:160], -v[1:2]
	v_add_f64_e64 v[3:4], v[161:162], -v[3:4]
	scratch_store_b128 off, v[1:4], off offset:512
	v_cmpx_lt_u32_e32 30, v0
	s_cbranch_execz .LBB119_289
; %bb.288:
	scratch_load_b128 v[1:4], off, s39
	v_mov_b32_e32 v5, 0
	s_delay_alu instid0(VALU_DEP_1)
	v_dual_mov_b32 v6, v5 :: v_dual_mov_b32 v7, v5
	v_mov_b32_e32 v8, v5
	scratch_store_b128 off, v[5:8], off offset:496
	s_wait_loadcnt 0x0
	ds_store_b128 v158, v[1:4]
.LBB119_289:
	s_wait_alu 0xfffe
	s_or_b32 exec_lo, exec_lo, s0
	s_wait_storecnt_dscnt 0x0
	s_barrier_signal -1
	s_barrier_wait -1
	global_inv scope:SCOPE_SE
	s_clause 0x7
	scratch_load_b128 v[2:5], off, off offset:512
	scratch_load_b128 v[6:9], off, off offset:528
	;; [unrolled: 1-line block ×8, first 2 shown]
	v_mov_b32_e32 v1, 0
	s_mov_b32 s0, exec_lo
	ds_load_b128 v[34:37], v1 offset:1392
	s_clause 0x1
	scratch_load_b128 v[38:41], off, off offset:640
	scratch_load_b128 v[42:45], off, off offset:496
	ds_load_b128 v[159:162], v1 offset:1408
	scratch_load_b128 v[163:166], off, off offset:656
	s_wait_loadcnt_dscnt 0xa01
	v_mul_f64_e32 v[167:168], v[36:37], v[4:5]
	v_mul_f64_e32 v[4:5], v[34:35], v[4:5]
	s_delay_alu instid0(VALU_DEP_2) | instskip(NEXT) | instid1(VALU_DEP_2)
	v_fma_f64 v[173:174], v[34:35], v[2:3], -v[167:168]
	v_fma_f64 v[175:176], v[36:37], v[2:3], v[4:5]
	ds_load_b128 v[2:5], v1 offset:1424
	s_wait_loadcnt_dscnt 0x901
	v_mul_f64_e32 v[171:172], v[159:160], v[8:9]
	v_mul_f64_e32 v[8:9], v[161:162], v[8:9]
	scratch_load_b128 v[34:37], off, off offset:672
	ds_load_b128 v[167:170], v1 offset:1440
	s_wait_loadcnt_dscnt 0x901
	v_mul_f64_e32 v[177:178], v[2:3], v[12:13]
	v_mul_f64_e32 v[12:13], v[4:5], v[12:13]
	v_fma_f64 v[161:162], v[161:162], v[6:7], v[171:172]
	v_fma_f64 v[159:160], v[159:160], v[6:7], -v[8:9]
	v_add_f64_e32 v[171:172], 0, v[173:174]
	v_add_f64_e32 v[173:174], 0, v[175:176]
	scratch_load_b128 v[6:9], off, off offset:688
	v_fma_f64 v[177:178], v[4:5], v[10:11], v[177:178]
	v_fma_f64 v[179:180], v[2:3], v[10:11], -v[12:13]
	ds_load_b128 v[2:5], v1 offset:1456
	s_wait_loadcnt_dscnt 0x901
	v_mul_f64_e32 v[175:176], v[167:168], v[16:17]
	v_mul_f64_e32 v[16:17], v[169:170], v[16:17]
	scratch_load_b128 v[10:13], off, off offset:704
	v_add_f64_e32 v[171:172], v[171:172], v[159:160]
	v_add_f64_e32 v[173:174], v[173:174], v[161:162]
	s_wait_loadcnt_dscnt 0x900
	v_mul_f64_e32 v[181:182], v[2:3], v[20:21]
	v_mul_f64_e32 v[20:21], v[4:5], v[20:21]
	ds_load_b128 v[159:162], v1 offset:1472
	v_fma_f64 v[169:170], v[169:170], v[14:15], v[175:176]
	v_fma_f64 v[167:168], v[167:168], v[14:15], -v[16:17]
	scratch_load_b128 v[14:17], off, off offset:720
	v_add_f64_e32 v[171:172], v[171:172], v[179:180]
	v_add_f64_e32 v[173:174], v[173:174], v[177:178]
	v_fma_f64 v[177:178], v[4:5], v[18:19], v[181:182]
	v_fma_f64 v[179:180], v[2:3], v[18:19], -v[20:21]
	ds_load_b128 v[2:5], v1 offset:1488
	s_wait_loadcnt_dscnt 0x901
	v_mul_f64_e32 v[175:176], v[159:160], v[24:25]
	v_mul_f64_e32 v[24:25], v[161:162], v[24:25]
	scratch_load_b128 v[18:21], off, off offset:736
	s_wait_loadcnt_dscnt 0x900
	v_mul_f64_e32 v[181:182], v[2:3], v[28:29]
	v_mul_f64_e32 v[28:29], v[4:5], v[28:29]
	v_add_f64_e32 v[171:172], v[171:172], v[167:168]
	v_add_f64_e32 v[173:174], v[173:174], v[169:170]
	ds_load_b128 v[167:170], v1 offset:1504
	v_fma_f64 v[161:162], v[161:162], v[22:23], v[175:176]
	v_fma_f64 v[159:160], v[159:160], v[22:23], -v[24:25]
	scratch_load_b128 v[22:25], off, off offset:752
	v_add_f64_e32 v[171:172], v[171:172], v[179:180]
	v_add_f64_e32 v[173:174], v[173:174], v[177:178]
	v_fma_f64 v[177:178], v[4:5], v[26:27], v[181:182]
	v_fma_f64 v[179:180], v[2:3], v[26:27], -v[28:29]
	ds_load_b128 v[2:5], v1 offset:1520
	s_wait_loadcnt_dscnt 0x901
	v_mul_f64_e32 v[175:176], v[167:168], v[32:33]
	v_mul_f64_e32 v[32:33], v[169:170], v[32:33]
	scratch_load_b128 v[26:29], off, off offset:768
	s_wait_loadcnt_dscnt 0x900
	v_mul_f64_e32 v[181:182], v[2:3], v[40:41]
	v_mul_f64_e32 v[40:41], v[4:5], v[40:41]
	v_add_f64_e32 v[171:172], v[171:172], v[159:160]
	v_add_f64_e32 v[173:174], v[173:174], v[161:162]
	ds_load_b128 v[159:162], v1 offset:1536
	v_fma_f64 v[169:170], v[169:170], v[30:31], v[175:176]
	v_fma_f64 v[167:168], v[167:168], v[30:31], -v[32:33]
	scratch_load_b128 v[30:33], off, off offset:784
	v_add_f64_e32 v[171:172], v[171:172], v[179:180]
	v_add_f64_e32 v[173:174], v[173:174], v[177:178]
	v_fma_f64 v[179:180], v[4:5], v[38:39], v[181:182]
	v_fma_f64 v[181:182], v[2:3], v[38:39], -v[40:41]
	ds_load_b128 v[2:5], v1 offset:1552
	s_wait_loadcnt_dscnt 0x801
	v_mul_f64_e32 v[175:176], v[159:160], v[165:166]
	v_mul_f64_e32 v[177:178], v[161:162], v[165:166]
	scratch_load_b128 v[38:41], off, off offset:800
	v_add_f64_e32 v[171:172], v[171:172], v[167:168]
	v_add_f64_e32 v[169:170], v[173:174], v[169:170]
	ds_load_b128 v[165:168], v1 offset:1568
	v_fma_f64 v[175:176], v[161:162], v[163:164], v[175:176]
	v_fma_f64 v[163:164], v[159:160], v[163:164], -v[177:178]
	scratch_load_b128 v[159:162], off, off offset:816
	s_wait_loadcnt_dscnt 0x901
	v_mul_f64_e32 v[173:174], v[2:3], v[36:37]
	v_mul_f64_e32 v[36:37], v[4:5], v[36:37]
	v_add_f64_e32 v[171:172], v[171:172], v[181:182]
	v_add_f64_e32 v[169:170], v[169:170], v[179:180]
	s_delay_alu instid0(VALU_DEP_4) | instskip(NEXT) | instid1(VALU_DEP_4)
	v_fma_f64 v[173:174], v[4:5], v[34:35], v[173:174]
	v_fma_f64 v[179:180], v[2:3], v[34:35], -v[36:37]
	ds_load_b128 v[2:5], v1 offset:1584
	s_wait_loadcnt_dscnt 0x801
	v_mul_f64_e32 v[177:178], v[165:166], v[8:9]
	v_mul_f64_e32 v[8:9], v[167:168], v[8:9]
	scratch_load_b128 v[34:37], off, off offset:832
	s_wait_loadcnt_dscnt 0x800
	v_mul_f64_e32 v[181:182], v[2:3], v[12:13]
	v_add_f64_e32 v[163:164], v[171:172], v[163:164]
	v_add_f64_e32 v[175:176], v[169:170], v[175:176]
	v_mul_f64_e32 v[12:13], v[4:5], v[12:13]
	ds_load_b128 v[169:172], v1 offset:1600
	v_fma_f64 v[167:168], v[167:168], v[6:7], v[177:178]
	v_fma_f64 v[165:166], v[165:166], v[6:7], -v[8:9]
	scratch_load_b128 v[6:9], off, off offset:848
	v_fma_f64 v[177:178], v[4:5], v[10:11], v[181:182]
	v_add_f64_e32 v[163:164], v[163:164], v[179:180]
	v_add_f64_e32 v[173:174], v[175:176], v[173:174]
	v_fma_f64 v[179:180], v[2:3], v[10:11], -v[12:13]
	ds_load_b128 v[2:5], v1 offset:1616
	s_wait_loadcnt_dscnt 0x801
	v_mul_f64_e32 v[175:176], v[169:170], v[16:17]
	v_mul_f64_e32 v[16:17], v[171:172], v[16:17]
	scratch_load_b128 v[10:13], off, off offset:864
	v_add_f64_e32 v[181:182], v[163:164], v[165:166]
	v_add_f64_e32 v[167:168], v[173:174], v[167:168]
	s_wait_loadcnt_dscnt 0x800
	v_mul_f64_e32 v[173:174], v[2:3], v[20:21]
	v_mul_f64_e32 v[20:21], v[4:5], v[20:21]
	v_fma_f64 v[171:172], v[171:172], v[14:15], v[175:176]
	v_fma_f64 v[169:170], v[169:170], v[14:15], -v[16:17]
	ds_load_b128 v[163:166], v1 offset:1632
	scratch_load_b128 v[14:17], off, off offset:880
	v_add_f64_e32 v[175:176], v[181:182], v[179:180]
	v_add_f64_e32 v[167:168], v[167:168], v[177:178]
	v_fma_f64 v[173:174], v[4:5], v[18:19], v[173:174]
	v_fma_f64 v[179:180], v[2:3], v[18:19], -v[20:21]
	ds_load_b128 v[2:5], v1 offset:1648
	s_wait_loadcnt_dscnt 0x801
	v_mul_f64_e32 v[177:178], v[163:164], v[24:25]
	v_mul_f64_e32 v[24:25], v[165:166], v[24:25]
	scratch_load_b128 v[18:21], off, off offset:896
	s_wait_loadcnt_dscnt 0x800
	v_mul_f64_e32 v[181:182], v[2:3], v[28:29]
	v_mul_f64_e32 v[28:29], v[4:5], v[28:29]
	v_add_f64_e32 v[175:176], v[175:176], v[169:170]
	v_add_f64_e32 v[171:172], v[167:168], v[171:172]
	ds_load_b128 v[167:170], v1 offset:1664
	v_fma_f64 v[165:166], v[165:166], v[22:23], v[177:178]
	v_fma_f64 v[22:23], v[163:164], v[22:23], -v[24:25]
	v_add_f64_e32 v[24:25], v[175:176], v[179:180]
	v_add_f64_e32 v[163:164], v[171:172], v[173:174]
	s_wait_loadcnt_dscnt 0x700
	v_mul_f64_e32 v[171:172], v[167:168], v[32:33]
	v_mul_f64_e32 v[32:33], v[169:170], v[32:33]
	v_fma_f64 v[173:174], v[4:5], v[26:27], v[181:182]
	v_fma_f64 v[26:27], v[2:3], v[26:27], -v[28:29]
	v_add_f64_e32 v[28:29], v[24:25], v[22:23]
	v_add_f64_e32 v[163:164], v[163:164], v[165:166]
	ds_load_b128 v[2:5], v1 offset:1680
	ds_load_b128 v[22:25], v1 offset:1696
	v_fma_f64 v[169:170], v[169:170], v[30:31], v[171:172]
	v_fma_f64 v[30:31], v[167:168], v[30:31], -v[32:33]
	s_wait_loadcnt_dscnt 0x601
	v_mul_f64_e32 v[165:166], v[2:3], v[40:41]
	v_mul_f64_e32 v[40:41], v[4:5], v[40:41]
	s_wait_loadcnt_dscnt 0x500
	v_mul_f64_e32 v[32:33], v[22:23], v[161:162]
	v_mul_f64_e32 v[161:162], v[24:25], v[161:162]
	v_add_f64_e32 v[26:27], v[28:29], v[26:27]
	v_add_f64_e32 v[28:29], v[163:164], v[173:174]
	v_fma_f64 v[163:164], v[4:5], v[38:39], v[165:166]
	v_fma_f64 v[38:39], v[2:3], v[38:39], -v[40:41]
	v_fma_f64 v[24:25], v[24:25], v[159:160], v[32:33]
	v_fma_f64 v[22:23], v[22:23], v[159:160], -v[161:162]
	v_add_f64_e32 v[30:31], v[26:27], v[30:31]
	v_add_f64_e32 v[40:41], v[28:29], v[169:170]
	ds_load_b128 v[2:5], v1 offset:1712
	ds_load_b128 v[26:29], v1 offset:1728
	s_wait_loadcnt_dscnt 0x401
	v_mul_f64_e32 v[165:166], v[2:3], v[36:37]
	v_mul_f64_e32 v[36:37], v[4:5], v[36:37]
	v_add_f64_e32 v[30:31], v[30:31], v[38:39]
	v_add_f64_e32 v[32:33], v[40:41], v[163:164]
	s_wait_loadcnt_dscnt 0x300
	v_mul_f64_e32 v[38:39], v[26:27], v[8:9]
	v_mul_f64_e32 v[8:9], v[28:29], v[8:9]
	v_fma_f64 v[40:41], v[4:5], v[34:35], v[165:166]
	v_fma_f64 v[34:35], v[2:3], v[34:35], -v[36:37]
	v_add_f64_e32 v[30:31], v[30:31], v[22:23]
	v_add_f64_e32 v[32:33], v[32:33], v[24:25]
	ds_load_b128 v[2:5], v1 offset:1744
	ds_load_b128 v[22:25], v1 offset:1760
	v_fma_f64 v[28:29], v[28:29], v[6:7], v[38:39]
	v_fma_f64 v[6:7], v[26:27], v[6:7], -v[8:9]
	s_wait_loadcnt_dscnt 0x201
	v_mul_f64_e32 v[36:37], v[2:3], v[12:13]
	v_mul_f64_e32 v[12:13], v[4:5], v[12:13]
	v_add_f64_e32 v[8:9], v[30:31], v[34:35]
	v_add_f64_e32 v[26:27], v[32:33], v[40:41]
	s_wait_loadcnt_dscnt 0x100
	v_mul_f64_e32 v[30:31], v[22:23], v[16:17]
	v_mul_f64_e32 v[16:17], v[24:25], v[16:17]
	v_fma_f64 v[32:33], v[4:5], v[10:11], v[36:37]
	v_fma_f64 v[10:11], v[2:3], v[10:11], -v[12:13]
	ds_load_b128 v[2:5], v1 offset:1776
	v_add_f64_e32 v[6:7], v[8:9], v[6:7]
	v_add_f64_e32 v[8:9], v[26:27], v[28:29]
	v_fma_f64 v[24:25], v[24:25], v[14:15], v[30:31]
	v_fma_f64 v[14:15], v[22:23], v[14:15], -v[16:17]
	s_wait_loadcnt_dscnt 0x0
	v_mul_f64_e32 v[12:13], v[2:3], v[20:21]
	v_mul_f64_e32 v[20:21], v[4:5], v[20:21]
	v_add_f64_e32 v[6:7], v[6:7], v[10:11]
	v_add_f64_e32 v[8:9], v[8:9], v[32:33]
	s_delay_alu instid0(VALU_DEP_4) | instskip(NEXT) | instid1(VALU_DEP_4)
	v_fma_f64 v[4:5], v[4:5], v[18:19], v[12:13]
	v_fma_f64 v[2:3], v[2:3], v[18:19], -v[20:21]
	s_delay_alu instid0(VALU_DEP_4) | instskip(NEXT) | instid1(VALU_DEP_4)
	v_add_f64_e32 v[6:7], v[6:7], v[14:15]
	v_add_f64_e32 v[8:9], v[8:9], v[24:25]
	s_delay_alu instid0(VALU_DEP_2) | instskip(NEXT) | instid1(VALU_DEP_2)
	v_add_f64_e32 v[2:3], v[6:7], v[2:3]
	v_add_f64_e32 v[4:5], v[8:9], v[4:5]
	s_delay_alu instid0(VALU_DEP_2) | instskip(NEXT) | instid1(VALU_DEP_2)
	v_add_f64_e64 v[2:3], v[42:43], -v[2:3]
	v_add_f64_e64 v[4:5], v[44:45], -v[4:5]
	scratch_store_b128 off, v[2:5], off offset:496
	v_cmpx_lt_u32_e32 29, v0
	s_cbranch_execz .LBB119_291
; %bb.290:
	scratch_load_b128 v[5:8], off, s40
	v_dual_mov_b32 v2, v1 :: v_dual_mov_b32 v3, v1
	v_mov_b32_e32 v4, v1
	scratch_store_b128 off, v[1:4], off offset:480
	s_wait_loadcnt 0x0
	ds_store_b128 v158, v[5:8]
.LBB119_291:
	s_wait_alu 0xfffe
	s_or_b32 exec_lo, exec_lo, s0
	s_wait_storecnt_dscnt 0x0
	s_barrier_signal -1
	s_barrier_wait -1
	global_inv scope:SCOPE_SE
	s_clause 0x8
	scratch_load_b128 v[2:5], off, off offset:496
	scratch_load_b128 v[6:9], off, off offset:512
	;; [unrolled: 1-line block ×9, first 2 shown]
	ds_load_b128 v[38:41], v1 offset:1376
	ds_load_b128 v[42:45], v1 offset:1392
	s_clause 0x1
	scratch_load_b128 v[159:162], off, off offset:480
	scratch_load_b128 v[163:166], off, off offset:640
	s_mov_b32 s0, exec_lo
	s_wait_loadcnt_dscnt 0xa01
	v_mul_f64_e32 v[167:168], v[40:41], v[4:5]
	v_mul_f64_e32 v[4:5], v[38:39], v[4:5]
	s_wait_loadcnt_dscnt 0x900
	v_mul_f64_e32 v[171:172], v[42:43], v[8:9]
	v_mul_f64_e32 v[8:9], v[44:45], v[8:9]
	s_delay_alu instid0(VALU_DEP_4) | instskip(NEXT) | instid1(VALU_DEP_4)
	v_fma_f64 v[173:174], v[38:39], v[2:3], -v[167:168]
	v_fma_f64 v[175:176], v[40:41], v[2:3], v[4:5]
	ds_load_b128 v[2:5], v1 offset:1408
	ds_load_b128 v[167:170], v1 offset:1424
	scratch_load_b128 v[38:41], off, off offset:656
	v_fma_f64 v[44:45], v[44:45], v[6:7], v[171:172]
	v_fma_f64 v[42:43], v[42:43], v[6:7], -v[8:9]
	scratch_load_b128 v[6:9], off, off offset:672
	s_wait_loadcnt_dscnt 0xa01
	v_mul_f64_e32 v[177:178], v[2:3], v[12:13]
	v_mul_f64_e32 v[12:13], v[4:5], v[12:13]
	v_add_f64_e32 v[171:172], 0, v[173:174]
	v_add_f64_e32 v[173:174], 0, v[175:176]
	s_wait_loadcnt_dscnt 0x900
	v_mul_f64_e32 v[175:176], v[167:168], v[16:17]
	v_mul_f64_e32 v[16:17], v[169:170], v[16:17]
	v_fma_f64 v[177:178], v[4:5], v[10:11], v[177:178]
	v_fma_f64 v[179:180], v[2:3], v[10:11], -v[12:13]
	ds_load_b128 v[2:5], v1 offset:1440
	scratch_load_b128 v[10:13], off, off offset:688
	v_add_f64_e32 v[171:172], v[171:172], v[42:43]
	v_add_f64_e32 v[173:174], v[173:174], v[44:45]
	ds_load_b128 v[42:45], v1 offset:1456
	v_fma_f64 v[169:170], v[169:170], v[14:15], v[175:176]
	v_fma_f64 v[167:168], v[167:168], v[14:15], -v[16:17]
	scratch_load_b128 v[14:17], off, off offset:704
	s_wait_loadcnt_dscnt 0xa01
	v_mul_f64_e32 v[181:182], v[2:3], v[20:21]
	v_mul_f64_e32 v[20:21], v[4:5], v[20:21]
	s_wait_loadcnt_dscnt 0x900
	v_mul_f64_e32 v[175:176], v[42:43], v[24:25]
	v_mul_f64_e32 v[24:25], v[44:45], v[24:25]
	v_add_f64_e32 v[171:172], v[171:172], v[179:180]
	v_add_f64_e32 v[173:174], v[173:174], v[177:178]
	v_fma_f64 v[177:178], v[4:5], v[18:19], v[181:182]
	v_fma_f64 v[179:180], v[2:3], v[18:19], -v[20:21]
	ds_load_b128 v[2:5], v1 offset:1472
	scratch_load_b128 v[18:21], off, off offset:720
	v_fma_f64 v[44:45], v[44:45], v[22:23], v[175:176]
	v_fma_f64 v[42:43], v[42:43], v[22:23], -v[24:25]
	scratch_load_b128 v[22:25], off, off offset:736
	v_add_f64_e32 v[171:172], v[171:172], v[167:168]
	v_add_f64_e32 v[173:174], v[173:174], v[169:170]
	ds_load_b128 v[167:170], v1 offset:1488
	s_wait_loadcnt_dscnt 0xa01
	v_mul_f64_e32 v[181:182], v[2:3], v[28:29]
	v_mul_f64_e32 v[28:29], v[4:5], v[28:29]
	s_wait_loadcnt_dscnt 0x900
	v_mul_f64_e32 v[175:176], v[167:168], v[32:33]
	v_mul_f64_e32 v[32:33], v[169:170], v[32:33]
	v_add_f64_e32 v[171:172], v[171:172], v[179:180]
	v_add_f64_e32 v[173:174], v[173:174], v[177:178]
	v_fma_f64 v[177:178], v[4:5], v[26:27], v[181:182]
	v_fma_f64 v[179:180], v[2:3], v[26:27], -v[28:29]
	ds_load_b128 v[2:5], v1 offset:1504
	scratch_load_b128 v[26:29], off, off offset:752
	v_fma_f64 v[169:170], v[169:170], v[30:31], v[175:176]
	v_fma_f64 v[167:168], v[167:168], v[30:31], -v[32:33]
	scratch_load_b128 v[30:33], off, off offset:768
	v_add_f64_e32 v[171:172], v[171:172], v[42:43]
	v_add_f64_e32 v[173:174], v[173:174], v[44:45]
	ds_load_b128 v[42:45], v1 offset:1520
	s_wait_loadcnt_dscnt 0xa01
	v_mul_f64_e32 v[181:182], v[2:3], v[36:37]
	v_mul_f64_e32 v[36:37], v[4:5], v[36:37]
	s_wait_loadcnt_dscnt 0x800
	v_mul_f64_e32 v[175:176], v[42:43], v[165:166]
	v_add_f64_e32 v[171:172], v[171:172], v[179:180]
	v_add_f64_e32 v[173:174], v[173:174], v[177:178]
	v_mul_f64_e32 v[177:178], v[44:45], v[165:166]
	v_fma_f64 v[179:180], v[4:5], v[34:35], v[181:182]
	v_fma_f64 v[181:182], v[2:3], v[34:35], -v[36:37]
	ds_load_b128 v[2:5], v1 offset:1536
	scratch_load_b128 v[34:37], off, off offset:784
	v_fma_f64 v[44:45], v[44:45], v[163:164], v[175:176]
	v_add_f64_e32 v[171:172], v[171:172], v[167:168]
	v_add_f64_e32 v[169:170], v[173:174], v[169:170]
	ds_load_b128 v[165:168], v1 offset:1552
	v_fma_f64 v[163:164], v[42:43], v[163:164], -v[177:178]
	s_wait_loadcnt_dscnt 0x801
	v_mul_f64_e32 v[173:174], v[2:3], v[40:41]
	v_mul_f64_e32 v[183:184], v[4:5], v[40:41]
	scratch_load_b128 v[40:43], off, off offset:800
	s_wait_loadcnt_dscnt 0x800
	v_mul_f64_e32 v[177:178], v[165:166], v[8:9]
	v_mul_f64_e32 v[8:9], v[167:168], v[8:9]
	v_add_f64_e32 v[171:172], v[171:172], v[181:182]
	v_add_f64_e32 v[169:170], v[169:170], v[179:180]
	v_fma_f64 v[179:180], v[4:5], v[38:39], v[173:174]
	v_fma_f64 v[38:39], v[2:3], v[38:39], -v[183:184]
	ds_load_b128 v[2:5], v1 offset:1568
	ds_load_b128 v[173:176], v1 offset:1584
	v_fma_f64 v[167:168], v[167:168], v[6:7], v[177:178]
	v_fma_f64 v[165:166], v[165:166], v[6:7], -v[8:9]
	scratch_load_b128 v[6:9], off, off offset:832
	v_add_f64_e32 v[163:164], v[171:172], v[163:164]
	v_add_f64_e32 v[44:45], v[169:170], v[44:45]
	scratch_load_b128 v[169:172], off, off offset:816
	s_wait_loadcnt_dscnt 0x901
	v_mul_f64_e32 v[181:182], v[2:3], v[12:13]
	v_mul_f64_e32 v[12:13], v[4:5], v[12:13]
	s_wait_loadcnt_dscnt 0x800
	v_mul_f64_e32 v[177:178], v[173:174], v[16:17]
	v_mul_f64_e32 v[16:17], v[175:176], v[16:17]
	v_add_f64_e32 v[38:39], v[163:164], v[38:39]
	v_add_f64_e32 v[44:45], v[44:45], v[179:180]
	v_fma_f64 v[179:180], v[4:5], v[10:11], v[181:182]
	v_fma_f64 v[181:182], v[2:3], v[10:11], -v[12:13]
	ds_load_b128 v[2:5], v1 offset:1600
	scratch_load_b128 v[10:13], off, off offset:848
	v_fma_f64 v[175:176], v[175:176], v[14:15], v[177:178]
	v_fma_f64 v[173:174], v[173:174], v[14:15], -v[16:17]
	scratch_load_b128 v[14:17], off, off offset:864
	v_add_f64_e32 v[38:39], v[38:39], v[165:166]
	v_add_f64_e32 v[44:45], v[44:45], v[167:168]
	ds_load_b128 v[163:166], v1 offset:1616
	s_wait_loadcnt_dscnt 0x901
	v_mul_f64_e32 v[167:168], v[2:3], v[20:21]
	v_mul_f64_e32 v[20:21], v[4:5], v[20:21]
	s_wait_loadcnt_dscnt 0x800
	v_mul_f64_e32 v[177:178], v[163:164], v[24:25]
	v_mul_f64_e32 v[24:25], v[165:166], v[24:25]
	v_add_f64_e32 v[38:39], v[38:39], v[181:182]
	v_add_f64_e32 v[44:45], v[44:45], v[179:180]
	v_fma_f64 v[167:168], v[4:5], v[18:19], v[167:168]
	v_fma_f64 v[179:180], v[2:3], v[18:19], -v[20:21]
	ds_load_b128 v[2:5], v1 offset:1632
	scratch_load_b128 v[18:21], off, off offset:880
	v_fma_f64 v[165:166], v[165:166], v[22:23], v[177:178]
	v_fma_f64 v[163:164], v[163:164], v[22:23], -v[24:25]
	scratch_load_b128 v[22:25], off, off offset:896
	v_add_f64_e32 v[38:39], v[38:39], v[173:174]
	v_add_f64_e32 v[44:45], v[44:45], v[175:176]
	ds_load_b128 v[173:176], v1 offset:1648
	s_wait_loadcnt_dscnt 0x901
	v_mul_f64_e32 v[181:182], v[2:3], v[28:29]
	v_mul_f64_e32 v[28:29], v[4:5], v[28:29]
	v_add_f64_e32 v[38:39], v[38:39], v[179:180]
	v_add_f64_e32 v[44:45], v[44:45], v[167:168]
	s_wait_loadcnt_dscnt 0x800
	v_mul_f64_e32 v[167:168], v[173:174], v[32:33]
	v_mul_f64_e32 v[32:33], v[175:176], v[32:33]
	v_fma_f64 v[177:178], v[4:5], v[26:27], v[181:182]
	v_fma_f64 v[179:180], v[2:3], v[26:27], -v[28:29]
	ds_load_b128 v[2:5], v1 offset:1664
	ds_load_b128 v[26:29], v1 offset:1680
	v_add_f64_e32 v[38:39], v[38:39], v[163:164]
	v_add_f64_e32 v[44:45], v[44:45], v[165:166]
	s_wait_loadcnt_dscnt 0x701
	v_mul_f64_e32 v[163:164], v[2:3], v[36:37]
	v_mul_f64_e32 v[36:37], v[4:5], v[36:37]
	v_fma_f64 v[165:166], v[175:176], v[30:31], v[167:168]
	v_fma_f64 v[30:31], v[173:174], v[30:31], -v[32:33]
	v_add_f64_e32 v[32:33], v[38:39], v[179:180]
	v_add_f64_e32 v[38:39], v[44:45], v[177:178]
	s_wait_loadcnt_dscnt 0x600
	v_mul_f64_e32 v[44:45], v[26:27], v[42:43]
	v_mul_f64_e32 v[42:43], v[28:29], v[42:43]
	v_fma_f64 v[163:164], v[4:5], v[34:35], v[163:164]
	v_fma_f64 v[34:35], v[2:3], v[34:35], -v[36:37]
	v_add_f64_e32 v[36:37], v[32:33], v[30:31]
	v_add_f64_e32 v[38:39], v[38:39], v[165:166]
	ds_load_b128 v[2:5], v1 offset:1696
	ds_load_b128 v[30:33], v1 offset:1712
	v_fma_f64 v[28:29], v[28:29], v[40:41], v[44:45]
	v_fma_f64 v[26:27], v[26:27], v[40:41], -v[42:43]
	s_wait_loadcnt_dscnt 0x401
	v_mul_f64_e32 v[165:166], v[2:3], v[171:172]
	v_mul_f64_e32 v[167:168], v[4:5], v[171:172]
	v_add_f64_e32 v[34:35], v[36:37], v[34:35]
	v_add_f64_e32 v[36:37], v[38:39], v[163:164]
	s_wait_dscnt 0x0
	v_mul_f64_e32 v[38:39], v[30:31], v[8:9]
	v_mul_f64_e32 v[8:9], v[32:33], v[8:9]
	v_fma_f64 v[40:41], v[4:5], v[169:170], v[165:166]
	v_fma_f64 v[42:43], v[2:3], v[169:170], -v[167:168]
	v_add_f64_e32 v[34:35], v[34:35], v[26:27]
	v_add_f64_e32 v[36:37], v[36:37], v[28:29]
	ds_load_b128 v[2:5], v1 offset:1728
	ds_load_b128 v[26:29], v1 offset:1744
	v_fma_f64 v[32:33], v[32:33], v[6:7], v[38:39]
	v_fma_f64 v[6:7], v[30:31], v[6:7], -v[8:9]
	s_wait_loadcnt_dscnt 0x301
	v_mul_f64_e32 v[44:45], v[2:3], v[12:13]
	v_mul_f64_e32 v[12:13], v[4:5], v[12:13]
	v_add_f64_e32 v[8:9], v[34:35], v[42:43]
	v_add_f64_e32 v[30:31], v[36:37], v[40:41]
	s_wait_loadcnt_dscnt 0x200
	v_mul_f64_e32 v[34:35], v[26:27], v[16:17]
	v_mul_f64_e32 v[16:17], v[28:29], v[16:17]
	v_fma_f64 v[36:37], v[4:5], v[10:11], v[44:45]
	v_fma_f64 v[10:11], v[2:3], v[10:11], -v[12:13]
	v_add_f64_e32 v[12:13], v[8:9], v[6:7]
	v_add_f64_e32 v[30:31], v[30:31], v[32:33]
	ds_load_b128 v[2:5], v1 offset:1760
	ds_load_b128 v[6:9], v1 offset:1776
	v_fma_f64 v[28:29], v[28:29], v[14:15], v[34:35]
	v_fma_f64 v[14:15], v[26:27], v[14:15], -v[16:17]
	s_wait_loadcnt_dscnt 0x101
	v_mul_f64_e32 v[32:33], v[2:3], v[20:21]
	v_mul_f64_e32 v[20:21], v[4:5], v[20:21]
	s_wait_loadcnt_dscnt 0x0
	v_mul_f64_e32 v[16:17], v[6:7], v[24:25]
	v_mul_f64_e32 v[24:25], v[8:9], v[24:25]
	v_add_f64_e32 v[10:11], v[12:13], v[10:11]
	v_add_f64_e32 v[12:13], v[30:31], v[36:37]
	v_fma_f64 v[4:5], v[4:5], v[18:19], v[32:33]
	v_fma_f64 v[1:2], v[2:3], v[18:19], -v[20:21]
	v_fma_f64 v[8:9], v[8:9], v[22:23], v[16:17]
	v_fma_f64 v[6:7], v[6:7], v[22:23], -v[24:25]
	v_add_f64_e32 v[10:11], v[10:11], v[14:15]
	v_add_f64_e32 v[12:13], v[12:13], v[28:29]
	s_delay_alu instid0(VALU_DEP_2) | instskip(NEXT) | instid1(VALU_DEP_2)
	v_add_f64_e32 v[1:2], v[10:11], v[1:2]
	v_add_f64_e32 v[3:4], v[12:13], v[4:5]
	s_delay_alu instid0(VALU_DEP_2) | instskip(NEXT) | instid1(VALU_DEP_2)
	;; [unrolled: 3-line block ×3, first 2 shown]
	v_add_f64_e64 v[1:2], v[159:160], -v[1:2]
	v_add_f64_e64 v[3:4], v[161:162], -v[3:4]
	scratch_store_b128 off, v[1:4], off offset:480
	v_cmpx_lt_u32_e32 28, v0
	s_cbranch_execz .LBB119_293
; %bb.292:
	scratch_load_b128 v[1:4], off, s41
	v_mov_b32_e32 v5, 0
	s_delay_alu instid0(VALU_DEP_1)
	v_dual_mov_b32 v6, v5 :: v_dual_mov_b32 v7, v5
	v_mov_b32_e32 v8, v5
	scratch_store_b128 off, v[5:8], off offset:464
	s_wait_loadcnt 0x0
	ds_store_b128 v158, v[1:4]
.LBB119_293:
	s_wait_alu 0xfffe
	s_or_b32 exec_lo, exec_lo, s0
	s_wait_storecnt_dscnt 0x0
	s_barrier_signal -1
	s_barrier_wait -1
	global_inv scope:SCOPE_SE
	s_clause 0x7
	scratch_load_b128 v[2:5], off, off offset:480
	scratch_load_b128 v[6:9], off, off offset:496
	;; [unrolled: 1-line block ×8, first 2 shown]
	v_mov_b32_e32 v1, 0
	s_mov_b32 s0, exec_lo
	ds_load_b128 v[34:37], v1 offset:1360
	s_clause 0x1
	scratch_load_b128 v[38:41], off, off offset:608
	scratch_load_b128 v[42:45], off, off offset:464
	ds_load_b128 v[159:162], v1 offset:1376
	scratch_load_b128 v[163:166], off, off offset:624
	s_wait_loadcnt_dscnt 0xa01
	v_mul_f64_e32 v[167:168], v[36:37], v[4:5]
	v_mul_f64_e32 v[4:5], v[34:35], v[4:5]
	s_delay_alu instid0(VALU_DEP_2) | instskip(NEXT) | instid1(VALU_DEP_2)
	v_fma_f64 v[173:174], v[34:35], v[2:3], -v[167:168]
	v_fma_f64 v[175:176], v[36:37], v[2:3], v[4:5]
	ds_load_b128 v[2:5], v1 offset:1392
	s_wait_loadcnt_dscnt 0x901
	v_mul_f64_e32 v[171:172], v[159:160], v[8:9]
	v_mul_f64_e32 v[8:9], v[161:162], v[8:9]
	scratch_load_b128 v[34:37], off, off offset:640
	ds_load_b128 v[167:170], v1 offset:1408
	s_wait_loadcnt_dscnt 0x901
	v_mul_f64_e32 v[177:178], v[2:3], v[12:13]
	v_mul_f64_e32 v[12:13], v[4:5], v[12:13]
	v_fma_f64 v[161:162], v[161:162], v[6:7], v[171:172]
	v_fma_f64 v[159:160], v[159:160], v[6:7], -v[8:9]
	v_add_f64_e32 v[171:172], 0, v[173:174]
	v_add_f64_e32 v[173:174], 0, v[175:176]
	scratch_load_b128 v[6:9], off, off offset:656
	v_fma_f64 v[177:178], v[4:5], v[10:11], v[177:178]
	v_fma_f64 v[179:180], v[2:3], v[10:11], -v[12:13]
	ds_load_b128 v[2:5], v1 offset:1424
	s_wait_loadcnt_dscnt 0x901
	v_mul_f64_e32 v[175:176], v[167:168], v[16:17]
	v_mul_f64_e32 v[16:17], v[169:170], v[16:17]
	scratch_load_b128 v[10:13], off, off offset:672
	v_add_f64_e32 v[171:172], v[171:172], v[159:160]
	v_add_f64_e32 v[173:174], v[173:174], v[161:162]
	s_wait_loadcnt_dscnt 0x900
	v_mul_f64_e32 v[181:182], v[2:3], v[20:21]
	v_mul_f64_e32 v[20:21], v[4:5], v[20:21]
	ds_load_b128 v[159:162], v1 offset:1440
	v_fma_f64 v[169:170], v[169:170], v[14:15], v[175:176]
	v_fma_f64 v[167:168], v[167:168], v[14:15], -v[16:17]
	scratch_load_b128 v[14:17], off, off offset:688
	v_add_f64_e32 v[171:172], v[171:172], v[179:180]
	v_add_f64_e32 v[173:174], v[173:174], v[177:178]
	v_fma_f64 v[177:178], v[4:5], v[18:19], v[181:182]
	v_fma_f64 v[179:180], v[2:3], v[18:19], -v[20:21]
	ds_load_b128 v[2:5], v1 offset:1456
	s_wait_loadcnt_dscnt 0x901
	v_mul_f64_e32 v[175:176], v[159:160], v[24:25]
	v_mul_f64_e32 v[24:25], v[161:162], v[24:25]
	scratch_load_b128 v[18:21], off, off offset:704
	s_wait_loadcnt_dscnt 0x900
	v_mul_f64_e32 v[181:182], v[2:3], v[28:29]
	v_mul_f64_e32 v[28:29], v[4:5], v[28:29]
	v_add_f64_e32 v[171:172], v[171:172], v[167:168]
	v_add_f64_e32 v[173:174], v[173:174], v[169:170]
	ds_load_b128 v[167:170], v1 offset:1472
	v_fma_f64 v[161:162], v[161:162], v[22:23], v[175:176]
	v_fma_f64 v[159:160], v[159:160], v[22:23], -v[24:25]
	scratch_load_b128 v[22:25], off, off offset:720
	v_add_f64_e32 v[171:172], v[171:172], v[179:180]
	v_add_f64_e32 v[173:174], v[173:174], v[177:178]
	v_fma_f64 v[177:178], v[4:5], v[26:27], v[181:182]
	v_fma_f64 v[179:180], v[2:3], v[26:27], -v[28:29]
	ds_load_b128 v[2:5], v1 offset:1488
	s_wait_loadcnt_dscnt 0x901
	v_mul_f64_e32 v[175:176], v[167:168], v[32:33]
	v_mul_f64_e32 v[32:33], v[169:170], v[32:33]
	scratch_load_b128 v[26:29], off, off offset:736
	s_wait_loadcnt_dscnt 0x900
	v_mul_f64_e32 v[181:182], v[2:3], v[40:41]
	v_mul_f64_e32 v[40:41], v[4:5], v[40:41]
	v_add_f64_e32 v[171:172], v[171:172], v[159:160]
	v_add_f64_e32 v[173:174], v[173:174], v[161:162]
	ds_load_b128 v[159:162], v1 offset:1504
	v_fma_f64 v[169:170], v[169:170], v[30:31], v[175:176]
	v_fma_f64 v[167:168], v[167:168], v[30:31], -v[32:33]
	scratch_load_b128 v[30:33], off, off offset:752
	v_add_f64_e32 v[171:172], v[171:172], v[179:180]
	v_add_f64_e32 v[173:174], v[173:174], v[177:178]
	v_fma_f64 v[179:180], v[4:5], v[38:39], v[181:182]
	v_fma_f64 v[181:182], v[2:3], v[38:39], -v[40:41]
	ds_load_b128 v[2:5], v1 offset:1520
	s_wait_loadcnt_dscnt 0x801
	v_mul_f64_e32 v[175:176], v[159:160], v[165:166]
	v_mul_f64_e32 v[177:178], v[161:162], v[165:166]
	scratch_load_b128 v[38:41], off, off offset:768
	v_add_f64_e32 v[171:172], v[171:172], v[167:168]
	v_add_f64_e32 v[169:170], v[173:174], v[169:170]
	ds_load_b128 v[165:168], v1 offset:1536
	v_fma_f64 v[175:176], v[161:162], v[163:164], v[175:176]
	v_fma_f64 v[163:164], v[159:160], v[163:164], -v[177:178]
	scratch_load_b128 v[159:162], off, off offset:784
	s_wait_loadcnt_dscnt 0x901
	v_mul_f64_e32 v[173:174], v[2:3], v[36:37]
	v_mul_f64_e32 v[36:37], v[4:5], v[36:37]
	v_add_f64_e32 v[171:172], v[171:172], v[181:182]
	v_add_f64_e32 v[169:170], v[169:170], v[179:180]
	s_delay_alu instid0(VALU_DEP_4) | instskip(NEXT) | instid1(VALU_DEP_4)
	v_fma_f64 v[173:174], v[4:5], v[34:35], v[173:174]
	v_fma_f64 v[179:180], v[2:3], v[34:35], -v[36:37]
	ds_load_b128 v[2:5], v1 offset:1552
	s_wait_loadcnt_dscnt 0x801
	v_mul_f64_e32 v[177:178], v[165:166], v[8:9]
	v_mul_f64_e32 v[8:9], v[167:168], v[8:9]
	scratch_load_b128 v[34:37], off, off offset:800
	s_wait_loadcnt_dscnt 0x800
	v_mul_f64_e32 v[181:182], v[2:3], v[12:13]
	v_add_f64_e32 v[163:164], v[171:172], v[163:164]
	v_add_f64_e32 v[175:176], v[169:170], v[175:176]
	v_mul_f64_e32 v[12:13], v[4:5], v[12:13]
	ds_load_b128 v[169:172], v1 offset:1568
	v_fma_f64 v[167:168], v[167:168], v[6:7], v[177:178]
	v_fma_f64 v[165:166], v[165:166], v[6:7], -v[8:9]
	scratch_load_b128 v[6:9], off, off offset:816
	v_fma_f64 v[177:178], v[4:5], v[10:11], v[181:182]
	v_add_f64_e32 v[163:164], v[163:164], v[179:180]
	v_add_f64_e32 v[173:174], v[175:176], v[173:174]
	v_fma_f64 v[179:180], v[2:3], v[10:11], -v[12:13]
	ds_load_b128 v[2:5], v1 offset:1584
	s_wait_loadcnt_dscnt 0x801
	v_mul_f64_e32 v[175:176], v[169:170], v[16:17]
	v_mul_f64_e32 v[16:17], v[171:172], v[16:17]
	scratch_load_b128 v[10:13], off, off offset:832
	v_add_f64_e32 v[181:182], v[163:164], v[165:166]
	v_add_f64_e32 v[167:168], v[173:174], v[167:168]
	s_wait_loadcnt_dscnt 0x800
	v_mul_f64_e32 v[173:174], v[2:3], v[20:21]
	v_mul_f64_e32 v[20:21], v[4:5], v[20:21]
	v_fma_f64 v[171:172], v[171:172], v[14:15], v[175:176]
	v_fma_f64 v[169:170], v[169:170], v[14:15], -v[16:17]
	ds_load_b128 v[163:166], v1 offset:1600
	scratch_load_b128 v[14:17], off, off offset:848
	v_add_f64_e32 v[175:176], v[181:182], v[179:180]
	v_add_f64_e32 v[167:168], v[167:168], v[177:178]
	v_fma_f64 v[173:174], v[4:5], v[18:19], v[173:174]
	v_fma_f64 v[179:180], v[2:3], v[18:19], -v[20:21]
	ds_load_b128 v[2:5], v1 offset:1616
	s_wait_loadcnt_dscnt 0x801
	v_mul_f64_e32 v[177:178], v[163:164], v[24:25]
	v_mul_f64_e32 v[24:25], v[165:166], v[24:25]
	scratch_load_b128 v[18:21], off, off offset:864
	s_wait_loadcnt_dscnt 0x800
	v_mul_f64_e32 v[181:182], v[2:3], v[28:29]
	v_mul_f64_e32 v[28:29], v[4:5], v[28:29]
	v_add_f64_e32 v[175:176], v[175:176], v[169:170]
	v_add_f64_e32 v[171:172], v[167:168], v[171:172]
	ds_load_b128 v[167:170], v1 offset:1632
	v_fma_f64 v[165:166], v[165:166], v[22:23], v[177:178]
	v_fma_f64 v[163:164], v[163:164], v[22:23], -v[24:25]
	scratch_load_b128 v[22:25], off, off offset:880
	v_fma_f64 v[177:178], v[4:5], v[26:27], v[181:182]
	v_add_f64_e32 v[175:176], v[175:176], v[179:180]
	v_add_f64_e32 v[171:172], v[171:172], v[173:174]
	v_fma_f64 v[179:180], v[2:3], v[26:27], -v[28:29]
	ds_load_b128 v[2:5], v1 offset:1648
	s_wait_loadcnt_dscnt 0x801
	v_mul_f64_e32 v[173:174], v[167:168], v[32:33]
	v_mul_f64_e32 v[32:33], v[169:170], v[32:33]
	scratch_load_b128 v[26:29], off, off offset:896
	s_wait_loadcnt_dscnt 0x800
	v_mul_f64_e32 v[181:182], v[2:3], v[40:41]
	v_mul_f64_e32 v[40:41], v[4:5], v[40:41]
	v_add_f64_e32 v[175:176], v[175:176], v[163:164]
	v_add_f64_e32 v[171:172], v[171:172], v[165:166]
	ds_load_b128 v[163:166], v1 offset:1664
	v_fma_f64 v[169:170], v[169:170], v[30:31], v[173:174]
	v_fma_f64 v[30:31], v[167:168], v[30:31], -v[32:33]
	v_fma_f64 v[173:174], v[4:5], v[38:39], v[181:182]
	v_fma_f64 v[38:39], v[2:3], v[38:39], -v[40:41]
	v_add_f64_e32 v[32:33], v[175:176], v[179:180]
	v_add_f64_e32 v[167:168], v[171:172], v[177:178]
	s_wait_loadcnt_dscnt 0x700
	v_mul_f64_e32 v[171:172], v[163:164], v[161:162]
	v_mul_f64_e32 v[161:162], v[165:166], v[161:162]
	s_delay_alu instid0(VALU_DEP_4) | instskip(NEXT) | instid1(VALU_DEP_4)
	v_add_f64_e32 v[40:41], v[32:33], v[30:31]
	v_add_f64_e32 v[167:168], v[167:168], v[169:170]
	ds_load_b128 v[2:5], v1 offset:1680
	ds_load_b128 v[30:33], v1 offset:1696
	v_fma_f64 v[165:166], v[165:166], v[159:160], v[171:172]
	v_fma_f64 v[159:160], v[163:164], v[159:160], -v[161:162]
	s_wait_loadcnt_dscnt 0x601
	v_mul_f64_e32 v[169:170], v[2:3], v[36:37]
	v_mul_f64_e32 v[36:37], v[4:5], v[36:37]
	s_wait_loadcnt_dscnt 0x500
	v_mul_f64_e32 v[161:162], v[30:31], v[8:9]
	v_mul_f64_e32 v[8:9], v[32:33], v[8:9]
	v_add_f64_e32 v[38:39], v[40:41], v[38:39]
	v_add_f64_e32 v[40:41], v[167:168], v[173:174]
	v_fma_f64 v[163:164], v[4:5], v[34:35], v[169:170]
	v_fma_f64 v[167:168], v[2:3], v[34:35], -v[36:37]
	ds_load_b128 v[2:5], v1 offset:1712
	ds_load_b128 v[34:37], v1 offset:1728
	v_fma_f64 v[32:33], v[32:33], v[6:7], v[161:162]
	v_fma_f64 v[6:7], v[30:31], v[6:7], -v[8:9]
	v_add_f64_e32 v[38:39], v[38:39], v[159:160]
	v_add_f64_e32 v[40:41], v[40:41], v[165:166]
	s_wait_loadcnt_dscnt 0x401
	v_mul_f64_e32 v[159:160], v[2:3], v[12:13]
	v_mul_f64_e32 v[12:13], v[4:5], v[12:13]
	s_delay_alu instid0(VALU_DEP_4) | instskip(NEXT) | instid1(VALU_DEP_4)
	v_add_f64_e32 v[8:9], v[38:39], v[167:168]
	v_add_f64_e32 v[30:31], v[40:41], v[163:164]
	s_wait_loadcnt_dscnt 0x300
	v_mul_f64_e32 v[38:39], v[34:35], v[16:17]
	v_mul_f64_e32 v[16:17], v[36:37], v[16:17]
	v_fma_f64 v[40:41], v[4:5], v[10:11], v[159:160]
	v_fma_f64 v[10:11], v[2:3], v[10:11], -v[12:13]
	v_add_f64_e32 v[12:13], v[8:9], v[6:7]
	v_add_f64_e32 v[30:31], v[30:31], v[32:33]
	ds_load_b128 v[2:5], v1 offset:1744
	ds_load_b128 v[6:9], v1 offset:1760
	v_fma_f64 v[36:37], v[36:37], v[14:15], v[38:39]
	v_fma_f64 v[14:15], v[34:35], v[14:15], -v[16:17]
	s_wait_loadcnt_dscnt 0x201
	v_mul_f64_e32 v[32:33], v[2:3], v[20:21]
	v_mul_f64_e32 v[20:21], v[4:5], v[20:21]
	s_wait_loadcnt_dscnt 0x100
	v_mul_f64_e32 v[16:17], v[6:7], v[24:25]
	v_mul_f64_e32 v[24:25], v[8:9], v[24:25]
	v_add_f64_e32 v[10:11], v[12:13], v[10:11]
	v_add_f64_e32 v[12:13], v[30:31], v[40:41]
	v_fma_f64 v[30:31], v[4:5], v[18:19], v[32:33]
	v_fma_f64 v[18:19], v[2:3], v[18:19], -v[20:21]
	ds_load_b128 v[2:5], v1 offset:1776
	v_fma_f64 v[8:9], v[8:9], v[22:23], v[16:17]
	v_fma_f64 v[6:7], v[6:7], v[22:23], -v[24:25]
	v_add_f64_e32 v[10:11], v[10:11], v[14:15]
	v_add_f64_e32 v[12:13], v[12:13], v[36:37]
	s_wait_loadcnt_dscnt 0x0
	v_mul_f64_e32 v[14:15], v[2:3], v[28:29]
	v_mul_f64_e32 v[20:21], v[4:5], v[28:29]
	s_delay_alu instid0(VALU_DEP_4) | instskip(NEXT) | instid1(VALU_DEP_4)
	v_add_f64_e32 v[10:11], v[10:11], v[18:19]
	v_add_f64_e32 v[12:13], v[12:13], v[30:31]
	s_delay_alu instid0(VALU_DEP_4) | instskip(NEXT) | instid1(VALU_DEP_4)
	v_fma_f64 v[4:5], v[4:5], v[26:27], v[14:15]
	v_fma_f64 v[2:3], v[2:3], v[26:27], -v[20:21]
	s_delay_alu instid0(VALU_DEP_4) | instskip(NEXT) | instid1(VALU_DEP_4)
	v_add_f64_e32 v[6:7], v[10:11], v[6:7]
	v_add_f64_e32 v[8:9], v[12:13], v[8:9]
	s_delay_alu instid0(VALU_DEP_2) | instskip(NEXT) | instid1(VALU_DEP_2)
	v_add_f64_e32 v[2:3], v[6:7], v[2:3]
	v_add_f64_e32 v[4:5], v[8:9], v[4:5]
	s_delay_alu instid0(VALU_DEP_2) | instskip(NEXT) | instid1(VALU_DEP_2)
	v_add_f64_e64 v[2:3], v[42:43], -v[2:3]
	v_add_f64_e64 v[4:5], v[44:45], -v[4:5]
	scratch_store_b128 off, v[2:5], off offset:464
	v_cmpx_lt_u32_e32 27, v0
	s_cbranch_execz .LBB119_295
; %bb.294:
	scratch_load_b128 v[5:8], off, s42
	v_dual_mov_b32 v2, v1 :: v_dual_mov_b32 v3, v1
	v_mov_b32_e32 v4, v1
	scratch_store_b128 off, v[1:4], off offset:448
	s_wait_loadcnt 0x0
	ds_store_b128 v158, v[5:8]
.LBB119_295:
	s_wait_alu 0xfffe
	s_or_b32 exec_lo, exec_lo, s0
	s_wait_storecnt_dscnt 0x0
	s_barrier_signal -1
	s_barrier_wait -1
	global_inv scope:SCOPE_SE
	s_clause 0x8
	scratch_load_b128 v[2:5], off, off offset:464
	scratch_load_b128 v[6:9], off, off offset:480
	;; [unrolled: 1-line block ×9, first 2 shown]
	ds_load_b128 v[38:41], v1 offset:1344
	ds_load_b128 v[42:45], v1 offset:1360
	s_clause 0x1
	scratch_load_b128 v[159:162], off, off offset:448
	scratch_load_b128 v[163:166], off, off offset:608
	s_mov_b32 s0, exec_lo
	s_wait_loadcnt_dscnt 0xa01
	v_mul_f64_e32 v[167:168], v[40:41], v[4:5]
	v_mul_f64_e32 v[4:5], v[38:39], v[4:5]
	s_wait_loadcnt_dscnt 0x900
	v_mul_f64_e32 v[171:172], v[42:43], v[8:9]
	v_mul_f64_e32 v[8:9], v[44:45], v[8:9]
	s_delay_alu instid0(VALU_DEP_4) | instskip(NEXT) | instid1(VALU_DEP_4)
	v_fma_f64 v[173:174], v[38:39], v[2:3], -v[167:168]
	v_fma_f64 v[175:176], v[40:41], v[2:3], v[4:5]
	ds_load_b128 v[2:5], v1 offset:1376
	ds_load_b128 v[167:170], v1 offset:1392
	scratch_load_b128 v[38:41], off, off offset:624
	v_fma_f64 v[44:45], v[44:45], v[6:7], v[171:172]
	v_fma_f64 v[42:43], v[42:43], v[6:7], -v[8:9]
	scratch_load_b128 v[6:9], off, off offset:640
	s_wait_loadcnt_dscnt 0xa01
	v_mul_f64_e32 v[177:178], v[2:3], v[12:13]
	v_mul_f64_e32 v[12:13], v[4:5], v[12:13]
	v_add_f64_e32 v[171:172], 0, v[173:174]
	v_add_f64_e32 v[173:174], 0, v[175:176]
	s_wait_loadcnt_dscnt 0x900
	v_mul_f64_e32 v[175:176], v[167:168], v[16:17]
	v_mul_f64_e32 v[16:17], v[169:170], v[16:17]
	v_fma_f64 v[177:178], v[4:5], v[10:11], v[177:178]
	v_fma_f64 v[179:180], v[2:3], v[10:11], -v[12:13]
	ds_load_b128 v[2:5], v1 offset:1408
	scratch_load_b128 v[10:13], off, off offset:656
	v_add_f64_e32 v[171:172], v[171:172], v[42:43]
	v_add_f64_e32 v[173:174], v[173:174], v[44:45]
	ds_load_b128 v[42:45], v1 offset:1424
	v_fma_f64 v[169:170], v[169:170], v[14:15], v[175:176]
	v_fma_f64 v[167:168], v[167:168], v[14:15], -v[16:17]
	scratch_load_b128 v[14:17], off, off offset:672
	s_wait_loadcnt_dscnt 0xa01
	v_mul_f64_e32 v[181:182], v[2:3], v[20:21]
	v_mul_f64_e32 v[20:21], v[4:5], v[20:21]
	s_wait_loadcnt_dscnt 0x900
	v_mul_f64_e32 v[175:176], v[42:43], v[24:25]
	v_mul_f64_e32 v[24:25], v[44:45], v[24:25]
	v_add_f64_e32 v[171:172], v[171:172], v[179:180]
	v_add_f64_e32 v[173:174], v[173:174], v[177:178]
	v_fma_f64 v[177:178], v[4:5], v[18:19], v[181:182]
	v_fma_f64 v[179:180], v[2:3], v[18:19], -v[20:21]
	ds_load_b128 v[2:5], v1 offset:1440
	scratch_load_b128 v[18:21], off, off offset:688
	v_fma_f64 v[44:45], v[44:45], v[22:23], v[175:176]
	v_fma_f64 v[42:43], v[42:43], v[22:23], -v[24:25]
	scratch_load_b128 v[22:25], off, off offset:704
	v_add_f64_e32 v[171:172], v[171:172], v[167:168]
	v_add_f64_e32 v[173:174], v[173:174], v[169:170]
	ds_load_b128 v[167:170], v1 offset:1456
	s_wait_loadcnt_dscnt 0xa01
	v_mul_f64_e32 v[181:182], v[2:3], v[28:29]
	v_mul_f64_e32 v[28:29], v[4:5], v[28:29]
	s_wait_loadcnt_dscnt 0x900
	v_mul_f64_e32 v[175:176], v[167:168], v[32:33]
	v_mul_f64_e32 v[32:33], v[169:170], v[32:33]
	v_add_f64_e32 v[171:172], v[171:172], v[179:180]
	v_add_f64_e32 v[173:174], v[173:174], v[177:178]
	v_fma_f64 v[177:178], v[4:5], v[26:27], v[181:182]
	v_fma_f64 v[179:180], v[2:3], v[26:27], -v[28:29]
	ds_load_b128 v[2:5], v1 offset:1472
	scratch_load_b128 v[26:29], off, off offset:720
	v_fma_f64 v[169:170], v[169:170], v[30:31], v[175:176]
	v_fma_f64 v[167:168], v[167:168], v[30:31], -v[32:33]
	scratch_load_b128 v[30:33], off, off offset:736
	v_add_f64_e32 v[171:172], v[171:172], v[42:43]
	v_add_f64_e32 v[173:174], v[173:174], v[44:45]
	ds_load_b128 v[42:45], v1 offset:1488
	s_wait_loadcnt_dscnt 0xa01
	v_mul_f64_e32 v[181:182], v[2:3], v[36:37]
	v_mul_f64_e32 v[36:37], v[4:5], v[36:37]
	s_wait_loadcnt_dscnt 0x800
	v_mul_f64_e32 v[175:176], v[42:43], v[165:166]
	v_add_f64_e32 v[171:172], v[171:172], v[179:180]
	v_add_f64_e32 v[173:174], v[173:174], v[177:178]
	v_mul_f64_e32 v[177:178], v[44:45], v[165:166]
	v_fma_f64 v[179:180], v[4:5], v[34:35], v[181:182]
	v_fma_f64 v[181:182], v[2:3], v[34:35], -v[36:37]
	ds_load_b128 v[2:5], v1 offset:1504
	scratch_load_b128 v[34:37], off, off offset:752
	v_fma_f64 v[44:45], v[44:45], v[163:164], v[175:176]
	v_add_f64_e32 v[171:172], v[171:172], v[167:168]
	v_add_f64_e32 v[169:170], v[173:174], v[169:170]
	ds_load_b128 v[165:168], v1 offset:1520
	v_fma_f64 v[163:164], v[42:43], v[163:164], -v[177:178]
	s_wait_loadcnt_dscnt 0x801
	v_mul_f64_e32 v[173:174], v[2:3], v[40:41]
	v_mul_f64_e32 v[183:184], v[4:5], v[40:41]
	scratch_load_b128 v[40:43], off, off offset:768
	s_wait_loadcnt_dscnt 0x800
	v_mul_f64_e32 v[177:178], v[165:166], v[8:9]
	v_mul_f64_e32 v[8:9], v[167:168], v[8:9]
	v_add_f64_e32 v[171:172], v[171:172], v[181:182]
	v_add_f64_e32 v[169:170], v[169:170], v[179:180]
	v_fma_f64 v[179:180], v[4:5], v[38:39], v[173:174]
	v_fma_f64 v[38:39], v[2:3], v[38:39], -v[183:184]
	ds_load_b128 v[2:5], v1 offset:1536
	ds_load_b128 v[173:176], v1 offset:1552
	v_fma_f64 v[167:168], v[167:168], v[6:7], v[177:178]
	v_fma_f64 v[165:166], v[165:166], v[6:7], -v[8:9]
	scratch_load_b128 v[6:9], off, off offset:800
	v_add_f64_e32 v[163:164], v[171:172], v[163:164]
	v_add_f64_e32 v[44:45], v[169:170], v[44:45]
	scratch_load_b128 v[169:172], off, off offset:784
	s_wait_loadcnt_dscnt 0x901
	v_mul_f64_e32 v[181:182], v[2:3], v[12:13]
	v_mul_f64_e32 v[12:13], v[4:5], v[12:13]
	s_wait_loadcnt_dscnt 0x800
	v_mul_f64_e32 v[177:178], v[173:174], v[16:17]
	v_mul_f64_e32 v[16:17], v[175:176], v[16:17]
	v_add_f64_e32 v[38:39], v[163:164], v[38:39]
	v_add_f64_e32 v[44:45], v[44:45], v[179:180]
	v_fma_f64 v[179:180], v[4:5], v[10:11], v[181:182]
	v_fma_f64 v[181:182], v[2:3], v[10:11], -v[12:13]
	ds_load_b128 v[2:5], v1 offset:1568
	scratch_load_b128 v[10:13], off, off offset:816
	v_fma_f64 v[175:176], v[175:176], v[14:15], v[177:178]
	v_fma_f64 v[173:174], v[173:174], v[14:15], -v[16:17]
	scratch_load_b128 v[14:17], off, off offset:832
	v_add_f64_e32 v[38:39], v[38:39], v[165:166]
	v_add_f64_e32 v[44:45], v[44:45], v[167:168]
	ds_load_b128 v[163:166], v1 offset:1584
	s_wait_loadcnt_dscnt 0x901
	v_mul_f64_e32 v[167:168], v[2:3], v[20:21]
	v_mul_f64_e32 v[20:21], v[4:5], v[20:21]
	s_wait_loadcnt_dscnt 0x800
	v_mul_f64_e32 v[177:178], v[163:164], v[24:25]
	v_mul_f64_e32 v[24:25], v[165:166], v[24:25]
	v_add_f64_e32 v[38:39], v[38:39], v[181:182]
	v_add_f64_e32 v[44:45], v[44:45], v[179:180]
	v_fma_f64 v[167:168], v[4:5], v[18:19], v[167:168]
	v_fma_f64 v[179:180], v[2:3], v[18:19], -v[20:21]
	ds_load_b128 v[2:5], v1 offset:1600
	scratch_load_b128 v[18:21], off, off offset:848
	v_fma_f64 v[165:166], v[165:166], v[22:23], v[177:178]
	v_fma_f64 v[163:164], v[163:164], v[22:23], -v[24:25]
	scratch_load_b128 v[22:25], off, off offset:864
	v_add_f64_e32 v[38:39], v[38:39], v[173:174]
	v_add_f64_e32 v[44:45], v[44:45], v[175:176]
	ds_load_b128 v[173:176], v1 offset:1616
	s_wait_loadcnt_dscnt 0x901
	v_mul_f64_e32 v[181:182], v[2:3], v[28:29]
	v_mul_f64_e32 v[28:29], v[4:5], v[28:29]
	v_add_f64_e32 v[38:39], v[38:39], v[179:180]
	v_add_f64_e32 v[44:45], v[44:45], v[167:168]
	s_wait_loadcnt_dscnt 0x800
	v_mul_f64_e32 v[167:168], v[173:174], v[32:33]
	v_mul_f64_e32 v[32:33], v[175:176], v[32:33]
	v_fma_f64 v[177:178], v[4:5], v[26:27], v[181:182]
	v_fma_f64 v[179:180], v[2:3], v[26:27], -v[28:29]
	ds_load_b128 v[2:5], v1 offset:1632
	scratch_load_b128 v[26:29], off, off offset:880
	v_add_f64_e32 v[38:39], v[38:39], v[163:164]
	v_add_f64_e32 v[44:45], v[44:45], v[165:166]
	ds_load_b128 v[163:166], v1 offset:1648
	s_wait_loadcnt_dscnt 0x801
	v_mul_f64_e32 v[181:182], v[2:3], v[36:37]
	v_mul_f64_e32 v[36:37], v[4:5], v[36:37]
	v_fma_f64 v[167:168], v[175:176], v[30:31], v[167:168]
	v_fma_f64 v[173:174], v[173:174], v[30:31], -v[32:33]
	scratch_load_b128 v[30:33], off, off offset:896
	s_wait_loadcnt_dscnt 0x800
	v_mul_f64_e32 v[175:176], v[163:164], v[42:43]
	v_add_f64_e32 v[38:39], v[38:39], v[179:180]
	v_add_f64_e32 v[44:45], v[44:45], v[177:178]
	v_mul_f64_e32 v[42:43], v[165:166], v[42:43]
	v_fma_f64 v[177:178], v[4:5], v[34:35], v[181:182]
	v_fma_f64 v[179:180], v[2:3], v[34:35], -v[36:37]
	ds_load_b128 v[2:5], v1 offset:1664
	ds_load_b128 v[34:37], v1 offset:1680
	v_fma_f64 v[165:166], v[165:166], v[40:41], v[175:176]
	v_add_f64_e32 v[38:39], v[38:39], v[173:174]
	v_add_f64_e32 v[44:45], v[44:45], v[167:168]
	v_fma_f64 v[40:41], v[163:164], v[40:41], -v[42:43]
	s_wait_loadcnt_dscnt 0x601
	v_mul_f64_e32 v[167:168], v[2:3], v[171:172]
	v_mul_f64_e32 v[171:172], v[4:5], v[171:172]
	v_add_f64_e32 v[38:39], v[38:39], v[179:180]
	v_add_f64_e32 v[42:43], v[44:45], v[177:178]
	s_wait_dscnt 0x0
	v_mul_f64_e32 v[44:45], v[34:35], v[8:9]
	v_mul_f64_e32 v[8:9], v[36:37], v[8:9]
	v_fma_f64 v[163:164], v[4:5], v[169:170], v[167:168]
	v_fma_f64 v[167:168], v[2:3], v[169:170], -v[171:172]
	v_add_f64_e32 v[169:170], v[38:39], v[40:41]
	v_add_f64_e32 v[42:43], v[42:43], v[165:166]
	ds_load_b128 v[2:5], v1 offset:1696
	ds_load_b128 v[38:41], v1 offset:1712
	v_fma_f64 v[36:37], v[36:37], v[6:7], v[44:45]
	v_fma_f64 v[6:7], v[34:35], v[6:7], -v[8:9]
	s_wait_loadcnt_dscnt 0x501
	v_mul_f64_e32 v[165:166], v[2:3], v[12:13]
	v_mul_f64_e32 v[12:13], v[4:5], v[12:13]
	v_add_f64_e32 v[8:9], v[169:170], v[167:168]
	v_add_f64_e32 v[34:35], v[42:43], v[163:164]
	s_wait_loadcnt_dscnt 0x400
	v_mul_f64_e32 v[42:43], v[38:39], v[16:17]
	v_mul_f64_e32 v[16:17], v[40:41], v[16:17]
	v_fma_f64 v[44:45], v[4:5], v[10:11], v[165:166]
	v_fma_f64 v[10:11], v[2:3], v[10:11], -v[12:13]
	v_add_f64_e32 v[12:13], v[8:9], v[6:7]
	v_add_f64_e32 v[34:35], v[34:35], v[36:37]
	ds_load_b128 v[2:5], v1 offset:1728
	ds_load_b128 v[6:9], v1 offset:1744
	v_fma_f64 v[40:41], v[40:41], v[14:15], v[42:43]
	v_fma_f64 v[14:15], v[38:39], v[14:15], -v[16:17]
	s_wait_loadcnt_dscnt 0x301
	v_mul_f64_e32 v[36:37], v[2:3], v[20:21]
	v_mul_f64_e32 v[20:21], v[4:5], v[20:21]
	s_wait_loadcnt_dscnt 0x200
	v_mul_f64_e32 v[16:17], v[6:7], v[24:25]
	v_mul_f64_e32 v[24:25], v[8:9], v[24:25]
	v_add_f64_e32 v[10:11], v[12:13], v[10:11]
	v_add_f64_e32 v[12:13], v[34:35], v[44:45]
	v_fma_f64 v[34:35], v[4:5], v[18:19], v[36:37]
	v_fma_f64 v[18:19], v[2:3], v[18:19], -v[20:21]
	v_fma_f64 v[8:9], v[8:9], v[22:23], v[16:17]
	v_fma_f64 v[6:7], v[6:7], v[22:23], -v[24:25]
	v_add_f64_e32 v[14:15], v[10:11], v[14:15]
	v_add_f64_e32 v[20:21], v[12:13], v[40:41]
	ds_load_b128 v[2:5], v1 offset:1760
	ds_load_b128 v[10:13], v1 offset:1776
	s_wait_loadcnt_dscnt 0x101
	v_mul_f64_e32 v[36:37], v[2:3], v[28:29]
	v_mul_f64_e32 v[28:29], v[4:5], v[28:29]
	v_add_f64_e32 v[14:15], v[14:15], v[18:19]
	v_add_f64_e32 v[16:17], v[20:21], v[34:35]
	s_wait_loadcnt_dscnt 0x0
	v_mul_f64_e32 v[18:19], v[10:11], v[32:33]
	v_mul_f64_e32 v[20:21], v[12:13], v[32:33]
	v_fma_f64 v[4:5], v[4:5], v[26:27], v[36:37]
	v_fma_f64 v[1:2], v[2:3], v[26:27], -v[28:29]
	v_add_f64_e32 v[6:7], v[14:15], v[6:7]
	v_add_f64_e32 v[8:9], v[16:17], v[8:9]
	v_fma_f64 v[12:13], v[12:13], v[30:31], v[18:19]
	v_fma_f64 v[10:11], v[10:11], v[30:31], -v[20:21]
	s_delay_alu instid0(VALU_DEP_4) | instskip(NEXT) | instid1(VALU_DEP_4)
	v_add_f64_e32 v[1:2], v[6:7], v[1:2]
	v_add_f64_e32 v[3:4], v[8:9], v[4:5]
	s_delay_alu instid0(VALU_DEP_2) | instskip(NEXT) | instid1(VALU_DEP_2)
	v_add_f64_e32 v[1:2], v[1:2], v[10:11]
	v_add_f64_e32 v[3:4], v[3:4], v[12:13]
	s_delay_alu instid0(VALU_DEP_2) | instskip(NEXT) | instid1(VALU_DEP_2)
	v_add_f64_e64 v[1:2], v[159:160], -v[1:2]
	v_add_f64_e64 v[3:4], v[161:162], -v[3:4]
	scratch_store_b128 off, v[1:4], off offset:448
	v_cmpx_lt_u32_e32 26, v0
	s_cbranch_execz .LBB119_297
; %bb.296:
	scratch_load_b128 v[1:4], off, s43
	v_mov_b32_e32 v5, 0
	s_delay_alu instid0(VALU_DEP_1)
	v_dual_mov_b32 v6, v5 :: v_dual_mov_b32 v7, v5
	v_mov_b32_e32 v8, v5
	scratch_store_b128 off, v[5:8], off offset:432
	s_wait_loadcnt 0x0
	ds_store_b128 v158, v[1:4]
.LBB119_297:
	s_wait_alu 0xfffe
	s_or_b32 exec_lo, exec_lo, s0
	s_wait_storecnt_dscnt 0x0
	s_barrier_signal -1
	s_barrier_wait -1
	global_inv scope:SCOPE_SE
	s_clause 0x7
	scratch_load_b128 v[2:5], off, off offset:448
	scratch_load_b128 v[6:9], off, off offset:464
	;; [unrolled: 1-line block ×8, first 2 shown]
	v_mov_b32_e32 v1, 0
	s_mov_b32 s0, exec_lo
	ds_load_b128 v[34:37], v1 offset:1328
	s_clause 0x1
	scratch_load_b128 v[38:41], off, off offset:576
	scratch_load_b128 v[42:45], off, off offset:432
	ds_load_b128 v[159:162], v1 offset:1344
	scratch_load_b128 v[163:166], off, off offset:592
	s_wait_loadcnt_dscnt 0xa01
	v_mul_f64_e32 v[167:168], v[36:37], v[4:5]
	v_mul_f64_e32 v[4:5], v[34:35], v[4:5]
	s_delay_alu instid0(VALU_DEP_2) | instskip(NEXT) | instid1(VALU_DEP_2)
	v_fma_f64 v[173:174], v[34:35], v[2:3], -v[167:168]
	v_fma_f64 v[175:176], v[36:37], v[2:3], v[4:5]
	ds_load_b128 v[2:5], v1 offset:1360
	s_wait_loadcnt_dscnt 0x901
	v_mul_f64_e32 v[171:172], v[159:160], v[8:9]
	v_mul_f64_e32 v[8:9], v[161:162], v[8:9]
	scratch_load_b128 v[34:37], off, off offset:608
	ds_load_b128 v[167:170], v1 offset:1376
	s_wait_loadcnt_dscnt 0x901
	v_mul_f64_e32 v[177:178], v[2:3], v[12:13]
	v_mul_f64_e32 v[12:13], v[4:5], v[12:13]
	v_fma_f64 v[161:162], v[161:162], v[6:7], v[171:172]
	v_fma_f64 v[159:160], v[159:160], v[6:7], -v[8:9]
	v_add_f64_e32 v[171:172], 0, v[173:174]
	v_add_f64_e32 v[173:174], 0, v[175:176]
	scratch_load_b128 v[6:9], off, off offset:624
	v_fma_f64 v[177:178], v[4:5], v[10:11], v[177:178]
	v_fma_f64 v[179:180], v[2:3], v[10:11], -v[12:13]
	ds_load_b128 v[2:5], v1 offset:1392
	s_wait_loadcnt_dscnt 0x901
	v_mul_f64_e32 v[175:176], v[167:168], v[16:17]
	v_mul_f64_e32 v[16:17], v[169:170], v[16:17]
	scratch_load_b128 v[10:13], off, off offset:640
	v_add_f64_e32 v[171:172], v[171:172], v[159:160]
	v_add_f64_e32 v[173:174], v[173:174], v[161:162]
	s_wait_loadcnt_dscnt 0x900
	v_mul_f64_e32 v[181:182], v[2:3], v[20:21]
	v_mul_f64_e32 v[20:21], v[4:5], v[20:21]
	ds_load_b128 v[159:162], v1 offset:1408
	v_fma_f64 v[169:170], v[169:170], v[14:15], v[175:176]
	v_fma_f64 v[167:168], v[167:168], v[14:15], -v[16:17]
	scratch_load_b128 v[14:17], off, off offset:656
	v_add_f64_e32 v[171:172], v[171:172], v[179:180]
	v_add_f64_e32 v[173:174], v[173:174], v[177:178]
	v_fma_f64 v[177:178], v[4:5], v[18:19], v[181:182]
	v_fma_f64 v[179:180], v[2:3], v[18:19], -v[20:21]
	ds_load_b128 v[2:5], v1 offset:1424
	s_wait_loadcnt_dscnt 0x901
	v_mul_f64_e32 v[175:176], v[159:160], v[24:25]
	v_mul_f64_e32 v[24:25], v[161:162], v[24:25]
	scratch_load_b128 v[18:21], off, off offset:672
	s_wait_loadcnt_dscnt 0x900
	v_mul_f64_e32 v[181:182], v[2:3], v[28:29]
	v_mul_f64_e32 v[28:29], v[4:5], v[28:29]
	v_add_f64_e32 v[171:172], v[171:172], v[167:168]
	v_add_f64_e32 v[173:174], v[173:174], v[169:170]
	ds_load_b128 v[167:170], v1 offset:1440
	v_fma_f64 v[161:162], v[161:162], v[22:23], v[175:176]
	v_fma_f64 v[159:160], v[159:160], v[22:23], -v[24:25]
	scratch_load_b128 v[22:25], off, off offset:688
	v_add_f64_e32 v[171:172], v[171:172], v[179:180]
	v_add_f64_e32 v[173:174], v[173:174], v[177:178]
	v_fma_f64 v[177:178], v[4:5], v[26:27], v[181:182]
	v_fma_f64 v[179:180], v[2:3], v[26:27], -v[28:29]
	ds_load_b128 v[2:5], v1 offset:1456
	s_wait_loadcnt_dscnt 0x901
	v_mul_f64_e32 v[175:176], v[167:168], v[32:33]
	v_mul_f64_e32 v[32:33], v[169:170], v[32:33]
	scratch_load_b128 v[26:29], off, off offset:704
	s_wait_loadcnt_dscnt 0x900
	v_mul_f64_e32 v[181:182], v[2:3], v[40:41]
	v_mul_f64_e32 v[40:41], v[4:5], v[40:41]
	v_add_f64_e32 v[171:172], v[171:172], v[159:160]
	v_add_f64_e32 v[173:174], v[173:174], v[161:162]
	ds_load_b128 v[159:162], v1 offset:1472
	v_fma_f64 v[169:170], v[169:170], v[30:31], v[175:176]
	v_fma_f64 v[167:168], v[167:168], v[30:31], -v[32:33]
	scratch_load_b128 v[30:33], off, off offset:720
	v_add_f64_e32 v[171:172], v[171:172], v[179:180]
	v_add_f64_e32 v[173:174], v[173:174], v[177:178]
	v_fma_f64 v[179:180], v[4:5], v[38:39], v[181:182]
	v_fma_f64 v[181:182], v[2:3], v[38:39], -v[40:41]
	ds_load_b128 v[2:5], v1 offset:1488
	s_wait_loadcnt_dscnt 0x801
	v_mul_f64_e32 v[175:176], v[159:160], v[165:166]
	v_mul_f64_e32 v[177:178], v[161:162], v[165:166]
	scratch_load_b128 v[38:41], off, off offset:736
	v_add_f64_e32 v[171:172], v[171:172], v[167:168]
	v_add_f64_e32 v[169:170], v[173:174], v[169:170]
	ds_load_b128 v[165:168], v1 offset:1504
	v_fma_f64 v[175:176], v[161:162], v[163:164], v[175:176]
	v_fma_f64 v[163:164], v[159:160], v[163:164], -v[177:178]
	scratch_load_b128 v[159:162], off, off offset:752
	s_wait_loadcnt_dscnt 0x901
	v_mul_f64_e32 v[173:174], v[2:3], v[36:37]
	v_mul_f64_e32 v[36:37], v[4:5], v[36:37]
	v_add_f64_e32 v[171:172], v[171:172], v[181:182]
	v_add_f64_e32 v[169:170], v[169:170], v[179:180]
	s_delay_alu instid0(VALU_DEP_4) | instskip(NEXT) | instid1(VALU_DEP_4)
	v_fma_f64 v[173:174], v[4:5], v[34:35], v[173:174]
	v_fma_f64 v[179:180], v[2:3], v[34:35], -v[36:37]
	ds_load_b128 v[2:5], v1 offset:1520
	s_wait_loadcnt_dscnt 0x801
	v_mul_f64_e32 v[177:178], v[165:166], v[8:9]
	v_mul_f64_e32 v[8:9], v[167:168], v[8:9]
	scratch_load_b128 v[34:37], off, off offset:768
	s_wait_loadcnt_dscnt 0x800
	v_mul_f64_e32 v[181:182], v[2:3], v[12:13]
	v_add_f64_e32 v[163:164], v[171:172], v[163:164]
	v_add_f64_e32 v[175:176], v[169:170], v[175:176]
	v_mul_f64_e32 v[12:13], v[4:5], v[12:13]
	ds_load_b128 v[169:172], v1 offset:1536
	v_fma_f64 v[167:168], v[167:168], v[6:7], v[177:178]
	v_fma_f64 v[165:166], v[165:166], v[6:7], -v[8:9]
	scratch_load_b128 v[6:9], off, off offset:784
	v_fma_f64 v[177:178], v[4:5], v[10:11], v[181:182]
	v_add_f64_e32 v[163:164], v[163:164], v[179:180]
	v_add_f64_e32 v[173:174], v[175:176], v[173:174]
	v_fma_f64 v[179:180], v[2:3], v[10:11], -v[12:13]
	ds_load_b128 v[2:5], v1 offset:1552
	s_wait_loadcnt_dscnt 0x801
	v_mul_f64_e32 v[175:176], v[169:170], v[16:17]
	v_mul_f64_e32 v[16:17], v[171:172], v[16:17]
	scratch_load_b128 v[10:13], off, off offset:800
	v_add_f64_e32 v[181:182], v[163:164], v[165:166]
	v_add_f64_e32 v[167:168], v[173:174], v[167:168]
	s_wait_loadcnt_dscnt 0x800
	v_mul_f64_e32 v[173:174], v[2:3], v[20:21]
	v_mul_f64_e32 v[20:21], v[4:5], v[20:21]
	v_fma_f64 v[171:172], v[171:172], v[14:15], v[175:176]
	v_fma_f64 v[169:170], v[169:170], v[14:15], -v[16:17]
	ds_load_b128 v[163:166], v1 offset:1568
	scratch_load_b128 v[14:17], off, off offset:816
	v_add_f64_e32 v[175:176], v[181:182], v[179:180]
	v_add_f64_e32 v[167:168], v[167:168], v[177:178]
	v_fma_f64 v[173:174], v[4:5], v[18:19], v[173:174]
	v_fma_f64 v[179:180], v[2:3], v[18:19], -v[20:21]
	ds_load_b128 v[2:5], v1 offset:1584
	s_wait_loadcnt_dscnt 0x801
	v_mul_f64_e32 v[177:178], v[163:164], v[24:25]
	v_mul_f64_e32 v[24:25], v[165:166], v[24:25]
	scratch_load_b128 v[18:21], off, off offset:832
	s_wait_loadcnt_dscnt 0x800
	v_mul_f64_e32 v[181:182], v[2:3], v[28:29]
	v_mul_f64_e32 v[28:29], v[4:5], v[28:29]
	v_add_f64_e32 v[175:176], v[175:176], v[169:170]
	v_add_f64_e32 v[171:172], v[167:168], v[171:172]
	ds_load_b128 v[167:170], v1 offset:1600
	v_fma_f64 v[165:166], v[165:166], v[22:23], v[177:178]
	v_fma_f64 v[163:164], v[163:164], v[22:23], -v[24:25]
	scratch_load_b128 v[22:25], off, off offset:848
	v_fma_f64 v[177:178], v[4:5], v[26:27], v[181:182]
	v_add_f64_e32 v[175:176], v[175:176], v[179:180]
	v_add_f64_e32 v[171:172], v[171:172], v[173:174]
	v_fma_f64 v[179:180], v[2:3], v[26:27], -v[28:29]
	ds_load_b128 v[2:5], v1 offset:1616
	s_wait_loadcnt_dscnt 0x801
	v_mul_f64_e32 v[173:174], v[167:168], v[32:33]
	v_mul_f64_e32 v[32:33], v[169:170], v[32:33]
	scratch_load_b128 v[26:29], off, off offset:864
	s_wait_loadcnt_dscnt 0x800
	v_mul_f64_e32 v[181:182], v[2:3], v[40:41]
	v_mul_f64_e32 v[40:41], v[4:5], v[40:41]
	v_add_f64_e32 v[175:176], v[175:176], v[163:164]
	v_add_f64_e32 v[171:172], v[171:172], v[165:166]
	ds_load_b128 v[163:166], v1 offset:1632
	v_fma_f64 v[169:170], v[169:170], v[30:31], v[173:174]
	v_fma_f64 v[167:168], v[167:168], v[30:31], -v[32:33]
	scratch_load_b128 v[30:33], off, off offset:880
	v_add_f64_e32 v[173:174], v[175:176], v[179:180]
	v_add_f64_e32 v[171:172], v[171:172], v[177:178]
	v_fma_f64 v[177:178], v[4:5], v[38:39], v[181:182]
	v_fma_f64 v[179:180], v[2:3], v[38:39], -v[40:41]
	ds_load_b128 v[2:5], v1 offset:1648
	s_wait_loadcnt_dscnt 0x801
	v_mul_f64_e32 v[175:176], v[163:164], v[161:162]
	v_mul_f64_e32 v[161:162], v[165:166], v[161:162]
	scratch_load_b128 v[38:41], off, off offset:896
	s_wait_loadcnt_dscnt 0x800
	v_mul_f64_e32 v[181:182], v[2:3], v[36:37]
	v_mul_f64_e32 v[36:37], v[4:5], v[36:37]
	v_add_f64_e32 v[173:174], v[173:174], v[167:168]
	v_add_f64_e32 v[171:172], v[171:172], v[169:170]
	ds_load_b128 v[167:170], v1 offset:1664
	v_fma_f64 v[165:166], v[165:166], v[159:160], v[175:176]
	v_fma_f64 v[159:160], v[163:164], v[159:160], -v[161:162]
	v_fma_f64 v[175:176], v[2:3], v[34:35], -v[36:37]
	v_add_f64_e32 v[161:162], v[173:174], v[179:180]
	v_add_f64_e32 v[163:164], v[171:172], v[177:178]
	s_wait_loadcnt_dscnt 0x700
	v_mul_f64_e32 v[171:172], v[167:168], v[8:9]
	v_mul_f64_e32 v[8:9], v[169:170], v[8:9]
	v_fma_f64 v[173:174], v[4:5], v[34:35], v[181:182]
	ds_load_b128 v[2:5], v1 offset:1680
	ds_load_b128 v[34:37], v1 offset:1696
	v_add_f64_e32 v[159:160], v[161:162], v[159:160]
	v_add_f64_e32 v[161:162], v[163:164], v[165:166]
	s_wait_loadcnt_dscnt 0x601
	v_mul_f64_e32 v[163:164], v[2:3], v[12:13]
	v_mul_f64_e32 v[12:13], v[4:5], v[12:13]
	v_fma_f64 v[165:166], v[169:170], v[6:7], v[171:172]
	v_fma_f64 v[6:7], v[167:168], v[6:7], -v[8:9]
	v_add_f64_e32 v[8:9], v[159:160], v[175:176]
	v_add_f64_e32 v[159:160], v[161:162], v[173:174]
	s_wait_loadcnt_dscnt 0x500
	v_mul_f64_e32 v[161:162], v[34:35], v[16:17]
	v_mul_f64_e32 v[16:17], v[36:37], v[16:17]
	v_fma_f64 v[163:164], v[4:5], v[10:11], v[163:164]
	v_fma_f64 v[10:11], v[2:3], v[10:11], -v[12:13]
	v_add_f64_e32 v[12:13], v[8:9], v[6:7]
	v_add_f64_e32 v[159:160], v[159:160], v[165:166]
	ds_load_b128 v[2:5], v1 offset:1712
	ds_load_b128 v[6:9], v1 offset:1728
	v_fma_f64 v[36:37], v[36:37], v[14:15], v[161:162]
	v_fma_f64 v[14:15], v[34:35], v[14:15], -v[16:17]
	s_wait_loadcnt_dscnt 0x401
	v_mul_f64_e32 v[165:166], v[2:3], v[20:21]
	v_mul_f64_e32 v[20:21], v[4:5], v[20:21]
	s_wait_loadcnt_dscnt 0x300
	v_mul_f64_e32 v[16:17], v[6:7], v[24:25]
	v_mul_f64_e32 v[24:25], v[8:9], v[24:25]
	v_add_f64_e32 v[10:11], v[12:13], v[10:11]
	v_add_f64_e32 v[12:13], v[159:160], v[163:164]
	v_fma_f64 v[34:35], v[4:5], v[18:19], v[165:166]
	v_fma_f64 v[18:19], v[2:3], v[18:19], -v[20:21]
	v_fma_f64 v[8:9], v[8:9], v[22:23], v[16:17]
	v_fma_f64 v[6:7], v[6:7], v[22:23], -v[24:25]
	v_add_f64_e32 v[14:15], v[10:11], v[14:15]
	v_add_f64_e32 v[20:21], v[12:13], v[36:37]
	ds_load_b128 v[2:5], v1 offset:1744
	ds_load_b128 v[10:13], v1 offset:1760
	s_wait_loadcnt_dscnt 0x201
	v_mul_f64_e32 v[36:37], v[2:3], v[28:29]
	v_mul_f64_e32 v[28:29], v[4:5], v[28:29]
	v_add_f64_e32 v[14:15], v[14:15], v[18:19]
	v_add_f64_e32 v[16:17], v[20:21], v[34:35]
	s_wait_loadcnt_dscnt 0x100
	v_mul_f64_e32 v[18:19], v[10:11], v[32:33]
	v_mul_f64_e32 v[20:21], v[12:13], v[32:33]
	v_fma_f64 v[22:23], v[4:5], v[26:27], v[36:37]
	v_fma_f64 v[24:25], v[2:3], v[26:27], -v[28:29]
	ds_load_b128 v[2:5], v1 offset:1776
	v_add_f64_e32 v[6:7], v[14:15], v[6:7]
	v_add_f64_e32 v[8:9], v[16:17], v[8:9]
	v_fma_f64 v[12:13], v[12:13], v[30:31], v[18:19]
	v_fma_f64 v[10:11], v[10:11], v[30:31], -v[20:21]
	s_wait_loadcnt_dscnt 0x0
	v_mul_f64_e32 v[14:15], v[2:3], v[40:41]
	v_mul_f64_e32 v[16:17], v[4:5], v[40:41]
	v_add_f64_e32 v[6:7], v[6:7], v[24:25]
	v_add_f64_e32 v[8:9], v[8:9], v[22:23]
	s_delay_alu instid0(VALU_DEP_4) | instskip(NEXT) | instid1(VALU_DEP_4)
	v_fma_f64 v[4:5], v[4:5], v[38:39], v[14:15]
	v_fma_f64 v[2:3], v[2:3], v[38:39], -v[16:17]
	s_delay_alu instid0(VALU_DEP_4) | instskip(NEXT) | instid1(VALU_DEP_4)
	v_add_f64_e32 v[6:7], v[6:7], v[10:11]
	v_add_f64_e32 v[8:9], v[8:9], v[12:13]
	s_delay_alu instid0(VALU_DEP_2) | instskip(NEXT) | instid1(VALU_DEP_2)
	v_add_f64_e32 v[2:3], v[6:7], v[2:3]
	v_add_f64_e32 v[4:5], v[8:9], v[4:5]
	s_delay_alu instid0(VALU_DEP_2) | instskip(NEXT) | instid1(VALU_DEP_2)
	v_add_f64_e64 v[2:3], v[42:43], -v[2:3]
	v_add_f64_e64 v[4:5], v[44:45], -v[4:5]
	scratch_store_b128 off, v[2:5], off offset:432
	v_cmpx_lt_u32_e32 25, v0
	s_cbranch_execz .LBB119_299
; %bb.298:
	scratch_load_b128 v[5:8], off, s44
	v_dual_mov_b32 v2, v1 :: v_dual_mov_b32 v3, v1
	v_mov_b32_e32 v4, v1
	scratch_store_b128 off, v[1:4], off offset:416
	s_wait_loadcnt 0x0
	ds_store_b128 v158, v[5:8]
.LBB119_299:
	s_wait_alu 0xfffe
	s_or_b32 exec_lo, exec_lo, s0
	s_wait_storecnt_dscnt 0x0
	s_barrier_signal -1
	s_barrier_wait -1
	global_inv scope:SCOPE_SE
	s_clause 0x8
	scratch_load_b128 v[2:5], off, off offset:432
	scratch_load_b128 v[6:9], off, off offset:448
	;; [unrolled: 1-line block ×9, first 2 shown]
	ds_load_b128 v[38:41], v1 offset:1312
	ds_load_b128 v[42:45], v1 offset:1328
	s_clause 0x1
	scratch_load_b128 v[159:162], off, off offset:416
	scratch_load_b128 v[163:166], off, off offset:576
	s_mov_b32 s0, exec_lo
	s_wait_loadcnt_dscnt 0xa01
	v_mul_f64_e32 v[167:168], v[40:41], v[4:5]
	v_mul_f64_e32 v[4:5], v[38:39], v[4:5]
	s_wait_loadcnt_dscnt 0x900
	v_mul_f64_e32 v[171:172], v[42:43], v[8:9]
	v_mul_f64_e32 v[8:9], v[44:45], v[8:9]
	s_delay_alu instid0(VALU_DEP_4) | instskip(NEXT) | instid1(VALU_DEP_4)
	v_fma_f64 v[173:174], v[38:39], v[2:3], -v[167:168]
	v_fma_f64 v[175:176], v[40:41], v[2:3], v[4:5]
	ds_load_b128 v[2:5], v1 offset:1344
	ds_load_b128 v[167:170], v1 offset:1360
	scratch_load_b128 v[38:41], off, off offset:592
	v_fma_f64 v[44:45], v[44:45], v[6:7], v[171:172]
	v_fma_f64 v[42:43], v[42:43], v[6:7], -v[8:9]
	scratch_load_b128 v[6:9], off, off offset:608
	s_wait_loadcnt_dscnt 0xa01
	v_mul_f64_e32 v[177:178], v[2:3], v[12:13]
	v_mul_f64_e32 v[12:13], v[4:5], v[12:13]
	v_add_f64_e32 v[171:172], 0, v[173:174]
	v_add_f64_e32 v[173:174], 0, v[175:176]
	s_wait_loadcnt_dscnt 0x900
	v_mul_f64_e32 v[175:176], v[167:168], v[16:17]
	v_mul_f64_e32 v[16:17], v[169:170], v[16:17]
	v_fma_f64 v[177:178], v[4:5], v[10:11], v[177:178]
	v_fma_f64 v[179:180], v[2:3], v[10:11], -v[12:13]
	ds_load_b128 v[2:5], v1 offset:1376
	scratch_load_b128 v[10:13], off, off offset:624
	v_add_f64_e32 v[171:172], v[171:172], v[42:43]
	v_add_f64_e32 v[173:174], v[173:174], v[44:45]
	ds_load_b128 v[42:45], v1 offset:1392
	v_fma_f64 v[169:170], v[169:170], v[14:15], v[175:176]
	v_fma_f64 v[167:168], v[167:168], v[14:15], -v[16:17]
	scratch_load_b128 v[14:17], off, off offset:640
	s_wait_loadcnt_dscnt 0xa01
	v_mul_f64_e32 v[181:182], v[2:3], v[20:21]
	v_mul_f64_e32 v[20:21], v[4:5], v[20:21]
	s_wait_loadcnt_dscnt 0x900
	v_mul_f64_e32 v[175:176], v[42:43], v[24:25]
	v_mul_f64_e32 v[24:25], v[44:45], v[24:25]
	v_add_f64_e32 v[171:172], v[171:172], v[179:180]
	v_add_f64_e32 v[173:174], v[173:174], v[177:178]
	v_fma_f64 v[177:178], v[4:5], v[18:19], v[181:182]
	v_fma_f64 v[179:180], v[2:3], v[18:19], -v[20:21]
	ds_load_b128 v[2:5], v1 offset:1408
	scratch_load_b128 v[18:21], off, off offset:656
	v_fma_f64 v[44:45], v[44:45], v[22:23], v[175:176]
	v_fma_f64 v[42:43], v[42:43], v[22:23], -v[24:25]
	scratch_load_b128 v[22:25], off, off offset:672
	v_add_f64_e32 v[171:172], v[171:172], v[167:168]
	v_add_f64_e32 v[173:174], v[173:174], v[169:170]
	ds_load_b128 v[167:170], v1 offset:1424
	s_wait_loadcnt_dscnt 0xa01
	v_mul_f64_e32 v[181:182], v[2:3], v[28:29]
	v_mul_f64_e32 v[28:29], v[4:5], v[28:29]
	s_wait_loadcnt_dscnt 0x900
	v_mul_f64_e32 v[175:176], v[167:168], v[32:33]
	v_mul_f64_e32 v[32:33], v[169:170], v[32:33]
	v_add_f64_e32 v[171:172], v[171:172], v[179:180]
	v_add_f64_e32 v[173:174], v[173:174], v[177:178]
	v_fma_f64 v[177:178], v[4:5], v[26:27], v[181:182]
	v_fma_f64 v[179:180], v[2:3], v[26:27], -v[28:29]
	ds_load_b128 v[2:5], v1 offset:1440
	scratch_load_b128 v[26:29], off, off offset:688
	v_fma_f64 v[169:170], v[169:170], v[30:31], v[175:176]
	v_fma_f64 v[167:168], v[167:168], v[30:31], -v[32:33]
	scratch_load_b128 v[30:33], off, off offset:704
	v_add_f64_e32 v[171:172], v[171:172], v[42:43]
	v_add_f64_e32 v[173:174], v[173:174], v[44:45]
	ds_load_b128 v[42:45], v1 offset:1456
	s_wait_loadcnt_dscnt 0xa01
	v_mul_f64_e32 v[181:182], v[2:3], v[36:37]
	v_mul_f64_e32 v[36:37], v[4:5], v[36:37]
	s_wait_loadcnt_dscnt 0x800
	v_mul_f64_e32 v[175:176], v[42:43], v[165:166]
	v_add_f64_e32 v[171:172], v[171:172], v[179:180]
	v_add_f64_e32 v[173:174], v[173:174], v[177:178]
	v_mul_f64_e32 v[177:178], v[44:45], v[165:166]
	v_fma_f64 v[179:180], v[4:5], v[34:35], v[181:182]
	v_fma_f64 v[181:182], v[2:3], v[34:35], -v[36:37]
	ds_load_b128 v[2:5], v1 offset:1472
	scratch_load_b128 v[34:37], off, off offset:720
	v_fma_f64 v[44:45], v[44:45], v[163:164], v[175:176]
	v_add_f64_e32 v[171:172], v[171:172], v[167:168]
	v_add_f64_e32 v[169:170], v[173:174], v[169:170]
	ds_load_b128 v[165:168], v1 offset:1488
	v_fma_f64 v[163:164], v[42:43], v[163:164], -v[177:178]
	s_wait_loadcnt_dscnt 0x801
	v_mul_f64_e32 v[173:174], v[2:3], v[40:41]
	v_mul_f64_e32 v[183:184], v[4:5], v[40:41]
	scratch_load_b128 v[40:43], off, off offset:736
	s_wait_loadcnt_dscnt 0x800
	v_mul_f64_e32 v[177:178], v[165:166], v[8:9]
	v_mul_f64_e32 v[8:9], v[167:168], v[8:9]
	v_add_f64_e32 v[171:172], v[171:172], v[181:182]
	v_add_f64_e32 v[169:170], v[169:170], v[179:180]
	v_fma_f64 v[179:180], v[4:5], v[38:39], v[173:174]
	v_fma_f64 v[38:39], v[2:3], v[38:39], -v[183:184]
	ds_load_b128 v[2:5], v1 offset:1504
	ds_load_b128 v[173:176], v1 offset:1520
	v_fma_f64 v[167:168], v[167:168], v[6:7], v[177:178]
	v_fma_f64 v[165:166], v[165:166], v[6:7], -v[8:9]
	scratch_load_b128 v[6:9], off, off offset:768
	v_add_f64_e32 v[163:164], v[171:172], v[163:164]
	v_add_f64_e32 v[44:45], v[169:170], v[44:45]
	scratch_load_b128 v[169:172], off, off offset:752
	s_wait_loadcnt_dscnt 0x901
	v_mul_f64_e32 v[181:182], v[2:3], v[12:13]
	v_mul_f64_e32 v[12:13], v[4:5], v[12:13]
	s_wait_loadcnt_dscnt 0x800
	v_mul_f64_e32 v[177:178], v[173:174], v[16:17]
	v_mul_f64_e32 v[16:17], v[175:176], v[16:17]
	v_add_f64_e32 v[38:39], v[163:164], v[38:39]
	v_add_f64_e32 v[44:45], v[44:45], v[179:180]
	v_fma_f64 v[179:180], v[4:5], v[10:11], v[181:182]
	v_fma_f64 v[181:182], v[2:3], v[10:11], -v[12:13]
	ds_load_b128 v[2:5], v1 offset:1536
	scratch_load_b128 v[10:13], off, off offset:784
	v_fma_f64 v[175:176], v[175:176], v[14:15], v[177:178]
	v_fma_f64 v[173:174], v[173:174], v[14:15], -v[16:17]
	scratch_load_b128 v[14:17], off, off offset:800
	v_add_f64_e32 v[38:39], v[38:39], v[165:166]
	v_add_f64_e32 v[44:45], v[44:45], v[167:168]
	ds_load_b128 v[163:166], v1 offset:1552
	s_wait_loadcnt_dscnt 0x901
	v_mul_f64_e32 v[167:168], v[2:3], v[20:21]
	v_mul_f64_e32 v[20:21], v[4:5], v[20:21]
	s_wait_loadcnt_dscnt 0x800
	v_mul_f64_e32 v[177:178], v[163:164], v[24:25]
	v_mul_f64_e32 v[24:25], v[165:166], v[24:25]
	v_add_f64_e32 v[38:39], v[38:39], v[181:182]
	v_add_f64_e32 v[44:45], v[44:45], v[179:180]
	v_fma_f64 v[167:168], v[4:5], v[18:19], v[167:168]
	v_fma_f64 v[179:180], v[2:3], v[18:19], -v[20:21]
	ds_load_b128 v[2:5], v1 offset:1568
	scratch_load_b128 v[18:21], off, off offset:816
	v_fma_f64 v[165:166], v[165:166], v[22:23], v[177:178]
	v_fma_f64 v[163:164], v[163:164], v[22:23], -v[24:25]
	scratch_load_b128 v[22:25], off, off offset:832
	v_add_f64_e32 v[38:39], v[38:39], v[173:174]
	v_add_f64_e32 v[44:45], v[44:45], v[175:176]
	ds_load_b128 v[173:176], v1 offset:1584
	s_wait_loadcnt_dscnt 0x901
	v_mul_f64_e32 v[181:182], v[2:3], v[28:29]
	v_mul_f64_e32 v[28:29], v[4:5], v[28:29]
	v_add_f64_e32 v[38:39], v[38:39], v[179:180]
	v_add_f64_e32 v[44:45], v[44:45], v[167:168]
	s_wait_loadcnt_dscnt 0x800
	v_mul_f64_e32 v[167:168], v[173:174], v[32:33]
	v_mul_f64_e32 v[32:33], v[175:176], v[32:33]
	v_fma_f64 v[177:178], v[4:5], v[26:27], v[181:182]
	v_fma_f64 v[179:180], v[2:3], v[26:27], -v[28:29]
	ds_load_b128 v[2:5], v1 offset:1600
	scratch_load_b128 v[26:29], off, off offset:848
	v_add_f64_e32 v[38:39], v[38:39], v[163:164]
	v_add_f64_e32 v[44:45], v[44:45], v[165:166]
	ds_load_b128 v[163:166], v1 offset:1616
	s_wait_loadcnt_dscnt 0x801
	v_mul_f64_e32 v[181:182], v[2:3], v[36:37]
	v_mul_f64_e32 v[36:37], v[4:5], v[36:37]
	v_fma_f64 v[167:168], v[175:176], v[30:31], v[167:168]
	v_fma_f64 v[173:174], v[173:174], v[30:31], -v[32:33]
	scratch_load_b128 v[30:33], off, off offset:864
	s_wait_loadcnt_dscnt 0x800
	v_mul_f64_e32 v[175:176], v[163:164], v[42:43]
	v_add_f64_e32 v[38:39], v[38:39], v[179:180]
	v_add_f64_e32 v[44:45], v[44:45], v[177:178]
	v_mul_f64_e32 v[177:178], v[165:166], v[42:43]
	v_fma_f64 v[179:180], v[4:5], v[34:35], v[181:182]
	v_fma_f64 v[181:182], v[2:3], v[34:35], -v[36:37]
	ds_load_b128 v[2:5], v1 offset:1632
	scratch_load_b128 v[34:37], off, off offset:880
	v_fma_f64 v[165:166], v[165:166], v[40:41], v[175:176]
	v_add_f64_e32 v[38:39], v[38:39], v[173:174]
	v_add_f64_e32 v[167:168], v[44:45], v[167:168]
	ds_load_b128 v[42:45], v1 offset:1648
	v_fma_f64 v[163:164], v[163:164], v[40:41], -v[177:178]
	s_wait_loadcnt_dscnt 0x701
	v_mul_f64_e32 v[173:174], v[2:3], v[171:172]
	v_mul_f64_e32 v[171:172], v[4:5], v[171:172]
	s_wait_dscnt 0x0
	v_mul_f64_e32 v[177:178], v[42:43], v[8:9]
	v_mul_f64_e32 v[8:9], v[44:45], v[8:9]
	v_add_f64_e32 v[175:176], v[38:39], v[181:182]
	v_add_f64_e32 v[167:168], v[167:168], v[179:180]
	scratch_load_b128 v[38:41], off, off offset:896
	v_fma_f64 v[173:174], v[4:5], v[169:170], v[173:174]
	v_fma_f64 v[169:170], v[2:3], v[169:170], -v[171:172]
	v_fma_f64 v[44:45], v[44:45], v[6:7], v[177:178]
	v_fma_f64 v[6:7], v[42:43], v[6:7], -v[8:9]
	v_add_f64_e32 v[171:172], v[175:176], v[163:164]
	v_add_f64_e32 v[167:168], v[167:168], v[165:166]
	ds_load_b128 v[2:5], v1 offset:1664
	ds_load_b128 v[163:166], v1 offset:1680
	s_wait_loadcnt_dscnt 0x701
	v_mul_f64_e32 v[175:176], v[2:3], v[12:13]
	v_mul_f64_e32 v[12:13], v[4:5], v[12:13]
	v_add_f64_e32 v[8:9], v[171:172], v[169:170]
	v_add_f64_e32 v[42:43], v[167:168], v[173:174]
	s_wait_loadcnt_dscnt 0x600
	v_mul_f64_e32 v[167:168], v[163:164], v[16:17]
	v_mul_f64_e32 v[16:17], v[165:166], v[16:17]
	v_fma_f64 v[169:170], v[4:5], v[10:11], v[175:176]
	v_fma_f64 v[10:11], v[2:3], v[10:11], -v[12:13]
	v_add_f64_e32 v[12:13], v[8:9], v[6:7]
	v_add_f64_e32 v[42:43], v[42:43], v[44:45]
	ds_load_b128 v[2:5], v1 offset:1696
	ds_load_b128 v[6:9], v1 offset:1712
	v_fma_f64 v[165:166], v[165:166], v[14:15], v[167:168]
	v_fma_f64 v[14:15], v[163:164], v[14:15], -v[16:17]
	s_wait_loadcnt_dscnt 0x501
	v_mul_f64_e32 v[44:45], v[2:3], v[20:21]
	v_mul_f64_e32 v[20:21], v[4:5], v[20:21]
	s_wait_loadcnt_dscnt 0x400
	v_mul_f64_e32 v[16:17], v[6:7], v[24:25]
	v_mul_f64_e32 v[24:25], v[8:9], v[24:25]
	v_add_f64_e32 v[10:11], v[12:13], v[10:11]
	v_add_f64_e32 v[12:13], v[42:43], v[169:170]
	v_fma_f64 v[42:43], v[4:5], v[18:19], v[44:45]
	v_fma_f64 v[18:19], v[2:3], v[18:19], -v[20:21]
	v_fma_f64 v[8:9], v[8:9], v[22:23], v[16:17]
	v_fma_f64 v[6:7], v[6:7], v[22:23], -v[24:25]
	v_add_f64_e32 v[14:15], v[10:11], v[14:15]
	v_add_f64_e32 v[20:21], v[12:13], v[165:166]
	ds_load_b128 v[2:5], v1 offset:1728
	ds_load_b128 v[10:13], v1 offset:1744
	s_wait_loadcnt_dscnt 0x301
	v_mul_f64_e32 v[44:45], v[2:3], v[28:29]
	v_mul_f64_e32 v[28:29], v[4:5], v[28:29]
	v_add_f64_e32 v[14:15], v[14:15], v[18:19]
	v_add_f64_e32 v[16:17], v[20:21], v[42:43]
	s_wait_loadcnt_dscnt 0x200
	v_mul_f64_e32 v[18:19], v[10:11], v[32:33]
	v_mul_f64_e32 v[20:21], v[12:13], v[32:33]
	v_fma_f64 v[22:23], v[4:5], v[26:27], v[44:45]
	v_fma_f64 v[24:25], v[2:3], v[26:27], -v[28:29]
	v_add_f64_e32 v[14:15], v[14:15], v[6:7]
	v_add_f64_e32 v[16:17], v[16:17], v[8:9]
	ds_load_b128 v[2:5], v1 offset:1760
	ds_load_b128 v[6:9], v1 offset:1776
	v_fma_f64 v[12:13], v[12:13], v[30:31], v[18:19]
	v_fma_f64 v[10:11], v[10:11], v[30:31], -v[20:21]
	s_wait_loadcnt_dscnt 0x101
	v_mul_f64_e32 v[26:27], v[2:3], v[36:37]
	v_mul_f64_e32 v[28:29], v[4:5], v[36:37]
	v_add_f64_e32 v[14:15], v[14:15], v[24:25]
	v_add_f64_e32 v[16:17], v[16:17], v[22:23]
	s_wait_loadcnt_dscnt 0x0
	v_mul_f64_e32 v[18:19], v[6:7], v[40:41]
	v_mul_f64_e32 v[20:21], v[8:9], v[40:41]
	v_fma_f64 v[4:5], v[4:5], v[34:35], v[26:27]
	v_fma_f64 v[1:2], v[2:3], v[34:35], -v[28:29]
	v_add_f64_e32 v[10:11], v[14:15], v[10:11]
	v_add_f64_e32 v[12:13], v[16:17], v[12:13]
	v_fma_f64 v[8:9], v[8:9], v[38:39], v[18:19]
	v_fma_f64 v[6:7], v[6:7], v[38:39], -v[20:21]
	s_delay_alu instid0(VALU_DEP_4) | instskip(NEXT) | instid1(VALU_DEP_4)
	v_add_f64_e32 v[1:2], v[10:11], v[1:2]
	v_add_f64_e32 v[3:4], v[12:13], v[4:5]
	s_delay_alu instid0(VALU_DEP_2) | instskip(NEXT) | instid1(VALU_DEP_2)
	v_add_f64_e32 v[1:2], v[1:2], v[6:7]
	v_add_f64_e32 v[3:4], v[3:4], v[8:9]
	s_delay_alu instid0(VALU_DEP_2) | instskip(NEXT) | instid1(VALU_DEP_2)
	v_add_f64_e64 v[1:2], v[159:160], -v[1:2]
	v_add_f64_e64 v[3:4], v[161:162], -v[3:4]
	scratch_store_b128 off, v[1:4], off offset:416
	v_cmpx_lt_u32_e32 24, v0
	s_cbranch_execz .LBB119_301
; %bb.300:
	scratch_load_b128 v[1:4], off, s45
	v_mov_b32_e32 v5, 0
	s_delay_alu instid0(VALU_DEP_1)
	v_dual_mov_b32 v6, v5 :: v_dual_mov_b32 v7, v5
	v_mov_b32_e32 v8, v5
	scratch_store_b128 off, v[5:8], off offset:400
	s_wait_loadcnt 0x0
	ds_store_b128 v158, v[1:4]
.LBB119_301:
	s_wait_alu 0xfffe
	s_or_b32 exec_lo, exec_lo, s0
	s_wait_storecnt_dscnt 0x0
	s_barrier_signal -1
	s_barrier_wait -1
	global_inv scope:SCOPE_SE
	s_clause 0x7
	scratch_load_b128 v[2:5], off, off offset:416
	scratch_load_b128 v[6:9], off, off offset:432
	;; [unrolled: 1-line block ×8, first 2 shown]
	v_mov_b32_e32 v1, 0
	s_mov_b32 s0, exec_lo
	ds_load_b128 v[34:37], v1 offset:1296
	s_clause 0x1
	scratch_load_b128 v[38:41], off, off offset:544
	scratch_load_b128 v[42:45], off, off offset:400
	ds_load_b128 v[159:162], v1 offset:1312
	scratch_load_b128 v[163:166], off, off offset:560
	s_wait_loadcnt_dscnt 0xa01
	v_mul_f64_e32 v[167:168], v[36:37], v[4:5]
	v_mul_f64_e32 v[4:5], v[34:35], v[4:5]
	s_delay_alu instid0(VALU_DEP_2) | instskip(NEXT) | instid1(VALU_DEP_2)
	v_fma_f64 v[173:174], v[34:35], v[2:3], -v[167:168]
	v_fma_f64 v[175:176], v[36:37], v[2:3], v[4:5]
	ds_load_b128 v[2:5], v1 offset:1328
	s_wait_loadcnt_dscnt 0x901
	v_mul_f64_e32 v[171:172], v[159:160], v[8:9]
	v_mul_f64_e32 v[8:9], v[161:162], v[8:9]
	scratch_load_b128 v[34:37], off, off offset:576
	ds_load_b128 v[167:170], v1 offset:1344
	s_wait_loadcnt_dscnt 0x901
	v_mul_f64_e32 v[177:178], v[2:3], v[12:13]
	v_mul_f64_e32 v[12:13], v[4:5], v[12:13]
	v_fma_f64 v[161:162], v[161:162], v[6:7], v[171:172]
	v_fma_f64 v[159:160], v[159:160], v[6:7], -v[8:9]
	v_add_f64_e32 v[171:172], 0, v[173:174]
	v_add_f64_e32 v[173:174], 0, v[175:176]
	scratch_load_b128 v[6:9], off, off offset:592
	v_fma_f64 v[177:178], v[4:5], v[10:11], v[177:178]
	v_fma_f64 v[179:180], v[2:3], v[10:11], -v[12:13]
	ds_load_b128 v[2:5], v1 offset:1360
	s_wait_loadcnt_dscnt 0x901
	v_mul_f64_e32 v[175:176], v[167:168], v[16:17]
	v_mul_f64_e32 v[16:17], v[169:170], v[16:17]
	scratch_load_b128 v[10:13], off, off offset:608
	v_add_f64_e32 v[171:172], v[171:172], v[159:160]
	v_add_f64_e32 v[173:174], v[173:174], v[161:162]
	s_wait_loadcnt_dscnt 0x900
	v_mul_f64_e32 v[181:182], v[2:3], v[20:21]
	v_mul_f64_e32 v[20:21], v[4:5], v[20:21]
	ds_load_b128 v[159:162], v1 offset:1376
	v_fma_f64 v[169:170], v[169:170], v[14:15], v[175:176]
	v_fma_f64 v[167:168], v[167:168], v[14:15], -v[16:17]
	scratch_load_b128 v[14:17], off, off offset:624
	v_add_f64_e32 v[171:172], v[171:172], v[179:180]
	v_add_f64_e32 v[173:174], v[173:174], v[177:178]
	v_fma_f64 v[177:178], v[4:5], v[18:19], v[181:182]
	v_fma_f64 v[179:180], v[2:3], v[18:19], -v[20:21]
	ds_load_b128 v[2:5], v1 offset:1392
	s_wait_loadcnt_dscnt 0x901
	v_mul_f64_e32 v[175:176], v[159:160], v[24:25]
	v_mul_f64_e32 v[24:25], v[161:162], v[24:25]
	scratch_load_b128 v[18:21], off, off offset:640
	s_wait_loadcnt_dscnt 0x900
	v_mul_f64_e32 v[181:182], v[2:3], v[28:29]
	v_mul_f64_e32 v[28:29], v[4:5], v[28:29]
	v_add_f64_e32 v[171:172], v[171:172], v[167:168]
	v_add_f64_e32 v[173:174], v[173:174], v[169:170]
	ds_load_b128 v[167:170], v1 offset:1408
	v_fma_f64 v[161:162], v[161:162], v[22:23], v[175:176]
	v_fma_f64 v[159:160], v[159:160], v[22:23], -v[24:25]
	scratch_load_b128 v[22:25], off, off offset:656
	v_add_f64_e32 v[171:172], v[171:172], v[179:180]
	v_add_f64_e32 v[173:174], v[173:174], v[177:178]
	v_fma_f64 v[177:178], v[4:5], v[26:27], v[181:182]
	v_fma_f64 v[179:180], v[2:3], v[26:27], -v[28:29]
	ds_load_b128 v[2:5], v1 offset:1424
	s_wait_loadcnt_dscnt 0x901
	v_mul_f64_e32 v[175:176], v[167:168], v[32:33]
	v_mul_f64_e32 v[32:33], v[169:170], v[32:33]
	scratch_load_b128 v[26:29], off, off offset:672
	s_wait_loadcnt_dscnt 0x900
	v_mul_f64_e32 v[181:182], v[2:3], v[40:41]
	v_mul_f64_e32 v[40:41], v[4:5], v[40:41]
	v_add_f64_e32 v[171:172], v[171:172], v[159:160]
	v_add_f64_e32 v[173:174], v[173:174], v[161:162]
	ds_load_b128 v[159:162], v1 offset:1440
	v_fma_f64 v[169:170], v[169:170], v[30:31], v[175:176]
	v_fma_f64 v[167:168], v[167:168], v[30:31], -v[32:33]
	scratch_load_b128 v[30:33], off, off offset:688
	v_add_f64_e32 v[171:172], v[171:172], v[179:180]
	v_add_f64_e32 v[173:174], v[173:174], v[177:178]
	v_fma_f64 v[179:180], v[4:5], v[38:39], v[181:182]
	v_fma_f64 v[181:182], v[2:3], v[38:39], -v[40:41]
	ds_load_b128 v[2:5], v1 offset:1456
	s_wait_loadcnt_dscnt 0x801
	v_mul_f64_e32 v[175:176], v[159:160], v[165:166]
	v_mul_f64_e32 v[177:178], v[161:162], v[165:166]
	scratch_load_b128 v[38:41], off, off offset:704
	v_add_f64_e32 v[171:172], v[171:172], v[167:168]
	v_add_f64_e32 v[169:170], v[173:174], v[169:170]
	ds_load_b128 v[165:168], v1 offset:1472
	v_fma_f64 v[175:176], v[161:162], v[163:164], v[175:176]
	v_fma_f64 v[163:164], v[159:160], v[163:164], -v[177:178]
	scratch_load_b128 v[159:162], off, off offset:720
	s_wait_loadcnt_dscnt 0x901
	v_mul_f64_e32 v[173:174], v[2:3], v[36:37]
	v_mul_f64_e32 v[36:37], v[4:5], v[36:37]
	v_add_f64_e32 v[171:172], v[171:172], v[181:182]
	v_add_f64_e32 v[169:170], v[169:170], v[179:180]
	s_delay_alu instid0(VALU_DEP_4) | instskip(NEXT) | instid1(VALU_DEP_4)
	v_fma_f64 v[173:174], v[4:5], v[34:35], v[173:174]
	v_fma_f64 v[179:180], v[2:3], v[34:35], -v[36:37]
	ds_load_b128 v[2:5], v1 offset:1488
	s_wait_loadcnt_dscnt 0x801
	v_mul_f64_e32 v[177:178], v[165:166], v[8:9]
	v_mul_f64_e32 v[8:9], v[167:168], v[8:9]
	scratch_load_b128 v[34:37], off, off offset:736
	s_wait_loadcnt_dscnt 0x800
	v_mul_f64_e32 v[181:182], v[2:3], v[12:13]
	v_add_f64_e32 v[163:164], v[171:172], v[163:164]
	v_add_f64_e32 v[175:176], v[169:170], v[175:176]
	v_mul_f64_e32 v[12:13], v[4:5], v[12:13]
	ds_load_b128 v[169:172], v1 offset:1504
	v_fma_f64 v[167:168], v[167:168], v[6:7], v[177:178]
	v_fma_f64 v[165:166], v[165:166], v[6:7], -v[8:9]
	scratch_load_b128 v[6:9], off, off offset:752
	v_fma_f64 v[177:178], v[4:5], v[10:11], v[181:182]
	v_add_f64_e32 v[163:164], v[163:164], v[179:180]
	v_add_f64_e32 v[173:174], v[175:176], v[173:174]
	v_fma_f64 v[179:180], v[2:3], v[10:11], -v[12:13]
	ds_load_b128 v[2:5], v1 offset:1520
	s_wait_loadcnt_dscnt 0x801
	v_mul_f64_e32 v[175:176], v[169:170], v[16:17]
	v_mul_f64_e32 v[16:17], v[171:172], v[16:17]
	scratch_load_b128 v[10:13], off, off offset:768
	v_add_f64_e32 v[181:182], v[163:164], v[165:166]
	v_add_f64_e32 v[167:168], v[173:174], v[167:168]
	s_wait_loadcnt_dscnt 0x800
	v_mul_f64_e32 v[173:174], v[2:3], v[20:21]
	v_mul_f64_e32 v[20:21], v[4:5], v[20:21]
	v_fma_f64 v[171:172], v[171:172], v[14:15], v[175:176]
	v_fma_f64 v[169:170], v[169:170], v[14:15], -v[16:17]
	ds_load_b128 v[163:166], v1 offset:1536
	scratch_load_b128 v[14:17], off, off offset:784
	v_add_f64_e32 v[175:176], v[181:182], v[179:180]
	v_add_f64_e32 v[167:168], v[167:168], v[177:178]
	v_fma_f64 v[173:174], v[4:5], v[18:19], v[173:174]
	v_fma_f64 v[179:180], v[2:3], v[18:19], -v[20:21]
	ds_load_b128 v[2:5], v1 offset:1552
	s_wait_loadcnt_dscnt 0x801
	v_mul_f64_e32 v[177:178], v[163:164], v[24:25]
	v_mul_f64_e32 v[24:25], v[165:166], v[24:25]
	scratch_load_b128 v[18:21], off, off offset:800
	s_wait_loadcnt_dscnt 0x800
	v_mul_f64_e32 v[181:182], v[2:3], v[28:29]
	v_mul_f64_e32 v[28:29], v[4:5], v[28:29]
	v_add_f64_e32 v[175:176], v[175:176], v[169:170]
	v_add_f64_e32 v[171:172], v[167:168], v[171:172]
	ds_load_b128 v[167:170], v1 offset:1568
	v_fma_f64 v[165:166], v[165:166], v[22:23], v[177:178]
	v_fma_f64 v[163:164], v[163:164], v[22:23], -v[24:25]
	scratch_load_b128 v[22:25], off, off offset:816
	v_fma_f64 v[177:178], v[4:5], v[26:27], v[181:182]
	v_add_f64_e32 v[175:176], v[175:176], v[179:180]
	v_add_f64_e32 v[171:172], v[171:172], v[173:174]
	v_fma_f64 v[179:180], v[2:3], v[26:27], -v[28:29]
	ds_load_b128 v[2:5], v1 offset:1584
	s_wait_loadcnt_dscnt 0x801
	v_mul_f64_e32 v[173:174], v[167:168], v[32:33]
	v_mul_f64_e32 v[32:33], v[169:170], v[32:33]
	scratch_load_b128 v[26:29], off, off offset:832
	s_wait_loadcnt_dscnt 0x800
	v_mul_f64_e32 v[181:182], v[2:3], v[40:41]
	v_mul_f64_e32 v[40:41], v[4:5], v[40:41]
	v_add_f64_e32 v[175:176], v[175:176], v[163:164]
	v_add_f64_e32 v[171:172], v[171:172], v[165:166]
	ds_load_b128 v[163:166], v1 offset:1600
	v_fma_f64 v[169:170], v[169:170], v[30:31], v[173:174]
	v_fma_f64 v[167:168], v[167:168], v[30:31], -v[32:33]
	scratch_load_b128 v[30:33], off, off offset:848
	v_add_f64_e32 v[173:174], v[175:176], v[179:180]
	v_add_f64_e32 v[171:172], v[171:172], v[177:178]
	v_fma_f64 v[177:178], v[4:5], v[38:39], v[181:182]
	v_fma_f64 v[179:180], v[2:3], v[38:39], -v[40:41]
	ds_load_b128 v[2:5], v1 offset:1616
	s_wait_loadcnt_dscnt 0x801
	v_mul_f64_e32 v[175:176], v[163:164], v[161:162]
	v_mul_f64_e32 v[161:162], v[165:166], v[161:162]
	scratch_load_b128 v[38:41], off, off offset:864
	s_wait_loadcnt_dscnt 0x800
	v_mul_f64_e32 v[181:182], v[2:3], v[36:37]
	v_mul_f64_e32 v[36:37], v[4:5], v[36:37]
	v_add_f64_e32 v[173:174], v[173:174], v[167:168]
	v_add_f64_e32 v[171:172], v[171:172], v[169:170]
	ds_load_b128 v[167:170], v1 offset:1632
	v_fma_f64 v[165:166], v[165:166], v[159:160], v[175:176]
	v_fma_f64 v[163:164], v[163:164], v[159:160], -v[161:162]
	scratch_load_b128 v[159:162], off, off offset:880
	v_add_f64_e32 v[173:174], v[173:174], v[179:180]
	v_add_f64_e32 v[171:172], v[171:172], v[177:178]
	v_fma_f64 v[177:178], v[4:5], v[34:35], v[181:182]
	v_fma_f64 v[179:180], v[2:3], v[34:35], -v[36:37]
	ds_load_b128 v[2:5], v1 offset:1648
	s_wait_loadcnt_dscnt 0x801
	v_mul_f64_e32 v[175:176], v[167:168], v[8:9]
	v_mul_f64_e32 v[8:9], v[169:170], v[8:9]
	scratch_load_b128 v[34:37], off, off offset:896
	s_wait_loadcnt_dscnt 0x800
	v_mul_f64_e32 v[181:182], v[2:3], v[12:13]
	v_mul_f64_e32 v[12:13], v[4:5], v[12:13]
	v_add_f64_e32 v[173:174], v[173:174], v[163:164]
	v_add_f64_e32 v[171:172], v[171:172], v[165:166]
	ds_load_b128 v[163:166], v1 offset:1664
	v_fma_f64 v[169:170], v[169:170], v[6:7], v[175:176]
	v_fma_f64 v[6:7], v[167:168], v[6:7], -v[8:9]
	v_add_f64_e32 v[8:9], v[173:174], v[179:180]
	v_add_f64_e32 v[167:168], v[171:172], v[177:178]
	s_wait_loadcnt_dscnt 0x700
	v_mul_f64_e32 v[171:172], v[163:164], v[16:17]
	v_mul_f64_e32 v[16:17], v[165:166], v[16:17]
	v_fma_f64 v[173:174], v[4:5], v[10:11], v[181:182]
	v_fma_f64 v[10:11], v[2:3], v[10:11], -v[12:13]
	v_add_f64_e32 v[12:13], v[8:9], v[6:7]
	v_add_f64_e32 v[167:168], v[167:168], v[169:170]
	ds_load_b128 v[2:5], v1 offset:1680
	ds_load_b128 v[6:9], v1 offset:1696
	v_fma_f64 v[165:166], v[165:166], v[14:15], v[171:172]
	v_fma_f64 v[14:15], v[163:164], v[14:15], -v[16:17]
	s_wait_loadcnt_dscnt 0x601
	v_mul_f64_e32 v[169:170], v[2:3], v[20:21]
	v_mul_f64_e32 v[20:21], v[4:5], v[20:21]
	s_wait_loadcnt_dscnt 0x500
	v_mul_f64_e32 v[16:17], v[6:7], v[24:25]
	v_mul_f64_e32 v[24:25], v[8:9], v[24:25]
	v_add_f64_e32 v[10:11], v[12:13], v[10:11]
	v_add_f64_e32 v[12:13], v[167:168], v[173:174]
	v_fma_f64 v[163:164], v[4:5], v[18:19], v[169:170]
	v_fma_f64 v[18:19], v[2:3], v[18:19], -v[20:21]
	v_fma_f64 v[8:9], v[8:9], v[22:23], v[16:17]
	v_fma_f64 v[6:7], v[6:7], v[22:23], -v[24:25]
	v_add_f64_e32 v[14:15], v[10:11], v[14:15]
	v_add_f64_e32 v[20:21], v[12:13], v[165:166]
	ds_load_b128 v[2:5], v1 offset:1712
	ds_load_b128 v[10:13], v1 offset:1728
	s_wait_loadcnt_dscnt 0x401
	v_mul_f64_e32 v[165:166], v[2:3], v[28:29]
	v_mul_f64_e32 v[28:29], v[4:5], v[28:29]
	v_add_f64_e32 v[14:15], v[14:15], v[18:19]
	v_add_f64_e32 v[16:17], v[20:21], v[163:164]
	s_wait_loadcnt_dscnt 0x300
	v_mul_f64_e32 v[18:19], v[10:11], v[32:33]
	v_mul_f64_e32 v[20:21], v[12:13], v[32:33]
	v_fma_f64 v[22:23], v[4:5], v[26:27], v[165:166]
	v_fma_f64 v[24:25], v[2:3], v[26:27], -v[28:29]
	v_add_f64_e32 v[14:15], v[14:15], v[6:7]
	v_add_f64_e32 v[16:17], v[16:17], v[8:9]
	ds_load_b128 v[2:5], v1 offset:1744
	ds_load_b128 v[6:9], v1 offset:1760
	v_fma_f64 v[12:13], v[12:13], v[30:31], v[18:19]
	v_fma_f64 v[10:11], v[10:11], v[30:31], -v[20:21]
	s_wait_loadcnt_dscnt 0x201
	v_mul_f64_e32 v[26:27], v[2:3], v[40:41]
	v_mul_f64_e32 v[28:29], v[4:5], v[40:41]
	s_wait_loadcnt_dscnt 0x100
	v_mul_f64_e32 v[18:19], v[6:7], v[161:162]
	v_mul_f64_e32 v[20:21], v[8:9], v[161:162]
	v_add_f64_e32 v[14:15], v[14:15], v[24:25]
	v_add_f64_e32 v[16:17], v[16:17], v[22:23]
	v_fma_f64 v[22:23], v[4:5], v[38:39], v[26:27]
	v_fma_f64 v[24:25], v[2:3], v[38:39], -v[28:29]
	ds_load_b128 v[2:5], v1 offset:1776
	v_fma_f64 v[8:9], v[8:9], v[159:160], v[18:19]
	v_fma_f64 v[6:7], v[6:7], v[159:160], -v[20:21]
	v_add_f64_e32 v[10:11], v[14:15], v[10:11]
	v_add_f64_e32 v[12:13], v[16:17], v[12:13]
	s_wait_loadcnt_dscnt 0x0
	v_mul_f64_e32 v[14:15], v[2:3], v[36:37]
	v_mul_f64_e32 v[16:17], v[4:5], v[36:37]
	s_delay_alu instid0(VALU_DEP_4) | instskip(NEXT) | instid1(VALU_DEP_4)
	v_add_f64_e32 v[10:11], v[10:11], v[24:25]
	v_add_f64_e32 v[12:13], v[12:13], v[22:23]
	s_delay_alu instid0(VALU_DEP_4) | instskip(NEXT) | instid1(VALU_DEP_4)
	v_fma_f64 v[4:5], v[4:5], v[34:35], v[14:15]
	v_fma_f64 v[2:3], v[2:3], v[34:35], -v[16:17]
	s_delay_alu instid0(VALU_DEP_4) | instskip(NEXT) | instid1(VALU_DEP_4)
	v_add_f64_e32 v[6:7], v[10:11], v[6:7]
	v_add_f64_e32 v[8:9], v[12:13], v[8:9]
	s_delay_alu instid0(VALU_DEP_2) | instskip(NEXT) | instid1(VALU_DEP_2)
	v_add_f64_e32 v[2:3], v[6:7], v[2:3]
	v_add_f64_e32 v[4:5], v[8:9], v[4:5]
	s_delay_alu instid0(VALU_DEP_2) | instskip(NEXT) | instid1(VALU_DEP_2)
	v_add_f64_e64 v[2:3], v[42:43], -v[2:3]
	v_add_f64_e64 v[4:5], v[44:45], -v[4:5]
	scratch_store_b128 off, v[2:5], off offset:400
	v_cmpx_lt_u32_e32 23, v0
	s_cbranch_execz .LBB119_303
; %bb.302:
	scratch_load_b128 v[5:8], off, s46
	v_dual_mov_b32 v2, v1 :: v_dual_mov_b32 v3, v1
	v_mov_b32_e32 v4, v1
	scratch_store_b128 off, v[1:4], off offset:384
	s_wait_loadcnt 0x0
	ds_store_b128 v158, v[5:8]
.LBB119_303:
	s_wait_alu 0xfffe
	s_or_b32 exec_lo, exec_lo, s0
	s_wait_storecnt_dscnt 0x0
	s_barrier_signal -1
	s_barrier_wait -1
	global_inv scope:SCOPE_SE
	s_clause 0x8
	scratch_load_b128 v[2:5], off, off offset:400
	scratch_load_b128 v[6:9], off, off offset:416
	;; [unrolled: 1-line block ×9, first 2 shown]
	ds_load_b128 v[38:41], v1 offset:1280
	ds_load_b128 v[42:45], v1 offset:1296
	s_clause 0x1
	scratch_load_b128 v[159:162], off, off offset:384
	scratch_load_b128 v[163:166], off, off offset:544
	s_mov_b32 s0, exec_lo
	s_wait_loadcnt_dscnt 0xa01
	v_mul_f64_e32 v[167:168], v[40:41], v[4:5]
	v_mul_f64_e32 v[4:5], v[38:39], v[4:5]
	s_wait_loadcnt_dscnt 0x900
	v_mul_f64_e32 v[171:172], v[42:43], v[8:9]
	v_mul_f64_e32 v[8:9], v[44:45], v[8:9]
	s_delay_alu instid0(VALU_DEP_4) | instskip(NEXT) | instid1(VALU_DEP_4)
	v_fma_f64 v[173:174], v[38:39], v[2:3], -v[167:168]
	v_fma_f64 v[175:176], v[40:41], v[2:3], v[4:5]
	ds_load_b128 v[2:5], v1 offset:1312
	ds_load_b128 v[167:170], v1 offset:1328
	scratch_load_b128 v[38:41], off, off offset:560
	v_fma_f64 v[44:45], v[44:45], v[6:7], v[171:172]
	v_fma_f64 v[42:43], v[42:43], v[6:7], -v[8:9]
	scratch_load_b128 v[6:9], off, off offset:576
	s_wait_loadcnt_dscnt 0xa01
	v_mul_f64_e32 v[177:178], v[2:3], v[12:13]
	v_mul_f64_e32 v[12:13], v[4:5], v[12:13]
	v_add_f64_e32 v[171:172], 0, v[173:174]
	v_add_f64_e32 v[173:174], 0, v[175:176]
	s_wait_loadcnt_dscnt 0x900
	v_mul_f64_e32 v[175:176], v[167:168], v[16:17]
	v_mul_f64_e32 v[16:17], v[169:170], v[16:17]
	v_fma_f64 v[177:178], v[4:5], v[10:11], v[177:178]
	v_fma_f64 v[179:180], v[2:3], v[10:11], -v[12:13]
	ds_load_b128 v[2:5], v1 offset:1344
	scratch_load_b128 v[10:13], off, off offset:592
	v_add_f64_e32 v[171:172], v[171:172], v[42:43]
	v_add_f64_e32 v[173:174], v[173:174], v[44:45]
	ds_load_b128 v[42:45], v1 offset:1360
	v_fma_f64 v[169:170], v[169:170], v[14:15], v[175:176]
	v_fma_f64 v[167:168], v[167:168], v[14:15], -v[16:17]
	scratch_load_b128 v[14:17], off, off offset:608
	s_wait_loadcnt_dscnt 0xa01
	v_mul_f64_e32 v[181:182], v[2:3], v[20:21]
	v_mul_f64_e32 v[20:21], v[4:5], v[20:21]
	s_wait_loadcnt_dscnt 0x900
	v_mul_f64_e32 v[175:176], v[42:43], v[24:25]
	v_mul_f64_e32 v[24:25], v[44:45], v[24:25]
	v_add_f64_e32 v[171:172], v[171:172], v[179:180]
	v_add_f64_e32 v[173:174], v[173:174], v[177:178]
	v_fma_f64 v[177:178], v[4:5], v[18:19], v[181:182]
	v_fma_f64 v[179:180], v[2:3], v[18:19], -v[20:21]
	ds_load_b128 v[2:5], v1 offset:1376
	scratch_load_b128 v[18:21], off, off offset:624
	v_fma_f64 v[44:45], v[44:45], v[22:23], v[175:176]
	v_fma_f64 v[42:43], v[42:43], v[22:23], -v[24:25]
	scratch_load_b128 v[22:25], off, off offset:640
	v_add_f64_e32 v[171:172], v[171:172], v[167:168]
	v_add_f64_e32 v[173:174], v[173:174], v[169:170]
	ds_load_b128 v[167:170], v1 offset:1392
	s_wait_loadcnt_dscnt 0xa01
	v_mul_f64_e32 v[181:182], v[2:3], v[28:29]
	v_mul_f64_e32 v[28:29], v[4:5], v[28:29]
	s_wait_loadcnt_dscnt 0x900
	v_mul_f64_e32 v[175:176], v[167:168], v[32:33]
	v_mul_f64_e32 v[32:33], v[169:170], v[32:33]
	v_add_f64_e32 v[171:172], v[171:172], v[179:180]
	v_add_f64_e32 v[173:174], v[173:174], v[177:178]
	v_fma_f64 v[177:178], v[4:5], v[26:27], v[181:182]
	v_fma_f64 v[179:180], v[2:3], v[26:27], -v[28:29]
	ds_load_b128 v[2:5], v1 offset:1408
	scratch_load_b128 v[26:29], off, off offset:656
	v_fma_f64 v[169:170], v[169:170], v[30:31], v[175:176]
	v_fma_f64 v[167:168], v[167:168], v[30:31], -v[32:33]
	scratch_load_b128 v[30:33], off, off offset:672
	v_add_f64_e32 v[171:172], v[171:172], v[42:43]
	v_add_f64_e32 v[173:174], v[173:174], v[44:45]
	ds_load_b128 v[42:45], v1 offset:1424
	s_wait_loadcnt_dscnt 0xa01
	v_mul_f64_e32 v[181:182], v[2:3], v[36:37]
	v_mul_f64_e32 v[36:37], v[4:5], v[36:37]
	s_wait_loadcnt_dscnt 0x800
	v_mul_f64_e32 v[175:176], v[42:43], v[165:166]
	v_add_f64_e32 v[171:172], v[171:172], v[179:180]
	v_add_f64_e32 v[173:174], v[173:174], v[177:178]
	v_mul_f64_e32 v[177:178], v[44:45], v[165:166]
	v_fma_f64 v[179:180], v[4:5], v[34:35], v[181:182]
	v_fma_f64 v[181:182], v[2:3], v[34:35], -v[36:37]
	ds_load_b128 v[2:5], v1 offset:1440
	scratch_load_b128 v[34:37], off, off offset:688
	v_fma_f64 v[44:45], v[44:45], v[163:164], v[175:176]
	v_add_f64_e32 v[171:172], v[171:172], v[167:168]
	v_add_f64_e32 v[169:170], v[173:174], v[169:170]
	ds_load_b128 v[165:168], v1 offset:1456
	v_fma_f64 v[163:164], v[42:43], v[163:164], -v[177:178]
	s_wait_loadcnt_dscnt 0x801
	v_mul_f64_e32 v[173:174], v[2:3], v[40:41]
	v_mul_f64_e32 v[183:184], v[4:5], v[40:41]
	scratch_load_b128 v[40:43], off, off offset:704
	s_wait_loadcnt_dscnt 0x800
	v_mul_f64_e32 v[177:178], v[165:166], v[8:9]
	v_mul_f64_e32 v[8:9], v[167:168], v[8:9]
	v_add_f64_e32 v[171:172], v[171:172], v[181:182]
	v_add_f64_e32 v[169:170], v[169:170], v[179:180]
	v_fma_f64 v[179:180], v[4:5], v[38:39], v[173:174]
	v_fma_f64 v[38:39], v[2:3], v[38:39], -v[183:184]
	ds_load_b128 v[2:5], v1 offset:1472
	ds_load_b128 v[173:176], v1 offset:1488
	v_fma_f64 v[167:168], v[167:168], v[6:7], v[177:178]
	v_fma_f64 v[165:166], v[165:166], v[6:7], -v[8:9]
	scratch_load_b128 v[6:9], off, off offset:736
	v_add_f64_e32 v[163:164], v[171:172], v[163:164]
	v_add_f64_e32 v[44:45], v[169:170], v[44:45]
	scratch_load_b128 v[169:172], off, off offset:720
	s_wait_loadcnt_dscnt 0x901
	v_mul_f64_e32 v[181:182], v[2:3], v[12:13]
	v_mul_f64_e32 v[12:13], v[4:5], v[12:13]
	s_wait_loadcnt_dscnt 0x800
	v_mul_f64_e32 v[177:178], v[173:174], v[16:17]
	v_mul_f64_e32 v[16:17], v[175:176], v[16:17]
	v_add_f64_e32 v[38:39], v[163:164], v[38:39]
	v_add_f64_e32 v[44:45], v[44:45], v[179:180]
	v_fma_f64 v[179:180], v[4:5], v[10:11], v[181:182]
	v_fma_f64 v[181:182], v[2:3], v[10:11], -v[12:13]
	ds_load_b128 v[2:5], v1 offset:1504
	scratch_load_b128 v[10:13], off, off offset:752
	v_fma_f64 v[175:176], v[175:176], v[14:15], v[177:178]
	v_fma_f64 v[173:174], v[173:174], v[14:15], -v[16:17]
	scratch_load_b128 v[14:17], off, off offset:768
	v_add_f64_e32 v[38:39], v[38:39], v[165:166]
	v_add_f64_e32 v[44:45], v[44:45], v[167:168]
	ds_load_b128 v[163:166], v1 offset:1520
	s_wait_loadcnt_dscnt 0x901
	v_mul_f64_e32 v[167:168], v[2:3], v[20:21]
	v_mul_f64_e32 v[20:21], v[4:5], v[20:21]
	s_wait_loadcnt_dscnt 0x800
	v_mul_f64_e32 v[177:178], v[163:164], v[24:25]
	v_mul_f64_e32 v[24:25], v[165:166], v[24:25]
	v_add_f64_e32 v[38:39], v[38:39], v[181:182]
	v_add_f64_e32 v[44:45], v[44:45], v[179:180]
	v_fma_f64 v[167:168], v[4:5], v[18:19], v[167:168]
	v_fma_f64 v[179:180], v[2:3], v[18:19], -v[20:21]
	ds_load_b128 v[2:5], v1 offset:1536
	scratch_load_b128 v[18:21], off, off offset:784
	v_fma_f64 v[165:166], v[165:166], v[22:23], v[177:178]
	v_fma_f64 v[163:164], v[163:164], v[22:23], -v[24:25]
	scratch_load_b128 v[22:25], off, off offset:800
	v_add_f64_e32 v[38:39], v[38:39], v[173:174]
	v_add_f64_e32 v[44:45], v[44:45], v[175:176]
	ds_load_b128 v[173:176], v1 offset:1552
	s_wait_loadcnt_dscnt 0x901
	v_mul_f64_e32 v[181:182], v[2:3], v[28:29]
	v_mul_f64_e32 v[28:29], v[4:5], v[28:29]
	v_add_f64_e32 v[38:39], v[38:39], v[179:180]
	v_add_f64_e32 v[44:45], v[44:45], v[167:168]
	s_wait_loadcnt_dscnt 0x800
	v_mul_f64_e32 v[167:168], v[173:174], v[32:33]
	v_mul_f64_e32 v[32:33], v[175:176], v[32:33]
	v_fma_f64 v[177:178], v[4:5], v[26:27], v[181:182]
	v_fma_f64 v[179:180], v[2:3], v[26:27], -v[28:29]
	ds_load_b128 v[2:5], v1 offset:1568
	scratch_load_b128 v[26:29], off, off offset:816
	v_add_f64_e32 v[38:39], v[38:39], v[163:164]
	v_add_f64_e32 v[44:45], v[44:45], v[165:166]
	ds_load_b128 v[163:166], v1 offset:1584
	s_wait_loadcnt_dscnt 0x801
	v_mul_f64_e32 v[181:182], v[2:3], v[36:37]
	v_mul_f64_e32 v[36:37], v[4:5], v[36:37]
	v_fma_f64 v[167:168], v[175:176], v[30:31], v[167:168]
	v_fma_f64 v[173:174], v[173:174], v[30:31], -v[32:33]
	scratch_load_b128 v[30:33], off, off offset:832
	s_wait_loadcnt_dscnt 0x800
	v_mul_f64_e32 v[175:176], v[163:164], v[42:43]
	v_add_f64_e32 v[38:39], v[38:39], v[179:180]
	v_add_f64_e32 v[44:45], v[44:45], v[177:178]
	v_mul_f64_e32 v[177:178], v[165:166], v[42:43]
	v_fma_f64 v[179:180], v[4:5], v[34:35], v[181:182]
	v_fma_f64 v[181:182], v[2:3], v[34:35], -v[36:37]
	ds_load_b128 v[2:5], v1 offset:1600
	scratch_load_b128 v[34:37], off, off offset:848
	v_fma_f64 v[165:166], v[165:166], v[40:41], v[175:176]
	v_add_f64_e32 v[38:39], v[38:39], v[173:174]
	v_add_f64_e32 v[167:168], v[44:45], v[167:168]
	ds_load_b128 v[42:45], v1 offset:1616
	v_fma_f64 v[163:164], v[163:164], v[40:41], -v[177:178]
	s_wait_loadcnt_dscnt 0x701
	v_mul_f64_e32 v[173:174], v[2:3], v[171:172]
	v_mul_f64_e32 v[171:172], v[4:5], v[171:172]
	s_wait_dscnt 0x0
	v_mul_f64_e32 v[177:178], v[42:43], v[8:9]
	v_mul_f64_e32 v[8:9], v[44:45], v[8:9]
	v_add_f64_e32 v[175:176], v[38:39], v[181:182]
	v_add_f64_e32 v[167:168], v[167:168], v[179:180]
	scratch_load_b128 v[38:41], off, off offset:864
	v_fma_f64 v[173:174], v[4:5], v[169:170], v[173:174]
	v_fma_f64 v[171:172], v[2:3], v[169:170], -v[171:172]
	ds_load_b128 v[2:5], v1 offset:1632
	v_fma_f64 v[44:45], v[44:45], v[6:7], v[177:178]
	v_fma_f64 v[42:43], v[42:43], v[6:7], -v[8:9]
	scratch_load_b128 v[6:9], off, off offset:896
	v_add_f64_e32 v[175:176], v[175:176], v[163:164]
	v_add_f64_e32 v[179:180], v[167:168], v[165:166]
	scratch_load_b128 v[163:166], off, off offset:880
	ds_load_b128 v[167:170], v1 offset:1648
	s_wait_loadcnt_dscnt 0x901
	v_mul_f64_e32 v[181:182], v[2:3], v[12:13]
	v_mul_f64_e32 v[12:13], v[4:5], v[12:13]
	v_add_f64_e32 v[171:172], v[175:176], v[171:172]
	v_add_f64_e32 v[173:174], v[179:180], v[173:174]
	s_wait_loadcnt_dscnt 0x800
	v_mul_f64_e32 v[175:176], v[167:168], v[16:17]
	v_mul_f64_e32 v[16:17], v[169:170], v[16:17]
	v_fma_f64 v[177:178], v[4:5], v[10:11], v[181:182]
	v_fma_f64 v[179:180], v[2:3], v[10:11], -v[12:13]
	ds_load_b128 v[2:5], v1 offset:1664
	ds_load_b128 v[10:13], v1 offset:1680
	v_add_f64_e32 v[42:43], v[171:172], v[42:43]
	v_add_f64_e32 v[44:45], v[173:174], v[44:45]
	s_wait_loadcnt_dscnt 0x701
	v_mul_f64_e32 v[171:172], v[2:3], v[20:21]
	v_mul_f64_e32 v[20:21], v[4:5], v[20:21]
	v_fma_f64 v[169:170], v[169:170], v[14:15], v[175:176]
	v_fma_f64 v[14:15], v[167:168], v[14:15], -v[16:17]
	v_add_f64_e32 v[16:17], v[42:43], v[179:180]
	v_add_f64_e32 v[42:43], v[44:45], v[177:178]
	s_wait_loadcnt_dscnt 0x600
	v_mul_f64_e32 v[44:45], v[10:11], v[24:25]
	v_mul_f64_e32 v[24:25], v[12:13], v[24:25]
	v_fma_f64 v[167:168], v[4:5], v[18:19], v[171:172]
	v_fma_f64 v[18:19], v[2:3], v[18:19], -v[20:21]
	v_add_f64_e32 v[20:21], v[16:17], v[14:15]
	v_add_f64_e32 v[42:43], v[42:43], v[169:170]
	ds_load_b128 v[2:5], v1 offset:1696
	ds_load_b128 v[14:17], v1 offset:1712
	v_fma_f64 v[12:13], v[12:13], v[22:23], v[44:45]
	v_fma_f64 v[10:11], v[10:11], v[22:23], -v[24:25]
	s_wait_loadcnt_dscnt 0x501
	v_mul_f64_e32 v[169:170], v[2:3], v[28:29]
	v_mul_f64_e32 v[28:29], v[4:5], v[28:29]
	s_wait_loadcnt_dscnt 0x400
	v_mul_f64_e32 v[22:23], v[14:15], v[32:33]
	v_mul_f64_e32 v[24:25], v[16:17], v[32:33]
	v_add_f64_e32 v[18:19], v[20:21], v[18:19]
	v_add_f64_e32 v[20:21], v[42:43], v[167:168]
	v_fma_f64 v[32:33], v[4:5], v[26:27], v[169:170]
	v_fma_f64 v[26:27], v[2:3], v[26:27], -v[28:29]
	v_fma_f64 v[16:17], v[16:17], v[30:31], v[22:23]
	v_fma_f64 v[14:15], v[14:15], v[30:31], -v[24:25]
	v_add_f64_e32 v[18:19], v[18:19], v[10:11]
	v_add_f64_e32 v[20:21], v[20:21], v[12:13]
	ds_load_b128 v[2:5], v1 offset:1728
	ds_load_b128 v[10:13], v1 offset:1744
	s_wait_loadcnt_dscnt 0x301
	v_mul_f64_e32 v[28:29], v[2:3], v[36:37]
	v_mul_f64_e32 v[36:37], v[4:5], v[36:37]
	v_add_f64_e32 v[18:19], v[18:19], v[26:27]
	v_add_f64_e32 v[20:21], v[20:21], v[32:33]
	s_wait_loadcnt_dscnt 0x200
	v_mul_f64_e32 v[22:23], v[10:11], v[40:41]
	v_mul_f64_e32 v[24:25], v[12:13], v[40:41]
	v_fma_f64 v[26:27], v[4:5], v[34:35], v[28:29]
	v_fma_f64 v[28:29], v[2:3], v[34:35], -v[36:37]
	v_add_f64_e32 v[18:19], v[18:19], v[14:15]
	v_add_f64_e32 v[20:21], v[20:21], v[16:17]
	ds_load_b128 v[2:5], v1 offset:1760
	ds_load_b128 v[14:17], v1 offset:1776
	v_fma_f64 v[12:13], v[12:13], v[38:39], v[22:23]
	v_fma_f64 v[10:11], v[10:11], v[38:39], -v[24:25]
	s_wait_loadcnt_dscnt 0x1
	v_mul_f64_e32 v[30:31], v[2:3], v[165:166]
	v_mul_f64_e32 v[32:33], v[4:5], v[165:166]
	s_wait_dscnt 0x0
	v_mul_f64_e32 v[22:23], v[14:15], v[8:9]
	v_mul_f64_e32 v[8:9], v[16:17], v[8:9]
	v_add_f64_e32 v[18:19], v[18:19], v[28:29]
	v_add_f64_e32 v[20:21], v[20:21], v[26:27]
	v_fma_f64 v[4:5], v[4:5], v[163:164], v[30:31]
	v_fma_f64 v[1:2], v[2:3], v[163:164], -v[32:33]
	v_fma_f64 v[16:17], v[16:17], v[6:7], v[22:23]
	v_fma_f64 v[6:7], v[14:15], v[6:7], -v[8:9]
	v_add_f64_e32 v[10:11], v[18:19], v[10:11]
	v_add_f64_e32 v[12:13], v[20:21], v[12:13]
	s_delay_alu instid0(VALU_DEP_2) | instskip(NEXT) | instid1(VALU_DEP_2)
	v_add_f64_e32 v[1:2], v[10:11], v[1:2]
	v_add_f64_e32 v[3:4], v[12:13], v[4:5]
	s_delay_alu instid0(VALU_DEP_2) | instskip(NEXT) | instid1(VALU_DEP_2)
	v_add_f64_e32 v[1:2], v[1:2], v[6:7]
	v_add_f64_e32 v[3:4], v[3:4], v[16:17]
	s_delay_alu instid0(VALU_DEP_2) | instskip(NEXT) | instid1(VALU_DEP_2)
	v_add_f64_e64 v[1:2], v[159:160], -v[1:2]
	v_add_f64_e64 v[3:4], v[161:162], -v[3:4]
	scratch_store_b128 off, v[1:4], off offset:384
	v_cmpx_lt_u32_e32 22, v0
	s_cbranch_execz .LBB119_305
; %bb.304:
	scratch_load_b128 v[1:4], off, s47
	v_mov_b32_e32 v5, 0
	s_delay_alu instid0(VALU_DEP_1)
	v_dual_mov_b32 v6, v5 :: v_dual_mov_b32 v7, v5
	v_mov_b32_e32 v8, v5
	scratch_store_b128 off, v[5:8], off offset:368
	s_wait_loadcnt 0x0
	ds_store_b128 v158, v[1:4]
.LBB119_305:
	s_wait_alu 0xfffe
	s_or_b32 exec_lo, exec_lo, s0
	s_wait_storecnt_dscnt 0x0
	s_barrier_signal -1
	s_barrier_wait -1
	global_inv scope:SCOPE_SE
	s_clause 0x7
	scratch_load_b128 v[2:5], off, off offset:384
	scratch_load_b128 v[6:9], off, off offset:400
	;; [unrolled: 1-line block ×8, first 2 shown]
	v_mov_b32_e32 v1, 0
	s_mov_b32 s0, exec_lo
	ds_load_b128 v[34:37], v1 offset:1264
	s_clause 0x1
	scratch_load_b128 v[38:41], off, off offset:512
	scratch_load_b128 v[42:45], off, off offset:368
	ds_load_b128 v[159:162], v1 offset:1280
	scratch_load_b128 v[163:166], off, off offset:528
	s_wait_loadcnt_dscnt 0xa01
	v_mul_f64_e32 v[167:168], v[36:37], v[4:5]
	v_mul_f64_e32 v[4:5], v[34:35], v[4:5]
	s_delay_alu instid0(VALU_DEP_2) | instskip(NEXT) | instid1(VALU_DEP_2)
	v_fma_f64 v[173:174], v[34:35], v[2:3], -v[167:168]
	v_fma_f64 v[175:176], v[36:37], v[2:3], v[4:5]
	ds_load_b128 v[2:5], v1 offset:1296
	s_wait_loadcnt_dscnt 0x901
	v_mul_f64_e32 v[171:172], v[159:160], v[8:9]
	v_mul_f64_e32 v[8:9], v[161:162], v[8:9]
	scratch_load_b128 v[34:37], off, off offset:544
	ds_load_b128 v[167:170], v1 offset:1312
	s_wait_loadcnt_dscnt 0x901
	v_mul_f64_e32 v[177:178], v[2:3], v[12:13]
	v_mul_f64_e32 v[12:13], v[4:5], v[12:13]
	v_fma_f64 v[161:162], v[161:162], v[6:7], v[171:172]
	v_fma_f64 v[159:160], v[159:160], v[6:7], -v[8:9]
	v_add_f64_e32 v[171:172], 0, v[173:174]
	v_add_f64_e32 v[173:174], 0, v[175:176]
	scratch_load_b128 v[6:9], off, off offset:560
	v_fma_f64 v[177:178], v[4:5], v[10:11], v[177:178]
	v_fma_f64 v[179:180], v[2:3], v[10:11], -v[12:13]
	ds_load_b128 v[2:5], v1 offset:1328
	s_wait_loadcnt_dscnt 0x901
	v_mul_f64_e32 v[175:176], v[167:168], v[16:17]
	v_mul_f64_e32 v[16:17], v[169:170], v[16:17]
	scratch_load_b128 v[10:13], off, off offset:576
	v_add_f64_e32 v[171:172], v[171:172], v[159:160]
	v_add_f64_e32 v[173:174], v[173:174], v[161:162]
	s_wait_loadcnt_dscnt 0x900
	v_mul_f64_e32 v[181:182], v[2:3], v[20:21]
	v_mul_f64_e32 v[20:21], v[4:5], v[20:21]
	ds_load_b128 v[159:162], v1 offset:1344
	v_fma_f64 v[169:170], v[169:170], v[14:15], v[175:176]
	v_fma_f64 v[167:168], v[167:168], v[14:15], -v[16:17]
	scratch_load_b128 v[14:17], off, off offset:592
	v_add_f64_e32 v[171:172], v[171:172], v[179:180]
	v_add_f64_e32 v[173:174], v[173:174], v[177:178]
	v_fma_f64 v[177:178], v[4:5], v[18:19], v[181:182]
	v_fma_f64 v[179:180], v[2:3], v[18:19], -v[20:21]
	ds_load_b128 v[2:5], v1 offset:1360
	s_wait_loadcnt_dscnt 0x901
	v_mul_f64_e32 v[175:176], v[159:160], v[24:25]
	v_mul_f64_e32 v[24:25], v[161:162], v[24:25]
	scratch_load_b128 v[18:21], off, off offset:608
	s_wait_loadcnt_dscnt 0x900
	v_mul_f64_e32 v[181:182], v[2:3], v[28:29]
	v_mul_f64_e32 v[28:29], v[4:5], v[28:29]
	v_add_f64_e32 v[171:172], v[171:172], v[167:168]
	v_add_f64_e32 v[173:174], v[173:174], v[169:170]
	ds_load_b128 v[167:170], v1 offset:1376
	v_fma_f64 v[161:162], v[161:162], v[22:23], v[175:176]
	v_fma_f64 v[159:160], v[159:160], v[22:23], -v[24:25]
	scratch_load_b128 v[22:25], off, off offset:624
	v_add_f64_e32 v[171:172], v[171:172], v[179:180]
	v_add_f64_e32 v[173:174], v[173:174], v[177:178]
	v_fma_f64 v[177:178], v[4:5], v[26:27], v[181:182]
	v_fma_f64 v[179:180], v[2:3], v[26:27], -v[28:29]
	ds_load_b128 v[2:5], v1 offset:1392
	s_wait_loadcnt_dscnt 0x901
	v_mul_f64_e32 v[175:176], v[167:168], v[32:33]
	v_mul_f64_e32 v[32:33], v[169:170], v[32:33]
	scratch_load_b128 v[26:29], off, off offset:640
	s_wait_loadcnt_dscnt 0x900
	v_mul_f64_e32 v[181:182], v[2:3], v[40:41]
	v_mul_f64_e32 v[40:41], v[4:5], v[40:41]
	v_add_f64_e32 v[171:172], v[171:172], v[159:160]
	v_add_f64_e32 v[173:174], v[173:174], v[161:162]
	ds_load_b128 v[159:162], v1 offset:1408
	v_fma_f64 v[169:170], v[169:170], v[30:31], v[175:176]
	v_fma_f64 v[167:168], v[167:168], v[30:31], -v[32:33]
	scratch_load_b128 v[30:33], off, off offset:656
	v_add_f64_e32 v[171:172], v[171:172], v[179:180]
	v_add_f64_e32 v[173:174], v[173:174], v[177:178]
	v_fma_f64 v[179:180], v[4:5], v[38:39], v[181:182]
	v_fma_f64 v[181:182], v[2:3], v[38:39], -v[40:41]
	ds_load_b128 v[2:5], v1 offset:1424
	s_wait_loadcnt_dscnt 0x801
	v_mul_f64_e32 v[175:176], v[159:160], v[165:166]
	v_mul_f64_e32 v[177:178], v[161:162], v[165:166]
	scratch_load_b128 v[38:41], off, off offset:672
	v_add_f64_e32 v[171:172], v[171:172], v[167:168]
	v_add_f64_e32 v[169:170], v[173:174], v[169:170]
	ds_load_b128 v[165:168], v1 offset:1440
	v_fma_f64 v[175:176], v[161:162], v[163:164], v[175:176]
	v_fma_f64 v[163:164], v[159:160], v[163:164], -v[177:178]
	scratch_load_b128 v[159:162], off, off offset:688
	s_wait_loadcnt_dscnt 0x901
	v_mul_f64_e32 v[173:174], v[2:3], v[36:37]
	v_mul_f64_e32 v[36:37], v[4:5], v[36:37]
	v_add_f64_e32 v[171:172], v[171:172], v[181:182]
	v_add_f64_e32 v[169:170], v[169:170], v[179:180]
	s_delay_alu instid0(VALU_DEP_4) | instskip(NEXT) | instid1(VALU_DEP_4)
	v_fma_f64 v[173:174], v[4:5], v[34:35], v[173:174]
	v_fma_f64 v[179:180], v[2:3], v[34:35], -v[36:37]
	ds_load_b128 v[2:5], v1 offset:1456
	s_wait_loadcnt_dscnt 0x801
	v_mul_f64_e32 v[177:178], v[165:166], v[8:9]
	v_mul_f64_e32 v[8:9], v[167:168], v[8:9]
	scratch_load_b128 v[34:37], off, off offset:704
	s_wait_loadcnt_dscnt 0x800
	v_mul_f64_e32 v[181:182], v[2:3], v[12:13]
	v_add_f64_e32 v[163:164], v[171:172], v[163:164]
	v_add_f64_e32 v[175:176], v[169:170], v[175:176]
	v_mul_f64_e32 v[12:13], v[4:5], v[12:13]
	ds_load_b128 v[169:172], v1 offset:1472
	v_fma_f64 v[167:168], v[167:168], v[6:7], v[177:178]
	v_fma_f64 v[165:166], v[165:166], v[6:7], -v[8:9]
	scratch_load_b128 v[6:9], off, off offset:720
	v_fma_f64 v[177:178], v[4:5], v[10:11], v[181:182]
	v_add_f64_e32 v[163:164], v[163:164], v[179:180]
	v_add_f64_e32 v[173:174], v[175:176], v[173:174]
	v_fma_f64 v[179:180], v[2:3], v[10:11], -v[12:13]
	ds_load_b128 v[2:5], v1 offset:1488
	s_wait_loadcnt_dscnt 0x801
	v_mul_f64_e32 v[175:176], v[169:170], v[16:17]
	v_mul_f64_e32 v[16:17], v[171:172], v[16:17]
	scratch_load_b128 v[10:13], off, off offset:736
	v_add_f64_e32 v[181:182], v[163:164], v[165:166]
	v_add_f64_e32 v[167:168], v[173:174], v[167:168]
	s_wait_loadcnt_dscnt 0x800
	v_mul_f64_e32 v[173:174], v[2:3], v[20:21]
	v_mul_f64_e32 v[20:21], v[4:5], v[20:21]
	v_fma_f64 v[171:172], v[171:172], v[14:15], v[175:176]
	v_fma_f64 v[169:170], v[169:170], v[14:15], -v[16:17]
	ds_load_b128 v[163:166], v1 offset:1504
	scratch_load_b128 v[14:17], off, off offset:752
	v_add_f64_e32 v[175:176], v[181:182], v[179:180]
	v_add_f64_e32 v[167:168], v[167:168], v[177:178]
	v_fma_f64 v[173:174], v[4:5], v[18:19], v[173:174]
	v_fma_f64 v[179:180], v[2:3], v[18:19], -v[20:21]
	ds_load_b128 v[2:5], v1 offset:1520
	s_wait_loadcnt_dscnt 0x801
	v_mul_f64_e32 v[177:178], v[163:164], v[24:25]
	v_mul_f64_e32 v[24:25], v[165:166], v[24:25]
	scratch_load_b128 v[18:21], off, off offset:768
	s_wait_loadcnt_dscnt 0x800
	v_mul_f64_e32 v[181:182], v[2:3], v[28:29]
	v_mul_f64_e32 v[28:29], v[4:5], v[28:29]
	v_add_f64_e32 v[175:176], v[175:176], v[169:170]
	v_add_f64_e32 v[171:172], v[167:168], v[171:172]
	ds_load_b128 v[167:170], v1 offset:1536
	v_fma_f64 v[165:166], v[165:166], v[22:23], v[177:178]
	v_fma_f64 v[163:164], v[163:164], v[22:23], -v[24:25]
	scratch_load_b128 v[22:25], off, off offset:784
	v_fma_f64 v[177:178], v[4:5], v[26:27], v[181:182]
	v_add_f64_e32 v[175:176], v[175:176], v[179:180]
	v_add_f64_e32 v[171:172], v[171:172], v[173:174]
	v_fma_f64 v[179:180], v[2:3], v[26:27], -v[28:29]
	ds_load_b128 v[2:5], v1 offset:1552
	s_wait_loadcnt_dscnt 0x801
	v_mul_f64_e32 v[173:174], v[167:168], v[32:33]
	v_mul_f64_e32 v[32:33], v[169:170], v[32:33]
	scratch_load_b128 v[26:29], off, off offset:800
	s_wait_loadcnt_dscnt 0x800
	v_mul_f64_e32 v[181:182], v[2:3], v[40:41]
	v_mul_f64_e32 v[40:41], v[4:5], v[40:41]
	v_add_f64_e32 v[175:176], v[175:176], v[163:164]
	v_add_f64_e32 v[171:172], v[171:172], v[165:166]
	ds_load_b128 v[163:166], v1 offset:1568
	v_fma_f64 v[169:170], v[169:170], v[30:31], v[173:174]
	v_fma_f64 v[167:168], v[167:168], v[30:31], -v[32:33]
	scratch_load_b128 v[30:33], off, off offset:816
	v_add_f64_e32 v[173:174], v[175:176], v[179:180]
	v_add_f64_e32 v[171:172], v[171:172], v[177:178]
	v_fma_f64 v[177:178], v[4:5], v[38:39], v[181:182]
	v_fma_f64 v[179:180], v[2:3], v[38:39], -v[40:41]
	ds_load_b128 v[2:5], v1 offset:1584
	s_wait_loadcnt_dscnt 0x801
	v_mul_f64_e32 v[175:176], v[163:164], v[161:162]
	v_mul_f64_e32 v[161:162], v[165:166], v[161:162]
	scratch_load_b128 v[38:41], off, off offset:832
	s_wait_loadcnt_dscnt 0x800
	v_mul_f64_e32 v[181:182], v[2:3], v[36:37]
	v_mul_f64_e32 v[36:37], v[4:5], v[36:37]
	v_add_f64_e32 v[173:174], v[173:174], v[167:168]
	v_add_f64_e32 v[171:172], v[171:172], v[169:170]
	ds_load_b128 v[167:170], v1 offset:1600
	v_fma_f64 v[165:166], v[165:166], v[159:160], v[175:176]
	v_fma_f64 v[163:164], v[163:164], v[159:160], -v[161:162]
	scratch_load_b128 v[159:162], off, off offset:848
	v_add_f64_e32 v[173:174], v[173:174], v[179:180]
	v_add_f64_e32 v[171:172], v[171:172], v[177:178]
	v_fma_f64 v[177:178], v[4:5], v[34:35], v[181:182]
	;; [unrolled: 18-line block ×3, first 2 shown]
	v_fma_f64 v[179:180], v[2:3], v[10:11], -v[12:13]
	ds_load_b128 v[2:5], v1 offset:1648
	s_wait_loadcnt_dscnt 0x801
	v_mul_f64_e32 v[175:176], v[163:164], v[16:17]
	v_mul_f64_e32 v[16:17], v[165:166], v[16:17]
	scratch_load_b128 v[10:13], off, off offset:896
	s_wait_loadcnt_dscnt 0x800
	v_mul_f64_e32 v[181:182], v[2:3], v[20:21]
	v_mul_f64_e32 v[20:21], v[4:5], v[20:21]
	v_add_f64_e32 v[173:174], v[173:174], v[167:168]
	v_add_f64_e32 v[171:172], v[171:172], v[169:170]
	ds_load_b128 v[167:170], v1 offset:1664
	v_fma_f64 v[165:166], v[165:166], v[14:15], v[175:176]
	v_fma_f64 v[14:15], v[163:164], v[14:15], -v[16:17]
	v_add_f64_e32 v[16:17], v[173:174], v[179:180]
	v_add_f64_e32 v[163:164], v[171:172], v[177:178]
	s_wait_loadcnt_dscnt 0x700
	v_mul_f64_e32 v[171:172], v[167:168], v[24:25]
	v_mul_f64_e32 v[24:25], v[169:170], v[24:25]
	v_fma_f64 v[173:174], v[4:5], v[18:19], v[181:182]
	v_fma_f64 v[18:19], v[2:3], v[18:19], -v[20:21]
	v_add_f64_e32 v[20:21], v[16:17], v[14:15]
	v_add_f64_e32 v[163:164], v[163:164], v[165:166]
	ds_load_b128 v[2:5], v1 offset:1680
	ds_load_b128 v[14:17], v1 offset:1696
	v_fma_f64 v[169:170], v[169:170], v[22:23], v[171:172]
	v_fma_f64 v[22:23], v[167:168], v[22:23], -v[24:25]
	s_wait_loadcnt_dscnt 0x601
	v_mul_f64_e32 v[165:166], v[2:3], v[28:29]
	v_mul_f64_e32 v[28:29], v[4:5], v[28:29]
	s_wait_loadcnt_dscnt 0x500
	v_mul_f64_e32 v[24:25], v[14:15], v[32:33]
	v_mul_f64_e32 v[32:33], v[16:17], v[32:33]
	v_add_f64_e32 v[18:19], v[20:21], v[18:19]
	v_add_f64_e32 v[20:21], v[163:164], v[173:174]
	v_fma_f64 v[163:164], v[4:5], v[26:27], v[165:166]
	v_fma_f64 v[26:27], v[2:3], v[26:27], -v[28:29]
	v_fma_f64 v[16:17], v[16:17], v[30:31], v[24:25]
	v_fma_f64 v[14:15], v[14:15], v[30:31], -v[32:33]
	v_add_f64_e32 v[22:23], v[18:19], v[22:23]
	v_add_f64_e32 v[28:29], v[20:21], v[169:170]
	ds_load_b128 v[2:5], v1 offset:1712
	ds_load_b128 v[18:21], v1 offset:1728
	s_wait_loadcnt_dscnt 0x401
	v_mul_f64_e32 v[165:166], v[2:3], v[40:41]
	v_mul_f64_e32 v[40:41], v[4:5], v[40:41]
	v_add_f64_e32 v[22:23], v[22:23], v[26:27]
	v_add_f64_e32 v[24:25], v[28:29], v[163:164]
	s_wait_loadcnt_dscnt 0x300
	v_mul_f64_e32 v[26:27], v[18:19], v[161:162]
	v_mul_f64_e32 v[28:29], v[20:21], v[161:162]
	v_fma_f64 v[30:31], v[4:5], v[38:39], v[165:166]
	v_fma_f64 v[32:33], v[2:3], v[38:39], -v[40:41]
	v_add_f64_e32 v[22:23], v[22:23], v[14:15]
	v_add_f64_e32 v[24:25], v[24:25], v[16:17]
	ds_load_b128 v[2:5], v1 offset:1744
	ds_load_b128 v[14:17], v1 offset:1760
	v_fma_f64 v[20:21], v[20:21], v[159:160], v[26:27]
	v_fma_f64 v[18:19], v[18:19], v[159:160], -v[28:29]
	s_wait_loadcnt_dscnt 0x201
	v_mul_f64_e32 v[38:39], v[2:3], v[36:37]
	v_mul_f64_e32 v[36:37], v[4:5], v[36:37]
	s_wait_loadcnt_dscnt 0x100
	v_mul_f64_e32 v[26:27], v[14:15], v[8:9]
	v_mul_f64_e32 v[8:9], v[16:17], v[8:9]
	v_add_f64_e32 v[22:23], v[22:23], v[32:33]
	v_add_f64_e32 v[24:25], v[24:25], v[30:31]
	v_fma_f64 v[28:29], v[4:5], v[34:35], v[38:39]
	v_fma_f64 v[30:31], v[2:3], v[34:35], -v[36:37]
	ds_load_b128 v[2:5], v1 offset:1776
	v_fma_f64 v[16:17], v[16:17], v[6:7], v[26:27]
	v_fma_f64 v[6:7], v[14:15], v[6:7], -v[8:9]
	v_add_f64_e32 v[18:19], v[22:23], v[18:19]
	v_add_f64_e32 v[20:21], v[24:25], v[20:21]
	s_wait_loadcnt_dscnt 0x0
	v_mul_f64_e32 v[22:23], v[2:3], v[12:13]
	v_mul_f64_e32 v[12:13], v[4:5], v[12:13]
	s_delay_alu instid0(VALU_DEP_4) | instskip(NEXT) | instid1(VALU_DEP_4)
	v_add_f64_e32 v[8:9], v[18:19], v[30:31]
	v_add_f64_e32 v[14:15], v[20:21], v[28:29]
	s_delay_alu instid0(VALU_DEP_4) | instskip(NEXT) | instid1(VALU_DEP_4)
	v_fma_f64 v[4:5], v[4:5], v[10:11], v[22:23]
	v_fma_f64 v[2:3], v[2:3], v[10:11], -v[12:13]
	s_delay_alu instid0(VALU_DEP_4) | instskip(NEXT) | instid1(VALU_DEP_4)
	v_add_f64_e32 v[6:7], v[8:9], v[6:7]
	v_add_f64_e32 v[8:9], v[14:15], v[16:17]
	s_delay_alu instid0(VALU_DEP_2) | instskip(NEXT) | instid1(VALU_DEP_2)
	v_add_f64_e32 v[2:3], v[6:7], v[2:3]
	v_add_f64_e32 v[4:5], v[8:9], v[4:5]
	s_delay_alu instid0(VALU_DEP_2) | instskip(NEXT) | instid1(VALU_DEP_2)
	v_add_f64_e64 v[2:3], v[42:43], -v[2:3]
	v_add_f64_e64 v[4:5], v[44:45], -v[4:5]
	scratch_store_b128 off, v[2:5], off offset:368
	v_cmpx_lt_u32_e32 21, v0
	s_cbranch_execz .LBB119_307
; %bb.306:
	scratch_load_b128 v[5:8], off, s48
	v_dual_mov_b32 v2, v1 :: v_dual_mov_b32 v3, v1
	v_mov_b32_e32 v4, v1
	scratch_store_b128 off, v[1:4], off offset:352
	s_wait_loadcnt 0x0
	ds_store_b128 v158, v[5:8]
.LBB119_307:
	s_wait_alu 0xfffe
	s_or_b32 exec_lo, exec_lo, s0
	s_wait_storecnt_dscnt 0x0
	s_barrier_signal -1
	s_barrier_wait -1
	global_inv scope:SCOPE_SE
	s_clause 0x8
	scratch_load_b128 v[2:5], off, off offset:368
	scratch_load_b128 v[6:9], off, off offset:384
	;; [unrolled: 1-line block ×9, first 2 shown]
	ds_load_b128 v[38:41], v1 offset:1248
	ds_load_b128 v[42:45], v1 offset:1264
	s_clause 0x1
	scratch_load_b128 v[159:162], off, off offset:352
	scratch_load_b128 v[163:166], off, off offset:512
	s_mov_b32 s0, exec_lo
	s_wait_loadcnt_dscnt 0xa01
	v_mul_f64_e32 v[167:168], v[40:41], v[4:5]
	v_mul_f64_e32 v[4:5], v[38:39], v[4:5]
	s_wait_loadcnt_dscnt 0x900
	v_mul_f64_e32 v[171:172], v[42:43], v[8:9]
	v_mul_f64_e32 v[8:9], v[44:45], v[8:9]
	s_delay_alu instid0(VALU_DEP_4) | instskip(NEXT) | instid1(VALU_DEP_4)
	v_fma_f64 v[173:174], v[38:39], v[2:3], -v[167:168]
	v_fma_f64 v[175:176], v[40:41], v[2:3], v[4:5]
	ds_load_b128 v[2:5], v1 offset:1280
	ds_load_b128 v[167:170], v1 offset:1296
	scratch_load_b128 v[38:41], off, off offset:528
	v_fma_f64 v[44:45], v[44:45], v[6:7], v[171:172]
	v_fma_f64 v[42:43], v[42:43], v[6:7], -v[8:9]
	scratch_load_b128 v[6:9], off, off offset:544
	s_wait_loadcnt_dscnt 0xa01
	v_mul_f64_e32 v[177:178], v[2:3], v[12:13]
	v_mul_f64_e32 v[12:13], v[4:5], v[12:13]
	v_add_f64_e32 v[171:172], 0, v[173:174]
	v_add_f64_e32 v[173:174], 0, v[175:176]
	s_wait_loadcnt_dscnt 0x900
	v_mul_f64_e32 v[175:176], v[167:168], v[16:17]
	v_mul_f64_e32 v[16:17], v[169:170], v[16:17]
	v_fma_f64 v[177:178], v[4:5], v[10:11], v[177:178]
	v_fma_f64 v[179:180], v[2:3], v[10:11], -v[12:13]
	ds_load_b128 v[2:5], v1 offset:1312
	scratch_load_b128 v[10:13], off, off offset:560
	v_add_f64_e32 v[171:172], v[171:172], v[42:43]
	v_add_f64_e32 v[173:174], v[173:174], v[44:45]
	ds_load_b128 v[42:45], v1 offset:1328
	v_fma_f64 v[169:170], v[169:170], v[14:15], v[175:176]
	v_fma_f64 v[167:168], v[167:168], v[14:15], -v[16:17]
	scratch_load_b128 v[14:17], off, off offset:576
	s_wait_loadcnt_dscnt 0xa01
	v_mul_f64_e32 v[181:182], v[2:3], v[20:21]
	v_mul_f64_e32 v[20:21], v[4:5], v[20:21]
	s_wait_loadcnt_dscnt 0x900
	v_mul_f64_e32 v[175:176], v[42:43], v[24:25]
	v_mul_f64_e32 v[24:25], v[44:45], v[24:25]
	v_add_f64_e32 v[171:172], v[171:172], v[179:180]
	v_add_f64_e32 v[173:174], v[173:174], v[177:178]
	v_fma_f64 v[177:178], v[4:5], v[18:19], v[181:182]
	v_fma_f64 v[179:180], v[2:3], v[18:19], -v[20:21]
	ds_load_b128 v[2:5], v1 offset:1344
	scratch_load_b128 v[18:21], off, off offset:592
	v_fma_f64 v[44:45], v[44:45], v[22:23], v[175:176]
	v_fma_f64 v[42:43], v[42:43], v[22:23], -v[24:25]
	scratch_load_b128 v[22:25], off, off offset:608
	v_add_f64_e32 v[171:172], v[171:172], v[167:168]
	v_add_f64_e32 v[173:174], v[173:174], v[169:170]
	ds_load_b128 v[167:170], v1 offset:1360
	s_wait_loadcnt_dscnt 0xa01
	v_mul_f64_e32 v[181:182], v[2:3], v[28:29]
	v_mul_f64_e32 v[28:29], v[4:5], v[28:29]
	s_wait_loadcnt_dscnt 0x900
	v_mul_f64_e32 v[175:176], v[167:168], v[32:33]
	v_mul_f64_e32 v[32:33], v[169:170], v[32:33]
	v_add_f64_e32 v[171:172], v[171:172], v[179:180]
	v_add_f64_e32 v[173:174], v[173:174], v[177:178]
	v_fma_f64 v[177:178], v[4:5], v[26:27], v[181:182]
	v_fma_f64 v[179:180], v[2:3], v[26:27], -v[28:29]
	ds_load_b128 v[2:5], v1 offset:1376
	scratch_load_b128 v[26:29], off, off offset:624
	v_fma_f64 v[169:170], v[169:170], v[30:31], v[175:176]
	v_fma_f64 v[167:168], v[167:168], v[30:31], -v[32:33]
	scratch_load_b128 v[30:33], off, off offset:640
	v_add_f64_e32 v[171:172], v[171:172], v[42:43]
	v_add_f64_e32 v[173:174], v[173:174], v[44:45]
	ds_load_b128 v[42:45], v1 offset:1392
	s_wait_loadcnt_dscnt 0xa01
	v_mul_f64_e32 v[181:182], v[2:3], v[36:37]
	v_mul_f64_e32 v[36:37], v[4:5], v[36:37]
	s_wait_loadcnt_dscnt 0x800
	v_mul_f64_e32 v[175:176], v[42:43], v[165:166]
	v_add_f64_e32 v[171:172], v[171:172], v[179:180]
	v_add_f64_e32 v[173:174], v[173:174], v[177:178]
	v_mul_f64_e32 v[177:178], v[44:45], v[165:166]
	v_fma_f64 v[179:180], v[4:5], v[34:35], v[181:182]
	v_fma_f64 v[181:182], v[2:3], v[34:35], -v[36:37]
	ds_load_b128 v[2:5], v1 offset:1408
	scratch_load_b128 v[34:37], off, off offset:656
	v_fma_f64 v[44:45], v[44:45], v[163:164], v[175:176]
	v_add_f64_e32 v[171:172], v[171:172], v[167:168]
	v_add_f64_e32 v[169:170], v[173:174], v[169:170]
	ds_load_b128 v[165:168], v1 offset:1424
	v_fma_f64 v[163:164], v[42:43], v[163:164], -v[177:178]
	s_wait_loadcnt_dscnt 0x801
	v_mul_f64_e32 v[173:174], v[2:3], v[40:41]
	v_mul_f64_e32 v[183:184], v[4:5], v[40:41]
	scratch_load_b128 v[40:43], off, off offset:672
	s_wait_loadcnt_dscnt 0x800
	v_mul_f64_e32 v[177:178], v[165:166], v[8:9]
	v_mul_f64_e32 v[8:9], v[167:168], v[8:9]
	v_add_f64_e32 v[171:172], v[171:172], v[181:182]
	v_add_f64_e32 v[169:170], v[169:170], v[179:180]
	v_fma_f64 v[179:180], v[4:5], v[38:39], v[173:174]
	v_fma_f64 v[38:39], v[2:3], v[38:39], -v[183:184]
	ds_load_b128 v[2:5], v1 offset:1440
	ds_load_b128 v[173:176], v1 offset:1456
	v_fma_f64 v[167:168], v[167:168], v[6:7], v[177:178]
	v_fma_f64 v[165:166], v[165:166], v[6:7], -v[8:9]
	scratch_load_b128 v[6:9], off, off offset:704
	v_add_f64_e32 v[163:164], v[171:172], v[163:164]
	v_add_f64_e32 v[44:45], v[169:170], v[44:45]
	scratch_load_b128 v[169:172], off, off offset:688
	s_wait_loadcnt_dscnt 0x901
	v_mul_f64_e32 v[181:182], v[2:3], v[12:13]
	v_mul_f64_e32 v[12:13], v[4:5], v[12:13]
	s_wait_loadcnt_dscnt 0x800
	v_mul_f64_e32 v[177:178], v[173:174], v[16:17]
	v_mul_f64_e32 v[16:17], v[175:176], v[16:17]
	v_add_f64_e32 v[38:39], v[163:164], v[38:39]
	v_add_f64_e32 v[44:45], v[44:45], v[179:180]
	v_fma_f64 v[179:180], v[4:5], v[10:11], v[181:182]
	v_fma_f64 v[181:182], v[2:3], v[10:11], -v[12:13]
	ds_load_b128 v[2:5], v1 offset:1472
	scratch_load_b128 v[10:13], off, off offset:720
	v_fma_f64 v[175:176], v[175:176], v[14:15], v[177:178]
	v_fma_f64 v[173:174], v[173:174], v[14:15], -v[16:17]
	scratch_load_b128 v[14:17], off, off offset:736
	v_add_f64_e32 v[38:39], v[38:39], v[165:166]
	v_add_f64_e32 v[44:45], v[44:45], v[167:168]
	ds_load_b128 v[163:166], v1 offset:1488
	s_wait_loadcnt_dscnt 0x901
	v_mul_f64_e32 v[167:168], v[2:3], v[20:21]
	v_mul_f64_e32 v[20:21], v[4:5], v[20:21]
	s_wait_loadcnt_dscnt 0x800
	v_mul_f64_e32 v[177:178], v[163:164], v[24:25]
	v_mul_f64_e32 v[24:25], v[165:166], v[24:25]
	v_add_f64_e32 v[38:39], v[38:39], v[181:182]
	v_add_f64_e32 v[44:45], v[44:45], v[179:180]
	v_fma_f64 v[167:168], v[4:5], v[18:19], v[167:168]
	v_fma_f64 v[179:180], v[2:3], v[18:19], -v[20:21]
	ds_load_b128 v[2:5], v1 offset:1504
	scratch_load_b128 v[18:21], off, off offset:752
	v_fma_f64 v[165:166], v[165:166], v[22:23], v[177:178]
	v_fma_f64 v[163:164], v[163:164], v[22:23], -v[24:25]
	scratch_load_b128 v[22:25], off, off offset:768
	v_add_f64_e32 v[38:39], v[38:39], v[173:174]
	v_add_f64_e32 v[44:45], v[44:45], v[175:176]
	ds_load_b128 v[173:176], v1 offset:1520
	s_wait_loadcnt_dscnt 0x901
	v_mul_f64_e32 v[181:182], v[2:3], v[28:29]
	v_mul_f64_e32 v[28:29], v[4:5], v[28:29]
	v_add_f64_e32 v[38:39], v[38:39], v[179:180]
	v_add_f64_e32 v[44:45], v[44:45], v[167:168]
	s_wait_loadcnt_dscnt 0x800
	v_mul_f64_e32 v[167:168], v[173:174], v[32:33]
	v_mul_f64_e32 v[32:33], v[175:176], v[32:33]
	v_fma_f64 v[177:178], v[4:5], v[26:27], v[181:182]
	v_fma_f64 v[179:180], v[2:3], v[26:27], -v[28:29]
	ds_load_b128 v[2:5], v1 offset:1536
	scratch_load_b128 v[26:29], off, off offset:784
	v_add_f64_e32 v[38:39], v[38:39], v[163:164]
	v_add_f64_e32 v[44:45], v[44:45], v[165:166]
	ds_load_b128 v[163:166], v1 offset:1552
	s_wait_loadcnt_dscnt 0x801
	v_mul_f64_e32 v[181:182], v[2:3], v[36:37]
	v_mul_f64_e32 v[36:37], v[4:5], v[36:37]
	v_fma_f64 v[167:168], v[175:176], v[30:31], v[167:168]
	v_fma_f64 v[173:174], v[173:174], v[30:31], -v[32:33]
	scratch_load_b128 v[30:33], off, off offset:800
	s_wait_loadcnt_dscnt 0x800
	v_mul_f64_e32 v[175:176], v[163:164], v[42:43]
	v_add_f64_e32 v[38:39], v[38:39], v[179:180]
	v_add_f64_e32 v[44:45], v[44:45], v[177:178]
	v_mul_f64_e32 v[177:178], v[165:166], v[42:43]
	v_fma_f64 v[179:180], v[4:5], v[34:35], v[181:182]
	v_fma_f64 v[181:182], v[2:3], v[34:35], -v[36:37]
	ds_load_b128 v[2:5], v1 offset:1568
	scratch_load_b128 v[34:37], off, off offset:816
	v_fma_f64 v[165:166], v[165:166], v[40:41], v[175:176]
	v_add_f64_e32 v[38:39], v[38:39], v[173:174]
	v_add_f64_e32 v[167:168], v[44:45], v[167:168]
	ds_load_b128 v[42:45], v1 offset:1584
	v_fma_f64 v[163:164], v[163:164], v[40:41], -v[177:178]
	s_wait_loadcnt_dscnt 0x701
	v_mul_f64_e32 v[173:174], v[2:3], v[171:172]
	v_mul_f64_e32 v[171:172], v[4:5], v[171:172]
	s_wait_dscnt 0x0
	v_mul_f64_e32 v[177:178], v[42:43], v[8:9]
	v_mul_f64_e32 v[8:9], v[44:45], v[8:9]
	v_add_f64_e32 v[175:176], v[38:39], v[181:182]
	v_add_f64_e32 v[167:168], v[167:168], v[179:180]
	scratch_load_b128 v[38:41], off, off offset:832
	v_fma_f64 v[173:174], v[4:5], v[169:170], v[173:174]
	v_fma_f64 v[171:172], v[2:3], v[169:170], -v[171:172]
	ds_load_b128 v[2:5], v1 offset:1600
	v_fma_f64 v[44:45], v[44:45], v[6:7], v[177:178]
	v_fma_f64 v[42:43], v[42:43], v[6:7], -v[8:9]
	scratch_load_b128 v[6:9], off, off offset:864
	v_add_f64_e32 v[175:176], v[175:176], v[163:164]
	v_add_f64_e32 v[179:180], v[167:168], v[165:166]
	scratch_load_b128 v[163:166], off, off offset:848
	ds_load_b128 v[167:170], v1 offset:1616
	s_wait_loadcnt_dscnt 0x901
	v_mul_f64_e32 v[181:182], v[2:3], v[12:13]
	v_mul_f64_e32 v[12:13], v[4:5], v[12:13]
	v_add_f64_e32 v[171:172], v[175:176], v[171:172]
	v_add_f64_e32 v[173:174], v[179:180], v[173:174]
	s_wait_loadcnt_dscnt 0x800
	v_mul_f64_e32 v[175:176], v[167:168], v[16:17]
	v_mul_f64_e32 v[16:17], v[169:170], v[16:17]
	v_fma_f64 v[177:178], v[4:5], v[10:11], v[181:182]
	v_fma_f64 v[179:180], v[2:3], v[10:11], -v[12:13]
	ds_load_b128 v[2:5], v1 offset:1632
	scratch_load_b128 v[10:13], off, off offset:880
	v_add_f64_e32 v[171:172], v[171:172], v[42:43]
	v_add_f64_e32 v[173:174], v[173:174], v[44:45]
	ds_load_b128 v[42:45], v1 offset:1648
	s_wait_loadcnt_dscnt 0x801
	v_mul_f64_e32 v[181:182], v[2:3], v[20:21]
	v_mul_f64_e32 v[20:21], v[4:5], v[20:21]
	v_fma_f64 v[169:170], v[169:170], v[14:15], v[175:176]
	v_fma_f64 v[167:168], v[167:168], v[14:15], -v[16:17]
	scratch_load_b128 v[14:17], off, off offset:896
	s_wait_loadcnt_dscnt 0x800
	v_mul_f64_e32 v[175:176], v[42:43], v[24:25]
	v_mul_f64_e32 v[24:25], v[44:45], v[24:25]
	v_add_f64_e32 v[171:172], v[171:172], v[179:180]
	v_add_f64_e32 v[173:174], v[173:174], v[177:178]
	v_fma_f64 v[177:178], v[4:5], v[18:19], v[181:182]
	v_fma_f64 v[179:180], v[2:3], v[18:19], -v[20:21]
	ds_load_b128 v[2:5], v1 offset:1664
	ds_load_b128 v[18:21], v1 offset:1680
	v_fma_f64 v[44:45], v[44:45], v[22:23], v[175:176]
	v_fma_f64 v[22:23], v[42:43], v[22:23], -v[24:25]
	v_add_f64_e32 v[167:168], v[171:172], v[167:168]
	v_add_f64_e32 v[169:170], v[173:174], v[169:170]
	s_wait_loadcnt_dscnt 0x701
	v_mul_f64_e32 v[171:172], v[2:3], v[28:29]
	v_mul_f64_e32 v[28:29], v[4:5], v[28:29]
	s_delay_alu instid0(VALU_DEP_4) | instskip(NEXT) | instid1(VALU_DEP_4)
	v_add_f64_e32 v[24:25], v[167:168], v[179:180]
	v_add_f64_e32 v[42:43], v[169:170], v[177:178]
	s_wait_loadcnt_dscnt 0x600
	v_mul_f64_e32 v[167:168], v[18:19], v[32:33]
	v_mul_f64_e32 v[32:33], v[20:21], v[32:33]
	v_fma_f64 v[169:170], v[4:5], v[26:27], v[171:172]
	v_fma_f64 v[26:27], v[2:3], v[26:27], -v[28:29]
	v_add_f64_e32 v[28:29], v[24:25], v[22:23]
	v_add_f64_e32 v[42:43], v[42:43], v[44:45]
	ds_load_b128 v[2:5], v1 offset:1696
	ds_load_b128 v[22:25], v1 offset:1712
	v_fma_f64 v[20:21], v[20:21], v[30:31], v[167:168]
	v_fma_f64 v[18:19], v[18:19], v[30:31], -v[32:33]
	s_wait_loadcnt_dscnt 0x501
	v_mul_f64_e32 v[44:45], v[2:3], v[36:37]
	v_mul_f64_e32 v[36:37], v[4:5], v[36:37]
	v_add_f64_e32 v[26:27], v[28:29], v[26:27]
	v_add_f64_e32 v[28:29], v[42:43], v[169:170]
	s_wait_loadcnt_dscnt 0x400
	v_mul_f64_e32 v[30:31], v[22:23], v[40:41]
	v_mul_f64_e32 v[32:33], v[24:25], v[40:41]
	v_fma_f64 v[40:41], v[4:5], v[34:35], v[44:45]
	v_fma_f64 v[34:35], v[2:3], v[34:35], -v[36:37]
	v_add_f64_e32 v[26:27], v[26:27], v[18:19]
	v_add_f64_e32 v[28:29], v[28:29], v[20:21]
	ds_load_b128 v[2:5], v1 offset:1728
	ds_load_b128 v[18:21], v1 offset:1744
	v_fma_f64 v[24:25], v[24:25], v[38:39], v[30:31]
	v_fma_f64 v[22:23], v[22:23], v[38:39], -v[32:33]
	s_wait_loadcnt_dscnt 0x201
	v_mul_f64_e32 v[36:37], v[2:3], v[165:166]
	v_mul_f64_e32 v[42:43], v[4:5], v[165:166]
	s_wait_dscnt 0x0
	v_mul_f64_e32 v[30:31], v[18:19], v[8:9]
	v_mul_f64_e32 v[8:9], v[20:21], v[8:9]
	v_add_f64_e32 v[26:27], v[26:27], v[34:35]
	v_add_f64_e32 v[28:29], v[28:29], v[40:41]
	v_fma_f64 v[32:33], v[4:5], v[163:164], v[36:37]
	v_fma_f64 v[34:35], v[2:3], v[163:164], -v[42:43]
	v_fma_f64 v[20:21], v[20:21], v[6:7], v[30:31]
	v_fma_f64 v[6:7], v[18:19], v[6:7], -v[8:9]
	v_add_f64_e32 v[26:27], v[26:27], v[22:23]
	v_add_f64_e32 v[28:29], v[28:29], v[24:25]
	ds_load_b128 v[2:5], v1 offset:1760
	ds_load_b128 v[22:25], v1 offset:1776
	s_wait_loadcnt_dscnt 0x101
	v_mul_f64_e32 v[36:37], v[2:3], v[12:13]
	v_mul_f64_e32 v[12:13], v[4:5], v[12:13]
	v_add_f64_e32 v[8:9], v[26:27], v[34:35]
	v_add_f64_e32 v[18:19], v[28:29], v[32:33]
	s_wait_loadcnt_dscnt 0x0
	v_mul_f64_e32 v[26:27], v[22:23], v[16:17]
	v_mul_f64_e32 v[16:17], v[24:25], v[16:17]
	v_fma_f64 v[4:5], v[4:5], v[10:11], v[36:37]
	v_fma_f64 v[1:2], v[2:3], v[10:11], -v[12:13]
	v_add_f64_e32 v[6:7], v[8:9], v[6:7]
	v_add_f64_e32 v[8:9], v[18:19], v[20:21]
	v_fma_f64 v[10:11], v[24:25], v[14:15], v[26:27]
	v_fma_f64 v[12:13], v[22:23], v[14:15], -v[16:17]
	s_delay_alu instid0(VALU_DEP_4) | instskip(NEXT) | instid1(VALU_DEP_4)
	v_add_f64_e32 v[1:2], v[6:7], v[1:2]
	v_add_f64_e32 v[3:4], v[8:9], v[4:5]
	s_delay_alu instid0(VALU_DEP_2) | instskip(NEXT) | instid1(VALU_DEP_2)
	v_add_f64_e32 v[1:2], v[1:2], v[12:13]
	v_add_f64_e32 v[3:4], v[3:4], v[10:11]
	s_delay_alu instid0(VALU_DEP_2) | instskip(NEXT) | instid1(VALU_DEP_2)
	v_add_f64_e64 v[1:2], v[159:160], -v[1:2]
	v_add_f64_e64 v[3:4], v[161:162], -v[3:4]
	scratch_store_b128 off, v[1:4], off offset:352
	v_cmpx_lt_u32_e32 20, v0
	s_cbranch_execz .LBB119_309
; %bb.308:
	scratch_load_b128 v[1:4], off, s49
	v_mov_b32_e32 v5, 0
	s_delay_alu instid0(VALU_DEP_1)
	v_dual_mov_b32 v6, v5 :: v_dual_mov_b32 v7, v5
	v_mov_b32_e32 v8, v5
	scratch_store_b128 off, v[5:8], off offset:336
	s_wait_loadcnt 0x0
	ds_store_b128 v158, v[1:4]
.LBB119_309:
	s_wait_alu 0xfffe
	s_or_b32 exec_lo, exec_lo, s0
	s_wait_storecnt_dscnt 0x0
	s_barrier_signal -1
	s_barrier_wait -1
	global_inv scope:SCOPE_SE
	s_clause 0x7
	scratch_load_b128 v[2:5], off, off offset:352
	scratch_load_b128 v[6:9], off, off offset:368
	;; [unrolled: 1-line block ×8, first 2 shown]
	v_mov_b32_e32 v1, 0
	s_mov_b32 s0, exec_lo
	ds_load_b128 v[38:41], v1 offset:1232
	s_clause 0x1
	scratch_load_b128 v[34:37], off, off offset:480
	scratch_load_b128 v[42:45], off, off offset:336
	ds_load_b128 v[159:162], v1 offset:1248
	scratch_load_b128 v[163:166], off, off offset:496
	s_wait_loadcnt_dscnt 0xa01
	v_mul_f64_e32 v[167:168], v[40:41], v[4:5]
	v_mul_f64_e32 v[4:5], v[38:39], v[4:5]
	s_delay_alu instid0(VALU_DEP_2) | instskip(NEXT) | instid1(VALU_DEP_2)
	v_fma_f64 v[173:174], v[38:39], v[2:3], -v[167:168]
	v_fma_f64 v[175:176], v[40:41], v[2:3], v[4:5]
	ds_load_b128 v[2:5], v1 offset:1264
	s_wait_loadcnt_dscnt 0x901
	v_mul_f64_e32 v[171:172], v[159:160], v[8:9]
	v_mul_f64_e32 v[8:9], v[161:162], v[8:9]
	scratch_load_b128 v[38:41], off, off offset:512
	ds_load_b128 v[167:170], v1 offset:1280
	s_wait_loadcnt_dscnt 0x901
	v_mul_f64_e32 v[177:178], v[2:3], v[12:13]
	v_mul_f64_e32 v[12:13], v[4:5], v[12:13]
	v_fma_f64 v[161:162], v[161:162], v[6:7], v[171:172]
	v_fma_f64 v[159:160], v[159:160], v[6:7], -v[8:9]
	v_add_f64_e32 v[171:172], 0, v[173:174]
	v_add_f64_e32 v[173:174], 0, v[175:176]
	scratch_load_b128 v[6:9], off, off offset:528
	v_fma_f64 v[177:178], v[4:5], v[10:11], v[177:178]
	v_fma_f64 v[179:180], v[2:3], v[10:11], -v[12:13]
	ds_load_b128 v[2:5], v1 offset:1296
	s_wait_loadcnt_dscnt 0x901
	v_mul_f64_e32 v[175:176], v[167:168], v[16:17]
	v_mul_f64_e32 v[16:17], v[169:170], v[16:17]
	scratch_load_b128 v[10:13], off, off offset:544
	v_add_f64_e32 v[171:172], v[171:172], v[159:160]
	v_add_f64_e32 v[173:174], v[173:174], v[161:162]
	s_wait_loadcnt_dscnt 0x900
	v_mul_f64_e32 v[181:182], v[2:3], v[20:21]
	v_mul_f64_e32 v[20:21], v[4:5], v[20:21]
	ds_load_b128 v[159:162], v1 offset:1312
	v_fma_f64 v[169:170], v[169:170], v[14:15], v[175:176]
	v_fma_f64 v[167:168], v[167:168], v[14:15], -v[16:17]
	scratch_load_b128 v[14:17], off, off offset:560
	v_add_f64_e32 v[171:172], v[171:172], v[179:180]
	v_add_f64_e32 v[173:174], v[173:174], v[177:178]
	v_fma_f64 v[177:178], v[4:5], v[18:19], v[181:182]
	v_fma_f64 v[179:180], v[2:3], v[18:19], -v[20:21]
	ds_load_b128 v[2:5], v1 offset:1328
	s_wait_loadcnt_dscnt 0x901
	v_mul_f64_e32 v[175:176], v[159:160], v[24:25]
	v_mul_f64_e32 v[24:25], v[161:162], v[24:25]
	scratch_load_b128 v[18:21], off, off offset:576
	s_wait_loadcnt_dscnt 0x900
	v_mul_f64_e32 v[181:182], v[2:3], v[28:29]
	v_mul_f64_e32 v[28:29], v[4:5], v[28:29]
	v_add_f64_e32 v[171:172], v[171:172], v[167:168]
	v_add_f64_e32 v[173:174], v[173:174], v[169:170]
	ds_load_b128 v[167:170], v1 offset:1344
	v_fma_f64 v[161:162], v[161:162], v[22:23], v[175:176]
	v_fma_f64 v[159:160], v[159:160], v[22:23], -v[24:25]
	scratch_load_b128 v[22:25], off, off offset:592
	v_add_f64_e32 v[171:172], v[171:172], v[179:180]
	v_add_f64_e32 v[173:174], v[173:174], v[177:178]
	v_fma_f64 v[177:178], v[4:5], v[26:27], v[181:182]
	v_fma_f64 v[179:180], v[2:3], v[26:27], -v[28:29]
	ds_load_b128 v[2:5], v1 offset:1360
	s_wait_loadcnt_dscnt 0x901
	v_mul_f64_e32 v[175:176], v[167:168], v[32:33]
	v_mul_f64_e32 v[32:33], v[169:170], v[32:33]
	scratch_load_b128 v[26:29], off, off offset:608
	s_wait_loadcnt_dscnt 0x900
	v_mul_f64_e32 v[181:182], v[2:3], v[36:37]
	v_mul_f64_e32 v[36:37], v[4:5], v[36:37]
	v_add_f64_e32 v[171:172], v[171:172], v[159:160]
	v_add_f64_e32 v[173:174], v[173:174], v[161:162]
	ds_load_b128 v[159:162], v1 offset:1376
	v_fma_f64 v[169:170], v[169:170], v[30:31], v[175:176]
	v_fma_f64 v[167:168], v[167:168], v[30:31], -v[32:33]
	scratch_load_b128 v[30:33], off, off offset:624
	v_add_f64_e32 v[171:172], v[171:172], v[179:180]
	v_add_f64_e32 v[173:174], v[173:174], v[177:178]
	v_fma_f64 v[179:180], v[4:5], v[34:35], v[181:182]
	v_fma_f64 v[181:182], v[2:3], v[34:35], -v[36:37]
	ds_load_b128 v[2:5], v1 offset:1392
	s_wait_loadcnt_dscnt 0x801
	v_mul_f64_e32 v[175:176], v[159:160], v[165:166]
	v_mul_f64_e32 v[177:178], v[161:162], v[165:166]
	scratch_load_b128 v[34:37], off, off offset:640
	v_add_f64_e32 v[171:172], v[171:172], v[167:168]
	v_add_f64_e32 v[169:170], v[173:174], v[169:170]
	ds_load_b128 v[165:168], v1 offset:1408
	v_fma_f64 v[175:176], v[161:162], v[163:164], v[175:176]
	v_fma_f64 v[163:164], v[159:160], v[163:164], -v[177:178]
	scratch_load_b128 v[159:162], off, off offset:656
	s_wait_loadcnt_dscnt 0x901
	v_mul_f64_e32 v[173:174], v[2:3], v[40:41]
	v_mul_f64_e32 v[40:41], v[4:5], v[40:41]
	v_add_f64_e32 v[171:172], v[171:172], v[181:182]
	v_add_f64_e32 v[169:170], v[169:170], v[179:180]
	s_delay_alu instid0(VALU_DEP_4) | instskip(NEXT) | instid1(VALU_DEP_4)
	v_fma_f64 v[173:174], v[4:5], v[38:39], v[173:174]
	v_fma_f64 v[179:180], v[2:3], v[38:39], -v[40:41]
	ds_load_b128 v[2:5], v1 offset:1424
	s_wait_loadcnt_dscnt 0x801
	v_mul_f64_e32 v[177:178], v[165:166], v[8:9]
	v_mul_f64_e32 v[8:9], v[167:168], v[8:9]
	scratch_load_b128 v[38:41], off, off offset:672
	s_wait_loadcnt_dscnt 0x800
	v_mul_f64_e32 v[181:182], v[2:3], v[12:13]
	v_add_f64_e32 v[163:164], v[171:172], v[163:164]
	v_add_f64_e32 v[175:176], v[169:170], v[175:176]
	v_mul_f64_e32 v[12:13], v[4:5], v[12:13]
	ds_load_b128 v[169:172], v1 offset:1440
	v_fma_f64 v[167:168], v[167:168], v[6:7], v[177:178]
	v_fma_f64 v[165:166], v[165:166], v[6:7], -v[8:9]
	scratch_load_b128 v[6:9], off, off offset:688
	v_fma_f64 v[177:178], v[4:5], v[10:11], v[181:182]
	v_add_f64_e32 v[163:164], v[163:164], v[179:180]
	v_add_f64_e32 v[173:174], v[175:176], v[173:174]
	v_fma_f64 v[179:180], v[2:3], v[10:11], -v[12:13]
	ds_load_b128 v[2:5], v1 offset:1456
	s_wait_loadcnt_dscnt 0x801
	v_mul_f64_e32 v[175:176], v[169:170], v[16:17]
	v_mul_f64_e32 v[16:17], v[171:172], v[16:17]
	scratch_load_b128 v[10:13], off, off offset:704
	v_add_f64_e32 v[181:182], v[163:164], v[165:166]
	v_add_f64_e32 v[167:168], v[173:174], v[167:168]
	s_wait_loadcnt_dscnt 0x800
	v_mul_f64_e32 v[173:174], v[2:3], v[20:21]
	v_mul_f64_e32 v[20:21], v[4:5], v[20:21]
	v_fma_f64 v[171:172], v[171:172], v[14:15], v[175:176]
	v_fma_f64 v[169:170], v[169:170], v[14:15], -v[16:17]
	ds_load_b128 v[163:166], v1 offset:1472
	scratch_load_b128 v[14:17], off, off offset:720
	v_add_f64_e32 v[175:176], v[181:182], v[179:180]
	v_add_f64_e32 v[167:168], v[167:168], v[177:178]
	v_fma_f64 v[173:174], v[4:5], v[18:19], v[173:174]
	v_fma_f64 v[179:180], v[2:3], v[18:19], -v[20:21]
	ds_load_b128 v[2:5], v1 offset:1488
	s_wait_loadcnt_dscnt 0x801
	v_mul_f64_e32 v[177:178], v[163:164], v[24:25]
	v_mul_f64_e32 v[24:25], v[165:166], v[24:25]
	scratch_load_b128 v[18:21], off, off offset:736
	s_wait_loadcnt_dscnt 0x800
	v_mul_f64_e32 v[181:182], v[2:3], v[28:29]
	v_mul_f64_e32 v[28:29], v[4:5], v[28:29]
	v_add_f64_e32 v[175:176], v[175:176], v[169:170]
	v_add_f64_e32 v[171:172], v[167:168], v[171:172]
	ds_load_b128 v[167:170], v1 offset:1504
	v_fma_f64 v[165:166], v[165:166], v[22:23], v[177:178]
	v_fma_f64 v[163:164], v[163:164], v[22:23], -v[24:25]
	scratch_load_b128 v[22:25], off, off offset:752
	v_fma_f64 v[177:178], v[4:5], v[26:27], v[181:182]
	v_add_f64_e32 v[175:176], v[175:176], v[179:180]
	v_add_f64_e32 v[171:172], v[171:172], v[173:174]
	v_fma_f64 v[179:180], v[2:3], v[26:27], -v[28:29]
	ds_load_b128 v[2:5], v1 offset:1520
	s_wait_loadcnt_dscnt 0x801
	v_mul_f64_e32 v[173:174], v[167:168], v[32:33]
	v_mul_f64_e32 v[32:33], v[169:170], v[32:33]
	scratch_load_b128 v[26:29], off, off offset:768
	s_wait_loadcnt_dscnt 0x800
	v_mul_f64_e32 v[181:182], v[2:3], v[36:37]
	v_mul_f64_e32 v[36:37], v[4:5], v[36:37]
	v_add_f64_e32 v[175:176], v[175:176], v[163:164]
	v_add_f64_e32 v[171:172], v[171:172], v[165:166]
	ds_load_b128 v[163:166], v1 offset:1536
	v_fma_f64 v[169:170], v[169:170], v[30:31], v[173:174]
	v_fma_f64 v[167:168], v[167:168], v[30:31], -v[32:33]
	scratch_load_b128 v[30:33], off, off offset:784
	v_add_f64_e32 v[173:174], v[175:176], v[179:180]
	v_add_f64_e32 v[171:172], v[171:172], v[177:178]
	v_fma_f64 v[177:178], v[4:5], v[34:35], v[181:182]
	v_fma_f64 v[179:180], v[2:3], v[34:35], -v[36:37]
	ds_load_b128 v[2:5], v1 offset:1552
	s_wait_loadcnt_dscnt 0x801
	v_mul_f64_e32 v[175:176], v[163:164], v[161:162]
	v_mul_f64_e32 v[161:162], v[165:166], v[161:162]
	scratch_load_b128 v[34:37], off, off offset:800
	s_wait_loadcnt_dscnt 0x800
	v_mul_f64_e32 v[181:182], v[2:3], v[40:41]
	v_mul_f64_e32 v[40:41], v[4:5], v[40:41]
	v_add_f64_e32 v[173:174], v[173:174], v[167:168]
	v_add_f64_e32 v[171:172], v[171:172], v[169:170]
	ds_load_b128 v[167:170], v1 offset:1568
	v_fma_f64 v[165:166], v[165:166], v[159:160], v[175:176]
	v_fma_f64 v[163:164], v[163:164], v[159:160], -v[161:162]
	scratch_load_b128 v[159:162], off, off offset:816
	v_add_f64_e32 v[173:174], v[173:174], v[179:180]
	v_add_f64_e32 v[171:172], v[171:172], v[177:178]
	v_fma_f64 v[177:178], v[4:5], v[38:39], v[181:182]
	v_fma_f64 v[179:180], v[2:3], v[38:39], -v[40:41]
	ds_load_b128 v[2:5], v1 offset:1584
	s_wait_loadcnt_dscnt 0x801
	v_mul_f64_e32 v[175:176], v[167:168], v[8:9]
	v_mul_f64_e32 v[8:9], v[169:170], v[8:9]
	scratch_load_b128 v[38:41], off, off offset:832
	s_wait_loadcnt_dscnt 0x800
	v_mul_f64_e32 v[181:182], v[2:3], v[12:13]
	v_mul_f64_e32 v[12:13], v[4:5], v[12:13]
	v_add_f64_e32 v[173:174], v[173:174], v[163:164]
	v_add_f64_e32 v[171:172], v[171:172], v[165:166]
	ds_load_b128 v[163:166], v1 offset:1600
	v_fma_f64 v[169:170], v[169:170], v[6:7], v[175:176]
	v_fma_f64 v[167:168], v[167:168], v[6:7], -v[8:9]
	scratch_load_b128 v[6:9], off, off offset:848
	v_add_f64_e32 v[173:174], v[173:174], v[179:180]
	v_add_f64_e32 v[171:172], v[171:172], v[177:178]
	v_fma_f64 v[177:178], v[4:5], v[10:11], v[181:182]
	v_fma_f64 v[179:180], v[2:3], v[10:11], -v[12:13]
	ds_load_b128 v[2:5], v1 offset:1616
	s_wait_loadcnt_dscnt 0x801
	v_mul_f64_e32 v[175:176], v[163:164], v[16:17]
	v_mul_f64_e32 v[16:17], v[165:166], v[16:17]
	scratch_load_b128 v[10:13], off, off offset:864
	s_wait_loadcnt_dscnt 0x800
	v_mul_f64_e32 v[181:182], v[2:3], v[20:21]
	v_mul_f64_e32 v[20:21], v[4:5], v[20:21]
	v_add_f64_e32 v[173:174], v[173:174], v[167:168]
	v_add_f64_e32 v[171:172], v[171:172], v[169:170]
	ds_load_b128 v[167:170], v1 offset:1632
	v_fma_f64 v[165:166], v[165:166], v[14:15], v[175:176]
	v_fma_f64 v[163:164], v[163:164], v[14:15], -v[16:17]
	scratch_load_b128 v[14:17], off, off offset:880
	v_add_f64_e32 v[173:174], v[173:174], v[179:180]
	v_add_f64_e32 v[171:172], v[171:172], v[177:178]
	v_fma_f64 v[177:178], v[4:5], v[18:19], v[181:182]
	v_fma_f64 v[179:180], v[2:3], v[18:19], -v[20:21]
	ds_load_b128 v[2:5], v1 offset:1648
	s_wait_loadcnt_dscnt 0x801
	v_mul_f64_e32 v[175:176], v[167:168], v[24:25]
	v_mul_f64_e32 v[24:25], v[169:170], v[24:25]
	scratch_load_b128 v[18:21], off, off offset:896
	s_wait_loadcnt_dscnt 0x800
	v_mul_f64_e32 v[181:182], v[2:3], v[28:29]
	v_mul_f64_e32 v[28:29], v[4:5], v[28:29]
	v_add_f64_e32 v[173:174], v[173:174], v[163:164]
	v_add_f64_e32 v[171:172], v[171:172], v[165:166]
	ds_load_b128 v[163:166], v1 offset:1664
	v_fma_f64 v[169:170], v[169:170], v[22:23], v[175:176]
	v_fma_f64 v[22:23], v[167:168], v[22:23], -v[24:25]
	v_add_f64_e32 v[24:25], v[173:174], v[179:180]
	v_add_f64_e32 v[167:168], v[171:172], v[177:178]
	s_wait_loadcnt_dscnt 0x700
	v_mul_f64_e32 v[171:172], v[163:164], v[32:33]
	v_mul_f64_e32 v[32:33], v[165:166], v[32:33]
	v_fma_f64 v[173:174], v[4:5], v[26:27], v[181:182]
	v_fma_f64 v[26:27], v[2:3], v[26:27], -v[28:29]
	v_add_f64_e32 v[28:29], v[24:25], v[22:23]
	v_add_f64_e32 v[167:168], v[167:168], v[169:170]
	ds_load_b128 v[2:5], v1 offset:1680
	ds_load_b128 v[22:25], v1 offset:1696
	v_fma_f64 v[165:166], v[165:166], v[30:31], v[171:172]
	v_fma_f64 v[30:31], v[163:164], v[30:31], -v[32:33]
	s_wait_loadcnt_dscnt 0x601
	v_mul_f64_e32 v[169:170], v[2:3], v[36:37]
	v_mul_f64_e32 v[36:37], v[4:5], v[36:37]
	s_wait_loadcnt_dscnt 0x500
	v_mul_f64_e32 v[32:33], v[22:23], v[161:162]
	v_mul_f64_e32 v[161:162], v[24:25], v[161:162]
	v_add_f64_e32 v[26:27], v[28:29], v[26:27]
	v_add_f64_e32 v[28:29], v[167:168], v[173:174]
	v_fma_f64 v[163:164], v[4:5], v[34:35], v[169:170]
	v_fma_f64 v[34:35], v[2:3], v[34:35], -v[36:37]
	v_fma_f64 v[24:25], v[24:25], v[159:160], v[32:33]
	v_fma_f64 v[22:23], v[22:23], v[159:160], -v[161:162]
	v_add_f64_e32 v[30:31], v[26:27], v[30:31]
	v_add_f64_e32 v[36:37], v[28:29], v[165:166]
	ds_load_b128 v[2:5], v1 offset:1712
	ds_load_b128 v[26:29], v1 offset:1728
	s_wait_loadcnt_dscnt 0x401
	v_mul_f64_e32 v[165:166], v[2:3], v[40:41]
	v_mul_f64_e32 v[40:41], v[4:5], v[40:41]
	v_add_f64_e32 v[30:31], v[30:31], v[34:35]
	v_add_f64_e32 v[32:33], v[36:37], v[163:164]
	s_wait_loadcnt_dscnt 0x300
	v_mul_f64_e32 v[34:35], v[26:27], v[8:9]
	v_mul_f64_e32 v[8:9], v[28:29], v[8:9]
	v_fma_f64 v[36:37], v[4:5], v[38:39], v[165:166]
	v_fma_f64 v[38:39], v[2:3], v[38:39], -v[40:41]
	v_add_f64_e32 v[30:31], v[30:31], v[22:23]
	v_add_f64_e32 v[32:33], v[32:33], v[24:25]
	ds_load_b128 v[2:5], v1 offset:1744
	ds_load_b128 v[22:25], v1 offset:1760
	v_fma_f64 v[28:29], v[28:29], v[6:7], v[34:35]
	v_fma_f64 v[6:7], v[26:27], v[6:7], -v[8:9]
	s_wait_loadcnt_dscnt 0x201
	v_mul_f64_e32 v[40:41], v[2:3], v[12:13]
	v_mul_f64_e32 v[12:13], v[4:5], v[12:13]
	v_add_f64_e32 v[8:9], v[30:31], v[38:39]
	v_add_f64_e32 v[26:27], v[32:33], v[36:37]
	s_wait_loadcnt_dscnt 0x100
	v_mul_f64_e32 v[30:31], v[22:23], v[16:17]
	v_mul_f64_e32 v[16:17], v[24:25], v[16:17]
	v_fma_f64 v[32:33], v[4:5], v[10:11], v[40:41]
	v_fma_f64 v[10:11], v[2:3], v[10:11], -v[12:13]
	ds_load_b128 v[2:5], v1 offset:1776
	v_add_f64_e32 v[6:7], v[8:9], v[6:7]
	v_add_f64_e32 v[8:9], v[26:27], v[28:29]
	v_fma_f64 v[24:25], v[24:25], v[14:15], v[30:31]
	v_fma_f64 v[14:15], v[22:23], v[14:15], -v[16:17]
	s_wait_loadcnt_dscnt 0x0
	v_mul_f64_e32 v[12:13], v[2:3], v[20:21]
	v_mul_f64_e32 v[20:21], v[4:5], v[20:21]
	v_add_f64_e32 v[6:7], v[6:7], v[10:11]
	v_add_f64_e32 v[8:9], v[8:9], v[32:33]
	s_delay_alu instid0(VALU_DEP_4) | instskip(NEXT) | instid1(VALU_DEP_4)
	v_fma_f64 v[4:5], v[4:5], v[18:19], v[12:13]
	v_fma_f64 v[2:3], v[2:3], v[18:19], -v[20:21]
	s_delay_alu instid0(VALU_DEP_4) | instskip(NEXT) | instid1(VALU_DEP_4)
	v_add_f64_e32 v[6:7], v[6:7], v[14:15]
	v_add_f64_e32 v[8:9], v[8:9], v[24:25]
	s_delay_alu instid0(VALU_DEP_2) | instskip(NEXT) | instid1(VALU_DEP_2)
	v_add_f64_e32 v[2:3], v[6:7], v[2:3]
	v_add_f64_e32 v[4:5], v[8:9], v[4:5]
	s_delay_alu instid0(VALU_DEP_2) | instskip(NEXT) | instid1(VALU_DEP_2)
	v_add_f64_e64 v[2:3], v[42:43], -v[2:3]
	v_add_f64_e64 v[4:5], v[44:45], -v[4:5]
	scratch_store_b128 off, v[2:5], off offset:336
	v_cmpx_lt_u32_e32 19, v0
	s_cbranch_execz .LBB119_311
; %bb.310:
	scratch_load_b128 v[5:8], off, s50
	v_dual_mov_b32 v2, v1 :: v_dual_mov_b32 v3, v1
	v_mov_b32_e32 v4, v1
	scratch_store_b128 off, v[1:4], off offset:320
	s_wait_loadcnt 0x0
	ds_store_b128 v158, v[5:8]
.LBB119_311:
	s_wait_alu 0xfffe
	s_or_b32 exec_lo, exec_lo, s0
	s_wait_storecnt_dscnt 0x0
	s_barrier_signal -1
	s_barrier_wait -1
	global_inv scope:SCOPE_SE
	s_clause 0x8
	scratch_load_b128 v[2:5], off, off offset:336
	scratch_load_b128 v[6:9], off, off offset:352
	;; [unrolled: 1-line block ×9, first 2 shown]
	ds_load_b128 v[38:41], v1 offset:1216
	ds_load_b128 v[42:45], v1 offset:1232
	s_clause 0x1
	scratch_load_b128 v[159:162], off, off offset:320
	scratch_load_b128 v[163:166], off, off offset:480
	s_mov_b32 s0, exec_lo
	s_wait_loadcnt_dscnt 0xa01
	v_mul_f64_e32 v[167:168], v[40:41], v[4:5]
	v_mul_f64_e32 v[4:5], v[38:39], v[4:5]
	s_wait_loadcnt_dscnt 0x900
	v_mul_f64_e32 v[171:172], v[42:43], v[8:9]
	v_mul_f64_e32 v[8:9], v[44:45], v[8:9]
	s_delay_alu instid0(VALU_DEP_4) | instskip(NEXT) | instid1(VALU_DEP_4)
	v_fma_f64 v[173:174], v[38:39], v[2:3], -v[167:168]
	v_fma_f64 v[175:176], v[40:41], v[2:3], v[4:5]
	ds_load_b128 v[2:5], v1 offset:1248
	ds_load_b128 v[167:170], v1 offset:1264
	scratch_load_b128 v[38:41], off, off offset:496
	v_fma_f64 v[44:45], v[44:45], v[6:7], v[171:172]
	v_fma_f64 v[42:43], v[42:43], v[6:7], -v[8:9]
	scratch_load_b128 v[6:9], off, off offset:512
	s_wait_loadcnt_dscnt 0xa01
	v_mul_f64_e32 v[177:178], v[2:3], v[12:13]
	v_mul_f64_e32 v[12:13], v[4:5], v[12:13]
	v_add_f64_e32 v[171:172], 0, v[173:174]
	v_add_f64_e32 v[173:174], 0, v[175:176]
	s_wait_loadcnt_dscnt 0x900
	v_mul_f64_e32 v[175:176], v[167:168], v[16:17]
	v_mul_f64_e32 v[16:17], v[169:170], v[16:17]
	v_fma_f64 v[177:178], v[4:5], v[10:11], v[177:178]
	v_fma_f64 v[179:180], v[2:3], v[10:11], -v[12:13]
	ds_load_b128 v[2:5], v1 offset:1280
	scratch_load_b128 v[10:13], off, off offset:528
	v_add_f64_e32 v[171:172], v[171:172], v[42:43]
	v_add_f64_e32 v[173:174], v[173:174], v[44:45]
	ds_load_b128 v[42:45], v1 offset:1296
	v_fma_f64 v[169:170], v[169:170], v[14:15], v[175:176]
	v_fma_f64 v[167:168], v[167:168], v[14:15], -v[16:17]
	scratch_load_b128 v[14:17], off, off offset:544
	s_wait_loadcnt_dscnt 0xa01
	v_mul_f64_e32 v[181:182], v[2:3], v[20:21]
	v_mul_f64_e32 v[20:21], v[4:5], v[20:21]
	s_wait_loadcnt_dscnt 0x900
	v_mul_f64_e32 v[175:176], v[42:43], v[24:25]
	v_mul_f64_e32 v[24:25], v[44:45], v[24:25]
	v_add_f64_e32 v[171:172], v[171:172], v[179:180]
	v_add_f64_e32 v[173:174], v[173:174], v[177:178]
	v_fma_f64 v[177:178], v[4:5], v[18:19], v[181:182]
	v_fma_f64 v[179:180], v[2:3], v[18:19], -v[20:21]
	ds_load_b128 v[2:5], v1 offset:1312
	scratch_load_b128 v[18:21], off, off offset:560
	v_fma_f64 v[44:45], v[44:45], v[22:23], v[175:176]
	v_fma_f64 v[42:43], v[42:43], v[22:23], -v[24:25]
	scratch_load_b128 v[22:25], off, off offset:576
	v_add_f64_e32 v[171:172], v[171:172], v[167:168]
	v_add_f64_e32 v[173:174], v[173:174], v[169:170]
	ds_load_b128 v[167:170], v1 offset:1328
	s_wait_loadcnt_dscnt 0xa01
	v_mul_f64_e32 v[181:182], v[2:3], v[28:29]
	v_mul_f64_e32 v[28:29], v[4:5], v[28:29]
	s_wait_loadcnt_dscnt 0x900
	v_mul_f64_e32 v[175:176], v[167:168], v[32:33]
	v_mul_f64_e32 v[32:33], v[169:170], v[32:33]
	v_add_f64_e32 v[171:172], v[171:172], v[179:180]
	v_add_f64_e32 v[173:174], v[173:174], v[177:178]
	v_fma_f64 v[177:178], v[4:5], v[26:27], v[181:182]
	v_fma_f64 v[179:180], v[2:3], v[26:27], -v[28:29]
	ds_load_b128 v[2:5], v1 offset:1344
	scratch_load_b128 v[26:29], off, off offset:592
	v_fma_f64 v[169:170], v[169:170], v[30:31], v[175:176]
	v_fma_f64 v[167:168], v[167:168], v[30:31], -v[32:33]
	scratch_load_b128 v[30:33], off, off offset:608
	v_add_f64_e32 v[171:172], v[171:172], v[42:43]
	v_add_f64_e32 v[173:174], v[173:174], v[44:45]
	ds_load_b128 v[42:45], v1 offset:1360
	s_wait_loadcnt_dscnt 0xa01
	v_mul_f64_e32 v[181:182], v[2:3], v[36:37]
	v_mul_f64_e32 v[36:37], v[4:5], v[36:37]
	s_wait_loadcnt_dscnt 0x800
	v_mul_f64_e32 v[175:176], v[42:43], v[165:166]
	v_add_f64_e32 v[171:172], v[171:172], v[179:180]
	v_add_f64_e32 v[173:174], v[173:174], v[177:178]
	v_mul_f64_e32 v[177:178], v[44:45], v[165:166]
	v_fma_f64 v[179:180], v[4:5], v[34:35], v[181:182]
	v_fma_f64 v[181:182], v[2:3], v[34:35], -v[36:37]
	ds_load_b128 v[2:5], v1 offset:1376
	scratch_load_b128 v[34:37], off, off offset:624
	v_fma_f64 v[44:45], v[44:45], v[163:164], v[175:176]
	v_add_f64_e32 v[171:172], v[171:172], v[167:168]
	v_add_f64_e32 v[169:170], v[173:174], v[169:170]
	ds_load_b128 v[165:168], v1 offset:1392
	v_fma_f64 v[163:164], v[42:43], v[163:164], -v[177:178]
	s_wait_loadcnt_dscnt 0x801
	v_mul_f64_e32 v[173:174], v[2:3], v[40:41]
	v_mul_f64_e32 v[183:184], v[4:5], v[40:41]
	scratch_load_b128 v[40:43], off, off offset:640
	s_wait_loadcnt_dscnt 0x800
	v_mul_f64_e32 v[177:178], v[165:166], v[8:9]
	v_mul_f64_e32 v[8:9], v[167:168], v[8:9]
	v_add_f64_e32 v[171:172], v[171:172], v[181:182]
	v_add_f64_e32 v[169:170], v[169:170], v[179:180]
	v_fma_f64 v[179:180], v[4:5], v[38:39], v[173:174]
	v_fma_f64 v[38:39], v[2:3], v[38:39], -v[183:184]
	ds_load_b128 v[2:5], v1 offset:1408
	ds_load_b128 v[173:176], v1 offset:1424
	v_fma_f64 v[167:168], v[167:168], v[6:7], v[177:178]
	v_fma_f64 v[165:166], v[165:166], v[6:7], -v[8:9]
	scratch_load_b128 v[6:9], off, off offset:672
	v_add_f64_e32 v[163:164], v[171:172], v[163:164]
	v_add_f64_e32 v[44:45], v[169:170], v[44:45]
	scratch_load_b128 v[169:172], off, off offset:656
	s_wait_loadcnt_dscnt 0x901
	v_mul_f64_e32 v[181:182], v[2:3], v[12:13]
	v_mul_f64_e32 v[12:13], v[4:5], v[12:13]
	s_wait_loadcnt_dscnt 0x800
	v_mul_f64_e32 v[177:178], v[173:174], v[16:17]
	v_mul_f64_e32 v[16:17], v[175:176], v[16:17]
	v_add_f64_e32 v[38:39], v[163:164], v[38:39]
	v_add_f64_e32 v[44:45], v[44:45], v[179:180]
	v_fma_f64 v[179:180], v[4:5], v[10:11], v[181:182]
	v_fma_f64 v[181:182], v[2:3], v[10:11], -v[12:13]
	ds_load_b128 v[2:5], v1 offset:1440
	scratch_load_b128 v[10:13], off, off offset:688
	v_fma_f64 v[175:176], v[175:176], v[14:15], v[177:178]
	v_fma_f64 v[173:174], v[173:174], v[14:15], -v[16:17]
	scratch_load_b128 v[14:17], off, off offset:704
	v_add_f64_e32 v[38:39], v[38:39], v[165:166]
	v_add_f64_e32 v[44:45], v[44:45], v[167:168]
	ds_load_b128 v[163:166], v1 offset:1456
	s_wait_loadcnt_dscnt 0x901
	v_mul_f64_e32 v[167:168], v[2:3], v[20:21]
	v_mul_f64_e32 v[20:21], v[4:5], v[20:21]
	s_wait_loadcnt_dscnt 0x800
	v_mul_f64_e32 v[177:178], v[163:164], v[24:25]
	v_mul_f64_e32 v[24:25], v[165:166], v[24:25]
	v_add_f64_e32 v[38:39], v[38:39], v[181:182]
	v_add_f64_e32 v[44:45], v[44:45], v[179:180]
	v_fma_f64 v[167:168], v[4:5], v[18:19], v[167:168]
	v_fma_f64 v[179:180], v[2:3], v[18:19], -v[20:21]
	ds_load_b128 v[2:5], v1 offset:1472
	scratch_load_b128 v[18:21], off, off offset:720
	v_fma_f64 v[165:166], v[165:166], v[22:23], v[177:178]
	v_fma_f64 v[163:164], v[163:164], v[22:23], -v[24:25]
	scratch_load_b128 v[22:25], off, off offset:736
	v_add_f64_e32 v[38:39], v[38:39], v[173:174]
	v_add_f64_e32 v[44:45], v[44:45], v[175:176]
	ds_load_b128 v[173:176], v1 offset:1488
	s_wait_loadcnt_dscnt 0x901
	v_mul_f64_e32 v[181:182], v[2:3], v[28:29]
	v_mul_f64_e32 v[28:29], v[4:5], v[28:29]
	v_add_f64_e32 v[38:39], v[38:39], v[179:180]
	v_add_f64_e32 v[44:45], v[44:45], v[167:168]
	s_wait_loadcnt_dscnt 0x800
	v_mul_f64_e32 v[167:168], v[173:174], v[32:33]
	v_mul_f64_e32 v[32:33], v[175:176], v[32:33]
	v_fma_f64 v[177:178], v[4:5], v[26:27], v[181:182]
	v_fma_f64 v[179:180], v[2:3], v[26:27], -v[28:29]
	ds_load_b128 v[2:5], v1 offset:1504
	scratch_load_b128 v[26:29], off, off offset:752
	v_add_f64_e32 v[38:39], v[38:39], v[163:164]
	v_add_f64_e32 v[44:45], v[44:45], v[165:166]
	ds_load_b128 v[163:166], v1 offset:1520
	s_wait_loadcnt_dscnt 0x801
	v_mul_f64_e32 v[181:182], v[2:3], v[36:37]
	v_mul_f64_e32 v[36:37], v[4:5], v[36:37]
	v_fma_f64 v[167:168], v[175:176], v[30:31], v[167:168]
	v_fma_f64 v[173:174], v[173:174], v[30:31], -v[32:33]
	scratch_load_b128 v[30:33], off, off offset:768
	s_wait_loadcnt_dscnt 0x800
	v_mul_f64_e32 v[175:176], v[163:164], v[42:43]
	v_add_f64_e32 v[38:39], v[38:39], v[179:180]
	v_add_f64_e32 v[44:45], v[44:45], v[177:178]
	v_mul_f64_e32 v[177:178], v[165:166], v[42:43]
	v_fma_f64 v[179:180], v[4:5], v[34:35], v[181:182]
	v_fma_f64 v[181:182], v[2:3], v[34:35], -v[36:37]
	ds_load_b128 v[2:5], v1 offset:1536
	scratch_load_b128 v[34:37], off, off offset:784
	v_fma_f64 v[165:166], v[165:166], v[40:41], v[175:176]
	v_add_f64_e32 v[38:39], v[38:39], v[173:174]
	v_add_f64_e32 v[167:168], v[44:45], v[167:168]
	ds_load_b128 v[42:45], v1 offset:1552
	v_fma_f64 v[163:164], v[163:164], v[40:41], -v[177:178]
	s_wait_loadcnt_dscnt 0x701
	v_mul_f64_e32 v[173:174], v[2:3], v[171:172]
	v_mul_f64_e32 v[171:172], v[4:5], v[171:172]
	s_wait_dscnt 0x0
	v_mul_f64_e32 v[177:178], v[42:43], v[8:9]
	v_mul_f64_e32 v[8:9], v[44:45], v[8:9]
	v_add_f64_e32 v[175:176], v[38:39], v[181:182]
	v_add_f64_e32 v[167:168], v[167:168], v[179:180]
	scratch_load_b128 v[38:41], off, off offset:800
	v_fma_f64 v[173:174], v[4:5], v[169:170], v[173:174]
	v_fma_f64 v[171:172], v[2:3], v[169:170], -v[171:172]
	ds_load_b128 v[2:5], v1 offset:1568
	v_fma_f64 v[44:45], v[44:45], v[6:7], v[177:178]
	v_fma_f64 v[42:43], v[42:43], v[6:7], -v[8:9]
	scratch_load_b128 v[6:9], off, off offset:832
	v_add_f64_e32 v[175:176], v[175:176], v[163:164]
	v_add_f64_e32 v[179:180], v[167:168], v[165:166]
	scratch_load_b128 v[163:166], off, off offset:816
	ds_load_b128 v[167:170], v1 offset:1584
	s_wait_loadcnt_dscnt 0x901
	v_mul_f64_e32 v[181:182], v[2:3], v[12:13]
	v_mul_f64_e32 v[12:13], v[4:5], v[12:13]
	v_add_f64_e32 v[171:172], v[175:176], v[171:172]
	v_add_f64_e32 v[173:174], v[179:180], v[173:174]
	s_wait_loadcnt_dscnt 0x800
	v_mul_f64_e32 v[175:176], v[167:168], v[16:17]
	v_mul_f64_e32 v[16:17], v[169:170], v[16:17]
	v_fma_f64 v[177:178], v[4:5], v[10:11], v[181:182]
	v_fma_f64 v[179:180], v[2:3], v[10:11], -v[12:13]
	ds_load_b128 v[2:5], v1 offset:1600
	scratch_load_b128 v[10:13], off, off offset:848
	v_add_f64_e32 v[171:172], v[171:172], v[42:43]
	v_add_f64_e32 v[173:174], v[173:174], v[44:45]
	ds_load_b128 v[42:45], v1 offset:1616
	s_wait_loadcnt_dscnt 0x801
	v_mul_f64_e32 v[181:182], v[2:3], v[20:21]
	v_mul_f64_e32 v[20:21], v[4:5], v[20:21]
	v_fma_f64 v[169:170], v[169:170], v[14:15], v[175:176]
	v_fma_f64 v[167:168], v[167:168], v[14:15], -v[16:17]
	scratch_load_b128 v[14:17], off, off offset:864
	s_wait_loadcnt_dscnt 0x800
	v_mul_f64_e32 v[175:176], v[42:43], v[24:25]
	v_mul_f64_e32 v[24:25], v[44:45], v[24:25]
	v_add_f64_e32 v[171:172], v[171:172], v[179:180]
	v_add_f64_e32 v[173:174], v[173:174], v[177:178]
	v_fma_f64 v[177:178], v[4:5], v[18:19], v[181:182]
	v_fma_f64 v[179:180], v[2:3], v[18:19], -v[20:21]
	ds_load_b128 v[2:5], v1 offset:1632
	scratch_load_b128 v[18:21], off, off offset:880
	v_fma_f64 v[44:45], v[44:45], v[22:23], v[175:176]
	v_fma_f64 v[42:43], v[42:43], v[22:23], -v[24:25]
	scratch_load_b128 v[22:25], off, off offset:896
	v_add_f64_e32 v[171:172], v[171:172], v[167:168]
	v_add_f64_e32 v[173:174], v[173:174], v[169:170]
	ds_load_b128 v[167:170], v1 offset:1648
	s_wait_loadcnt_dscnt 0x901
	v_mul_f64_e32 v[181:182], v[2:3], v[28:29]
	v_mul_f64_e32 v[28:29], v[4:5], v[28:29]
	s_wait_loadcnt_dscnt 0x800
	v_mul_f64_e32 v[175:176], v[167:168], v[32:33]
	v_mul_f64_e32 v[32:33], v[169:170], v[32:33]
	v_add_f64_e32 v[171:172], v[171:172], v[179:180]
	v_add_f64_e32 v[173:174], v[173:174], v[177:178]
	v_fma_f64 v[177:178], v[4:5], v[26:27], v[181:182]
	v_fma_f64 v[179:180], v[2:3], v[26:27], -v[28:29]
	ds_load_b128 v[2:5], v1 offset:1664
	ds_load_b128 v[26:29], v1 offset:1680
	v_fma_f64 v[169:170], v[169:170], v[30:31], v[175:176]
	v_fma_f64 v[30:31], v[167:168], v[30:31], -v[32:33]
	v_add_f64_e32 v[42:43], v[171:172], v[42:43]
	v_add_f64_e32 v[44:45], v[173:174], v[44:45]
	s_wait_loadcnt_dscnt 0x701
	v_mul_f64_e32 v[171:172], v[2:3], v[36:37]
	v_mul_f64_e32 v[36:37], v[4:5], v[36:37]
	s_delay_alu instid0(VALU_DEP_4) | instskip(NEXT) | instid1(VALU_DEP_4)
	v_add_f64_e32 v[32:33], v[42:43], v[179:180]
	v_add_f64_e32 v[42:43], v[44:45], v[177:178]
	s_delay_alu instid0(VALU_DEP_4) | instskip(NEXT) | instid1(VALU_DEP_4)
	v_fma_f64 v[167:168], v[4:5], v[34:35], v[171:172]
	v_fma_f64 v[34:35], v[2:3], v[34:35], -v[36:37]
	s_wait_loadcnt_dscnt 0x600
	v_mul_f64_e32 v[44:45], v[26:27], v[40:41]
	v_mul_f64_e32 v[40:41], v[28:29], v[40:41]
	v_add_f64_e32 v[36:37], v[32:33], v[30:31]
	v_add_f64_e32 v[42:43], v[42:43], v[169:170]
	ds_load_b128 v[2:5], v1 offset:1696
	ds_load_b128 v[30:33], v1 offset:1712
	v_fma_f64 v[28:29], v[28:29], v[38:39], v[44:45]
	v_fma_f64 v[26:27], v[26:27], v[38:39], -v[40:41]
	s_wait_loadcnt_dscnt 0x401
	v_mul_f64_e32 v[169:170], v[2:3], v[165:166]
	v_mul_f64_e32 v[165:166], v[4:5], v[165:166]
	s_wait_dscnt 0x0
	v_mul_f64_e32 v[38:39], v[30:31], v[8:9]
	v_mul_f64_e32 v[8:9], v[32:33], v[8:9]
	v_add_f64_e32 v[34:35], v[36:37], v[34:35]
	v_add_f64_e32 v[36:37], v[42:43], v[167:168]
	v_fma_f64 v[40:41], v[4:5], v[163:164], v[169:170]
	v_fma_f64 v[42:43], v[2:3], v[163:164], -v[165:166]
	v_fma_f64 v[32:33], v[32:33], v[6:7], v[38:39]
	v_fma_f64 v[6:7], v[30:31], v[6:7], -v[8:9]
	v_add_f64_e32 v[34:35], v[34:35], v[26:27]
	v_add_f64_e32 v[36:37], v[36:37], v[28:29]
	ds_load_b128 v[2:5], v1 offset:1728
	ds_load_b128 v[26:29], v1 offset:1744
	s_wait_loadcnt_dscnt 0x301
	v_mul_f64_e32 v[44:45], v[2:3], v[12:13]
	v_mul_f64_e32 v[12:13], v[4:5], v[12:13]
	v_add_f64_e32 v[8:9], v[34:35], v[42:43]
	v_add_f64_e32 v[30:31], v[36:37], v[40:41]
	s_wait_loadcnt_dscnt 0x200
	v_mul_f64_e32 v[34:35], v[26:27], v[16:17]
	v_mul_f64_e32 v[16:17], v[28:29], v[16:17]
	v_fma_f64 v[36:37], v[4:5], v[10:11], v[44:45]
	v_fma_f64 v[10:11], v[2:3], v[10:11], -v[12:13]
	v_add_f64_e32 v[12:13], v[8:9], v[6:7]
	v_add_f64_e32 v[30:31], v[30:31], v[32:33]
	ds_load_b128 v[2:5], v1 offset:1760
	ds_load_b128 v[6:9], v1 offset:1776
	v_fma_f64 v[28:29], v[28:29], v[14:15], v[34:35]
	v_fma_f64 v[14:15], v[26:27], v[14:15], -v[16:17]
	s_wait_loadcnt_dscnt 0x101
	v_mul_f64_e32 v[32:33], v[2:3], v[20:21]
	v_mul_f64_e32 v[20:21], v[4:5], v[20:21]
	s_wait_loadcnt_dscnt 0x0
	v_mul_f64_e32 v[16:17], v[6:7], v[24:25]
	v_mul_f64_e32 v[24:25], v[8:9], v[24:25]
	v_add_f64_e32 v[10:11], v[12:13], v[10:11]
	v_add_f64_e32 v[12:13], v[30:31], v[36:37]
	v_fma_f64 v[4:5], v[4:5], v[18:19], v[32:33]
	v_fma_f64 v[1:2], v[2:3], v[18:19], -v[20:21]
	v_fma_f64 v[8:9], v[8:9], v[22:23], v[16:17]
	v_fma_f64 v[6:7], v[6:7], v[22:23], -v[24:25]
	v_add_f64_e32 v[10:11], v[10:11], v[14:15]
	v_add_f64_e32 v[12:13], v[12:13], v[28:29]
	s_delay_alu instid0(VALU_DEP_2) | instskip(NEXT) | instid1(VALU_DEP_2)
	v_add_f64_e32 v[1:2], v[10:11], v[1:2]
	v_add_f64_e32 v[3:4], v[12:13], v[4:5]
	s_delay_alu instid0(VALU_DEP_2) | instskip(NEXT) | instid1(VALU_DEP_2)
	;; [unrolled: 3-line block ×3, first 2 shown]
	v_add_f64_e64 v[1:2], v[159:160], -v[1:2]
	v_add_f64_e64 v[3:4], v[161:162], -v[3:4]
	scratch_store_b128 off, v[1:4], off offset:320
	v_cmpx_lt_u32_e32 18, v0
	s_cbranch_execz .LBB119_313
; %bb.312:
	scratch_load_b128 v[1:4], off, s51
	v_mov_b32_e32 v5, 0
	s_delay_alu instid0(VALU_DEP_1)
	v_dual_mov_b32 v6, v5 :: v_dual_mov_b32 v7, v5
	v_mov_b32_e32 v8, v5
	scratch_store_b128 off, v[5:8], off offset:304
	s_wait_loadcnt 0x0
	ds_store_b128 v158, v[1:4]
.LBB119_313:
	s_wait_alu 0xfffe
	s_or_b32 exec_lo, exec_lo, s0
	s_wait_storecnt_dscnt 0x0
	s_barrier_signal -1
	s_barrier_wait -1
	global_inv scope:SCOPE_SE
	s_clause 0x7
	scratch_load_b128 v[2:5], off, off offset:320
	scratch_load_b128 v[6:9], off, off offset:336
	;; [unrolled: 1-line block ×8, first 2 shown]
	v_mov_b32_e32 v1, 0
	s_mov_b32 s0, exec_lo
	ds_load_b128 v[38:41], v1 offset:1200
	s_clause 0x1
	scratch_load_b128 v[34:37], off, off offset:448
	scratch_load_b128 v[42:45], off, off offset:304
	ds_load_b128 v[159:162], v1 offset:1216
	scratch_load_b128 v[163:166], off, off offset:464
	s_wait_loadcnt_dscnt 0xa01
	v_mul_f64_e32 v[167:168], v[40:41], v[4:5]
	v_mul_f64_e32 v[4:5], v[38:39], v[4:5]
	s_delay_alu instid0(VALU_DEP_2) | instskip(NEXT) | instid1(VALU_DEP_2)
	v_fma_f64 v[173:174], v[38:39], v[2:3], -v[167:168]
	v_fma_f64 v[175:176], v[40:41], v[2:3], v[4:5]
	ds_load_b128 v[2:5], v1 offset:1232
	s_wait_loadcnt_dscnt 0x901
	v_mul_f64_e32 v[171:172], v[159:160], v[8:9]
	v_mul_f64_e32 v[8:9], v[161:162], v[8:9]
	scratch_load_b128 v[38:41], off, off offset:480
	ds_load_b128 v[167:170], v1 offset:1248
	s_wait_loadcnt_dscnt 0x901
	v_mul_f64_e32 v[177:178], v[2:3], v[12:13]
	v_mul_f64_e32 v[12:13], v[4:5], v[12:13]
	v_fma_f64 v[161:162], v[161:162], v[6:7], v[171:172]
	v_fma_f64 v[159:160], v[159:160], v[6:7], -v[8:9]
	v_add_f64_e32 v[171:172], 0, v[173:174]
	v_add_f64_e32 v[173:174], 0, v[175:176]
	scratch_load_b128 v[6:9], off, off offset:496
	v_fma_f64 v[177:178], v[4:5], v[10:11], v[177:178]
	v_fma_f64 v[179:180], v[2:3], v[10:11], -v[12:13]
	ds_load_b128 v[2:5], v1 offset:1264
	s_wait_loadcnt_dscnt 0x901
	v_mul_f64_e32 v[175:176], v[167:168], v[16:17]
	v_mul_f64_e32 v[16:17], v[169:170], v[16:17]
	scratch_load_b128 v[10:13], off, off offset:512
	v_add_f64_e32 v[171:172], v[171:172], v[159:160]
	v_add_f64_e32 v[173:174], v[173:174], v[161:162]
	s_wait_loadcnt_dscnt 0x900
	v_mul_f64_e32 v[181:182], v[2:3], v[20:21]
	v_mul_f64_e32 v[20:21], v[4:5], v[20:21]
	ds_load_b128 v[159:162], v1 offset:1280
	v_fma_f64 v[169:170], v[169:170], v[14:15], v[175:176]
	v_fma_f64 v[167:168], v[167:168], v[14:15], -v[16:17]
	scratch_load_b128 v[14:17], off, off offset:528
	v_add_f64_e32 v[171:172], v[171:172], v[179:180]
	v_add_f64_e32 v[173:174], v[173:174], v[177:178]
	v_fma_f64 v[177:178], v[4:5], v[18:19], v[181:182]
	v_fma_f64 v[179:180], v[2:3], v[18:19], -v[20:21]
	ds_load_b128 v[2:5], v1 offset:1296
	s_wait_loadcnt_dscnt 0x901
	v_mul_f64_e32 v[175:176], v[159:160], v[24:25]
	v_mul_f64_e32 v[24:25], v[161:162], v[24:25]
	scratch_load_b128 v[18:21], off, off offset:544
	s_wait_loadcnt_dscnt 0x900
	v_mul_f64_e32 v[181:182], v[2:3], v[28:29]
	v_mul_f64_e32 v[28:29], v[4:5], v[28:29]
	v_add_f64_e32 v[171:172], v[171:172], v[167:168]
	v_add_f64_e32 v[173:174], v[173:174], v[169:170]
	ds_load_b128 v[167:170], v1 offset:1312
	v_fma_f64 v[161:162], v[161:162], v[22:23], v[175:176]
	v_fma_f64 v[159:160], v[159:160], v[22:23], -v[24:25]
	scratch_load_b128 v[22:25], off, off offset:560
	v_add_f64_e32 v[171:172], v[171:172], v[179:180]
	v_add_f64_e32 v[173:174], v[173:174], v[177:178]
	v_fma_f64 v[177:178], v[4:5], v[26:27], v[181:182]
	v_fma_f64 v[179:180], v[2:3], v[26:27], -v[28:29]
	ds_load_b128 v[2:5], v1 offset:1328
	s_wait_loadcnt_dscnt 0x901
	v_mul_f64_e32 v[175:176], v[167:168], v[32:33]
	v_mul_f64_e32 v[32:33], v[169:170], v[32:33]
	scratch_load_b128 v[26:29], off, off offset:576
	s_wait_loadcnt_dscnt 0x900
	v_mul_f64_e32 v[181:182], v[2:3], v[36:37]
	v_mul_f64_e32 v[36:37], v[4:5], v[36:37]
	v_add_f64_e32 v[171:172], v[171:172], v[159:160]
	v_add_f64_e32 v[173:174], v[173:174], v[161:162]
	ds_load_b128 v[159:162], v1 offset:1344
	v_fma_f64 v[169:170], v[169:170], v[30:31], v[175:176]
	v_fma_f64 v[167:168], v[167:168], v[30:31], -v[32:33]
	scratch_load_b128 v[30:33], off, off offset:592
	v_add_f64_e32 v[171:172], v[171:172], v[179:180]
	v_add_f64_e32 v[173:174], v[173:174], v[177:178]
	v_fma_f64 v[179:180], v[4:5], v[34:35], v[181:182]
	v_fma_f64 v[181:182], v[2:3], v[34:35], -v[36:37]
	ds_load_b128 v[2:5], v1 offset:1360
	s_wait_loadcnt_dscnt 0x801
	v_mul_f64_e32 v[175:176], v[159:160], v[165:166]
	v_mul_f64_e32 v[177:178], v[161:162], v[165:166]
	scratch_load_b128 v[34:37], off, off offset:608
	v_add_f64_e32 v[171:172], v[171:172], v[167:168]
	v_add_f64_e32 v[169:170], v[173:174], v[169:170]
	ds_load_b128 v[165:168], v1 offset:1376
	v_fma_f64 v[175:176], v[161:162], v[163:164], v[175:176]
	v_fma_f64 v[163:164], v[159:160], v[163:164], -v[177:178]
	scratch_load_b128 v[159:162], off, off offset:624
	s_wait_loadcnt_dscnt 0x901
	v_mul_f64_e32 v[173:174], v[2:3], v[40:41]
	v_mul_f64_e32 v[40:41], v[4:5], v[40:41]
	v_add_f64_e32 v[171:172], v[171:172], v[181:182]
	v_add_f64_e32 v[169:170], v[169:170], v[179:180]
	s_delay_alu instid0(VALU_DEP_4) | instskip(NEXT) | instid1(VALU_DEP_4)
	v_fma_f64 v[173:174], v[4:5], v[38:39], v[173:174]
	v_fma_f64 v[179:180], v[2:3], v[38:39], -v[40:41]
	ds_load_b128 v[2:5], v1 offset:1392
	s_wait_loadcnt_dscnt 0x801
	v_mul_f64_e32 v[177:178], v[165:166], v[8:9]
	v_mul_f64_e32 v[8:9], v[167:168], v[8:9]
	scratch_load_b128 v[38:41], off, off offset:640
	s_wait_loadcnt_dscnt 0x800
	v_mul_f64_e32 v[181:182], v[2:3], v[12:13]
	v_add_f64_e32 v[163:164], v[171:172], v[163:164]
	v_add_f64_e32 v[175:176], v[169:170], v[175:176]
	v_mul_f64_e32 v[12:13], v[4:5], v[12:13]
	ds_load_b128 v[169:172], v1 offset:1408
	v_fma_f64 v[167:168], v[167:168], v[6:7], v[177:178]
	v_fma_f64 v[165:166], v[165:166], v[6:7], -v[8:9]
	scratch_load_b128 v[6:9], off, off offset:656
	v_fma_f64 v[177:178], v[4:5], v[10:11], v[181:182]
	v_add_f64_e32 v[163:164], v[163:164], v[179:180]
	v_add_f64_e32 v[173:174], v[175:176], v[173:174]
	v_fma_f64 v[179:180], v[2:3], v[10:11], -v[12:13]
	ds_load_b128 v[2:5], v1 offset:1424
	s_wait_loadcnt_dscnt 0x801
	v_mul_f64_e32 v[175:176], v[169:170], v[16:17]
	v_mul_f64_e32 v[16:17], v[171:172], v[16:17]
	scratch_load_b128 v[10:13], off, off offset:672
	v_add_f64_e32 v[181:182], v[163:164], v[165:166]
	v_add_f64_e32 v[167:168], v[173:174], v[167:168]
	s_wait_loadcnt_dscnt 0x800
	v_mul_f64_e32 v[173:174], v[2:3], v[20:21]
	v_mul_f64_e32 v[20:21], v[4:5], v[20:21]
	v_fma_f64 v[171:172], v[171:172], v[14:15], v[175:176]
	v_fma_f64 v[169:170], v[169:170], v[14:15], -v[16:17]
	ds_load_b128 v[163:166], v1 offset:1440
	scratch_load_b128 v[14:17], off, off offset:688
	v_add_f64_e32 v[175:176], v[181:182], v[179:180]
	v_add_f64_e32 v[167:168], v[167:168], v[177:178]
	v_fma_f64 v[173:174], v[4:5], v[18:19], v[173:174]
	v_fma_f64 v[179:180], v[2:3], v[18:19], -v[20:21]
	ds_load_b128 v[2:5], v1 offset:1456
	s_wait_loadcnt_dscnt 0x801
	v_mul_f64_e32 v[177:178], v[163:164], v[24:25]
	v_mul_f64_e32 v[24:25], v[165:166], v[24:25]
	scratch_load_b128 v[18:21], off, off offset:704
	s_wait_loadcnt_dscnt 0x800
	v_mul_f64_e32 v[181:182], v[2:3], v[28:29]
	v_mul_f64_e32 v[28:29], v[4:5], v[28:29]
	v_add_f64_e32 v[175:176], v[175:176], v[169:170]
	v_add_f64_e32 v[171:172], v[167:168], v[171:172]
	ds_load_b128 v[167:170], v1 offset:1472
	v_fma_f64 v[165:166], v[165:166], v[22:23], v[177:178]
	v_fma_f64 v[163:164], v[163:164], v[22:23], -v[24:25]
	scratch_load_b128 v[22:25], off, off offset:720
	v_fma_f64 v[177:178], v[4:5], v[26:27], v[181:182]
	v_add_f64_e32 v[175:176], v[175:176], v[179:180]
	v_add_f64_e32 v[171:172], v[171:172], v[173:174]
	v_fma_f64 v[179:180], v[2:3], v[26:27], -v[28:29]
	ds_load_b128 v[2:5], v1 offset:1488
	s_wait_loadcnt_dscnt 0x801
	v_mul_f64_e32 v[173:174], v[167:168], v[32:33]
	v_mul_f64_e32 v[32:33], v[169:170], v[32:33]
	scratch_load_b128 v[26:29], off, off offset:736
	s_wait_loadcnt_dscnt 0x800
	v_mul_f64_e32 v[181:182], v[2:3], v[36:37]
	v_mul_f64_e32 v[36:37], v[4:5], v[36:37]
	v_add_f64_e32 v[175:176], v[175:176], v[163:164]
	v_add_f64_e32 v[171:172], v[171:172], v[165:166]
	ds_load_b128 v[163:166], v1 offset:1504
	v_fma_f64 v[169:170], v[169:170], v[30:31], v[173:174]
	v_fma_f64 v[167:168], v[167:168], v[30:31], -v[32:33]
	scratch_load_b128 v[30:33], off, off offset:752
	v_add_f64_e32 v[173:174], v[175:176], v[179:180]
	v_add_f64_e32 v[171:172], v[171:172], v[177:178]
	v_fma_f64 v[177:178], v[4:5], v[34:35], v[181:182]
	v_fma_f64 v[179:180], v[2:3], v[34:35], -v[36:37]
	ds_load_b128 v[2:5], v1 offset:1520
	s_wait_loadcnt_dscnt 0x801
	v_mul_f64_e32 v[175:176], v[163:164], v[161:162]
	v_mul_f64_e32 v[161:162], v[165:166], v[161:162]
	scratch_load_b128 v[34:37], off, off offset:768
	s_wait_loadcnt_dscnt 0x800
	v_mul_f64_e32 v[181:182], v[2:3], v[40:41]
	v_mul_f64_e32 v[40:41], v[4:5], v[40:41]
	v_add_f64_e32 v[173:174], v[173:174], v[167:168]
	v_add_f64_e32 v[171:172], v[171:172], v[169:170]
	ds_load_b128 v[167:170], v1 offset:1536
	v_fma_f64 v[165:166], v[165:166], v[159:160], v[175:176]
	v_fma_f64 v[163:164], v[163:164], v[159:160], -v[161:162]
	scratch_load_b128 v[159:162], off, off offset:784
	v_add_f64_e32 v[173:174], v[173:174], v[179:180]
	v_add_f64_e32 v[171:172], v[171:172], v[177:178]
	v_fma_f64 v[177:178], v[4:5], v[38:39], v[181:182]
	;; [unrolled: 18-line block ×5, first 2 shown]
	v_fma_f64 v[179:180], v[2:3], v[26:27], -v[28:29]
	ds_load_b128 v[2:5], v1 offset:1648
	s_wait_loadcnt_dscnt 0x801
	v_mul_f64_e32 v[175:176], v[163:164], v[32:33]
	v_mul_f64_e32 v[32:33], v[165:166], v[32:33]
	scratch_load_b128 v[26:29], off, off offset:896
	s_wait_loadcnt_dscnt 0x800
	v_mul_f64_e32 v[181:182], v[2:3], v[36:37]
	v_mul_f64_e32 v[36:37], v[4:5], v[36:37]
	v_add_f64_e32 v[173:174], v[173:174], v[167:168]
	v_add_f64_e32 v[171:172], v[171:172], v[169:170]
	ds_load_b128 v[167:170], v1 offset:1664
	v_fma_f64 v[165:166], v[165:166], v[30:31], v[175:176]
	v_fma_f64 v[30:31], v[163:164], v[30:31], -v[32:33]
	v_add_f64_e32 v[32:33], v[173:174], v[179:180]
	v_add_f64_e32 v[163:164], v[171:172], v[177:178]
	s_wait_loadcnt_dscnt 0x700
	v_mul_f64_e32 v[171:172], v[167:168], v[161:162]
	v_mul_f64_e32 v[161:162], v[169:170], v[161:162]
	v_fma_f64 v[173:174], v[4:5], v[34:35], v[181:182]
	v_fma_f64 v[34:35], v[2:3], v[34:35], -v[36:37]
	v_add_f64_e32 v[36:37], v[32:33], v[30:31]
	v_add_f64_e32 v[163:164], v[163:164], v[165:166]
	ds_load_b128 v[2:5], v1 offset:1680
	ds_load_b128 v[30:33], v1 offset:1696
	v_fma_f64 v[169:170], v[169:170], v[159:160], v[171:172]
	v_fma_f64 v[159:160], v[167:168], v[159:160], -v[161:162]
	s_wait_loadcnt_dscnt 0x601
	v_mul_f64_e32 v[165:166], v[2:3], v[40:41]
	v_mul_f64_e32 v[40:41], v[4:5], v[40:41]
	s_wait_loadcnt_dscnt 0x500
	v_mul_f64_e32 v[161:162], v[30:31], v[8:9]
	v_mul_f64_e32 v[8:9], v[32:33], v[8:9]
	v_add_f64_e32 v[34:35], v[36:37], v[34:35]
	v_add_f64_e32 v[36:37], v[163:164], v[173:174]
	v_fma_f64 v[163:164], v[4:5], v[38:39], v[165:166]
	v_fma_f64 v[38:39], v[2:3], v[38:39], -v[40:41]
	v_fma_f64 v[32:33], v[32:33], v[6:7], v[161:162]
	v_fma_f64 v[6:7], v[30:31], v[6:7], -v[8:9]
	v_add_f64_e32 v[40:41], v[34:35], v[159:160]
	v_add_f64_e32 v[159:160], v[36:37], v[169:170]
	ds_load_b128 v[2:5], v1 offset:1712
	ds_load_b128 v[34:37], v1 offset:1728
	s_wait_loadcnt_dscnt 0x401
	v_mul_f64_e32 v[165:166], v[2:3], v[12:13]
	v_mul_f64_e32 v[12:13], v[4:5], v[12:13]
	v_add_f64_e32 v[8:9], v[40:41], v[38:39]
	v_add_f64_e32 v[30:31], v[159:160], v[163:164]
	s_wait_loadcnt_dscnt 0x300
	v_mul_f64_e32 v[38:39], v[34:35], v[16:17]
	v_mul_f64_e32 v[16:17], v[36:37], v[16:17]
	v_fma_f64 v[40:41], v[4:5], v[10:11], v[165:166]
	v_fma_f64 v[10:11], v[2:3], v[10:11], -v[12:13]
	v_add_f64_e32 v[12:13], v[8:9], v[6:7]
	v_add_f64_e32 v[30:31], v[30:31], v[32:33]
	ds_load_b128 v[2:5], v1 offset:1744
	ds_load_b128 v[6:9], v1 offset:1760
	v_fma_f64 v[36:37], v[36:37], v[14:15], v[38:39]
	v_fma_f64 v[14:15], v[34:35], v[14:15], -v[16:17]
	s_wait_loadcnt_dscnt 0x201
	v_mul_f64_e32 v[32:33], v[2:3], v[20:21]
	v_mul_f64_e32 v[20:21], v[4:5], v[20:21]
	s_wait_loadcnt_dscnt 0x100
	v_mul_f64_e32 v[16:17], v[6:7], v[24:25]
	v_mul_f64_e32 v[24:25], v[8:9], v[24:25]
	v_add_f64_e32 v[10:11], v[12:13], v[10:11]
	v_add_f64_e32 v[12:13], v[30:31], v[40:41]
	v_fma_f64 v[30:31], v[4:5], v[18:19], v[32:33]
	v_fma_f64 v[18:19], v[2:3], v[18:19], -v[20:21]
	ds_load_b128 v[2:5], v1 offset:1776
	v_fma_f64 v[8:9], v[8:9], v[22:23], v[16:17]
	v_fma_f64 v[6:7], v[6:7], v[22:23], -v[24:25]
	v_add_f64_e32 v[10:11], v[10:11], v[14:15]
	v_add_f64_e32 v[12:13], v[12:13], v[36:37]
	s_wait_loadcnt_dscnt 0x0
	v_mul_f64_e32 v[14:15], v[2:3], v[28:29]
	v_mul_f64_e32 v[20:21], v[4:5], v[28:29]
	s_delay_alu instid0(VALU_DEP_4) | instskip(NEXT) | instid1(VALU_DEP_4)
	v_add_f64_e32 v[10:11], v[10:11], v[18:19]
	v_add_f64_e32 v[12:13], v[12:13], v[30:31]
	s_delay_alu instid0(VALU_DEP_4) | instskip(NEXT) | instid1(VALU_DEP_4)
	v_fma_f64 v[4:5], v[4:5], v[26:27], v[14:15]
	v_fma_f64 v[2:3], v[2:3], v[26:27], -v[20:21]
	s_delay_alu instid0(VALU_DEP_4) | instskip(NEXT) | instid1(VALU_DEP_4)
	v_add_f64_e32 v[6:7], v[10:11], v[6:7]
	v_add_f64_e32 v[8:9], v[12:13], v[8:9]
	s_delay_alu instid0(VALU_DEP_2) | instskip(NEXT) | instid1(VALU_DEP_2)
	v_add_f64_e32 v[2:3], v[6:7], v[2:3]
	v_add_f64_e32 v[4:5], v[8:9], v[4:5]
	s_delay_alu instid0(VALU_DEP_2) | instskip(NEXT) | instid1(VALU_DEP_2)
	v_add_f64_e64 v[2:3], v[42:43], -v[2:3]
	v_add_f64_e64 v[4:5], v[44:45], -v[4:5]
	scratch_store_b128 off, v[2:5], off offset:304
	v_cmpx_lt_u32_e32 17, v0
	s_cbranch_execz .LBB119_315
; %bb.314:
	scratch_load_b128 v[5:8], off, s52
	v_dual_mov_b32 v2, v1 :: v_dual_mov_b32 v3, v1
	v_mov_b32_e32 v4, v1
	scratch_store_b128 off, v[1:4], off offset:288
	s_wait_loadcnt 0x0
	ds_store_b128 v158, v[5:8]
.LBB119_315:
	s_wait_alu 0xfffe
	s_or_b32 exec_lo, exec_lo, s0
	s_wait_storecnt_dscnt 0x0
	s_barrier_signal -1
	s_barrier_wait -1
	global_inv scope:SCOPE_SE
	s_clause 0x8
	scratch_load_b128 v[2:5], off, off offset:304
	scratch_load_b128 v[6:9], off, off offset:320
	scratch_load_b128 v[10:13], off, off offset:336
	scratch_load_b128 v[14:17], off, off offset:352
	scratch_load_b128 v[18:21], off, off offset:368
	scratch_load_b128 v[22:25], off, off offset:384
	scratch_load_b128 v[26:29], off, off offset:400
	scratch_load_b128 v[30:33], off, off offset:416
	scratch_load_b128 v[34:37], off, off offset:432
	ds_load_b128 v[42:45], v1 offset:1184
	ds_load_b128 v[38:41], v1 offset:1200
	s_clause 0x1
	scratch_load_b128 v[159:162], off, off offset:288
	scratch_load_b128 v[163:166], off, off offset:448
	s_mov_b32 s0, exec_lo
	s_wait_loadcnt_dscnt 0xa01
	v_mul_f64_e32 v[167:168], v[44:45], v[4:5]
	v_mul_f64_e32 v[4:5], v[42:43], v[4:5]
	s_wait_loadcnt_dscnt 0x900
	v_mul_f64_e32 v[171:172], v[38:39], v[8:9]
	v_mul_f64_e32 v[8:9], v[40:41], v[8:9]
	s_delay_alu instid0(VALU_DEP_4) | instskip(NEXT) | instid1(VALU_DEP_4)
	v_fma_f64 v[173:174], v[42:43], v[2:3], -v[167:168]
	v_fma_f64 v[175:176], v[44:45], v[2:3], v[4:5]
	ds_load_b128 v[2:5], v1 offset:1216
	ds_load_b128 v[167:170], v1 offset:1232
	scratch_load_b128 v[42:45], off, off offset:464
	v_fma_f64 v[40:41], v[40:41], v[6:7], v[171:172]
	v_fma_f64 v[38:39], v[38:39], v[6:7], -v[8:9]
	scratch_load_b128 v[6:9], off, off offset:480
	s_wait_loadcnt_dscnt 0xa01
	v_mul_f64_e32 v[177:178], v[2:3], v[12:13]
	v_mul_f64_e32 v[12:13], v[4:5], v[12:13]
	v_add_f64_e32 v[171:172], 0, v[173:174]
	v_add_f64_e32 v[173:174], 0, v[175:176]
	s_wait_loadcnt_dscnt 0x900
	v_mul_f64_e32 v[175:176], v[167:168], v[16:17]
	v_mul_f64_e32 v[16:17], v[169:170], v[16:17]
	v_fma_f64 v[177:178], v[4:5], v[10:11], v[177:178]
	v_fma_f64 v[179:180], v[2:3], v[10:11], -v[12:13]
	ds_load_b128 v[2:5], v1 offset:1248
	scratch_load_b128 v[10:13], off, off offset:496
	v_add_f64_e32 v[171:172], v[171:172], v[38:39]
	v_add_f64_e32 v[173:174], v[173:174], v[40:41]
	ds_load_b128 v[38:41], v1 offset:1264
	v_fma_f64 v[169:170], v[169:170], v[14:15], v[175:176]
	v_fma_f64 v[167:168], v[167:168], v[14:15], -v[16:17]
	scratch_load_b128 v[14:17], off, off offset:512
	s_wait_loadcnt_dscnt 0xa01
	v_mul_f64_e32 v[181:182], v[2:3], v[20:21]
	v_mul_f64_e32 v[20:21], v[4:5], v[20:21]
	s_wait_loadcnt_dscnt 0x900
	v_mul_f64_e32 v[175:176], v[38:39], v[24:25]
	v_mul_f64_e32 v[24:25], v[40:41], v[24:25]
	v_add_f64_e32 v[171:172], v[171:172], v[179:180]
	v_add_f64_e32 v[173:174], v[173:174], v[177:178]
	v_fma_f64 v[177:178], v[4:5], v[18:19], v[181:182]
	v_fma_f64 v[179:180], v[2:3], v[18:19], -v[20:21]
	ds_load_b128 v[2:5], v1 offset:1280
	scratch_load_b128 v[18:21], off, off offset:528
	v_fma_f64 v[40:41], v[40:41], v[22:23], v[175:176]
	v_fma_f64 v[38:39], v[38:39], v[22:23], -v[24:25]
	scratch_load_b128 v[22:25], off, off offset:544
	v_add_f64_e32 v[171:172], v[171:172], v[167:168]
	v_add_f64_e32 v[173:174], v[173:174], v[169:170]
	ds_load_b128 v[167:170], v1 offset:1296
	s_wait_loadcnt_dscnt 0xa01
	v_mul_f64_e32 v[181:182], v[2:3], v[28:29]
	v_mul_f64_e32 v[28:29], v[4:5], v[28:29]
	s_wait_loadcnt_dscnt 0x900
	v_mul_f64_e32 v[175:176], v[167:168], v[32:33]
	v_mul_f64_e32 v[32:33], v[169:170], v[32:33]
	v_add_f64_e32 v[171:172], v[171:172], v[179:180]
	v_add_f64_e32 v[173:174], v[173:174], v[177:178]
	v_fma_f64 v[177:178], v[4:5], v[26:27], v[181:182]
	v_fma_f64 v[179:180], v[2:3], v[26:27], -v[28:29]
	ds_load_b128 v[2:5], v1 offset:1312
	scratch_load_b128 v[26:29], off, off offset:560
	v_fma_f64 v[169:170], v[169:170], v[30:31], v[175:176]
	v_fma_f64 v[167:168], v[167:168], v[30:31], -v[32:33]
	scratch_load_b128 v[30:33], off, off offset:576
	v_add_f64_e32 v[171:172], v[171:172], v[38:39]
	v_add_f64_e32 v[173:174], v[173:174], v[40:41]
	ds_load_b128 v[38:41], v1 offset:1328
	s_wait_loadcnt_dscnt 0xa01
	v_mul_f64_e32 v[181:182], v[2:3], v[36:37]
	v_mul_f64_e32 v[36:37], v[4:5], v[36:37]
	s_wait_loadcnt_dscnt 0x800
	v_mul_f64_e32 v[175:176], v[38:39], v[165:166]
	v_add_f64_e32 v[171:172], v[171:172], v[179:180]
	v_add_f64_e32 v[173:174], v[173:174], v[177:178]
	v_mul_f64_e32 v[177:178], v[40:41], v[165:166]
	v_fma_f64 v[179:180], v[4:5], v[34:35], v[181:182]
	v_fma_f64 v[181:182], v[2:3], v[34:35], -v[36:37]
	ds_load_b128 v[2:5], v1 offset:1344
	scratch_load_b128 v[34:37], off, off offset:592
	v_fma_f64 v[175:176], v[40:41], v[163:164], v[175:176]
	v_add_f64_e32 v[171:172], v[171:172], v[167:168]
	v_add_f64_e32 v[169:170], v[173:174], v[169:170]
	ds_load_b128 v[165:168], v1 offset:1360
	v_fma_f64 v[163:164], v[38:39], v[163:164], -v[177:178]
	scratch_load_b128 v[38:41], off, off offset:608
	s_wait_loadcnt_dscnt 0x901
	v_mul_f64_e32 v[173:174], v[2:3], v[44:45]
	v_mul_f64_e32 v[44:45], v[4:5], v[44:45]
	s_wait_loadcnt_dscnt 0x800
	v_mul_f64_e32 v[177:178], v[165:166], v[8:9]
	v_mul_f64_e32 v[8:9], v[167:168], v[8:9]
	v_add_f64_e32 v[171:172], v[171:172], v[181:182]
	v_add_f64_e32 v[169:170], v[169:170], v[179:180]
	v_fma_f64 v[173:174], v[4:5], v[42:43], v[173:174]
	v_fma_f64 v[179:180], v[2:3], v[42:43], -v[44:45]
	ds_load_b128 v[2:5], v1 offset:1376
	scratch_load_b128 v[42:45], off, off offset:624
	v_fma_f64 v[167:168], v[167:168], v[6:7], v[177:178]
	v_fma_f64 v[165:166], v[165:166], v[6:7], -v[8:9]
	scratch_load_b128 v[6:9], off, off offset:640
	v_add_f64_e32 v[163:164], v[171:172], v[163:164]
	v_add_f64_e32 v[175:176], v[169:170], v[175:176]
	ds_load_b128 v[169:172], v1 offset:1392
	s_wait_loadcnt_dscnt 0x901
	v_mul_f64_e32 v[181:182], v[2:3], v[12:13]
	v_mul_f64_e32 v[12:13], v[4:5], v[12:13]
	v_add_f64_e32 v[163:164], v[163:164], v[179:180]
	v_add_f64_e32 v[173:174], v[175:176], v[173:174]
	s_wait_loadcnt_dscnt 0x800
	v_mul_f64_e32 v[175:176], v[169:170], v[16:17]
	v_mul_f64_e32 v[16:17], v[171:172], v[16:17]
	v_fma_f64 v[177:178], v[4:5], v[10:11], v[181:182]
	v_fma_f64 v[179:180], v[2:3], v[10:11], -v[12:13]
	ds_load_b128 v[2:5], v1 offset:1408
	scratch_load_b128 v[10:13], off, off offset:656
	v_add_f64_e32 v[181:182], v[163:164], v[165:166]
	v_add_f64_e32 v[167:168], v[173:174], v[167:168]
	ds_load_b128 v[163:166], v1 offset:1424
	s_wait_loadcnt_dscnt 0x801
	v_mul_f64_e32 v[173:174], v[2:3], v[20:21]
	v_mul_f64_e32 v[20:21], v[4:5], v[20:21]
	v_fma_f64 v[171:172], v[171:172], v[14:15], v[175:176]
	v_fma_f64 v[169:170], v[169:170], v[14:15], -v[16:17]
	scratch_load_b128 v[14:17], off, off offset:672
	v_add_f64_e32 v[175:176], v[181:182], v[179:180]
	v_add_f64_e32 v[167:168], v[167:168], v[177:178]
	s_wait_loadcnt_dscnt 0x800
	v_mul_f64_e32 v[177:178], v[163:164], v[24:25]
	v_mul_f64_e32 v[24:25], v[165:166], v[24:25]
	v_fma_f64 v[173:174], v[4:5], v[18:19], v[173:174]
	v_fma_f64 v[179:180], v[2:3], v[18:19], -v[20:21]
	ds_load_b128 v[2:5], v1 offset:1440
	scratch_load_b128 v[18:21], off, off offset:688
	v_add_f64_e32 v[175:176], v[175:176], v[169:170]
	v_add_f64_e32 v[171:172], v[167:168], v[171:172]
	ds_load_b128 v[167:170], v1 offset:1456
	s_wait_loadcnt_dscnt 0x801
	v_mul_f64_e32 v[181:182], v[2:3], v[28:29]
	v_mul_f64_e32 v[28:29], v[4:5], v[28:29]
	v_fma_f64 v[165:166], v[165:166], v[22:23], v[177:178]
	v_fma_f64 v[163:164], v[163:164], v[22:23], -v[24:25]
	scratch_load_b128 v[22:25], off, off offset:704
	;; [unrolled: 18-line block ×4, first 2 shown]
	s_wait_loadcnt_dscnt 0x800
	v_mul_f64_e32 v[175:176], v[167:168], v[8:9]
	v_mul_f64_e32 v[8:9], v[169:170], v[8:9]
	v_add_f64_e32 v[173:174], v[173:174], v[179:180]
	v_add_f64_e32 v[171:172], v[171:172], v[177:178]
	v_fma_f64 v[177:178], v[4:5], v[42:43], v[181:182]
	v_fma_f64 v[179:180], v[2:3], v[42:43], -v[44:45]
	ds_load_b128 v[2:5], v1 offset:1536
	scratch_load_b128 v[42:45], off, off offset:784
	v_fma_f64 v[169:170], v[169:170], v[6:7], v[175:176]
	v_fma_f64 v[167:168], v[167:168], v[6:7], -v[8:9]
	scratch_load_b128 v[6:9], off, off offset:800
	v_add_f64_e32 v[173:174], v[173:174], v[163:164]
	v_add_f64_e32 v[171:172], v[171:172], v[165:166]
	ds_load_b128 v[163:166], v1 offset:1552
	s_wait_loadcnt_dscnt 0x901
	v_mul_f64_e32 v[181:182], v[2:3], v[12:13]
	v_mul_f64_e32 v[12:13], v[4:5], v[12:13]
	s_wait_loadcnt_dscnt 0x800
	v_mul_f64_e32 v[175:176], v[163:164], v[16:17]
	v_mul_f64_e32 v[16:17], v[165:166], v[16:17]
	v_add_f64_e32 v[173:174], v[173:174], v[179:180]
	v_add_f64_e32 v[171:172], v[171:172], v[177:178]
	v_fma_f64 v[177:178], v[4:5], v[10:11], v[181:182]
	v_fma_f64 v[179:180], v[2:3], v[10:11], -v[12:13]
	ds_load_b128 v[2:5], v1 offset:1568
	scratch_load_b128 v[10:13], off, off offset:816
	v_fma_f64 v[165:166], v[165:166], v[14:15], v[175:176]
	v_fma_f64 v[163:164], v[163:164], v[14:15], -v[16:17]
	scratch_load_b128 v[14:17], off, off offset:832
	v_add_f64_e32 v[173:174], v[173:174], v[167:168]
	v_add_f64_e32 v[171:172], v[171:172], v[169:170]
	ds_load_b128 v[167:170], v1 offset:1584
	s_wait_loadcnt_dscnt 0x901
	v_mul_f64_e32 v[181:182], v[2:3], v[20:21]
	v_mul_f64_e32 v[20:21], v[4:5], v[20:21]
	;; [unrolled: 18-line block ×4, first 2 shown]
	s_wait_loadcnt_dscnt 0x800
	v_mul_f64_e32 v[175:176], v[167:168], v[40:41]
	v_mul_f64_e32 v[40:41], v[169:170], v[40:41]
	v_add_f64_e32 v[173:174], v[173:174], v[179:180]
	v_add_f64_e32 v[171:172], v[171:172], v[177:178]
	v_fma_f64 v[177:178], v[4:5], v[34:35], v[181:182]
	v_fma_f64 v[179:180], v[2:3], v[34:35], -v[36:37]
	ds_load_b128 v[2:5], v1 offset:1664
	ds_load_b128 v[34:37], v1 offset:1680
	v_fma_f64 v[169:170], v[169:170], v[38:39], v[175:176]
	v_fma_f64 v[38:39], v[167:168], v[38:39], -v[40:41]
	v_add_f64_e32 v[163:164], v[173:174], v[163:164]
	v_add_f64_e32 v[165:166], v[171:172], v[165:166]
	s_wait_loadcnt_dscnt 0x701
	v_mul_f64_e32 v[171:172], v[2:3], v[44:45]
	v_mul_f64_e32 v[44:45], v[4:5], v[44:45]
	s_delay_alu instid0(VALU_DEP_4) | instskip(NEXT) | instid1(VALU_DEP_4)
	v_add_f64_e32 v[40:41], v[163:164], v[179:180]
	v_add_f64_e32 v[163:164], v[165:166], v[177:178]
	s_wait_loadcnt_dscnt 0x600
	v_mul_f64_e32 v[165:166], v[34:35], v[8:9]
	v_mul_f64_e32 v[8:9], v[36:37], v[8:9]
	v_fma_f64 v[167:168], v[4:5], v[42:43], v[171:172]
	v_fma_f64 v[42:43], v[2:3], v[42:43], -v[44:45]
	v_add_f64_e32 v[44:45], v[40:41], v[38:39]
	v_add_f64_e32 v[163:164], v[163:164], v[169:170]
	ds_load_b128 v[2:5], v1 offset:1696
	ds_load_b128 v[38:41], v1 offset:1712
	v_fma_f64 v[36:37], v[36:37], v[6:7], v[165:166]
	v_fma_f64 v[6:7], v[34:35], v[6:7], -v[8:9]
	s_wait_loadcnt_dscnt 0x501
	v_mul_f64_e32 v[169:170], v[2:3], v[12:13]
	v_mul_f64_e32 v[12:13], v[4:5], v[12:13]
	v_add_f64_e32 v[8:9], v[44:45], v[42:43]
	v_add_f64_e32 v[34:35], v[163:164], v[167:168]
	s_wait_loadcnt_dscnt 0x400
	v_mul_f64_e32 v[42:43], v[38:39], v[16:17]
	v_mul_f64_e32 v[16:17], v[40:41], v[16:17]
	v_fma_f64 v[44:45], v[4:5], v[10:11], v[169:170]
	v_fma_f64 v[10:11], v[2:3], v[10:11], -v[12:13]
	v_add_f64_e32 v[12:13], v[8:9], v[6:7]
	v_add_f64_e32 v[34:35], v[34:35], v[36:37]
	ds_load_b128 v[2:5], v1 offset:1728
	ds_load_b128 v[6:9], v1 offset:1744
	v_fma_f64 v[40:41], v[40:41], v[14:15], v[42:43]
	v_fma_f64 v[14:15], v[38:39], v[14:15], -v[16:17]
	s_wait_loadcnt_dscnt 0x301
	v_mul_f64_e32 v[36:37], v[2:3], v[20:21]
	v_mul_f64_e32 v[20:21], v[4:5], v[20:21]
	s_wait_loadcnt_dscnt 0x200
	v_mul_f64_e32 v[16:17], v[6:7], v[24:25]
	v_mul_f64_e32 v[24:25], v[8:9], v[24:25]
	v_add_f64_e32 v[10:11], v[12:13], v[10:11]
	v_add_f64_e32 v[12:13], v[34:35], v[44:45]
	v_fma_f64 v[34:35], v[4:5], v[18:19], v[36:37]
	v_fma_f64 v[18:19], v[2:3], v[18:19], -v[20:21]
	v_fma_f64 v[8:9], v[8:9], v[22:23], v[16:17]
	v_fma_f64 v[6:7], v[6:7], v[22:23], -v[24:25]
	v_add_f64_e32 v[14:15], v[10:11], v[14:15]
	v_add_f64_e32 v[20:21], v[12:13], v[40:41]
	ds_load_b128 v[2:5], v1 offset:1760
	ds_load_b128 v[10:13], v1 offset:1776
	s_wait_loadcnt_dscnt 0x101
	v_mul_f64_e32 v[36:37], v[2:3], v[28:29]
	v_mul_f64_e32 v[28:29], v[4:5], v[28:29]
	v_add_f64_e32 v[14:15], v[14:15], v[18:19]
	v_add_f64_e32 v[16:17], v[20:21], v[34:35]
	s_wait_loadcnt_dscnt 0x0
	v_mul_f64_e32 v[18:19], v[10:11], v[32:33]
	v_mul_f64_e32 v[20:21], v[12:13], v[32:33]
	v_fma_f64 v[4:5], v[4:5], v[26:27], v[36:37]
	v_fma_f64 v[1:2], v[2:3], v[26:27], -v[28:29]
	v_add_f64_e32 v[6:7], v[14:15], v[6:7]
	v_add_f64_e32 v[8:9], v[16:17], v[8:9]
	v_fma_f64 v[12:13], v[12:13], v[30:31], v[18:19]
	v_fma_f64 v[10:11], v[10:11], v[30:31], -v[20:21]
	s_delay_alu instid0(VALU_DEP_4) | instskip(NEXT) | instid1(VALU_DEP_4)
	v_add_f64_e32 v[1:2], v[6:7], v[1:2]
	v_add_f64_e32 v[3:4], v[8:9], v[4:5]
	s_delay_alu instid0(VALU_DEP_2) | instskip(NEXT) | instid1(VALU_DEP_2)
	v_add_f64_e32 v[1:2], v[1:2], v[10:11]
	v_add_f64_e32 v[3:4], v[3:4], v[12:13]
	s_delay_alu instid0(VALU_DEP_2) | instskip(NEXT) | instid1(VALU_DEP_2)
	v_add_f64_e64 v[1:2], v[159:160], -v[1:2]
	v_add_f64_e64 v[3:4], v[161:162], -v[3:4]
	scratch_store_b128 off, v[1:4], off offset:288
	v_cmpx_lt_u32_e32 16, v0
	s_cbranch_execz .LBB119_317
; %bb.316:
	scratch_load_b128 v[1:4], off, s53
	v_mov_b32_e32 v5, 0
	s_delay_alu instid0(VALU_DEP_1)
	v_dual_mov_b32 v6, v5 :: v_dual_mov_b32 v7, v5
	v_mov_b32_e32 v8, v5
	scratch_store_b128 off, v[5:8], off offset:272
	s_wait_loadcnt 0x0
	ds_store_b128 v158, v[1:4]
.LBB119_317:
	s_wait_alu 0xfffe
	s_or_b32 exec_lo, exec_lo, s0
	s_wait_storecnt_dscnt 0x0
	s_barrier_signal -1
	s_barrier_wait -1
	global_inv scope:SCOPE_SE
	s_clause 0x7
	scratch_load_b128 v[2:5], off, off offset:288
	scratch_load_b128 v[6:9], off, off offset:304
	;; [unrolled: 1-line block ×8, first 2 shown]
	v_mov_b32_e32 v1, 0
	s_mov_b32 s0, exec_lo
	ds_load_b128 v[38:41], v1 offset:1168
	s_clause 0x1
	scratch_load_b128 v[34:37], off, off offset:416
	scratch_load_b128 v[42:45], off, off offset:272
	ds_load_b128 v[159:162], v1 offset:1184
	scratch_load_b128 v[163:166], off, off offset:432
	s_wait_loadcnt_dscnt 0xa01
	v_mul_f64_e32 v[167:168], v[40:41], v[4:5]
	v_mul_f64_e32 v[4:5], v[38:39], v[4:5]
	s_delay_alu instid0(VALU_DEP_2) | instskip(NEXT) | instid1(VALU_DEP_2)
	v_fma_f64 v[173:174], v[38:39], v[2:3], -v[167:168]
	v_fma_f64 v[175:176], v[40:41], v[2:3], v[4:5]
	ds_load_b128 v[2:5], v1 offset:1200
	s_wait_loadcnt_dscnt 0x901
	v_mul_f64_e32 v[171:172], v[159:160], v[8:9]
	v_mul_f64_e32 v[8:9], v[161:162], v[8:9]
	scratch_load_b128 v[38:41], off, off offset:448
	ds_load_b128 v[167:170], v1 offset:1216
	s_wait_loadcnt_dscnt 0x901
	v_mul_f64_e32 v[177:178], v[2:3], v[12:13]
	v_mul_f64_e32 v[12:13], v[4:5], v[12:13]
	v_fma_f64 v[161:162], v[161:162], v[6:7], v[171:172]
	v_fma_f64 v[159:160], v[159:160], v[6:7], -v[8:9]
	v_add_f64_e32 v[171:172], 0, v[173:174]
	v_add_f64_e32 v[173:174], 0, v[175:176]
	scratch_load_b128 v[6:9], off, off offset:464
	v_fma_f64 v[177:178], v[4:5], v[10:11], v[177:178]
	v_fma_f64 v[179:180], v[2:3], v[10:11], -v[12:13]
	ds_load_b128 v[2:5], v1 offset:1232
	s_wait_loadcnt_dscnt 0x901
	v_mul_f64_e32 v[175:176], v[167:168], v[16:17]
	v_mul_f64_e32 v[16:17], v[169:170], v[16:17]
	scratch_load_b128 v[10:13], off, off offset:480
	v_add_f64_e32 v[171:172], v[171:172], v[159:160]
	v_add_f64_e32 v[173:174], v[173:174], v[161:162]
	s_wait_loadcnt_dscnt 0x900
	v_mul_f64_e32 v[181:182], v[2:3], v[20:21]
	v_mul_f64_e32 v[20:21], v[4:5], v[20:21]
	ds_load_b128 v[159:162], v1 offset:1248
	v_fma_f64 v[169:170], v[169:170], v[14:15], v[175:176]
	v_fma_f64 v[167:168], v[167:168], v[14:15], -v[16:17]
	scratch_load_b128 v[14:17], off, off offset:496
	v_add_f64_e32 v[171:172], v[171:172], v[179:180]
	v_add_f64_e32 v[173:174], v[173:174], v[177:178]
	v_fma_f64 v[177:178], v[4:5], v[18:19], v[181:182]
	v_fma_f64 v[179:180], v[2:3], v[18:19], -v[20:21]
	ds_load_b128 v[2:5], v1 offset:1264
	s_wait_loadcnt_dscnt 0x901
	v_mul_f64_e32 v[175:176], v[159:160], v[24:25]
	v_mul_f64_e32 v[24:25], v[161:162], v[24:25]
	scratch_load_b128 v[18:21], off, off offset:512
	s_wait_loadcnt_dscnt 0x900
	v_mul_f64_e32 v[181:182], v[2:3], v[28:29]
	v_mul_f64_e32 v[28:29], v[4:5], v[28:29]
	v_add_f64_e32 v[171:172], v[171:172], v[167:168]
	v_add_f64_e32 v[173:174], v[173:174], v[169:170]
	ds_load_b128 v[167:170], v1 offset:1280
	v_fma_f64 v[161:162], v[161:162], v[22:23], v[175:176]
	v_fma_f64 v[159:160], v[159:160], v[22:23], -v[24:25]
	scratch_load_b128 v[22:25], off, off offset:528
	v_add_f64_e32 v[171:172], v[171:172], v[179:180]
	v_add_f64_e32 v[173:174], v[173:174], v[177:178]
	v_fma_f64 v[177:178], v[4:5], v[26:27], v[181:182]
	v_fma_f64 v[179:180], v[2:3], v[26:27], -v[28:29]
	ds_load_b128 v[2:5], v1 offset:1296
	s_wait_loadcnt_dscnt 0x901
	v_mul_f64_e32 v[175:176], v[167:168], v[32:33]
	v_mul_f64_e32 v[32:33], v[169:170], v[32:33]
	scratch_load_b128 v[26:29], off, off offset:544
	s_wait_loadcnt_dscnt 0x900
	v_mul_f64_e32 v[181:182], v[2:3], v[36:37]
	v_mul_f64_e32 v[36:37], v[4:5], v[36:37]
	v_add_f64_e32 v[171:172], v[171:172], v[159:160]
	v_add_f64_e32 v[173:174], v[173:174], v[161:162]
	ds_load_b128 v[159:162], v1 offset:1312
	v_fma_f64 v[169:170], v[169:170], v[30:31], v[175:176]
	v_fma_f64 v[167:168], v[167:168], v[30:31], -v[32:33]
	scratch_load_b128 v[30:33], off, off offset:560
	v_add_f64_e32 v[171:172], v[171:172], v[179:180]
	v_add_f64_e32 v[173:174], v[173:174], v[177:178]
	v_fma_f64 v[179:180], v[4:5], v[34:35], v[181:182]
	v_fma_f64 v[181:182], v[2:3], v[34:35], -v[36:37]
	ds_load_b128 v[2:5], v1 offset:1328
	s_wait_loadcnt_dscnt 0x801
	v_mul_f64_e32 v[175:176], v[159:160], v[165:166]
	v_mul_f64_e32 v[177:178], v[161:162], v[165:166]
	scratch_load_b128 v[34:37], off, off offset:576
	v_add_f64_e32 v[171:172], v[171:172], v[167:168]
	v_add_f64_e32 v[169:170], v[173:174], v[169:170]
	ds_load_b128 v[165:168], v1 offset:1344
	v_fma_f64 v[175:176], v[161:162], v[163:164], v[175:176]
	v_fma_f64 v[163:164], v[159:160], v[163:164], -v[177:178]
	scratch_load_b128 v[159:162], off, off offset:592
	s_wait_loadcnt_dscnt 0x901
	v_mul_f64_e32 v[173:174], v[2:3], v[40:41]
	v_mul_f64_e32 v[40:41], v[4:5], v[40:41]
	v_add_f64_e32 v[171:172], v[171:172], v[181:182]
	v_add_f64_e32 v[169:170], v[169:170], v[179:180]
	s_delay_alu instid0(VALU_DEP_4) | instskip(NEXT) | instid1(VALU_DEP_4)
	v_fma_f64 v[173:174], v[4:5], v[38:39], v[173:174]
	v_fma_f64 v[179:180], v[2:3], v[38:39], -v[40:41]
	ds_load_b128 v[2:5], v1 offset:1360
	s_wait_loadcnt_dscnt 0x801
	v_mul_f64_e32 v[177:178], v[165:166], v[8:9]
	v_mul_f64_e32 v[8:9], v[167:168], v[8:9]
	scratch_load_b128 v[38:41], off, off offset:608
	s_wait_loadcnt_dscnt 0x800
	v_mul_f64_e32 v[181:182], v[2:3], v[12:13]
	v_add_f64_e32 v[163:164], v[171:172], v[163:164]
	v_add_f64_e32 v[175:176], v[169:170], v[175:176]
	v_mul_f64_e32 v[12:13], v[4:5], v[12:13]
	ds_load_b128 v[169:172], v1 offset:1376
	v_fma_f64 v[167:168], v[167:168], v[6:7], v[177:178]
	v_fma_f64 v[165:166], v[165:166], v[6:7], -v[8:9]
	scratch_load_b128 v[6:9], off, off offset:624
	v_fma_f64 v[177:178], v[4:5], v[10:11], v[181:182]
	v_add_f64_e32 v[163:164], v[163:164], v[179:180]
	v_add_f64_e32 v[173:174], v[175:176], v[173:174]
	v_fma_f64 v[179:180], v[2:3], v[10:11], -v[12:13]
	ds_load_b128 v[2:5], v1 offset:1392
	s_wait_loadcnt_dscnt 0x801
	v_mul_f64_e32 v[175:176], v[169:170], v[16:17]
	v_mul_f64_e32 v[16:17], v[171:172], v[16:17]
	scratch_load_b128 v[10:13], off, off offset:640
	v_add_f64_e32 v[181:182], v[163:164], v[165:166]
	v_add_f64_e32 v[167:168], v[173:174], v[167:168]
	s_wait_loadcnt_dscnt 0x800
	v_mul_f64_e32 v[173:174], v[2:3], v[20:21]
	v_mul_f64_e32 v[20:21], v[4:5], v[20:21]
	v_fma_f64 v[171:172], v[171:172], v[14:15], v[175:176]
	v_fma_f64 v[169:170], v[169:170], v[14:15], -v[16:17]
	ds_load_b128 v[163:166], v1 offset:1408
	scratch_load_b128 v[14:17], off, off offset:656
	v_add_f64_e32 v[175:176], v[181:182], v[179:180]
	v_add_f64_e32 v[167:168], v[167:168], v[177:178]
	v_fma_f64 v[173:174], v[4:5], v[18:19], v[173:174]
	v_fma_f64 v[179:180], v[2:3], v[18:19], -v[20:21]
	ds_load_b128 v[2:5], v1 offset:1424
	s_wait_loadcnt_dscnt 0x801
	v_mul_f64_e32 v[177:178], v[163:164], v[24:25]
	v_mul_f64_e32 v[24:25], v[165:166], v[24:25]
	scratch_load_b128 v[18:21], off, off offset:672
	s_wait_loadcnt_dscnt 0x800
	v_mul_f64_e32 v[181:182], v[2:3], v[28:29]
	v_mul_f64_e32 v[28:29], v[4:5], v[28:29]
	v_add_f64_e32 v[175:176], v[175:176], v[169:170]
	v_add_f64_e32 v[171:172], v[167:168], v[171:172]
	ds_load_b128 v[167:170], v1 offset:1440
	v_fma_f64 v[165:166], v[165:166], v[22:23], v[177:178]
	v_fma_f64 v[163:164], v[163:164], v[22:23], -v[24:25]
	scratch_load_b128 v[22:25], off, off offset:688
	v_fma_f64 v[177:178], v[4:5], v[26:27], v[181:182]
	v_add_f64_e32 v[175:176], v[175:176], v[179:180]
	v_add_f64_e32 v[171:172], v[171:172], v[173:174]
	v_fma_f64 v[179:180], v[2:3], v[26:27], -v[28:29]
	ds_load_b128 v[2:5], v1 offset:1456
	s_wait_loadcnt_dscnt 0x801
	v_mul_f64_e32 v[173:174], v[167:168], v[32:33]
	v_mul_f64_e32 v[32:33], v[169:170], v[32:33]
	scratch_load_b128 v[26:29], off, off offset:704
	s_wait_loadcnt_dscnt 0x800
	v_mul_f64_e32 v[181:182], v[2:3], v[36:37]
	v_mul_f64_e32 v[36:37], v[4:5], v[36:37]
	v_add_f64_e32 v[175:176], v[175:176], v[163:164]
	v_add_f64_e32 v[171:172], v[171:172], v[165:166]
	ds_load_b128 v[163:166], v1 offset:1472
	v_fma_f64 v[169:170], v[169:170], v[30:31], v[173:174]
	v_fma_f64 v[167:168], v[167:168], v[30:31], -v[32:33]
	scratch_load_b128 v[30:33], off, off offset:720
	v_add_f64_e32 v[173:174], v[175:176], v[179:180]
	v_add_f64_e32 v[171:172], v[171:172], v[177:178]
	v_fma_f64 v[177:178], v[4:5], v[34:35], v[181:182]
	v_fma_f64 v[179:180], v[2:3], v[34:35], -v[36:37]
	ds_load_b128 v[2:5], v1 offset:1488
	s_wait_loadcnt_dscnt 0x801
	v_mul_f64_e32 v[175:176], v[163:164], v[161:162]
	v_mul_f64_e32 v[161:162], v[165:166], v[161:162]
	scratch_load_b128 v[34:37], off, off offset:736
	s_wait_loadcnt_dscnt 0x800
	v_mul_f64_e32 v[181:182], v[2:3], v[40:41]
	v_mul_f64_e32 v[40:41], v[4:5], v[40:41]
	v_add_f64_e32 v[173:174], v[173:174], v[167:168]
	v_add_f64_e32 v[171:172], v[171:172], v[169:170]
	ds_load_b128 v[167:170], v1 offset:1504
	v_fma_f64 v[165:166], v[165:166], v[159:160], v[175:176]
	v_fma_f64 v[163:164], v[163:164], v[159:160], -v[161:162]
	scratch_load_b128 v[159:162], off, off offset:752
	v_add_f64_e32 v[173:174], v[173:174], v[179:180]
	v_add_f64_e32 v[171:172], v[171:172], v[177:178]
	v_fma_f64 v[177:178], v[4:5], v[38:39], v[181:182]
	;; [unrolled: 18-line block ×6, first 2 shown]
	v_fma_f64 v[181:182], v[2:3], v[34:35], -v[36:37]
	ds_load_b128 v[2:5], v1 offset:1648
	s_wait_loadcnt_dscnt 0x801
	v_mul_f64_e32 v[175:176], v[167:168], v[161:162]
	v_mul_f64_e32 v[177:178], v[169:170], v[161:162]
	scratch_load_b128 v[34:37], off, off offset:896
	v_add_f64_e32 v[173:174], v[173:174], v[163:164]
	v_add_f64_e32 v[165:166], v[171:172], v[165:166]
	s_wait_loadcnt_dscnt 0x800
	v_mul_f64_e32 v[171:172], v[2:3], v[40:41]
	v_mul_f64_e32 v[40:41], v[4:5], v[40:41]
	ds_load_b128 v[161:164], v1 offset:1664
	v_fma_f64 v[169:170], v[169:170], v[159:160], v[175:176]
	v_fma_f64 v[159:160], v[167:168], v[159:160], -v[177:178]
	v_add_f64_e32 v[167:168], v[173:174], v[181:182]
	v_add_f64_e32 v[165:166], v[165:166], v[179:180]
	s_wait_loadcnt_dscnt 0x700
	v_mul_f64_e32 v[173:174], v[161:162], v[8:9]
	v_mul_f64_e32 v[8:9], v[163:164], v[8:9]
	v_fma_f64 v[171:172], v[4:5], v[38:39], v[171:172]
	v_fma_f64 v[175:176], v[2:3], v[38:39], -v[40:41]
	ds_load_b128 v[2:5], v1 offset:1680
	ds_load_b128 v[38:41], v1 offset:1696
	v_add_f64_e32 v[159:160], v[167:168], v[159:160]
	v_add_f64_e32 v[165:166], v[165:166], v[169:170]
	s_wait_loadcnt_dscnt 0x601
	v_mul_f64_e32 v[167:168], v[2:3], v[12:13]
	v_mul_f64_e32 v[12:13], v[4:5], v[12:13]
	v_fma_f64 v[163:164], v[163:164], v[6:7], v[173:174]
	v_fma_f64 v[6:7], v[161:162], v[6:7], -v[8:9]
	s_wait_loadcnt_dscnt 0x500
	v_mul_f64_e32 v[161:162], v[38:39], v[16:17]
	v_mul_f64_e32 v[16:17], v[40:41], v[16:17]
	v_add_f64_e32 v[8:9], v[159:160], v[175:176]
	v_add_f64_e32 v[159:160], v[165:166], v[171:172]
	v_fma_f64 v[165:166], v[4:5], v[10:11], v[167:168]
	v_fma_f64 v[10:11], v[2:3], v[10:11], -v[12:13]
	v_fma_f64 v[40:41], v[40:41], v[14:15], v[161:162]
	v_fma_f64 v[14:15], v[38:39], v[14:15], -v[16:17]
	v_add_f64_e32 v[12:13], v[8:9], v[6:7]
	v_add_f64_e32 v[159:160], v[159:160], v[163:164]
	ds_load_b128 v[2:5], v1 offset:1712
	ds_load_b128 v[6:9], v1 offset:1728
	s_wait_loadcnt_dscnt 0x401
	v_mul_f64_e32 v[163:164], v[2:3], v[20:21]
	v_mul_f64_e32 v[20:21], v[4:5], v[20:21]
	s_wait_loadcnt_dscnt 0x300
	v_mul_f64_e32 v[16:17], v[6:7], v[24:25]
	v_mul_f64_e32 v[24:25], v[8:9], v[24:25]
	v_add_f64_e32 v[10:11], v[12:13], v[10:11]
	v_add_f64_e32 v[12:13], v[159:160], v[165:166]
	v_fma_f64 v[38:39], v[4:5], v[18:19], v[163:164]
	v_fma_f64 v[18:19], v[2:3], v[18:19], -v[20:21]
	v_fma_f64 v[8:9], v[8:9], v[22:23], v[16:17]
	v_fma_f64 v[6:7], v[6:7], v[22:23], -v[24:25]
	v_add_f64_e32 v[14:15], v[10:11], v[14:15]
	v_add_f64_e32 v[20:21], v[12:13], v[40:41]
	ds_load_b128 v[2:5], v1 offset:1744
	ds_load_b128 v[10:13], v1 offset:1760
	s_wait_loadcnt_dscnt 0x201
	v_mul_f64_e32 v[40:41], v[2:3], v[28:29]
	v_mul_f64_e32 v[28:29], v[4:5], v[28:29]
	v_add_f64_e32 v[14:15], v[14:15], v[18:19]
	v_add_f64_e32 v[16:17], v[20:21], v[38:39]
	s_wait_loadcnt_dscnt 0x100
	v_mul_f64_e32 v[18:19], v[10:11], v[32:33]
	v_mul_f64_e32 v[20:21], v[12:13], v[32:33]
	v_fma_f64 v[22:23], v[4:5], v[26:27], v[40:41]
	v_fma_f64 v[24:25], v[2:3], v[26:27], -v[28:29]
	ds_load_b128 v[2:5], v1 offset:1776
	v_add_f64_e32 v[6:7], v[14:15], v[6:7]
	v_add_f64_e32 v[8:9], v[16:17], v[8:9]
	v_fma_f64 v[12:13], v[12:13], v[30:31], v[18:19]
	v_fma_f64 v[10:11], v[10:11], v[30:31], -v[20:21]
	s_wait_loadcnt_dscnt 0x0
	v_mul_f64_e32 v[14:15], v[2:3], v[36:37]
	v_mul_f64_e32 v[16:17], v[4:5], v[36:37]
	v_add_f64_e32 v[6:7], v[6:7], v[24:25]
	v_add_f64_e32 v[8:9], v[8:9], v[22:23]
	s_delay_alu instid0(VALU_DEP_4) | instskip(NEXT) | instid1(VALU_DEP_4)
	v_fma_f64 v[4:5], v[4:5], v[34:35], v[14:15]
	v_fma_f64 v[2:3], v[2:3], v[34:35], -v[16:17]
	s_delay_alu instid0(VALU_DEP_4) | instskip(NEXT) | instid1(VALU_DEP_4)
	v_add_f64_e32 v[6:7], v[6:7], v[10:11]
	v_add_f64_e32 v[8:9], v[8:9], v[12:13]
	s_delay_alu instid0(VALU_DEP_2) | instskip(NEXT) | instid1(VALU_DEP_2)
	v_add_f64_e32 v[2:3], v[6:7], v[2:3]
	v_add_f64_e32 v[4:5], v[8:9], v[4:5]
	s_delay_alu instid0(VALU_DEP_2) | instskip(NEXT) | instid1(VALU_DEP_2)
	v_add_f64_e64 v[2:3], v[42:43], -v[2:3]
	v_add_f64_e64 v[4:5], v[44:45], -v[4:5]
	scratch_store_b128 off, v[2:5], off offset:272
	v_cmpx_lt_u32_e32 15, v0
	s_cbranch_execz .LBB119_319
; %bb.318:
	scratch_load_b128 v[5:8], off, s54
	v_dual_mov_b32 v2, v1 :: v_dual_mov_b32 v3, v1
	v_mov_b32_e32 v4, v1
	scratch_store_b128 off, v[1:4], off offset:256
	s_wait_loadcnt 0x0
	ds_store_b128 v158, v[5:8]
.LBB119_319:
	s_wait_alu 0xfffe
	s_or_b32 exec_lo, exec_lo, s0
	s_wait_storecnt_dscnt 0x0
	s_barrier_signal -1
	s_barrier_wait -1
	global_inv scope:SCOPE_SE
	s_clause 0x8
	scratch_load_b128 v[2:5], off, off offset:272
	scratch_load_b128 v[6:9], off, off offset:288
	;; [unrolled: 1-line block ×9, first 2 shown]
	ds_load_b128 v[42:45], v1 offset:1152
	ds_load_b128 v[38:41], v1 offset:1168
	s_clause 0x1
	scratch_load_b128 v[159:162], off, off offset:256
	scratch_load_b128 v[163:166], off, off offset:416
	s_mov_b32 s0, exec_lo
	s_wait_loadcnt_dscnt 0xa01
	v_mul_f64_e32 v[167:168], v[44:45], v[4:5]
	v_mul_f64_e32 v[4:5], v[42:43], v[4:5]
	s_wait_loadcnt_dscnt 0x900
	v_mul_f64_e32 v[171:172], v[38:39], v[8:9]
	v_mul_f64_e32 v[8:9], v[40:41], v[8:9]
	s_delay_alu instid0(VALU_DEP_4) | instskip(NEXT) | instid1(VALU_DEP_4)
	v_fma_f64 v[173:174], v[42:43], v[2:3], -v[167:168]
	v_fma_f64 v[175:176], v[44:45], v[2:3], v[4:5]
	ds_load_b128 v[2:5], v1 offset:1184
	ds_load_b128 v[167:170], v1 offset:1200
	scratch_load_b128 v[42:45], off, off offset:432
	v_fma_f64 v[40:41], v[40:41], v[6:7], v[171:172]
	v_fma_f64 v[38:39], v[38:39], v[6:7], -v[8:9]
	scratch_load_b128 v[6:9], off, off offset:448
	s_wait_loadcnt_dscnt 0xa01
	v_mul_f64_e32 v[177:178], v[2:3], v[12:13]
	v_mul_f64_e32 v[12:13], v[4:5], v[12:13]
	v_add_f64_e32 v[171:172], 0, v[173:174]
	v_add_f64_e32 v[173:174], 0, v[175:176]
	s_wait_loadcnt_dscnt 0x900
	v_mul_f64_e32 v[175:176], v[167:168], v[16:17]
	v_mul_f64_e32 v[16:17], v[169:170], v[16:17]
	v_fma_f64 v[177:178], v[4:5], v[10:11], v[177:178]
	v_fma_f64 v[179:180], v[2:3], v[10:11], -v[12:13]
	ds_load_b128 v[2:5], v1 offset:1216
	scratch_load_b128 v[10:13], off, off offset:464
	v_add_f64_e32 v[171:172], v[171:172], v[38:39]
	v_add_f64_e32 v[173:174], v[173:174], v[40:41]
	ds_load_b128 v[38:41], v1 offset:1232
	v_fma_f64 v[169:170], v[169:170], v[14:15], v[175:176]
	v_fma_f64 v[167:168], v[167:168], v[14:15], -v[16:17]
	scratch_load_b128 v[14:17], off, off offset:480
	s_wait_loadcnt_dscnt 0xa01
	v_mul_f64_e32 v[181:182], v[2:3], v[20:21]
	v_mul_f64_e32 v[20:21], v[4:5], v[20:21]
	s_wait_loadcnt_dscnt 0x900
	v_mul_f64_e32 v[175:176], v[38:39], v[24:25]
	v_mul_f64_e32 v[24:25], v[40:41], v[24:25]
	v_add_f64_e32 v[171:172], v[171:172], v[179:180]
	v_add_f64_e32 v[173:174], v[173:174], v[177:178]
	v_fma_f64 v[177:178], v[4:5], v[18:19], v[181:182]
	v_fma_f64 v[179:180], v[2:3], v[18:19], -v[20:21]
	ds_load_b128 v[2:5], v1 offset:1248
	scratch_load_b128 v[18:21], off, off offset:496
	v_fma_f64 v[40:41], v[40:41], v[22:23], v[175:176]
	v_fma_f64 v[38:39], v[38:39], v[22:23], -v[24:25]
	scratch_load_b128 v[22:25], off, off offset:512
	v_add_f64_e32 v[171:172], v[171:172], v[167:168]
	v_add_f64_e32 v[173:174], v[173:174], v[169:170]
	ds_load_b128 v[167:170], v1 offset:1264
	s_wait_loadcnt_dscnt 0xa01
	v_mul_f64_e32 v[181:182], v[2:3], v[28:29]
	v_mul_f64_e32 v[28:29], v[4:5], v[28:29]
	s_wait_loadcnt_dscnt 0x900
	v_mul_f64_e32 v[175:176], v[167:168], v[32:33]
	v_mul_f64_e32 v[32:33], v[169:170], v[32:33]
	v_add_f64_e32 v[171:172], v[171:172], v[179:180]
	v_add_f64_e32 v[173:174], v[173:174], v[177:178]
	v_fma_f64 v[177:178], v[4:5], v[26:27], v[181:182]
	v_fma_f64 v[179:180], v[2:3], v[26:27], -v[28:29]
	ds_load_b128 v[2:5], v1 offset:1280
	scratch_load_b128 v[26:29], off, off offset:528
	v_fma_f64 v[169:170], v[169:170], v[30:31], v[175:176]
	v_fma_f64 v[167:168], v[167:168], v[30:31], -v[32:33]
	scratch_load_b128 v[30:33], off, off offset:544
	v_add_f64_e32 v[171:172], v[171:172], v[38:39]
	v_add_f64_e32 v[173:174], v[173:174], v[40:41]
	ds_load_b128 v[38:41], v1 offset:1296
	s_wait_loadcnt_dscnt 0xa01
	v_mul_f64_e32 v[181:182], v[2:3], v[36:37]
	v_mul_f64_e32 v[36:37], v[4:5], v[36:37]
	s_wait_loadcnt_dscnt 0x800
	v_mul_f64_e32 v[175:176], v[38:39], v[165:166]
	v_add_f64_e32 v[171:172], v[171:172], v[179:180]
	v_add_f64_e32 v[173:174], v[173:174], v[177:178]
	v_mul_f64_e32 v[177:178], v[40:41], v[165:166]
	v_fma_f64 v[179:180], v[4:5], v[34:35], v[181:182]
	v_fma_f64 v[181:182], v[2:3], v[34:35], -v[36:37]
	ds_load_b128 v[2:5], v1 offset:1312
	scratch_load_b128 v[34:37], off, off offset:560
	v_fma_f64 v[175:176], v[40:41], v[163:164], v[175:176]
	v_add_f64_e32 v[171:172], v[171:172], v[167:168]
	v_add_f64_e32 v[169:170], v[173:174], v[169:170]
	ds_load_b128 v[165:168], v1 offset:1328
	v_fma_f64 v[163:164], v[38:39], v[163:164], -v[177:178]
	scratch_load_b128 v[38:41], off, off offset:576
	s_wait_loadcnt_dscnt 0x901
	v_mul_f64_e32 v[173:174], v[2:3], v[44:45]
	v_mul_f64_e32 v[44:45], v[4:5], v[44:45]
	s_wait_loadcnt_dscnt 0x800
	v_mul_f64_e32 v[177:178], v[165:166], v[8:9]
	v_mul_f64_e32 v[8:9], v[167:168], v[8:9]
	v_add_f64_e32 v[171:172], v[171:172], v[181:182]
	v_add_f64_e32 v[169:170], v[169:170], v[179:180]
	v_fma_f64 v[173:174], v[4:5], v[42:43], v[173:174]
	v_fma_f64 v[179:180], v[2:3], v[42:43], -v[44:45]
	ds_load_b128 v[2:5], v1 offset:1344
	scratch_load_b128 v[42:45], off, off offset:592
	v_fma_f64 v[167:168], v[167:168], v[6:7], v[177:178]
	v_fma_f64 v[165:166], v[165:166], v[6:7], -v[8:9]
	scratch_load_b128 v[6:9], off, off offset:608
	v_add_f64_e32 v[163:164], v[171:172], v[163:164]
	v_add_f64_e32 v[175:176], v[169:170], v[175:176]
	ds_load_b128 v[169:172], v1 offset:1360
	s_wait_loadcnt_dscnt 0x901
	v_mul_f64_e32 v[181:182], v[2:3], v[12:13]
	v_mul_f64_e32 v[12:13], v[4:5], v[12:13]
	v_add_f64_e32 v[163:164], v[163:164], v[179:180]
	v_add_f64_e32 v[173:174], v[175:176], v[173:174]
	s_wait_loadcnt_dscnt 0x800
	v_mul_f64_e32 v[175:176], v[169:170], v[16:17]
	v_mul_f64_e32 v[16:17], v[171:172], v[16:17]
	v_fma_f64 v[177:178], v[4:5], v[10:11], v[181:182]
	v_fma_f64 v[179:180], v[2:3], v[10:11], -v[12:13]
	ds_load_b128 v[2:5], v1 offset:1376
	scratch_load_b128 v[10:13], off, off offset:624
	v_add_f64_e32 v[181:182], v[163:164], v[165:166]
	v_add_f64_e32 v[167:168], v[173:174], v[167:168]
	ds_load_b128 v[163:166], v1 offset:1392
	s_wait_loadcnt_dscnt 0x801
	v_mul_f64_e32 v[173:174], v[2:3], v[20:21]
	v_mul_f64_e32 v[20:21], v[4:5], v[20:21]
	v_fma_f64 v[171:172], v[171:172], v[14:15], v[175:176]
	v_fma_f64 v[169:170], v[169:170], v[14:15], -v[16:17]
	scratch_load_b128 v[14:17], off, off offset:640
	v_add_f64_e32 v[175:176], v[181:182], v[179:180]
	v_add_f64_e32 v[167:168], v[167:168], v[177:178]
	s_wait_loadcnt_dscnt 0x800
	v_mul_f64_e32 v[177:178], v[163:164], v[24:25]
	v_mul_f64_e32 v[24:25], v[165:166], v[24:25]
	v_fma_f64 v[173:174], v[4:5], v[18:19], v[173:174]
	v_fma_f64 v[179:180], v[2:3], v[18:19], -v[20:21]
	ds_load_b128 v[2:5], v1 offset:1408
	scratch_load_b128 v[18:21], off, off offset:656
	v_add_f64_e32 v[175:176], v[175:176], v[169:170]
	v_add_f64_e32 v[171:172], v[167:168], v[171:172]
	ds_load_b128 v[167:170], v1 offset:1424
	s_wait_loadcnt_dscnt 0x801
	v_mul_f64_e32 v[181:182], v[2:3], v[28:29]
	v_mul_f64_e32 v[28:29], v[4:5], v[28:29]
	v_fma_f64 v[165:166], v[165:166], v[22:23], v[177:178]
	v_fma_f64 v[163:164], v[163:164], v[22:23], -v[24:25]
	scratch_load_b128 v[22:25], off, off offset:672
	;; [unrolled: 18-line block ×4, first 2 shown]
	s_wait_loadcnt_dscnt 0x800
	v_mul_f64_e32 v[175:176], v[167:168], v[8:9]
	v_mul_f64_e32 v[8:9], v[169:170], v[8:9]
	v_add_f64_e32 v[173:174], v[173:174], v[179:180]
	v_add_f64_e32 v[171:172], v[171:172], v[177:178]
	v_fma_f64 v[177:178], v[4:5], v[42:43], v[181:182]
	v_fma_f64 v[179:180], v[2:3], v[42:43], -v[44:45]
	ds_load_b128 v[2:5], v1 offset:1504
	scratch_load_b128 v[42:45], off, off offset:752
	v_fma_f64 v[169:170], v[169:170], v[6:7], v[175:176]
	v_fma_f64 v[167:168], v[167:168], v[6:7], -v[8:9]
	scratch_load_b128 v[6:9], off, off offset:768
	v_add_f64_e32 v[173:174], v[173:174], v[163:164]
	v_add_f64_e32 v[171:172], v[171:172], v[165:166]
	ds_load_b128 v[163:166], v1 offset:1520
	s_wait_loadcnt_dscnt 0x901
	v_mul_f64_e32 v[181:182], v[2:3], v[12:13]
	v_mul_f64_e32 v[12:13], v[4:5], v[12:13]
	s_wait_loadcnt_dscnt 0x800
	v_mul_f64_e32 v[175:176], v[163:164], v[16:17]
	v_mul_f64_e32 v[16:17], v[165:166], v[16:17]
	v_add_f64_e32 v[173:174], v[173:174], v[179:180]
	v_add_f64_e32 v[171:172], v[171:172], v[177:178]
	v_fma_f64 v[177:178], v[4:5], v[10:11], v[181:182]
	v_fma_f64 v[179:180], v[2:3], v[10:11], -v[12:13]
	ds_load_b128 v[2:5], v1 offset:1536
	scratch_load_b128 v[10:13], off, off offset:784
	v_fma_f64 v[165:166], v[165:166], v[14:15], v[175:176]
	v_fma_f64 v[163:164], v[163:164], v[14:15], -v[16:17]
	scratch_load_b128 v[14:17], off, off offset:800
	v_add_f64_e32 v[173:174], v[173:174], v[167:168]
	v_add_f64_e32 v[171:172], v[171:172], v[169:170]
	ds_load_b128 v[167:170], v1 offset:1552
	s_wait_loadcnt_dscnt 0x901
	v_mul_f64_e32 v[181:182], v[2:3], v[20:21]
	v_mul_f64_e32 v[20:21], v[4:5], v[20:21]
	;; [unrolled: 18-line block ×5, first 2 shown]
	s_wait_loadcnt_dscnt 0x800
	v_mul_f64_e32 v[175:176], v[163:164], v[8:9]
	v_mul_f64_e32 v[8:9], v[165:166], v[8:9]
	v_add_f64_e32 v[173:174], v[173:174], v[179:180]
	v_add_f64_e32 v[171:172], v[171:172], v[177:178]
	v_fma_f64 v[177:178], v[4:5], v[42:43], v[181:182]
	v_fma_f64 v[179:180], v[2:3], v[42:43], -v[44:45]
	ds_load_b128 v[2:5], v1 offset:1664
	ds_load_b128 v[42:45], v1 offset:1680
	v_fma_f64 v[165:166], v[165:166], v[6:7], v[175:176]
	v_fma_f64 v[6:7], v[163:164], v[6:7], -v[8:9]
	v_add_f64_e32 v[167:168], v[173:174], v[167:168]
	v_add_f64_e32 v[169:170], v[171:172], v[169:170]
	s_wait_loadcnt_dscnt 0x701
	v_mul_f64_e32 v[171:172], v[2:3], v[12:13]
	v_mul_f64_e32 v[12:13], v[4:5], v[12:13]
	s_delay_alu instid0(VALU_DEP_4) | instskip(NEXT) | instid1(VALU_DEP_4)
	v_add_f64_e32 v[8:9], v[167:168], v[179:180]
	v_add_f64_e32 v[163:164], v[169:170], v[177:178]
	s_wait_loadcnt_dscnt 0x600
	v_mul_f64_e32 v[167:168], v[42:43], v[16:17]
	v_mul_f64_e32 v[16:17], v[44:45], v[16:17]
	v_fma_f64 v[169:170], v[4:5], v[10:11], v[171:172]
	v_fma_f64 v[10:11], v[2:3], v[10:11], -v[12:13]
	v_add_f64_e32 v[12:13], v[8:9], v[6:7]
	v_add_f64_e32 v[163:164], v[163:164], v[165:166]
	ds_load_b128 v[2:5], v1 offset:1696
	ds_load_b128 v[6:9], v1 offset:1712
	v_fma_f64 v[44:45], v[44:45], v[14:15], v[167:168]
	v_fma_f64 v[14:15], v[42:43], v[14:15], -v[16:17]
	s_wait_loadcnt_dscnt 0x501
	v_mul_f64_e32 v[165:166], v[2:3], v[20:21]
	v_mul_f64_e32 v[20:21], v[4:5], v[20:21]
	s_wait_loadcnt_dscnt 0x400
	v_mul_f64_e32 v[16:17], v[6:7], v[24:25]
	v_mul_f64_e32 v[24:25], v[8:9], v[24:25]
	v_add_f64_e32 v[10:11], v[12:13], v[10:11]
	v_add_f64_e32 v[12:13], v[163:164], v[169:170]
	v_fma_f64 v[42:43], v[4:5], v[18:19], v[165:166]
	v_fma_f64 v[18:19], v[2:3], v[18:19], -v[20:21]
	v_fma_f64 v[8:9], v[8:9], v[22:23], v[16:17]
	v_fma_f64 v[6:7], v[6:7], v[22:23], -v[24:25]
	v_add_f64_e32 v[14:15], v[10:11], v[14:15]
	v_add_f64_e32 v[20:21], v[12:13], v[44:45]
	ds_load_b128 v[2:5], v1 offset:1728
	ds_load_b128 v[10:13], v1 offset:1744
	s_wait_loadcnt_dscnt 0x301
	v_mul_f64_e32 v[44:45], v[2:3], v[28:29]
	v_mul_f64_e32 v[28:29], v[4:5], v[28:29]
	v_add_f64_e32 v[14:15], v[14:15], v[18:19]
	v_add_f64_e32 v[16:17], v[20:21], v[42:43]
	s_wait_loadcnt_dscnt 0x200
	v_mul_f64_e32 v[18:19], v[10:11], v[32:33]
	v_mul_f64_e32 v[20:21], v[12:13], v[32:33]
	v_fma_f64 v[22:23], v[4:5], v[26:27], v[44:45]
	v_fma_f64 v[24:25], v[2:3], v[26:27], -v[28:29]
	v_add_f64_e32 v[14:15], v[14:15], v[6:7]
	v_add_f64_e32 v[16:17], v[16:17], v[8:9]
	ds_load_b128 v[2:5], v1 offset:1760
	ds_load_b128 v[6:9], v1 offset:1776
	v_fma_f64 v[12:13], v[12:13], v[30:31], v[18:19]
	v_fma_f64 v[10:11], v[10:11], v[30:31], -v[20:21]
	s_wait_loadcnt_dscnt 0x101
	v_mul_f64_e32 v[26:27], v[2:3], v[36:37]
	v_mul_f64_e32 v[28:29], v[4:5], v[36:37]
	s_wait_loadcnt_dscnt 0x0
	v_mul_f64_e32 v[18:19], v[6:7], v[40:41]
	v_mul_f64_e32 v[20:21], v[8:9], v[40:41]
	v_add_f64_e32 v[14:15], v[14:15], v[24:25]
	v_add_f64_e32 v[16:17], v[16:17], v[22:23]
	v_fma_f64 v[4:5], v[4:5], v[34:35], v[26:27]
	v_fma_f64 v[1:2], v[2:3], v[34:35], -v[28:29]
	v_fma_f64 v[8:9], v[8:9], v[38:39], v[18:19]
	v_fma_f64 v[6:7], v[6:7], v[38:39], -v[20:21]
	v_add_f64_e32 v[10:11], v[14:15], v[10:11]
	v_add_f64_e32 v[12:13], v[16:17], v[12:13]
	s_delay_alu instid0(VALU_DEP_2) | instskip(NEXT) | instid1(VALU_DEP_2)
	v_add_f64_e32 v[1:2], v[10:11], v[1:2]
	v_add_f64_e32 v[3:4], v[12:13], v[4:5]
	s_delay_alu instid0(VALU_DEP_2) | instskip(NEXT) | instid1(VALU_DEP_2)
	v_add_f64_e32 v[1:2], v[1:2], v[6:7]
	v_add_f64_e32 v[3:4], v[3:4], v[8:9]
	s_delay_alu instid0(VALU_DEP_2) | instskip(NEXT) | instid1(VALU_DEP_2)
	v_add_f64_e64 v[1:2], v[159:160], -v[1:2]
	v_add_f64_e64 v[3:4], v[161:162], -v[3:4]
	scratch_store_b128 off, v[1:4], off offset:256
	v_cmpx_lt_u32_e32 14, v0
	s_cbranch_execz .LBB119_321
; %bb.320:
	scratch_load_b128 v[1:4], off, s55
	v_mov_b32_e32 v5, 0
	s_delay_alu instid0(VALU_DEP_1)
	v_dual_mov_b32 v6, v5 :: v_dual_mov_b32 v7, v5
	v_mov_b32_e32 v8, v5
	scratch_store_b128 off, v[5:8], off offset:240
	s_wait_loadcnt 0x0
	ds_store_b128 v158, v[1:4]
.LBB119_321:
	s_wait_alu 0xfffe
	s_or_b32 exec_lo, exec_lo, s0
	s_wait_storecnt_dscnt 0x0
	s_barrier_signal -1
	s_barrier_wait -1
	global_inv scope:SCOPE_SE
	s_clause 0x7
	scratch_load_b128 v[2:5], off, off offset:256
	scratch_load_b128 v[6:9], off, off offset:272
	;; [unrolled: 1-line block ×8, first 2 shown]
	v_mov_b32_e32 v1, 0
	s_mov_b32 s0, exec_lo
	ds_load_b128 v[38:41], v1 offset:1136
	s_clause 0x1
	scratch_load_b128 v[34:37], off, off offset:384
	scratch_load_b128 v[42:45], off, off offset:240
	ds_load_b128 v[159:162], v1 offset:1152
	scratch_load_b128 v[163:166], off, off offset:400
	s_wait_loadcnt_dscnt 0xa01
	v_mul_f64_e32 v[167:168], v[40:41], v[4:5]
	v_mul_f64_e32 v[4:5], v[38:39], v[4:5]
	s_delay_alu instid0(VALU_DEP_2) | instskip(NEXT) | instid1(VALU_DEP_2)
	v_fma_f64 v[173:174], v[38:39], v[2:3], -v[167:168]
	v_fma_f64 v[175:176], v[40:41], v[2:3], v[4:5]
	ds_load_b128 v[2:5], v1 offset:1168
	s_wait_loadcnt_dscnt 0x901
	v_mul_f64_e32 v[171:172], v[159:160], v[8:9]
	v_mul_f64_e32 v[8:9], v[161:162], v[8:9]
	scratch_load_b128 v[38:41], off, off offset:416
	ds_load_b128 v[167:170], v1 offset:1184
	s_wait_loadcnt_dscnt 0x901
	v_mul_f64_e32 v[177:178], v[2:3], v[12:13]
	v_mul_f64_e32 v[12:13], v[4:5], v[12:13]
	v_fma_f64 v[161:162], v[161:162], v[6:7], v[171:172]
	v_fma_f64 v[159:160], v[159:160], v[6:7], -v[8:9]
	v_add_f64_e32 v[171:172], 0, v[173:174]
	v_add_f64_e32 v[173:174], 0, v[175:176]
	scratch_load_b128 v[6:9], off, off offset:432
	v_fma_f64 v[177:178], v[4:5], v[10:11], v[177:178]
	v_fma_f64 v[179:180], v[2:3], v[10:11], -v[12:13]
	ds_load_b128 v[2:5], v1 offset:1200
	s_wait_loadcnt_dscnt 0x901
	v_mul_f64_e32 v[175:176], v[167:168], v[16:17]
	v_mul_f64_e32 v[16:17], v[169:170], v[16:17]
	scratch_load_b128 v[10:13], off, off offset:448
	v_add_f64_e32 v[171:172], v[171:172], v[159:160]
	v_add_f64_e32 v[173:174], v[173:174], v[161:162]
	s_wait_loadcnt_dscnt 0x900
	v_mul_f64_e32 v[181:182], v[2:3], v[20:21]
	v_mul_f64_e32 v[20:21], v[4:5], v[20:21]
	ds_load_b128 v[159:162], v1 offset:1216
	v_fma_f64 v[169:170], v[169:170], v[14:15], v[175:176]
	v_fma_f64 v[167:168], v[167:168], v[14:15], -v[16:17]
	scratch_load_b128 v[14:17], off, off offset:464
	v_add_f64_e32 v[171:172], v[171:172], v[179:180]
	v_add_f64_e32 v[173:174], v[173:174], v[177:178]
	v_fma_f64 v[177:178], v[4:5], v[18:19], v[181:182]
	v_fma_f64 v[179:180], v[2:3], v[18:19], -v[20:21]
	ds_load_b128 v[2:5], v1 offset:1232
	s_wait_loadcnt_dscnt 0x901
	v_mul_f64_e32 v[175:176], v[159:160], v[24:25]
	v_mul_f64_e32 v[24:25], v[161:162], v[24:25]
	scratch_load_b128 v[18:21], off, off offset:480
	s_wait_loadcnt_dscnt 0x900
	v_mul_f64_e32 v[181:182], v[2:3], v[28:29]
	v_mul_f64_e32 v[28:29], v[4:5], v[28:29]
	v_add_f64_e32 v[171:172], v[171:172], v[167:168]
	v_add_f64_e32 v[173:174], v[173:174], v[169:170]
	ds_load_b128 v[167:170], v1 offset:1248
	v_fma_f64 v[161:162], v[161:162], v[22:23], v[175:176]
	v_fma_f64 v[159:160], v[159:160], v[22:23], -v[24:25]
	scratch_load_b128 v[22:25], off, off offset:496
	v_add_f64_e32 v[171:172], v[171:172], v[179:180]
	v_add_f64_e32 v[173:174], v[173:174], v[177:178]
	v_fma_f64 v[177:178], v[4:5], v[26:27], v[181:182]
	v_fma_f64 v[179:180], v[2:3], v[26:27], -v[28:29]
	ds_load_b128 v[2:5], v1 offset:1264
	s_wait_loadcnt_dscnt 0x901
	v_mul_f64_e32 v[175:176], v[167:168], v[32:33]
	v_mul_f64_e32 v[32:33], v[169:170], v[32:33]
	scratch_load_b128 v[26:29], off, off offset:512
	s_wait_loadcnt_dscnt 0x900
	v_mul_f64_e32 v[181:182], v[2:3], v[36:37]
	v_mul_f64_e32 v[36:37], v[4:5], v[36:37]
	v_add_f64_e32 v[171:172], v[171:172], v[159:160]
	v_add_f64_e32 v[173:174], v[173:174], v[161:162]
	ds_load_b128 v[159:162], v1 offset:1280
	v_fma_f64 v[169:170], v[169:170], v[30:31], v[175:176]
	v_fma_f64 v[167:168], v[167:168], v[30:31], -v[32:33]
	scratch_load_b128 v[30:33], off, off offset:528
	v_add_f64_e32 v[171:172], v[171:172], v[179:180]
	v_add_f64_e32 v[173:174], v[173:174], v[177:178]
	v_fma_f64 v[179:180], v[4:5], v[34:35], v[181:182]
	v_fma_f64 v[181:182], v[2:3], v[34:35], -v[36:37]
	ds_load_b128 v[2:5], v1 offset:1296
	s_wait_loadcnt_dscnt 0x801
	v_mul_f64_e32 v[175:176], v[159:160], v[165:166]
	v_mul_f64_e32 v[177:178], v[161:162], v[165:166]
	scratch_load_b128 v[34:37], off, off offset:544
	v_add_f64_e32 v[171:172], v[171:172], v[167:168]
	v_add_f64_e32 v[169:170], v[173:174], v[169:170]
	ds_load_b128 v[165:168], v1 offset:1312
	v_fma_f64 v[175:176], v[161:162], v[163:164], v[175:176]
	v_fma_f64 v[163:164], v[159:160], v[163:164], -v[177:178]
	scratch_load_b128 v[159:162], off, off offset:560
	s_wait_loadcnt_dscnt 0x901
	v_mul_f64_e32 v[173:174], v[2:3], v[40:41]
	v_mul_f64_e32 v[40:41], v[4:5], v[40:41]
	v_add_f64_e32 v[171:172], v[171:172], v[181:182]
	v_add_f64_e32 v[169:170], v[169:170], v[179:180]
	s_delay_alu instid0(VALU_DEP_4) | instskip(NEXT) | instid1(VALU_DEP_4)
	v_fma_f64 v[173:174], v[4:5], v[38:39], v[173:174]
	v_fma_f64 v[179:180], v[2:3], v[38:39], -v[40:41]
	ds_load_b128 v[2:5], v1 offset:1328
	s_wait_loadcnt_dscnt 0x801
	v_mul_f64_e32 v[177:178], v[165:166], v[8:9]
	v_mul_f64_e32 v[8:9], v[167:168], v[8:9]
	scratch_load_b128 v[38:41], off, off offset:576
	s_wait_loadcnt_dscnt 0x800
	v_mul_f64_e32 v[181:182], v[2:3], v[12:13]
	v_add_f64_e32 v[163:164], v[171:172], v[163:164]
	v_add_f64_e32 v[175:176], v[169:170], v[175:176]
	v_mul_f64_e32 v[12:13], v[4:5], v[12:13]
	ds_load_b128 v[169:172], v1 offset:1344
	v_fma_f64 v[167:168], v[167:168], v[6:7], v[177:178]
	v_fma_f64 v[165:166], v[165:166], v[6:7], -v[8:9]
	scratch_load_b128 v[6:9], off, off offset:592
	v_fma_f64 v[177:178], v[4:5], v[10:11], v[181:182]
	v_add_f64_e32 v[163:164], v[163:164], v[179:180]
	v_add_f64_e32 v[173:174], v[175:176], v[173:174]
	v_fma_f64 v[179:180], v[2:3], v[10:11], -v[12:13]
	ds_load_b128 v[2:5], v1 offset:1360
	s_wait_loadcnt_dscnt 0x801
	v_mul_f64_e32 v[175:176], v[169:170], v[16:17]
	v_mul_f64_e32 v[16:17], v[171:172], v[16:17]
	scratch_load_b128 v[10:13], off, off offset:608
	v_add_f64_e32 v[181:182], v[163:164], v[165:166]
	v_add_f64_e32 v[167:168], v[173:174], v[167:168]
	s_wait_loadcnt_dscnt 0x800
	v_mul_f64_e32 v[173:174], v[2:3], v[20:21]
	v_mul_f64_e32 v[20:21], v[4:5], v[20:21]
	v_fma_f64 v[171:172], v[171:172], v[14:15], v[175:176]
	v_fma_f64 v[169:170], v[169:170], v[14:15], -v[16:17]
	ds_load_b128 v[163:166], v1 offset:1376
	scratch_load_b128 v[14:17], off, off offset:624
	v_add_f64_e32 v[175:176], v[181:182], v[179:180]
	v_add_f64_e32 v[167:168], v[167:168], v[177:178]
	v_fma_f64 v[173:174], v[4:5], v[18:19], v[173:174]
	v_fma_f64 v[179:180], v[2:3], v[18:19], -v[20:21]
	ds_load_b128 v[2:5], v1 offset:1392
	s_wait_loadcnt_dscnt 0x801
	v_mul_f64_e32 v[177:178], v[163:164], v[24:25]
	v_mul_f64_e32 v[24:25], v[165:166], v[24:25]
	scratch_load_b128 v[18:21], off, off offset:640
	s_wait_loadcnt_dscnt 0x800
	v_mul_f64_e32 v[181:182], v[2:3], v[28:29]
	v_mul_f64_e32 v[28:29], v[4:5], v[28:29]
	v_add_f64_e32 v[175:176], v[175:176], v[169:170]
	v_add_f64_e32 v[171:172], v[167:168], v[171:172]
	ds_load_b128 v[167:170], v1 offset:1408
	v_fma_f64 v[165:166], v[165:166], v[22:23], v[177:178]
	v_fma_f64 v[163:164], v[163:164], v[22:23], -v[24:25]
	scratch_load_b128 v[22:25], off, off offset:656
	v_fma_f64 v[177:178], v[4:5], v[26:27], v[181:182]
	v_add_f64_e32 v[175:176], v[175:176], v[179:180]
	v_add_f64_e32 v[171:172], v[171:172], v[173:174]
	v_fma_f64 v[179:180], v[2:3], v[26:27], -v[28:29]
	ds_load_b128 v[2:5], v1 offset:1424
	s_wait_loadcnt_dscnt 0x801
	v_mul_f64_e32 v[173:174], v[167:168], v[32:33]
	v_mul_f64_e32 v[32:33], v[169:170], v[32:33]
	scratch_load_b128 v[26:29], off, off offset:672
	s_wait_loadcnt_dscnt 0x800
	v_mul_f64_e32 v[181:182], v[2:3], v[36:37]
	v_mul_f64_e32 v[36:37], v[4:5], v[36:37]
	v_add_f64_e32 v[175:176], v[175:176], v[163:164]
	v_add_f64_e32 v[171:172], v[171:172], v[165:166]
	ds_load_b128 v[163:166], v1 offset:1440
	v_fma_f64 v[169:170], v[169:170], v[30:31], v[173:174]
	v_fma_f64 v[167:168], v[167:168], v[30:31], -v[32:33]
	scratch_load_b128 v[30:33], off, off offset:688
	v_add_f64_e32 v[173:174], v[175:176], v[179:180]
	v_add_f64_e32 v[171:172], v[171:172], v[177:178]
	v_fma_f64 v[177:178], v[4:5], v[34:35], v[181:182]
	v_fma_f64 v[179:180], v[2:3], v[34:35], -v[36:37]
	ds_load_b128 v[2:5], v1 offset:1456
	s_wait_loadcnt_dscnt 0x801
	v_mul_f64_e32 v[175:176], v[163:164], v[161:162]
	v_mul_f64_e32 v[161:162], v[165:166], v[161:162]
	scratch_load_b128 v[34:37], off, off offset:704
	s_wait_loadcnt_dscnt 0x800
	v_mul_f64_e32 v[181:182], v[2:3], v[40:41]
	v_mul_f64_e32 v[40:41], v[4:5], v[40:41]
	v_add_f64_e32 v[173:174], v[173:174], v[167:168]
	v_add_f64_e32 v[171:172], v[171:172], v[169:170]
	ds_load_b128 v[167:170], v1 offset:1472
	v_fma_f64 v[165:166], v[165:166], v[159:160], v[175:176]
	v_fma_f64 v[163:164], v[163:164], v[159:160], -v[161:162]
	scratch_load_b128 v[159:162], off, off offset:720
	v_add_f64_e32 v[173:174], v[173:174], v[179:180]
	v_add_f64_e32 v[171:172], v[171:172], v[177:178]
	v_fma_f64 v[177:178], v[4:5], v[38:39], v[181:182]
	;; [unrolled: 18-line block ×6, first 2 shown]
	v_fma_f64 v[181:182], v[2:3], v[34:35], -v[36:37]
	ds_load_b128 v[2:5], v1 offset:1616
	s_wait_loadcnt_dscnt 0x801
	v_mul_f64_e32 v[175:176], v[167:168], v[161:162]
	v_mul_f64_e32 v[177:178], v[169:170], v[161:162]
	scratch_load_b128 v[34:37], off, off offset:864
	v_add_f64_e32 v[173:174], v[173:174], v[163:164]
	v_add_f64_e32 v[165:166], v[171:172], v[165:166]
	s_wait_loadcnt_dscnt 0x800
	v_mul_f64_e32 v[171:172], v[2:3], v[40:41]
	v_mul_f64_e32 v[40:41], v[4:5], v[40:41]
	ds_load_b128 v[161:164], v1 offset:1632
	v_fma_f64 v[169:170], v[169:170], v[159:160], v[175:176]
	v_fma_f64 v[159:160], v[167:168], v[159:160], -v[177:178]
	v_add_f64_e32 v[173:174], v[173:174], v[181:182]
	v_add_f64_e32 v[175:176], v[165:166], v[179:180]
	scratch_load_b128 v[165:168], off, off offset:880
	v_fma_f64 v[179:180], v[4:5], v[38:39], v[171:172]
	v_fma_f64 v[181:182], v[2:3], v[38:39], -v[40:41]
	ds_load_b128 v[2:5], v1 offset:1648
	s_wait_loadcnt_dscnt 0x801
	v_mul_f64_e32 v[177:178], v[161:162], v[8:9]
	v_mul_f64_e32 v[8:9], v[163:164], v[8:9]
	scratch_load_b128 v[38:41], off, off offset:896
	v_add_f64_e32 v[159:160], v[173:174], v[159:160]
	v_add_f64_e32 v[173:174], v[175:176], v[169:170]
	s_wait_loadcnt_dscnt 0x800
	v_mul_f64_e32 v[175:176], v[2:3], v[12:13]
	v_mul_f64_e32 v[12:13], v[4:5], v[12:13]
	ds_load_b128 v[169:172], v1 offset:1664
	v_fma_f64 v[163:164], v[163:164], v[6:7], v[177:178]
	v_fma_f64 v[6:7], v[161:162], v[6:7], -v[8:9]
	s_wait_loadcnt_dscnt 0x700
	v_mul_f64_e32 v[161:162], v[169:170], v[16:17]
	v_mul_f64_e32 v[16:17], v[171:172], v[16:17]
	v_add_f64_e32 v[8:9], v[159:160], v[181:182]
	v_add_f64_e32 v[159:160], v[173:174], v[179:180]
	v_fma_f64 v[173:174], v[4:5], v[10:11], v[175:176]
	v_fma_f64 v[10:11], v[2:3], v[10:11], -v[12:13]
	v_fma_f64 v[161:162], v[171:172], v[14:15], v[161:162]
	v_fma_f64 v[14:15], v[169:170], v[14:15], -v[16:17]
	v_add_f64_e32 v[12:13], v[8:9], v[6:7]
	v_add_f64_e32 v[159:160], v[159:160], v[163:164]
	ds_load_b128 v[2:5], v1 offset:1680
	ds_load_b128 v[6:9], v1 offset:1696
	s_wait_loadcnt_dscnt 0x601
	v_mul_f64_e32 v[163:164], v[2:3], v[20:21]
	v_mul_f64_e32 v[20:21], v[4:5], v[20:21]
	s_wait_loadcnt_dscnt 0x500
	v_mul_f64_e32 v[16:17], v[6:7], v[24:25]
	v_mul_f64_e32 v[24:25], v[8:9], v[24:25]
	v_add_f64_e32 v[10:11], v[12:13], v[10:11]
	v_add_f64_e32 v[12:13], v[159:160], v[173:174]
	v_fma_f64 v[159:160], v[4:5], v[18:19], v[163:164]
	v_fma_f64 v[18:19], v[2:3], v[18:19], -v[20:21]
	v_fma_f64 v[8:9], v[8:9], v[22:23], v[16:17]
	v_fma_f64 v[6:7], v[6:7], v[22:23], -v[24:25]
	v_add_f64_e32 v[14:15], v[10:11], v[14:15]
	v_add_f64_e32 v[20:21], v[12:13], v[161:162]
	ds_load_b128 v[2:5], v1 offset:1712
	ds_load_b128 v[10:13], v1 offset:1728
	s_wait_loadcnt_dscnt 0x401
	v_mul_f64_e32 v[161:162], v[2:3], v[28:29]
	v_mul_f64_e32 v[28:29], v[4:5], v[28:29]
	v_add_f64_e32 v[14:15], v[14:15], v[18:19]
	v_add_f64_e32 v[16:17], v[20:21], v[159:160]
	s_wait_loadcnt_dscnt 0x300
	v_mul_f64_e32 v[18:19], v[10:11], v[32:33]
	v_mul_f64_e32 v[20:21], v[12:13], v[32:33]
	v_fma_f64 v[22:23], v[4:5], v[26:27], v[161:162]
	v_fma_f64 v[24:25], v[2:3], v[26:27], -v[28:29]
	v_add_f64_e32 v[14:15], v[14:15], v[6:7]
	v_add_f64_e32 v[16:17], v[16:17], v[8:9]
	ds_load_b128 v[2:5], v1 offset:1744
	ds_load_b128 v[6:9], v1 offset:1760
	v_fma_f64 v[12:13], v[12:13], v[30:31], v[18:19]
	v_fma_f64 v[10:11], v[10:11], v[30:31], -v[20:21]
	s_wait_loadcnt_dscnt 0x201
	v_mul_f64_e32 v[26:27], v[2:3], v[36:37]
	v_mul_f64_e32 v[28:29], v[4:5], v[36:37]
	v_add_f64_e32 v[14:15], v[14:15], v[24:25]
	v_add_f64_e32 v[16:17], v[16:17], v[22:23]
	s_wait_loadcnt_dscnt 0x100
	v_mul_f64_e32 v[18:19], v[6:7], v[167:168]
	v_mul_f64_e32 v[20:21], v[8:9], v[167:168]
	v_fma_f64 v[22:23], v[4:5], v[34:35], v[26:27]
	v_fma_f64 v[24:25], v[2:3], v[34:35], -v[28:29]
	ds_load_b128 v[2:5], v1 offset:1776
	v_add_f64_e32 v[10:11], v[14:15], v[10:11]
	v_add_f64_e32 v[12:13], v[16:17], v[12:13]
	s_wait_loadcnt_dscnt 0x0
	v_mul_f64_e32 v[14:15], v[2:3], v[40:41]
	v_mul_f64_e32 v[16:17], v[4:5], v[40:41]
	v_fma_f64 v[8:9], v[8:9], v[165:166], v[18:19]
	v_fma_f64 v[6:7], v[6:7], v[165:166], -v[20:21]
	v_add_f64_e32 v[10:11], v[10:11], v[24:25]
	v_add_f64_e32 v[12:13], v[12:13], v[22:23]
	v_fma_f64 v[4:5], v[4:5], v[38:39], v[14:15]
	v_fma_f64 v[2:3], v[2:3], v[38:39], -v[16:17]
	s_delay_alu instid0(VALU_DEP_4) | instskip(NEXT) | instid1(VALU_DEP_4)
	v_add_f64_e32 v[6:7], v[10:11], v[6:7]
	v_add_f64_e32 v[8:9], v[12:13], v[8:9]
	s_delay_alu instid0(VALU_DEP_2) | instskip(NEXT) | instid1(VALU_DEP_2)
	v_add_f64_e32 v[2:3], v[6:7], v[2:3]
	v_add_f64_e32 v[4:5], v[8:9], v[4:5]
	s_delay_alu instid0(VALU_DEP_2) | instskip(NEXT) | instid1(VALU_DEP_2)
	v_add_f64_e64 v[2:3], v[42:43], -v[2:3]
	v_add_f64_e64 v[4:5], v[44:45], -v[4:5]
	scratch_store_b128 off, v[2:5], off offset:240
	v_cmpx_lt_u32_e32 13, v0
	s_cbranch_execz .LBB119_323
; %bb.322:
	scratch_load_b128 v[5:8], off, s56
	v_dual_mov_b32 v2, v1 :: v_dual_mov_b32 v3, v1
	v_mov_b32_e32 v4, v1
	scratch_store_b128 off, v[1:4], off offset:224
	s_wait_loadcnt 0x0
	ds_store_b128 v158, v[5:8]
.LBB119_323:
	s_wait_alu 0xfffe
	s_or_b32 exec_lo, exec_lo, s0
	s_wait_storecnt_dscnt 0x0
	s_barrier_signal -1
	s_barrier_wait -1
	global_inv scope:SCOPE_SE
	s_clause 0x8
	scratch_load_b128 v[2:5], off, off offset:240
	scratch_load_b128 v[6:9], off, off offset:256
	scratch_load_b128 v[10:13], off, off offset:272
	scratch_load_b128 v[14:17], off, off offset:288
	scratch_load_b128 v[18:21], off, off offset:304
	scratch_load_b128 v[22:25], off, off offset:320
	scratch_load_b128 v[26:29], off, off offset:336
	scratch_load_b128 v[30:33], off, off offset:352
	scratch_load_b128 v[34:37], off, off offset:368
	ds_load_b128 v[42:45], v1 offset:1120
	ds_load_b128 v[38:41], v1 offset:1136
	s_clause 0x1
	scratch_load_b128 v[159:162], off, off offset:224
	scratch_load_b128 v[163:166], off, off offset:384
	s_mov_b32 s0, exec_lo
	s_wait_loadcnt_dscnt 0xa01
	v_mul_f64_e32 v[167:168], v[44:45], v[4:5]
	v_mul_f64_e32 v[4:5], v[42:43], v[4:5]
	s_wait_loadcnt_dscnt 0x900
	v_mul_f64_e32 v[171:172], v[38:39], v[8:9]
	v_mul_f64_e32 v[8:9], v[40:41], v[8:9]
	s_delay_alu instid0(VALU_DEP_4) | instskip(NEXT) | instid1(VALU_DEP_4)
	v_fma_f64 v[173:174], v[42:43], v[2:3], -v[167:168]
	v_fma_f64 v[175:176], v[44:45], v[2:3], v[4:5]
	ds_load_b128 v[2:5], v1 offset:1152
	ds_load_b128 v[167:170], v1 offset:1168
	scratch_load_b128 v[42:45], off, off offset:400
	v_fma_f64 v[40:41], v[40:41], v[6:7], v[171:172]
	v_fma_f64 v[38:39], v[38:39], v[6:7], -v[8:9]
	scratch_load_b128 v[6:9], off, off offset:416
	s_wait_loadcnt_dscnt 0xa01
	v_mul_f64_e32 v[177:178], v[2:3], v[12:13]
	v_mul_f64_e32 v[12:13], v[4:5], v[12:13]
	v_add_f64_e32 v[171:172], 0, v[173:174]
	v_add_f64_e32 v[173:174], 0, v[175:176]
	s_wait_loadcnt_dscnt 0x900
	v_mul_f64_e32 v[175:176], v[167:168], v[16:17]
	v_mul_f64_e32 v[16:17], v[169:170], v[16:17]
	v_fma_f64 v[177:178], v[4:5], v[10:11], v[177:178]
	v_fma_f64 v[179:180], v[2:3], v[10:11], -v[12:13]
	ds_load_b128 v[2:5], v1 offset:1184
	scratch_load_b128 v[10:13], off, off offset:432
	v_add_f64_e32 v[171:172], v[171:172], v[38:39]
	v_add_f64_e32 v[173:174], v[173:174], v[40:41]
	ds_load_b128 v[38:41], v1 offset:1200
	v_fma_f64 v[169:170], v[169:170], v[14:15], v[175:176]
	v_fma_f64 v[167:168], v[167:168], v[14:15], -v[16:17]
	scratch_load_b128 v[14:17], off, off offset:448
	s_wait_loadcnt_dscnt 0xa01
	v_mul_f64_e32 v[181:182], v[2:3], v[20:21]
	v_mul_f64_e32 v[20:21], v[4:5], v[20:21]
	s_wait_loadcnt_dscnt 0x900
	v_mul_f64_e32 v[175:176], v[38:39], v[24:25]
	v_mul_f64_e32 v[24:25], v[40:41], v[24:25]
	v_add_f64_e32 v[171:172], v[171:172], v[179:180]
	v_add_f64_e32 v[173:174], v[173:174], v[177:178]
	v_fma_f64 v[177:178], v[4:5], v[18:19], v[181:182]
	v_fma_f64 v[179:180], v[2:3], v[18:19], -v[20:21]
	ds_load_b128 v[2:5], v1 offset:1216
	scratch_load_b128 v[18:21], off, off offset:464
	v_fma_f64 v[40:41], v[40:41], v[22:23], v[175:176]
	v_fma_f64 v[38:39], v[38:39], v[22:23], -v[24:25]
	scratch_load_b128 v[22:25], off, off offset:480
	v_add_f64_e32 v[171:172], v[171:172], v[167:168]
	v_add_f64_e32 v[173:174], v[173:174], v[169:170]
	ds_load_b128 v[167:170], v1 offset:1232
	s_wait_loadcnt_dscnt 0xa01
	v_mul_f64_e32 v[181:182], v[2:3], v[28:29]
	v_mul_f64_e32 v[28:29], v[4:5], v[28:29]
	s_wait_loadcnt_dscnt 0x900
	v_mul_f64_e32 v[175:176], v[167:168], v[32:33]
	v_mul_f64_e32 v[32:33], v[169:170], v[32:33]
	v_add_f64_e32 v[171:172], v[171:172], v[179:180]
	v_add_f64_e32 v[173:174], v[173:174], v[177:178]
	v_fma_f64 v[177:178], v[4:5], v[26:27], v[181:182]
	v_fma_f64 v[179:180], v[2:3], v[26:27], -v[28:29]
	ds_load_b128 v[2:5], v1 offset:1248
	scratch_load_b128 v[26:29], off, off offset:496
	v_fma_f64 v[169:170], v[169:170], v[30:31], v[175:176]
	v_fma_f64 v[167:168], v[167:168], v[30:31], -v[32:33]
	scratch_load_b128 v[30:33], off, off offset:512
	v_add_f64_e32 v[171:172], v[171:172], v[38:39]
	v_add_f64_e32 v[173:174], v[173:174], v[40:41]
	ds_load_b128 v[38:41], v1 offset:1264
	s_wait_loadcnt_dscnt 0xa01
	v_mul_f64_e32 v[181:182], v[2:3], v[36:37]
	v_mul_f64_e32 v[36:37], v[4:5], v[36:37]
	s_wait_loadcnt_dscnt 0x800
	v_mul_f64_e32 v[175:176], v[38:39], v[165:166]
	v_add_f64_e32 v[171:172], v[171:172], v[179:180]
	v_add_f64_e32 v[173:174], v[173:174], v[177:178]
	v_mul_f64_e32 v[177:178], v[40:41], v[165:166]
	v_fma_f64 v[179:180], v[4:5], v[34:35], v[181:182]
	v_fma_f64 v[181:182], v[2:3], v[34:35], -v[36:37]
	ds_load_b128 v[2:5], v1 offset:1280
	scratch_load_b128 v[34:37], off, off offset:528
	v_fma_f64 v[175:176], v[40:41], v[163:164], v[175:176]
	v_add_f64_e32 v[171:172], v[171:172], v[167:168]
	v_add_f64_e32 v[169:170], v[173:174], v[169:170]
	ds_load_b128 v[165:168], v1 offset:1296
	v_fma_f64 v[163:164], v[38:39], v[163:164], -v[177:178]
	scratch_load_b128 v[38:41], off, off offset:544
	s_wait_loadcnt_dscnt 0x901
	v_mul_f64_e32 v[173:174], v[2:3], v[44:45]
	v_mul_f64_e32 v[44:45], v[4:5], v[44:45]
	s_wait_loadcnt_dscnt 0x800
	v_mul_f64_e32 v[177:178], v[165:166], v[8:9]
	v_mul_f64_e32 v[8:9], v[167:168], v[8:9]
	v_add_f64_e32 v[171:172], v[171:172], v[181:182]
	v_add_f64_e32 v[169:170], v[169:170], v[179:180]
	v_fma_f64 v[173:174], v[4:5], v[42:43], v[173:174]
	v_fma_f64 v[179:180], v[2:3], v[42:43], -v[44:45]
	ds_load_b128 v[2:5], v1 offset:1312
	scratch_load_b128 v[42:45], off, off offset:560
	v_fma_f64 v[167:168], v[167:168], v[6:7], v[177:178]
	v_fma_f64 v[165:166], v[165:166], v[6:7], -v[8:9]
	scratch_load_b128 v[6:9], off, off offset:576
	v_add_f64_e32 v[163:164], v[171:172], v[163:164]
	v_add_f64_e32 v[175:176], v[169:170], v[175:176]
	ds_load_b128 v[169:172], v1 offset:1328
	s_wait_loadcnt_dscnt 0x901
	v_mul_f64_e32 v[181:182], v[2:3], v[12:13]
	v_mul_f64_e32 v[12:13], v[4:5], v[12:13]
	v_add_f64_e32 v[163:164], v[163:164], v[179:180]
	v_add_f64_e32 v[173:174], v[175:176], v[173:174]
	s_wait_loadcnt_dscnt 0x800
	v_mul_f64_e32 v[175:176], v[169:170], v[16:17]
	v_mul_f64_e32 v[16:17], v[171:172], v[16:17]
	v_fma_f64 v[177:178], v[4:5], v[10:11], v[181:182]
	v_fma_f64 v[179:180], v[2:3], v[10:11], -v[12:13]
	ds_load_b128 v[2:5], v1 offset:1344
	scratch_load_b128 v[10:13], off, off offset:592
	v_add_f64_e32 v[181:182], v[163:164], v[165:166]
	v_add_f64_e32 v[167:168], v[173:174], v[167:168]
	ds_load_b128 v[163:166], v1 offset:1360
	s_wait_loadcnt_dscnt 0x801
	v_mul_f64_e32 v[173:174], v[2:3], v[20:21]
	v_mul_f64_e32 v[20:21], v[4:5], v[20:21]
	v_fma_f64 v[171:172], v[171:172], v[14:15], v[175:176]
	v_fma_f64 v[169:170], v[169:170], v[14:15], -v[16:17]
	scratch_load_b128 v[14:17], off, off offset:608
	v_add_f64_e32 v[175:176], v[181:182], v[179:180]
	v_add_f64_e32 v[167:168], v[167:168], v[177:178]
	s_wait_loadcnt_dscnt 0x800
	v_mul_f64_e32 v[177:178], v[163:164], v[24:25]
	v_mul_f64_e32 v[24:25], v[165:166], v[24:25]
	v_fma_f64 v[173:174], v[4:5], v[18:19], v[173:174]
	v_fma_f64 v[179:180], v[2:3], v[18:19], -v[20:21]
	ds_load_b128 v[2:5], v1 offset:1376
	scratch_load_b128 v[18:21], off, off offset:624
	v_add_f64_e32 v[175:176], v[175:176], v[169:170]
	v_add_f64_e32 v[171:172], v[167:168], v[171:172]
	ds_load_b128 v[167:170], v1 offset:1392
	s_wait_loadcnt_dscnt 0x801
	v_mul_f64_e32 v[181:182], v[2:3], v[28:29]
	v_mul_f64_e32 v[28:29], v[4:5], v[28:29]
	v_fma_f64 v[165:166], v[165:166], v[22:23], v[177:178]
	v_fma_f64 v[163:164], v[163:164], v[22:23], -v[24:25]
	scratch_load_b128 v[22:25], off, off offset:640
	;; [unrolled: 18-line block ×4, first 2 shown]
	s_wait_loadcnt_dscnt 0x800
	v_mul_f64_e32 v[175:176], v[167:168], v[8:9]
	v_mul_f64_e32 v[8:9], v[169:170], v[8:9]
	v_add_f64_e32 v[173:174], v[173:174], v[179:180]
	v_add_f64_e32 v[171:172], v[171:172], v[177:178]
	v_fma_f64 v[177:178], v[4:5], v[42:43], v[181:182]
	v_fma_f64 v[179:180], v[2:3], v[42:43], -v[44:45]
	ds_load_b128 v[2:5], v1 offset:1472
	scratch_load_b128 v[42:45], off, off offset:720
	v_fma_f64 v[169:170], v[169:170], v[6:7], v[175:176]
	v_fma_f64 v[167:168], v[167:168], v[6:7], -v[8:9]
	scratch_load_b128 v[6:9], off, off offset:736
	v_add_f64_e32 v[173:174], v[173:174], v[163:164]
	v_add_f64_e32 v[171:172], v[171:172], v[165:166]
	ds_load_b128 v[163:166], v1 offset:1488
	s_wait_loadcnt_dscnt 0x901
	v_mul_f64_e32 v[181:182], v[2:3], v[12:13]
	v_mul_f64_e32 v[12:13], v[4:5], v[12:13]
	s_wait_loadcnt_dscnt 0x800
	v_mul_f64_e32 v[175:176], v[163:164], v[16:17]
	v_mul_f64_e32 v[16:17], v[165:166], v[16:17]
	v_add_f64_e32 v[173:174], v[173:174], v[179:180]
	v_add_f64_e32 v[171:172], v[171:172], v[177:178]
	v_fma_f64 v[177:178], v[4:5], v[10:11], v[181:182]
	v_fma_f64 v[179:180], v[2:3], v[10:11], -v[12:13]
	ds_load_b128 v[2:5], v1 offset:1504
	scratch_load_b128 v[10:13], off, off offset:752
	v_fma_f64 v[165:166], v[165:166], v[14:15], v[175:176]
	v_fma_f64 v[163:164], v[163:164], v[14:15], -v[16:17]
	scratch_load_b128 v[14:17], off, off offset:768
	v_add_f64_e32 v[173:174], v[173:174], v[167:168]
	v_add_f64_e32 v[171:172], v[171:172], v[169:170]
	ds_load_b128 v[167:170], v1 offset:1520
	s_wait_loadcnt_dscnt 0x901
	v_mul_f64_e32 v[181:182], v[2:3], v[20:21]
	v_mul_f64_e32 v[20:21], v[4:5], v[20:21]
	;; [unrolled: 18-line block ×6, first 2 shown]
	s_wait_loadcnt_dscnt 0x800
	v_mul_f64_e32 v[175:176], v[167:168], v[16:17]
	v_mul_f64_e32 v[16:17], v[169:170], v[16:17]
	v_add_f64_e32 v[173:174], v[173:174], v[179:180]
	v_add_f64_e32 v[171:172], v[171:172], v[177:178]
	v_fma_f64 v[177:178], v[4:5], v[10:11], v[181:182]
	v_fma_f64 v[179:180], v[2:3], v[10:11], -v[12:13]
	ds_load_b128 v[2:5], v1 offset:1664
	ds_load_b128 v[10:13], v1 offset:1680
	v_fma_f64 v[169:170], v[169:170], v[14:15], v[175:176]
	v_fma_f64 v[14:15], v[167:168], v[14:15], -v[16:17]
	v_add_f64_e32 v[163:164], v[173:174], v[163:164]
	v_add_f64_e32 v[165:166], v[171:172], v[165:166]
	s_wait_loadcnt_dscnt 0x701
	v_mul_f64_e32 v[171:172], v[2:3], v[20:21]
	v_mul_f64_e32 v[20:21], v[4:5], v[20:21]
	s_delay_alu instid0(VALU_DEP_4) | instskip(NEXT) | instid1(VALU_DEP_4)
	v_add_f64_e32 v[16:17], v[163:164], v[179:180]
	v_add_f64_e32 v[163:164], v[165:166], v[177:178]
	s_wait_loadcnt_dscnt 0x600
	v_mul_f64_e32 v[165:166], v[10:11], v[24:25]
	v_mul_f64_e32 v[24:25], v[12:13], v[24:25]
	v_fma_f64 v[167:168], v[4:5], v[18:19], v[171:172]
	v_fma_f64 v[18:19], v[2:3], v[18:19], -v[20:21]
	v_add_f64_e32 v[20:21], v[16:17], v[14:15]
	v_add_f64_e32 v[163:164], v[163:164], v[169:170]
	ds_load_b128 v[2:5], v1 offset:1696
	ds_load_b128 v[14:17], v1 offset:1712
	v_fma_f64 v[12:13], v[12:13], v[22:23], v[165:166]
	v_fma_f64 v[10:11], v[10:11], v[22:23], -v[24:25]
	s_wait_loadcnt_dscnt 0x501
	v_mul_f64_e32 v[169:170], v[2:3], v[28:29]
	v_mul_f64_e32 v[28:29], v[4:5], v[28:29]
	s_wait_loadcnt_dscnt 0x400
	v_mul_f64_e32 v[22:23], v[14:15], v[32:33]
	v_mul_f64_e32 v[24:25], v[16:17], v[32:33]
	v_add_f64_e32 v[18:19], v[20:21], v[18:19]
	v_add_f64_e32 v[20:21], v[163:164], v[167:168]
	v_fma_f64 v[32:33], v[4:5], v[26:27], v[169:170]
	v_fma_f64 v[26:27], v[2:3], v[26:27], -v[28:29]
	v_fma_f64 v[16:17], v[16:17], v[30:31], v[22:23]
	v_fma_f64 v[14:15], v[14:15], v[30:31], -v[24:25]
	v_add_f64_e32 v[18:19], v[18:19], v[10:11]
	v_add_f64_e32 v[20:21], v[20:21], v[12:13]
	ds_load_b128 v[2:5], v1 offset:1728
	ds_load_b128 v[10:13], v1 offset:1744
	s_wait_loadcnt_dscnt 0x301
	v_mul_f64_e32 v[28:29], v[2:3], v[36:37]
	v_mul_f64_e32 v[36:37], v[4:5], v[36:37]
	s_wait_loadcnt_dscnt 0x200
	v_mul_f64_e32 v[22:23], v[10:11], v[40:41]
	v_mul_f64_e32 v[24:25], v[12:13], v[40:41]
	v_add_f64_e32 v[18:19], v[18:19], v[26:27]
	v_add_f64_e32 v[20:21], v[20:21], v[32:33]
	v_fma_f64 v[26:27], v[4:5], v[34:35], v[28:29]
	v_fma_f64 v[28:29], v[2:3], v[34:35], -v[36:37]
	v_fma_f64 v[12:13], v[12:13], v[38:39], v[22:23]
	v_fma_f64 v[10:11], v[10:11], v[38:39], -v[24:25]
	v_add_f64_e32 v[18:19], v[18:19], v[14:15]
	v_add_f64_e32 v[20:21], v[20:21], v[16:17]
	ds_load_b128 v[2:5], v1 offset:1760
	ds_load_b128 v[14:17], v1 offset:1776
	s_wait_loadcnt_dscnt 0x101
	v_mul_f64_e32 v[30:31], v[2:3], v[44:45]
	v_mul_f64_e32 v[32:33], v[4:5], v[44:45]
	s_wait_loadcnt_dscnt 0x0
	v_mul_f64_e32 v[22:23], v[14:15], v[8:9]
	v_mul_f64_e32 v[8:9], v[16:17], v[8:9]
	v_add_f64_e32 v[18:19], v[18:19], v[28:29]
	v_add_f64_e32 v[20:21], v[20:21], v[26:27]
	v_fma_f64 v[4:5], v[4:5], v[42:43], v[30:31]
	v_fma_f64 v[1:2], v[2:3], v[42:43], -v[32:33]
	v_fma_f64 v[16:17], v[16:17], v[6:7], v[22:23]
	v_fma_f64 v[6:7], v[14:15], v[6:7], -v[8:9]
	v_add_f64_e32 v[10:11], v[18:19], v[10:11]
	v_add_f64_e32 v[12:13], v[20:21], v[12:13]
	s_delay_alu instid0(VALU_DEP_2) | instskip(NEXT) | instid1(VALU_DEP_2)
	v_add_f64_e32 v[1:2], v[10:11], v[1:2]
	v_add_f64_e32 v[3:4], v[12:13], v[4:5]
	s_delay_alu instid0(VALU_DEP_2) | instskip(NEXT) | instid1(VALU_DEP_2)
	;; [unrolled: 3-line block ×3, first 2 shown]
	v_add_f64_e64 v[1:2], v[159:160], -v[1:2]
	v_add_f64_e64 v[3:4], v[161:162], -v[3:4]
	scratch_store_b128 off, v[1:4], off offset:224
	v_cmpx_lt_u32_e32 12, v0
	s_cbranch_execz .LBB119_325
; %bb.324:
	scratch_load_b128 v[1:4], off, s57
	v_mov_b32_e32 v5, 0
	s_delay_alu instid0(VALU_DEP_1)
	v_dual_mov_b32 v6, v5 :: v_dual_mov_b32 v7, v5
	v_mov_b32_e32 v8, v5
	scratch_store_b128 off, v[5:8], off offset:208
	s_wait_loadcnt 0x0
	ds_store_b128 v158, v[1:4]
.LBB119_325:
	s_wait_alu 0xfffe
	s_or_b32 exec_lo, exec_lo, s0
	s_wait_storecnt_dscnt 0x0
	s_barrier_signal -1
	s_barrier_wait -1
	global_inv scope:SCOPE_SE
	s_clause 0x7
	scratch_load_b128 v[2:5], off, off offset:224
	scratch_load_b128 v[6:9], off, off offset:240
	;; [unrolled: 1-line block ×8, first 2 shown]
	v_mov_b32_e32 v1, 0
	s_mov_b32 s0, exec_lo
	ds_load_b128 v[38:41], v1 offset:1104
	s_clause 0x1
	scratch_load_b128 v[34:37], off, off offset:352
	scratch_load_b128 v[42:45], off, off offset:208
	ds_load_b128 v[159:162], v1 offset:1120
	scratch_load_b128 v[163:166], off, off offset:368
	s_wait_loadcnt_dscnt 0xa01
	v_mul_f64_e32 v[167:168], v[40:41], v[4:5]
	v_mul_f64_e32 v[4:5], v[38:39], v[4:5]
	s_delay_alu instid0(VALU_DEP_2) | instskip(NEXT) | instid1(VALU_DEP_2)
	v_fma_f64 v[173:174], v[38:39], v[2:3], -v[167:168]
	v_fma_f64 v[175:176], v[40:41], v[2:3], v[4:5]
	ds_load_b128 v[2:5], v1 offset:1136
	s_wait_loadcnt_dscnt 0x901
	v_mul_f64_e32 v[171:172], v[159:160], v[8:9]
	v_mul_f64_e32 v[8:9], v[161:162], v[8:9]
	scratch_load_b128 v[38:41], off, off offset:384
	ds_load_b128 v[167:170], v1 offset:1152
	s_wait_loadcnt_dscnt 0x901
	v_mul_f64_e32 v[177:178], v[2:3], v[12:13]
	v_mul_f64_e32 v[12:13], v[4:5], v[12:13]
	v_fma_f64 v[161:162], v[161:162], v[6:7], v[171:172]
	v_fma_f64 v[159:160], v[159:160], v[6:7], -v[8:9]
	v_add_f64_e32 v[171:172], 0, v[173:174]
	v_add_f64_e32 v[173:174], 0, v[175:176]
	scratch_load_b128 v[6:9], off, off offset:400
	v_fma_f64 v[177:178], v[4:5], v[10:11], v[177:178]
	v_fma_f64 v[179:180], v[2:3], v[10:11], -v[12:13]
	ds_load_b128 v[2:5], v1 offset:1168
	s_wait_loadcnt_dscnt 0x901
	v_mul_f64_e32 v[175:176], v[167:168], v[16:17]
	v_mul_f64_e32 v[16:17], v[169:170], v[16:17]
	scratch_load_b128 v[10:13], off, off offset:416
	v_add_f64_e32 v[171:172], v[171:172], v[159:160]
	v_add_f64_e32 v[173:174], v[173:174], v[161:162]
	s_wait_loadcnt_dscnt 0x900
	v_mul_f64_e32 v[181:182], v[2:3], v[20:21]
	v_mul_f64_e32 v[20:21], v[4:5], v[20:21]
	ds_load_b128 v[159:162], v1 offset:1184
	v_fma_f64 v[169:170], v[169:170], v[14:15], v[175:176]
	v_fma_f64 v[167:168], v[167:168], v[14:15], -v[16:17]
	scratch_load_b128 v[14:17], off, off offset:432
	v_add_f64_e32 v[171:172], v[171:172], v[179:180]
	v_add_f64_e32 v[173:174], v[173:174], v[177:178]
	v_fma_f64 v[177:178], v[4:5], v[18:19], v[181:182]
	v_fma_f64 v[179:180], v[2:3], v[18:19], -v[20:21]
	ds_load_b128 v[2:5], v1 offset:1200
	s_wait_loadcnt_dscnt 0x901
	v_mul_f64_e32 v[175:176], v[159:160], v[24:25]
	v_mul_f64_e32 v[24:25], v[161:162], v[24:25]
	scratch_load_b128 v[18:21], off, off offset:448
	s_wait_loadcnt_dscnt 0x900
	v_mul_f64_e32 v[181:182], v[2:3], v[28:29]
	v_mul_f64_e32 v[28:29], v[4:5], v[28:29]
	v_add_f64_e32 v[171:172], v[171:172], v[167:168]
	v_add_f64_e32 v[173:174], v[173:174], v[169:170]
	ds_load_b128 v[167:170], v1 offset:1216
	v_fma_f64 v[161:162], v[161:162], v[22:23], v[175:176]
	v_fma_f64 v[159:160], v[159:160], v[22:23], -v[24:25]
	scratch_load_b128 v[22:25], off, off offset:464
	v_add_f64_e32 v[171:172], v[171:172], v[179:180]
	v_add_f64_e32 v[173:174], v[173:174], v[177:178]
	v_fma_f64 v[177:178], v[4:5], v[26:27], v[181:182]
	v_fma_f64 v[179:180], v[2:3], v[26:27], -v[28:29]
	ds_load_b128 v[2:5], v1 offset:1232
	s_wait_loadcnt_dscnt 0x901
	v_mul_f64_e32 v[175:176], v[167:168], v[32:33]
	v_mul_f64_e32 v[32:33], v[169:170], v[32:33]
	scratch_load_b128 v[26:29], off, off offset:480
	s_wait_loadcnt_dscnt 0x900
	v_mul_f64_e32 v[181:182], v[2:3], v[36:37]
	v_mul_f64_e32 v[36:37], v[4:5], v[36:37]
	v_add_f64_e32 v[171:172], v[171:172], v[159:160]
	v_add_f64_e32 v[173:174], v[173:174], v[161:162]
	ds_load_b128 v[159:162], v1 offset:1248
	v_fma_f64 v[169:170], v[169:170], v[30:31], v[175:176]
	v_fma_f64 v[167:168], v[167:168], v[30:31], -v[32:33]
	scratch_load_b128 v[30:33], off, off offset:496
	v_add_f64_e32 v[171:172], v[171:172], v[179:180]
	v_add_f64_e32 v[173:174], v[173:174], v[177:178]
	v_fma_f64 v[179:180], v[4:5], v[34:35], v[181:182]
	v_fma_f64 v[181:182], v[2:3], v[34:35], -v[36:37]
	ds_load_b128 v[2:5], v1 offset:1264
	s_wait_loadcnt_dscnt 0x801
	v_mul_f64_e32 v[175:176], v[159:160], v[165:166]
	v_mul_f64_e32 v[177:178], v[161:162], v[165:166]
	scratch_load_b128 v[34:37], off, off offset:512
	v_add_f64_e32 v[171:172], v[171:172], v[167:168]
	v_add_f64_e32 v[169:170], v[173:174], v[169:170]
	ds_load_b128 v[165:168], v1 offset:1280
	v_fma_f64 v[175:176], v[161:162], v[163:164], v[175:176]
	v_fma_f64 v[163:164], v[159:160], v[163:164], -v[177:178]
	scratch_load_b128 v[159:162], off, off offset:528
	s_wait_loadcnt_dscnt 0x901
	v_mul_f64_e32 v[173:174], v[2:3], v[40:41]
	v_mul_f64_e32 v[40:41], v[4:5], v[40:41]
	v_add_f64_e32 v[171:172], v[171:172], v[181:182]
	v_add_f64_e32 v[169:170], v[169:170], v[179:180]
	s_delay_alu instid0(VALU_DEP_4) | instskip(NEXT) | instid1(VALU_DEP_4)
	v_fma_f64 v[173:174], v[4:5], v[38:39], v[173:174]
	v_fma_f64 v[179:180], v[2:3], v[38:39], -v[40:41]
	ds_load_b128 v[2:5], v1 offset:1296
	s_wait_loadcnt_dscnt 0x801
	v_mul_f64_e32 v[177:178], v[165:166], v[8:9]
	v_mul_f64_e32 v[8:9], v[167:168], v[8:9]
	scratch_load_b128 v[38:41], off, off offset:544
	s_wait_loadcnt_dscnt 0x800
	v_mul_f64_e32 v[181:182], v[2:3], v[12:13]
	v_add_f64_e32 v[163:164], v[171:172], v[163:164]
	v_add_f64_e32 v[175:176], v[169:170], v[175:176]
	v_mul_f64_e32 v[12:13], v[4:5], v[12:13]
	ds_load_b128 v[169:172], v1 offset:1312
	v_fma_f64 v[167:168], v[167:168], v[6:7], v[177:178]
	v_fma_f64 v[165:166], v[165:166], v[6:7], -v[8:9]
	scratch_load_b128 v[6:9], off, off offset:560
	v_fma_f64 v[177:178], v[4:5], v[10:11], v[181:182]
	v_add_f64_e32 v[163:164], v[163:164], v[179:180]
	v_add_f64_e32 v[173:174], v[175:176], v[173:174]
	v_fma_f64 v[179:180], v[2:3], v[10:11], -v[12:13]
	ds_load_b128 v[2:5], v1 offset:1328
	s_wait_loadcnt_dscnt 0x801
	v_mul_f64_e32 v[175:176], v[169:170], v[16:17]
	v_mul_f64_e32 v[16:17], v[171:172], v[16:17]
	scratch_load_b128 v[10:13], off, off offset:576
	v_add_f64_e32 v[181:182], v[163:164], v[165:166]
	v_add_f64_e32 v[167:168], v[173:174], v[167:168]
	s_wait_loadcnt_dscnt 0x800
	v_mul_f64_e32 v[173:174], v[2:3], v[20:21]
	v_mul_f64_e32 v[20:21], v[4:5], v[20:21]
	v_fma_f64 v[171:172], v[171:172], v[14:15], v[175:176]
	v_fma_f64 v[169:170], v[169:170], v[14:15], -v[16:17]
	ds_load_b128 v[163:166], v1 offset:1344
	scratch_load_b128 v[14:17], off, off offset:592
	v_add_f64_e32 v[175:176], v[181:182], v[179:180]
	v_add_f64_e32 v[167:168], v[167:168], v[177:178]
	v_fma_f64 v[173:174], v[4:5], v[18:19], v[173:174]
	v_fma_f64 v[179:180], v[2:3], v[18:19], -v[20:21]
	ds_load_b128 v[2:5], v1 offset:1360
	s_wait_loadcnt_dscnt 0x801
	v_mul_f64_e32 v[177:178], v[163:164], v[24:25]
	v_mul_f64_e32 v[24:25], v[165:166], v[24:25]
	scratch_load_b128 v[18:21], off, off offset:608
	s_wait_loadcnt_dscnt 0x800
	v_mul_f64_e32 v[181:182], v[2:3], v[28:29]
	v_mul_f64_e32 v[28:29], v[4:5], v[28:29]
	v_add_f64_e32 v[175:176], v[175:176], v[169:170]
	v_add_f64_e32 v[171:172], v[167:168], v[171:172]
	ds_load_b128 v[167:170], v1 offset:1376
	v_fma_f64 v[165:166], v[165:166], v[22:23], v[177:178]
	v_fma_f64 v[163:164], v[163:164], v[22:23], -v[24:25]
	scratch_load_b128 v[22:25], off, off offset:624
	v_fma_f64 v[177:178], v[4:5], v[26:27], v[181:182]
	v_add_f64_e32 v[175:176], v[175:176], v[179:180]
	v_add_f64_e32 v[171:172], v[171:172], v[173:174]
	v_fma_f64 v[179:180], v[2:3], v[26:27], -v[28:29]
	ds_load_b128 v[2:5], v1 offset:1392
	s_wait_loadcnt_dscnt 0x801
	v_mul_f64_e32 v[173:174], v[167:168], v[32:33]
	v_mul_f64_e32 v[32:33], v[169:170], v[32:33]
	scratch_load_b128 v[26:29], off, off offset:640
	s_wait_loadcnt_dscnt 0x800
	v_mul_f64_e32 v[181:182], v[2:3], v[36:37]
	v_mul_f64_e32 v[36:37], v[4:5], v[36:37]
	v_add_f64_e32 v[175:176], v[175:176], v[163:164]
	v_add_f64_e32 v[171:172], v[171:172], v[165:166]
	ds_load_b128 v[163:166], v1 offset:1408
	v_fma_f64 v[169:170], v[169:170], v[30:31], v[173:174]
	v_fma_f64 v[167:168], v[167:168], v[30:31], -v[32:33]
	scratch_load_b128 v[30:33], off, off offset:656
	v_add_f64_e32 v[173:174], v[175:176], v[179:180]
	v_add_f64_e32 v[171:172], v[171:172], v[177:178]
	v_fma_f64 v[177:178], v[4:5], v[34:35], v[181:182]
	v_fma_f64 v[179:180], v[2:3], v[34:35], -v[36:37]
	ds_load_b128 v[2:5], v1 offset:1424
	s_wait_loadcnt_dscnt 0x801
	v_mul_f64_e32 v[175:176], v[163:164], v[161:162]
	v_mul_f64_e32 v[161:162], v[165:166], v[161:162]
	scratch_load_b128 v[34:37], off, off offset:672
	s_wait_loadcnt_dscnt 0x800
	v_mul_f64_e32 v[181:182], v[2:3], v[40:41]
	v_mul_f64_e32 v[40:41], v[4:5], v[40:41]
	v_add_f64_e32 v[173:174], v[173:174], v[167:168]
	v_add_f64_e32 v[171:172], v[171:172], v[169:170]
	ds_load_b128 v[167:170], v1 offset:1440
	v_fma_f64 v[165:166], v[165:166], v[159:160], v[175:176]
	v_fma_f64 v[163:164], v[163:164], v[159:160], -v[161:162]
	scratch_load_b128 v[159:162], off, off offset:688
	v_add_f64_e32 v[173:174], v[173:174], v[179:180]
	v_add_f64_e32 v[171:172], v[171:172], v[177:178]
	v_fma_f64 v[177:178], v[4:5], v[38:39], v[181:182]
	;; [unrolled: 18-line block ×6, first 2 shown]
	v_fma_f64 v[181:182], v[2:3], v[34:35], -v[36:37]
	ds_load_b128 v[2:5], v1 offset:1584
	s_wait_loadcnt_dscnt 0x801
	v_mul_f64_e32 v[175:176], v[167:168], v[161:162]
	v_mul_f64_e32 v[177:178], v[169:170], v[161:162]
	scratch_load_b128 v[34:37], off, off offset:832
	v_add_f64_e32 v[173:174], v[173:174], v[163:164]
	v_add_f64_e32 v[165:166], v[171:172], v[165:166]
	s_wait_loadcnt_dscnt 0x800
	v_mul_f64_e32 v[171:172], v[2:3], v[40:41]
	v_mul_f64_e32 v[40:41], v[4:5], v[40:41]
	ds_load_b128 v[161:164], v1 offset:1600
	v_fma_f64 v[169:170], v[169:170], v[159:160], v[175:176]
	v_fma_f64 v[159:160], v[167:168], v[159:160], -v[177:178]
	v_add_f64_e32 v[173:174], v[173:174], v[181:182]
	v_add_f64_e32 v[175:176], v[165:166], v[179:180]
	scratch_load_b128 v[165:168], off, off offset:848
	v_fma_f64 v[179:180], v[4:5], v[38:39], v[171:172]
	v_fma_f64 v[181:182], v[2:3], v[38:39], -v[40:41]
	ds_load_b128 v[2:5], v1 offset:1616
	s_wait_loadcnt_dscnt 0x801
	v_mul_f64_e32 v[177:178], v[161:162], v[8:9]
	v_mul_f64_e32 v[8:9], v[163:164], v[8:9]
	scratch_load_b128 v[38:41], off, off offset:864
	v_add_f64_e32 v[159:160], v[173:174], v[159:160]
	v_add_f64_e32 v[173:174], v[175:176], v[169:170]
	s_wait_loadcnt_dscnt 0x800
	v_mul_f64_e32 v[175:176], v[2:3], v[12:13]
	v_mul_f64_e32 v[12:13], v[4:5], v[12:13]
	ds_load_b128 v[169:172], v1 offset:1632
	v_fma_f64 v[163:164], v[163:164], v[6:7], v[177:178]
	v_fma_f64 v[161:162], v[161:162], v[6:7], -v[8:9]
	scratch_load_b128 v[6:9], off, off offset:880
	v_add_f64_e32 v[159:160], v[159:160], v[181:182]
	v_add_f64_e32 v[173:174], v[173:174], v[179:180]
	v_fma_f64 v[175:176], v[4:5], v[10:11], v[175:176]
	v_fma_f64 v[179:180], v[2:3], v[10:11], -v[12:13]
	ds_load_b128 v[2:5], v1 offset:1648
	s_wait_loadcnt_dscnt 0x801
	v_mul_f64_e32 v[177:178], v[169:170], v[16:17]
	v_mul_f64_e32 v[16:17], v[171:172], v[16:17]
	scratch_load_b128 v[10:13], off, off offset:896
	v_add_f64_e32 v[181:182], v[159:160], v[161:162]
	v_add_f64_e32 v[163:164], v[173:174], v[163:164]
	s_wait_loadcnt_dscnt 0x800
	v_mul_f64_e32 v[173:174], v[2:3], v[20:21]
	v_mul_f64_e32 v[20:21], v[4:5], v[20:21]
	ds_load_b128 v[159:162], v1 offset:1664
	v_fma_f64 v[171:172], v[171:172], v[14:15], v[177:178]
	v_fma_f64 v[14:15], v[169:170], v[14:15], -v[16:17]
	s_wait_loadcnt_dscnt 0x700
	v_mul_f64_e32 v[169:170], v[159:160], v[24:25]
	v_mul_f64_e32 v[24:25], v[161:162], v[24:25]
	v_add_f64_e32 v[16:17], v[181:182], v[179:180]
	v_add_f64_e32 v[163:164], v[163:164], v[175:176]
	v_fma_f64 v[173:174], v[4:5], v[18:19], v[173:174]
	v_fma_f64 v[18:19], v[2:3], v[18:19], -v[20:21]
	v_fma_f64 v[161:162], v[161:162], v[22:23], v[169:170]
	v_fma_f64 v[22:23], v[159:160], v[22:23], -v[24:25]
	v_add_f64_e32 v[20:21], v[16:17], v[14:15]
	v_add_f64_e32 v[163:164], v[163:164], v[171:172]
	ds_load_b128 v[2:5], v1 offset:1680
	ds_load_b128 v[14:17], v1 offset:1696
	s_wait_loadcnt_dscnt 0x601
	v_mul_f64_e32 v[171:172], v[2:3], v[28:29]
	v_mul_f64_e32 v[28:29], v[4:5], v[28:29]
	s_wait_loadcnt_dscnt 0x500
	v_mul_f64_e32 v[24:25], v[14:15], v[32:33]
	v_mul_f64_e32 v[32:33], v[16:17], v[32:33]
	v_add_f64_e32 v[18:19], v[20:21], v[18:19]
	v_add_f64_e32 v[20:21], v[163:164], v[173:174]
	v_fma_f64 v[159:160], v[4:5], v[26:27], v[171:172]
	v_fma_f64 v[26:27], v[2:3], v[26:27], -v[28:29]
	v_fma_f64 v[16:17], v[16:17], v[30:31], v[24:25]
	v_fma_f64 v[14:15], v[14:15], v[30:31], -v[32:33]
	v_add_f64_e32 v[22:23], v[18:19], v[22:23]
	v_add_f64_e32 v[28:29], v[20:21], v[161:162]
	ds_load_b128 v[2:5], v1 offset:1712
	ds_load_b128 v[18:21], v1 offset:1728
	s_wait_loadcnt_dscnt 0x401
	v_mul_f64_e32 v[161:162], v[2:3], v[36:37]
	v_mul_f64_e32 v[36:37], v[4:5], v[36:37]
	v_add_f64_e32 v[22:23], v[22:23], v[26:27]
	v_add_f64_e32 v[24:25], v[28:29], v[159:160]
	s_wait_loadcnt_dscnt 0x300
	v_mul_f64_e32 v[26:27], v[18:19], v[167:168]
	v_mul_f64_e32 v[28:29], v[20:21], v[167:168]
	v_fma_f64 v[30:31], v[4:5], v[34:35], v[161:162]
	v_fma_f64 v[32:33], v[2:3], v[34:35], -v[36:37]
	v_add_f64_e32 v[22:23], v[22:23], v[14:15]
	v_add_f64_e32 v[24:25], v[24:25], v[16:17]
	ds_load_b128 v[2:5], v1 offset:1744
	ds_load_b128 v[14:17], v1 offset:1760
	v_fma_f64 v[20:21], v[20:21], v[165:166], v[26:27]
	v_fma_f64 v[18:19], v[18:19], v[165:166], -v[28:29]
	s_wait_loadcnt_dscnt 0x201
	v_mul_f64_e32 v[34:35], v[2:3], v[40:41]
	v_mul_f64_e32 v[36:37], v[4:5], v[40:41]
	s_wait_loadcnt_dscnt 0x100
	v_mul_f64_e32 v[26:27], v[14:15], v[8:9]
	v_mul_f64_e32 v[8:9], v[16:17], v[8:9]
	v_add_f64_e32 v[22:23], v[22:23], v[32:33]
	v_add_f64_e32 v[24:25], v[24:25], v[30:31]
	v_fma_f64 v[28:29], v[4:5], v[38:39], v[34:35]
	v_fma_f64 v[30:31], v[2:3], v[38:39], -v[36:37]
	ds_load_b128 v[2:5], v1 offset:1776
	v_fma_f64 v[16:17], v[16:17], v[6:7], v[26:27]
	v_fma_f64 v[6:7], v[14:15], v[6:7], -v[8:9]
	v_add_f64_e32 v[18:19], v[22:23], v[18:19]
	v_add_f64_e32 v[20:21], v[24:25], v[20:21]
	s_wait_loadcnt_dscnt 0x0
	v_mul_f64_e32 v[22:23], v[2:3], v[12:13]
	v_mul_f64_e32 v[12:13], v[4:5], v[12:13]
	s_delay_alu instid0(VALU_DEP_4) | instskip(NEXT) | instid1(VALU_DEP_4)
	v_add_f64_e32 v[8:9], v[18:19], v[30:31]
	v_add_f64_e32 v[14:15], v[20:21], v[28:29]
	s_delay_alu instid0(VALU_DEP_4) | instskip(NEXT) | instid1(VALU_DEP_4)
	v_fma_f64 v[4:5], v[4:5], v[10:11], v[22:23]
	v_fma_f64 v[2:3], v[2:3], v[10:11], -v[12:13]
	s_delay_alu instid0(VALU_DEP_4) | instskip(NEXT) | instid1(VALU_DEP_4)
	v_add_f64_e32 v[6:7], v[8:9], v[6:7]
	v_add_f64_e32 v[8:9], v[14:15], v[16:17]
	s_delay_alu instid0(VALU_DEP_2) | instskip(NEXT) | instid1(VALU_DEP_2)
	v_add_f64_e32 v[2:3], v[6:7], v[2:3]
	v_add_f64_e32 v[4:5], v[8:9], v[4:5]
	s_delay_alu instid0(VALU_DEP_2) | instskip(NEXT) | instid1(VALU_DEP_2)
	v_add_f64_e64 v[2:3], v[42:43], -v[2:3]
	v_add_f64_e64 v[4:5], v[44:45], -v[4:5]
	scratch_store_b128 off, v[2:5], off offset:208
	v_cmpx_lt_u32_e32 11, v0
	s_cbranch_execz .LBB119_327
; %bb.326:
	scratch_load_b128 v[5:8], off, s58
	v_dual_mov_b32 v2, v1 :: v_dual_mov_b32 v3, v1
	v_mov_b32_e32 v4, v1
	scratch_store_b128 off, v[1:4], off offset:192
	s_wait_loadcnt 0x0
	ds_store_b128 v158, v[5:8]
.LBB119_327:
	s_wait_alu 0xfffe
	s_or_b32 exec_lo, exec_lo, s0
	s_wait_storecnt_dscnt 0x0
	s_barrier_signal -1
	s_barrier_wait -1
	global_inv scope:SCOPE_SE
	s_clause 0x8
	scratch_load_b128 v[2:5], off, off offset:208
	scratch_load_b128 v[6:9], off, off offset:224
	;; [unrolled: 1-line block ×9, first 2 shown]
	ds_load_b128 v[42:45], v1 offset:1088
	ds_load_b128 v[38:41], v1 offset:1104
	s_clause 0x1
	scratch_load_b128 v[159:162], off, off offset:192
	scratch_load_b128 v[163:166], off, off offset:352
	s_mov_b32 s0, exec_lo
	s_wait_loadcnt_dscnt 0xa01
	v_mul_f64_e32 v[167:168], v[44:45], v[4:5]
	v_mul_f64_e32 v[4:5], v[42:43], v[4:5]
	s_wait_loadcnt_dscnt 0x900
	v_mul_f64_e32 v[171:172], v[38:39], v[8:9]
	v_mul_f64_e32 v[8:9], v[40:41], v[8:9]
	s_delay_alu instid0(VALU_DEP_4) | instskip(NEXT) | instid1(VALU_DEP_4)
	v_fma_f64 v[173:174], v[42:43], v[2:3], -v[167:168]
	v_fma_f64 v[175:176], v[44:45], v[2:3], v[4:5]
	ds_load_b128 v[2:5], v1 offset:1120
	ds_load_b128 v[167:170], v1 offset:1136
	scratch_load_b128 v[42:45], off, off offset:368
	v_fma_f64 v[40:41], v[40:41], v[6:7], v[171:172]
	v_fma_f64 v[38:39], v[38:39], v[6:7], -v[8:9]
	scratch_load_b128 v[6:9], off, off offset:384
	s_wait_loadcnt_dscnt 0xa01
	v_mul_f64_e32 v[177:178], v[2:3], v[12:13]
	v_mul_f64_e32 v[12:13], v[4:5], v[12:13]
	v_add_f64_e32 v[171:172], 0, v[173:174]
	v_add_f64_e32 v[173:174], 0, v[175:176]
	s_wait_loadcnt_dscnt 0x900
	v_mul_f64_e32 v[175:176], v[167:168], v[16:17]
	v_mul_f64_e32 v[16:17], v[169:170], v[16:17]
	v_fma_f64 v[177:178], v[4:5], v[10:11], v[177:178]
	v_fma_f64 v[179:180], v[2:3], v[10:11], -v[12:13]
	ds_load_b128 v[2:5], v1 offset:1152
	scratch_load_b128 v[10:13], off, off offset:400
	v_add_f64_e32 v[171:172], v[171:172], v[38:39]
	v_add_f64_e32 v[173:174], v[173:174], v[40:41]
	ds_load_b128 v[38:41], v1 offset:1168
	v_fma_f64 v[169:170], v[169:170], v[14:15], v[175:176]
	v_fma_f64 v[167:168], v[167:168], v[14:15], -v[16:17]
	scratch_load_b128 v[14:17], off, off offset:416
	s_wait_loadcnt_dscnt 0xa01
	v_mul_f64_e32 v[181:182], v[2:3], v[20:21]
	v_mul_f64_e32 v[20:21], v[4:5], v[20:21]
	s_wait_loadcnt_dscnt 0x900
	v_mul_f64_e32 v[175:176], v[38:39], v[24:25]
	v_mul_f64_e32 v[24:25], v[40:41], v[24:25]
	v_add_f64_e32 v[171:172], v[171:172], v[179:180]
	v_add_f64_e32 v[173:174], v[173:174], v[177:178]
	v_fma_f64 v[177:178], v[4:5], v[18:19], v[181:182]
	v_fma_f64 v[179:180], v[2:3], v[18:19], -v[20:21]
	ds_load_b128 v[2:5], v1 offset:1184
	scratch_load_b128 v[18:21], off, off offset:432
	v_fma_f64 v[40:41], v[40:41], v[22:23], v[175:176]
	v_fma_f64 v[38:39], v[38:39], v[22:23], -v[24:25]
	scratch_load_b128 v[22:25], off, off offset:448
	v_add_f64_e32 v[171:172], v[171:172], v[167:168]
	v_add_f64_e32 v[173:174], v[173:174], v[169:170]
	ds_load_b128 v[167:170], v1 offset:1200
	s_wait_loadcnt_dscnt 0xa01
	v_mul_f64_e32 v[181:182], v[2:3], v[28:29]
	v_mul_f64_e32 v[28:29], v[4:5], v[28:29]
	s_wait_loadcnt_dscnt 0x900
	v_mul_f64_e32 v[175:176], v[167:168], v[32:33]
	v_mul_f64_e32 v[32:33], v[169:170], v[32:33]
	v_add_f64_e32 v[171:172], v[171:172], v[179:180]
	v_add_f64_e32 v[173:174], v[173:174], v[177:178]
	v_fma_f64 v[177:178], v[4:5], v[26:27], v[181:182]
	v_fma_f64 v[179:180], v[2:3], v[26:27], -v[28:29]
	ds_load_b128 v[2:5], v1 offset:1216
	scratch_load_b128 v[26:29], off, off offset:464
	v_fma_f64 v[169:170], v[169:170], v[30:31], v[175:176]
	v_fma_f64 v[167:168], v[167:168], v[30:31], -v[32:33]
	scratch_load_b128 v[30:33], off, off offset:480
	v_add_f64_e32 v[171:172], v[171:172], v[38:39]
	v_add_f64_e32 v[173:174], v[173:174], v[40:41]
	ds_load_b128 v[38:41], v1 offset:1232
	s_wait_loadcnt_dscnt 0xa01
	v_mul_f64_e32 v[181:182], v[2:3], v[36:37]
	v_mul_f64_e32 v[36:37], v[4:5], v[36:37]
	s_wait_loadcnt_dscnt 0x800
	v_mul_f64_e32 v[175:176], v[38:39], v[165:166]
	v_add_f64_e32 v[171:172], v[171:172], v[179:180]
	v_add_f64_e32 v[173:174], v[173:174], v[177:178]
	v_mul_f64_e32 v[177:178], v[40:41], v[165:166]
	v_fma_f64 v[179:180], v[4:5], v[34:35], v[181:182]
	v_fma_f64 v[181:182], v[2:3], v[34:35], -v[36:37]
	ds_load_b128 v[2:5], v1 offset:1248
	scratch_load_b128 v[34:37], off, off offset:496
	v_fma_f64 v[175:176], v[40:41], v[163:164], v[175:176]
	v_add_f64_e32 v[171:172], v[171:172], v[167:168]
	v_add_f64_e32 v[169:170], v[173:174], v[169:170]
	ds_load_b128 v[165:168], v1 offset:1264
	v_fma_f64 v[163:164], v[38:39], v[163:164], -v[177:178]
	scratch_load_b128 v[38:41], off, off offset:512
	s_wait_loadcnt_dscnt 0x901
	v_mul_f64_e32 v[173:174], v[2:3], v[44:45]
	v_mul_f64_e32 v[44:45], v[4:5], v[44:45]
	s_wait_loadcnt_dscnt 0x800
	v_mul_f64_e32 v[177:178], v[165:166], v[8:9]
	v_mul_f64_e32 v[8:9], v[167:168], v[8:9]
	v_add_f64_e32 v[171:172], v[171:172], v[181:182]
	v_add_f64_e32 v[169:170], v[169:170], v[179:180]
	v_fma_f64 v[173:174], v[4:5], v[42:43], v[173:174]
	v_fma_f64 v[179:180], v[2:3], v[42:43], -v[44:45]
	ds_load_b128 v[2:5], v1 offset:1280
	scratch_load_b128 v[42:45], off, off offset:528
	v_fma_f64 v[167:168], v[167:168], v[6:7], v[177:178]
	v_fma_f64 v[165:166], v[165:166], v[6:7], -v[8:9]
	scratch_load_b128 v[6:9], off, off offset:544
	v_add_f64_e32 v[163:164], v[171:172], v[163:164]
	v_add_f64_e32 v[175:176], v[169:170], v[175:176]
	ds_load_b128 v[169:172], v1 offset:1296
	s_wait_loadcnt_dscnt 0x901
	v_mul_f64_e32 v[181:182], v[2:3], v[12:13]
	v_mul_f64_e32 v[12:13], v[4:5], v[12:13]
	v_add_f64_e32 v[163:164], v[163:164], v[179:180]
	v_add_f64_e32 v[173:174], v[175:176], v[173:174]
	s_wait_loadcnt_dscnt 0x800
	v_mul_f64_e32 v[175:176], v[169:170], v[16:17]
	v_mul_f64_e32 v[16:17], v[171:172], v[16:17]
	v_fma_f64 v[177:178], v[4:5], v[10:11], v[181:182]
	v_fma_f64 v[179:180], v[2:3], v[10:11], -v[12:13]
	ds_load_b128 v[2:5], v1 offset:1312
	scratch_load_b128 v[10:13], off, off offset:560
	v_add_f64_e32 v[181:182], v[163:164], v[165:166]
	v_add_f64_e32 v[167:168], v[173:174], v[167:168]
	ds_load_b128 v[163:166], v1 offset:1328
	s_wait_loadcnt_dscnt 0x801
	v_mul_f64_e32 v[173:174], v[2:3], v[20:21]
	v_mul_f64_e32 v[20:21], v[4:5], v[20:21]
	v_fma_f64 v[171:172], v[171:172], v[14:15], v[175:176]
	v_fma_f64 v[169:170], v[169:170], v[14:15], -v[16:17]
	scratch_load_b128 v[14:17], off, off offset:576
	v_add_f64_e32 v[175:176], v[181:182], v[179:180]
	v_add_f64_e32 v[167:168], v[167:168], v[177:178]
	s_wait_loadcnt_dscnt 0x800
	v_mul_f64_e32 v[177:178], v[163:164], v[24:25]
	v_mul_f64_e32 v[24:25], v[165:166], v[24:25]
	v_fma_f64 v[173:174], v[4:5], v[18:19], v[173:174]
	v_fma_f64 v[179:180], v[2:3], v[18:19], -v[20:21]
	ds_load_b128 v[2:5], v1 offset:1344
	scratch_load_b128 v[18:21], off, off offset:592
	v_add_f64_e32 v[175:176], v[175:176], v[169:170]
	v_add_f64_e32 v[171:172], v[167:168], v[171:172]
	ds_load_b128 v[167:170], v1 offset:1360
	s_wait_loadcnt_dscnt 0x801
	v_mul_f64_e32 v[181:182], v[2:3], v[28:29]
	v_mul_f64_e32 v[28:29], v[4:5], v[28:29]
	v_fma_f64 v[165:166], v[165:166], v[22:23], v[177:178]
	v_fma_f64 v[163:164], v[163:164], v[22:23], -v[24:25]
	scratch_load_b128 v[22:25], off, off offset:608
	;; [unrolled: 18-line block ×4, first 2 shown]
	s_wait_loadcnt_dscnt 0x800
	v_mul_f64_e32 v[175:176], v[167:168], v[8:9]
	v_mul_f64_e32 v[8:9], v[169:170], v[8:9]
	v_add_f64_e32 v[173:174], v[173:174], v[179:180]
	v_add_f64_e32 v[171:172], v[171:172], v[177:178]
	v_fma_f64 v[177:178], v[4:5], v[42:43], v[181:182]
	v_fma_f64 v[179:180], v[2:3], v[42:43], -v[44:45]
	ds_load_b128 v[2:5], v1 offset:1440
	scratch_load_b128 v[42:45], off, off offset:688
	v_fma_f64 v[169:170], v[169:170], v[6:7], v[175:176]
	v_fma_f64 v[167:168], v[167:168], v[6:7], -v[8:9]
	scratch_load_b128 v[6:9], off, off offset:704
	v_add_f64_e32 v[173:174], v[173:174], v[163:164]
	v_add_f64_e32 v[171:172], v[171:172], v[165:166]
	ds_load_b128 v[163:166], v1 offset:1456
	s_wait_loadcnt_dscnt 0x901
	v_mul_f64_e32 v[181:182], v[2:3], v[12:13]
	v_mul_f64_e32 v[12:13], v[4:5], v[12:13]
	s_wait_loadcnt_dscnt 0x800
	v_mul_f64_e32 v[175:176], v[163:164], v[16:17]
	v_mul_f64_e32 v[16:17], v[165:166], v[16:17]
	v_add_f64_e32 v[173:174], v[173:174], v[179:180]
	v_add_f64_e32 v[171:172], v[171:172], v[177:178]
	v_fma_f64 v[177:178], v[4:5], v[10:11], v[181:182]
	v_fma_f64 v[179:180], v[2:3], v[10:11], -v[12:13]
	ds_load_b128 v[2:5], v1 offset:1472
	scratch_load_b128 v[10:13], off, off offset:720
	v_fma_f64 v[165:166], v[165:166], v[14:15], v[175:176]
	v_fma_f64 v[163:164], v[163:164], v[14:15], -v[16:17]
	scratch_load_b128 v[14:17], off, off offset:736
	v_add_f64_e32 v[173:174], v[173:174], v[167:168]
	v_add_f64_e32 v[171:172], v[171:172], v[169:170]
	ds_load_b128 v[167:170], v1 offset:1488
	s_wait_loadcnt_dscnt 0x901
	v_mul_f64_e32 v[181:182], v[2:3], v[20:21]
	v_mul_f64_e32 v[20:21], v[4:5], v[20:21]
	;; [unrolled: 18-line block ×7, first 2 shown]
	s_wait_loadcnt_dscnt 0x800
	v_mul_f64_e32 v[175:176], v[163:164], v[24:25]
	v_mul_f64_e32 v[24:25], v[165:166], v[24:25]
	v_add_f64_e32 v[173:174], v[173:174], v[179:180]
	v_add_f64_e32 v[171:172], v[171:172], v[177:178]
	v_fma_f64 v[177:178], v[4:5], v[18:19], v[181:182]
	v_fma_f64 v[179:180], v[2:3], v[18:19], -v[20:21]
	ds_load_b128 v[2:5], v1 offset:1664
	ds_load_b128 v[18:21], v1 offset:1680
	v_fma_f64 v[165:166], v[165:166], v[22:23], v[175:176]
	v_fma_f64 v[22:23], v[163:164], v[22:23], -v[24:25]
	v_add_f64_e32 v[167:168], v[173:174], v[167:168]
	v_add_f64_e32 v[169:170], v[171:172], v[169:170]
	s_wait_loadcnt_dscnt 0x701
	v_mul_f64_e32 v[171:172], v[2:3], v[28:29]
	v_mul_f64_e32 v[28:29], v[4:5], v[28:29]
	s_delay_alu instid0(VALU_DEP_4) | instskip(NEXT) | instid1(VALU_DEP_4)
	v_add_f64_e32 v[24:25], v[167:168], v[179:180]
	v_add_f64_e32 v[163:164], v[169:170], v[177:178]
	s_wait_loadcnt_dscnt 0x600
	v_mul_f64_e32 v[167:168], v[18:19], v[32:33]
	v_mul_f64_e32 v[32:33], v[20:21], v[32:33]
	v_fma_f64 v[169:170], v[4:5], v[26:27], v[171:172]
	v_fma_f64 v[26:27], v[2:3], v[26:27], -v[28:29]
	v_add_f64_e32 v[28:29], v[24:25], v[22:23]
	v_add_f64_e32 v[163:164], v[163:164], v[165:166]
	ds_load_b128 v[2:5], v1 offset:1696
	ds_load_b128 v[22:25], v1 offset:1712
	v_fma_f64 v[20:21], v[20:21], v[30:31], v[167:168]
	v_fma_f64 v[18:19], v[18:19], v[30:31], -v[32:33]
	s_wait_loadcnt_dscnt 0x501
	v_mul_f64_e32 v[165:166], v[2:3], v[36:37]
	v_mul_f64_e32 v[36:37], v[4:5], v[36:37]
	s_wait_loadcnt_dscnt 0x400
	v_mul_f64_e32 v[30:31], v[22:23], v[40:41]
	v_mul_f64_e32 v[32:33], v[24:25], v[40:41]
	v_add_f64_e32 v[26:27], v[28:29], v[26:27]
	v_add_f64_e32 v[28:29], v[163:164], v[169:170]
	v_fma_f64 v[40:41], v[4:5], v[34:35], v[165:166]
	v_fma_f64 v[34:35], v[2:3], v[34:35], -v[36:37]
	v_fma_f64 v[24:25], v[24:25], v[38:39], v[30:31]
	v_fma_f64 v[22:23], v[22:23], v[38:39], -v[32:33]
	v_add_f64_e32 v[26:27], v[26:27], v[18:19]
	v_add_f64_e32 v[28:29], v[28:29], v[20:21]
	ds_load_b128 v[2:5], v1 offset:1728
	ds_load_b128 v[18:21], v1 offset:1744
	s_wait_loadcnt_dscnt 0x301
	v_mul_f64_e32 v[36:37], v[2:3], v[44:45]
	v_mul_f64_e32 v[44:45], v[4:5], v[44:45]
	s_wait_loadcnt_dscnt 0x200
	v_mul_f64_e32 v[30:31], v[18:19], v[8:9]
	v_mul_f64_e32 v[8:9], v[20:21], v[8:9]
	v_add_f64_e32 v[26:27], v[26:27], v[34:35]
	v_add_f64_e32 v[28:29], v[28:29], v[40:41]
	v_fma_f64 v[32:33], v[4:5], v[42:43], v[36:37]
	v_fma_f64 v[34:35], v[2:3], v[42:43], -v[44:45]
	v_fma_f64 v[20:21], v[20:21], v[6:7], v[30:31]
	v_fma_f64 v[6:7], v[18:19], v[6:7], -v[8:9]
	v_add_f64_e32 v[26:27], v[26:27], v[22:23]
	v_add_f64_e32 v[28:29], v[28:29], v[24:25]
	ds_load_b128 v[2:5], v1 offset:1760
	ds_load_b128 v[22:25], v1 offset:1776
	s_wait_loadcnt_dscnt 0x101
	v_mul_f64_e32 v[36:37], v[2:3], v[12:13]
	v_mul_f64_e32 v[12:13], v[4:5], v[12:13]
	v_add_f64_e32 v[8:9], v[26:27], v[34:35]
	v_add_f64_e32 v[18:19], v[28:29], v[32:33]
	s_wait_loadcnt_dscnt 0x0
	v_mul_f64_e32 v[26:27], v[22:23], v[16:17]
	v_mul_f64_e32 v[16:17], v[24:25], v[16:17]
	v_fma_f64 v[4:5], v[4:5], v[10:11], v[36:37]
	v_fma_f64 v[1:2], v[2:3], v[10:11], -v[12:13]
	v_add_f64_e32 v[6:7], v[8:9], v[6:7]
	v_add_f64_e32 v[8:9], v[18:19], v[20:21]
	v_fma_f64 v[10:11], v[24:25], v[14:15], v[26:27]
	v_fma_f64 v[12:13], v[22:23], v[14:15], -v[16:17]
	s_delay_alu instid0(VALU_DEP_4) | instskip(NEXT) | instid1(VALU_DEP_4)
	v_add_f64_e32 v[1:2], v[6:7], v[1:2]
	v_add_f64_e32 v[3:4], v[8:9], v[4:5]
	s_delay_alu instid0(VALU_DEP_2) | instskip(NEXT) | instid1(VALU_DEP_2)
	v_add_f64_e32 v[1:2], v[1:2], v[12:13]
	v_add_f64_e32 v[3:4], v[3:4], v[10:11]
	s_delay_alu instid0(VALU_DEP_2) | instskip(NEXT) | instid1(VALU_DEP_2)
	v_add_f64_e64 v[1:2], v[159:160], -v[1:2]
	v_add_f64_e64 v[3:4], v[161:162], -v[3:4]
	scratch_store_b128 off, v[1:4], off offset:192
	v_cmpx_lt_u32_e32 10, v0
	s_cbranch_execz .LBB119_329
; %bb.328:
	scratch_load_b128 v[1:4], off, s59
	v_mov_b32_e32 v5, 0
	s_delay_alu instid0(VALU_DEP_1)
	v_dual_mov_b32 v6, v5 :: v_dual_mov_b32 v7, v5
	v_mov_b32_e32 v8, v5
	scratch_store_b128 off, v[5:8], off offset:176
	s_wait_loadcnt 0x0
	ds_store_b128 v158, v[1:4]
.LBB119_329:
	s_wait_alu 0xfffe
	s_or_b32 exec_lo, exec_lo, s0
	s_wait_storecnt_dscnt 0x0
	s_barrier_signal -1
	s_barrier_wait -1
	global_inv scope:SCOPE_SE
	s_clause 0x7
	scratch_load_b128 v[2:5], off, off offset:192
	scratch_load_b128 v[6:9], off, off offset:208
	;; [unrolled: 1-line block ×8, first 2 shown]
	v_mov_b32_e32 v1, 0
	s_mov_b32 s0, exec_lo
	ds_load_b128 v[38:41], v1 offset:1072
	s_clause 0x1
	scratch_load_b128 v[34:37], off, off offset:320
	scratch_load_b128 v[42:45], off, off offset:176
	ds_load_b128 v[159:162], v1 offset:1088
	scratch_load_b128 v[163:166], off, off offset:336
	s_wait_loadcnt_dscnt 0xa01
	v_mul_f64_e32 v[167:168], v[40:41], v[4:5]
	v_mul_f64_e32 v[4:5], v[38:39], v[4:5]
	s_delay_alu instid0(VALU_DEP_2) | instskip(NEXT) | instid1(VALU_DEP_2)
	v_fma_f64 v[173:174], v[38:39], v[2:3], -v[167:168]
	v_fma_f64 v[175:176], v[40:41], v[2:3], v[4:5]
	ds_load_b128 v[2:5], v1 offset:1104
	s_wait_loadcnt_dscnt 0x901
	v_mul_f64_e32 v[171:172], v[159:160], v[8:9]
	v_mul_f64_e32 v[8:9], v[161:162], v[8:9]
	scratch_load_b128 v[38:41], off, off offset:352
	ds_load_b128 v[167:170], v1 offset:1120
	s_wait_loadcnt_dscnt 0x901
	v_mul_f64_e32 v[177:178], v[2:3], v[12:13]
	v_mul_f64_e32 v[12:13], v[4:5], v[12:13]
	v_fma_f64 v[161:162], v[161:162], v[6:7], v[171:172]
	v_fma_f64 v[159:160], v[159:160], v[6:7], -v[8:9]
	v_add_f64_e32 v[171:172], 0, v[173:174]
	v_add_f64_e32 v[173:174], 0, v[175:176]
	scratch_load_b128 v[6:9], off, off offset:368
	v_fma_f64 v[177:178], v[4:5], v[10:11], v[177:178]
	v_fma_f64 v[179:180], v[2:3], v[10:11], -v[12:13]
	ds_load_b128 v[2:5], v1 offset:1136
	s_wait_loadcnt_dscnt 0x901
	v_mul_f64_e32 v[175:176], v[167:168], v[16:17]
	v_mul_f64_e32 v[16:17], v[169:170], v[16:17]
	scratch_load_b128 v[10:13], off, off offset:384
	v_add_f64_e32 v[171:172], v[171:172], v[159:160]
	v_add_f64_e32 v[173:174], v[173:174], v[161:162]
	s_wait_loadcnt_dscnt 0x900
	v_mul_f64_e32 v[181:182], v[2:3], v[20:21]
	v_mul_f64_e32 v[20:21], v[4:5], v[20:21]
	ds_load_b128 v[159:162], v1 offset:1152
	v_fma_f64 v[169:170], v[169:170], v[14:15], v[175:176]
	v_fma_f64 v[167:168], v[167:168], v[14:15], -v[16:17]
	scratch_load_b128 v[14:17], off, off offset:400
	v_add_f64_e32 v[171:172], v[171:172], v[179:180]
	v_add_f64_e32 v[173:174], v[173:174], v[177:178]
	v_fma_f64 v[177:178], v[4:5], v[18:19], v[181:182]
	v_fma_f64 v[179:180], v[2:3], v[18:19], -v[20:21]
	ds_load_b128 v[2:5], v1 offset:1168
	s_wait_loadcnt_dscnt 0x901
	v_mul_f64_e32 v[175:176], v[159:160], v[24:25]
	v_mul_f64_e32 v[24:25], v[161:162], v[24:25]
	scratch_load_b128 v[18:21], off, off offset:416
	s_wait_loadcnt_dscnt 0x900
	v_mul_f64_e32 v[181:182], v[2:3], v[28:29]
	v_mul_f64_e32 v[28:29], v[4:5], v[28:29]
	v_add_f64_e32 v[171:172], v[171:172], v[167:168]
	v_add_f64_e32 v[173:174], v[173:174], v[169:170]
	ds_load_b128 v[167:170], v1 offset:1184
	v_fma_f64 v[161:162], v[161:162], v[22:23], v[175:176]
	v_fma_f64 v[159:160], v[159:160], v[22:23], -v[24:25]
	scratch_load_b128 v[22:25], off, off offset:432
	v_add_f64_e32 v[171:172], v[171:172], v[179:180]
	v_add_f64_e32 v[173:174], v[173:174], v[177:178]
	v_fma_f64 v[177:178], v[4:5], v[26:27], v[181:182]
	v_fma_f64 v[179:180], v[2:3], v[26:27], -v[28:29]
	ds_load_b128 v[2:5], v1 offset:1200
	s_wait_loadcnt_dscnt 0x901
	v_mul_f64_e32 v[175:176], v[167:168], v[32:33]
	v_mul_f64_e32 v[32:33], v[169:170], v[32:33]
	scratch_load_b128 v[26:29], off, off offset:448
	s_wait_loadcnt_dscnt 0x900
	v_mul_f64_e32 v[181:182], v[2:3], v[36:37]
	v_mul_f64_e32 v[36:37], v[4:5], v[36:37]
	v_add_f64_e32 v[171:172], v[171:172], v[159:160]
	v_add_f64_e32 v[173:174], v[173:174], v[161:162]
	ds_load_b128 v[159:162], v1 offset:1216
	v_fma_f64 v[169:170], v[169:170], v[30:31], v[175:176]
	v_fma_f64 v[167:168], v[167:168], v[30:31], -v[32:33]
	scratch_load_b128 v[30:33], off, off offset:464
	v_add_f64_e32 v[171:172], v[171:172], v[179:180]
	v_add_f64_e32 v[173:174], v[173:174], v[177:178]
	v_fma_f64 v[179:180], v[4:5], v[34:35], v[181:182]
	v_fma_f64 v[181:182], v[2:3], v[34:35], -v[36:37]
	ds_load_b128 v[2:5], v1 offset:1232
	s_wait_loadcnt_dscnt 0x801
	v_mul_f64_e32 v[175:176], v[159:160], v[165:166]
	v_mul_f64_e32 v[177:178], v[161:162], v[165:166]
	scratch_load_b128 v[34:37], off, off offset:480
	v_add_f64_e32 v[171:172], v[171:172], v[167:168]
	v_add_f64_e32 v[169:170], v[173:174], v[169:170]
	ds_load_b128 v[165:168], v1 offset:1248
	v_fma_f64 v[175:176], v[161:162], v[163:164], v[175:176]
	v_fma_f64 v[163:164], v[159:160], v[163:164], -v[177:178]
	scratch_load_b128 v[159:162], off, off offset:496
	s_wait_loadcnt_dscnt 0x901
	v_mul_f64_e32 v[173:174], v[2:3], v[40:41]
	v_mul_f64_e32 v[40:41], v[4:5], v[40:41]
	v_add_f64_e32 v[171:172], v[171:172], v[181:182]
	v_add_f64_e32 v[169:170], v[169:170], v[179:180]
	s_delay_alu instid0(VALU_DEP_4) | instskip(NEXT) | instid1(VALU_DEP_4)
	v_fma_f64 v[173:174], v[4:5], v[38:39], v[173:174]
	v_fma_f64 v[179:180], v[2:3], v[38:39], -v[40:41]
	ds_load_b128 v[2:5], v1 offset:1264
	s_wait_loadcnt_dscnt 0x801
	v_mul_f64_e32 v[177:178], v[165:166], v[8:9]
	v_mul_f64_e32 v[8:9], v[167:168], v[8:9]
	scratch_load_b128 v[38:41], off, off offset:512
	s_wait_loadcnt_dscnt 0x800
	v_mul_f64_e32 v[181:182], v[2:3], v[12:13]
	v_add_f64_e32 v[163:164], v[171:172], v[163:164]
	v_add_f64_e32 v[175:176], v[169:170], v[175:176]
	v_mul_f64_e32 v[12:13], v[4:5], v[12:13]
	ds_load_b128 v[169:172], v1 offset:1280
	v_fma_f64 v[167:168], v[167:168], v[6:7], v[177:178]
	v_fma_f64 v[165:166], v[165:166], v[6:7], -v[8:9]
	scratch_load_b128 v[6:9], off, off offset:528
	v_fma_f64 v[177:178], v[4:5], v[10:11], v[181:182]
	v_add_f64_e32 v[163:164], v[163:164], v[179:180]
	v_add_f64_e32 v[173:174], v[175:176], v[173:174]
	v_fma_f64 v[179:180], v[2:3], v[10:11], -v[12:13]
	ds_load_b128 v[2:5], v1 offset:1296
	s_wait_loadcnt_dscnt 0x801
	v_mul_f64_e32 v[175:176], v[169:170], v[16:17]
	v_mul_f64_e32 v[16:17], v[171:172], v[16:17]
	scratch_load_b128 v[10:13], off, off offset:544
	v_add_f64_e32 v[181:182], v[163:164], v[165:166]
	v_add_f64_e32 v[167:168], v[173:174], v[167:168]
	s_wait_loadcnt_dscnt 0x800
	v_mul_f64_e32 v[173:174], v[2:3], v[20:21]
	v_mul_f64_e32 v[20:21], v[4:5], v[20:21]
	v_fma_f64 v[171:172], v[171:172], v[14:15], v[175:176]
	v_fma_f64 v[169:170], v[169:170], v[14:15], -v[16:17]
	ds_load_b128 v[163:166], v1 offset:1312
	scratch_load_b128 v[14:17], off, off offset:560
	v_add_f64_e32 v[175:176], v[181:182], v[179:180]
	v_add_f64_e32 v[167:168], v[167:168], v[177:178]
	v_fma_f64 v[173:174], v[4:5], v[18:19], v[173:174]
	v_fma_f64 v[179:180], v[2:3], v[18:19], -v[20:21]
	ds_load_b128 v[2:5], v1 offset:1328
	s_wait_loadcnt_dscnt 0x801
	v_mul_f64_e32 v[177:178], v[163:164], v[24:25]
	v_mul_f64_e32 v[24:25], v[165:166], v[24:25]
	scratch_load_b128 v[18:21], off, off offset:576
	s_wait_loadcnt_dscnt 0x800
	v_mul_f64_e32 v[181:182], v[2:3], v[28:29]
	v_mul_f64_e32 v[28:29], v[4:5], v[28:29]
	v_add_f64_e32 v[175:176], v[175:176], v[169:170]
	v_add_f64_e32 v[171:172], v[167:168], v[171:172]
	ds_load_b128 v[167:170], v1 offset:1344
	v_fma_f64 v[165:166], v[165:166], v[22:23], v[177:178]
	v_fma_f64 v[163:164], v[163:164], v[22:23], -v[24:25]
	scratch_load_b128 v[22:25], off, off offset:592
	v_fma_f64 v[177:178], v[4:5], v[26:27], v[181:182]
	v_add_f64_e32 v[175:176], v[175:176], v[179:180]
	v_add_f64_e32 v[171:172], v[171:172], v[173:174]
	v_fma_f64 v[179:180], v[2:3], v[26:27], -v[28:29]
	ds_load_b128 v[2:5], v1 offset:1360
	s_wait_loadcnt_dscnt 0x801
	v_mul_f64_e32 v[173:174], v[167:168], v[32:33]
	v_mul_f64_e32 v[32:33], v[169:170], v[32:33]
	scratch_load_b128 v[26:29], off, off offset:608
	s_wait_loadcnt_dscnt 0x800
	v_mul_f64_e32 v[181:182], v[2:3], v[36:37]
	v_mul_f64_e32 v[36:37], v[4:5], v[36:37]
	v_add_f64_e32 v[175:176], v[175:176], v[163:164]
	v_add_f64_e32 v[171:172], v[171:172], v[165:166]
	ds_load_b128 v[163:166], v1 offset:1376
	v_fma_f64 v[169:170], v[169:170], v[30:31], v[173:174]
	v_fma_f64 v[167:168], v[167:168], v[30:31], -v[32:33]
	scratch_load_b128 v[30:33], off, off offset:624
	v_add_f64_e32 v[173:174], v[175:176], v[179:180]
	v_add_f64_e32 v[171:172], v[171:172], v[177:178]
	v_fma_f64 v[177:178], v[4:5], v[34:35], v[181:182]
	v_fma_f64 v[179:180], v[2:3], v[34:35], -v[36:37]
	ds_load_b128 v[2:5], v1 offset:1392
	s_wait_loadcnt_dscnt 0x801
	v_mul_f64_e32 v[175:176], v[163:164], v[161:162]
	v_mul_f64_e32 v[161:162], v[165:166], v[161:162]
	scratch_load_b128 v[34:37], off, off offset:640
	s_wait_loadcnt_dscnt 0x800
	v_mul_f64_e32 v[181:182], v[2:3], v[40:41]
	v_mul_f64_e32 v[40:41], v[4:5], v[40:41]
	v_add_f64_e32 v[173:174], v[173:174], v[167:168]
	v_add_f64_e32 v[171:172], v[171:172], v[169:170]
	ds_load_b128 v[167:170], v1 offset:1408
	v_fma_f64 v[165:166], v[165:166], v[159:160], v[175:176]
	v_fma_f64 v[163:164], v[163:164], v[159:160], -v[161:162]
	scratch_load_b128 v[159:162], off, off offset:656
	v_add_f64_e32 v[173:174], v[173:174], v[179:180]
	v_add_f64_e32 v[171:172], v[171:172], v[177:178]
	v_fma_f64 v[177:178], v[4:5], v[38:39], v[181:182]
	v_fma_f64 v[179:180], v[2:3], v[38:39], -v[40:41]
	ds_load_b128 v[2:5], v1 offset:1424
	s_wait_loadcnt_dscnt 0x801
	v_mul_f64_e32 v[175:176], v[167:168], v[8:9]
	v_mul_f64_e32 v[8:9], v[169:170], v[8:9]
	scratch_load_b128 v[38:41], off, off offset:672
	s_wait_loadcnt_dscnt 0x800
	v_mul_f64_e32 v[181:182], v[2:3], v[12:13]
	v_mul_f64_e32 v[12:13], v[4:5], v[12:13]
	v_add_f64_e32 v[173:174], v[173:174], v[163:164]
	v_add_f64_e32 v[171:172], v[171:172], v[165:166]
	ds_load_b128 v[163:166], v1 offset:1440
	v_fma_f64 v[169:170], v[169:170], v[6:7], v[175:176]
	v_fma_f64 v[167:168], v[167:168], v[6:7], -v[8:9]
	scratch_load_b128 v[6:9], off, off offset:688
	v_add_f64_e32 v[173:174], v[173:174], v[179:180]
	v_add_f64_e32 v[171:172], v[171:172], v[177:178]
	v_fma_f64 v[177:178], v[4:5], v[10:11], v[181:182]
	v_fma_f64 v[179:180], v[2:3], v[10:11], -v[12:13]
	ds_load_b128 v[2:5], v1 offset:1456
	s_wait_loadcnt_dscnt 0x801
	v_mul_f64_e32 v[175:176], v[163:164], v[16:17]
	v_mul_f64_e32 v[16:17], v[165:166], v[16:17]
	scratch_load_b128 v[10:13], off, off offset:704
	s_wait_loadcnt_dscnt 0x800
	v_mul_f64_e32 v[181:182], v[2:3], v[20:21]
	v_mul_f64_e32 v[20:21], v[4:5], v[20:21]
	v_add_f64_e32 v[173:174], v[173:174], v[167:168]
	v_add_f64_e32 v[171:172], v[171:172], v[169:170]
	ds_load_b128 v[167:170], v1 offset:1472
	v_fma_f64 v[165:166], v[165:166], v[14:15], v[175:176]
	v_fma_f64 v[163:164], v[163:164], v[14:15], -v[16:17]
	scratch_load_b128 v[14:17], off, off offset:720
	v_add_f64_e32 v[173:174], v[173:174], v[179:180]
	v_add_f64_e32 v[171:172], v[171:172], v[177:178]
	v_fma_f64 v[177:178], v[4:5], v[18:19], v[181:182]
	v_fma_f64 v[179:180], v[2:3], v[18:19], -v[20:21]
	ds_load_b128 v[2:5], v1 offset:1488
	s_wait_loadcnt_dscnt 0x801
	v_mul_f64_e32 v[175:176], v[167:168], v[24:25]
	v_mul_f64_e32 v[24:25], v[169:170], v[24:25]
	scratch_load_b128 v[18:21], off, off offset:736
	s_wait_loadcnt_dscnt 0x800
	v_mul_f64_e32 v[181:182], v[2:3], v[28:29]
	v_mul_f64_e32 v[28:29], v[4:5], v[28:29]
	v_add_f64_e32 v[173:174], v[173:174], v[163:164]
	v_add_f64_e32 v[171:172], v[171:172], v[165:166]
	ds_load_b128 v[163:166], v1 offset:1504
	v_fma_f64 v[169:170], v[169:170], v[22:23], v[175:176]
	v_fma_f64 v[167:168], v[167:168], v[22:23], -v[24:25]
	scratch_load_b128 v[22:25], off, off offset:752
	v_add_f64_e32 v[173:174], v[173:174], v[179:180]
	v_add_f64_e32 v[171:172], v[171:172], v[177:178]
	v_fma_f64 v[177:178], v[4:5], v[26:27], v[181:182]
	v_fma_f64 v[179:180], v[2:3], v[26:27], -v[28:29]
	ds_load_b128 v[2:5], v1 offset:1520
	s_wait_loadcnt_dscnt 0x801
	v_mul_f64_e32 v[175:176], v[163:164], v[32:33]
	v_mul_f64_e32 v[32:33], v[165:166], v[32:33]
	scratch_load_b128 v[26:29], off, off offset:768
	s_wait_loadcnt_dscnt 0x800
	v_mul_f64_e32 v[181:182], v[2:3], v[36:37]
	v_mul_f64_e32 v[36:37], v[4:5], v[36:37]
	v_add_f64_e32 v[173:174], v[173:174], v[167:168]
	v_add_f64_e32 v[171:172], v[171:172], v[169:170]
	ds_load_b128 v[167:170], v1 offset:1536
	v_fma_f64 v[165:166], v[165:166], v[30:31], v[175:176]
	v_fma_f64 v[163:164], v[163:164], v[30:31], -v[32:33]
	scratch_load_b128 v[30:33], off, off offset:784
	v_add_f64_e32 v[173:174], v[173:174], v[179:180]
	v_add_f64_e32 v[171:172], v[171:172], v[177:178]
	v_fma_f64 v[179:180], v[4:5], v[34:35], v[181:182]
	v_fma_f64 v[181:182], v[2:3], v[34:35], -v[36:37]
	ds_load_b128 v[2:5], v1 offset:1552
	s_wait_loadcnt_dscnt 0x801
	v_mul_f64_e32 v[175:176], v[167:168], v[161:162]
	v_mul_f64_e32 v[177:178], v[169:170], v[161:162]
	scratch_load_b128 v[34:37], off, off offset:800
	v_add_f64_e32 v[173:174], v[173:174], v[163:164]
	v_add_f64_e32 v[165:166], v[171:172], v[165:166]
	s_wait_loadcnt_dscnt 0x800
	v_mul_f64_e32 v[171:172], v[2:3], v[40:41]
	v_mul_f64_e32 v[40:41], v[4:5], v[40:41]
	ds_load_b128 v[161:164], v1 offset:1568
	v_fma_f64 v[169:170], v[169:170], v[159:160], v[175:176]
	v_fma_f64 v[159:160], v[167:168], v[159:160], -v[177:178]
	v_add_f64_e32 v[173:174], v[173:174], v[181:182]
	v_add_f64_e32 v[175:176], v[165:166], v[179:180]
	scratch_load_b128 v[165:168], off, off offset:816
	v_fma_f64 v[179:180], v[4:5], v[38:39], v[171:172]
	v_fma_f64 v[181:182], v[2:3], v[38:39], -v[40:41]
	ds_load_b128 v[2:5], v1 offset:1584
	s_wait_loadcnt_dscnt 0x801
	v_mul_f64_e32 v[177:178], v[161:162], v[8:9]
	v_mul_f64_e32 v[8:9], v[163:164], v[8:9]
	scratch_load_b128 v[38:41], off, off offset:832
	v_add_f64_e32 v[159:160], v[173:174], v[159:160]
	v_add_f64_e32 v[173:174], v[175:176], v[169:170]
	s_wait_loadcnt_dscnt 0x800
	v_mul_f64_e32 v[175:176], v[2:3], v[12:13]
	v_mul_f64_e32 v[12:13], v[4:5], v[12:13]
	ds_load_b128 v[169:172], v1 offset:1600
	v_fma_f64 v[163:164], v[163:164], v[6:7], v[177:178]
	v_fma_f64 v[161:162], v[161:162], v[6:7], -v[8:9]
	scratch_load_b128 v[6:9], off, off offset:848
	v_add_f64_e32 v[159:160], v[159:160], v[181:182]
	v_add_f64_e32 v[173:174], v[173:174], v[179:180]
	v_fma_f64 v[175:176], v[4:5], v[10:11], v[175:176]
	v_fma_f64 v[179:180], v[2:3], v[10:11], -v[12:13]
	ds_load_b128 v[2:5], v1 offset:1616
	s_wait_loadcnt_dscnt 0x801
	v_mul_f64_e32 v[177:178], v[169:170], v[16:17]
	v_mul_f64_e32 v[16:17], v[171:172], v[16:17]
	scratch_load_b128 v[10:13], off, off offset:864
	v_add_f64_e32 v[181:182], v[159:160], v[161:162]
	v_add_f64_e32 v[163:164], v[173:174], v[163:164]
	s_wait_loadcnt_dscnt 0x800
	v_mul_f64_e32 v[173:174], v[2:3], v[20:21]
	v_mul_f64_e32 v[20:21], v[4:5], v[20:21]
	ds_load_b128 v[159:162], v1 offset:1632
	v_fma_f64 v[171:172], v[171:172], v[14:15], v[177:178]
	v_fma_f64 v[169:170], v[169:170], v[14:15], -v[16:17]
	scratch_load_b128 v[14:17], off, off offset:880
	v_add_f64_e32 v[177:178], v[181:182], v[179:180]
	v_add_f64_e32 v[163:164], v[163:164], v[175:176]
	v_fma_f64 v[173:174], v[4:5], v[18:19], v[173:174]
	v_fma_f64 v[179:180], v[2:3], v[18:19], -v[20:21]
	ds_load_b128 v[2:5], v1 offset:1648
	s_wait_loadcnt_dscnt 0x801
	v_mul_f64_e32 v[175:176], v[159:160], v[24:25]
	v_mul_f64_e32 v[24:25], v[161:162], v[24:25]
	scratch_load_b128 v[18:21], off, off offset:896
	s_wait_loadcnt_dscnt 0x800
	v_mul_f64_e32 v[181:182], v[2:3], v[28:29]
	v_mul_f64_e32 v[28:29], v[4:5], v[28:29]
	v_add_f64_e32 v[177:178], v[177:178], v[169:170]
	v_add_f64_e32 v[163:164], v[163:164], v[171:172]
	ds_load_b128 v[169:172], v1 offset:1664
	v_fma_f64 v[161:162], v[161:162], v[22:23], v[175:176]
	v_fma_f64 v[22:23], v[159:160], v[22:23], -v[24:25]
	v_add_f64_e32 v[24:25], v[177:178], v[179:180]
	v_add_f64_e32 v[159:160], v[163:164], v[173:174]
	s_wait_loadcnt_dscnt 0x700
	v_mul_f64_e32 v[163:164], v[169:170], v[32:33]
	v_mul_f64_e32 v[32:33], v[171:172], v[32:33]
	v_fma_f64 v[173:174], v[4:5], v[26:27], v[181:182]
	v_fma_f64 v[26:27], v[2:3], v[26:27], -v[28:29]
	v_add_f64_e32 v[28:29], v[24:25], v[22:23]
	v_add_f64_e32 v[159:160], v[159:160], v[161:162]
	ds_load_b128 v[2:5], v1 offset:1680
	ds_load_b128 v[22:25], v1 offset:1696
	v_fma_f64 v[163:164], v[171:172], v[30:31], v[163:164]
	v_fma_f64 v[30:31], v[169:170], v[30:31], -v[32:33]
	s_wait_loadcnt_dscnt 0x601
	v_mul_f64_e32 v[161:162], v[2:3], v[36:37]
	v_mul_f64_e32 v[36:37], v[4:5], v[36:37]
	v_add_f64_e32 v[26:27], v[28:29], v[26:27]
	v_add_f64_e32 v[28:29], v[159:160], v[173:174]
	s_wait_loadcnt_dscnt 0x500
	v_mul_f64_e32 v[32:33], v[22:23], v[167:168]
	v_mul_f64_e32 v[159:160], v[24:25], v[167:168]
	v_fma_f64 v[161:162], v[4:5], v[34:35], v[161:162]
	v_fma_f64 v[34:35], v[2:3], v[34:35], -v[36:37]
	v_add_f64_e32 v[30:31], v[26:27], v[30:31]
	v_add_f64_e32 v[36:37], v[28:29], v[163:164]
	ds_load_b128 v[2:5], v1 offset:1712
	ds_load_b128 v[26:29], v1 offset:1728
	v_fma_f64 v[24:25], v[24:25], v[165:166], v[32:33]
	v_fma_f64 v[22:23], v[22:23], v[165:166], -v[159:160]
	s_wait_loadcnt_dscnt 0x401
	v_mul_f64_e32 v[163:164], v[2:3], v[40:41]
	v_mul_f64_e32 v[40:41], v[4:5], v[40:41]
	;; [unrolled: 16-line block ×3, first 2 shown]
	v_add_f64_e32 v[8:9], v[30:31], v[38:39]
	v_add_f64_e32 v[26:27], v[32:33], v[36:37]
	s_wait_loadcnt_dscnt 0x100
	v_mul_f64_e32 v[30:31], v[22:23], v[16:17]
	v_mul_f64_e32 v[16:17], v[24:25], v[16:17]
	v_fma_f64 v[32:33], v[4:5], v[10:11], v[40:41]
	v_fma_f64 v[10:11], v[2:3], v[10:11], -v[12:13]
	ds_load_b128 v[2:5], v1 offset:1776
	v_add_f64_e32 v[6:7], v[8:9], v[6:7]
	v_add_f64_e32 v[8:9], v[26:27], v[28:29]
	v_fma_f64 v[24:25], v[24:25], v[14:15], v[30:31]
	v_fma_f64 v[14:15], v[22:23], v[14:15], -v[16:17]
	s_wait_loadcnt_dscnt 0x0
	v_mul_f64_e32 v[12:13], v[2:3], v[20:21]
	v_mul_f64_e32 v[20:21], v[4:5], v[20:21]
	v_add_f64_e32 v[6:7], v[6:7], v[10:11]
	v_add_f64_e32 v[8:9], v[8:9], v[32:33]
	s_delay_alu instid0(VALU_DEP_4) | instskip(NEXT) | instid1(VALU_DEP_4)
	v_fma_f64 v[4:5], v[4:5], v[18:19], v[12:13]
	v_fma_f64 v[2:3], v[2:3], v[18:19], -v[20:21]
	s_delay_alu instid0(VALU_DEP_4) | instskip(NEXT) | instid1(VALU_DEP_4)
	v_add_f64_e32 v[6:7], v[6:7], v[14:15]
	v_add_f64_e32 v[8:9], v[8:9], v[24:25]
	s_delay_alu instid0(VALU_DEP_2) | instskip(NEXT) | instid1(VALU_DEP_2)
	v_add_f64_e32 v[2:3], v[6:7], v[2:3]
	v_add_f64_e32 v[4:5], v[8:9], v[4:5]
	s_delay_alu instid0(VALU_DEP_2) | instskip(NEXT) | instid1(VALU_DEP_2)
	v_add_f64_e64 v[2:3], v[42:43], -v[2:3]
	v_add_f64_e64 v[4:5], v[44:45], -v[4:5]
	scratch_store_b128 off, v[2:5], off offset:176
	v_cmpx_lt_u32_e32 9, v0
	s_cbranch_execz .LBB119_331
; %bb.330:
	scratch_load_b128 v[5:8], off, s60
	v_dual_mov_b32 v2, v1 :: v_dual_mov_b32 v3, v1
	v_mov_b32_e32 v4, v1
	scratch_store_b128 off, v[1:4], off offset:160
	s_wait_loadcnt 0x0
	ds_store_b128 v158, v[5:8]
.LBB119_331:
	s_wait_alu 0xfffe
	s_or_b32 exec_lo, exec_lo, s0
	s_wait_storecnt_dscnt 0x0
	s_barrier_signal -1
	s_barrier_wait -1
	global_inv scope:SCOPE_SE
	s_clause 0x8
	scratch_load_b128 v[2:5], off, off offset:176
	scratch_load_b128 v[6:9], off, off offset:192
	;; [unrolled: 1-line block ×9, first 2 shown]
	ds_load_b128 v[42:45], v1 offset:1056
	ds_load_b128 v[38:41], v1 offset:1072
	s_clause 0x1
	scratch_load_b128 v[159:162], off, off offset:160
	scratch_load_b128 v[163:166], off, off offset:320
	s_mov_b32 s0, exec_lo
	s_wait_loadcnt_dscnt 0xa01
	v_mul_f64_e32 v[167:168], v[44:45], v[4:5]
	v_mul_f64_e32 v[4:5], v[42:43], v[4:5]
	s_wait_loadcnt_dscnt 0x900
	v_mul_f64_e32 v[171:172], v[38:39], v[8:9]
	v_mul_f64_e32 v[8:9], v[40:41], v[8:9]
	s_delay_alu instid0(VALU_DEP_4) | instskip(NEXT) | instid1(VALU_DEP_4)
	v_fma_f64 v[173:174], v[42:43], v[2:3], -v[167:168]
	v_fma_f64 v[175:176], v[44:45], v[2:3], v[4:5]
	ds_load_b128 v[2:5], v1 offset:1088
	ds_load_b128 v[167:170], v1 offset:1104
	scratch_load_b128 v[42:45], off, off offset:336
	v_fma_f64 v[40:41], v[40:41], v[6:7], v[171:172]
	v_fma_f64 v[38:39], v[38:39], v[6:7], -v[8:9]
	scratch_load_b128 v[6:9], off, off offset:352
	s_wait_loadcnt_dscnt 0xa01
	v_mul_f64_e32 v[177:178], v[2:3], v[12:13]
	v_mul_f64_e32 v[12:13], v[4:5], v[12:13]
	v_add_f64_e32 v[171:172], 0, v[173:174]
	v_add_f64_e32 v[173:174], 0, v[175:176]
	s_wait_loadcnt_dscnt 0x900
	v_mul_f64_e32 v[175:176], v[167:168], v[16:17]
	v_mul_f64_e32 v[16:17], v[169:170], v[16:17]
	v_fma_f64 v[177:178], v[4:5], v[10:11], v[177:178]
	v_fma_f64 v[179:180], v[2:3], v[10:11], -v[12:13]
	ds_load_b128 v[2:5], v1 offset:1120
	scratch_load_b128 v[10:13], off, off offset:368
	v_add_f64_e32 v[171:172], v[171:172], v[38:39]
	v_add_f64_e32 v[173:174], v[173:174], v[40:41]
	ds_load_b128 v[38:41], v1 offset:1136
	v_fma_f64 v[169:170], v[169:170], v[14:15], v[175:176]
	v_fma_f64 v[167:168], v[167:168], v[14:15], -v[16:17]
	scratch_load_b128 v[14:17], off, off offset:384
	s_wait_loadcnt_dscnt 0xa01
	v_mul_f64_e32 v[181:182], v[2:3], v[20:21]
	v_mul_f64_e32 v[20:21], v[4:5], v[20:21]
	s_wait_loadcnt_dscnt 0x900
	v_mul_f64_e32 v[175:176], v[38:39], v[24:25]
	v_mul_f64_e32 v[24:25], v[40:41], v[24:25]
	v_add_f64_e32 v[171:172], v[171:172], v[179:180]
	v_add_f64_e32 v[173:174], v[173:174], v[177:178]
	v_fma_f64 v[177:178], v[4:5], v[18:19], v[181:182]
	v_fma_f64 v[179:180], v[2:3], v[18:19], -v[20:21]
	ds_load_b128 v[2:5], v1 offset:1152
	scratch_load_b128 v[18:21], off, off offset:400
	v_fma_f64 v[40:41], v[40:41], v[22:23], v[175:176]
	v_fma_f64 v[38:39], v[38:39], v[22:23], -v[24:25]
	scratch_load_b128 v[22:25], off, off offset:416
	v_add_f64_e32 v[171:172], v[171:172], v[167:168]
	v_add_f64_e32 v[173:174], v[173:174], v[169:170]
	ds_load_b128 v[167:170], v1 offset:1168
	s_wait_loadcnt_dscnt 0xa01
	v_mul_f64_e32 v[181:182], v[2:3], v[28:29]
	v_mul_f64_e32 v[28:29], v[4:5], v[28:29]
	s_wait_loadcnt_dscnt 0x900
	v_mul_f64_e32 v[175:176], v[167:168], v[32:33]
	v_mul_f64_e32 v[32:33], v[169:170], v[32:33]
	v_add_f64_e32 v[171:172], v[171:172], v[179:180]
	v_add_f64_e32 v[173:174], v[173:174], v[177:178]
	v_fma_f64 v[177:178], v[4:5], v[26:27], v[181:182]
	v_fma_f64 v[179:180], v[2:3], v[26:27], -v[28:29]
	ds_load_b128 v[2:5], v1 offset:1184
	scratch_load_b128 v[26:29], off, off offset:432
	v_fma_f64 v[169:170], v[169:170], v[30:31], v[175:176]
	v_fma_f64 v[167:168], v[167:168], v[30:31], -v[32:33]
	scratch_load_b128 v[30:33], off, off offset:448
	v_add_f64_e32 v[171:172], v[171:172], v[38:39]
	v_add_f64_e32 v[173:174], v[173:174], v[40:41]
	ds_load_b128 v[38:41], v1 offset:1200
	s_wait_loadcnt_dscnt 0xa01
	v_mul_f64_e32 v[181:182], v[2:3], v[36:37]
	v_mul_f64_e32 v[36:37], v[4:5], v[36:37]
	s_wait_loadcnt_dscnt 0x800
	v_mul_f64_e32 v[175:176], v[38:39], v[165:166]
	v_add_f64_e32 v[171:172], v[171:172], v[179:180]
	v_add_f64_e32 v[173:174], v[173:174], v[177:178]
	v_mul_f64_e32 v[177:178], v[40:41], v[165:166]
	v_fma_f64 v[179:180], v[4:5], v[34:35], v[181:182]
	v_fma_f64 v[181:182], v[2:3], v[34:35], -v[36:37]
	ds_load_b128 v[2:5], v1 offset:1216
	scratch_load_b128 v[34:37], off, off offset:464
	v_fma_f64 v[175:176], v[40:41], v[163:164], v[175:176]
	v_add_f64_e32 v[171:172], v[171:172], v[167:168]
	v_add_f64_e32 v[169:170], v[173:174], v[169:170]
	ds_load_b128 v[165:168], v1 offset:1232
	v_fma_f64 v[163:164], v[38:39], v[163:164], -v[177:178]
	scratch_load_b128 v[38:41], off, off offset:480
	s_wait_loadcnt_dscnt 0x901
	v_mul_f64_e32 v[173:174], v[2:3], v[44:45]
	v_mul_f64_e32 v[44:45], v[4:5], v[44:45]
	s_wait_loadcnt_dscnt 0x800
	v_mul_f64_e32 v[177:178], v[165:166], v[8:9]
	v_mul_f64_e32 v[8:9], v[167:168], v[8:9]
	v_add_f64_e32 v[171:172], v[171:172], v[181:182]
	v_add_f64_e32 v[169:170], v[169:170], v[179:180]
	v_fma_f64 v[173:174], v[4:5], v[42:43], v[173:174]
	v_fma_f64 v[179:180], v[2:3], v[42:43], -v[44:45]
	ds_load_b128 v[2:5], v1 offset:1248
	scratch_load_b128 v[42:45], off, off offset:496
	v_fma_f64 v[167:168], v[167:168], v[6:7], v[177:178]
	v_fma_f64 v[165:166], v[165:166], v[6:7], -v[8:9]
	scratch_load_b128 v[6:9], off, off offset:512
	v_add_f64_e32 v[163:164], v[171:172], v[163:164]
	v_add_f64_e32 v[175:176], v[169:170], v[175:176]
	ds_load_b128 v[169:172], v1 offset:1264
	s_wait_loadcnt_dscnt 0x901
	v_mul_f64_e32 v[181:182], v[2:3], v[12:13]
	v_mul_f64_e32 v[12:13], v[4:5], v[12:13]
	v_add_f64_e32 v[163:164], v[163:164], v[179:180]
	v_add_f64_e32 v[173:174], v[175:176], v[173:174]
	s_wait_loadcnt_dscnt 0x800
	v_mul_f64_e32 v[175:176], v[169:170], v[16:17]
	v_mul_f64_e32 v[16:17], v[171:172], v[16:17]
	v_fma_f64 v[177:178], v[4:5], v[10:11], v[181:182]
	v_fma_f64 v[179:180], v[2:3], v[10:11], -v[12:13]
	ds_load_b128 v[2:5], v1 offset:1280
	scratch_load_b128 v[10:13], off, off offset:528
	v_add_f64_e32 v[181:182], v[163:164], v[165:166]
	v_add_f64_e32 v[167:168], v[173:174], v[167:168]
	ds_load_b128 v[163:166], v1 offset:1296
	s_wait_loadcnt_dscnt 0x801
	v_mul_f64_e32 v[173:174], v[2:3], v[20:21]
	v_mul_f64_e32 v[20:21], v[4:5], v[20:21]
	v_fma_f64 v[171:172], v[171:172], v[14:15], v[175:176]
	v_fma_f64 v[169:170], v[169:170], v[14:15], -v[16:17]
	scratch_load_b128 v[14:17], off, off offset:544
	v_add_f64_e32 v[175:176], v[181:182], v[179:180]
	v_add_f64_e32 v[167:168], v[167:168], v[177:178]
	s_wait_loadcnt_dscnt 0x800
	v_mul_f64_e32 v[177:178], v[163:164], v[24:25]
	v_mul_f64_e32 v[24:25], v[165:166], v[24:25]
	v_fma_f64 v[173:174], v[4:5], v[18:19], v[173:174]
	v_fma_f64 v[179:180], v[2:3], v[18:19], -v[20:21]
	ds_load_b128 v[2:5], v1 offset:1312
	scratch_load_b128 v[18:21], off, off offset:560
	v_add_f64_e32 v[175:176], v[175:176], v[169:170]
	v_add_f64_e32 v[171:172], v[167:168], v[171:172]
	ds_load_b128 v[167:170], v1 offset:1328
	s_wait_loadcnt_dscnt 0x801
	v_mul_f64_e32 v[181:182], v[2:3], v[28:29]
	v_mul_f64_e32 v[28:29], v[4:5], v[28:29]
	v_fma_f64 v[165:166], v[165:166], v[22:23], v[177:178]
	v_fma_f64 v[163:164], v[163:164], v[22:23], -v[24:25]
	scratch_load_b128 v[22:25], off, off offset:576
	;; [unrolled: 18-line block ×4, first 2 shown]
	s_wait_loadcnt_dscnt 0x800
	v_mul_f64_e32 v[175:176], v[167:168], v[8:9]
	v_mul_f64_e32 v[8:9], v[169:170], v[8:9]
	v_add_f64_e32 v[173:174], v[173:174], v[179:180]
	v_add_f64_e32 v[171:172], v[171:172], v[177:178]
	v_fma_f64 v[177:178], v[4:5], v[42:43], v[181:182]
	v_fma_f64 v[179:180], v[2:3], v[42:43], -v[44:45]
	ds_load_b128 v[2:5], v1 offset:1408
	scratch_load_b128 v[42:45], off, off offset:656
	v_fma_f64 v[169:170], v[169:170], v[6:7], v[175:176]
	v_fma_f64 v[167:168], v[167:168], v[6:7], -v[8:9]
	scratch_load_b128 v[6:9], off, off offset:672
	v_add_f64_e32 v[173:174], v[173:174], v[163:164]
	v_add_f64_e32 v[171:172], v[171:172], v[165:166]
	ds_load_b128 v[163:166], v1 offset:1424
	s_wait_loadcnt_dscnt 0x901
	v_mul_f64_e32 v[181:182], v[2:3], v[12:13]
	v_mul_f64_e32 v[12:13], v[4:5], v[12:13]
	s_wait_loadcnt_dscnt 0x800
	v_mul_f64_e32 v[175:176], v[163:164], v[16:17]
	v_mul_f64_e32 v[16:17], v[165:166], v[16:17]
	v_add_f64_e32 v[173:174], v[173:174], v[179:180]
	v_add_f64_e32 v[171:172], v[171:172], v[177:178]
	v_fma_f64 v[177:178], v[4:5], v[10:11], v[181:182]
	v_fma_f64 v[179:180], v[2:3], v[10:11], -v[12:13]
	ds_load_b128 v[2:5], v1 offset:1440
	scratch_load_b128 v[10:13], off, off offset:688
	v_fma_f64 v[165:166], v[165:166], v[14:15], v[175:176]
	v_fma_f64 v[163:164], v[163:164], v[14:15], -v[16:17]
	scratch_load_b128 v[14:17], off, off offset:704
	v_add_f64_e32 v[173:174], v[173:174], v[167:168]
	v_add_f64_e32 v[171:172], v[171:172], v[169:170]
	ds_load_b128 v[167:170], v1 offset:1456
	s_wait_loadcnt_dscnt 0x901
	v_mul_f64_e32 v[181:182], v[2:3], v[20:21]
	v_mul_f64_e32 v[20:21], v[4:5], v[20:21]
	;; [unrolled: 18-line block ×8, first 2 shown]
	s_wait_loadcnt_dscnt 0x800
	v_mul_f64_e32 v[175:176], v[167:168], v[32:33]
	v_mul_f64_e32 v[32:33], v[169:170], v[32:33]
	v_add_f64_e32 v[173:174], v[173:174], v[179:180]
	v_add_f64_e32 v[171:172], v[171:172], v[177:178]
	v_fma_f64 v[177:178], v[4:5], v[26:27], v[181:182]
	v_fma_f64 v[179:180], v[2:3], v[26:27], -v[28:29]
	ds_load_b128 v[2:5], v1 offset:1664
	ds_load_b128 v[26:29], v1 offset:1680
	v_fma_f64 v[169:170], v[169:170], v[30:31], v[175:176]
	v_fma_f64 v[30:31], v[167:168], v[30:31], -v[32:33]
	v_add_f64_e32 v[163:164], v[173:174], v[163:164]
	v_add_f64_e32 v[165:166], v[171:172], v[165:166]
	s_wait_loadcnt_dscnt 0x701
	v_mul_f64_e32 v[171:172], v[2:3], v[36:37]
	v_mul_f64_e32 v[36:37], v[4:5], v[36:37]
	s_delay_alu instid0(VALU_DEP_4) | instskip(NEXT) | instid1(VALU_DEP_4)
	v_add_f64_e32 v[32:33], v[163:164], v[179:180]
	v_add_f64_e32 v[163:164], v[165:166], v[177:178]
	s_wait_loadcnt_dscnt 0x600
	v_mul_f64_e32 v[165:166], v[26:27], v[40:41]
	v_mul_f64_e32 v[40:41], v[28:29], v[40:41]
	v_fma_f64 v[167:168], v[4:5], v[34:35], v[171:172]
	v_fma_f64 v[34:35], v[2:3], v[34:35], -v[36:37]
	v_add_f64_e32 v[36:37], v[32:33], v[30:31]
	v_add_f64_e32 v[163:164], v[163:164], v[169:170]
	ds_load_b128 v[2:5], v1 offset:1696
	ds_load_b128 v[30:33], v1 offset:1712
	v_fma_f64 v[28:29], v[28:29], v[38:39], v[165:166]
	v_fma_f64 v[26:27], v[26:27], v[38:39], -v[40:41]
	s_wait_loadcnt_dscnt 0x501
	v_mul_f64_e32 v[169:170], v[2:3], v[44:45]
	v_mul_f64_e32 v[44:45], v[4:5], v[44:45]
	s_wait_loadcnt_dscnt 0x400
	v_mul_f64_e32 v[38:39], v[30:31], v[8:9]
	v_mul_f64_e32 v[8:9], v[32:33], v[8:9]
	v_add_f64_e32 v[34:35], v[36:37], v[34:35]
	v_add_f64_e32 v[36:37], v[163:164], v[167:168]
	v_fma_f64 v[40:41], v[4:5], v[42:43], v[169:170]
	v_fma_f64 v[42:43], v[2:3], v[42:43], -v[44:45]
	v_fma_f64 v[32:33], v[32:33], v[6:7], v[38:39]
	v_fma_f64 v[6:7], v[30:31], v[6:7], -v[8:9]
	v_add_f64_e32 v[34:35], v[34:35], v[26:27]
	v_add_f64_e32 v[36:37], v[36:37], v[28:29]
	ds_load_b128 v[2:5], v1 offset:1728
	ds_load_b128 v[26:29], v1 offset:1744
	s_wait_loadcnt_dscnt 0x301
	v_mul_f64_e32 v[44:45], v[2:3], v[12:13]
	v_mul_f64_e32 v[12:13], v[4:5], v[12:13]
	v_add_f64_e32 v[8:9], v[34:35], v[42:43]
	v_add_f64_e32 v[30:31], v[36:37], v[40:41]
	s_wait_loadcnt_dscnt 0x200
	v_mul_f64_e32 v[34:35], v[26:27], v[16:17]
	v_mul_f64_e32 v[16:17], v[28:29], v[16:17]
	v_fma_f64 v[36:37], v[4:5], v[10:11], v[44:45]
	v_fma_f64 v[10:11], v[2:3], v[10:11], -v[12:13]
	v_add_f64_e32 v[12:13], v[8:9], v[6:7]
	v_add_f64_e32 v[30:31], v[30:31], v[32:33]
	ds_load_b128 v[2:5], v1 offset:1760
	ds_load_b128 v[6:9], v1 offset:1776
	v_fma_f64 v[28:29], v[28:29], v[14:15], v[34:35]
	v_fma_f64 v[14:15], v[26:27], v[14:15], -v[16:17]
	s_wait_loadcnt_dscnt 0x101
	v_mul_f64_e32 v[32:33], v[2:3], v[20:21]
	v_mul_f64_e32 v[20:21], v[4:5], v[20:21]
	s_wait_loadcnt_dscnt 0x0
	v_mul_f64_e32 v[16:17], v[6:7], v[24:25]
	v_mul_f64_e32 v[24:25], v[8:9], v[24:25]
	v_add_f64_e32 v[10:11], v[12:13], v[10:11]
	v_add_f64_e32 v[12:13], v[30:31], v[36:37]
	v_fma_f64 v[4:5], v[4:5], v[18:19], v[32:33]
	v_fma_f64 v[1:2], v[2:3], v[18:19], -v[20:21]
	v_fma_f64 v[8:9], v[8:9], v[22:23], v[16:17]
	v_fma_f64 v[6:7], v[6:7], v[22:23], -v[24:25]
	v_add_f64_e32 v[10:11], v[10:11], v[14:15]
	v_add_f64_e32 v[12:13], v[12:13], v[28:29]
	s_delay_alu instid0(VALU_DEP_2) | instskip(NEXT) | instid1(VALU_DEP_2)
	v_add_f64_e32 v[1:2], v[10:11], v[1:2]
	v_add_f64_e32 v[3:4], v[12:13], v[4:5]
	s_delay_alu instid0(VALU_DEP_2) | instskip(NEXT) | instid1(VALU_DEP_2)
	v_add_f64_e32 v[1:2], v[1:2], v[6:7]
	v_add_f64_e32 v[3:4], v[3:4], v[8:9]
	s_delay_alu instid0(VALU_DEP_2) | instskip(NEXT) | instid1(VALU_DEP_2)
	v_add_f64_e64 v[1:2], v[159:160], -v[1:2]
	v_add_f64_e64 v[3:4], v[161:162], -v[3:4]
	scratch_store_b128 off, v[1:4], off offset:160
	v_cmpx_lt_u32_e32 8, v0
	s_cbranch_execz .LBB119_333
; %bb.332:
	scratch_load_b128 v[1:4], off, s61
	v_mov_b32_e32 v5, 0
	s_delay_alu instid0(VALU_DEP_1)
	v_dual_mov_b32 v6, v5 :: v_dual_mov_b32 v7, v5
	v_mov_b32_e32 v8, v5
	scratch_store_b128 off, v[5:8], off offset:144
	s_wait_loadcnt 0x0
	ds_store_b128 v158, v[1:4]
.LBB119_333:
	s_wait_alu 0xfffe
	s_or_b32 exec_lo, exec_lo, s0
	s_wait_storecnt_dscnt 0x0
	s_barrier_signal -1
	s_barrier_wait -1
	global_inv scope:SCOPE_SE
	s_clause 0x7
	scratch_load_b128 v[2:5], off, off offset:160
	scratch_load_b128 v[6:9], off, off offset:176
	;; [unrolled: 1-line block ×8, first 2 shown]
	v_mov_b32_e32 v1, 0
	s_mov_b32 s0, exec_lo
	ds_load_b128 v[38:41], v1 offset:1040
	s_clause 0x1
	scratch_load_b128 v[34:37], off, off offset:288
	scratch_load_b128 v[42:45], off, off offset:144
	ds_load_b128 v[159:162], v1 offset:1056
	scratch_load_b128 v[163:166], off, off offset:304
	s_wait_loadcnt_dscnt 0xa01
	v_mul_f64_e32 v[167:168], v[40:41], v[4:5]
	v_mul_f64_e32 v[4:5], v[38:39], v[4:5]
	s_delay_alu instid0(VALU_DEP_2) | instskip(NEXT) | instid1(VALU_DEP_2)
	v_fma_f64 v[173:174], v[38:39], v[2:3], -v[167:168]
	v_fma_f64 v[175:176], v[40:41], v[2:3], v[4:5]
	ds_load_b128 v[2:5], v1 offset:1072
	s_wait_loadcnt_dscnt 0x901
	v_mul_f64_e32 v[171:172], v[159:160], v[8:9]
	v_mul_f64_e32 v[8:9], v[161:162], v[8:9]
	scratch_load_b128 v[38:41], off, off offset:320
	ds_load_b128 v[167:170], v1 offset:1088
	s_wait_loadcnt_dscnt 0x901
	v_mul_f64_e32 v[177:178], v[2:3], v[12:13]
	v_mul_f64_e32 v[12:13], v[4:5], v[12:13]
	v_fma_f64 v[161:162], v[161:162], v[6:7], v[171:172]
	v_fma_f64 v[159:160], v[159:160], v[6:7], -v[8:9]
	v_add_f64_e32 v[171:172], 0, v[173:174]
	v_add_f64_e32 v[173:174], 0, v[175:176]
	scratch_load_b128 v[6:9], off, off offset:336
	v_fma_f64 v[177:178], v[4:5], v[10:11], v[177:178]
	v_fma_f64 v[179:180], v[2:3], v[10:11], -v[12:13]
	ds_load_b128 v[2:5], v1 offset:1104
	s_wait_loadcnt_dscnt 0x901
	v_mul_f64_e32 v[175:176], v[167:168], v[16:17]
	v_mul_f64_e32 v[16:17], v[169:170], v[16:17]
	scratch_load_b128 v[10:13], off, off offset:352
	v_add_f64_e32 v[171:172], v[171:172], v[159:160]
	v_add_f64_e32 v[173:174], v[173:174], v[161:162]
	s_wait_loadcnt_dscnt 0x900
	v_mul_f64_e32 v[181:182], v[2:3], v[20:21]
	v_mul_f64_e32 v[20:21], v[4:5], v[20:21]
	ds_load_b128 v[159:162], v1 offset:1120
	v_fma_f64 v[169:170], v[169:170], v[14:15], v[175:176]
	v_fma_f64 v[167:168], v[167:168], v[14:15], -v[16:17]
	scratch_load_b128 v[14:17], off, off offset:368
	v_add_f64_e32 v[171:172], v[171:172], v[179:180]
	v_add_f64_e32 v[173:174], v[173:174], v[177:178]
	v_fma_f64 v[177:178], v[4:5], v[18:19], v[181:182]
	v_fma_f64 v[179:180], v[2:3], v[18:19], -v[20:21]
	ds_load_b128 v[2:5], v1 offset:1136
	s_wait_loadcnt_dscnt 0x901
	v_mul_f64_e32 v[175:176], v[159:160], v[24:25]
	v_mul_f64_e32 v[24:25], v[161:162], v[24:25]
	scratch_load_b128 v[18:21], off, off offset:384
	s_wait_loadcnt_dscnt 0x900
	v_mul_f64_e32 v[181:182], v[2:3], v[28:29]
	v_mul_f64_e32 v[28:29], v[4:5], v[28:29]
	v_add_f64_e32 v[171:172], v[171:172], v[167:168]
	v_add_f64_e32 v[173:174], v[173:174], v[169:170]
	ds_load_b128 v[167:170], v1 offset:1152
	v_fma_f64 v[161:162], v[161:162], v[22:23], v[175:176]
	v_fma_f64 v[159:160], v[159:160], v[22:23], -v[24:25]
	scratch_load_b128 v[22:25], off, off offset:400
	v_add_f64_e32 v[171:172], v[171:172], v[179:180]
	v_add_f64_e32 v[173:174], v[173:174], v[177:178]
	v_fma_f64 v[177:178], v[4:5], v[26:27], v[181:182]
	v_fma_f64 v[179:180], v[2:3], v[26:27], -v[28:29]
	ds_load_b128 v[2:5], v1 offset:1168
	s_wait_loadcnt_dscnt 0x901
	v_mul_f64_e32 v[175:176], v[167:168], v[32:33]
	v_mul_f64_e32 v[32:33], v[169:170], v[32:33]
	scratch_load_b128 v[26:29], off, off offset:416
	s_wait_loadcnt_dscnt 0x900
	v_mul_f64_e32 v[181:182], v[2:3], v[36:37]
	v_mul_f64_e32 v[36:37], v[4:5], v[36:37]
	v_add_f64_e32 v[171:172], v[171:172], v[159:160]
	v_add_f64_e32 v[173:174], v[173:174], v[161:162]
	ds_load_b128 v[159:162], v1 offset:1184
	v_fma_f64 v[169:170], v[169:170], v[30:31], v[175:176]
	v_fma_f64 v[167:168], v[167:168], v[30:31], -v[32:33]
	scratch_load_b128 v[30:33], off, off offset:432
	v_add_f64_e32 v[171:172], v[171:172], v[179:180]
	v_add_f64_e32 v[173:174], v[173:174], v[177:178]
	v_fma_f64 v[179:180], v[4:5], v[34:35], v[181:182]
	v_fma_f64 v[181:182], v[2:3], v[34:35], -v[36:37]
	ds_load_b128 v[2:5], v1 offset:1200
	s_wait_loadcnt_dscnt 0x801
	v_mul_f64_e32 v[175:176], v[159:160], v[165:166]
	v_mul_f64_e32 v[177:178], v[161:162], v[165:166]
	scratch_load_b128 v[34:37], off, off offset:448
	v_add_f64_e32 v[171:172], v[171:172], v[167:168]
	v_add_f64_e32 v[169:170], v[173:174], v[169:170]
	ds_load_b128 v[165:168], v1 offset:1216
	v_fma_f64 v[175:176], v[161:162], v[163:164], v[175:176]
	v_fma_f64 v[163:164], v[159:160], v[163:164], -v[177:178]
	scratch_load_b128 v[159:162], off, off offset:464
	s_wait_loadcnt_dscnt 0x901
	v_mul_f64_e32 v[173:174], v[2:3], v[40:41]
	v_mul_f64_e32 v[40:41], v[4:5], v[40:41]
	v_add_f64_e32 v[171:172], v[171:172], v[181:182]
	v_add_f64_e32 v[169:170], v[169:170], v[179:180]
	s_delay_alu instid0(VALU_DEP_4) | instskip(NEXT) | instid1(VALU_DEP_4)
	v_fma_f64 v[173:174], v[4:5], v[38:39], v[173:174]
	v_fma_f64 v[179:180], v[2:3], v[38:39], -v[40:41]
	ds_load_b128 v[2:5], v1 offset:1232
	s_wait_loadcnt_dscnt 0x801
	v_mul_f64_e32 v[177:178], v[165:166], v[8:9]
	v_mul_f64_e32 v[8:9], v[167:168], v[8:9]
	scratch_load_b128 v[38:41], off, off offset:480
	s_wait_loadcnt_dscnt 0x800
	v_mul_f64_e32 v[181:182], v[2:3], v[12:13]
	v_add_f64_e32 v[163:164], v[171:172], v[163:164]
	v_add_f64_e32 v[175:176], v[169:170], v[175:176]
	v_mul_f64_e32 v[12:13], v[4:5], v[12:13]
	ds_load_b128 v[169:172], v1 offset:1248
	v_fma_f64 v[167:168], v[167:168], v[6:7], v[177:178]
	v_fma_f64 v[165:166], v[165:166], v[6:7], -v[8:9]
	scratch_load_b128 v[6:9], off, off offset:496
	v_fma_f64 v[177:178], v[4:5], v[10:11], v[181:182]
	v_add_f64_e32 v[163:164], v[163:164], v[179:180]
	v_add_f64_e32 v[173:174], v[175:176], v[173:174]
	v_fma_f64 v[179:180], v[2:3], v[10:11], -v[12:13]
	ds_load_b128 v[2:5], v1 offset:1264
	s_wait_loadcnt_dscnt 0x801
	v_mul_f64_e32 v[175:176], v[169:170], v[16:17]
	v_mul_f64_e32 v[16:17], v[171:172], v[16:17]
	scratch_load_b128 v[10:13], off, off offset:512
	v_add_f64_e32 v[181:182], v[163:164], v[165:166]
	v_add_f64_e32 v[167:168], v[173:174], v[167:168]
	s_wait_loadcnt_dscnt 0x800
	v_mul_f64_e32 v[173:174], v[2:3], v[20:21]
	v_mul_f64_e32 v[20:21], v[4:5], v[20:21]
	v_fma_f64 v[171:172], v[171:172], v[14:15], v[175:176]
	v_fma_f64 v[169:170], v[169:170], v[14:15], -v[16:17]
	ds_load_b128 v[163:166], v1 offset:1280
	scratch_load_b128 v[14:17], off, off offset:528
	v_add_f64_e32 v[175:176], v[181:182], v[179:180]
	v_add_f64_e32 v[167:168], v[167:168], v[177:178]
	v_fma_f64 v[173:174], v[4:5], v[18:19], v[173:174]
	v_fma_f64 v[179:180], v[2:3], v[18:19], -v[20:21]
	ds_load_b128 v[2:5], v1 offset:1296
	s_wait_loadcnt_dscnt 0x801
	v_mul_f64_e32 v[177:178], v[163:164], v[24:25]
	v_mul_f64_e32 v[24:25], v[165:166], v[24:25]
	scratch_load_b128 v[18:21], off, off offset:544
	s_wait_loadcnt_dscnt 0x800
	v_mul_f64_e32 v[181:182], v[2:3], v[28:29]
	v_mul_f64_e32 v[28:29], v[4:5], v[28:29]
	v_add_f64_e32 v[175:176], v[175:176], v[169:170]
	v_add_f64_e32 v[171:172], v[167:168], v[171:172]
	ds_load_b128 v[167:170], v1 offset:1312
	v_fma_f64 v[165:166], v[165:166], v[22:23], v[177:178]
	v_fma_f64 v[163:164], v[163:164], v[22:23], -v[24:25]
	scratch_load_b128 v[22:25], off, off offset:560
	v_fma_f64 v[177:178], v[4:5], v[26:27], v[181:182]
	v_add_f64_e32 v[175:176], v[175:176], v[179:180]
	v_add_f64_e32 v[171:172], v[171:172], v[173:174]
	v_fma_f64 v[179:180], v[2:3], v[26:27], -v[28:29]
	ds_load_b128 v[2:5], v1 offset:1328
	s_wait_loadcnt_dscnt 0x801
	v_mul_f64_e32 v[173:174], v[167:168], v[32:33]
	v_mul_f64_e32 v[32:33], v[169:170], v[32:33]
	scratch_load_b128 v[26:29], off, off offset:576
	s_wait_loadcnt_dscnt 0x800
	v_mul_f64_e32 v[181:182], v[2:3], v[36:37]
	v_mul_f64_e32 v[36:37], v[4:5], v[36:37]
	v_add_f64_e32 v[175:176], v[175:176], v[163:164]
	v_add_f64_e32 v[171:172], v[171:172], v[165:166]
	ds_load_b128 v[163:166], v1 offset:1344
	v_fma_f64 v[169:170], v[169:170], v[30:31], v[173:174]
	v_fma_f64 v[167:168], v[167:168], v[30:31], -v[32:33]
	scratch_load_b128 v[30:33], off, off offset:592
	v_add_f64_e32 v[173:174], v[175:176], v[179:180]
	v_add_f64_e32 v[171:172], v[171:172], v[177:178]
	v_fma_f64 v[177:178], v[4:5], v[34:35], v[181:182]
	v_fma_f64 v[179:180], v[2:3], v[34:35], -v[36:37]
	ds_load_b128 v[2:5], v1 offset:1360
	s_wait_loadcnt_dscnt 0x801
	v_mul_f64_e32 v[175:176], v[163:164], v[161:162]
	v_mul_f64_e32 v[161:162], v[165:166], v[161:162]
	scratch_load_b128 v[34:37], off, off offset:608
	s_wait_loadcnt_dscnt 0x800
	v_mul_f64_e32 v[181:182], v[2:3], v[40:41]
	v_mul_f64_e32 v[40:41], v[4:5], v[40:41]
	v_add_f64_e32 v[173:174], v[173:174], v[167:168]
	v_add_f64_e32 v[171:172], v[171:172], v[169:170]
	ds_load_b128 v[167:170], v1 offset:1376
	v_fma_f64 v[165:166], v[165:166], v[159:160], v[175:176]
	v_fma_f64 v[163:164], v[163:164], v[159:160], -v[161:162]
	scratch_load_b128 v[159:162], off, off offset:624
	v_add_f64_e32 v[173:174], v[173:174], v[179:180]
	v_add_f64_e32 v[171:172], v[171:172], v[177:178]
	v_fma_f64 v[177:178], v[4:5], v[38:39], v[181:182]
	v_fma_f64 v[179:180], v[2:3], v[38:39], -v[40:41]
	ds_load_b128 v[2:5], v1 offset:1392
	s_wait_loadcnt_dscnt 0x801
	v_mul_f64_e32 v[175:176], v[167:168], v[8:9]
	v_mul_f64_e32 v[8:9], v[169:170], v[8:9]
	scratch_load_b128 v[38:41], off, off offset:640
	s_wait_loadcnt_dscnt 0x800
	v_mul_f64_e32 v[181:182], v[2:3], v[12:13]
	v_mul_f64_e32 v[12:13], v[4:5], v[12:13]
	v_add_f64_e32 v[173:174], v[173:174], v[163:164]
	v_add_f64_e32 v[171:172], v[171:172], v[165:166]
	ds_load_b128 v[163:166], v1 offset:1408
	v_fma_f64 v[169:170], v[169:170], v[6:7], v[175:176]
	v_fma_f64 v[167:168], v[167:168], v[6:7], -v[8:9]
	scratch_load_b128 v[6:9], off, off offset:656
	v_add_f64_e32 v[173:174], v[173:174], v[179:180]
	v_add_f64_e32 v[171:172], v[171:172], v[177:178]
	v_fma_f64 v[177:178], v[4:5], v[10:11], v[181:182]
	v_fma_f64 v[179:180], v[2:3], v[10:11], -v[12:13]
	ds_load_b128 v[2:5], v1 offset:1424
	s_wait_loadcnt_dscnt 0x801
	v_mul_f64_e32 v[175:176], v[163:164], v[16:17]
	v_mul_f64_e32 v[16:17], v[165:166], v[16:17]
	scratch_load_b128 v[10:13], off, off offset:672
	s_wait_loadcnt_dscnt 0x800
	v_mul_f64_e32 v[181:182], v[2:3], v[20:21]
	v_mul_f64_e32 v[20:21], v[4:5], v[20:21]
	v_add_f64_e32 v[173:174], v[173:174], v[167:168]
	v_add_f64_e32 v[171:172], v[171:172], v[169:170]
	ds_load_b128 v[167:170], v1 offset:1440
	v_fma_f64 v[165:166], v[165:166], v[14:15], v[175:176]
	v_fma_f64 v[163:164], v[163:164], v[14:15], -v[16:17]
	scratch_load_b128 v[14:17], off, off offset:688
	v_add_f64_e32 v[173:174], v[173:174], v[179:180]
	v_add_f64_e32 v[171:172], v[171:172], v[177:178]
	v_fma_f64 v[177:178], v[4:5], v[18:19], v[181:182]
	v_fma_f64 v[179:180], v[2:3], v[18:19], -v[20:21]
	ds_load_b128 v[2:5], v1 offset:1456
	s_wait_loadcnt_dscnt 0x801
	v_mul_f64_e32 v[175:176], v[167:168], v[24:25]
	v_mul_f64_e32 v[24:25], v[169:170], v[24:25]
	scratch_load_b128 v[18:21], off, off offset:704
	s_wait_loadcnt_dscnt 0x800
	v_mul_f64_e32 v[181:182], v[2:3], v[28:29]
	v_mul_f64_e32 v[28:29], v[4:5], v[28:29]
	v_add_f64_e32 v[173:174], v[173:174], v[163:164]
	v_add_f64_e32 v[171:172], v[171:172], v[165:166]
	ds_load_b128 v[163:166], v1 offset:1472
	v_fma_f64 v[169:170], v[169:170], v[22:23], v[175:176]
	v_fma_f64 v[167:168], v[167:168], v[22:23], -v[24:25]
	scratch_load_b128 v[22:25], off, off offset:720
	v_add_f64_e32 v[173:174], v[173:174], v[179:180]
	v_add_f64_e32 v[171:172], v[171:172], v[177:178]
	v_fma_f64 v[177:178], v[4:5], v[26:27], v[181:182]
	v_fma_f64 v[179:180], v[2:3], v[26:27], -v[28:29]
	ds_load_b128 v[2:5], v1 offset:1488
	s_wait_loadcnt_dscnt 0x801
	v_mul_f64_e32 v[175:176], v[163:164], v[32:33]
	v_mul_f64_e32 v[32:33], v[165:166], v[32:33]
	scratch_load_b128 v[26:29], off, off offset:736
	s_wait_loadcnt_dscnt 0x800
	v_mul_f64_e32 v[181:182], v[2:3], v[36:37]
	v_mul_f64_e32 v[36:37], v[4:5], v[36:37]
	v_add_f64_e32 v[173:174], v[173:174], v[167:168]
	v_add_f64_e32 v[171:172], v[171:172], v[169:170]
	ds_load_b128 v[167:170], v1 offset:1504
	v_fma_f64 v[165:166], v[165:166], v[30:31], v[175:176]
	v_fma_f64 v[163:164], v[163:164], v[30:31], -v[32:33]
	scratch_load_b128 v[30:33], off, off offset:752
	v_add_f64_e32 v[173:174], v[173:174], v[179:180]
	v_add_f64_e32 v[171:172], v[171:172], v[177:178]
	v_fma_f64 v[179:180], v[4:5], v[34:35], v[181:182]
	v_fma_f64 v[181:182], v[2:3], v[34:35], -v[36:37]
	ds_load_b128 v[2:5], v1 offset:1520
	s_wait_loadcnt_dscnt 0x801
	v_mul_f64_e32 v[175:176], v[167:168], v[161:162]
	v_mul_f64_e32 v[177:178], v[169:170], v[161:162]
	scratch_load_b128 v[34:37], off, off offset:768
	v_add_f64_e32 v[173:174], v[173:174], v[163:164]
	v_add_f64_e32 v[165:166], v[171:172], v[165:166]
	s_wait_loadcnt_dscnt 0x800
	v_mul_f64_e32 v[171:172], v[2:3], v[40:41]
	v_mul_f64_e32 v[40:41], v[4:5], v[40:41]
	ds_load_b128 v[161:164], v1 offset:1536
	v_fma_f64 v[169:170], v[169:170], v[159:160], v[175:176]
	v_fma_f64 v[159:160], v[167:168], v[159:160], -v[177:178]
	v_add_f64_e32 v[173:174], v[173:174], v[181:182]
	v_add_f64_e32 v[175:176], v[165:166], v[179:180]
	scratch_load_b128 v[165:168], off, off offset:784
	v_fma_f64 v[179:180], v[4:5], v[38:39], v[171:172]
	v_fma_f64 v[181:182], v[2:3], v[38:39], -v[40:41]
	ds_load_b128 v[2:5], v1 offset:1552
	s_wait_loadcnt_dscnt 0x801
	v_mul_f64_e32 v[177:178], v[161:162], v[8:9]
	v_mul_f64_e32 v[8:9], v[163:164], v[8:9]
	scratch_load_b128 v[38:41], off, off offset:800
	v_add_f64_e32 v[159:160], v[173:174], v[159:160]
	v_add_f64_e32 v[173:174], v[175:176], v[169:170]
	s_wait_loadcnt_dscnt 0x800
	v_mul_f64_e32 v[175:176], v[2:3], v[12:13]
	v_mul_f64_e32 v[12:13], v[4:5], v[12:13]
	ds_load_b128 v[169:172], v1 offset:1568
	v_fma_f64 v[163:164], v[163:164], v[6:7], v[177:178]
	v_fma_f64 v[161:162], v[161:162], v[6:7], -v[8:9]
	scratch_load_b128 v[6:9], off, off offset:816
	v_add_f64_e32 v[159:160], v[159:160], v[181:182]
	v_add_f64_e32 v[173:174], v[173:174], v[179:180]
	v_fma_f64 v[175:176], v[4:5], v[10:11], v[175:176]
	v_fma_f64 v[179:180], v[2:3], v[10:11], -v[12:13]
	ds_load_b128 v[2:5], v1 offset:1584
	s_wait_loadcnt_dscnt 0x801
	v_mul_f64_e32 v[177:178], v[169:170], v[16:17]
	v_mul_f64_e32 v[16:17], v[171:172], v[16:17]
	scratch_load_b128 v[10:13], off, off offset:832
	v_add_f64_e32 v[181:182], v[159:160], v[161:162]
	v_add_f64_e32 v[163:164], v[173:174], v[163:164]
	s_wait_loadcnt_dscnt 0x800
	v_mul_f64_e32 v[173:174], v[2:3], v[20:21]
	v_mul_f64_e32 v[20:21], v[4:5], v[20:21]
	ds_load_b128 v[159:162], v1 offset:1600
	v_fma_f64 v[171:172], v[171:172], v[14:15], v[177:178]
	v_fma_f64 v[169:170], v[169:170], v[14:15], -v[16:17]
	scratch_load_b128 v[14:17], off, off offset:848
	v_add_f64_e32 v[177:178], v[181:182], v[179:180]
	v_add_f64_e32 v[163:164], v[163:164], v[175:176]
	v_fma_f64 v[173:174], v[4:5], v[18:19], v[173:174]
	v_fma_f64 v[179:180], v[2:3], v[18:19], -v[20:21]
	ds_load_b128 v[2:5], v1 offset:1616
	s_wait_loadcnt_dscnt 0x801
	v_mul_f64_e32 v[175:176], v[159:160], v[24:25]
	v_mul_f64_e32 v[24:25], v[161:162], v[24:25]
	scratch_load_b128 v[18:21], off, off offset:864
	s_wait_loadcnt_dscnt 0x800
	v_mul_f64_e32 v[181:182], v[2:3], v[28:29]
	v_mul_f64_e32 v[28:29], v[4:5], v[28:29]
	v_add_f64_e32 v[177:178], v[177:178], v[169:170]
	v_add_f64_e32 v[163:164], v[163:164], v[171:172]
	ds_load_b128 v[169:172], v1 offset:1632
	v_fma_f64 v[161:162], v[161:162], v[22:23], v[175:176]
	v_fma_f64 v[159:160], v[159:160], v[22:23], -v[24:25]
	scratch_load_b128 v[22:25], off, off offset:880
	v_add_f64_e32 v[175:176], v[177:178], v[179:180]
	v_add_f64_e32 v[163:164], v[163:164], v[173:174]
	v_fma_f64 v[177:178], v[4:5], v[26:27], v[181:182]
	v_fma_f64 v[179:180], v[2:3], v[26:27], -v[28:29]
	ds_load_b128 v[2:5], v1 offset:1648
	s_wait_loadcnt_dscnt 0x801
	v_mul_f64_e32 v[173:174], v[169:170], v[32:33]
	v_mul_f64_e32 v[32:33], v[171:172], v[32:33]
	scratch_load_b128 v[26:29], off, off offset:896
	s_wait_loadcnt_dscnt 0x800
	v_mul_f64_e32 v[181:182], v[2:3], v[36:37]
	v_mul_f64_e32 v[36:37], v[4:5], v[36:37]
	v_add_f64_e32 v[175:176], v[175:176], v[159:160]
	v_add_f64_e32 v[163:164], v[163:164], v[161:162]
	ds_load_b128 v[159:162], v1 offset:1664
	v_fma_f64 v[171:172], v[171:172], v[30:31], v[173:174]
	v_fma_f64 v[30:31], v[169:170], v[30:31], -v[32:33]
	v_fma_f64 v[173:174], v[4:5], v[34:35], v[181:182]
	v_fma_f64 v[34:35], v[2:3], v[34:35], -v[36:37]
	v_add_f64_e32 v[32:33], v[175:176], v[179:180]
	v_add_f64_e32 v[163:164], v[163:164], v[177:178]
	s_wait_loadcnt_dscnt 0x700
	v_mul_f64_e32 v[169:170], v[159:160], v[167:168]
	v_mul_f64_e32 v[167:168], v[161:162], v[167:168]
	s_delay_alu instid0(VALU_DEP_4) | instskip(NEXT) | instid1(VALU_DEP_4)
	v_add_f64_e32 v[36:37], v[32:33], v[30:31]
	v_add_f64_e32 v[163:164], v[163:164], v[171:172]
	ds_load_b128 v[2:5], v1 offset:1680
	ds_load_b128 v[30:33], v1 offset:1696
	v_fma_f64 v[161:162], v[161:162], v[165:166], v[169:170]
	v_fma_f64 v[159:160], v[159:160], v[165:166], -v[167:168]
	s_wait_loadcnt_dscnt 0x601
	v_mul_f64_e32 v[171:172], v[2:3], v[40:41]
	v_mul_f64_e32 v[40:41], v[4:5], v[40:41]
	v_add_f64_e32 v[34:35], v[36:37], v[34:35]
	v_add_f64_e32 v[36:37], v[163:164], v[173:174]
	s_wait_loadcnt_dscnt 0x500
	v_mul_f64_e32 v[163:164], v[30:31], v[8:9]
	v_mul_f64_e32 v[8:9], v[32:33], v[8:9]
	v_fma_f64 v[165:166], v[4:5], v[38:39], v[171:172]
	v_fma_f64 v[38:39], v[2:3], v[38:39], -v[40:41]
	v_add_f64_e32 v[40:41], v[34:35], v[159:160]
	v_add_f64_e32 v[159:160], v[36:37], v[161:162]
	ds_load_b128 v[2:5], v1 offset:1712
	ds_load_b128 v[34:37], v1 offset:1728
	v_fma_f64 v[32:33], v[32:33], v[6:7], v[163:164]
	v_fma_f64 v[6:7], v[30:31], v[6:7], -v[8:9]
	s_wait_loadcnt_dscnt 0x401
	v_mul_f64_e32 v[161:162], v[2:3], v[12:13]
	v_mul_f64_e32 v[12:13], v[4:5], v[12:13]
	v_add_f64_e32 v[8:9], v[40:41], v[38:39]
	v_add_f64_e32 v[30:31], v[159:160], v[165:166]
	s_wait_loadcnt_dscnt 0x300
	v_mul_f64_e32 v[38:39], v[34:35], v[16:17]
	v_mul_f64_e32 v[16:17], v[36:37], v[16:17]
	v_fma_f64 v[40:41], v[4:5], v[10:11], v[161:162]
	v_fma_f64 v[10:11], v[2:3], v[10:11], -v[12:13]
	v_add_f64_e32 v[12:13], v[8:9], v[6:7]
	v_add_f64_e32 v[30:31], v[30:31], v[32:33]
	ds_load_b128 v[2:5], v1 offset:1744
	ds_load_b128 v[6:9], v1 offset:1760
	v_fma_f64 v[36:37], v[36:37], v[14:15], v[38:39]
	v_fma_f64 v[14:15], v[34:35], v[14:15], -v[16:17]
	s_wait_loadcnt_dscnt 0x201
	v_mul_f64_e32 v[32:33], v[2:3], v[20:21]
	v_mul_f64_e32 v[20:21], v[4:5], v[20:21]
	s_wait_loadcnt_dscnt 0x100
	v_mul_f64_e32 v[16:17], v[6:7], v[24:25]
	v_mul_f64_e32 v[24:25], v[8:9], v[24:25]
	v_add_f64_e32 v[10:11], v[12:13], v[10:11]
	v_add_f64_e32 v[12:13], v[30:31], v[40:41]
	v_fma_f64 v[30:31], v[4:5], v[18:19], v[32:33]
	v_fma_f64 v[18:19], v[2:3], v[18:19], -v[20:21]
	ds_load_b128 v[2:5], v1 offset:1776
	v_fma_f64 v[8:9], v[8:9], v[22:23], v[16:17]
	v_fma_f64 v[6:7], v[6:7], v[22:23], -v[24:25]
	v_add_f64_e32 v[10:11], v[10:11], v[14:15]
	v_add_f64_e32 v[12:13], v[12:13], v[36:37]
	s_wait_loadcnt_dscnt 0x0
	v_mul_f64_e32 v[14:15], v[2:3], v[28:29]
	v_mul_f64_e32 v[20:21], v[4:5], v[28:29]
	s_delay_alu instid0(VALU_DEP_4) | instskip(NEXT) | instid1(VALU_DEP_4)
	v_add_f64_e32 v[10:11], v[10:11], v[18:19]
	v_add_f64_e32 v[12:13], v[12:13], v[30:31]
	s_delay_alu instid0(VALU_DEP_4) | instskip(NEXT) | instid1(VALU_DEP_4)
	v_fma_f64 v[4:5], v[4:5], v[26:27], v[14:15]
	v_fma_f64 v[2:3], v[2:3], v[26:27], -v[20:21]
	s_delay_alu instid0(VALU_DEP_4) | instskip(NEXT) | instid1(VALU_DEP_4)
	v_add_f64_e32 v[6:7], v[10:11], v[6:7]
	v_add_f64_e32 v[8:9], v[12:13], v[8:9]
	s_delay_alu instid0(VALU_DEP_2) | instskip(NEXT) | instid1(VALU_DEP_2)
	v_add_f64_e32 v[2:3], v[6:7], v[2:3]
	v_add_f64_e32 v[4:5], v[8:9], v[4:5]
	s_delay_alu instid0(VALU_DEP_2) | instskip(NEXT) | instid1(VALU_DEP_2)
	v_add_f64_e64 v[2:3], v[42:43], -v[2:3]
	v_add_f64_e64 v[4:5], v[44:45], -v[4:5]
	scratch_store_b128 off, v[2:5], off offset:144
	v_cmpx_lt_u32_e32 7, v0
	s_cbranch_execz .LBB119_335
; %bb.334:
	scratch_load_b128 v[5:8], off, s62
	v_dual_mov_b32 v2, v1 :: v_dual_mov_b32 v3, v1
	v_mov_b32_e32 v4, v1
	scratch_store_b128 off, v[1:4], off offset:128
	s_wait_loadcnt 0x0
	ds_store_b128 v158, v[5:8]
.LBB119_335:
	s_wait_alu 0xfffe
	s_or_b32 exec_lo, exec_lo, s0
	s_wait_storecnt_dscnt 0x0
	s_barrier_signal -1
	s_barrier_wait -1
	global_inv scope:SCOPE_SE
	s_clause 0x8
	scratch_load_b128 v[2:5], off, off offset:144
	scratch_load_b128 v[6:9], off, off offset:160
	;; [unrolled: 1-line block ×9, first 2 shown]
	ds_load_b128 v[42:45], v1 offset:1024
	ds_load_b128 v[38:41], v1 offset:1040
	s_clause 0x1
	scratch_load_b128 v[159:162], off, off offset:128
	scratch_load_b128 v[163:166], off, off offset:288
	s_mov_b32 s0, exec_lo
	s_wait_loadcnt_dscnt 0xa01
	v_mul_f64_e32 v[167:168], v[44:45], v[4:5]
	v_mul_f64_e32 v[4:5], v[42:43], v[4:5]
	s_wait_loadcnt_dscnt 0x900
	v_mul_f64_e32 v[171:172], v[38:39], v[8:9]
	v_mul_f64_e32 v[8:9], v[40:41], v[8:9]
	s_delay_alu instid0(VALU_DEP_4) | instskip(NEXT) | instid1(VALU_DEP_4)
	v_fma_f64 v[173:174], v[42:43], v[2:3], -v[167:168]
	v_fma_f64 v[175:176], v[44:45], v[2:3], v[4:5]
	ds_load_b128 v[2:5], v1 offset:1056
	ds_load_b128 v[167:170], v1 offset:1072
	scratch_load_b128 v[42:45], off, off offset:304
	v_fma_f64 v[40:41], v[40:41], v[6:7], v[171:172]
	v_fma_f64 v[38:39], v[38:39], v[6:7], -v[8:9]
	scratch_load_b128 v[6:9], off, off offset:320
	s_wait_loadcnt_dscnt 0xa01
	v_mul_f64_e32 v[177:178], v[2:3], v[12:13]
	v_mul_f64_e32 v[12:13], v[4:5], v[12:13]
	v_add_f64_e32 v[171:172], 0, v[173:174]
	v_add_f64_e32 v[173:174], 0, v[175:176]
	s_wait_loadcnt_dscnt 0x900
	v_mul_f64_e32 v[175:176], v[167:168], v[16:17]
	v_mul_f64_e32 v[16:17], v[169:170], v[16:17]
	v_fma_f64 v[177:178], v[4:5], v[10:11], v[177:178]
	v_fma_f64 v[179:180], v[2:3], v[10:11], -v[12:13]
	ds_load_b128 v[2:5], v1 offset:1088
	scratch_load_b128 v[10:13], off, off offset:336
	v_add_f64_e32 v[171:172], v[171:172], v[38:39]
	v_add_f64_e32 v[173:174], v[173:174], v[40:41]
	ds_load_b128 v[38:41], v1 offset:1104
	v_fma_f64 v[169:170], v[169:170], v[14:15], v[175:176]
	v_fma_f64 v[167:168], v[167:168], v[14:15], -v[16:17]
	scratch_load_b128 v[14:17], off, off offset:352
	s_wait_loadcnt_dscnt 0xa01
	v_mul_f64_e32 v[181:182], v[2:3], v[20:21]
	v_mul_f64_e32 v[20:21], v[4:5], v[20:21]
	s_wait_loadcnt_dscnt 0x900
	v_mul_f64_e32 v[175:176], v[38:39], v[24:25]
	v_mul_f64_e32 v[24:25], v[40:41], v[24:25]
	v_add_f64_e32 v[171:172], v[171:172], v[179:180]
	v_add_f64_e32 v[173:174], v[173:174], v[177:178]
	v_fma_f64 v[177:178], v[4:5], v[18:19], v[181:182]
	v_fma_f64 v[179:180], v[2:3], v[18:19], -v[20:21]
	ds_load_b128 v[2:5], v1 offset:1120
	scratch_load_b128 v[18:21], off, off offset:368
	v_fma_f64 v[40:41], v[40:41], v[22:23], v[175:176]
	v_fma_f64 v[38:39], v[38:39], v[22:23], -v[24:25]
	scratch_load_b128 v[22:25], off, off offset:384
	v_add_f64_e32 v[171:172], v[171:172], v[167:168]
	v_add_f64_e32 v[173:174], v[173:174], v[169:170]
	ds_load_b128 v[167:170], v1 offset:1136
	s_wait_loadcnt_dscnt 0xa01
	v_mul_f64_e32 v[181:182], v[2:3], v[28:29]
	v_mul_f64_e32 v[28:29], v[4:5], v[28:29]
	s_wait_loadcnt_dscnt 0x900
	v_mul_f64_e32 v[175:176], v[167:168], v[32:33]
	v_mul_f64_e32 v[32:33], v[169:170], v[32:33]
	v_add_f64_e32 v[171:172], v[171:172], v[179:180]
	v_add_f64_e32 v[173:174], v[173:174], v[177:178]
	v_fma_f64 v[177:178], v[4:5], v[26:27], v[181:182]
	v_fma_f64 v[179:180], v[2:3], v[26:27], -v[28:29]
	ds_load_b128 v[2:5], v1 offset:1152
	scratch_load_b128 v[26:29], off, off offset:400
	v_fma_f64 v[169:170], v[169:170], v[30:31], v[175:176]
	v_fma_f64 v[167:168], v[167:168], v[30:31], -v[32:33]
	scratch_load_b128 v[30:33], off, off offset:416
	v_add_f64_e32 v[171:172], v[171:172], v[38:39]
	v_add_f64_e32 v[173:174], v[173:174], v[40:41]
	ds_load_b128 v[38:41], v1 offset:1168
	s_wait_loadcnt_dscnt 0xa01
	v_mul_f64_e32 v[181:182], v[2:3], v[36:37]
	v_mul_f64_e32 v[36:37], v[4:5], v[36:37]
	s_wait_loadcnt_dscnt 0x800
	v_mul_f64_e32 v[175:176], v[38:39], v[165:166]
	v_add_f64_e32 v[171:172], v[171:172], v[179:180]
	v_add_f64_e32 v[173:174], v[173:174], v[177:178]
	v_mul_f64_e32 v[177:178], v[40:41], v[165:166]
	v_fma_f64 v[179:180], v[4:5], v[34:35], v[181:182]
	v_fma_f64 v[181:182], v[2:3], v[34:35], -v[36:37]
	ds_load_b128 v[2:5], v1 offset:1184
	scratch_load_b128 v[34:37], off, off offset:432
	v_fma_f64 v[175:176], v[40:41], v[163:164], v[175:176]
	v_add_f64_e32 v[171:172], v[171:172], v[167:168]
	v_add_f64_e32 v[169:170], v[173:174], v[169:170]
	ds_load_b128 v[165:168], v1 offset:1200
	v_fma_f64 v[163:164], v[38:39], v[163:164], -v[177:178]
	scratch_load_b128 v[38:41], off, off offset:448
	s_wait_loadcnt_dscnt 0x901
	v_mul_f64_e32 v[173:174], v[2:3], v[44:45]
	v_mul_f64_e32 v[44:45], v[4:5], v[44:45]
	s_wait_loadcnt_dscnt 0x800
	v_mul_f64_e32 v[177:178], v[165:166], v[8:9]
	v_mul_f64_e32 v[8:9], v[167:168], v[8:9]
	v_add_f64_e32 v[171:172], v[171:172], v[181:182]
	v_add_f64_e32 v[169:170], v[169:170], v[179:180]
	v_fma_f64 v[173:174], v[4:5], v[42:43], v[173:174]
	v_fma_f64 v[179:180], v[2:3], v[42:43], -v[44:45]
	ds_load_b128 v[2:5], v1 offset:1216
	scratch_load_b128 v[42:45], off, off offset:464
	v_fma_f64 v[167:168], v[167:168], v[6:7], v[177:178]
	v_fma_f64 v[165:166], v[165:166], v[6:7], -v[8:9]
	scratch_load_b128 v[6:9], off, off offset:480
	v_add_f64_e32 v[163:164], v[171:172], v[163:164]
	v_add_f64_e32 v[175:176], v[169:170], v[175:176]
	ds_load_b128 v[169:172], v1 offset:1232
	s_wait_loadcnt_dscnt 0x901
	v_mul_f64_e32 v[181:182], v[2:3], v[12:13]
	v_mul_f64_e32 v[12:13], v[4:5], v[12:13]
	v_add_f64_e32 v[163:164], v[163:164], v[179:180]
	v_add_f64_e32 v[173:174], v[175:176], v[173:174]
	s_wait_loadcnt_dscnt 0x800
	v_mul_f64_e32 v[175:176], v[169:170], v[16:17]
	v_mul_f64_e32 v[16:17], v[171:172], v[16:17]
	v_fma_f64 v[177:178], v[4:5], v[10:11], v[181:182]
	v_fma_f64 v[179:180], v[2:3], v[10:11], -v[12:13]
	ds_load_b128 v[2:5], v1 offset:1248
	scratch_load_b128 v[10:13], off, off offset:496
	v_add_f64_e32 v[181:182], v[163:164], v[165:166]
	v_add_f64_e32 v[167:168], v[173:174], v[167:168]
	ds_load_b128 v[163:166], v1 offset:1264
	s_wait_loadcnt_dscnt 0x801
	v_mul_f64_e32 v[173:174], v[2:3], v[20:21]
	v_mul_f64_e32 v[20:21], v[4:5], v[20:21]
	v_fma_f64 v[171:172], v[171:172], v[14:15], v[175:176]
	v_fma_f64 v[169:170], v[169:170], v[14:15], -v[16:17]
	scratch_load_b128 v[14:17], off, off offset:512
	v_add_f64_e32 v[175:176], v[181:182], v[179:180]
	v_add_f64_e32 v[167:168], v[167:168], v[177:178]
	s_wait_loadcnt_dscnt 0x800
	v_mul_f64_e32 v[177:178], v[163:164], v[24:25]
	v_mul_f64_e32 v[24:25], v[165:166], v[24:25]
	v_fma_f64 v[173:174], v[4:5], v[18:19], v[173:174]
	v_fma_f64 v[179:180], v[2:3], v[18:19], -v[20:21]
	ds_load_b128 v[2:5], v1 offset:1280
	scratch_load_b128 v[18:21], off, off offset:528
	v_add_f64_e32 v[175:176], v[175:176], v[169:170]
	v_add_f64_e32 v[171:172], v[167:168], v[171:172]
	ds_load_b128 v[167:170], v1 offset:1296
	s_wait_loadcnt_dscnt 0x801
	v_mul_f64_e32 v[181:182], v[2:3], v[28:29]
	v_mul_f64_e32 v[28:29], v[4:5], v[28:29]
	v_fma_f64 v[165:166], v[165:166], v[22:23], v[177:178]
	v_fma_f64 v[163:164], v[163:164], v[22:23], -v[24:25]
	scratch_load_b128 v[22:25], off, off offset:544
	;; [unrolled: 18-line block ×4, first 2 shown]
	s_wait_loadcnt_dscnt 0x800
	v_mul_f64_e32 v[175:176], v[167:168], v[8:9]
	v_mul_f64_e32 v[8:9], v[169:170], v[8:9]
	v_add_f64_e32 v[173:174], v[173:174], v[179:180]
	v_add_f64_e32 v[171:172], v[171:172], v[177:178]
	v_fma_f64 v[177:178], v[4:5], v[42:43], v[181:182]
	v_fma_f64 v[179:180], v[2:3], v[42:43], -v[44:45]
	ds_load_b128 v[2:5], v1 offset:1376
	scratch_load_b128 v[42:45], off, off offset:624
	v_fma_f64 v[169:170], v[169:170], v[6:7], v[175:176]
	v_fma_f64 v[167:168], v[167:168], v[6:7], -v[8:9]
	scratch_load_b128 v[6:9], off, off offset:640
	v_add_f64_e32 v[173:174], v[173:174], v[163:164]
	v_add_f64_e32 v[171:172], v[171:172], v[165:166]
	ds_load_b128 v[163:166], v1 offset:1392
	s_wait_loadcnt_dscnt 0x901
	v_mul_f64_e32 v[181:182], v[2:3], v[12:13]
	v_mul_f64_e32 v[12:13], v[4:5], v[12:13]
	s_wait_loadcnt_dscnt 0x800
	v_mul_f64_e32 v[175:176], v[163:164], v[16:17]
	v_mul_f64_e32 v[16:17], v[165:166], v[16:17]
	v_add_f64_e32 v[173:174], v[173:174], v[179:180]
	v_add_f64_e32 v[171:172], v[171:172], v[177:178]
	v_fma_f64 v[177:178], v[4:5], v[10:11], v[181:182]
	v_fma_f64 v[179:180], v[2:3], v[10:11], -v[12:13]
	ds_load_b128 v[2:5], v1 offset:1408
	scratch_load_b128 v[10:13], off, off offset:656
	v_fma_f64 v[165:166], v[165:166], v[14:15], v[175:176]
	v_fma_f64 v[163:164], v[163:164], v[14:15], -v[16:17]
	scratch_load_b128 v[14:17], off, off offset:672
	v_add_f64_e32 v[173:174], v[173:174], v[167:168]
	v_add_f64_e32 v[171:172], v[171:172], v[169:170]
	ds_load_b128 v[167:170], v1 offset:1424
	s_wait_loadcnt_dscnt 0x901
	v_mul_f64_e32 v[181:182], v[2:3], v[20:21]
	v_mul_f64_e32 v[20:21], v[4:5], v[20:21]
	;; [unrolled: 18-line block ×9, first 2 shown]
	s_wait_loadcnt_dscnt 0x800
	v_mul_f64_e32 v[175:176], v[163:164], v[40:41]
	v_mul_f64_e32 v[40:41], v[165:166], v[40:41]
	v_add_f64_e32 v[173:174], v[173:174], v[179:180]
	v_add_f64_e32 v[171:172], v[171:172], v[177:178]
	v_fma_f64 v[177:178], v[4:5], v[34:35], v[181:182]
	v_fma_f64 v[179:180], v[2:3], v[34:35], -v[36:37]
	ds_load_b128 v[2:5], v1 offset:1664
	ds_load_b128 v[34:37], v1 offset:1680
	v_fma_f64 v[165:166], v[165:166], v[38:39], v[175:176]
	v_fma_f64 v[38:39], v[163:164], v[38:39], -v[40:41]
	v_add_f64_e32 v[167:168], v[173:174], v[167:168]
	v_add_f64_e32 v[169:170], v[171:172], v[169:170]
	s_wait_loadcnt_dscnt 0x701
	v_mul_f64_e32 v[171:172], v[2:3], v[44:45]
	v_mul_f64_e32 v[44:45], v[4:5], v[44:45]
	s_delay_alu instid0(VALU_DEP_4) | instskip(NEXT) | instid1(VALU_DEP_4)
	v_add_f64_e32 v[40:41], v[167:168], v[179:180]
	v_add_f64_e32 v[163:164], v[169:170], v[177:178]
	s_wait_loadcnt_dscnt 0x600
	v_mul_f64_e32 v[167:168], v[34:35], v[8:9]
	v_mul_f64_e32 v[8:9], v[36:37], v[8:9]
	v_fma_f64 v[169:170], v[4:5], v[42:43], v[171:172]
	v_fma_f64 v[42:43], v[2:3], v[42:43], -v[44:45]
	v_add_f64_e32 v[44:45], v[40:41], v[38:39]
	v_add_f64_e32 v[163:164], v[163:164], v[165:166]
	ds_load_b128 v[2:5], v1 offset:1696
	ds_load_b128 v[38:41], v1 offset:1712
	v_fma_f64 v[36:37], v[36:37], v[6:7], v[167:168]
	v_fma_f64 v[6:7], v[34:35], v[6:7], -v[8:9]
	s_wait_loadcnt_dscnt 0x501
	v_mul_f64_e32 v[165:166], v[2:3], v[12:13]
	v_mul_f64_e32 v[12:13], v[4:5], v[12:13]
	v_add_f64_e32 v[8:9], v[44:45], v[42:43]
	v_add_f64_e32 v[34:35], v[163:164], v[169:170]
	s_wait_loadcnt_dscnt 0x400
	v_mul_f64_e32 v[42:43], v[38:39], v[16:17]
	v_mul_f64_e32 v[16:17], v[40:41], v[16:17]
	v_fma_f64 v[44:45], v[4:5], v[10:11], v[165:166]
	v_fma_f64 v[10:11], v[2:3], v[10:11], -v[12:13]
	v_add_f64_e32 v[12:13], v[8:9], v[6:7]
	v_add_f64_e32 v[34:35], v[34:35], v[36:37]
	ds_load_b128 v[2:5], v1 offset:1728
	ds_load_b128 v[6:9], v1 offset:1744
	v_fma_f64 v[40:41], v[40:41], v[14:15], v[42:43]
	v_fma_f64 v[14:15], v[38:39], v[14:15], -v[16:17]
	s_wait_loadcnt_dscnt 0x301
	v_mul_f64_e32 v[36:37], v[2:3], v[20:21]
	v_mul_f64_e32 v[20:21], v[4:5], v[20:21]
	s_wait_loadcnt_dscnt 0x200
	v_mul_f64_e32 v[16:17], v[6:7], v[24:25]
	v_mul_f64_e32 v[24:25], v[8:9], v[24:25]
	v_add_f64_e32 v[10:11], v[12:13], v[10:11]
	v_add_f64_e32 v[12:13], v[34:35], v[44:45]
	v_fma_f64 v[34:35], v[4:5], v[18:19], v[36:37]
	v_fma_f64 v[18:19], v[2:3], v[18:19], -v[20:21]
	v_fma_f64 v[8:9], v[8:9], v[22:23], v[16:17]
	v_fma_f64 v[6:7], v[6:7], v[22:23], -v[24:25]
	v_add_f64_e32 v[14:15], v[10:11], v[14:15]
	v_add_f64_e32 v[20:21], v[12:13], v[40:41]
	ds_load_b128 v[2:5], v1 offset:1760
	ds_load_b128 v[10:13], v1 offset:1776
	s_wait_loadcnt_dscnt 0x101
	v_mul_f64_e32 v[36:37], v[2:3], v[28:29]
	v_mul_f64_e32 v[28:29], v[4:5], v[28:29]
	v_add_f64_e32 v[14:15], v[14:15], v[18:19]
	v_add_f64_e32 v[16:17], v[20:21], v[34:35]
	s_wait_loadcnt_dscnt 0x0
	v_mul_f64_e32 v[18:19], v[10:11], v[32:33]
	v_mul_f64_e32 v[20:21], v[12:13], v[32:33]
	v_fma_f64 v[4:5], v[4:5], v[26:27], v[36:37]
	v_fma_f64 v[1:2], v[2:3], v[26:27], -v[28:29]
	v_add_f64_e32 v[6:7], v[14:15], v[6:7]
	v_add_f64_e32 v[8:9], v[16:17], v[8:9]
	v_fma_f64 v[12:13], v[12:13], v[30:31], v[18:19]
	v_fma_f64 v[10:11], v[10:11], v[30:31], -v[20:21]
	s_delay_alu instid0(VALU_DEP_4) | instskip(NEXT) | instid1(VALU_DEP_4)
	v_add_f64_e32 v[1:2], v[6:7], v[1:2]
	v_add_f64_e32 v[3:4], v[8:9], v[4:5]
	s_delay_alu instid0(VALU_DEP_2) | instskip(NEXT) | instid1(VALU_DEP_2)
	v_add_f64_e32 v[1:2], v[1:2], v[10:11]
	v_add_f64_e32 v[3:4], v[3:4], v[12:13]
	s_delay_alu instid0(VALU_DEP_2) | instskip(NEXT) | instid1(VALU_DEP_2)
	v_add_f64_e64 v[1:2], v[159:160], -v[1:2]
	v_add_f64_e64 v[3:4], v[161:162], -v[3:4]
	scratch_store_b128 off, v[1:4], off offset:128
	v_cmpx_lt_u32_e32 6, v0
	s_cbranch_execz .LBB119_337
; %bb.336:
	scratch_load_b128 v[1:4], off, s63
	v_mov_b32_e32 v5, 0
	s_delay_alu instid0(VALU_DEP_1)
	v_dual_mov_b32 v6, v5 :: v_dual_mov_b32 v7, v5
	v_mov_b32_e32 v8, v5
	scratch_store_b128 off, v[5:8], off offset:112
	s_wait_loadcnt 0x0
	ds_store_b128 v158, v[1:4]
.LBB119_337:
	s_wait_alu 0xfffe
	s_or_b32 exec_lo, exec_lo, s0
	s_wait_storecnt_dscnt 0x0
	s_barrier_signal -1
	s_barrier_wait -1
	global_inv scope:SCOPE_SE
	s_clause 0x7
	scratch_load_b128 v[2:5], off, off offset:128
	scratch_load_b128 v[6:9], off, off offset:144
	;; [unrolled: 1-line block ×8, first 2 shown]
	v_mov_b32_e32 v1, 0
	s_mov_b32 s0, exec_lo
	ds_load_b128 v[38:41], v1 offset:1008
	s_clause 0x1
	scratch_load_b128 v[34:37], off, off offset:256
	scratch_load_b128 v[42:45], off, off offset:112
	ds_load_b128 v[159:162], v1 offset:1024
	scratch_load_b128 v[163:166], off, off offset:272
	s_wait_loadcnt_dscnt 0xa01
	v_mul_f64_e32 v[167:168], v[40:41], v[4:5]
	v_mul_f64_e32 v[4:5], v[38:39], v[4:5]
	s_delay_alu instid0(VALU_DEP_2) | instskip(NEXT) | instid1(VALU_DEP_2)
	v_fma_f64 v[173:174], v[38:39], v[2:3], -v[167:168]
	v_fma_f64 v[175:176], v[40:41], v[2:3], v[4:5]
	ds_load_b128 v[2:5], v1 offset:1040
	s_wait_loadcnt_dscnt 0x901
	v_mul_f64_e32 v[171:172], v[159:160], v[8:9]
	v_mul_f64_e32 v[8:9], v[161:162], v[8:9]
	scratch_load_b128 v[38:41], off, off offset:288
	ds_load_b128 v[167:170], v1 offset:1056
	s_wait_loadcnt_dscnt 0x901
	v_mul_f64_e32 v[177:178], v[2:3], v[12:13]
	v_mul_f64_e32 v[12:13], v[4:5], v[12:13]
	v_fma_f64 v[161:162], v[161:162], v[6:7], v[171:172]
	v_fma_f64 v[159:160], v[159:160], v[6:7], -v[8:9]
	v_add_f64_e32 v[171:172], 0, v[173:174]
	v_add_f64_e32 v[173:174], 0, v[175:176]
	scratch_load_b128 v[6:9], off, off offset:304
	v_fma_f64 v[177:178], v[4:5], v[10:11], v[177:178]
	v_fma_f64 v[179:180], v[2:3], v[10:11], -v[12:13]
	ds_load_b128 v[2:5], v1 offset:1072
	s_wait_loadcnt_dscnt 0x901
	v_mul_f64_e32 v[175:176], v[167:168], v[16:17]
	v_mul_f64_e32 v[16:17], v[169:170], v[16:17]
	scratch_load_b128 v[10:13], off, off offset:320
	v_add_f64_e32 v[171:172], v[171:172], v[159:160]
	v_add_f64_e32 v[173:174], v[173:174], v[161:162]
	s_wait_loadcnt_dscnt 0x900
	v_mul_f64_e32 v[181:182], v[2:3], v[20:21]
	v_mul_f64_e32 v[20:21], v[4:5], v[20:21]
	ds_load_b128 v[159:162], v1 offset:1088
	v_fma_f64 v[169:170], v[169:170], v[14:15], v[175:176]
	v_fma_f64 v[167:168], v[167:168], v[14:15], -v[16:17]
	scratch_load_b128 v[14:17], off, off offset:336
	v_add_f64_e32 v[171:172], v[171:172], v[179:180]
	v_add_f64_e32 v[173:174], v[173:174], v[177:178]
	v_fma_f64 v[177:178], v[4:5], v[18:19], v[181:182]
	v_fma_f64 v[179:180], v[2:3], v[18:19], -v[20:21]
	ds_load_b128 v[2:5], v1 offset:1104
	s_wait_loadcnt_dscnt 0x901
	v_mul_f64_e32 v[175:176], v[159:160], v[24:25]
	v_mul_f64_e32 v[24:25], v[161:162], v[24:25]
	scratch_load_b128 v[18:21], off, off offset:352
	s_wait_loadcnt_dscnt 0x900
	v_mul_f64_e32 v[181:182], v[2:3], v[28:29]
	v_mul_f64_e32 v[28:29], v[4:5], v[28:29]
	v_add_f64_e32 v[171:172], v[171:172], v[167:168]
	v_add_f64_e32 v[173:174], v[173:174], v[169:170]
	ds_load_b128 v[167:170], v1 offset:1120
	v_fma_f64 v[161:162], v[161:162], v[22:23], v[175:176]
	v_fma_f64 v[159:160], v[159:160], v[22:23], -v[24:25]
	scratch_load_b128 v[22:25], off, off offset:368
	v_add_f64_e32 v[171:172], v[171:172], v[179:180]
	v_add_f64_e32 v[173:174], v[173:174], v[177:178]
	v_fma_f64 v[177:178], v[4:5], v[26:27], v[181:182]
	v_fma_f64 v[179:180], v[2:3], v[26:27], -v[28:29]
	ds_load_b128 v[2:5], v1 offset:1136
	s_wait_loadcnt_dscnt 0x901
	v_mul_f64_e32 v[175:176], v[167:168], v[32:33]
	v_mul_f64_e32 v[32:33], v[169:170], v[32:33]
	scratch_load_b128 v[26:29], off, off offset:384
	s_wait_loadcnt_dscnt 0x900
	v_mul_f64_e32 v[181:182], v[2:3], v[36:37]
	v_mul_f64_e32 v[36:37], v[4:5], v[36:37]
	v_add_f64_e32 v[171:172], v[171:172], v[159:160]
	v_add_f64_e32 v[173:174], v[173:174], v[161:162]
	ds_load_b128 v[159:162], v1 offset:1152
	v_fma_f64 v[169:170], v[169:170], v[30:31], v[175:176]
	v_fma_f64 v[167:168], v[167:168], v[30:31], -v[32:33]
	scratch_load_b128 v[30:33], off, off offset:400
	v_add_f64_e32 v[171:172], v[171:172], v[179:180]
	v_add_f64_e32 v[173:174], v[173:174], v[177:178]
	v_fma_f64 v[179:180], v[4:5], v[34:35], v[181:182]
	v_fma_f64 v[181:182], v[2:3], v[34:35], -v[36:37]
	ds_load_b128 v[2:5], v1 offset:1168
	s_wait_loadcnt_dscnt 0x801
	v_mul_f64_e32 v[175:176], v[159:160], v[165:166]
	v_mul_f64_e32 v[177:178], v[161:162], v[165:166]
	scratch_load_b128 v[34:37], off, off offset:416
	v_add_f64_e32 v[171:172], v[171:172], v[167:168]
	v_add_f64_e32 v[169:170], v[173:174], v[169:170]
	ds_load_b128 v[165:168], v1 offset:1184
	v_fma_f64 v[175:176], v[161:162], v[163:164], v[175:176]
	v_fma_f64 v[163:164], v[159:160], v[163:164], -v[177:178]
	scratch_load_b128 v[159:162], off, off offset:432
	s_wait_loadcnt_dscnt 0x901
	v_mul_f64_e32 v[173:174], v[2:3], v[40:41]
	v_mul_f64_e32 v[40:41], v[4:5], v[40:41]
	v_add_f64_e32 v[171:172], v[171:172], v[181:182]
	v_add_f64_e32 v[169:170], v[169:170], v[179:180]
	s_delay_alu instid0(VALU_DEP_4) | instskip(NEXT) | instid1(VALU_DEP_4)
	v_fma_f64 v[173:174], v[4:5], v[38:39], v[173:174]
	v_fma_f64 v[179:180], v[2:3], v[38:39], -v[40:41]
	ds_load_b128 v[2:5], v1 offset:1200
	s_wait_loadcnt_dscnt 0x801
	v_mul_f64_e32 v[177:178], v[165:166], v[8:9]
	v_mul_f64_e32 v[8:9], v[167:168], v[8:9]
	scratch_load_b128 v[38:41], off, off offset:448
	s_wait_loadcnt_dscnt 0x800
	v_mul_f64_e32 v[181:182], v[2:3], v[12:13]
	v_add_f64_e32 v[163:164], v[171:172], v[163:164]
	v_add_f64_e32 v[175:176], v[169:170], v[175:176]
	v_mul_f64_e32 v[12:13], v[4:5], v[12:13]
	ds_load_b128 v[169:172], v1 offset:1216
	v_fma_f64 v[167:168], v[167:168], v[6:7], v[177:178]
	v_fma_f64 v[165:166], v[165:166], v[6:7], -v[8:9]
	scratch_load_b128 v[6:9], off, off offset:464
	v_fma_f64 v[177:178], v[4:5], v[10:11], v[181:182]
	v_add_f64_e32 v[163:164], v[163:164], v[179:180]
	v_add_f64_e32 v[173:174], v[175:176], v[173:174]
	v_fma_f64 v[179:180], v[2:3], v[10:11], -v[12:13]
	ds_load_b128 v[2:5], v1 offset:1232
	s_wait_loadcnt_dscnt 0x801
	v_mul_f64_e32 v[175:176], v[169:170], v[16:17]
	v_mul_f64_e32 v[16:17], v[171:172], v[16:17]
	scratch_load_b128 v[10:13], off, off offset:480
	v_add_f64_e32 v[181:182], v[163:164], v[165:166]
	v_add_f64_e32 v[167:168], v[173:174], v[167:168]
	s_wait_loadcnt_dscnt 0x800
	v_mul_f64_e32 v[173:174], v[2:3], v[20:21]
	v_mul_f64_e32 v[20:21], v[4:5], v[20:21]
	v_fma_f64 v[171:172], v[171:172], v[14:15], v[175:176]
	v_fma_f64 v[169:170], v[169:170], v[14:15], -v[16:17]
	ds_load_b128 v[163:166], v1 offset:1248
	scratch_load_b128 v[14:17], off, off offset:496
	v_add_f64_e32 v[175:176], v[181:182], v[179:180]
	v_add_f64_e32 v[167:168], v[167:168], v[177:178]
	v_fma_f64 v[173:174], v[4:5], v[18:19], v[173:174]
	v_fma_f64 v[179:180], v[2:3], v[18:19], -v[20:21]
	ds_load_b128 v[2:5], v1 offset:1264
	s_wait_loadcnt_dscnt 0x801
	v_mul_f64_e32 v[177:178], v[163:164], v[24:25]
	v_mul_f64_e32 v[24:25], v[165:166], v[24:25]
	scratch_load_b128 v[18:21], off, off offset:512
	s_wait_loadcnt_dscnt 0x800
	v_mul_f64_e32 v[181:182], v[2:3], v[28:29]
	v_mul_f64_e32 v[28:29], v[4:5], v[28:29]
	v_add_f64_e32 v[175:176], v[175:176], v[169:170]
	v_add_f64_e32 v[171:172], v[167:168], v[171:172]
	ds_load_b128 v[167:170], v1 offset:1280
	v_fma_f64 v[165:166], v[165:166], v[22:23], v[177:178]
	v_fma_f64 v[163:164], v[163:164], v[22:23], -v[24:25]
	scratch_load_b128 v[22:25], off, off offset:528
	v_fma_f64 v[177:178], v[4:5], v[26:27], v[181:182]
	v_add_f64_e32 v[175:176], v[175:176], v[179:180]
	v_add_f64_e32 v[171:172], v[171:172], v[173:174]
	v_fma_f64 v[179:180], v[2:3], v[26:27], -v[28:29]
	ds_load_b128 v[2:5], v1 offset:1296
	s_wait_loadcnt_dscnt 0x801
	v_mul_f64_e32 v[173:174], v[167:168], v[32:33]
	v_mul_f64_e32 v[32:33], v[169:170], v[32:33]
	scratch_load_b128 v[26:29], off, off offset:544
	s_wait_loadcnt_dscnt 0x800
	v_mul_f64_e32 v[181:182], v[2:3], v[36:37]
	v_mul_f64_e32 v[36:37], v[4:5], v[36:37]
	v_add_f64_e32 v[175:176], v[175:176], v[163:164]
	v_add_f64_e32 v[171:172], v[171:172], v[165:166]
	ds_load_b128 v[163:166], v1 offset:1312
	v_fma_f64 v[169:170], v[169:170], v[30:31], v[173:174]
	v_fma_f64 v[167:168], v[167:168], v[30:31], -v[32:33]
	scratch_load_b128 v[30:33], off, off offset:560
	v_add_f64_e32 v[173:174], v[175:176], v[179:180]
	v_add_f64_e32 v[171:172], v[171:172], v[177:178]
	v_fma_f64 v[177:178], v[4:5], v[34:35], v[181:182]
	v_fma_f64 v[179:180], v[2:3], v[34:35], -v[36:37]
	ds_load_b128 v[2:5], v1 offset:1328
	s_wait_loadcnt_dscnt 0x801
	v_mul_f64_e32 v[175:176], v[163:164], v[161:162]
	v_mul_f64_e32 v[161:162], v[165:166], v[161:162]
	scratch_load_b128 v[34:37], off, off offset:576
	s_wait_loadcnt_dscnt 0x800
	v_mul_f64_e32 v[181:182], v[2:3], v[40:41]
	v_mul_f64_e32 v[40:41], v[4:5], v[40:41]
	v_add_f64_e32 v[173:174], v[173:174], v[167:168]
	v_add_f64_e32 v[171:172], v[171:172], v[169:170]
	ds_load_b128 v[167:170], v1 offset:1344
	v_fma_f64 v[165:166], v[165:166], v[159:160], v[175:176]
	v_fma_f64 v[163:164], v[163:164], v[159:160], -v[161:162]
	scratch_load_b128 v[159:162], off, off offset:592
	v_add_f64_e32 v[173:174], v[173:174], v[179:180]
	v_add_f64_e32 v[171:172], v[171:172], v[177:178]
	v_fma_f64 v[177:178], v[4:5], v[38:39], v[181:182]
	;; [unrolled: 18-line block ×6, first 2 shown]
	v_fma_f64 v[181:182], v[2:3], v[34:35], -v[36:37]
	ds_load_b128 v[2:5], v1 offset:1488
	s_wait_loadcnt_dscnt 0x801
	v_mul_f64_e32 v[175:176], v[167:168], v[161:162]
	v_mul_f64_e32 v[177:178], v[169:170], v[161:162]
	scratch_load_b128 v[34:37], off, off offset:736
	v_add_f64_e32 v[173:174], v[173:174], v[163:164]
	v_add_f64_e32 v[165:166], v[171:172], v[165:166]
	s_wait_loadcnt_dscnt 0x800
	v_mul_f64_e32 v[171:172], v[2:3], v[40:41]
	v_mul_f64_e32 v[40:41], v[4:5], v[40:41]
	ds_load_b128 v[161:164], v1 offset:1504
	v_fma_f64 v[169:170], v[169:170], v[159:160], v[175:176]
	v_fma_f64 v[159:160], v[167:168], v[159:160], -v[177:178]
	v_add_f64_e32 v[173:174], v[173:174], v[181:182]
	v_add_f64_e32 v[175:176], v[165:166], v[179:180]
	scratch_load_b128 v[165:168], off, off offset:752
	v_fma_f64 v[179:180], v[4:5], v[38:39], v[171:172]
	v_fma_f64 v[181:182], v[2:3], v[38:39], -v[40:41]
	ds_load_b128 v[2:5], v1 offset:1520
	s_wait_loadcnt_dscnt 0x801
	v_mul_f64_e32 v[177:178], v[161:162], v[8:9]
	v_mul_f64_e32 v[8:9], v[163:164], v[8:9]
	scratch_load_b128 v[38:41], off, off offset:768
	v_add_f64_e32 v[159:160], v[173:174], v[159:160]
	v_add_f64_e32 v[173:174], v[175:176], v[169:170]
	s_wait_loadcnt_dscnt 0x800
	v_mul_f64_e32 v[175:176], v[2:3], v[12:13]
	v_mul_f64_e32 v[12:13], v[4:5], v[12:13]
	ds_load_b128 v[169:172], v1 offset:1536
	v_fma_f64 v[163:164], v[163:164], v[6:7], v[177:178]
	v_fma_f64 v[161:162], v[161:162], v[6:7], -v[8:9]
	scratch_load_b128 v[6:9], off, off offset:784
	v_add_f64_e32 v[159:160], v[159:160], v[181:182]
	v_add_f64_e32 v[173:174], v[173:174], v[179:180]
	v_fma_f64 v[175:176], v[4:5], v[10:11], v[175:176]
	v_fma_f64 v[179:180], v[2:3], v[10:11], -v[12:13]
	ds_load_b128 v[2:5], v1 offset:1552
	s_wait_loadcnt_dscnt 0x801
	v_mul_f64_e32 v[177:178], v[169:170], v[16:17]
	v_mul_f64_e32 v[16:17], v[171:172], v[16:17]
	scratch_load_b128 v[10:13], off, off offset:800
	v_add_f64_e32 v[181:182], v[159:160], v[161:162]
	v_add_f64_e32 v[163:164], v[173:174], v[163:164]
	s_wait_loadcnt_dscnt 0x800
	v_mul_f64_e32 v[173:174], v[2:3], v[20:21]
	v_mul_f64_e32 v[20:21], v[4:5], v[20:21]
	ds_load_b128 v[159:162], v1 offset:1568
	v_fma_f64 v[171:172], v[171:172], v[14:15], v[177:178]
	v_fma_f64 v[169:170], v[169:170], v[14:15], -v[16:17]
	scratch_load_b128 v[14:17], off, off offset:816
	v_add_f64_e32 v[177:178], v[181:182], v[179:180]
	v_add_f64_e32 v[163:164], v[163:164], v[175:176]
	v_fma_f64 v[173:174], v[4:5], v[18:19], v[173:174]
	v_fma_f64 v[179:180], v[2:3], v[18:19], -v[20:21]
	ds_load_b128 v[2:5], v1 offset:1584
	s_wait_loadcnt_dscnt 0x801
	v_mul_f64_e32 v[175:176], v[159:160], v[24:25]
	v_mul_f64_e32 v[24:25], v[161:162], v[24:25]
	scratch_load_b128 v[18:21], off, off offset:832
	s_wait_loadcnt_dscnt 0x800
	v_mul_f64_e32 v[181:182], v[2:3], v[28:29]
	v_mul_f64_e32 v[28:29], v[4:5], v[28:29]
	v_add_f64_e32 v[177:178], v[177:178], v[169:170]
	v_add_f64_e32 v[163:164], v[163:164], v[171:172]
	ds_load_b128 v[169:172], v1 offset:1600
	v_fma_f64 v[161:162], v[161:162], v[22:23], v[175:176]
	v_fma_f64 v[159:160], v[159:160], v[22:23], -v[24:25]
	scratch_load_b128 v[22:25], off, off offset:848
	v_add_f64_e32 v[175:176], v[177:178], v[179:180]
	v_add_f64_e32 v[163:164], v[163:164], v[173:174]
	v_fma_f64 v[177:178], v[4:5], v[26:27], v[181:182]
	v_fma_f64 v[179:180], v[2:3], v[26:27], -v[28:29]
	ds_load_b128 v[2:5], v1 offset:1616
	s_wait_loadcnt_dscnt 0x801
	v_mul_f64_e32 v[173:174], v[169:170], v[32:33]
	v_mul_f64_e32 v[32:33], v[171:172], v[32:33]
	scratch_load_b128 v[26:29], off, off offset:864
	s_wait_loadcnt_dscnt 0x800
	v_mul_f64_e32 v[181:182], v[2:3], v[36:37]
	v_mul_f64_e32 v[36:37], v[4:5], v[36:37]
	v_add_f64_e32 v[175:176], v[175:176], v[159:160]
	v_add_f64_e32 v[163:164], v[163:164], v[161:162]
	ds_load_b128 v[159:162], v1 offset:1632
	v_fma_f64 v[171:172], v[171:172], v[30:31], v[173:174]
	v_fma_f64 v[169:170], v[169:170], v[30:31], -v[32:33]
	scratch_load_b128 v[30:33], off, off offset:880
	v_add_f64_e32 v[173:174], v[175:176], v[179:180]
	v_add_f64_e32 v[163:164], v[163:164], v[177:178]
	v_fma_f64 v[179:180], v[4:5], v[34:35], v[181:182]
	v_fma_f64 v[181:182], v[2:3], v[34:35], -v[36:37]
	ds_load_b128 v[2:5], v1 offset:1648
	scratch_load_b128 v[34:37], off, off offset:896
	s_wait_loadcnt_dscnt 0x901
	v_mul_f64_e32 v[175:176], v[159:160], v[167:168]
	v_mul_f64_e32 v[177:178], v[161:162], v[167:168]
	v_add_f64_e32 v[173:174], v[173:174], v[169:170]
	v_add_f64_e32 v[163:164], v[163:164], v[171:172]
	s_wait_loadcnt_dscnt 0x800
	v_mul_f64_e32 v[171:172], v[2:3], v[40:41]
	v_mul_f64_e32 v[40:41], v[4:5], v[40:41]
	ds_load_b128 v[167:170], v1 offset:1664
	v_fma_f64 v[161:162], v[161:162], v[165:166], v[175:176]
	v_fma_f64 v[159:160], v[159:160], v[165:166], -v[177:178]
	v_add_f64_e32 v[165:166], v[173:174], v[181:182]
	v_add_f64_e32 v[163:164], v[163:164], v[179:180]
	s_wait_loadcnt_dscnt 0x700
	v_mul_f64_e32 v[173:174], v[167:168], v[8:9]
	v_mul_f64_e32 v[8:9], v[169:170], v[8:9]
	v_fma_f64 v[171:172], v[4:5], v[38:39], v[171:172]
	v_fma_f64 v[175:176], v[2:3], v[38:39], -v[40:41]
	ds_load_b128 v[2:5], v1 offset:1680
	ds_load_b128 v[38:41], v1 offset:1696
	v_add_f64_e32 v[159:160], v[165:166], v[159:160]
	v_add_f64_e32 v[161:162], v[163:164], v[161:162]
	s_wait_loadcnt_dscnt 0x601
	v_mul_f64_e32 v[163:164], v[2:3], v[12:13]
	v_mul_f64_e32 v[12:13], v[4:5], v[12:13]
	v_fma_f64 v[165:166], v[169:170], v[6:7], v[173:174]
	v_fma_f64 v[6:7], v[167:168], v[6:7], -v[8:9]
	v_add_f64_e32 v[8:9], v[159:160], v[175:176]
	v_add_f64_e32 v[159:160], v[161:162], v[171:172]
	s_wait_loadcnt_dscnt 0x500
	v_mul_f64_e32 v[161:162], v[38:39], v[16:17]
	v_mul_f64_e32 v[16:17], v[40:41], v[16:17]
	v_fma_f64 v[163:164], v[4:5], v[10:11], v[163:164]
	v_fma_f64 v[10:11], v[2:3], v[10:11], -v[12:13]
	v_add_f64_e32 v[12:13], v[8:9], v[6:7]
	v_add_f64_e32 v[159:160], v[159:160], v[165:166]
	ds_load_b128 v[2:5], v1 offset:1712
	ds_load_b128 v[6:9], v1 offset:1728
	v_fma_f64 v[40:41], v[40:41], v[14:15], v[161:162]
	v_fma_f64 v[14:15], v[38:39], v[14:15], -v[16:17]
	s_wait_loadcnt_dscnt 0x401
	v_mul_f64_e32 v[165:166], v[2:3], v[20:21]
	v_mul_f64_e32 v[20:21], v[4:5], v[20:21]
	s_wait_loadcnt_dscnt 0x300
	v_mul_f64_e32 v[16:17], v[6:7], v[24:25]
	v_mul_f64_e32 v[24:25], v[8:9], v[24:25]
	v_add_f64_e32 v[10:11], v[12:13], v[10:11]
	v_add_f64_e32 v[12:13], v[159:160], v[163:164]
	v_fma_f64 v[38:39], v[4:5], v[18:19], v[165:166]
	v_fma_f64 v[18:19], v[2:3], v[18:19], -v[20:21]
	v_fma_f64 v[8:9], v[8:9], v[22:23], v[16:17]
	v_fma_f64 v[6:7], v[6:7], v[22:23], -v[24:25]
	v_add_f64_e32 v[14:15], v[10:11], v[14:15]
	v_add_f64_e32 v[20:21], v[12:13], v[40:41]
	ds_load_b128 v[2:5], v1 offset:1744
	ds_load_b128 v[10:13], v1 offset:1760
	s_wait_loadcnt_dscnt 0x201
	v_mul_f64_e32 v[40:41], v[2:3], v[28:29]
	v_mul_f64_e32 v[28:29], v[4:5], v[28:29]
	v_add_f64_e32 v[14:15], v[14:15], v[18:19]
	v_add_f64_e32 v[16:17], v[20:21], v[38:39]
	s_wait_loadcnt_dscnt 0x100
	v_mul_f64_e32 v[18:19], v[10:11], v[32:33]
	v_mul_f64_e32 v[20:21], v[12:13], v[32:33]
	v_fma_f64 v[22:23], v[4:5], v[26:27], v[40:41]
	v_fma_f64 v[24:25], v[2:3], v[26:27], -v[28:29]
	ds_load_b128 v[2:5], v1 offset:1776
	v_add_f64_e32 v[6:7], v[14:15], v[6:7]
	v_add_f64_e32 v[8:9], v[16:17], v[8:9]
	v_fma_f64 v[12:13], v[12:13], v[30:31], v[18:19]
	v_fma_f64 v[10:11], v[10:11], v[30:31], -v[20:21]
	s_wait_loadcnt_dscnt 0x0
	v_mul_f64_e32 v[14:15], v[2:3], v[36:37]
	v_mul_f64_e32 v[16:17], v[4:5], v[36:37]
	v_add_f64_e32 v[6:7], v[6:7], v[24:25]
	v_add_f64_e32 v[8:9], v[8:9], v[22:23]
	s_delay_alu instid0(VALU_DEP_4) | instskip(NEXT) | instid1(VALU_DEP_4)
	v_fma_f64 v[4:5], v[4:5], v[34:35], v[14:15]
	v_fma_f64 v[2:3], v[2:3], v[34:35], -v[16:17]
	s_delay_alu instid0(VALU_DEP_4) | instskip(NEXT) | instid1(VALU_DEP_4)
	v_add_f64_e32 v[6:7], v[6:7], v[10:11]
	v_add_f64_e32 v[8:9], v[8:9], v[12:13]
	s_delay_alu instid0(VALU_DEP_2) | instskip(NEXT) | instid1(VALU_DEP_2)
	v_add_f64_e32 v[2:3], v[6:7], v[2:3]
	v_add_f64_e32 v[4:5], v[8:9], v[4:5]
	s_delay_alu instid0(VALU_DEP_2) | instskip(NEXT) | instid1(VALU_DEP_2)
	v_add_f64_e64 v[2:3], v[42:43], -v[2:3]
	v_add_f64_e64 v[4:5], v[44:45], -v[4:5]
	scratch_store_b128 off, v[2:5], off offset:112
	v_cmpx_lt_u32_e32 5, v0
	s_cbranch_execz .LBB119_339
; %bb.338:
	scratch_load_b128 v[5:8], off, s64
	v_dual_mov_b32 v2, v1 :: v_dual_mov_b32 v3, v1
	v_mov_b32_e32 v4, v1
	scratch_store_b128 off, v[1:4], off offset:96
	s_wait_loadcnt 0x0
	ds_store_b128 v158, v[5:8]
.LBB119_339:
	s_wait_alu 0xfffe
	s_or_b32 exec_lo, exec_lo, s0
	s_wait_storecnt_dscnt 0x0
	s_barrier_signal -1
	s_barrier_wait -1
	global_inv scope:SCOPE_SE
	s_clause 0x8
	scratch_load_b128 v[2:5], off, off offset:112
	scratch_load_b128 v[6:9], off, off offset:128
	;; [unrolled: 1-line block ×9, first 2 shown]
	ds_load_b128 v[42:45], v1 offset:992
	ds_load_b128 v[38:41], v1 offset:1008
	s_clause 0x1
	scratch_load_b128 v[159:162], off, off offset:96
	scratch_load_b128 v[163:166], off, off offset:256
	s_mov_b32 s0, exec_lo
	s_wait_loadcnt_dscnt 0xa01
	v_mul_f64_e32 v[167:168], v[44:45], v[4:5]
	v_mul_f64_e32 v[4:5], v[42:43], v[4:5]
	s_wait_loadcnt_dscnt 0x900
	v_mul_f64_e32 v[171:172], v[38:39], v[8:9]
	v_mul_f64_e32 v[8:9], v[40:41], v[8:9]
	s_delay_alu instid0(VALU_DEP_4) | instskip(NEXT) | instid1(VALU_DEP_4)
	v_fma_f64 v[173:174], v[42:43], v[2:3], -v[167:168]
	v_fma_f64 v[175:176], v[44:45], v[2:3], v[4:5]
	ds_load_b128 v[2:5], v1 offset:1024
	ds_load_b128 v[167:170], v1 offset:1040
	scratch_load_b128 v[42:45], off, off offset:272
	v_fma_f64 v[40:41], v[40:41], v[6:7], v[171:172]
	v_fma_f64 v[38:39], v[38:39], v[6:7], -v[8:9]
	scratch_load_b128 v[6:9], off, off offset:288
	s_wait_loadcnt_dscnt 0xa01
	v_mul_f64_e32 v[177:178], v[2:3], v[12:13]
	v_mul_f64_e32 v[12:13], v[4:5], v[12:13]
	v_add_f64_e32 v[171:172], 0, v[173:174]
	v_add_f64_e32 v[173:174], 0, v[175:176]
	s_wait_loadcnt_dscnt 0x900
	v_mul_f64_e32 v[175:176], v[167:168], v[16:17]
	v_mul_f64_e32 v[16:17], v[169:170], v[16:17]
	v_fma_f64 v[177:178], v[4:5], v[10:11], v[177:178]
	v_fma_f64 v[179:180], v[2:3], v[10:11], -v[12:13]
	ds_load_b128 v[2:5], v1 offset:1056
	scratch_load_b128 v[10:13], off, off offset:304
	v_add_f64_e32 v[171:172], v[171:172], v[38:39]
	v_add_f64_e32 v[173:174], v[173:174], v[40:41]
	ds_load_b128 v[38:41], v1 offset:1072
	v_fma_f64 v[169:170], v[169:170], v[14:15], v[175:176]
	v_fma_f64 v[167:168], v[167:168], v[14:15], -v[16:17]
	scratch_load_b128 v[14:17], off, off offset:320
	s_wait_loadcnt_dscnt 0xa01
	v_mul_f64_e32 v[181:182], v[2:3], v[20:21]
	v_mul_f64_e32 v[20:21], v[4:5], v[20:21]
	s_wait_loadcnt_dscnt 0x900
	v_mul_f64_e32 v[175:176], v[38:39], v[24:25]
	v_mul_f64_e32 v[24:25], v[40:41], v[24:25]
	v_add_f64_e32 v[171:172], v[171:172], v[179:180]
	v_add_f64_e32 v[173:174], v[173:174], v[177:178]
	v_fma_f64 v[177:178], v[4:5], v[18:19], v[181:182]
	v_fma_f64 v[179:180], v[2:3], v[18:19], -v[20:21]
	ds_load_b128 v[2:5], v1 offset:1088
	scratch_load_b128 v[18:21], off, off offset:336
	v_fma_f64 v[40:41], v[40:41], v[22:23], v[175:176]
	v_fma_f64 v[38:39], v[38:39], v[22:23], -v[24:25]
	scratch_load_b128 v[22:25], off, off offset:352
	v_add_f64_e32 v[171:172], v[171:172], v[167:168]
	v_add_f64_e32 v[173:174], v[173:174], v[169:170]
	ds_load_b128 v[167:170], v1 offset:1104
	s_wait_loadcnt_dscnt 0xa01
	v_mul_f64_e32 v[181:182], v[2:3], v[28:29]
	v_mul_f64_e32 v[28:29], v[4:5], v[28:29]
	s_wait_loadcnt_dscnt 0x900
	v_mul_f64_e32 v[175:176], v[167:168], v[32:33]
	v_mul_f64_e32 v[32:33], v[169:170], v[32:33]
	v_add_f64_e32 v[171:172], v[171:172], v[179:180]
	v_add_f64_e32 v[173:174], v[173:174], v[177:178]
	v_fma_f64 v[177:178], v[4:5], v[26:27], v[181:182]
	v_fma_f64 v[179:180], v[2:3], v[26:27], -v[28:29]
	ds_load_b128 v[2:5], v1 offset:1120
	scratch_load_b128 v[26:29], off, off offset:368
	v_fma_f64 v[169:170], v[169:170], v[30:31], v[175:176]
	v_fma_f64 v[167:168], v[167:168], v[30:31], -v[32:33]
	scratch_load_b128 v[30:33], off, off offset:384
	v_add_f64_e32 v[171:172], v[171:172], v[38:39]
	v_add_f64_e32 v[173:174], v[173:174], v[40:41]
	ds_load_b128 v[38:41], v1 offset:1136
	s_wait_loadcnt_dscnt 0xa01
	v_mul_f64_e32 v[181:182], v[2:3], v[36:37]
	v_mul_f64_e32 v[36:37], v[4:5], v[36:37]
	s_wait_loadcnt_dscnt 0x800
	v_mul_f64_e32 v[175:176], v[38:39], v[165:166]
	v_add_f64_e32 v[171:172], v[171:172], v[179:180]
	v_add_f64_e32 v[173:174], v[173:174], v[177:178]
	v_mul_f64_e32 v[177:178], v[40:41], v[165:166]
	v_fma_f64 v[179:180], v[4:5], v[34:35], v[181:182]
	v_fma_f64 v[181:182], v[2:3], v[34:35], -v[36:37]
	ds_load_b128 v[2:5], v1 offset:1152
	scratch_load_b128 v[34:37], off, off offset:400
	v_fma_f64 v[175:176], v[40:41], v[163:164], v[175:176]
	v_add_f64_e32 v[171:172], v[171:172], v[167:168]
	v_add_f64_e32 v[169:170], v[173:174], v[169:170]
	ds_load_b128 v[165:168], v1 offset:1168
	v_fma_f64 v[163:164], v[38:39], v[163:164], -v[177:178]
	scratch_load_b128 v[38:41], off, off offset:416
	s_wait_loadcnt_dscnt 0x901
	v_mul_f64_e32 v[173:174], v[2:3], v[44:45]
	v_mul_f64_e32 v[44:45], v[4:5], v[44:45]
	s_wait_loadcnt_dscnt 0x800
	v_mul_f64_e32 v[177:178], v[165:166], v[8:9]
	v_mul_f64_e32 v[8:9], v[167:168], v[8:9]
	v_add_f64_e32 v[171:172], v[171:172], v[181:182]
	v_add_f64_e32 v[169:170], v[169:170], v[179:180]
	v_fma_f64 v[173:174], v[4:5], v[42:43], v[173:174]
	v_fma_f64 v[179:180], v[2:3], v[42:43], -v[44:45]
	ds_load_b128 v[2:5], v1 offset:1184
	scratch_load_b128 v[42:45], off, off offset:432
	v_fma_f64 v[167:168], v[167:168], v[6:7], v[177:178]
	v_fma_f64 v[165:166], v[165:166], v[6:7], -v[8:9]
	scratch_load_b128 v[6:9], off, off offset:448
	v_add_f64_e32 v[163:164], v[171:172], v[163:164]
	v_add_f64_e32 v[175:176], v[169:170], v[175:176]
	ds_load_b128 v[169:172], v1 offset:1200
	s_wait_loadcnt_dscnt 0x901
	v_mul_f64_e32 v[181:182], v[2:3], v[12:13]
	v_mul_f64_e32 v[12:13], v[4:5], v[12:13]
	v_add_f64_e32 v[163:164], v[163:164], v[179:180]
	v_add_f64_e32 v[173:174], v[175:176], v[173:174]
	s_wait_loadcnt_dscnt 0x800
	v_mul_f64_e32 v[175:176], v[169:170], v[16:17]
	v_mul_f64_e32 v[16:17], v[171:172], v[16:17]
	v_fma_f64 v[177:178], v[4:5], v[10:11], v[181:182]
	v_fma_f64 v[179:180], v[2:3], v[10:11], -v[12:13]
	ds_load_b128 v[2:5], v1 offset:1216
	scratch_load_b128 v[10:13], off, off offset:464
	v_add_f64_e32 v[181:182], v[163:164], v[165:166]
	v_add_f64_e32 v[167:168], v[173:174], v[167:168]
	ds_load_b128 v[163:166], v1 offset:1232
	s_wait_loadcnt_dscnt 0x801
	v_mul_f64_e32 v[173:174], v[2:3], v[20:21]
	v_mul_f64_e32 v[20:21], v[4:5], v[20:21]
	v_fma_f64 v[171:172], v[171:172], v[14:15], v[175:176]
	v_fma_f64 v[169:170], v[169:170], v[14:15], -v[16:17]
	scratch_load_b128 v[14:17], off, off offset:480
	v_add_f64_e32 v[175:176], v[181:182], v[179:180]
	v_add_f64_e32 v[167:168], v[167:168], v[177:178]
	s_wait_loadcnt_dscnt 0x800
	v_mul_f64_e32 v[177:178], v[163:164], v[24:25]
	v_mul_f64_e32 v[24:25], v[165:166], v[24:25]
	v_fma_f64 v[173:174], v[4:5], v[18:19], v[173:174]
	v_fma_f64 v[179:180], v[2:3], v[18:19], -v[20:21]
	ds_load_b128 v[2:5], v1 offset:1248
	scratch_load_b128 v[18:21], off, off offset:496
	v_add_f64_e32 v[175:176], v[175:176], v[169:170]
	v_add_f64_e32 v[171:172], v[167:168], v[171:172]
	ds_load_b128 v[167:170], v1 offset:1264
	s_wait_loadcnt_dscnt 0x801
	v_mul_f64_e32 v[181:182], v[2:3], v[28:29]
	v_mul_f64_e32 v[28:29], v[4:5], v[28:29]
	v_fma_f64 v[165:166], v[165:166], v[22:23], v[177:178]
	v_fma_f64 v[163:164], v[163:164], v[22:23], -v[24:25]
	scratch_load_b128 v[22:25], off, off offset:512
	v_add_f64_e32 v[175:176], v[175:176], v[179:180]
	v_add_f64_e32 v[171:172], v[171:172], v[173:174]
	s_wait_loadcnt_dscnt 0x800
	v_mul_f64_e32 v[173:174], v[167:168], v[32:33]
	v_mul_f64_e32 v[32:33], v[169:170], v[32:33]
	v_fma_f64 v[177:178], v[4:5], v[26:27], v[181:182]
	v_fma_f64 v[179:180], v[2:3], v[26:27], -v[28:29]
	ds_load_b128 v[2:5], v1 offset:1280
	scratch_load_b128 v[26:29], off, off offset:528
	v_add_f64_e32 v[175:176], v[175:176], v[163:164]
	v_add_f64_e32 v[171:172], v[171:172], v[165:166]
	ds_load_b128 v[163:166], v1 offset:1296
	s_wait_loadcnt_dscnt 0x801
	v_mul_f64_e32 v[181:182], v[2:3], v[36:37]
	v_mul_f64_e32 v[36:37], v[4:5], v[36:37]
	v_fma_f64 v[169:170], v[169:170], v[30:31], v[173:174]
	v_fma_f64 v[167:168], v[167:168], v[30:31], -v[32:33]
	scratch_load_b128 v[30:33], off, off offset:544
	v_add_f64_e32 v[173:174], v[175:176], v[179:180]
	v_add_f64_e32 v[171:172], v[171:172], v[177:178]
	s_wait_loadcnt_dscnt 0x800
	v_mul_f64_e32 v[175:176], v[163:164], v[40:41]
	v_mul_f64_e32 v[40:41], v[165:166], v[40:41]
	v_fma_f64 v[177:178], v[4:5], v[34:35], v[181:182]
	v_fma_f64 v[179:180], v[2:3], v[34:35], -v[36:37]
	ds_load_b128 v[2:5], v1 offset:1312
	scratch_load_b128 v[34:37], off, off offset:560
	v_add_f64_e32 v[173:174], v[173:174], v[167:168]
	v_add_f64_e32 v[171:172], v[171:172], v[169:170]
	ds_load_b128 v[167:170], v1 offset:1328
	s_wait_loadcnt_dscnt 0x801
	v_mul_f64_e32 v[181:182], v[2:3], v[44:45]
	v_mul_f64_e32 v[44:45], v[4:5], v[44:45]
	v_fma_f64 v[165:166], v[165:166], v[38:39], v[175:176]
	v_fma_f64 v[163:164], v[163:164], v[38:39], -v[40:41]
	scratch_load_b128 v[38:41], off, off offset:576
	s_wait_loadcnt_dscnt 0x800
	v_mul_f64_e32 v[175:176], v[167:168], v[8:9]
	v_mul_f64_e32 v[8:9], v[169:170], v[8:9]
	v_add_f64_e32 v[173:174], v[173:174], v[179:180]
	v_add_f64_e32 v[171:172], v[171:172], v[177:178]
	v_fma_f64 v[177:178], v[4:5], v[42:43], v[181:182]
	v_fma_f64 v[179:180], v[2:3], v[42:43], -v[44:45]
	ds_load_b128 v[2:5], v1 offset:1344
	scratch_load_b128 v[42:45], off, off offset:592
	v_fma_f64 v[169:170], v[169:170], v[6:7], v[175:176]
	v_fma_f64 v[167:168], v[167:168], v[6:7], -v[8:9]
	scratch_load_b128 v[6:9], off, off offset:608
	v_add_f64_e32 v[173:174], v[173:174], v[163:164]
	v_add_f64_e32 v[171:172], v[171:172], v[165:166]
	ds_load_b128 v[163:166], v1 offset:1360
	s_wait_loadcnt_dscnt 0x901
	v_mul_f64_e32 v[181:182], v[2:3], v[12:13]
	v_mul_f64_e32 v[12:13], v[4:5], v[12:13]
	s_wait_loadcnt_dscnt 0x800
	v_mul_f64_e32 v[175:176], v[163:164], v[16:17]
	v_mul_f64_e32 v[16:17], v[165:166], v[16:17]
	v_add_f64_e32 v[173:174], v[173:174], v[179:180]
	v_add_f64_e32 v[171:172], v[171:172], v[177:178]
	v_fma_f64 v[177:178], v[4:5], v[10:11], v[181:182]
	v_fma_f64 v[179:180], v[2:3], v[10:11], -v[12:13]
	ds_load_b128 v[2:5], v1 offset:1376
	scratch_load_b128 v[10:13], off, off offset:624
	v_fma_f64 v[165:166], v[165:166], v[14:15], v[175:176]
	v_fma_f64 v[163:164], v[163:164], v[14:15], -v[16:17]
	scratch_load_b128 v[14:17], off, off offset:640
	v_add_f64_e32 v[173:174], v[173:174], v[167:168]
	v_add_f64_e32 v[171:172], v[171:172], v[169:170]
	ds_load_b128 v[167:170], v1 offset:1392
	s_wait_loadcnt_dscnt 0x901
	v_mul_f64_e32 v[181:182], v[2:3], v[20:21]
	v_mul_f64_e32 v[20:21], v[4:5], v[20:21]
	;; [unrolled: 18-line block ×10, first 2 shown]
	s_wait_loadcnt_dscnt 0x800
	v_mul_f64_e32 v[175:176], v[167:168], v[8:9]
	v_mul_f64_e32 v[8:9], v[169:170], v[8:9]
	v_add_f64_e32 v[173:174], v[173:174], v[179:180]
	v_add_f64_e32 v[171:172], v[171:172], v[177:178]
	v_fma_f64 v[177:178], v[4:5], v[42:43], v[181:182]
	v_fma_f64 v[179:180], v[2:3], v[42:43], -v[44:45]
	ds_load_b128 v[2:5], v1 offset:1664
	ds_load_b128 v[42:45], v1 offset:1680
	v_fma_f64 v[169:170], v[169:170], v[6:7], v[175:176]
	v_fma_f64 v[6:7], v[167:168], v[6:7], -v[8:9]
	v_add_f64_e32 v[163:164], v[173:174], v[163:164]
	v_add_f64_e32 v[165:166], v[171:172], v[165:166]
	s_wait_loadcnt_dscnt 0x701
	v_mul_f64_e32 v[171:172], v[2:3], v[12:13]
	v_mul_f64_e32 v[12:13], v[4:5], v[12:13]
	s_delay_alu instid0(VALU_DEP_4) | instskip(NEXT) | instid1(VALU_DEP_4)
	v_add_f64_e32 v[8:9], v[163:164], v[179:180]
	v_add_f64_e32 v[163:164], v[165:166], v[177:178]
	s_wait_loadcnt_dscnt 0x600
	v_mul_f64_e32 v[165:166], v[42:43], v[16:17]
	v_mul_f64_e32 v[16:17], v[44:45], v[16:17]
	v_fma_f64 v[167:168], v[4:5], v[10:11], v[171:172]
	v_fma_f64 v[10:11], v[2:3], v[10:11], -v[12:13]
	v_add_f64_e32 v[12:13], v[8:9], v[6:7]
	v_add_f64_e32 v[163:164], v[163:164], v[169:170]
	ds_load_b128 v[2:5], v1 offset:1696
	ds_load_b128 v[6:9], v1 offset:1712
	v_fma_f64 v[44:45], v[44:45], v[14:15], v[165:166]
	v_fma_f64 v[14:15], v[42:43], v[14:15], -v[16:17]
	s_wait_loadcnt_dscnt 0x501
	v_mul_f64_e32 v[169:170], v[2:3], v[20:21]
	v_mul_f64_e32 v[20:21], v[4:5], v[20:21]
	s_wait_loadcnt_dscnt 0x400
	v_mul_f64_e32 v[16:17], v[6:7], v[24:25]
	v_mul_f64_e32 v[24:25], v[8:9], v[24:25]
	v_add_f64_e32 v[10:11], v[12:13], v[10:11]
	v_add_f64_e32 v[12:13], v[163:164], v[167:168]
	v_fma_f64 v[42:43], v[4:5], v[18:19], v[169:170]
	v_fma_f64 v[18:19], v[2:3], v[18:19], -v[20:21]
	v_fma_f64 v[8:9], v[8:9], v[22:23], v[16:17]
	v_fma_f64 v[6:7], v[6:7], v[22:23], -v[24:25]
	v_add_f64_e32 v[14:15], v[10:11], v[14:15]
	v_add_f64_e32 v[20:21], v[12:13], v[44:45]
	ds_load_b128 v[2:5], v1 offset:1728
	ds_load_b128 v[10:13], v1 offset:1744
	s_wait_loadcnt_dscnt 0x301
	v_mul_f64_e32 v[44:45], v[2:3], v[28:29]
	v_mul_f64_e32 v[28:29], v[4:5], v[28:29]
	v_add_f64_e32 v[14:15], v[14:15], v[18:19]
	v_add_f64_e32 v[16:17], v[20:21], v[42:43]
	s_wait_loadcnt_dscnt 0x200
	v_mul_f64_e32 v[18:19], v[10:11], v[32:33]
	v_mul_f64_e32 v[20:21], v[12:13], v[32:33]
	v_fma_f64 v[22:23], v[4:5], v[26:27], v[44:45]
	v_fma_f64 v[24:25], v[2:3], v[26:27], -v[28:29]
	v_add_f64_e32 v[14:15], v[14:15], v[6:7]
	v_add_f64_e32 v[16:17], v[16:17], v[8:9]
	ds_load_b128 v[2:5], v1 offset:1760
	ds_load_b128 v[6:9], v1 offset:1776
	v_fma_f64 v[12:13], v[12:13], v[30:31], v[18:19]
	v_fma_f64 v[10:11], v[10:11], v[30:31], -v[20:21]
	s_wait_loadcnt_dscnt 0x101
	v_mul_f64_e32 v[26:27], v[2:3], v[36:37]
	v_mul_f64_e32 v[28:29], v[4:5], v[36:37]
	s_wait_loadcnt_dscnt 0x0
	v_mul_f64_e32 v[18:19], v[6:7], v[40:41]
	v_mul_f64_e32 v[20:21], v[8:9], v[40:41]
	v_add_f64_e32 v[14:15], v[14:15], v[24:25]
	v_add_f64_e32 v[16:17], v[16:17], v[22:23]
	v_fma_f64 v[4:5], v[4:5], v[34:35], v[26:27]
	v_fma_f64 v[1:2], v[2:3], v[34:35], -v[28:29]
	v_fma_f64 v[8:9], v[8:9], v[38:39], v[18:19]
	v_fma_f64 v[6:7], v[6:7], v[38:39], -v[20:21]
	v_add_f64_e32 v[10:11], v[14:15], v[10:11]
	v_add_f64_e32 v[12:13], v[16:17], v[12:13]
	s_delay_alu instid0(VALU_DEP_2) | instskip(NEXT) | instid1(VALU_DEP_2)
	v_add_f64_e32 v[1:2], v[10:11], v[1:2]
	v_add_f64_e32 v[3:4], v[12:13], v[4:5]
	s_delay_alu instid0(VALU_DEP_2) | instskip(NEXT) | instid1(VALU_DEP_2)
	;; [unrolled: 3-line block ×3, first 2 shown]
	v_add_f64_e64 v[1:2], v[159:160], -v[1:2]
	v_add_f64_e64 v[3:4], v[161:162], -v[3:4]
	scratch_store_b128 off, v[1:4], off offset:96
	v_cmpx_lt_u32_e32 4, v0
	s_cbranch_execz .LBB119_341
; %bb.340:
	scratch_load_b128 v[1:4], off, s4
	v_mov_b32_e32 v5, 0
	s_delay_alu instid0(VALU_DEP_1)
	v_dual_mov_b32 v6, v5 :: v_dual_mov_b32 v7, v5
	v_mov_b32_e32 v8, v5
	scratch_store_b128 off, v[5:8], off offset:80
	s_wait_loadcnt 0x0
	ds_store_b128 v158, v[1:4]
.LBB119_341:
	s_wait_alu 0xfffe
	s_or_b32 exec_lo, exec_lo, s0
	s_wait_storecnt_dscnt 0x0
	s_barrier_signal -1
	s_barrier_wait -1
	global_inv scope:SCOPE_SE
	s_clause 0x7
	scratch_load_b128 v[2:5], off, off offset:96
	scratch_load_b128 v[6:9], off, off offset:112
	;; [unrolled: 1-line block ×8, first 2 shown]
	v_mov_b32_e32 v1, 0
	s_mov_b32 s0, exec_lo
	ds_load_b128 v[38:41], v1 offset:976
	s_clause 0x1
	scratch_load_b128 v[34:37], off, off offset:224
	scratch_load_b128 v[42:45], off, off offset:80
	ds_load_b128 v[159:162], v1 offset:992
	scratch_load_b128 v[163:166], off, off offset:240
	s_wait_loadcnt_dscnt 0xa01
	v_mul_f64_e32 v[167:168], v[40:41], v[4:5]
	v_mul_f64_e32 v[4:5], v[38:39], v[4:5]
	s_delay_alu instid0(VALU_DEP_2) | instskip(NEXT) | instid1(VALU_DEP_2)
	v_fma_f64 v[173:174], v[38:39], v[2:3], -v[167:168]
	v_fma_f64 v[175:176], v[40:41], v[2:3], v[4:5]
	ds_load_b128 v[2:5], v1 offset:1008
	s_wait_loadcnt_dscnt 0x901
	v_mul_f64_e32 v[171:172], v[159:160], v[8:9]
	v_mul_f64_e32 v[8:9], v[161:162], v[8:9]
	scratch_load_b128 v[38:41], off, off offset:256
	ds_load_b128 v[167:170], v1 offset:1024
	s_wait_loadcnt_dscnt 0x901
	v_mul_f64_e32 v[177:178], v[2:3], v[12:13]
	v_mul_f64_e32 v[12:13], v[4:5], v[12:13]
	v_fma_f64 v[161:162], v[161:162], v[6:7], v[171:172]
	v_fma_f64 v[159:160], v[159:160], v[6:7], -v[8:9]
	v_add_f64_e32 v[171:172], 0, v[173:174]
	v_add_f64_e32 v[173:174], 0, v[175:176]
	scratch_load_b128 v[6:9], off, off offset:272
	v_fma_f64 v[177:178], v[4:5], v[10:11], v[177:178]
	v_fma_f64 v[179:180], v[2:3], v[10:11], -v[12:13]
	ds_load_b128 v[2:5], v1 offset:1040
	s_wait_loadcnt_dscnt 0x901
	v_mul_f64_e32 v[175:176], v[167:168], v[16:17]
	v_mul_f64_e32 v[16:17], v[169:170], v[16:17]
	scratch_load_b128 v[10:13], off, off offset:288
	v_add_f64_e32 v[171:172], v[171:172], v[159:160]
	v_add_f64_e32 v[173:174], v[173:174], v[161:162]
	s_wait_loadcnt_dscnt 0x900
	v_mul_f64_e32 v[181:182], v[2:3], v[20:21]
	v_mul_f64_e32 v[20:21], v[4:5], v[20:21]
	ds_load_b128 v[159:162], v1 offset:1056
	v_fma_f64 v[169:170], v[169:170], v[14:15], v[175:176]
	v_fma_f64 v[167:168], v[167:168], v[14:15], -v[16:17]
	scratch_load_b128 v[14:17], off, off offset:304
	v_add_f64_e32 v[171:172], v[171:172], v[179:180]
	v_add_f64_e32 v[173:174], v[173:174], v[177:178]
	v_fma_f64 v[177:178], v[4:5], v[18:19], v[181:182]
	v_fma_f64 v[179:180], v[2:3], v[18:19], -v[20:21]
	ds_load_b128 v[2:5], v1 offset:1072
	s_wait_loadcnt_dscnt 0x901
	v_mul_f64_e32 v[175:176], v[159:160], v[24:25]
	v_mul_f64_e32 v[24:25], v[161:162], v[24:25]
	scratch_load_b128 v[18:21], off, off offset:320
	s_wait_loadcnt_dscnt 0x900
	v_mul_f64_e32 v[181:182], v[2:3], v[28:29]
	v_mul_f64_e32 v[28:29], v[4:5], v[28:29]
	v_add_f64_e32 v[171:172], v[171:172], v[167:168]
	v_add_f64_e32 v[173:174], v[173:174], v[169:170]
	ds_load_b128 v[167:170], v1 offset:1088
	v_fma_f64 v[161:162], v[161:162], v[22:23], v[175:176]
	v_fma_f64 v[159:160], v[159:160], v[22:23], -v[24:25]
	scratch_load_b128 v[22:25], off, off offset:336
	v_add_f64_e32 v[171:172], v[171:172], v[179:180]
	v_add_f64_e32 v[173:174], v[173:174], v[177:178]
	v_fma_f64 v[177:178], v[4:5], v[26:27], v[181:182]
	v_fma_f64 v[179:180], v[2:3], v[26:27], -v[28:29]
	ds_load_b128 v[2:5], v1 offset:1104
	s_wait_loadcnt_dscnt 0x901
	v_mul_f64_e32 v[175:176], v[167:168], v[32:33]
	v_mul_f64_e32 v[32:33], v[169:170], v[32:33]
	scratch_load_b128 v[26:29], off, off offset:352
	s_wait_loadcnt_dscnt 0x900
	v_mul_f64_e32 v[181:182], v[2:3], v[36:37]
	v_mul_f64_e32 v[36:37], v[4:5], v[36:37]
	v_add_f64_e32 v[171:172], v[171:172], v[159:160]
	v_add_f64_e32 v[173:174], v[173:174], v[161:162]
	ds_load_b128 v[159:162], v1 offset:1120
	v_fma_f64 v[169:170], v[169:170], v[30:31], v[175:176]
	v_fma_f64 v[167:168], v[167:168], v[30:31], -v[32:33]
	scratch_load_b128 v[30:33], off, off offset:368
	v_add_f64_e32 v[171:172], v[171:172], v[179:180]
	v_add_f64_e32 v[173:174], v[173:174], v[177:178]
	v_fma_f64 v[179:180], v[4:5], v[34:35], v[181:182]
	v_fma_f64 v[181:182], v[2:3], v[34:35], -v[36:37]
	ds_load_b128 v[2:5], v1 offset:1136
	s_wait_loadcnt_dscnt 0x801
	v_mul_f64_e32 v[175:176], v[159:160], v[165:166]
	v_mul_f64_e32 v[177:178], v[161:162], v[165:166]
	scratch_load_b128 v[34:37], off, off offset:384
	v_add_f64_e32 v[171:172], v[171:172], v[167:168]
	v_add_f64_e32 v[169:170], v[173:174], v[169:170]
	ds_load_b128 v[165:168], v1 offset:1152
	v_fma_f64 v[175:176], v[161:162], v[163:164], v[175:176]
	v_fma_f64 v[163:164], v[159:160], v[163:164], -v[177:178]
	scratch_load_b128 v[159:162], off, off offset:400
	s_wait_loadcnt_dscnt 0x901
	v_mul_f64_e32 v[173:174], v[2:3], v[40:41]
	v_mul_f64_e32 v[40:41], v[4:5], v[40:41]
	v_add_f64_e32 v[171:172], v[171:172], v[181:182]
	v_add_f64_e32 v[169:170], v[169:170], v[179:180]
	s_delay_alu instid0(VALU_DEP_4) | instskip(NEXT) | instid1(VALU_DEP_4)
	v_fma_f64 v[173:174], v[4:5], v[38:39], v[173:174]
	v_fma_f64 v[179:180], v[2:3], v[38:39], -v[40:41]
	ds_load_b128 v[2:5], v1 offset:1168
	s_wait_loadcnt_dscnt 0x801
	v_mul_f64_e32 v[177:178], v[165:166], v[8:9]
	v_mul_f64_e32 v[8:9], v[167:168], v[8:9]
	scratch_load_b128 v[38:41], off, off offset:416
	s_wait_loadcnt_dscnt 0x800
	v_mul_f64_e32 v[181:182], v[2:3], v[12:13]
	v_add_f64_e32 v[163:164], v[171:172], v[163:164]
	v_add_f64_e32 v[175:176], v[169:170], v[175:176]
	v_mul_f64_e32 v[12:13], v[4:5], v[12:13]
	ds_load_b128 v[169:172], v1 offset:1184
	v_fma_f64 v[167:168], v[167:168], v[6:7], v[177:178]
	v_fma_f64 v[165:166], v[165:166], v[6:7], -v[8:9]
	scratch_load_b128 v[6:9], off, off offset:432
	v_fma_f64 v[177:178], v[4:5], v[10:11], v[181:182]
	v_add_f64_e32 v[163:164], v[163:164], v[179:180]
	v_add_f64_e32 v[173:174], v[175:176], v[173:174]
	v_fma_f64 v[179:180], v[2:3], v[10:11], -v[12:13]
	ds_load_b128 v[2:5], v1 offset:1200
	s_wait_loadcnt_dscnt 0x801
	v_mul_f64_e32 v[175:176], v[169:170], v[16:17]
	v_mul_f64_e32 v[16:17], v[171:172], v[16:17]
	scratch_load_b128 v[10:13], off, off offset:448
	v_add_f64_e32 v[181:182], v[163:164], v[165:166]
	v_add_f64_e32 v[167:168], v[173:174], v[167:168]
	s_wait_loadcnt_dscnt 0x800
	v_mul_f64_e32 v[173:174], v[2:3], v[20:21]
	v_mul_f64_e32 v[20:21], v[4:5], v[20:21]
	v_fma_f64 v[171:172], v[171:172], v[14:15], v[175:176]
	v_fma_f64 v[169:170], v[169:170], v[14:15], -v[16:17]
	ds_load_b128 v[163:166], v1 offset:1216
	scratch_load_b128 v[14:17], off, off offset:464
	v_add_f64_e32 v[175:176], v[181:182], v[179:180]
	v_add_f64_e32 v[167:168], v[167:168], v[177:178]
	v_fma_f64 v[173:174], v[4:5], v[18:19], v[173:174]
	v_fma_f64 v[179:180], v[2:3], v[18:19], -v[20:21]
	ds_load_b128 v[2:5], v1 offset:1232
	s_wait_loadcnt_dscnt 0x801
	v_mul_f64_e32 v[177:178], v[163:164], v[24:25]
	v_mul_f64_e32 v[24:25], v[165:166], v[24:25]
	scratch_load_b128 v[18:21], off, off offset:480
	s_wait_loadcnt_dscnt 0x800
	v_mul_f64_e32 v[181:182], v[2:3], v[28:29]
	v_mul_f64_e32 v[28:29], v[4:5], v[28:29]
	v_add_f64_e32 v[175:176], v[175:176], v[169:170]
	v_add_f64_e32 v[171:172], v[167:168], v[171:172]
	ds_load_b128 v[167:170], v1 offset:1248
	v_fma_f64 v[165:166], v[165:166], v[22:23], v[177:178]
	v_fma_f64 v[163:164], v[163:164], v[22:23], -v[24:25]
	scratch_load_b128 v[22:25], off, off offset:496
	v_fma_f64 v[177:178], v[4:5], v[26:27], v[181:182]
	v_add_f64_e32 v[175:176], v[175:176], v[179:180]
	v_add_f64_e32 v[171:172], v[171:172], v[173:174]
	v_fma_f64 v[179:180], v[2:3], v[26:27], -v[28:29]
	ds_load_b128 v[2:5], v1 offset:1264
	s_wait_loadcnt_dscnt 0x801
	v_mul_f64_e32 v[173:174], v[167:168], v[32:33]
	v_mul_f64_e32 v[32:33], v[169:170], v[32:33]
	scratch_load_b128 v[26:29], off, off offset:512
	s_wait_loadcnt_dscnt 0x800
	v_mul_f64_e32 v[181:182], v[2:3], v[36:37]
	v_mul_f64_e32 v[36:37], v[4:5], v[36:37]
	v_add_f64_e32 v[175:176], v[175:176], v[163:164]
	v_add_f64_e32 v[171:172], v[171:172], v[165:166]
	ds_load_b128 v[163:166], v1 offset:1280
	v_fma_f64 v[169:170], v[169:170], v[30:31], v[173:174]
	v_fma_f64 v[167:168], v[167:168], v[30:31], -v[32:33]
	scratch_load_b128 v[30:33], off, off offset:528
	v_add_f64_e32 v[173:174], v[175:176], v[179:180]
	v_add_f64_e32 v[171:172], v[171:172], v[177:178]
	v_fma_f64 v[177:178], v[4:5], v[34:35], v[181:182]
	v_fma_f64 v[179:180], v[2:3], v[34:35], -v[36:37]
	ds_load_b128 v[2:5], v1 offset:1296
	s_wait_loadcnt_dscnt 0x801
	v_mul_f64_e32 v[175:176], v[163:164], v[161:162]
	v_mul_f64_e32 v[161:162], v[165:166], v[161:162]
	scratch_load_b128 v[34:37], off, off offset:544
	s_wait_loadcnt_dscnt 0x800
	v_mul_f64_e32 v[181:182], v[2:3], v[40:41]
	v_mul_f64_e32 v[40:41], v[4:5], v[40:41]
	v_add_f64_e32 v[173:174], v[173:174], v[167:168]
	v_add_f64_e32 v[171:172], v[171:172], v[169:170]
	ds_load_b128 v[167:170], v1 offset:1312
	v_fma_f64 v[165:166], v[165:166], v[159:160], v[175:176]
	v_fma_f64 v[163:164], v[163:164], v[159:160], -v[161:162]
	scratch_load_b128 v[159:162], off, off offset:560
	v_add_f64_e32 v[173:174], v[173:174], v[179:180]
	v_add_f64_e32 v[171:172], v[171:172], v[177:178]
	v_fma_f64 v[177:178], v[4:5], v[38:39], v[181:182]
	;; [unrolled: 18-line block ×6, first 2 shown]
	v_fma_f64 v[181:182], v[2:3], v[34:35], -v[36:37]
	ds_load_b128 v[2:5], v1 offset:1456
	s_wait_loadcnt_dscnt 0x801
	v_mul_f64_e32 v[175:176], v[167:168], v[161:162]
	v_mul_f64_e32 v[177:178], v[169:170], v[161:162]
	scratch_load_b128 v[34:37], off, off offset:704
	v_add_f64_e32 v[173:174], v[173:174], v[163:164]
	v_add_f64_e32 v[165:166], v[171:172], v[165:166]
	s_wait_loadcnt_dscnt 0x800
	v_mul_f64_e32 v[171:172], v[2:3], v[40:41]
	v_mul_f64_e32 v[40:41], v[4:5], v[40:41]
	ds_load_b128 v[161:164], v1 offset:1472
	v_fma_f64 v[169:170], v[169:170], v[159:160], v[175:176]
	v_fma_f64 v[159:160], v[167:168], v[159:160], -v[177:178]
	v_add_f64_e32 v[173:174], v[173:174], v[181:182]
	v_add_f64_e32 v[175:176], v[165:166], v[179:180]
	scratch_load_b128 v[165:168], off, off offset:720
	v_fma_f64 v[179:180], v[4:5], v[38:39], v[171:172]
	v_fma_f64 v[181:182], v[2:3], v[38:39], -v[40:41]
	ds_load_b128 v[2:5], v1 offset:1488
	s_wait_loadcnt_dscnt 0x801
	v_mul_f64_e32 v[177:178], v[161:162], v[8:9]
	v_mul_f64_e32 v[8:9], v[163:164], v[8:9]
	scratch_load_b128 v[38:41], off, off offset:736
	v_add_f64_e32 v[159:160], v[173:174], v[159:160]
	v_add_f64_e32 v[173:174], v[175:176], v[169:170]
	s_wait_loadcnt_dscnt 0x800
	v_mul_f64_e32 v[175:176], v[2:3], v[12:13]
	v_mul_f64_e32 v[12:13], v[4:5], v[12:13]
	ds_load_b128 v[169:172], v1 offset:1504
	v_fma_f64 v[163:164], v[163:164], v[6:7], v[177:178]
	v_fma_f64 v[161:162], v[161:162], v[6:7], -v[8:9]
	scratch_load_b128 v[6:9], off, off offset:752
	v_add_f64_e32 v[159:160], v[159:160], v[181:182]
	v_add_f64_e32 v[173:174], v[173:174], v[179:180]
	v_fma_f64 v[175:176], v[4:5], v[10:11], v[175:176]
	v_fma_f64 v[179:180], v[2:3], v[10:11], -v[12:13]
	ds_load_b128 v[2:5], v1 offset:1520
	s_wait_loadcnt_dscnt 0x801
	v_mul_f64_e32 v[177:178], v[169:170], v[16:17]
	v_mul_f64_e32 v[16:17], v[171:172], v[16:17]
	scratch_load_b128 v[10:13], off, off offset:768
	v_add_f64_e32 v[181:182], v[159:160], v[161:162]
	v_add_f64_e32 v[163:164], v[173:174], v[163:164]
	s_wait_loadcnt_dscnt 0x800
	v_mul_f64_e32 v[173:174], v[2:3], v[20:21]
	v_mul_f64_e32 v[20:21], v[4:5], v[20:21]
	ds_load_b128 v[159:162], v1 offset:1536
	v_fma_f64 v[171:172], v[171:172], v[14:15], v[177:178]
	v_fma_f64 v[169:170], v[169:170], v[14:15], -v[16:17]
	scratch_load_b128 v[14:17], off, off offset:784
	v_add_f64_e32 v[177:178], v[181:182], v[179:180]
	v_add_f64_e32 v[163:164], v[163:164], v[175:176]
	v_fma_f64 v[173:174], v[4:5], v[18:19], v[173:174]
	v_fma_f64 v[179:180], v[2:3], v[18:19], -v[20:21]
	ds_load_b128 v[2:5], v1 offset:1552
	s_wait_loadcnt_dscnt 0x801
	v_mul_f64_e32 v[175:176], v[159:160], v[24:25]
	v_mul_f64_e32 v[24:25], v[161:162], v[24:25]
	scratch_load_b128 v[18:21], off, off offset:800
	s_wait_loadcnt_dscnt 0x800
	v_mul_f64_e32 v[181:182], v[2:3], v[28:29]
	v_mul_f64_e32 v[28:29], v[4:5], v[28:29]
	v_add_f64_e32 v[177:178], v[177:178], v[169:170]
	v_add_f64_e32 v[163:164], v[163:164], v[171:172]
	ds_load_b128 v[169:172], v1 offset:1568
	v_fma_f64 v[161:162], v[161:162], v[22:23], v[175:176]
	v_fma_f64 v[159:160], v[159:160], v[22:23], -v[24:25]
	scratch_load_b128 v[22:25], off, off offset:816
	v_add_f64_e32 v[175:176], v[177:178], v[179:180]
	v_add_f64_e32 v[163:164], v[163:164], v[173:174]
	v_fma_f64 v[177:178], v[4:5], v[26:27], v[181:182]
	v_fma_f64 v[179:180], v[2:3], v[26:27], -v[28:29]
	ds_load_b128 v[2:5], v1 offset:1584
	s_wait_loadcnt_dscnt 0x801
	v_mul_f64_e32 v[173:174], v[169:170], v[32:33]
	v_mul_f64_e32 v[32:33], v[171:172], v[32:33]
	scratch_load_b128 v[26:29], off, off offset:832
	s_wait_loadcnt_dscnt 0x800
	v_mul_f64_e32 v[181:182], v[2:3], v[36:37]
	v_mul_f64_e32 v[36:37], v[4:5], v[36:37]
	v_add_f64_e32 v[175:176], v[175:176], v[159:160]
	v_add_f64_e32 v[163:164], v[163:164], v[161:162]
	ds_load_b128 v[159:162], v1 offset:1600
	v_fma_f64 v[171:172], v[171:172], v[30:31], v[173:174]
	v_fma_f64 v[169:170], v[169:170], v[30:31], -v[32:33]
	scratch_load_b128 v[30:33], off, off offset:848
	v_add_f64_e32 v[173:174], v[175:176], v[179:180]
	v_add_f64_e32 v[163:164], v[163:164], v[177:178]
	v_fma_f64 v[179:180], v[4:5], v[34:35], v[181:182]
	v_fma_f64 v[181:182], v[2:3], v[34:35], -v[36:37]
	ds_load_b128 v[2:5], v1 offset:1616
	scratch_load_b128 v[34:37], off, off offset:864
	s_wait_loadcnt_dscnt 0x901
	v_mul_f64_e32 v[175:176], v[159:160], v[167:168]
	v_mul_f64_e32 v[177:178], v[161:162], v[167:168]
	v_add_f64_e32 v[173:174], v[173:174], v[169:170]
	v_add_f64_e32 v[163:164], v[163:164], v[171:172]
	s_wait_loadcnt_dscnt 0x800
	v_mul_f64_e32 v[171:172], v[2:3], v[40:41]
	v_mul_f64_e32 v[40:41], v[4:5], v[40:41]
	ds_load_b128 v[167:170], v1 offset:1632
	v_fma_f64 v[175:176], v[161:162], v[165:166], v[175:176]
	v_fma_f64 v[165:166], v[159:160], v[165:166], -v[177:178]
	scratch_load_b128 v[159:162], off, off offset:880
	v_add_f64_e32 v[173:174], v[173:174], v[181:182]
	v_add_f64_e32 v[163:164], v[163:164], v[179:180]
	v_fma_f64 v[171:172], v[4:5], v[38:39], v[171:172]
	v_fma_f64 v[179:180], v[2:3], v[38:39], -v[40:41]
	ds_load_b128 v[2:5], v1 offset:1648
	s_wait_loadcnt_dscnt 0x801
	v_mul_f64_e32 v[177:178], v[167:168], v[8:9]
	v_mul_f64_e32 v[8:9], v[169:170], v[8:9]
	scratch_load_b128 v[38:41], off, off offset:896
	s_wait_loadcnt_dscnt 0x800
	v_mul_f64_e32 v[181:182], v[2:3], v[12:13]
	v_mul_f64_e32 v[12:13], v[4:5], v[12:13]
	v_add_f64_e32 v[173:174], v[173:174], v[165:166]
	v_add_f64_e32 v[175:176], v[163:164], v[175:176]
	ds_load_b128 v[163:166], v1 offset:1664
	v_fma_f64 v[169:170], v[169:170], v[6:7], v[177:178]
	v_fma_f64 v[6:7], v[167:168], v[6:7], -v[8:9]
	v_add_f64_e32 v[8:9], v[173:174], v[179:180]
	v_add_f64_e32 v[167:168], v[175:176], v[171:172]
	s_wait_loadcnt_dscnt 0x700
	v_mul_f64_e32 v[171:172], v[163:164], v[16:17]
	v_mul_f64_e32 v[16:17], v[165:166], v[16:17]
	v_fma_f64 v[173:174], v[4:5], v[10:11], v[181:182]
	v_fma_f64 v[10:11], v[2:3], v[10:11], -v[12:13]
	v_add_f64_e32 v[12:13], v[8:9], v[6:7]
	v_add_f64_e32 v[167:168], v[167:168], v[169:170]
	ds_load_b128 v[2:5], v1 offset:1680
	ds_load_b128 v[6:9], v1 offset:1696
	v_fma_f64 v[165:166], v[165:166], v[14:15], v[171:172]
	v_fma_f64 v[14:15], v[163:164], v[14:15], -v[16:17]
	s_wait_loadcnt_dscnt 0x601
	v_mul_f64_e32 v[169:170], v[2:3], v[20:21]
	v_mul_f64_e32 v[20:21], v[4:5], v[20:21]
	s_wait_loadcnt_dscnt 0x500
	v_mul_f64_e32 v[16:17], v[6:7], v[24:25]
	v_mul_f64_e32 v[24:25], v[8:9], v[24:25]
	v_add_f64_e32 v[10:11], v[12:13], v[10:11]
	v_add_f64_e32 v[12:13], v[167:168], v[173:174]
	v_fma_f64 v[163:164], v[4:5], v[18:19], v[169:170]
	v_fma_f64 v[18:19], v[2:3], v[18:19], -v[20:21]
	v_fma_f64 v[8:9], v[8:9], v[22:23], v[16:17]
	v_fma_f64 v[6:7], v[6:7], v[22:23], -v[24:25]
	v_add_f64_e32 v[14:15], v[10:11], v[14:15]
	v_add_f64_e32 v[20:21], v[12:13], v[165:166]
	ds_load_b128 v[2:5], v1 offset:1712
	ds_load_b128 v[10:13], v1 offset:1728
	s_wait_loadcnt_dscnt 0x401
	v_mul_f64_e32 v[165:166], v[2:3], v[28:29]
	v_mul_f64_e32 v[28:29], v[4:5], v[28:29]
	v_add_f64_e32 v[14:15], v[14:15], v[18:19]
	v_add_f64_e32 v[16:17], v[20:21], v[163:164]
	s_wait_loadcnt_dscnt 0x300
	v_mul_f64_e32 v[18:19], v[10:11], v[32:33]
	v_mul_f64_e32 v[20:21], v[12:13], v[32:33]
	v_fma_f64 v[22:23], v[4:5], v[26:27], v[165:166]
	v_fma_f64 v[24:25], v[2:3], v[26:27], -v[28:29]
	v_add_f64_e32 v[14:15], v[14:15], v[6:7]
	v_add_f64_e32 v[16:17], v[16:17], v[8:9]
	ds_load_b128 v[2:5], v1 offset:1744
	ds_load_b128 v[6:9], v1 offset:1760
	v_fma_f64 v[12:13], v[12:13], v[30:31], v[18:19]
	v_fma_f64 v[10:11], v[10:11], v[30:31], -v[20:21]
	s_wait_loadcnt_dscnt 0x201
	v_mul_f64_e32 v[26:27], v[2:3], v[36:37]
	v_mul_f64_e32 v[28:29], v[4:5], v[36:37]
	s_wait_loadcnt_dscnt 0x100
	v_mul_f64_e32 v[18:19], v[6:7], v[161:162]
	v_mul_f64_e32 v[20:21], v[8:9], v[161:162]
	v_add_f64_e32 v[14:15], v[14:15], v[24:25]
	v_add_f64_e32 v[16:17], v[16:17], v[22:23]
	v_fma_f64 v[22:23], v[4:5], v[34:35], v[26:27]
	v_fma_f64 v[24:25], v[2:3], v[34:35], -v[28:29]
	ds_load_b128 v[2:5], v1 offset:1776
	v_fma_f64 v[8:9], v[8:9], v[159:160], v[18:19]
	v_fma_f64 v[6:7], v[6:7], v[159:160], -v[20:21]
	v_add_f64_e32 v[10:11], v[14:15], v[10:11]
	v_add_f64_e32 v[12:13], v[16:17], v[12:13]
	s_wait_loadcnt_dscnt 0x0
	v_mul_f64_e32 v[14:15], v[2:3], v[40:41]
	v_mul_f64_e32 v[16:17], v[4:5], v[40:41]
	s_delay_alu instid0(VALU_DEP_4) | instskip(NEXT) | instid1(VALU_DEP_4)
	v_add_f64_e32 v[10:11], v[10:11], v[24:25]
	v_add_f64_e32 v[12:13], v[12:13], v[22:23]
	s_delay_alu instid0(VALU_DEP_4) | instskip(NEXT) | instid1(VALU_DEP_4)
	v_fma_f64 v[4:5], v[4:5], v[38:39], v[14:15]
	v_fma_f64 v[2:3], v[2:3], v[38:39], -v[16:17]
	s_delay_alu instid0(VALU_DEP_4) | instskip(NEXT) | instid1(VALU_DEP_4)
	v_add_f64_e32 v[6:7], v[10:11], v[6:7]
	v_add_f64_e32 v[8:9], v[12:13], v[8:9]
	s_delay_alu instid0(VALU_DEP_2) | instskip(NEXT) | instid1(VALU_DEP_2)
	v_add_f64_e32 v[2:3], v[6:7], v[2:3]
	v_add_f64_e32 v[4:5], v[8:9], v[4:5]
	s_delay_alu instid0(VALU_DEP_2) | instskip(NEXT) | instid1(VALU_DEP_2)
	v_add_f64_e64 v[2:3], v[42:43], -v[2:3]
	v_add_f64_e64 v[4:5], v[44:45], -v[4:5]
	scratch_store_b128 off, v[2:5], off offset:80
	v_cmpx_lt_u32_e32 3, v0
	s_cbranch_execz .LBB119_343
; %bb.342:
	scratch_load_b128 v[5:8], off, s10
	v_dual_mov_b32 v2, v1 :: v_dual_mov_b32 v3, v1
	v_mov_b32_e32 v4, v1
	scratch_store_b128 off, v[1:4], off offset:64
	s_wait_loadcnt 0x0
	ds_store_b128 v158, v[5:8]
.LBB119_343:
	s_wait_alu 0xfffe
	s_or_b32 exec_lo, exec_lo, s0
	s_wait_storecnt_dscnt 0x0
	s_barrier_signal -1
	s_barrier_wait -1
	global_inv scope:SCOPE_SE
	s_clause 0x8
	scratch_load_b128 v[2:5], off, off offset:80
	scratch_load_b128 v[6:9], off, off offset:96
	;; [unrolled: 1-line block ×9, first 2 shown]
	ds_load_b128 v[42:45], v1 offset:960
	ds_load_b128 v[38:41], v1 offset:976
	s_clause 0x1
	scratch_load_b128 v[159:162], off, off offset:64
	scratch_load_b128 v[163:166], off, off offset:224
	s_mov_b32 s0, exec_lo
	s_wait_loadcnt_dscnt 0xa01
	v_mul_f64_e32 v[167:168], v[44:45], v[4:5]
	v_mul_f64_e32 v[4:5], v[42:43], v[4:5]
	s_wait_loadcnt_dscnt 0x900
	v_mul_f64_e32 v[171:172], v[38:39], v[8:9]
	v_mul_f64_e32 v[8:9], v[40:41], v[8:9]
	s_delay_alu instid0(VALU_DEP_4) | instskip(NEXT) | instid1(VALU_DEP_4)
	v_fma_f64 v[173:174], v[42:43], v[2:3], -v[167:168]
	v_fma_f64 v[175:176], v[44:45], v[2:3], v[4:5]
	ds_load_b128 v[2:5], v1 offset:992
	ds_load_b128 v[167:170], v1 offset:1008
	scratch_load_b128 v[42:45], off, off offset:240
	v_fma_f64 v[40:41], v[40:41], v[6:7], v[171:172]
	v_fma_f64 v[38:39], v[38:39], v[6:7], -v[8:9]
	scratch_load_b128 v[6:9], off, off offset:256
	s_wait_loadcnt_dscnt 0xa01
	v_mul_f64_e32 v[177:178], v[2:3], v[12:13]
	v_mul_f64_e32 v[12:13], v[4:5], v[12:13]
	v_add_f64_e32 v[171:172], 0, v[173:174]
	v_add_f64_e32 v[173:174], 0, v[175:176]
	s_wait_loadcnt_dscnt 0x900
	v_mul_f64_e32 v[175:176], v[167:168], v[16:17]
	v_mul_f64_e32 v[16:17], v[169:170], v[16:17]
	v_fma_f64 v[177:178], v[4:5], v[10:11], v[177:178]
	v_fma_f64 v[179:180], v[2:3], v[10:11], -v[12:13]
	ds_load_b128 v[2:5], v1 offset:1024
	scratch_load_b128 v[10:13], off, off offset:272
	v_add_f64_e32 v[171:172], v[171:172], v[38:39]
	v_add_f64_e32 v[173:174], v[173:174], v[40:41]
	ds_load_b128 v[38:41], v1 offset:1040
	v_fma_f64 v[169:170], v[169:170], v[14:15], v[175:176]
	v_fma_f64 v[167:168], v[167:168], v[14:15], -v[16:17]
	scratch_load_b128 v[14:17], off, off offset:288
	s_wait_loadcnt_dscnt 0xa01
	v_mul_f64_e32 v[181:182], v[2:3], v[20:21]
	v_mul_f64_e32 v[20:21], v[4:5], v[20:21]
	s_wait_loadcnt_dscnt 0x900
	v_mul_f64_e32 v[175:176], v[38:39], v[24:25]
	v_mul_f64_e32 v[24:25], v[40:41], v[24:25]
	v_add_f64_e32 v[171:172], v[171:172], v[179:180]
	v_add_f64_e32 v[173:174], v[173:174], v[177:178]
	v_fma_f64 v[177:178], v[4:5], v[18:19], v[181:182]
	v_fma_f64 v[179:180], v[2:3], v[18:19], -v[20:21]
	ds_load_b128 v[2:5], v1 offset:1056
	scratch_load_b128 v[18:21], off, off offset:304
	v_fma_f64 v[40:41], v[40:41], v[22:23], v[175:176]
	v_fma_f64 v[38:39], v[38:39], v[22:23], -v[24:25]
	scratch_load_b128 v[22:25], off, off offset:320
	v_add_f64_e32 v[171:172], v[171:172], v[167:168]
	v_add_f64_e32 v[173:174], v[173:174], v[169:170]
	ds_load_b128 v[167:170], v1 offset:1072
	s_wait_loadcnt_dscnt 0xa01
	v_mul_f64_e32 v[181:182], v[2:3], v[28:29]
	v_mul_f64_e32 v[28:29], v[4:5], v[28:29]
	s_wait_loadcnt_dscnt 0x900
	v_mul_f64_e32 v[175:176], v[167:168], v[32:33]
	v_mul_f64_e32 v[32:33], v[169:170], v[32:33]
	v_add_f64_e32 v[171:172], v[171:172], v[179:180]
	v_add_f64_e32 v[173:174], v[173:174], v[177:178]
	v_fma_f64 v[177:178], v[4:5], v[26:27], v[181:182]
	v_fma_f64 v[179:180], v[2:3], v[26:27], -v[28:29]
	ds_load_b128 v[2:5], v1 offset:1088
	scratch_load_b128 v[26:29], off, off offset:336
	v_fma_f64 v[169:170], v[169:170], v[30:31], v[175:176]
	v_fma_f64 v[167:168], v[167:168], v[30:31], -v[32:33]
	scratch_load_b128 v[30:33], off, off offset:352
	v_add_f64_e32 v[171:172], v[171:172], v[38:39]
	v_add_f64_e32 v[173:174], v[173:174], v[40:41]
	ds_load_b128 v[38:41], v1 offset:1104
	s_wait_loadcnt_dscnt 0xa01
	v_mul_f64_e32 v[181:182], v[2:3], v[36:37]
	v_mul_f64_e32 v[36:37], v[4:5], v[36:37]
	s_wait_loadcnt_dscnt 0x800
	v_mul_f64_e32 v[175:176], v[38:39], v[165:166]
	v_add_f64_e32 v[171:172], v[171:172], v[179:180]
	v_add_f64_e32 v[173:174], v[173:174], v[177:178]
	v_mul_f64_e32 v[177:178], v[40:41], v[165:166]
	v_fma_f64 v[179:180], v[4:5], v[34:35], v[181:182]
	v_fma_f64 v[181:182], v[2:3], v[34:35], -v[36:37]
	ds_load_b128 v[2:5], v1 offset:1120
	scratch_load_b128 v[34:37], off, off offset:368
	v_fma_f64 v[175:176], v[40:41], v[163:164], v[175:176]
	v_add_f64_e32 v[171:172], v[171:172], v[167:168]
	v_add_f64_e32 v[169:170], v[173:174], v[169:170]
	ds_load_b128 v[165:168], v1 offset:1136
	v_fma_f64 v[163:164], v[38:39], v[163:164], -v[177:178]
	scratch_load_b128 v[38:41], off, off offset:384
	s_wait_loadcnt_dscnt 0x901
	v_mul_f64_e32 v[173:174], v[2:3], v[44:45]
	v_mul_f64_e32 v[44:45], v[4:5], v[44:45]
	s_wait_loadcnt_dscnt 0x800
	v_mul_f64_e32 v[177:178], v[165:166], v[8:9]
	v_mul_f64_e32 v[8:9], v[167:168], v[8:9]
	v_add_f64_e32 v[171:172], v[171:172], v[181:182]
	v_add_f64_e32 v[169:170], v[169:170], v[179:180]
	v_fma_f64 v[173:174], v[4:5], v[42:43], v[173:174]
	v_fma_f64 v[179:180], v[2:3], v[42:43], -v[44:45]
	ds_load_b128 v[2:5], v1 offset:1152
	scratch_load_b128 v[42:45], off, off offset:400
	v_fma_f64 v[167:168], v[167:168], v[6:7], v[177:178]
	v_fma_f64 v[165:166], v[165:166], v[6:7], -v[8:9]
	scratch_load_b128 v[6:9], off, off offset:416
	v_add_f64_e32 v[163:164], v[171:172], v[163:164]
	v_add_f64_e32 v[175:176], v[169:170], v[175:176]
	ds_load_b128 v[169:172], v1 offset:1168
	s_wait_loadcnt_dscnt 0x901
	v_mul_f64_e32 v[181:182], v[2:3], v[12:13]
	v_mul_f64_e32 v[12:13], v[4:5], v[12:13]
	v_add_f64_e32 v[163:164], v[163:164], v[179:180]
	v_add_f64_e32 v[173:174], v[175:176], v[173:174]
	s_wait_loadcnt_dscnt 0x800
	v_mul_f64_e32 v[175:176], v[169:170], v[16:17]
	v_mul_f64_e32 v[16:17], v[171:172], v[16:17]
	v_fma_f64 v[177:178], v[4:5], v[10:11], v[181:182]
	v_fma_f64 v[179:180], v[2:3], v[10:11], -v[12:13]
	ds_load_b128 v[2:5], v1 offset:1184
	scratch_load_b128 v[10:13], off, off offset:432
	v_add_f64_e32 v[181:182], v[163:164], v[165:166]
	v_add_f64_e32 v[167:168], v[173:174], v[167:168]
	ds_load_b128 v[163:166], v1 offset:1200
	s_wait_loadcnt_dscnt 0x801
	v_mul_f64_e32 v[173:174], v[2:3], v[20:21]
	v_mul_f64_e32 v[20:21], v[4:5], v[20:21]
	v_fma_f64 v[171:172], v[171:172], v[14:15], v[175:176]
	v_fma_f64 v[169:170], v[169:170], v[14:15], -v[16:17]
	scratch_load_b128 v[14:17], off, off offset:448
	v_add_f64_e32 v[175:176], v[181:182], v[179:180]
	v_add_f64_e32 v[167:168], v[167:168], v[177:178]
	s_wait_loadcnt_dscnt 0x800
	v_mul_f64_e32 v[177:178], v[163:164], v[24:25]
	v_mul_f64_e32 v[24:25], v[165:166], v[24:25]
	v_fma_f64 v[173:174], v[4:5], v[18:19], v[173:174]
	v_fma_f64 v[179:180], v[2:3], v[18:19], -v[20:21]
	ds_load_b128 v[2:5], v1 offset:1216
	scratch_load_b128 v[18:21], off, off offset:464
	v_add_f64_e32 v[175:176], v[175:176], v[169:170]
	v_add_f64_e32 v[171:172], v[167:168], v[171:172]
	ds_load_b128 v[167:170], v1 offset:1232
	s_wait_loadcnt_dscnt 0x801
	v_mul_f64_e32 v[181:182], v[2:3], v[28:29]
	v_mul_f64_e32 v[28:29], v[4:5], v[28:29]
	v_fma_f64 v[165:166], v[165:166], v[22:23], v[177:178]
	v_fma_f64 v[163:164], v[163:164], v[22:23], -v[24:25]
	scratch_load_b128 v[22:25], off, off offset:480
	;; [unrolled: 18-line block ×4, first 2 shown]
	s_wait_loadcnt_dscnt 0x800
	v_mul_f64_e32 v[175:176], v[167:168], v[8:9]
	v_mul_f64_e32 v[8:9], v[169:170], v[8:9]
	v_add_f64_e32 v[173:174], v[173:174], v[179:180]
	v_add_f64_e32 v[171:172], v[171:172], v[177:178]
	v_fma_f64 v[177:178], v[4:5], v[42:43], v[181:182]
	v_fma_f64 v[179:180], v[2:3], v[42:43], -v[44:45]
	ds_load_b128 v[2:5], v1 offset:1312
	scratch_load_b128 v[42:45], off, off offset:560
	v_fma_f64 v[169:170], v[169:170], v[6:7], v[175:176]
	v_fma_f64 v[167:168], v[167:168], v[6:7], -v[8:9]
	scratch_load_b128 v[6:9], off, off offset:576
	v_add_f64_e32 v[173:174], v[173:174], v[163:164]
	v_add_f64_e32 v[171:172], v[171:172], v[165:166]
	ds_load_b128 v[163:166], v1 offset:1328
	s_wait_loadcnt_dscnt 0x901
	v_mul_f64_e32 v[181:182], v[2:3], v[12:13]
	v_mul_f64_e32 v[12:13], v[4:5], v[12:13]
	s_wait_loadcnt_dscnt 0x800
	v_mul_f64_e32 v[175:176], v[163:164], v[16:17]
	v_mul_f64_e32 v[16:17], v[165:166], v[16:17]
	v_add_f64_e32 v[173:174], v[173:174], v[179:180]
	v_add_f64_e32 v[171:172], v[171:172], v[177:178]
	v_fma_f64 v[177:178], v[4:5], v[10:11], v[181:182]
	v_fma_f64 v[179:180], v[2:3], v[10:11], -v[12:13]
	ds_load_b128 v[2:5], v1 offset:1344
	scratch_load_b128 v[10:13], off, off offset:592
	v_fma_f64 v[165:166], v[165:166], v[14:15], v[175:176]
	v_fma_f64 v[163:164], v[163:164], v[14:15], -v[16:17]
	scratch_load_b128 v[14:17], off, off offset:608
	v_add_f64_e32 v[173:174], v[173:174], v[167:168]
	v_add_f64_e32 v[171:172], v[171:172], v[169:170]
	ds_load_b128 v[167:170], v1 offset:1360
	s_wait_loadcnt_dscnt 0x901
	v_mul_f64_e32 v[181:182], v[2:3], v[20:21]
	v_mul_f64_e32 v[20:21], v[4:5], v[20:21]
	;; [unrolled: 18-line block ×11, first 2 shown]
	s_wait_loadcnt_dscnt 0x800
	v_mul_f64_e32 v[175:176], v[163:164], v[16:17]
	v_mul_f64_e32 v[16:17], v[165:166], v[16:17]
	v_add_f64_e32 v[173:174], v[173:174], v[179:180]
	v_add_f64_e32 v[171:172], v[171:172], v[177:178]
	v_fma_f64 v[177:178], v[4:5], v[10:11], v[181:182]
	v_fma_f64 v[179:180], v[2:3], v[10:11], -v[12:13]
	ds_load_b128 v[2:5], v1 offset:1664
	ds_load_b128 v[10:13], v1 offset:1680
	v_fma_f64 v[165:166], v[165:166], v[14:15], v[175:176]
	v_fma_f64 v[14:15], v[163:164], v[14:15], -v[16:17]
	v_add_f64_e32 v[167:168], v[173:174], v[167:168]
	v_add_f64_e32 v[169:170], v[171:172], v[169:170]
	s_wait_loadcnt_dscnt 0x701
	v_mul_f64_e32 v[171:172], v[2:3], v[20:21]
	v_mul_f64_e32 v[20:21], v[4:5], v[20:21]
	s_delay_alu instid0(VALU_DEP_4) | instskip(NEXT) | instid1(VALU_DEP_4)
	v_add_f64_e32 v[16:17], v[167:168], v[179:180]
	v_add_f64_e32 v[163:164], v[169:170], v[177:178]
	s_wait_loadcnt_dscnt 0x600
	v_mul_f64_e32 v[167:168], v[10:11], v[24:25]
	v_mul_f64_e32 v[24:25], v[12:13], v[24:25]
	v_fma_f64 v[169:170], v[4:5], v[18:19], v[171:172]
	v_fma_f64 v[18:19], v[2:3], v[18:19], -v[20:21]
	v_add_f64_e32 v[20:21], v[16:17], v[14:15]
	v_add_f64_e32 v[163:164], v[163:164], v[165:166]
	ds_load_b128 v[2:5], v1 offset:1696
	ds_load_b128 v[14:17], v1 offset:1712
	v_fma_f64 v[12:13], v[12:13], v[22:23], v[167:168]
	v_fma_f64 v[10:11], v[10:11], v[22:23], -v[24:25]
	s_wait_loadcnt_dscnt 0x501
	v_mul_f64_e32 v[165:166], v[2:3], v[28:29]
	v_mul_f64_e32 v[28:29], v[4:5], v[28:29]
	s_wait_loadcnt_dscnt 0x400
	v_mul_f64_e32 v[22:23], v[14:15], v[32:33]
	v_mul_f64_e32 v[24:25], v[16:17], v[32:33]
	v_add_f64_e32 v[18:19], v[20:21], v[18:19]
	v_add_f64_e32 v[20:21], v[163:164], v[169:170]
	v_fma_f64 v[32:33], v[4:5], v[26:27], v[165:166]
	v_fma_f64 v[26:27], v[2:3], v[26:27], -v[28:29]
	v_fma_f64 v[16:17], v[16:17], v[30:31], v[22:23]
	v_fma_f64 v[14:15], v[14:15], v[30:31], -v[24:25]
	v_add_f64_e32 v[18:19], v[18:19], v[10:11]
	v_add_f64_e32 v[20:21], v[20:21], v[12:13]
	ds_load_b128 v[2:5], v1 offset:1728
	ds_load_b128 v[10:13], v1 offset:1744
	s_wait_loadcnt_dscnt 0x301
	v_mul_f64_e32 v[28:29], v[2:3], v[36:37]
	v_mul_f64_e32 v[36:37], v[4:5], v[36:37]
	s_wait_loadcnt_dscnt 0x200
	v_mul_f64_e32 v[22:23], v[10:11], v[40:41]
	v_mul_f64_e32 v[24:25], v[12:13], v[40:41]
	v_add_f64_e32 v[18:19], v[18:19], v[26:27]
	v_add_f64_e32 v[20:21], v[20:21], v[32:33]
	v_fma_f64 v[26:27], v[4:5], v[34:35], v[28:29]
	v_fma_f64 v[28:29], v[2:3], v[34:35], -v[36:37]
	v_fma_f64 v[12:13], v[12:13], v[38:39], v[22:23]
	v_fma_f64 v[10:11], v[10:11], v[38:39], -v[24:25]
	v_add_f64_e32 v[18:19], v[18:19], v[14:15]
	v_add_f64_e32 v[20:21], v[20:21], v[16:17]
	ds_load_b128 v[2:5], v1 offset:1760
	ds_load_b128 v[14:17], v1 offset:1776
	s_wait_loadcnt_dscnt 0x101
	v_mul_f64_e32 v[30:31], v[2:3], v[44:45]
	v_mul_f64_e32 v[32:33], v[4:5], v[44:45]
	s_wait_loadcnt_dscnt 0x0
	v_mul_f64_e32 v[22:23], v[14:15], v[8:9]
	v_mul_f64_e32 v[8:9], v[16:17], v[8:9]
	v_add_f64_e32 v[18:19], v[18:19], v[28:29]
	v_add_f64_e32 v[20:21], v[20:21], v[26:27]
	v_fma_f64 v[4:5], v[4:5], v[42:43], v[30:31]
	v_fma_f64 v[1:2], v[2:3], v[42:43], -v[32:33]
	v_fma_f64 v[16:17], v[16:17], v[6:7], v[22:23]
	v_fma_f64 v[6:7], v[14:15], v[6:7], -v[8:9]
	v_add_f64_e32 v[10:11], v[18:19], v[10:11]
	v_add_f64_e32 v[12:13], v[20:21], v[12:13]
	s_delay_alu instid0(VALU_DEP_2) | instskip(NEXT) | instid1(VALU_DEP_2)
	v_add_f64_e32 v[1:2], v[10:11], v[1:2]
	v_add_f64_e32 v[3:4], v[12:13], v[4:5]
	s_delay_alu instid0(VALU_DEP_2) | instskip(NEXT) | instid1(VALU_DEP_2)
	;; [unrolled: 3-line block ×3, first 2 shown]
	v_add_f64_e64 v[1:2], v[159:160], -v[1:2]
	v_add_f64_e64 v[3:4], v[161:162], -v[3:4]
	scratch_store_b128 off, v[1:4], off offset:64
	v_cmpx_lt_u32_e32 2, v0
	s_cbranch_execz .LBB119_345
; %bb.344:
	scratch_load_b128 v[1:4], off, s13
	v_mov_b32_e32 v5, 0
	s_delay_alu instid0(VALU_DEP_1)
	v_dual_mov_b32 v6, v5 :: v_dual_mov_b32 v7, v5
	v_mov_b32_e32 v8, v5
	scratch_store_b128 off, v[5:8], off offset:48
	s_wait_loadcnt 0x0
	ds_store_b128 v158, v[1:4]
.LBB119_345:
	s_wait_alu 0xfffe
	s_or_b32 exec_lo, exec_lo, s0
	s_wait_storecnt_dscnt 0x0
	s_barrier_signal -1
	s_barrier_wait -1
	global_inv scope:SCOPE_SE
	s_clause 0x7
	scratch_load_b128 v[2:5], off, off offset:64
	scratch_load_b128 v[6:9], off, off offset:80
	;; [unrolled: 1-line block ×8, first 2 shown]
	v_mov_b32_e32 v1, 0
	s_mov_b32 s0, exec_lo
	ds_load_b128 v[38:41], v1 offset:944
	s_clause 0x1
	scratch_load_b128 v[34:37], off, off offset:192
	scratch_load_b128 v[42:45], off, off offset:48
	ds_load_b128 v[159:162], v1 offset:960
	scratch_load_b128 v[163:166], off, off offset:208
	s_wait_loadcnt_dscnt 0xa01
	v_mul_f64_e32 v[167:168], v[40:41], v[4:5]
	v_mul_f64_e32 v[4:5], v[38:39], v[4:5]
	s_delay_alu instid0(VALU_DEP_2) | instskip(NEXT) | instid1(VALU_DEP_2)
	v_fma_f64 v[173:174], v[38:39], v[2:3], -v[167:168]
	v_fma_f64 v[175:176], v[40:41], v[2:3], v[4:5]
	ds_load_b128 v[2:5], v1 offset:976
	s_wait_loadcnt_dscnt 0x901
	v_mul_f64_e32 v[171:172], v[159:160], v[8:9]
	v_mul_f64_e32 v[8:9], v[161:162], v[8:9]
	scratch_load_b128 v[38:41], off, off offset:224
	ds_load_b128 v[167:170], v1 offset:992
	s_wait_loadcnt_dscnt 0x901
	v_mul_f64_e32 v[177:178], v[2:3], v[12:13]
	v_mul_f64_e32 v[12:13], v[4:5], v[12:13]
	v_fma_f64 v[161:162], v[161:162], v[6:7], v[171:172]
	v_fma_f64 v[159:160], v[159:160], v[6:7], -v[8:9]
	v_add_f64_e32 v[171:172], 0, v[173:174]
	v_add_f64_e32 v[173:174], 0, v[175:176]
	scratch_load_b128 v[6:9], off, off offset:240
	v_fma_f64 v[177:178], v[4:5], v[10:11], v[177:178]
	v_fma_f64 v[179:180], v[2:3], v[10:11], -v[12:13]
	ds_load_b128 v[2:5], v1 offset:1008
	s_wait_loadcnt_dscnt 0x901
	v_mul_f64_e32 v[175:176], v[167:168], v[16:17]
	v_mul_f64_e32 v[16:17], v[169:170], v[16:17]
	scratch_load_b128 v[10:13], off, off offset:256
	v_add_f64_e32 v[171:172], v[171:172], v[159:160]
	v_add_f64_e32 v[173:174], v[173:174], v[161:162]
	s_wait_loadcnt_dscnt 0x900
	v_mul_f64_e32 v[181:182], v[2:3], v[20:21]
	v_mul_f64_e32 v[20:21], v[4:5], v[20:21]
	ds_load_b128 v[159:162], v1 offset:1024
	v_fma_f64 v[169:170], v[169:170], v[14:15], v[175:176]
	v_fma_f64 v[167:168], v[167:168], v[14:15], -v[16:17]
	scratch_load_b128 v[14:17], off, off offset:272
	v_add_f64_e32 v[171:172], v[171:172], v[179:180]
	v_add_f64_e32 v[173:174], v[173:174], v[177:178]
	v_fma_f64 v[177:178], v[4:5], v[18:19], v[181:182]
	v_fma_f64 v[179:180], v[2:3], v[18:19], -v[20:21]
	ds_load_b128 v[2:5], v1 offset:1040
	s_wait_loadcnt_dscnt 0x901
	v_mul_f64_e32 v[175:176], v[159:160], v[24:25]
	v_mul_f64_e32 v[24:25], v[161:162], v[24:25]
	scratch_load_b128 v[18:21], off, off offset:288
	s_wait_loadcnt_dscnt 0x900
	v_mul_f64_e32 v[181:182], v[2:3], v[28:29]
	v_mul_f64_e32 v[28:29], v[4:5], v[28:29]
	v_add_f64_e32 v[171:172], v[171:172], v[167:168]
	v_add_f64_e32 v[173:174], v[173:174], v[169:170]
	ds_load_b128 v[167:170], v1 offset:1056
	v_fma_f64 v[161:162], v[161:162], v[22:23], v[175:176]
	v_fma_f64 v[159:160], v[159:160], v[22:23], -v[24:25]
	scratch_load_b128 v[22:25], off, off offset:304
	v_add_f64_e32 v[171:172], v[171:172], v[179:180]
	v_add_f64_e32 v[173:174], v[173:174], v[177:178]
	v_fma_f64 v[177:178], v[4:5], v[26:27], v[181:182]
	v_fma_f64 v[179:180], v[2:3], v[26:27], -v[28:29]
	ds_load_b128 v[2:5], v1 offset:1072
	s_wait_loadcnt_dscnt 0x901
	v_mul_f64_e32 v[175:176], v[167:168], v[32:33]
	v_mul_f64_e32 v[32:33], v[169:170], v[32:33]
	scratch_load_b128 v[26:29], off, off offset:320
	s_wait_loadcnt_dscnt 0x900
	v_mul_f64_e32 v[181:182], v[2:3], v[36:37]
	v_mul_f64_e32 v[36:37], v[4:5], v[36:37]
	v_add_f64_e32 v[171:172], v[171:172], v[159:160]
	v_add_f64_e32 v[173:174], v[173:174], v[161:162]
	ds_load_b128 v[159:162], v1 offset:1088
	v_fma_f64 v[169:170], v[169:170], v[30:31], v[175:176]
	v_fma_f64 v[167:168], v[167:168], v[30:31], -v[32:33]
	scratch_load_b128 v[30:33], off, off offset:336
	v_add_f64_e32 v[171:172], v[171:172], v[179:180]
	v_add_f64_e32 v[173:174], v[173:174], v[177:178]
	v_fma_f64 v[179:180], v[4:5], v[34:35], v[181:182]
	v_fma_f64 v[181:182], v[2:3], v[34:35], -v[36:37]
	ds_load_b128 v[2:5], v1 offset:1104
	s_wait_loadcnt_dscnt 0x801
	v_mul_f64_e32 v[175:176], v[159:160], v[165:166]
	v_mul_f64_e32 v[177:178], v[161:162], v[165:166]
	scratch_load_b128 v[34:37], off, off offset:352
	v_add_f64_e32 v[171:172], v[171:172], v[167:168]
	v_add_f64_e32 v[169:170], v[173:174], v[169:170]
	ds_load_b128 v[165:168], v1 offset:1120
	v_fma_f64 v[175:176], v[161:162], v[163:164], v[175:176]
	v_fma_f64 v[163:164], v[159:160], v[163:164], -v[177:178]
	scratch_load_b128 v[159:162], off, off offset:368
	s_wait_loadcnt_dscnt 0x901
	v_mul_f64_e32 v[173:174], v[2:3], v[40:41]
	v_mul_f64_e32 v[40:41], v[4:5], v[40:41]
	v_add_f64_e32 v[171:172], v[171:172], v[181:182]
	v_add_f64_e32 v[169:170], v[169:170], v[179:180]
	s_delay_alu instid0(VALU_DEP_4) | instskip(NEXT) | instid1(VALU_DEP_4)
	v_fma_f64 v[173:174], v[4:5], v[38:39], v[173:174]
	v_fma_f64 v[179:180], v[2:3], v[38:39], -v[40:41]
	ds_load_b128 v[2:5], v1 offset:1136
	s_wait_loadcnt_dscnt 0x801
	v_mul_f64_e32 v[177:178], v[165:166], v[8:9]
	v_mul_f64_e32 v[8:9], v[167:168], v[8:9]
	scratch_load_b128 v[38:41], off, off offset:384
	s_wait_loadcnt_dscnt 0x800
	v_mul_f64_e32 v[181:182], v[2:3], v[12:13]
	v_add_f64_e32 v[163:164], v[171:172], v[163:164]
	v_add_f64_e32 v[175:176], v[169:170], v[175:176]
	v_mul_f64_e32 v[12:13], v[4:5], v[12:13]
	ds_load_b128 v[169:172], v1 offset:1152
	v_fma_f64 v[167:168], v[167:168], v[6:7], v[177:178]
	v_fma_f64 v[165:166], v[165:166], v[6:7], -v[8:9]
	scratch_load_b128 v[6:9], off, off offset:400
	v_fma_f64 v[177:178], v[4:5], v[10:11], v[181:182]
	v_add_f64_e32 v[163:164], v[163:164], v[179:180]
	v_add_f64_e32 v[173:174], v[175:176], v[173:174]
	v_fma_f64 v[179:180], v[2:3], v[10:11], -v[12:13]
	ds_load_b128 v[2:5], v1 offset:1168
	s_wait_loadcnt_dscnt 0x801
	v_mul_f64_e32 v[175:176], v[169:170], v[16:17]
	v_mul_f64_e32 v[16:17], v[171:172], v[16:17]
	scratch_load_b128 v[10:13], off, off offset:416
	v_add_f64_e32 v[181:182], v[163:164], v[165:166]
	v_add_f64_e32 v[167:168], v[173:174], v[167:168]
	s_wait_loadcnt_dscnt 0x800
	v_mul_f64_e32 v[173:174], v[2:3], v[20:21]
	v_mul_f64_e32 v[20:21], v[4:5], v[20:21]
	v_fma_f64 v[171:172], v[171:172], v[14:15], v[175:176]
	v_fma_f64 v[169:170], v[169:170], v[14:15], -v[16:17]
	ds_load_b128 v[163:166], v1 offset:1184
	scratch_load_b128 v[14:17], off, off offset:432
	v_add_f64_e32 v[175:176], v[181:182], v[179:180]
	v_add_f64_e32 v[167:168], v[167:168], v[177:178]
	v_fma_f64 v[173:174], v[4:5], v[18:19], v[173:174]
	v_fma_f64 v[179:180], v[2:3], v[18:19], -v[20:21]
	ds_load_b128 v[2:5], v1 offset:1200
	s_wait_loadcnt_dscnt 0x801
	v_mul_f64_e32 v[177:178], v[163:164], v[24:25]
	v_mul_f64_e32 v[24:25], v[165:166], v[24:25]
	scratch_load_b128 v[18:21], off, off offset:448
	s_wait_loadcnt_dscnt 0x800
	v_mul_f64_e32 v[181:182], v[2:3], v[28:29]
	v_mul_f64_e32 v[28:29], v[4:5], v[28:29]
	v_add_f64_e32 v[175:176], v[175:176], v[169:170]
	v_add_f64_e32 v[171:172], v[167:168], v[171:172]
	ds_load_b128 v[167:170], v1 offset:1216
	v_fma_f64 v[165:166], v[165:166], v[22:23], v[177:178]
	v_fma_f64 v[163:164], v[163:164], v[22:23], -v[24:25]
	scratch_load_b128 v[22:25], off, off offset:464
	v_fma_f64 v[177:178], v[4:5], v[26:27], v[181:182]
	v_add_f64_e32 v[175:176], v[175:176], v[179:180]
	v_add_f64_e32 v[171:172], v[171:172], v[173:174]
	v_fma_f64 v[179:180], v[2:3], v[26:27], -v[28:29]
	ds_load_b128 v[2:5], v1 offset:1232
	s_wait_loadcnt_dscnt 0x801
	v_mul_f64_e32 v[173:174], v[167:168], v[32:33]
	v_mul_f64_e32 v[32:33], v[169:170], v[32:33]
	scratch_load_b128 v[26:29], off, off offset:480
	s_wait_loadcnt_dscnt 0x800
	v_mul_f64_e32 v[181:182], v[2:3], v[36:37]
	v_mul_f64_e32 v[36:37], v[4:5], v[36:37]
	v_add_f64_e32 v[175:176], v[175:176], v[163:164]
	v_add_f64_e32 v[171:172], v[171:172], v[165:166]
	ds_load_b128 v[163:166], v1 offset:1248
	v_fma_f64 v[169:170], v[169:170], v[30:31], v[173:174]
	v_fma_f64 v[167:168], v[167:168], v[30:31], -v[32:33]
	scratch_load_b128 v[30:33], off, off offset:496
	v_add_f64_e32 v[173:174], v[175:176], v[179:180]
	v_add_f64_e32 v[171:172], v[171:172], v[177:178]
	v_fma_f64 v[177:178], v[4:5], v[34:35], v[181:182]
	v_fma_f64 v[179:180], v[2:3], v[34:35], -v[36:37]
	ds_load_b128 v[2:5], v1 offset:1264
	s_wait_loadcnt_dscnt 0x801
	v_mul_f64_e32 v[175:176], v[163:164], v[161:162]
	v_mul_f64_e32 v[161:162], v[165:166], v[161:162]
	scratch_load_b128 v[34:37], off, off offset:512
	s_wait_loadcnt_dscnt 0x800
	v_mul_f64_e32 v[181:182], v[2:3], v[40:41]
	v_mul_f64_e32 v[40:41], v[4:5], v[40:41]
	v_add_f64_e32 v[173:174], v[173:174], v[167:168]
	v_add_f64_e32 v[171:172], v[171:172], v[169:170]
	ds_load_b128 v[167:170], v1 offset:1280
	v_fma_f64 v[165:166], v[165:166], v[159:160], v[175:176]
	v_fma_f64 v[163:164], v[163:164], v[159:160], -v[161:162]
	scratch_load_b128 v[159:162], off, off offset:528
	v_add_f64_e32 v[173:174], v[173:174], v[179:180]
	v_add_f64_e32 v[171:172], v[171:172], v[177:178]
	v_fma_f64 v[177:178], v[4:5], v[38:39], v[181:182]
	;; [unrolled: 18-line block ×6, first 2 shown]
	v_fma_f64 v[181:182], v[2:3], v[34:35], -v[36:37]
	ds_load_b128 v[2:5], v1 offset:1424
	s_wait_loadcnt_dscnt 0x801
	v_mul_f64_e32 v[175:176], v[167:168], v[161:162]
	v_mul_f64_e32 v[177:178], v[169:170], v[161:162]
	scratch_load_b128 v[34:37], off, off offset:672
	v_add_f64_e32 v[173:174], v[173:174], v[163:164]
	v_add_f64_e32 v[165:166], v[171:172], v[165:166]
	s_wait_loadcnt_dscnt 0x800
	v_mul_f64_e32 v[171:172], v[2:3], v[40:41]
	v_mul_f64_e32 v[40:41], v[4:5], v[40:41]
	ds_load_b128 v[161:164], v1 offset:1440
	v_fma_f64 v[169:170], v[169:170], v[159:160], v[175:176]
	v_fma_f64 v[159:160], v[167:168], v[159:160], -v[177:178]
	v_add_f64_e32 v[173:174], v[173:174], v[181:182]
	v_add_f64_e32 v[175:176], v[165:166], v[179:180]
	scratch_load_b128 v[165:168], off, off offset:688
	v_fma_f64 v[179:180], v[4:5], v[38:39], v[171:172]
	v_fma_f64 v[181:182], v[2:3], v[38:39], -v[40:41]
	ds_load_b128 v[2:5], v1 offset:1456
	s_wait_loadcnt_dscnt 0x801
	v_mul_f64_e32 v[177:178], v[161:162], v[8:9]
	v_mul_f64_e32 v[8:9], v[163:164], v[8:9]
	scratch_load_b128 v[38:41], off, off offset:704
	v_add_f64_e32 v[159:160], v[173:174], v[159:160]
	v_add_f64_e32 v[173:174], v[175:176], v[169:170]
	s_wait_loadcnt_dscnt 0x800
	v_mul_f64_e32 v[175:176], v[2:3], v[12:13]
	v_mul_f64_e32 v[12:13], v[4:5], v[12:13]
	ds_load_b128 v[169:172], v1 offset:1472
	v_fma_f64 v[163:164], v[163:164], v[6:7], v[177:178]
	v_fma_f64 v[161:162], v[161:162], v[6:7], -v[8:9]
	scratch_load_b128 v[6:9], off, off offset:720
	v_add_f64_e32 v[159:160], v[159:160], v[181:182]
	v_add_f64_e32 v[173:174], v[173:174], v[179:180]
	v_fma_f64 v[175:176], v[4:5], v[10:11], v[175:176]
	v_fma_f64 v[179:180], v[2:3], v[10:11], -v[12:13]
	ds_load_b128 v[2:5], v1 offset:1488
	s_wait_loadcnt_dscnt 0x801
	v_mul_f64_e32 v[177:178], v[169:170], v[16:17]
	v_mul_f64_e32 v[16:17], v[171:172], v[16:17]
	scratch_load_b128 v[10:13], off, off offset:736
	v_add_f64_e32 v[181:182], v[159:160], v[161:162]
	v_add_f64_e32 v[163:164], v[173:174], v[163:164]
	s_wait_loadcnt_dscnt 0x800
	v_mul_f64_e32 v[173:174], v[2:3], v[20:21]
	v_mul_f64_e32 v[20:21], v[4:5], v[20:21]
	ds_load_b128 v[159:162], v1 offset:1504
	v_fma_f64 v[171:172], v[171:172], v[14:15], v[177:178]
	v_fma_f64 v[169:170], v[169:170], v[14:15], -v[16:17]
	scratch_load_b128 v[14:17], off, off offset:752
	v_add_f64_e32 v[177:178], v[181:182], v[179:180]
	v_add_f64_e32 v[163:164], v[163:164], v[175:176]
	v_fma_f64 v[173:174], v[4:5], v[18:19], v[173:174]
	v_fma_f64 v[179:180], v[2:3], v[18:19], -v[20:21]
	ds_load_b128 v[2:5], v1 offset:1520
	s_wait_loadcnt_dscnt 0x801
	v_mul_f64_e32 v[175:176], v[159:160], v[24:25]
	v_mul_f64_e32 v[24:25], v[161:162], v[24:25]
	scratch_load_b128 v[18:21], off, off offset:768
	s_wait_loadcnt_dscnt 0x800
	v_mul_f64_e32 v[181:182], v[2:3], v[28:29]
	v_mul_f64_e32 v[28:29], v[4:5], v[28:29]
	v_add_f64_e32 v[177:178], v[177:178], v[169:170]
	v_add_f64_e32 v[163:164], v[163:164], v[171:172]
	ds_load_b128 v[169:172], v1 offset:1536
	v_fma_f64 v[161:162], v[161:162], v[22:23], v[175:176]
	v_fma_f64 v[159:160], v[159:160], v[22:23], -v[24:25]
	scratch_load_b128 v[22:25], off, off offset:784
	v_add_f64_e32 v[175:176], v[177:178], v[179:180]
	v_add_f64_e32 v[163:164], v[163:164], v[173:174]
	v_fma_f64 v[177:178], v[4:5], v[26:27], v[181:182]
	v_fma_f64 v[179:180], v[2:3], v[26:27], -v[28:29]
	ds_load_b128 v[2:5], v1 offset:1552
	s_wait_loadcnt_dscnt 0x801
	v_mul_f64_e32 v[173:174], v[169:170], v[32:33]
	v_mul_f64_e32 v[32:33], v[171:172], v[32:33]
	scratch_load_b128 v[26:29], off, off offset:800
	s_wait_loadcnt_dscnt 0x800
	v_mul_f64_e32 v[181:182], v[2:3], v[36:37]
	v_mul_f64_e32 v[36:37], v[4:5], v[36:37]
	v_add_f64_e32 v[175:176], v[175:176], v[159:160]
	v_add_f64_e32 v[163:164], v[163:164], v[161:162]
	ds_load_b128 v[159:162], v1 offset:1568
	v_fma_f64 v[171:172], v[171:172], v[30:31], v[173:174]
	v_fma_f64 v[169:170], v[169:170], v[30:31], -v[32:33]
	scratch_load_b128 v[30:33], off, off offset:816
	v_add_f64_e32 v[173:174], v[175:176], v[179:180]
	v_add_f64_e32 v[163:164], v[163:164], v[177:178]
	v_fma_f64 v[179:180], v[4:5], v[34:35], v[181:182]
	v_fma_f64 v[181:182], v[2:3], v[34:35], -v[36:37]
	ds_load_b128 v[2:5], v1 offset:1584
	scratch_load_b128 v[34:37], off, off offset:832
	s_wait_loadcnt_dscnt 0x901
	v_mul_f64_e32 v[175:176], v[159:160], v[167:168]
	v_mul_f64_e32 v[177:178], v[161:162], v[167:168]
	v_add_f64_e32 v[173:174], v[173:174], v[169:170]
	v_add_f64_e32 v[163:164], v[163:164], v[171:172]
	s_wait_loadcnt_dscnt 0x800
	v_mul_f64_e32 v[171:172], v[2:3], v[40:41]
	v_mul_f64_e32 v[40:41], v[4:5], v[40:41]
	ds_load_b128 v[167:170], v1 offset:1600
	v_fma_f64 v[175:176], v[161:162], v[165:166], v[175:176]
	v_fma_f64 v[165:166], v[159:160], v[165:166], -v[177:178]
	scratch_load_b128 v[159:162], off, off offset:848
	v_add_f64_e32 v[173:174], v[173:174], v[181:182]
	v_add_f64_e32 v[163:164], v[163:164], v[179:180]
	v_fma_f64 v[171:172], v[4:5], v[38:39], v[171:172]
	v_fma_f64 v[179:180], v[2:3], v[38:39], -v[40:41]
	ds_load_b128 v[2:5], v1 offset:1616
	s_wait_loadcnt_dscnt 0x801
	v_mul_f64_e32 v[177:178], v[167:168], v[8:9]
	v_mul_f64_e32 v[8:9], v[169:170], v[8:9]
	scratch_load_b128 v[38:41], off, off offset:864
	s_wait_loadcnt_dscnt 0x800
	v_mul_f64_e32 v[181:182], v[2:3], v[12:13]
	v_mul_f64_e32 v[12:13], v[4:5], v[12:13]
	v_add_f64_e32 v[173:174], v[173:174], v[165:166]
	v_add_f64_e32 v[175:176], v[163:164], v[175:176]
	ds_load_b128 v[163:166], v1 offset:1632
	v_fma_f64 v[169:170], v[169:170], v[6:7], v[177:178]
	v_fma_f64 v[167:168], v[167:168], v[6:7], -v[8:9]
	scratch_load_b128 v[6:9], off, off offset:880
	v_fma_f64 v[177:178], v[4:5], v[10:11], v[181:182]
	v_add_f64_e32 v[173:174], v[173:174], v[179:180]
	v_add_f64_e32 v[171:172], v[175:176], v[171:172]
	v_fma_f64 v[179:180], v[2:3], v[10:11], -v[12:13]
	ds_load_b128 v[2:5], v1 offset:1648
	s_wait_loadcnt_dscnt 0x801
	v_mul_f64_e32 v[175:176], v[163:164], v[16:17]
	v_mul_f64_e32 v[16:17], v[165:166], v[16:17]
	scratch_load_b128 v[10:13], off, off offset:896
	s_wait_loadcnt_dscnt 0x800
	v_mul_f64_e32 v[181:182], v[2:3], v[20:21]
	v_mul_f64_e32 v[20:21], v[4:5], v[20:21]
	v_add_f64_e32 v[173:174], v[173:174], v[167:168]
	v_add_f64_e32 v[171:172], v[171:172], v[169:170]
	ds_load_b128 v[167:170], v1 offset:1664
	v_fma_f64 v[165:166], v[165:166], v[14:15], v[175:176]
	v_fma_f64 v[14:15], v[163:164], v[14:15], -v[16:17]
	v_add_f64_e32 v[16:17], v[173:174], v[179:180]
	v_add_f64_e32 v[163:164], v[171:172], v[177:178]
	s_wait_loadcnt_dscnt 0x700
	v_mul_f64_e32 v[171:172], v[167:168], v[24:25]
	v_mul_f64_e32 v[24:25], v[169:170], v[24:25]
	v_fma_f64 v[173:174], v[4:5], v[18:19], v[181:182]
	v_fma_f64 v[18:19], v[2:3], v[18:19], -v[20:21]
	v_add_f64_e32 v[20:21], v[16:17], v[14:15]
	v_add_f64_e32 v[163:164], v[163:164], v[165:166]
	ds_load_b128 v[2:5], v1 offset:1680
	ds_load_b128 v[14:17], v1 offset:1696
	v_fma_f64 v[169:170], v[169:170], v[22:23], v[171:172]
	v_fma_f64 v[22:23], v[167:168], v[22:23], -v[24:25]
	s_wait_loadcnt_dscnt 0x601
	v_mul_f64_e32 v[165:166], v[2:3], v[28:29]
	v_mul_f64_e32 v[28:29], v[4:5], v[28:29]
	s_wait_loadcnt_dscnt 0x500
	v_mul_f64_e32 v[24:25], v[14:15], v[32:33]
	v_mul_f64_e32 v[32:33], v[16:17], v[32:33]
	v_add_f64_e32 v[18:19], v[20:21], v[18:19]
	v_add_f64_e32 v[20:21], v[163:164], v[173:174]
	v_fma_f64 v[163:164], v[4:5], v[26:27], v[165:166]
	v_fma_f64 v[26:27], v[2:3], v[26:27], -v[28:29]
	v_fma_f64 v[16:17], v[16:17], v[30:31], v[24:25]
	v_fma_f64 v[14:15], v[14:15], v[30:31], -v[32:33]
	v_add_f64_e32 v[22:23], v[18:19], v[22:23]
	v_add_f64_e32 v[28:29], v[20:21], v[169:170]
	ds_load_b128 v[2:5], v1 offset:1712
	ds_load_b128 v[18:21], v1 offset:1728
	s_wait_loadcnt_dscnt 0x401
	v_mul_f64_e32 v[165:166], v[2:3], v[36:37]
	v_mul_f64_e32 v[36:37], v[4:5], v[36:37]
	v_add_f64_e32 v[22:23], v[22:23], v[26:27]
	v_add_f64_e32 v[24:25], v[28:29], v[163:164]
	s_wait_loadcnt_dscnt 0x300
	v_mul_f64_e32 v[26:27], v[18:19], v[161:162]
	v_mul_f64_e32 v[28:29], v[20:21], v[161:162]
	v_fma_f64 v[30:31], v[4:5], v[34:35], v[165:166]
	v_fma_f64 v[32:33], v[2:3], v[34:35], -v[36:37]
	v_add_f64_e32 v[22:23], v[22:23], v[14:15]
	v_add_f64_e32 v[24:25], v[24:25], v[16:17]
	ds_load_b128 v[2:5], v1 offset:1744
	ds_load_b128 v[14:17], v1 offset:1760
	v_fma_f64 v[20:21], v[20:21], v[159:160], v[26:27]
	v_fma_f64 v[18:19], v[18:19], v[159:160], -v[28:29]
	s_wait_loadcnt_dscnt 0x201
	v_mul_f64_e32 v[34:35], v[2:3], v[40:41]
	v_mul_f64_e32 v[36:37], v[4:5], v[40:41]
	s_wait_loadcnt_dscnt 0x100
	v_mul_f64_e32 v[26:27], v[14:15], v[8:9]
	v_mul_f64_e32 v[8:9], v[16:17], v[8:9]
	v_add_f64_e32 v[22:23], v[22:23], v[32:33]
	v_add_f64_e32 v[24:25], v[24:25], v[30:31]
	v_fma_f64 v[28:29], v[4:5], v[38:39], v[34:35]
	v_fma_f64 v[30:31], v[2:3], v[38:39], -v[36:37]
	ds_load_b128 v[2:5], v1 offset:1776
	v_fma_f64 v[16:17], v[16:17], v[6:7], v[26:27]
	v_fma_f64 v[6:7], v[14:15], v[6:7], -v[8:9]
	v_add_f64_e32 v[18:19], v[22:23], v[18:19]
	v_add_f64_e32 v[20:21], v[24:25], v[20:21]
	s_wait_loadcnt_dscnt 0x0
	v_mul_f64_e32 v[22:23], v[2:3], v[12:13]
	v_mul_f64_e32 v[12:13], v[4:5], v[12:13]
	s_delay_alu instid0(VALU_DEP_4) | instskip(NEXT) | instid1(VALU_DEP_4)
	v_add_f64_e32 v[8:9], v[18:19], v[30:31]
	v_add_f64_e32 v[14:15], v[20:21], v[28:29]
	s_delay_alu instid0(VALU_DEP_4) | instskip(NEXT) | instid1(VALU_DEP_4)
	v_fma_f64 v[4:5], v[4:5], v[10:11], v[22:23]
	v_fma_f64 v[2:3], v[2:3], v[10:11], -v[12:13]
	s_delay_alu instid0(VALU_DEP_4) | instskip(NEXT) | instid1(VALU_DEP_4)
	v_add_f64_e32 v[6:7], v[8:9], v[6:7]
	v_add_f64_e32 v[8:9], v[14:15], v[16:17]
	s_delay_alu instid0(VALU_DEP_2) | instskip(NEXT) | instid1(VALU_DEP_2)
	v_add_f64_e32 v[2:3], v[6:7], v[2:3]
	v_add_f64_e32 v[4:5], v[8:9], v[4:5]
	s_delay_alu instid0(VALU_DEP_2) | instskip(NEXT) | instid1(VALU_DEP_2)
	v_add_f64_e64 v[2:3], v[42:43], -v[2:3]
	v_add_f64_e64 v[4:5], v[44:45], -v[4:5]
	scratch_store_b128 off, v[2:5], off offset:48
	v_cmpx_lt_u32_e32 1, v0
	s_cbranch_execz .LBB119_347
; %bb.346:
	scratch_load_b128 v[5:8], off, s15
	v_dual_mov_b32 v2, v1 :: v_dual_mov_b32 v3, v1
	v_mov_b32_e32 v4, v1
	scratch_store_b128 off, v[1:4], off offset:32
	s_wait_loadcnt 0x0
	ds_store_b128 v158, v[5:8]
.LBB119_347:
	s_wait_alu 0xfffe
	s_or_b32 exec_lo, exec_lo, s0
	s_wait_storecnt_dscnt 0x0
	s_barrier_signal -1
	s_barrier_wait -1
	global_inv scope:SCOPE_SE
	s_clause 0x8
	scratch_load_b128 v[2:5], off, off offset:48
	scratch_load_b128 v[6:9], off, off offset:64
	;; [unrolled: 1-line block ×9, first 2 shown]
	ds_load_b128 v[42:45], v1 offset:928
	ds_load_b128 v[38:41], v1 offset:944
	s_clause 0x1
	scratch_load_b128 v[159:162], off, off offset:32
	scratch_load_b128 v[163:166], off, off offset:192
	s_mov_b32 s0, exec_lo
	s_wait_loadcnt_dscnt 0xa01
	v_mul_f64_e32 v[167:168], v[44:45], v[4:5]
	v_mul_f64_e32 v[4:5], v[42:43], v[4:5]
	s_wait_loadcnt_dscnt 0x900
	v_mul_f64_e32 v[171:172], v[38:39], v[8:9]
	v_mul_f64_e32 v[8:9], v[40:41], v[8:9]
	s_delay_alu instid0(VALU_DEP_4) | instskip(NEXT) | instid1(VALU_DEP_4)
	v_fma_f64 v[173:174], v[42:43], v[2:3], -v[167:168]
	v_fma_f64 v[175:176], v[44:45], v[2:3], v[4:5]
	ds_load_b128 v[2:5], v1 offset:960
	ds_load_b128 v[167:170], v1 offset:976
	scratch_load_b128 v[42:45], off, off offset:208
	v_fma_f64 v[40:41], v[40:41], v[6:7], v[171:172]
	v_fma_f64 v[38:39], v[38:39], v[6:7], -v[8:9]
	scratch_load_b128 v[6:9], off, off offset:224
	s_wait_loadcnt_dscnt 0xa01
	v_mul_f64_e32 v[177:178], v[2:3], v[12:13]
	v_mul_f64_e32 v[12:13], v[4:5], v[12:13]
	v_add_f64_e32 v[171:172], 0, v[173:174]
	v_add_f64_e32 v[173:174], 0, v[175:176]
	s_wait_loadcnt_dscnt 0x900
	v_mul_f64_e32 v[175:176], v[167:168], v[16:17]
	v_mul_f64_e32 v[16:17], v[169:170], v[16:17]
	v_fma_f64 v[177:178], v[4:5], v[10:11], v[177:178]
	v_fma_f64 v[179:180], v[2:3], v[10:11], -v[12:13]
	ds_load_b128 v[2:5], v1 offset:992
	scratch_load_b128 v[10:13], off, off offset:240
	v_add_f64_e32 v[171:172], v[171:172], v[38:39]
	v_add_f64_e32 v[173:174], v[173:174], v[40:41]
	ds_load_b128 v[38:41], v1 offset:1008
	v_fma_f64 v[169:170], v[169:170], v[14:15], v[175:176]
	v_fma_f64 v[167:168], v[167:168], v[14:15], -v[16:17]
	scratch_load_b128 v[14:17], off, off offset:256
	s_wait_loadcnt_dscnt 0xa01
	v_mul_f64_e32 v[181:182], v[2:3], v[20:21]
	v_mul_f64_e32 v[20:21], v[4:5], v[20:21]
	s_wait_loadcnt_dscnt 0x900
	v_mul_f64_e32 v[175:176], v[38:39], v[24:25]
	v_mul_f64_e32 v[24:25], v[40:41], v[24:25]
	v_add_f64_e32 v[171:172], v[171:172], v[179:180]
	v_add_f64_e32 v[173:174], v[173:174], v[177:178]
	v_fma_f64 v[177:178], v[4:5], v[18:19], v[181:182]
	v_fma_f64 v[179:180], v[2:3], v[18:19], -v[20:21]
	ds_load_b128 v[2:5], v1 offset:1024
	scratch_load_b128 v[18:21], off, off offset:272
	v_fma_f64 v[40:41], v[40:41], v[22:23], v[175:176]
	v_fma_f64 v[38:39], v[38:39], v[22:23], -v[24:25]
	scratch_load_b128 v[22:25], off, off offset:288
	v_add_f64_e32 v[171:172], v[171:172], v[167:168]
	v_add_f64_e32 v[173:174], v[173:174], v[169:170]
	ds_load_b128 v[167:170], v1 offset:1040
	s_wait_loadcnt_dscnt 0xa01
	v_mul_f64_e32 v[181:182], v[2:3], v[28:29]
	v_mul_f64_e32 v[28:29], v[4:5], v[28:29]
	s_wait_loadcnt_dscnt 0x900
	v_mul_f64_e32 v[175:176], v[167:168], v[32:33]
	v_mul_f64_e32 v[32:33], v[169:170], v[32:33]
	v_add_f64_e32 v[171:172], v[171:172], v[179:180]
	v_add_f64_e32 v[173:174], v[173:174], v[177:178]
	v_fma_f64 v[177:178], v[4:5], v[26:27], v[181:182]
	v_fma_f64 v[179:180], v[2:3], v[26:27], -v[28:29]
	ds_load_b128 v[2:5], v1 offset:1056
	scratch_load_b128 v[26:29], off, off offset:304
	v_fma_f64 v[169:170], v[169:170], v[30:31], v[175:176]
	v_fma_f64 v[167:168], v[167:168], v[30:31], -v[32:33]
	scratch_load_b128 v[30:33], off, off offset:320
	v_add_f64_e32 v[171:172], v[171:172], v[38:39]
	v_add_f64_e32 v[173:174], v[173:174], v[40:41]
	ds_load_b128 v[38:41], v1 offset:1072
	s_wait_loadcnt_dscnt 0xa01
	v_mul_f64_e32 v[181:182], v[2:3], v[36:37]
	v_mul_f64_e32 v[36:37], v[4:5], v[36:37]
	s_wait_loadcnt_dscnt 0x800
	v_mul_f64_e32 v[175:176], v[38:39], v[165:166]
	v_add_f64_e32 v[171:172], v[171:172], v[179:180]
	v_add_f64_e32 v[173:174], v[173:174], v[177:178]
	v_mul_f64_e32 v[177:178], v[40:41], v[165:166]
	v_fma_f64 v[179:180], v[4:5], v[34:35], v[181:182]
	v_fma_f64 v[181:182], v[2:3], v[34:35], -v[36:37]
	ds_load_b128 v[2:5], v1 offset:1088
	scratch_load_b128 v[34:37], off, off offset:336
	v_fma_f64 v[175:176], v[40:41], v[163:164], v[175:176]
	v_add_f64_e32 v[171:172], v[171:172], v[167:168]
	v_add_f64_e32 v[169:170], v[173:174], v[169:170]
	ds_load_b128 v[165:168], v1 offset:1104
	v_fma_f64 v[163:164], v[38:39], v[163:164], -v[177:178]
	scratch_load_b128 v[38:41], off, off offset:352
	s_wait_loadcnt_dscnt 0x901
	v_mul_f64_e32 v[173:174], v[2:3], v[44:45]
	v_mul_f64_e32 v[44:45], v[4:5], v[44:45]
	s_wait_loadcnt_dscnt 0x800
	v_mul_f64_e32 v[177:178], v[165:166], v[8:9]
	v_mul_f64_e32 v[8:9], v[167:168], v[8:9]
	v_add_f64_e32 v[171:172], v[171:172], v[181:182]
	v_add_f64_e32 v[169:170], v[169:170], v[179:180]
	v_fma_f64 v[173:174], v[4:5], v[42:43], v[173:174]
	v_fma_f64 v[179:180], v[2:3], v[42:43], -v[44:45]
	ds_load_b128 v[2:5], v1 offset:1120
	scratch_load_b128 v[42:45], off, off offset:368
	v_fma_f64 v[167:168], v[167:168], v[6:7], v[177:178]
	v_fma_f64 v[165:166], v[165:166], v[6:7], -v[8:9]
	scratch_load_b128 v[6:9], off, off offset:384
	v_add_f64_e32 v[163:164], v[171:172], v[163:164]
	v_add_f64_e32 v[175:176], v[169:170], v[175:176]
	ds_load_b128 v[169:172], v1 offset:1136
	s_wait_loadcnt_dscnt 0x901
	v_mul_f64_e32 v[181:182], v[2:3], v[12:13]
	v_mul_f64_e32 v[12:13], v[4:5], v[12:13]
	v_add_f64_e32 v[163:164], v[163:164], v[179:180]
	v_add_f64_e32 v[173:174], v[175:176], v[173:174]
	s_wait_loadcnt_dscnt 0x800
	v_mul_f64_e32 v[175:176], v[169:170], v[16:17]
	v_mul_f64_e32 v[16:17], v[171:172], v[16:17]
	v_fma_f64 v[177:178], v[4:5], v[10:11], v[181:182]
	v_fma_f64 v[179:180], v[2:3], v[10:11], -v[12:13]
	ds_load_b128 v[2:5], v1 offset:1152
	scratch_load_b128 v[10:13], off, off offset:400
	v_add_f64_e32 v[181:182], v[163:164], v[165:166]
	v_add_f64_e32 v[167:168], v[173:174], v[167:168]
	ds_load_b128 v[163:166], v1 offset:1168
	s_wait_loadcnt_dscnt 0x801
	v_mul_f64_e32 v[173:174], v[2:3], v[20:21]
	v_mul_f64_e32 v[20:21], v[4:5], v[20:21]
	v_fma_f64 v[171:172], v[171:172], v[14:15], v[175:176]
	v_fma_f64 v[169:170], v[169:170], v[14:15], -v[16:17]
	scratch_load_b128 v[14:17], off, off offset:416
	v_add_f64_e32 v[175:176], v[181:182], v[179:180]
	v_add_f64_e32 v[167:168], v[167:168], v[177:178]
	s_wait_loadcnt_dscnt 0x800
	v_mul_f64_e32 v[177:178], v[163:164], v[24:25]
	v_mul_f64_e32 v[24:25], v[165:166], v[24:25]
	v_fma_f64 v[173:174], v[4:5], v[18:19], v[173:174]
	v_fma_f64 v[179:180], v[2:3], v[18:19], -v[20:21]
	ds_load_b128 v[2:5], v1 offset:1184
	scratch_load_b128 v[18:21], off, off offset:432
	v_add_f64_e32 v[175:176], v[175:176], v[169:170]
	v_add_f64_e32 v[171:172], v[167:168], v[171:172]
	ds_load_b128 v[167:170], v1 offset:1200
	s_wait_loadcnt_dscnt 0x801
	v_mul_f64_e32 v[181:182], v[2:3], v[28:29]
	v_mul_f64_e32 v[28:29], v[4:5], v[28:29]
	v_fma_f64 v[165:166], v[165:166], v[22:23], v[177:178]
	v_fma_f64 v[163:164], v[163:164], v[22:23], -v[24:25]
	scratch_load_b128 v[22:25], off, off offset:448
	;; [unrolled: 18-line block ×4, first 2 shown]
	s_wait_loadcnt_dscnt 0x800
	v_mul_f64_e32 v[175:176], v[167:168], v[8:9]
	v_mul_f64_e32 v[8:9], v[169:170], v[8:9]
	v_add_f64_e32 v[173:174], v[173:174], v[179:180]
	v_add_f64_e32 v[171:172], v[171:172], v[177:178]
	v_fma_f64 v[177:178], v[4:5], v[42:43], v[181:182]
	v_fma_f64 v[179:180], v[2:3], v[42:43], -v[44:45]
	ds_load_b128 v[2:5], v1 offset:1280
	scratch_load_b128 v[42:45], off, off offset:528
	v_fma_f64 v[169:170], v[169:170], v[6:7], v[175:176]
	v_fma_f64 v[167:168], v[167:168], v[6:7], -v[8:9]
	scratch_load_b128 v[6:9], off, off offset:544
	v_add_f64_e32 v[173:174], v[173:174], v[163:164]
	v_add_f64_e32 v[171:172], v[171:172], v[165:166]
	ds_load_b128 v[163:166], v1 offset:1296
	s_wait_loadcnt_dscnt 0x901
	v_mul_f64_e32 v[181:182], v[2:3], v[12:13]
	v_mul_f64_e32 v[12:13], v[4:5], v[12:13]
	s_wait_loadcnt_dscnt 0x800
	v_mul_f64_e32 v[175:176], v[163:164], v[16:17]
	v_mul_f64_e32 v[16:17], v[165:166], v[16:17]
	v_add_f64_e32 v[173:174], v[173:174], v[179:180]
	v_add_f64_e32 v[171:172], v[171:172], v[177:178]
	v_fma_f64 v[177:178], v[4:5], v[10:11], v[181:182]
	v_fma_f64 v[179:180], v[2:3], v[10:11], -v[12:13]
	ds_load_b128 v[2:5], v1 offset:1312
	scratch_load_b128 v[10:13], off, off offset:560
	v_fma_f64 v[165:166], v[165:166], v[14:15], v[175:176]
	v_fma_f64 v[163:164], v[163:164], v[14:15], -v[16:17]
	scratch_load_b128 v[14:17], off, off offset:576
	v_add_f64_e32 v[173:174], v[173:174], v[167:168]
	v_add_f64_e32 v[171:172], v[171:172], v[169:170]
	ds_load_b128 v[167:170], v1 offset:1328
	s_wait_loadcnt_dscnt 0x901
	v_mul_f64_e32 v[181:182], v[2:3], v[20:21]
	v_mul_f64_e32 v[20:21], v[4:5], v[20:21]
	;; [unrolled: 18-line block ×12, first 2 shown]
	s_wait_loadcnt_dscnt 0x800
	v_mul_f64_e32 v[175:176], v[167:168], v[24:25]
	v_mul_f64_e32 v[24:25], v[169:170], v[24:25]
	v_add_f64_e32 v[173:174], v[173:174], v[179:180]
	v_add_f64_e32 v[171:172], v[171:172], v[177:178]
	v_fma_f64 v[177:178], v[4:5], v[18:19], v[181:182]
	v_fma_f64 v[179:180], v[2:3], v[18:19], -v[20:21]
	ds_load_b128 v[2:5], v1 offset:1664
	ds_load_b128 v[18:21], v1 offset:1680
	v_fma_f64 v[169:170], v[169:170], v[22:23], v[175:176]
	v_fma_f64 v[22:23], v[167:168], v[22:23], -v[24:25]
	v_add_f64_e32 v[163:164], v[173:174], v[163:164]
	v_add_f64_e32 v[165:166], v[171:172], v[165:166]
	s_wait_loadcnt_dscnt 0x701
	v_mul_f64_e32 v[171:172], v[2:3], v[28:29]
	v_mul_f64_e32 v[28:29], v[4:5], v[28:29]
	s_delay_alu instid0(VALU_DEP_4) | instskip(NEXT) | instid1(VALU_DEP_4)
	v_add_f64_e32 v[24:25], v[163:164], v[179:180]
	v_add_f64_e32 v[163:164], v[165:166], v[177:178]
	s_wait_loadcnt_dscnt 0x600
	v_mul_f64_e32 v[165:166], v[18:19], v[32:33]
	v_mul_f64_e32 v[32:33], v[20:21], v[32:33]
	v_fma_f64 v[167:168], v[4:5], v[26:27], v[171:172]
	v_fma_f64 v[26:27], v[2:3], v[26:27], -v[28:29]
	v_add_f64_e32 v[28:29], v[24:25], v[22:23]
	v_add_f64_e32 v[163:164], v[163:164], v[169:170]
	ds_load_b128 v[2:5], v1 offset:1696
	ds_load_b128 v[22:25], v1 offset:1712
	v_fma_f64 v[20:21], v[20:21], v[30:31], v[165:166]
	v_fma_f64 v[18:19], v[18:19], v[30:31], -v[32:33]
	s_wait_loadcnt_dscnt 0x501
	v_mul_f64_e32 v[169:170], v[2:3], v[36:37]
	v_mul_f64_e32 v[36:37], v[4:5], v[36:37]
	s_wait_loadcnt_dscnt 0x400
	v_mul_f64_e32 v[30:31], v[22:23], v[40:41]
	v_mul_f64_e32 v[32:33], v[24:25], v[40:41]
	v_add_f64_e32 v[26:27], v[28:29], v[26:27]
	v_add_f64_e32 v[28:29], v[163:164], v[167:168]
	v_fma_f64 v[40:41], v[4:5], v[34:35], v[169:170]
	v_fma_f64 v[34:35], v[2:3], v[34:35], -v[36:37]
	v_fma_f64 v[24:25], v[24:25], v[38:39], v[30:31]
	v_fma_f64 v[22:23], v[22:23], v[38:39], -v[32:33]
	v_add_f64_e32 v[26:27], v[26:27], v[18:19]
	v_add_f64_e32 v[28:29], v[28:29], v[20:21]
	ds_load_b128 v[2:5], v1 offset:1728
	ds_load_b128 v[18:21], v1 offset:1744
	s_wait_loadcnt_dscnt 0x301
	v_mul_f64_e32 v[36:37], v[2:3], v[44:45]
	v_mul_f64_e32 v[44:45], v[4:5], v[44:45]
	s_wait_loadcnt_dscnt 0x200
	v_mul_f64_e32 v[30:31], v[18:19], v[8:9]
	v_mul_f64_e32 v[8:9], v[20:21], v[8:9]
	v_add_f64_e32 v[26:27], v[26:27], v[34:35]
	v_add_f64_e32 v[28:29], v[28:29], v[40:41]
	v_fma_f64 v[32:33], v[4:5], v[42:43], v[36:37]
	v_fma_f64 v[34:35], v[2:3], v[42:43], -v[44:45]
	v_fma_f64 v[20:21], v[20:21], v[6:7], v[30:31]
	v_fma_f64 v[6:7], v[18:19], v[6:7], -v[8:9]
	v_add_f64_e32 v[26:27], v[26:27], v[22:23]
	v_add_f64_e32 v[28:29], v[28:29], v[24:25]
	ds_load_b128 v[2:5], v1 offset:1760
	ds_load_b128 v[22:25], v1 offset:1776
	s_wait_loadcnt_dscnt 0x101
	v_mul_f64_e32 v[36:37], v[2:3], v[12:13]
	v_mul_f64_e32 v[12:13], v[4:5], v[12:13]
	v_add_f64_e32 v[8:9], v[26:27], v[34:35]
	v_add_f64_e32 v[18:19], v[28:29], v[32:33]
	s_wait_loadcnt_dscnt 0x0
	v_mul_f64_e32 v[26:27], v[22:23], v[16:17]
	v_mul_f64_e32 v[16:17], v[24:25], v[16:17]
	v_fma_f64 v[4:5], v[4:5], v[10:11], v[36:37]
	v_fma_f64 v[1:2], v[2:3], v[10:11], -v[12:13]
	v_add_f64_e32 v[6:7], v[8:9], v[6:7]
	v_add_f64_e32 v[8:9], v[18:19], v[20:21]
	v_fma_f64 v[10:11], v[24:25], v[14:15], v[26:27]
	v_fma_f64 v[12:13], v[22:23], v[14:15], -v[16:17]
	s_delay_alu instid0(VALU_DEP_4) | instskip(NEXT) | instid1(VALU_DEP_4)
	v_add_f64_e32 v[1:2], v[6:7], v[1:2]
	v_add_f64_e32 v[3:4], v[8:9], v[4:5]
	s_delay_alu instid0(VALU_DEP_2) | instskip(NEXT) | instid1(VALU_DEP_2)
	v_add_f64_e32 v[1:2], v[1:2], v[12:13]
	v_add_f64_e32 v[3:4], v[3:4], v[10:11]
	s_delay_alu instid0(VALU_DEP_2) | instskip(NEXT) | instid1(VALU_DEP_2)
	v_add_f64_e64 v[1:2], v[159:160], -v[1:2]
	v_add_f64_e64 v[3:4], v[161:162], -v[3:4]
	scratch_store_b128 off, v[1:4], off offset:32
	v_cmpx_ne_u32_e32 0, v0
	s_cbranch_execz .LBB119_349
; %bb.348:
	scratch_load_b128 v[0:3], off, off offset:16
	v_mov_b32_e32 v4, 0
	s_delay_alu instid0(VALU_DEP_1)
	v_dual_mov_b32 v5, v4 :: v_dual_mov_b32 v6, v4
	v_mov_b32_e32 v7, v4
	scratch_store_b128 off, v[4:7], off offset:16
	s_wait_loadcnt 0x0
	ds_store_b128 v158, v[0:3]
.LBB119_349:
	s_wait_alu 0xfffe
	s_or_b32 exec_lo, exec_lo, s0
	s_wait_storecnt_dscnt 0x0
	s_barrier_signal -1
	s_barrier_wait -1
	global_inv scope:SCOPE_SE
	s_clause 0x7
	scratch_load_b128 v[0:3], off, off offset:32
	scratch_load_b128 v[4:7], off, off offset:48
	scratch_load_b128 v[8:11], off, off offset:64
	scratch_load_b128 v[12:15], off, off offset:80
	scratch_load_b128 v[16:19], off, off offset:96
	scratch_load_b128 v[20:23], off, off offset:112
	scratch_load_b128 v[24:27], off, off offset:128
	scratch_load_b128 v[28:31], off, off offset:144
	v_mov_b32_e32 v40, 0
	s_and_b32 vcc_lo, exec_lo, s12
	ds_load_b128 v[36:39], v40 offset:912
	s_clause 0x1
	scratch_load_b128 v[32:35], off, off offset:160
	scratch_load_b128 v[41:44], off, off offset:16
	ds_load_b128 v[158:161], v40 offset:928
	scratch_load_b128 v[162:165], off, off offset:176
	s_wait_loadcnt_dscnt 0xa01
	v_mul_f64_e32 v[166:167], v[38:39], v[2:3]
	v_mul_f64_e32 v[2:3], v[36:37], v[2:3]
	s_delay_alu instid0(VALU_DEP_2) | instskip(NEXT) | instid1(VALU_DEP_2)
	v_fma_f64 v[172:173], v[36:37], v[0:1], -v[166:167]
	v_fma_f64 v[174:175], v[38:39], v[0:1], v[2:3]
	ds_load_b128 v[0:3], v40 offset:944
	s_wait_loadcnt_dscnt 0x901
	v_mul_f64_e32 v[170:171], v[158:159], v[6:7]
	v_mul_f64_e32 v[6:7], v[160:161], v[6:7]
	scratch_load_b128 v[36:39], off, off offset:192
	ds_load_b128 v[166:169], v40 offset:960
	s_wait_loadcnt_dscnt 0x901
	v_mul_f64_e32 v[176:177], v[0:1], v[10:11]
	v_mul_f64_e32 v[10:11], v[2:3], v[10:11]
	v_fma_f64 v[160:161], v[160:161], v[4:5], v[170:171]
	v_fma_f64 v[158:159], v[158:159], v[4:5], -v[6:7]
	v_add_f64_e32 v[170:171], 0, v[172:173]
	v_add_f64_e32 v[172:173], 0, v[174:175]
	scratch_load_b128 v[4:7], off, off offset:208
	v_fma_f64 v[176:177], v[2:3], v[8:9], v[176:177]
	v_fma_f64 v[178:179], v[0:1], v[8:9], -v[10:11]
	ds_load_b128 v[0:3], v40 offset:976
	s_wait_loadcnt_dscnt 0x901
	v_mul_f64_e32 v[174:175], v[166:167], v[14:15]
	v_mul_f64_e32 v[14:15], v[168:169], v[14:15]
	scratch_load_b128 v[8:11], off, off offset:224
	v_add_f64_e32 v[170:171], v[170:171], v[158:159]
	v_add_f64_e32 v[172:173], v[172:173], v[160:161]
	s_wait_loadcnt_dscnt 0x900
	v_mul_f64_e32 v[180:181], v[0:1], v[18:19]
	v_mul_f64_e32 v[18:19], v[2:3], v[18:19]
	ds_load_b128 v[158:161], v40 offset:992
	v_fma_f64 v[168:169], v[168:169], v[12:13], v[174:175]
	v_fma_f64 v[166:167], v[166:167], v[12:13], -v[14:15]
	scratch_load_b128 v[12:15], off, off offset:240
	v_add_f64_e32 v[170:171], v[170:171], v[178:179]
	v_add_f64_e32 v[172:173], v[172:173], v[176:177]
	v_fma_f64 v[176:177], v[2:3], v[16:17], v[180:181]
	v_fma_f64 v[178:179], v[0:1], v[16:17], -v[18:19]
	ds_load_b128 v[0:3], v40 offset:1008
	s_wait_loadcnt_dscnt 0x901
	v_mul_f64_e32 v[174:175], v[158:159], v[22:23]
	v_mul_f64_e32 v[22:23], v[160:161], v[22:23]
	scratch_load_b128 v[16:19], off, off offset:256
	s_wait_loadcnt_dscnt 0x900
	v_mul_f64_e32 v[180:181], v[0:1], v[26:27]
	v_mul_f64_e32 v[26:27], v[2:3], v[26:27]
	v_add_f64_e32 v[170:171], v[170:171], v[166:167]
	v_add_f64_e32 v[172:173], v[172:173], v[168:169]
	ds_load_b128 v[166:169], v40 offset:1024
	v_fma_f64 v[160:161], v[160:161], v[20:21], v[174:175]
	v_fma_f64 v[158:159], v[158:159], v[20:21], -v[22:23]
	scratch_load_b128 v[20:23], off, off offset:272
	v_add_f64_e32 v[170:171], v[170:171], v[178:179]
	v_add_f64_e32 v[172:173], v[172:173], v[176:177]
	v_fma_f64 v[176:177], v[2:3], v[24:25], v[180:181]
	v_fma_f64 v[178:179], v[0:1], v[24:25], -v[26:27]
	ds_load_b128 v[0:3], v40 offset:1040
	s_wait_loadcnt_dscnt 0x901
	v_mul_f64_e32 v[174:175], v[166:167], v[30:31]
	v_mul_f64_e32 v[30:31], v[168:169], v[30:31]
	scratch_load_b128 v[24:27], off, off offset:288
	s_wait_loadcnt_dscnt 0x900
	v_mul_f64_e32 v[180:181], v[0:1], v[34:35]
	v_mul_f64_e32 v[34:35], v[2:3], v[34:35]
	v_add_f64_e32 v[170:171], v[170:171], v[158:159]
	v_add_f64_e32 v[172:173], v[172:173], v[160:161]
	ds_load_b128 v[158:161], v40 offset:1056
	v_fma_f64 v[168:169], v[168:169], v[28:29], v[174:175]
	v_fma_f64 v[166:167], v[166:167], v[28:29], -v[30:31]
	scratch_load_b128 v[28:31], off, off offset:304
	v_add_f64_e32 v[170:171], v[170:171], v[178:179]
	v_add_f64_e32 v[172:173], v[172:173], v[176:177]
	v_fma_f64 v[178:179], v[2:3], v[32:33], v[180:181]
	v_fma_f64 v[180:181], v[0:1], v[32:33], -v[34:35]
	ds_load_b128 v[0:3], v40 offset:1072
	s_wait_loadcnt_dscnt 0x801
	v_mul_f64_e32 v[174:175], v[158:159], v[164:165]
	v_mul_f64_e32 v[176:177], v[160:161], v[164:165]
	scratch_load_b128 v[32:35], off, off offset:320
	v_add_f64_e32 v[170:171], v[170:171], v[166:167]
	v_add_f64_e32 v[168:169], v[172:173], v[168:169]
	ds_load_b128 v[164:167], v40 offset:1088
	v_fma_f64 v[174:175], v[160:161], v[162:163], v[174:175]
	v_fma_f64 v[162:163], v[158:159], v[162:163], -v[176:177]
	scratch_load_b128 v[158:161], off, off offset:336
	s_wait_loadcnt_dscnt 0x901
	v_mul_f64_e32 v[172:173], v[0:1], v[38:39]
	v_mul_f64_e32 v[38:39], v[2:3], v[38:39]
	v_add_f64_e32 v[170:171], v[170:171], v[180:181]
	v_add_f64_e32 v[168:169], v[168:169], v[178:179]
	s_delay_alu instid0(VALU_DEP_4) | instskip(NEXT) | instid1(VALU_DEP_4)
	v_fma_f64 v[172:173], v[2:3], v[36:37], v[172:173]
	v_fma_f64 v[178:179], v[0:1], v[36:37], -v[38:39]
	ds_load_b128 v[0:3], v40 offset:1104
	s_wait_loadcnt_dscnt 0x801
	v_mul_f64_e32 v[176:177], v[164:165], v[6:7]
	v_mul_f64_e32 v[6:7], v[166:167], v[6:7]
	scratch_load_b128 v[36:39], off, off offset:352
	s_wait_loadcnt_dscnt 0x800
	v_mul_f64_e32 v[180:181], v[0:1], v[10:11]
	v_add_f64_e32 v[162:163], v[170:171], v[162:163]
	v_add_f64_e32 v[174:175], v[168:169], v[174:175]
	v_mul_f64_e32 v[10:11], v[2:3], v[10:11]
	ds_load_b128 v[168:171], v40 offset:1120
	v_fma_f64 v[166:167], v[166:167], v[4:5], v[176:177]
	v_fma_f64 v[164:165], v[164:165], v[4:5], -v[6:7]
	scratch_load_b128 v[4:7], off, off offset:368
	v_fma_f64 v[176:177], v[2:3], v[8:9], v[180:181]
	v_add_f64_e32 v[162:163], v[162:163], v[178:179]
	v_add_f64_e32 v[172:173], v[174:175], v[172:173]
	v_fma_f64 v[178:179], v[0:1], v[8:9], -v[10:11]
	ds_load_b128 v[0:3], v40 offset:1136
	s_wait_loadcnt_dscnt 0x801
	v_mul_f64_e32 v[174:175], v[168:169], v[14:15]
	v_mul_f64_e32 v[14:15], v[170:171], v[14:15]
	scratch_load_b128 v[8:11], off, off offset:384
	v_add_f64_e32 v[180:181], v[162:163], v[164:165]
	v_add_f64_e32 v[166:167], v[172:173], v[166:167]
	s_wait_loadcnt_dscnt 0x800
	v_mul_f64_e32 v[172:173], v[0:1], v[18:19]
	v_mul_f64_e32 v[18:19], v[2:3], v[18:19]
	v_fma_f64 v[170:171], v[170:171], v[12:13], v[174:175]
	v_fma_f64 v[168:169], v[168:169], v[12:13], -v[14:15]
	ds_load_b128 v[162:165], v40 offset:1152
	scratch_load_b128 v[12:15], off, off offset:400
	v_add_f64_e32 v[174:175], v[180:181], v[178:179]
	v_add_f64_e32 v[166:167], v[166:167], v[176:177]
	v_fma_f64 v[172:173], v[2:3], v[16:17], v[172:173]
	v_fma_f64 v[178:179], v[0:1], v[16:17], -v[18:19]
	ds_load_b128 v[0:3], v40 offset:1168
	s_wait_loadcnt_dscnt 0x801
	v_mul_f64_e32 v[176:177], v[162:163], v[22:23]
	v_mul_f64_e32 v[22:23], v[164:165], v[22:23]
	scratch_load_b128 v[16:19], off, off offset:416
	s_wait_loadcnt_dscnt 0x800
	v_mul_f64_e32 v[180:181], v[0:1], v[26:27]
	v_mul_f64_e32 v[26:27], v[2:3], v[26:27]
	v_add_f64_e32 v[174:175], v[174:175], v[168:169]
	v_add_f64_e32 v[170:171], v[166:167], v[170:171]
	ds_load_b128 v[166:169], v40 offset:1184
	v_fma_f64 v[164:165], v[164:165], v[20:21], v[176:177]
	v_fma_f64 v[162:163], v[162:163], v[20:21], -v[22:23]
	scratch_load_b128 v[20:23], off, off offset:432
	v_fma_f64 v[176:177], v[2:3], v[24:25], v[180:181]
	v_add_f64_e32 v[174:175], v[174:175], v[178:179]
	v_add_f64_e32 v[170:171], v[170:171], v[172:173]
	v_fma_f64 v[178:179], v[0:1], v[24:25], -v[26:27]
	ds_load_b128 v[0:3], v40 offset:1200
	s_wait_loadcnt_dscnt 0x801
	v_mul_f64_e32 v[172:173], v[166:167], v[30:31]
	v_mul_f64_e32 v[30:31], v[168:169], v[30:31]
	scratch_load_b128 v[24:27], off, off offset:448
	s_wait_loadcnt_dscnt 0x800
	v_mul_f64_e32 v[180:181], v[0:1], v[34:35]
	v_mul_f64_e32 v[34:35], v[2:3], v[34:35]
	v_add_f64_e32 v[174:175], v[174:175], v[162:163]
	v_add_f64_e32 v[170:171], v[170:171], v[164:165]
	ds_load_b128 v[162:165], v40 offset:1216
	v_fma_f64 v[168:169], v[168:169], v[28:29], v[172:173]
	v_fma_f64 v[166:167], v[166:167], v[28:29], -v[30:31]
	scratch_load_b128 v[28:31], off, off offset:464
	v_add_f64_e32 v[172:173], v[174:175], v[178:179]
	v_add_f64_e32 v[170:171], v[170:171], v[176:177]
	v_fma_f64 v[176:177], v[2:3], v[32:33], v[180:181]
	v_fma_f64 v[178:179], v[0:1], v[32:33], -v[34:35]
	ds_load_b128 v[0:3], v40 offset:1232
	s_wait_loadcnt_dscnt 0x801
	v_mul_f64_e32 v[174:175], v[162:163], v[160:161]
	v_mul_f64_e32 v[160:161], v[164:165], v[160:161]
	scratch_load_b128 v[32:35], off, off offset:480
	s_wait_loadcnt_dscnt 0x800
	v_mul_f64_e32 v[180:181], v[0:1], v[38:39]
	v_mul_f64_e32 v[38:39], v[2:3], v[38:39]
	v_add_f64_e32 v[172:173], v[172:173], v[166:167]
	v_add_f64_e32 v[170:171], v[170:171], v[168:169]
	ds_load_b128 v[166:169], v40 offset:1248
	v_fma_f64 v[164:165], v[164:165], v[158:159], v[174:175]
	v_fma_f64 v[162:163], v[162:163], v[158:159], -v[160:161]
	scratch_load_b128 v[158:161], off, off offset:496
	v_add_f64_e32 v[172:173], v[172:173], v[178:179]
	v_add_f64_e32 v[170:171], v[170:171], v[176:177]
	v_fma_f64 v[176:177], v[2:3], v[36:37], v[180:181]
	;; [unrolled: 18-line block ×6, first 2 shown]
	v_fma_f64 v[180:181], v[0:1], v[32:33], -v[34:35]
	ds_load_b128 v[0:3], v40 offset:1392
	s_wait_loadcnt_dscnt 0x801
	v_mul_f64_e32 v[174:175], v[166:167], v[160:161]
	v_mul_f64_e32 v[176:177], v[168:169], v[160:161]
	scratch_load_b128 v[32:35], off, off offset:640
	v_add_f64_e32 v[172:173], v[172:173], v[162:163]
	v_add_f64_e32 v[164:165], v[170:171], v[164:165]
	s_wait_loadcnt_dscnt 0x800
	v_mul_f64_e32 v[170:171], v[0:1], v[38:39]
	v_mul_f64_e32 v[38:39], v[2:3], v[38:39]
	ds_load_b128 v[160:163], v40 offset:1408
	v_fma_f64 v[168:169], v[168:169], v[158:159], v[174:175]
	v_fma_f64 v[158:159], v[166:167], v[158:159], -v[176:177]
	v_add_f64_e32 v[172:173], v[172:173], v[180:181]
	v_add_f64_e32 v[174:175], v[164:165], v[178:179]
	scratch_load_b128 v[164:167], off, off offset:656
	v_fma_f64 v[178:179], v[2:3], v[36:37], v[170:171]
	v_fma_f64 v[180:181], v[0:1], v[36:37], -v[38:39]
	ds_load_b128 v[0:3], v40 offset:1424
	s_wait_loadcnt_dscnt 0x801
	v_mul_f64_e32 v[176:177], v[160:161], v[6:7]
	v_mul_f64_e32 v[6:7], v[162:163], v[6:7]
	scratch_load_b128 v[36:39], off, off offset:672
	v_add_f64_e32 v[158:159], v[172:173], v[158:159]
	v_add_f64_e32 v[172:173], v[174:175], v[168:169]
	s_wait_loadcnt_dscnt 0x800
	v_mul_f64_e32 v[174:175], v[0:1], v[10:11]
	v_mul_f64_e32 v[10:11], v[2:3], v[10:11]
	ds_load_b128 v[168:171], v40 offset:1440
	v_fma_f64 v[162:163], v[162:163], v[4:5], v[176:177]
	v_fma_f64 v[160:161], v[160:161], v[4:5], -v[6:7]
	scratch_load_b128 v[4:7], off, off offset:688
	v_add_f64_e32 v[158:159], v[158:159], v[180:181]
	v_add_f64_e32 v[172:173], v[172:173], v[178:179]
	v_fma_f64 v[174:175], v[2:3], v[8:9], v[174:175]
	v_fma_f64 v[178:179], v[0:1], v[8:9], -v[10:11]
	ds_load_b128 v[0:3], v40 offset:1456
	s_wait_loadcnt_dscnt 0x801
	v_mul_f64_e32 v[176:177], v[168:169], v[14:15]
	v_mul_f64_e32 v[14:15], v[170:171], v[14:15]
	scratch_load_b128 v[8:11], off, off offset:704
	v_add_f64_e32 v[180:181], v[158:159], v[160:161]
	v_add_f64_e32 v[162:163], v[172:173], v[162:163]
	s_wait_loadcnt_dscnt 0x800
	v_mul_f64_e32 v[172:173], v[0:1], v[18:19]
	v_mul_f64_e32 v[18:19], v[2:3], v[18:19]
	ds_load_b128 v[158:161], v40 offset:1472
	v_fma_f64 v[170:171], v[170:171], v[12:13], v[176:177]
	v_fma_f64 v[168:169], v[168:169], v[12:13], -v[14:15]
	scratch_load_b128 v[12:15], off, off offset:720
	v_add_f64_e32 v[176:177], v[180:181], v[178:179]
	v_add_f64_e32 v[162:163], v[162:163], v[174:175]
	v_fma_f64 v[172:173], v[2:3], v[16:17], v[172:173]
	v_fma_f64 v[178:179], v[0:1], v[16:17], -v[18:19]
	ds_load_b128 v[0:3], v40 offset:1488
	s_wait_loadcnt_dscnt 0x801
	v_mul_f64_e32 v[174:175], v[158:159], v[22:23]
	v_mul_f64_e32 v[22:23], v[160:161], v[22:23]
	scratch_load_b128 v[16:19], off, off offset:736
	s_wait_loadcnt_dscnt 0x800
	v_mul_f64_e32 v[180:181], v[0:1], v[26:27]
	v_mul_f64_e32 v[26:27], v[2:3], v[26:27]
	v_add_f64_e32 v[176:177], v[176:177], v[168:169]
	v_add_f64_e32 v[162:163], v[162:163], v[170:171]
	ds_load_b128 v[168:171], v40 offset:1504
	v_fma_f64 v[160:161], v[160:161], v[20:21], v[174:175]
	v_fma_f64 v[158:159], v[158:159], v[20:21], -v[22:23]
	scratch_load_b128 v[20:23], off, off offset:752
	v_add_f64_e32 v[174:175], v[176:177], v[178:179]
	v_add_f64_e32 v[162:163], v[162:163], v[172:173]
	v_fma_f64 v[176:177], v[2:3], v[24:25], v[180:181]
	v_fma_f64 v[178:179], v[0:1], v[24:25], -v[26:27]
	ds_load_b128 v[0:3], v40 offset:1520
	s_wait_loadcnt_dscnt 0x801
	v_mul_f64_e32 v[172:173], v[168:169], v[30:31]
	v_mul_f64_e32 v[30:31], v[170:171], v[30:31]
	scratch_load_b128 v[24:27], off, off offset:768
	s_wait_loadcnt_dscnt 0x800
	v_mul_f64_e32 v[180:181], v[0:1], v[34:35]
	v_mul_f64_e32 v[34:35], v[2:3], v[34:35]
	v_add_f64_e32 v[174:175], v[174:175], v[158:159]
	v_add_f64_e32 v[162:163], v[162:163], v[160:161]
	ds_load_b128 v[158:161], v40 offset:1536
	v_fma_f64 v[170:171], v[170:171], v[28:29], v[172:173]
	v_fma_f64 v[168:169], v[168:169], v[28:29], -v[30:31]
	scratch_load_b128 v[28:31], off, off offset:784
	v_add_f64_e32 v[172:173], v[174:175], v[178:179]
	v_add_f64_e32 v[162:163], v[162:163], v[176:177]
	v_fma_f64 v[178:179], v[2:3], v[32:33], v[180:181]
	v_fma_f64 v[180:181], v[0:1], v[32:33], -v[34:35]
	ds_load_b128 v[0:3], v40 offset:1552
	scratch_load_b128 v[32:35], off, off offset:800
	s_wait_loadcnt_dscnt 0x901
	v_mul_f64_e32 v[174:175], v[158:159], v[166:167]
	v_mul_f64_e32 v[176:177], v[160:161], v[166:167]
	v_add_f64_e32 v[172:173], v[172:173], v[168:169]
	v_add_f64_e32 v[162:163], v[162:163], v[170:171]
	s_wait_loadcnt_dscnt 0x800
	v_mul_f64_e32 v[170:171], v[0:1], v[38:39]
	v_mul_f64_e32 v[38:39], v[2:3], v[38:39]
	ds_load_b128 v[166:169], v40 offset:1568
	v_fma_f64 v[174:175], v[160:161], v[164:165], v[174:175]
	v_fma_f64 v[164:165], v[158:159], v[164:165], -v[176:177]
	scratch_load_b128 v[158:161], off, off offset:816
	v_add_f64_e32 v[172:173], v[172:173], v[180:181]
	v_add_f64_e32 v[162:163], v[162:163], v[178:179]
	v_fma_f64 v[170:171], v[2:3], v[36:37], v[170:171]
	v_fma_f64 v[178:179], v[0:1], v[36:37], -v[38:39]
	ds_load_b128 v[0:3], v40 offset:1584
	s_wait_loadcnt_dscnt 0x801
	v_mul_f64_e32 v[176:177], v[166:167], v[6:7]
	v_mul_f64_e32 v[6:7], v[168:169], v[6:7]
	scratch_load_b128 v[36:39], off, off offset:832
	s_wait_loadcnt_dscnt 0x800
	v_mul_f64_e32 v[180:181], v[0:1], v[10:11]
	v_mul_f64_e32 v[10:11], v[2:3], v[10:11]
	v_add_f64_e32 v[172:173], v[172:173], v[164:165]
	v_add_f64_e32 v[174:175], v[162:163], v[174:175]
	ds_load_b128 v[162:165], v40 offset:1600
	v_fma_f64 v[168:169], v[168:169], v[4:5], v[176:177]
	v_fma_f64 v[166:167], v[166:167], v[4:5], -v[6:7]
	scratch_load_b128 v[4:7], off, off offset:848
	v_fma_f64 v[176:177], v[2:3], v[8:9], v[180:181]
	v_add_f64_e32 v[172:173], v[172:173], v[178:179]
	v_add_f64_e32 v[170:171], v[174:175], v[170:171]
	v_fma_f64 v[178:179], v[0:1], v[8:9], -v[10:11]
	ds_load_b128 v[0:3], v40 offset:1616
	s_wait_loadcnt_dscnt 0x801
	v_mul_f64_e32 v[174:175], v[162:163], v[14:15]
	v_mul_f64_e32 v[14:15], v[164:165], v[14:15]
	scratch_load_b128 v[8:11], off, off offset:864
	s_wait_loadcnt_dscnt 0x800
	v_mul_f64_e32 v[180:181], v[0:1], v[18:19]
	v_mul_f64_e32 v[18:19], v[2:3], v[18:19]
	v_add_f64_e32 v[172:173], v[172:173], v[166:167]
	v_add_f64_e32 v[170:171], v[170:171], v[168:169]
	ds_load_b128 v[166:169], v40 offset:1632
	v_fma_f64 v[164:165], v[164:165], v[12:13], v[174:175]
	v_fma_f64 v[162:163], v[162:163], v[12:13], -v[14:15]
	scratch_load_b128 v[12:15], off, off offset:880
	v_add_f64_e32 v[172:173], v[172:173], v[178:179]
	v_add_f64_e32 v[170:171], v[170:171], v[176:177]
	v_fma_f64 v[176:177], v[2:3], v[16:17], v[180:181]
	v_fma_f64 v[178:179], v[0:1], v[16:17], -v[18:19]
	ds_load_b128 v[0:3], v40 offset:1648
	s_wait_loadcnt_dscnt 0x801
	v_mul_f64_e32 v[174:175], v[166:167], v[22:23]
	v_mul_f64_e32 v[22:23], v[168:169], v[22:23]
	scratch_load_b128 v[16:19], off, off offset:896
	s_wait_loadcnt_dscnt 0x800
	v_mul_f64_e32 v[180:181], v[0:1], v[26:27]
	v_mul_f64_e32 v[26:27], v[2:3], v[26:27]
	v_add_f64_e32 v[172:173], v[172:173], v[162:163]
	v_add_f64_e32 v[170:171], v[170:171], v[164:165]
	ds_load_b128 v[162:165], v40 offset:1664
	v_fma_f64 v[168:169], v[168:169], v[20:21], v[174:175]
	v_fma_f64 v[20:21], v[166:167], v[20:21], -v[22:23]
	v_add_f64_e32 v[22:23], v[172:173], v[178:179]
	v_add_f64_e32 v[166:167], v[170:171], v[176:177]
	s_wait_loadcnt_dscnt 0x700
	v_mul_f64_e32 v[170:171], v[162:163], v[30:31]
	v_mul_f64_e32 v[30:31], v[164:165], v[30:31]
	v_fma_f64 v[172:173], v[2:3], v[24:25], v[180:181]
	v_fma_f64 v[24:25], v[0:1], v[24:25], -v[26:27]
	v_add_f64_e32 v[26:27], v[22:23], v[20:21]
	v_add_f64_e32 v[166:167], v[166:167], v[168:169]
	ds_load_b128 v[0:3], v40 offset:1680
	ds_load_b128 v[20:23], v40 offset:1696
	v_fma_f64 v[164:165], v[164:165], v[28:29], v[170:171]
	v_fma_f64 v[28:29], v[162:163], v[28:29], -v[30:31]
	s_wait_loadcnt_dscnt 0x601
	v_mul_f64_e32 v[168:169], v[0:1], v[34:35]
	v_mul_f64_e32 v[34:35], v[2:3], v[34:35]
	s_wait_loadcnt_dscnt 0x500
	v_mul_f64_e32 v[30:31], v[20:21], v[160:161]
	v_mul_f64_e32 v[160:161], v[22:23], v[160:161]
	v_add_f64_e32 v[24:25], v[26:27], v[24:25]
	v_add_f64_e32 v[26:27], v[166:167], v[172:173]
	v_fma_f64 v[162:163], v[2:3], v[32:33], v[168:169]
	v_fma_f64 v[32:33], v[0:1], v[32:33], -v[34:35]
	v_fma_f64 v[22:23], v[22:23], v[158:159], v[30:31]
	v_fma_f64 v[20:21], v[20:21], v[158:159], -v[160:161]
	v_add_f64_e32 v[28:29], v[24:25], v[28:29]
	v_add_f64_e32 v[34:35], v[26:27], v[164:165]
	ds_load_b128 v[0:3], v40 offset:1712
	ds_load_b128 v[24:27], v40 offset:1728
	s_wait_loadcnt_dscnt 0x401
	v_mul_f64_e32 v[164:165], v[0:1], v[38:39]
	v_mul_f64_e32 v[38:39], v[2:3], v[38:39]
	v_add_f64_e32 v[28:29], v[28:29], v[32:33]
	v_add_f64_e32 v[30:31], v[34:35], v[162:163]
	s_wait_loadcnt_dscnt 0x300
	v_mul_f64_e32 v[32:33], v[24:25], v[6:7]
	v_mul_f64_e32 v[6:7], v[26:27], v[6:7]
	v_fma_f64 v[34:35], v[2:3], v[36:37], v[164:165]
	v_fma_f64 v[36:37], v[0:1], v[36:37], -v[38:39]
	v_add_f64_e32 v[28:29], v[28:29], v[20:21]
	v_add_f64_e32 v[30:31], v[30:31], v[22:23]
	ds_load_b128 v[0:3], v40 offset:1744
	ds_load_b128 v[20:23], v40 offset:1760
	v_fma_f64 v[26:27], v[26:27], v[4:5], v[32:33]
	v_fma_f64 v[4:5], v[24:25], v[4:5], -v[6:7]
	s_wait_loadcnt_dscnt 0x201
	v_mul_f64_e32 v[38:39], v[0:1], v[10:11]
	v_mul_f64_e32 v[10:11], v[2:3], v[10:11]
	v_add_f64_e32 v[6:7], v[28:29], v[36:37]
	v_add_f64_e32 v[24:25], v[30:31], v[34:35]
	s_wait_loadcnt_dscnt 0x100
	v_mul_f64_e32 v[28:29], v[20:21], v[14:15]
	v_mul_f64_e32 v[14:15], v[22:23], v[14:15]
	v_fma_f64 v[30:31], v[2:3], v[8:9], v[38:39]
	v_fma_f64 v[8:9], v[0:1], v[8:9], -v[10:11]
	ds_load_b128 v[0:3], v40 offset:1776
	v_add_f64_e32 v[4:5], v[6:7], v[4:5]
	v_add_f64_e32 v[6:7], v[24:25], v[26:27]
	v_fma_f64 v[22:23], v[22:23], v[12:13], v[28:29]
	v_fma_f64 v[12:13], v[20:21], v[12:13], -v[14:15]
	s_wait_loadcnt_dscnt 0x0
	v_mul_f64_e32 v[10:11], v[0:1], v[18:19]
	v_mul_f64_e32 v[18:19], v[2:3], v[18:19]
	v_add_f64_e32 v[4:5], v[4:5], v[8:9]
	v_add_f64_e32 v[6:7], v[6:7], v[30:31]
	s_delay_alu instid0(VALU_DEP_4) | instskip(NEXT) | instid1(VALU_DEP_4)
	v_fma_f64 v[2:3], v[2:3], v[16:17], v[10:11]
	v_fma_f64 v[0:1], v[0:1], v[16:17], -v[18:19]
	s_delay_alu instid0(VALU_DEP_4) | instskip(NEXT) | instid1(VALU_DEP_4)
	v_add_f64_e32 v[4:5], v[4:5], v[12:13]
	v_add_f64_e32 v[6:7], v[6:7], v[22:23]
	s_delay_alu instid0(VALU_DEP_2) | instskip(NEXT) | instid1(VALU_DEP_2)
	v_add_f64_e32 v[0:1], v[4:5], v[0:1]
	v_add_f64_e32 v[2:3], v[6:7], v[2:3]
	s_delay_alu instid0(VALU_DEP_2) | instskip(NEXT) | instid1(VALU_DEP_2)
	v_add_f64_e64 v[0:1], v[41:42], -v[0:1]
	v_add_f64_e64 v[2:3], v[43:44], -v[2:3]
	scratch_store_b128 off, v[0:3], off offset:16
	s_wait_alu 0xfffe
	s_cbranch_vccz .LBB119_460
; %bb.350:
	global_load_b32 v0, v40, s[2:3] offset:216
	s_wait_loadcnt 0x0
	v_cmp_ne_u32_e32 vcc_lo, 55, v0
	s_cbranch_vccz .LBB119_352
; %bb.351:
	v_lshlrev_b32_e32 v0, 4, v0
	s_delay_alu instid0(VALU_DEP_1)
	v_add_nc_u32_e32 v8, 16, v0
	s_clause 0x1
	scratch_load_b128 v[0:3], v8, off offset:-16
	scratch_load_b128 v[4:7], off, s11
	s_wait_loadcnt 0x1
	scratch_store_b128 off, v[0:3], s11
	s_wait_loadcnt 0x0
	scratch_store_b128 v8, v[4:7], off offset:-16
.LBB119_352:
	v_mov_b32_e32 v0, 0
	global_load_b32 v1, v0, s[2:3] offset:212
	s_wait_loadcnt 0x0
	v_cmp_eq_u32_e32 vcc_lo, 54, v1
	s_cbranch_vccnz .LBB119_354
; %bb.353:
	v_lshlrev_b32_e32 v1, 4, v1
	s_delay_alu instid0(VALU_DEP_1)
	v_add_nc_u32_e32 v9, 16, v1
	s_clause 0x1
	scratch_load_b128 v[1:4], v9, off offset:-16
	scratch_load_b128 v[5:8], off, s14
	s_wait_loadcnt 0x1
	scratch_store_b128 off, v[1:4], s14
	s_wait_loadcnt 0x0
	scratch_store_b128 v9, v[5:8], off offset:-16
.LBB119_354:
	global_load_b32 v0, v0, s[2:3] offset:208
	s_wait_loadcnt 0x0
	v_cmp_eq_u32_e32 vcc_lo, 53, v0
	s_cbranch_vccnz .LBB119_356
; %bb.355:
	v_lshlrev_b32_e32 v0, 4, v0
	s_delay_alu instid0(VALU_DEP_1)
	v_add_nc_u32_e32 v8, 16, v0
	s_clause 0x1
	scratch_load_b128 v[0:3], v8, off offset:-16
	scratch_load_b128 v[4:7], off, s16
	s_wait_loadcnt 0x1
	scratch_store_b128 off, v[0:3], s16
	s_wait_loadcnt 0x0
	scratch_store_b128 v8, v[4:7], off offset:-16
.LBB119_356:
	v_mov_b32_e32 v0, 0
	global_load_b32 v1, v0, s[2:3] offset:204
	s_wait_loadcnt 0x0
	v_cmp_eq_u32_e32 vcc_lo, 52, v1
	s_cbranch_vccnz .LBB119_358
; %bb.357:
	v_lshlrev_b32_e32 v1, 4, v1
	s_delay_alu instid0(VALU_DEP_1)
	v_add_nc_u32_e32 v9, 16, v1
	s_clause 0x1
	scratch_load_b128 v[1:4], v9, off offset:-16
	scratch_load_b128 v[5:8], off, s17
	s_wait_loadcnt 0x1
	scratch_store_b128 off, v[1:4], s17
	s_wait_loadcnt 0x0
	scratch_store_b128 v9, v[5:8], off offset:-16
.LBB119_358:
	global_load_b32 v0, v0, s[2:3] offset:200
	s_wait_loadcnt 0x0
	v_cmp_eq_u32_e32 vcc_lo, 51, v0
	s_cbranch_vccnz .LBB119_360
; %bb.359:
	v_lshlrev_b32_e32 v0, 4, v0
	s_delay_alu instid0(VALU_DEP_1)
	v_add_nc_u32_e32 v8, 16, v0
	s_clause 0x1
	scratch_load_b128 v[0:3], v8, off offset:-16
	scratch_load_b128 v[4:7], off, s18
	s_wait_loadcnt 0x1
	scratch_store_b128 off, v[0:3], s18
	s_wait_loadcnt 0x0
	scratch_store_b128 v8, v[4:7], off offset:-16
.LBB119_360:
	;; [unrolled: 33-line block ×26, first 2 shown]
	v_mov_b32_e32 v0, 0
	global_load_b32 v1, v0, s[2:3] offset:4
	s_wait_loadcnt 0x0
	v_cmp_eq_u32_e32 vcc_lo, 2, v1
	s_cbranch_vccnz .LBB119_458
; %bb.457:
	v_lshlrev_b32_e32 v1, 4, v1
	s_delay_alu instid0(VALU_DEP_1)
	v_add_nc_u32_e32 v9, 16, v1
	s_clause 0x1
	scratch_load_b128 v[1:4], v9, off offset:-16
	scratch_load_b128 v[5:8], off, s15
	s_wait_loadcnt 0x1
	scratch_store_b128 off, v[1:4], s15
	s_wait_loadcnt 0x0
	scratch_store_b128 v9, v[5:8], off offset:-16
.LBB119_458:
	global_load_b32 v0, v0, s[2:3]
	s_wait_loadcnt 0x0
	v_cmp_eq_u32_e32 vcc_lo, 1, v0
	s_cbranch_vccnz .LBB119_460
; %bb.459:
	v_lshlrev_b32_e32 v0, 4, v0
	s_delay_alu instid0(VALU_DEP_1)
	v_add_nc_u32_e32 v8, 16, v0
	scratch_load_b128 v[0:3], v8, off offset:-16
	scratch_load_b128 v[4:7], off, off offset:16
	s_wait_loadcnt 0x1
	scratch_store_b128 off, v[0:3], off offset:16
	s_wait_loadcnt 0x0
	scratch_store_b128 v8, v[4:7], off offset:-16
.LBB119_460:
	scratch_load_b128 v[0:3], off, off offset:16
	s_wait_loadcnt 0x0
	flat_store_b128 v[46:47], v[0:3]
	scratch_load_b128 v[0:3], off, s15
	s_wait_loadcnt 0x0
	flat_store_b128 v[48:49], v[0:3]
	scratch_load_b128 v[0:3], off, s13
	;; [unrolled: 3-line block ×55, first 2 shown]
	s_wait_loadcnt 0x0
	flat_store_b128 v[156:157], v[0:3]
	s_nop 0
	s_sendmsg sendmsg(MSG_DEALLOC_VGPRS)
	s_endpgm
	.section	.rodata,"a",@progbits
	.p2align	6, 0x0
	.amdhsa_kernel _ZN9rocsolver6v33100L18getri_kernel_smallILi56E19rocblas_complex_numIdEPKPS3_EEvT1_iilPiilS8_bb
		.amdhsa_group_segment_fixed_size 1800
		.amdhsa_private_segment_fixed_size 928
		.amdhsa_kernarg_size 60
		.amdhsa_user_sgpr_count 2
		.amdhsa_user_sgpr_dispatch_ptr 0
		.amdhsa_user_sgpr_queue_ptr 0
		.amdhsa_user_sgpr_kernarg_segment_ptr 1
		.amdhsa_user_sgpr_dispatch_id 0
		.amdhsa_user_sgpr_private_segment_size 0
		.amdhsa_wavefront_size32 1
		.amdhsa_uses_dynamic_stack 0
		.amdhsa_enable_private_segment 1
		.amdhsa_system_sgpr_workgroup_id_x 1
		.amdhsa_system_sgpr_workgroup_id_y 0
		.amdhsa_system_sgpr_workgroup_id_z 0
		.amdhsa_system_sgpr_workgroup_info 0
		.amdhsa_system_vgpr_workitem_id 0
		.amdhsa_next_free_vgpr 185
		.amdhsa_next_free_sgpr 90
		.amdhsa_reserve_vcc 1
		.amdhsa_float_round_mode_32 0
		.amdhsa_float_round_mode_16_64 0
		.amdhsa_float_denorm_mode_32 3
		.amdhsa_float_denorm_mode_16_64 3
		.amdhsa_fp16_overflow 0
		.amdhsa_workgroup_processor_mode 1
		.amdhsa_memory_ordered 1
		.amdhsa_forward_progress 1
		.amdhsa_inst_pref_size 255
		.amdhsa_round_robin_scheduling 0
		.amdhsa_exception_fp_ieee_invalid_op 0
		.amdhsa_exception_fp_denorm_src 0
		.amdhsa_exception_fp_ieee_div_zero 0
		.amdhsa_exception_fp_ieee_overflow 0
		.amdhsa_exception_fp_ieee_underflow 0
		.amdhsa_exception_fp_ieee_inexact 0
		.amdhsa_exception_int_div_zero 0
	.end_amdhsa_kernel
	.section	.text._ZN9rocsolver6v33100L18getri_kernel_smallILi56E19rocblas_complex_numIdEPKPS3_EEvT1_iilPiilS8_bb,"axG",@progbits,_ZN9rocsolver6v33100L18getri_kernel_smallILi56E19rocblas_complex_numIdEPKPS3_EEvT1_iilPiilS8_bb,comdat
.Lfunc_end119:
	.size	_ZN9rocsolver6v33100L18getri_kernel_smallILi56E19rocblas_complex_numIdEPKPS3_EEvT1_iilPiilS8_bb, .Lfunc_end119-_ZN9rocsolver6v33100L18getri_kernel_smallILi56E19rocblas_complex_numIdEPKPS3_EEvT1_iilPiilS8_bb
                                        ; -- End function
	.set _ZN9rocsolver6v33100L18getri_kernel_smallILi56E19rocblas_complex_numIdEPKPS3_EEvT1_iilPiilS8_bb.num_vgpr, 185
	.set _ZN9rocsolver6v33100L18getri_kernel_smallILi56E19rocblas_complex_numIdEPKPS3_EEvT1_iilPiilS8_bb.num_agpr, 0
	.set _ZN9rocsolver6v33100L18getri_kernel_smallILi56E19rocblas_complex_numIdEPKPS3_EEvT1_iilPiilS8_bb.numbered_sgpr, 90
	.set _ZN9rocsolver6v33100L18getri_kernel_smallILi56E19rocblas_complex_numIdEPKPS3_EEvT1_iilPiilS8_bb.num_named_barrier, 0
	.set _ZN9rocsolver6v33100L18getri_kernel_smallILi56E19rocblas_complex_numIdEPKPS3_EEvT1_iilPiilS8_bb.private_seg_size, 928
	.set _ZN9rocsolver6v33100L18getri_kernel_smallILi56E19rocblas_complex_numIdEPKPS3_EEvT1_iilPiilS8_bb.uses_vcc, 1
	.set _ZN9rocsolver6v33100L18getri_kernel_smallILi56E19rocblas_complex_numIdEPKPS3_EEvT1_iilPiilS8_bb.uses_flat_scratch, 1
	.set _ZN9rocsolver6v33100L18getri_kernel_smallILi56E19rocblas_complex_numIdEPKPS3_EEvT1_iilPiilS8_bb.has_dyn_sized_stack, 0
	.set _ZN9rocsolver6v33100L18getri_kernel_smallILi56E19rocblas_complex_numIdEPKPS3_EEvT1_iilPiilS8_bb.has_recursion, 0
	.set _ZN9rocsolver6v33100L18getri_kernel_smallILi56E19rocblas_complex_numIdEPKPS3_EEvT1_iilPiilS8_bb.has_indirect_call, 0
	.section	.AMDGPU.csdata,"",@progbits
; Kernel info:
; codeLenInByte = 123952
; TotalNumSgprs: 92
; NumVgprs: 185
; ScratchSize: 928
; MemoryBound: 0
; FloatMode: 240
; IeeeMode: 1
; LDSByteSize: 1800 bytes/workgroup (compile time only)
; SGPRBlocks: 0
; VGPRBlocks: 23
; NumSGPRsForWavesPerEU: 92
; NumVGPRsForWavesPerEU: 185
; Occupancy: 8
; WaveLimiterHint : 1
; COMPUTE_PGM_RSRC2:SCRATCH_EN: 1
; COMPUTE_PGM_RSRC2:USER_SGPR: 2
; COMPUTE_PGM_RSRC2:TRAP_HANDLER: 0
; COMPUTE_PGM_RSRC2:TGID_X_EN: 1
; COMPUTE_PGM_RSRC2:TGID_Y_EN: 0
; COMPUTE_PGM_RSRC2:TGID_Z_EN: 0
; COMPUTE_PGM_RSRC2:TIDIG_COMP_CNT: 0
	.section	.text._ZN9rocsolver6v33100L18getri_kernel_smallILi57E19rocblas_complex_numIdEPKPS3_EEvT1_iilPiilS8_bb,"axG",@progbits,_ZN9rocsolver6v33100L18getri_kernel_smallILi57E19rocblas_complex_numIdEPKPS3_EEvT1_iilPiilS8_bb,comdat
	.globl	_ZN9rocsolver6v33100L18getri_kernel_smallILi57E19rocblas_complex_numIdEPKPS3_EEvT1_iilPiilS8_bb ; -- Begin function _ZN9rocsolver6v33100L18getri_kernel_smallILi57E19rocblas_complex_numIdEPKPS3_EEvT1_iilPiilS8_bb
	.p2align	8
	.type	_ZN9rocsolver6v33100L18getri_kernel_smallILi57E19rocblas_complex_numIdEPKPS3_EEvT1_iilPiilS8_bb,@function
_ZN9rocsolver6v33100L18getri_kernel_smallILi57E19rocblas_complex_numIdEPKPS3_EEvT1_iilPiilS8_bb: ; @_ZN9rocsolver6v33100L18getri_kernel_smallILi57E19rocblas_complex_numIdEPKPS3_EEvT1_iilPiilS8_bb
; %bb.0:
	s_mov_b32 s2, exec_lo
	v_cmpx_gt_u32_e32 57, v0
	s_cbranch_execz .LBB120_242
; %bb.1:
	s_clause 0x1
	s_load_b32 s13, s[0:1], 0x38
	s_load_b64 s[2:3], s[0:1], 0x0
	s_mov_b32 s8, ttmp9
	s_load_b128 s[4:7], s[0:1], 0x28
	s_wait_kmcnt 0x0
	s_bitcmp1_b32 s13, 8
	s_cselect_b32 s12, -1, 0
	s_ashr_i32 s9, ttmp9, 31
	s_delay_alu instid0(SALU_CYCLE_1) | instskip(NEXT) | instid1(SALU_CYCLE_1)
	s_lshl_b64 s[10:11], s[8:9], 3
	s_add_nc_u64 s[2:3], s[2:3], s[10:11]
	s_load_b64 s[10:11], s[2:3], 0x0
	s_bfe_u32 s2, s13, 0x10008
	s_delay_alu instid0(SALU_CYCLE_1)
	s_cmp_eq_u32 s2, 0
                                        ; implicit-def: $sgpr2_sgpr3
	s_cbranch_scc1 .LBB120_3
; %bb.2:
	s_load_b96 s[16:18], s[0:1], 0x18
	s_mul_u64 s[2:3], s[4:5], s[8:9]
	s_delay_alu instid0(SALU_CYCLE_1)
	s_lshl_b64 s[2:3], s[2:3], 2
	s_wait_kmcnt 0x0
	s_ashr_i32 s5, s18, 31
	s_mov_b32 s4, s18
	s_add_nc_u64 s[2:3], s[16:17], s[2:3]
	s_lshl_b64 s[4:5], s[4:5], 2
	s_delay_alu instid0(SALU_CYCLE_1)
	s_add_nc_u64 s[2:3], s[2:3], s[4:5]
.LBB120_3:
	s_clause 0x1
	s_load_b64 s[4:5], s[0:1], 0x8
	s_load_b32 s66, s[0:1], 0x38
	v_lshlrev_b32_e32 v13, 4, v0
	s_movk_i32 s14, 0x90
	s_movk_i32 s16, 0xa0
	s_movk_i32 s17, 0xb0
	s_movk_i32 s18, 0xc0
	s_movk_i32 s19, 0xd0
	s_movk_i32 s20, 0xe0
	s_movk_i32 s21, 0xf0
	s_movk_i32 s22, 0x100
	s_movk_i32 s23, 0x110
	s_movk_i32 s24, 0x120
	s_movk_i32 s25, 0x130
	s_movk_i32 s26, 0x140
	s_movk_i32 s27, 0x150
	s_movk_i32 s28, 0x160
	s_movk_i32 s29, 0x170
	s_movk_i32 s30, 0x180
	s_movk_i32 s31, 0x190
	s_wait_kmcnt 0x0
	s_ashr_i32 s1, s4, 31
	s_mov_b32 s0, s4
	v_add3_u32 v5, s5, s5, v0
	s_lshl_b64 s[0:1], s[0:1], 4
	s_movk_i32 s33, 0x1a0
	s_add_nc_u64 s[0:1], s[10:11], s[0:1]
	s_ashr_i32 s11, s5, 31
	v_add_co_u32 v46, s4, s0, v13
	s_wait_alu 0xf1ff
	v_add_co_ci_u32_e64 v47, null, s1, 0, s4
	s_mov_b32 s10, s5
	v_ashrrev_i32_e32 v6, 31, v5
	s_lshl_b64 s[10:11], s[10:11], 4
	flat_load_b128 v[1:4], v[46:47]
	v_add_co_u32 v48, vcc_lo, v46, s10
	s_delay_alu instid0(VALU_DEP_1)
	v_add_co_ci_u32_e64 v49, null, s11, v47, vcc_lo
	v_lshlrev_b64_e32 v[6:7], 4, v[5:6]
	v_add_nc_u32_e32 v5, s5, v5
	s_movk_i32 s11, 0x80
	s_movk_i32 s34, 0x1b0
	s_movk_i32 s35, 0x1c0
	s_movk_i32 s36, 0x1d0
	v_add_co_u32 v50, vcc_lo, s0, v6
	s_wait_alu 0xfffd
	v_add_co_ci_u32_e64 v51, null, s1, v7, vcc_lo
	v_ashrrev_i32_e32 v6, 31, v5
	s_movk_i32 s37, 0x1e0
	s_movk_i32 s38, 0x1f0
	s_movk_i32 s67, 0x200
	s_movk_i32 s68, 0x210
	v_lshlrev_b64_e32 v[6:7], 4, v[5:6]
	v_add_nc_u32_e32 v5, s5, v5
	s_movk_i32 s69, 0x220
	s_movk_i32 s70, 0x230
	s_movk_i32 s71, 0x240
	s_movk_i32 s72, 0x250
	v_add_co_u32 v52, vcc_lo, s0, v6
	s_wait_alu 0xfffd
	v_add_co_ci_u32_e64 v53, null, s1, v7, vcc_lo
	v_ashrrev_i32_e32 v6, 31, v5
	s_movk_i32 s73, 0x260
	s_movk_i32 s74, 0x270
	s_movk_i32 s75, 0x280
	s_movk_i32 s76, 0x290
	;; [unrolled: 14-line block ×3, first 2 shown]
	v_lshlrev_b64_e32 v[6:7], 4, v[5:6]
	v_add_nc_u32_e32 v5, s5, v5
	s_movk_i32 s85, 0x320
	s_movk_i32 s86, 0x330
	;; [unrolled: 1-line block ×4, first 2 shown]
	v_add_co_u32 v56, vcc_lo, s0, v6
	s_wait_alu 0xfffd
	v_add_co_ci_u32_e64 v57, null, s1, v7, vcc_lo
	v_ashrrev_i32_e32 v6, 31, v5
	s_movk_i32 s89, 0x360
	s_movk_i32 s90, 0x370
	;; [unrolled: 1-line block ×3, first 2 shown]
	s_wait_alu 0xfffe
	s_add_co_i32 s62, s11, 16
	v_lshlrev_b64_e32 v[6:7], 4, v[5:6]
	v_add_nc_u32_e32 v5, s5, v5
	s_add_co_i32 s61, s14, 16
	s_add_co_i32 s60, s16, 16
	s_add_co_i32 s59, s17, 16
	s_add_co_i32 s58, s18, 16
	v_add_co_u32 v58, vcc_lo, s0, v6
	s_wait_alu 0xfffd
	v_add_co_ci_u32_e64 v59, null, s1, v7, vcc_lo
	v_ashrrev_i32_e32 v6, 31, v5
	s_add_co_i32 s57, s19, 16
	s_add_co_i32 s56, s20, 16
	s_add_co_i32 s55, s21, 16
	s_add_co_i32 s54, s22, 16
	v_lshlrev_b64_e32 v[6:7], 4, v[5:6]
	v_add_nc_u32_e32 v5, s5, v5
	s_add_co_i32 s53, s23, 16
	s_add_co_i32 s52, s24, 16
	s_add_co_i32 s51, s25, 16
	s_add_co_i32 s50, s26, 16
	v_add_co_u32 v60, vcc_lo, s0, v6
	s_wait_alu 0xfffd
	v_add_co_ci_u32_e64 v61, null, s1, v7, vcc_lo
	v_ashrrev_i32_e32 v6, 31, v5
	s_add_co_i32 s49, s27, 16
	s_add_co_i32 s48, s28, 16
	s_add_co_i32 s47, s29, 16
	;; [unrolled: 14-line block ×6, first 2 shown]
	s_mov_b32 s15, 32
	v_lshlrev_b64_e32 v[6:7], 4, v[5:6]
	v_add_nc_u32_e32 v5, s5, v5
	s_mov_b32 s13, 48
	s_mov_b32 s10, 64
	s_movk_i32 s4, 0x50
	s_delay_alu instid0(VALU_DEP_2) | instskip(SKIP_3) | instid1(VALU_DEP_1)
	v_add_co_u32 v70, vcc_lo, s0, v6
	s_wait_alu 0xfffd
	v_add_co_ci_u32_e64 v71, null, s1, v7, vcc_lo
	v_ashrrev_i32_e32 v6, 31, v5
	v_lshlrev_b64_e32 v[6:7], 4, v[5:6]
	v_add_nc_u32_e32 v5, s5, v5
	s_delay_alu instid0(VALU_DEP_2) | instskip(SKIP_1) | instid1(VALU_DEP_3)
	v_add_co_u32 v72, vcc_lo, s0, v6
	s_wait_alu 0xfffd
	v_add_co_ci_u32_e64 v73, null, s1, v7, vcc_lo
	s_delay_alu instid0(VALU_DEP_3) | instskip(NEXT) | instid1(VALU_DEP_1)
	v_ashrrev_i32_e32 v6, 31, v5
	v_lshlrev_b64_e32 v[6:7], 4, v[5:6]
	v_add_nc_u32_e32 v5, s5, v5
	s_delay_alu instid0(VALU_DEP_2) | instskip(SKIP_1) | instid1(VALU_DEP_3)
	v_add_co_u32 v74, vcc_lo, s0, v6
	s_wait_alu 0xfffd
	v_add_co_ci_u32_e64 v75, null, s1, v7, vcc_lo
	s_delay_alu instid0(VALU_DEP_3) | instskip(NEXT) | instid1(VALU_DEP_1)
	;; [unrolled: 8-line block ×10, first 2 shown]
	v_ashrrev_i32_e32 v6, 31, v5
	v_lshlrev_b64_e32 v[6:7], 4, v[5:6]
	s_wait_loadcnt_dscnt 0x0
	scratch_store_b128 off, v[1:4], off offset:16
	flat_load_b128 v[1:4], v[48:49]
	v_add_nc_u32_e32 v5, s5, v5
	v_add_co_u32 v92, vcc_lo, s0, v6
	s_wait_alu 0xfffd
	v_add_co_ci_u32_e64 v93, null, s1, v7, vcc_lo
	s_delay_alu instid0(VALU_DEP_3) | instskip(NEXT) | instid1(VALU_DEP_1)
	v_ashrrev_i32_e32 v6, 31, v5
	v_lshlrev_b64_e32 v[6:7], 4, v[5:6]
	v_add_nc_u32_e32 v5, s5, v5
	s_delay_alu instid0(VALU_DEP_2) | instskip(SKIP_1) | instid1(VALU_DEP_3)
	v_add_co_u32 v94, vcc_lo, s0, v6
	s_wait_alu 0xfffd
	v_add_co_ci_u32_e64 v95, null, s1, v7, vcc_lo
	s_delay_alu instid0(VALU_DEP_3) | instskip(NEXT) | instid1(VALU_DEP_1)
	v_ashrrev_i32_e32 v6, 31, v5
	v_lshlrev_b64_e32 v[6:7], 4, v[5:6]
	v_add_nc_u32_e32 v5, s5, v5
	s_delay_alu instid0(VALU_DEP_2) | instskip(SKIP_1) | instid1(VALU_DEP_3)
	;; [unrolled: 8-line block ×20, first 2 shown]
	v_add_co_u32 v132, vcc_lo, s0, v6
	s_wait_alu 0xfffd
	v_add_co_ci_u32_e64 v133, null, s1, v7, vcc_lo
	s_delay_alu instid0(VALU_DEP_3) | instskip(NEXT) | instid1(VALU_DEP_1)
	v_ashrrev_i32_e32 v6, 31, v5
	v_lshlrev_b64_e32 v[6:7], 4, v[5:6]
	v_add_nc_u32_e32 v5, s5, v5
	s_delay_alu instid0(VALU_DEP_2)
	v_add_co_u32 v134, vcc_lo, s0, v6
	s_wait_loadcnt_dscnt 0x0
	scratch_store_b128 off, v[1:4], off offset:32
	flat_load_b128 v[1:4], v[50:51]
	s_wait_alu 0xfffd
	v_add_co_ci_u32_e64 v135, null, s1, v7, vcc_lo
	v_ashrrev_i32_e32 v6, 31, v5
	s_delay_alu instid0(VALU_DEP_1) | instskip(SKIP_1) | instid1(VALU_DEP_2)
	v_lshlrev_b64_e32 v[6:7], 4, v[5:6]
	v_add_nc_u32_e32 v5, s5, v5
	v_add_co_u32 v136, vcc_lo, s0, v6
	s_wait_alu 0xfffd
	s_delay_alu instid0(VALU_DEP_3) | instskip(NEXT) | instid1(VALU_DEP_3)
	v_add_co_ci_u32_e64 v137, null, s1, v7, vcc_lo
	v_ashrrev_i32_e32 v6, 31, v5
	s_delay_alu instid0(VALU_DEP_1) | instskip(SKIP_1) | instid1(VALU_DEP_2)
	v_lshlrev_b64_e32 v[6:7], 4, v[5:6]
	v_add_nc_u32_e32 v5, s5, v5
	v_add_co_u32 v138, vcc_lo, s0, v6
	s_wait_alu 0xfffd
	s_delay_alu instid0(VALU_DEP_3) | instskip(NEXT) | instid1(VALU_DEP_3)
	;; [unrolled: 8-line block ×10, first 2 shown]
	v_add_co_ci_u32_e64 v155, null, s1, v7, vcc_lo
	v_ashrrev_i32_e32 v6, 31, v5
	s_delay_alu instid0(VALU_DEP_1)
	v_lshlrev_b64_e32 v[6:7], 4, v[5:6]
	v_add_nc_u32_e32 v5, s5, v5
	s_movk_i32 s5, 0x70
	s_wait_alu 0xfffe
	s_add_co_i32 s63, s5, 16
	s_add_co_i32 s5, s91, 16
	v_add_co_u32 v156, vcc_lo, s0, v6
	s_wait_alu 0xfffd
	v_add_co_ci_u32_e64 v157, null, s1, v7, vcc_lo
	v_ashrrev_i32_e32 v6, 31, v5
	s_delay_alu instid0(VALU_DEP_1) | instskip(NEXT) | instid1(VALU_DEP_1)
	v_lshlrev_b64_e32 v[5:6], 4, v[5:6]
	v_add_co_u32 v158, vcc_lo, s0, v5
	s_wait_alu 0xfffd
	s_delay_alu instid0(VALU_DEP_2)
	v_add_co_ci_u32_e64 v159, null, s1, v6, vcc_lo
	s_movk_i32 s0, 0x50
	s_movk_i32 s1, 0x60
	s_wait_alu 0xfffe
	s_add_co_i32 s65, s0, 16
	s_add_co_i32 s64, s1, 16
	s_bitcmp0_b32 s66, 0
	s_mov_b32 s1, -1
	s_wait_loadcnt_dscnt 0x0
	scratch_store_b128 off, v[1:4], off offset:48
	flat_load_b128 v[1:4], v[52:53]
	s_wait_loadcnt_dscnt 0x0
	scratch_store_b128 off, v[1:4], off offset:64
	flat_load_b128 v[1:4], v[54:55]
	;; [unrolled: 3-line block ×54, first 2 shown]
	s_wait_loadcnt_dscnt 0x0
	scratch_store_b128 off, v[1:4], off offset:912
	s_cbranch_scc1 .LBB120_240
; %bb.4:
	v_cmp_eq_u32_e64 s0, 0, v0
	s_and_saveexec_b32 s1, s0
; %bb.5:
	v_mov_b32_e32 v1, 0
	ds_store_b32 v1, v1 offset:1824
; %bb.6:
	s_wait_alu 0xfffe
	s_or_b32 exec_lo, exec_lo, s1
	s_wait_storecnt_dscnt 0x0
	s_barrier_signal -1
	s_barrier_wait -1
	global_inv scope:SCOPE_SE
	scratch_load_b128 v[1:4], v13, off offset:16
	s_wait_loadcnt 0x0
	v_cmp_eq_f64_e32 vcc_lo, 0, v[1:2]
	v_cmp_eq_f64_e64 s1, 0, v[3:4]
	s_and_b32 s1, vcc_lo, s1
	s_wait_alu 0xfffe
	s_and_saveexec_b32 s66, s1
	s_cbranch_execz .LBB120_10
; %bb.7:
	v_mov_b32_e32 v1, 0
	s_mov_b32 s67, 0
	ds_load_b32 v2, v1 offset:1824
	s_wait_dscnt 0x0
	v_readfirstlane_b32 s1, v2
	v_add_nc_u32_e32 v2, 1, v0
	s_cmp_eq_u32 s1, 0
	s_delay_alu instid0(VALU_DEP_1) | instskip(SKIP_1) | instid1(SALU_CYCLE_1)
	v_cmp_gt_i32_e32 vcc_lo, s1, v2
	s_cselect_b32 s68, -1, 0
	s_or_b32 s68, s68, vcc_lo
	s_delay_alu instid0(SALU_CYCLE_1)
	s_and_b32 exec_lo, exec_lo, s68
	s_cbranch_execz .LBB120_10
; %bb.8:
	v_mov_b32_e32 v3, s1
.LBB120_9:                              ; =>This Inner Loop Header: Depth=1
	ds_cmpstore_rtn_b32 v3, v1, v2, v3 offset:1824
	s_wait_dscnt 0x0
	v_cmp_ne_u32_e32 vcc_lo, 0, v3
	v_cmp_le_i32_e64 s1, v3, v2
	s_and_b32 s1, vcc_lo, s1
	s_wait_alu 0xfffe
	s_and_b32 s1, exec_lo, s1
	s_wait_alu 0xfffe
	s_or_b32 s67, s1, s67
	s_delay_alu instid0(SALU_CYCLE_1)
	s_and_not1_b32 exec_lo, exec_lo, s67
	s_cbranch_execnz .LBB120_9
.LBB120_10:
	s_or_b32 exec_lo, exec_lo, s66
	v_mov_b32_e32 v1, 0
	s_barrier_signal -1
	s_barrier_wait -1
	global_inv scope:SCOPE_SE
	ds_load_b32 v2, v1 offset:1824
	s_and_saveexec_b32 s1, s0
	s_cbranch_execz .LBB120_12
; %bb.11:
	s_lshl_b64 s[66:67], s[8:9], 2
	s_delay_alu instid0(SALU_CYCLE_1)
	s_add_nc_u64 s[66:67], s[6:7], s[66:67]
	s_wait_dscnt 0x0
	global_store_b32 v1, v2, s[66:67]
.LBB120_12:
	s_wait_alu 0xfffe
	s_or_b32 exec_lo, exec_lo, s1
	s_wait_dscnt 0x0
	v_cmp_ne_u32_e32 vcc_lo, 0, v2
	s_mov_b32 s1, 0
	s_cbranch_vccnz .LBB120_240
; %bb.13:
	v_add_nc_u32_e32 v14, 16, v13
                                        ; implicit-def: $vgpr1_vgpr2
                                        ; implicit-def: $vgpr9_vgpr10
	scratch_load_b128 v[5:8], v14, off
	s_wait_loadcnt 0x0
	v_cmp_ngt_f64_e64 s1, |v[5:6]|, |v[7:8]|
	s_wait_alu 0xfffe
	s_and_saveexec_b32 s66, s1
	s_delay_alu instid0(SALU_CYCLE_1)
	s_xor_b32 s1, exec_lo, s66
	s_cbranch_execz .LBB120_15
; %bb.14:
	v_div_scale_f64 v[1:2], null, v[7:8], v[7:8], v[5:6]
	v_div_scale_f64 v[11:12], vcc_lo, v[5:6], v[7:8], v[5:6]
	s_delay_alu instid0(VALU_DEP_2) | instskip(NEXT) | instid1(TRANS32_DEP_1)
	v_rcp_f64_e32 v[3:4], v[1:2]
	v_fma_f64 v[9:10], -v[1:2], v[3:4], 1.0
	s_delay_alu instid0(VALU_DEP_1) | instskip(NEXT) | instid1(VALU_DEP_1)
	v_fma_f64 v[3:4], v[3:4], v[9:10], v[3:4]
	v_fma_f64 v[9:10], -v[1:2], v[3:4], 1.0
	s_delay_alu instid0(VALU_DEP_1) | instskip(NEXT) | instid1(VALU_DEP_1)
	v_fma_f64 v[3:4], v[3:4], v[9:10], v[3:4]
	v_mul_f64_e32 v[9:10], v[11:12], v[3:4]
	s_delay_alu instid0(VALU_DEP_1) | instskip(SKIP_1) | instid1(VALU_DEP_1)
	v_fma_f64 v[1:2], -v[1:2], v[9:10], v[11:12]
	s_wait_alu 0xfffd
	v_div_fmas_f64 v[1:2], v[1:2], v[3:4], v[9:10]
	s_delay_alu instid0(VALU_DEP_1) | instskip(NEXT) | instid1(VALU_DEP_1)
	v_div_fixup_f64 v[1:2], v[1:2], v[7:8], v[5:6]
	v_fma_f64 v[3:4], v[5:6], v[1:2], v[7:8]
	s_delay_alu instid0(VALU_DEP_1) | instskip(SKIP_1) | instid1(VALU_DEP_2)
	v_div_scale_f64 v[5:6], null, v[3:4], v[3:4], 1.0
	v_div_scale_f64 v[11:12], vcc_lo, 1.0, v[3:4], 1.0
	v_rcp_f64_e32 v[7:8], v[5:6]
	s_delay_alu instid0(TRANS32_DEP_1) | instskip(NEXT) | instid1(VALU_DEP_1)
	v_fma_f64 v[9:10], -v[5:6], v[7:8], 1.0
	v_fma_f64 v[7:8], v[7:8], v[9:10], v[7:8]
	s_delay_alu instid0(VALU_DEP_1) | instskip(NEXT) | instid1(VALU_DEP_1)
	v_fma_f64 v[9:10], -v[5:6], v[7:8], 1.0
	v_fma_f64 v[7:8], v[7:8], v[9:10], v[7:8]
	s_delay_alu instid0(VALU_DEP_1) | instskip(NEXT) | instid1(VALU_DEP_1)
	v_mul_f64_e32 v[9:10], v[11:12], v[7:8]
	v_fma_f64 v[5:6], -v[5:6], v[9:10], v[11:12]
	s_wait_alu 0xfffd
	s_delay_alu instid0(VALU_DEP_1) | instskip(NEXT) | instid1(VALU_DEP_1)
	v_div_fmas_f64 v[5:6], v[5:6], v[7:8], v[9:10]
	v_div_fixup_f64 v[3:4], v[5:6], v[3:4], 1.0
                                        ; implicit-def: $vgpr5_vgpr6
	s_delay_alu instid0(VALU_DEP_1) | instskip(SKIP_1) | instid1(VALU_DEP_2)
	v_mul_f64_e32 v[1:2], v[1:2], v[3:4]
	v_xor_b32_e32 v4, 0x80000000, v4
	v_xor_b32_e32 v10, 0x80000000, v2
	s_delay_alu instid0(VALU_DEP_3)
	v_mov_b32_e32 v9, v1
.LBB120_15:
	s_wait_alu 0xfffe
	s_and_not1_saveexec_b32 s1, s1
	s_cbranch_execz .LBB120_17
; %bb.16:
	v_div_scale_f64 v[1:2], null, v[5:6], v[5:6], v[7:8]
	v_div_scale_f64 v[11:12], vcc_lo, v[7:8], v[5:6], v[7:8]
	s_delay_alu instid0(VALU_DEP_2) | instskip(NEXT) | instid1(TRANS32_DEP_1)
	v_rcp_f64_e32 v[3:4], v[1:2]
	v_fma_f64 v[9:10], -v[1:2], v[3:4], 1.0
	s_delay_alu instid0(VALU_DEP_1) | instskip(NEXT) | instid1(VALU_DEP_1)
	v_fma_f64 v[3:4], v[3:4], v[9:10], v[3:4]
	v_fma_f64 v[9:10], -v[1:2], v[3:4], 1.0
	s_delay_alu instid0(VALU_DEP_1) | instskip(NEXT) | instid1(VALU_DEP_1)
	v_fma_f64 v[3:4], v[3:4], v[9:10], v[3:4]
	v_mul_f64_e32 v[9:10], v[11:12], v[3:4]
	s_delay_alu instid0(VALU_DEP_1) | instskip(SKIP_1) | instid1(VALU_DEP_1)
	v_fma_f64 v[1:2], -v[1:2], v[9:10], v[11:12]
	s_wait_alu 0xfffd
	v_div_fmas_f64 v[1:2], v[1:2], v[3:4], v[9:10]
	s_delay_alu instid0(VALU_DEP_1) | instskip(NEXT) | instid1(VALU_DEP_1)
	v_div_fixup_f64 v[3:4], v[1:2], v[5:6], v[7:8]
	v_fma_f64 v[1:2], v[7:8], v[3:4], v[5:6]
	s_delay_alu instid0(VALU_DEP_1) | instskip(NEXT) | instid1(VALU_DEP_1)
	v_div_scale_f64 v[5:6], null, v[1:2], v[1:2], 1.0
	v_rcp_f64_e32 v[7:8], v[5:6]
	s_delay_alu instid0(TRANS32_DEP_1) | instskip(NEXT) | instid1(VALU_DEP_1)
	v_fma_f64 v[9:10], -v[5:6], v[7:8], 1.0
	v_fma_f64 v[7:8], v[7:8], v[9:10], v[7:8]
	s_delay_alu instid0(VALU_DEP_1) | instskip(NEXT) | instid1(VALU_DEP_1)
	v_fma_f64 v[9:10], -v[5:6], v[7:8], 1.0
	v_fma_f64 v[7:8], v[7:8], v[9:10], v[7:8]
	v_div_scale_f64 v[9:10], vcc_lo, 1.0, v[1:2], 1.0
	s_delay_alu instid0(VALU_DEP_1) | instskip(NEXT) | instid1(VALU_DEP_1)
	v_mul_f64_e32 v[11:12], v[9:10], v[7:8]
	v_fma_f64 v[5:6], -v[5:6], v[11:12], v[9:10]
	s_wait_alu 0xfffd
	s_delay_alu instid0(VALU_DEP_1) | instskip(NEXT) | instid1(VALU_DEP_1)
	v_div_fmas_f64 v[5:6], v[5:6], v[7:8], v[11:12]
	v_div_fixup_f64 v[1:2], v[5:6], v[1:2], 1.0
	s_delay_alu instid0(VALU_DEP_1)
	v_mul_f64_e64 v[3:4], v[3:4], -v[1:2]
	v_xor_b32_e32 v10, 0x80000000, v2
	v_mov_b32_e32 v9, v1
.LBB120_17:
	s_wait_alu 0xfffe
	s_or_b32 exec_lo, exec_lo, s1
	scratch_store_b128 v14, v[1:4], off
	scratch_load_b128 v[15:18], off, s15
	v_xor_b32_e32 v12, 0x80000000, v4
	v_mov_b32_e32 v11, v3
	v_add_nc_u32_e32 v5, 0x390, v13
	ds_store_b128 v13, v[9:12]
	s_wait_loadcnt 0x0
	ds_store_b128 v13, v[15:18] offset:912
	s_wait_storecnt_dscnt 0x0
	s_barrier_signal -1
	s_barrier_wait -1
	global_inv scope:SCOPE_SE
	s_and_saveexec_b32 s1, s0
	s_cbranch_execz .LBB120_19
; %bb.18:
	scratch_load_b128 v[1:4], v14, off
	ds_load_b128 v[6:9], v5
	v_mov_b32_e32 v10, 0
	ds_load_b128 v[15:18], v10 offset:16
	s_wait_loadcnt_dscnt 0x1
	v_mul_f64_e32 v[10:11], v[6:7], v[3:4]
	v_mul_f64_e32 v[3:4], v[8:9], v[3:4]
	s_delay_alu instid0(VALU_DEP_2) | instskip(NEXT) | instid1(VALU_DEP_2)
	v_fma_f64 v[8:9], v[8:9], v[1:2], v[10:11]
	v_fma_f64 v[1:2], v[6:7], v[1:2], -v[3:4]
	s_delay_alu instid0(VALU_DEP_2) | instskip(NEXT) | instid1(VALU_DEP_2)
	v_add_f64_e32 v[3:4], 0, v[8:9]
	v_add_f64_e32 v[1:2], 0, v[1:2]
	s_wait_dscnt 0x0
	s_delay_alu instid0(VALU_DEP_2) | instskip(NEXT) | instid1(VALU_DEP_2)
	v_mul_f64_e32 v[6:7], v[3:4], v[17:18]
	v_mul_f64_e32 v[8:9], v[1:2], v[17:18]
	s_delay_alu instid0(VALU_DEP_2) | instskip(NEXT) | instid1(VALU_DEP_2)
	v_fma_f64 v[1:2], v[1:2], v[15:16], -v[6:7]
	v_fma_f64 v[3:4], v[3:4], v[15:16], v[8:9]
	scratch_store_b128 off, v[1:4], off offset:32
.LBB120_19:
	s_wait_alu 0xfffe
	s_or_b32 exec_lo, exec_lo, s1
	s_wait_loadcnt 0x0
	s_wait_storecnt 0x0
	s_barrier_signal -1
	s_barrier_wait -1
	global_inv scope:SCOPE_SE
	scratch_load_b128 v[1:4], off, s13
	s_mov_b32 s1, exec_lo
	s_wait_loadcnt 0x0
	ds_store_b128 v5, v[1:4]
	s_wait_dscnt 0x0
	s_barrier_signal -1
	s_barrier_wait -1
	global_inv scope:SCOPE_SE
	v_cmpx_gt_u32_e32 2, v0
	s_cbranch_execz .LBB120_23
; %bb.20:
	scratch_load_b128 v[1:4], v14, off
	ds_load_b128 v[6:9], v5
	s_wait_loadcnt_dscnt 0x0
	v_mul_f64_e32 v[10:11], v[8:9], v[3:4]
	v_mul_f64_e32 v[3:4], v[6:7], v[3:4]
	s_delay_alu instid0(VALU_DEP_2) | instskip(NEXT) | instid1(VALU_DEP_2)
	v_fma_f64 v[6:7], v[6:7], v[1:2], -v[10:11]
	v_fma_f64 v[3:4], v[8:9], v[1:2], v[3:4]
	s_delay_alu instid0(VALU_DEP_2) | instskip(NEXT) | instid1(VALU_DEP_2)
	v_add_f64_e32 v[1:2], 0, v[6:7]
	v_add_f64_e32 v[3:4], 0, v[3:4]
	s_and_saveexec_b32 s66, s0
	s_cbranch_execz .LBB120_22
; %bb.21:
	scratch_load_b128 v[6:9], off, off offset:32
	v_mov_b32_e32 v10, 0
	ds_load_b128 v[15:18], v10 offset:928
	s_wait_loadcnt_dscnt 0x0
	v_mul_f64_e32 v[10:11], v[15:16], v[8:9]
	v_mul_f64_e32 v[8:9], v[17:18], v[8:9]
	s_delay_alu instid0(VALU_DEP_2) | instskip(NEXT) | instid1(VALU_DEP_2)
	v_fma_f64 v[10:11], v[17:18], v[6:7], v[10:11]
	v_fma_f64 v[6:7], v[15:16], v[6:7], -v[8:9]
	s_delay_alu instid0(VALU_DEP_2) | instskip(NEXT) | instid1(VALU_DEP_2)
	v_add_f64_e32 v[3:4], v[3:4], v[10:11]
	v_add_f64_e32 v[1:2], v[1:2], v[6:7]
.LBB120_22:
	s_or_b32 exec_lo, exec_lo, s66
	v_mov_b32_e32 v6, 0
	ds_load_b128 v[6:9], v6 offset:32
	s_wait_dscnt 0x0
	v_mul_f64_e32 v[10:11], v[3:4], v[8:9]
	v_mul_f64_e32 v[8:9], v[1:2], v[8:9]
	s_delay_alu instid0(VALU_DEP_2) | instskip(NEXT) | instid1(VALU_DEP_2)
	v_fma_f64 v[1:2], v[1:2], v[6:7], -v[10:11]
	v_fma_f64 v[3:4], v[3:4], v[6:7], v[8:9]
	scratch_store_b128 off, v[1:4], off offset:48
.LBB120_23:
	s_wait_alu 0xfffe
	s_or_b32 exec_lo, exec_lo, s1
	s_wait_loadcnt 0x0
	s_wait_storecnt 0x0
	s_barrier_signal -1
	s_barrier_wait -1
	global_inv scope:SCOPE_SE
	scratch_load_b128 v[1:4], off, s10
	v_add_nc_u32_e32 v6, -1, v0
	s_mov_b32 s0, exec_lo
	s_wait_loadcnt 0x0
	ds_store_b128 v5, v[1:4]
	s_wait_dscnt 0x0
	s_barrier_signal -1
	s_barrier_wait -1
	global_inv scope:SCOPE_SE
	v_cmpx_gt_u32_e32 3, v0
	s_cbranch_execz .LBB120_27
; %bb.24:
	v_dual_mov_b32 v1, 0 :: v_dual_add_nc_u32 v8, 0x390, v13
	v_mov_b32_e32 v3, 0
	v_dual_mov_b32 v2, 0 :: v_dual_add_nc_u32 v7, -1, v0
	v_mov_b32_e32 v4, 0
	v_or_b32_e32 v9, 8, v14
	s_mov_b32 s1, 0
.LBB120_25:                             ; =>This Inner Loop Header: Depth=1
	scratch_load_b128 v[15:18], v9, off offset:-8
	ds_load_b128 v[19:22], v8
	v_add_nc_u32_e32 v7, 1, v7
	v_add_nc_u32_e32 v8, 16, v8
	v_add_nc_u32_e32 v9, 16, v9
	s_delay_alu instid0(VALU_DEP_3)
	v_cmp_lt_u32_e32 vcc_lo, 1, v7
	s_wait_alu 0xfffe
	s_or_b32 s1, vcc_lo, s1
	s_wait_loadcnt_dscnt 0x0
	v_mul_f64_e32 v[10:11], v[21:22], v[17:18]
	v_mul_f64_e32 v[17:18], v[19:20], v[17:18]
	s_delay_alu instid0(VALU_DEP_2) | instskip(NEXT) | instid1(VALU_DEP_2)
	v_fma_f64 v[10:11], v[19:20], v[15:16], -v[10:11]
	v_fma_f64 v[15:16], v[21:22], v[15:16], v[17:18]
	s_delay_alu instid0(VALU_DEP_2) | instskip(NEXT) | instid1(VALU_DEP_2)
	v_add_f64_e32 v[3:4], v[3:4], v[10:11]
	v_add_f64_e32 v[1:2], v[1:2], v[15:16]
	s_wait_alu 0xfffe
	s_and_not1_b32 exec_lo, exec_lo, s1
	s_cbranch_execnz .LBB120_25
; %bb.26:
	s_or_b32 exec_lo, exec_lo, s1
	v_mov_b32_e32 v7, 0
	ds_load_b128 v[7:10], v7 offset:48
	s_wait_dscnt 0x0
	v_mul_f64_e32 v[11:12], v[1:2], v[9:10]
	v_mul_f64_e32 v[15:16], v[3:4], v[9:10]
	s_delay_alu instid0(VALU_DEP_2) | instskip(NEXT) | instid1(VALU_DEP_2)
	v_fma_f64 v[9:10], v[3:4], v[7:8], -v[11:12]
	v_fma_f64 v[11:12], v[1:2], v[7:8], v[15:16]
	scratch_store_b128 off, v[9:12], off offset:64
.LBB120_27:
	s_wait_alu 0xfffe
	s_or_b32 exec_lo, exec_lo, s0
	s_wait_loadcnt 0x0
	s_wait_storecnt 0x0
	s_barrier_signal -1
	s_barrier_wait -1
	global_inv scope:SCOPE_SE
	scratch_load_b128 v[1:4], off, s4
	s_mov_b32 s0, exec_lo
	s_wait_loadcnt 0x0
	ds_store_b128 v5, v[1:4]
	s_wait_dscnt 0x0
	s_barrier_signal -1
	s_barrier_wait -1
	global_inv scope:SCOPE_SE
	v_cmpx_gt_u32_e32 4, v0
	s_cbranch_execz .LBB120_31
; %bb.28:
	v_dual_mov_b32 v1, 0 :: v_dual_add_nc_u32 v8, 0x390, v13
	v_mov_b32_e32 v3, 0
	v_dual_mov_b32 v2, 0 :: v_dual_add_nc_u32 v7, -1, v0
	v_mov_b32_e32 v4, 0
	v_or_b32_e32 v9, 8, v14
	s_mov_b32 s1, 0
.LBB120_29:                             ; =>This Inner Loop Header: Depth=1
	scratch_load_b128 v[15:18], v9, off offset:-8
	ds_load_b128 v[19:22], v8
	v_add_nc_u32_e32 v7, 1, v7
	v_add_nc_u32_e32 v8, 16, v8
	v_add_nc_u32_e32 v9, 16, v9
	s_delay_alu instid0(VALU_DEP_3)
	v_cmp_lt_u32_e32 vcc_lo, 2, v7
	s_wait_alu 0xfffe
	s_or_b32 s1, vcc_lo, s1
	s_wait_loadcnt_dscnt 0x0
	v_mul_f64_e32 v[10:11], v[21:22], v[17:18]
	v_mul_f64_e32 v[17:18], v[19:20], v[17:18]
	s_delay_alu instid0(VALU_DEP_2) | instskip(NEXT) | instid1(VALU_DEP_2)
	v_fma_f64 v[10:11], v[19:20], v[15:16], -v[10:11]
	v_fma_f64 v[15:16], v[21:22], v[15:16], v[17:18]
	s_delay_alu instid0(VALU_DEP_2) | instskip(NEXT) | instid1(VALU_DEP_2)
	v_add_f64_e32 v[3:4], v[3:4], v[10:11]
	v_add_f64_e32 v[1:2], v[1:2], v[15:16]
	s_wait_alu 0xfffe
	s_and_not1_b32 exec_lo, exec_lo, s1
	s_cbranch_execnz .LBB120_29
; %bb.30:
	s_or_b32 exec_lo, exec_lo, s1
	v_mov_b32_e32 v7, 0
	ds_load_b128 v[7:10], v7 offset:64
	s_wait_dscnt 0x0
	v_mul_f64_e32 v[11:12], v[1:2], v[9:10]
	v_mul_f64_e32 v[15:16], v[3:4], v[9:10]
	s_delay_alu instid0(VALU_DEP_2) | instskip(NEXT) | instid1(VALU_DEP_2)
	v_fma_f64 v[9:10], v[3:4], v[7:8], -v[11:12]
	v_fma_f64 v[11:12], v[1:2], v[7:8], v[15:16]
	scratch_store_b128 off, v[9:12], off offset:80
.LBB120_31:
	s_wait_alu 0xfffe
	s_or_b32 exec_lo, exec_lo, s0
	s_wait_loadcnt 0x0
	s_wait_storecnt 0x0
	s_barrier_signal -1
	s_barrier_wait -1
	global_inv scope:SCOPE_SE
	scratch_load_b128 v[1:4], off, s65
	;; [unrolled: 58-line block ×19, first 2 shown]
	s_mov_b32 s0, exec_lo
	s_wait_loadcnt 0x0
	ds_store_b128 v5, v[1:4]
	s_wait_dscnt 0x0
	s_barrier_signal -1
	s_barrier_wait -1
	global_inv scope:SCOPE_SE
	v_cmpx_gt_u32_e32 22, v0
	s_cbranch_execz .LBB120_103
; %bb.100:
	v_dual_mov_b32 v1, 0 :: v_dual_add_nc_u32 v8, 0x390, v13
	v_mov_b32_e32 v3, 0
	v_dual_mov_b32 v2, 0 :: v_dual_add_nc_u32 v7, -1, v0
	v_mov_b32_e32 v4, 0
	v_or_b32_e32 v9, 8, v14
	s_mov_b32 s1, 0
.LBB120_101:                            ; =>This Inner Loop Header: Depth=1
	scratch_load_b128 v[15:18], v9, off offset:-8
	ds_load_b128 v[19:22], v8
	v_add_nc_u32_e32 v7, 1, v7
	v_add_nc_u32_e32 v8, 16, v8
	v_add_nc_u32_e32 v9, 16, v9
	s_delay_alu instid0(VALU_DEP_3)
	v_cmp_lt_u32_e32 vcc_lo, 20, v7
	s_wait_alu 0xfffe
	s_or_b32 s1, vcc_lo, s1
	s_wait_loadcnt_dscnt 0x0
	v_mul_f64_e32 v[10:11], v[21:22], v[17:18]
	v_mul_f64_e32 v[17:18], v[19:20], v[17:18]
	s_delay_alu instid0(VALU_DEP_2) | instskip(NEXT) | instid1(VALU_DEP_2)
	v_fma_f64 v[10:11], v[19:20], v[15:16], -v[10:11]
	v_fma_f64 v[15:16], v[21:22], v[15:16], v[17:18]
	s_delay_alu instid0(VALU_DEP_2) | instskip(NEXT) | instid1(VALU_DEP_2)
	v_add_f64_e32 v[3:4], v[3:4], v[10:11]
	v_add_f64_e32 v[1:2], v[1:2], v[15:16]
	s_wait_alu 0xfffe
	s_and_not1_b32 exec_lo, exec_lo, s1
	s_cbranch_execnz .LBB120_101
; %bb.102:
	s_or_b32 exec_lo, exec_lo, s1
	v_mov_b32_e32 v7, 0
	ds_load_b128 v[7:10], v7 offset:352
	s_wait_dscnt 0x0
	v_mul_f64_e32 v[11:12], v[1:2], v[9:10]
	v_mul_f64_e32 v[15:16], v[3:4], v[9:10]
	s_delay_alu instid0(VALU_DEP_2) | instskip(NEXT) | instid1(VALU_DEP_2)
	v_fma_f64 v[9:10], v[3:4], v[7:8], -v[11:12]
	v_fma_f64 v[11:12], v[1:2], v[7:8], v[15:16]
	scratch_store_b128 off, v[9:12], off offset:368
.LBB120_103:
	s_wait_alu 0xfffe
	s_or_b32 exec_lo, exec_lo, s0
	s_wait_loadcnt 0x0
	s_wait_storecnt 0x0
	s_barrier_signal -1
	s_barrier_wait -1
	global_inv scope:SCOPE_SE
	scratch_load_b128 v[1:4], off, s47
	s_mov_b32 s0, exec_lo
	s_wait_loadcnt 0x0
	ds_store_b128 v5, v[1:4]
	s_wait_dscnt 0x0
	s_barrier_signal -1
	s_barrier_wait -1
	global_inv scope:SCOPE_SE
	v_cmpx_gt_u32_e32 23, v0
	s_cbranch_execz .LBB120_107
; %bb.104:
	v_dual_mov_b32 v1, 0 :: v_dual_add_nc_u32 v8, 0x390, v13
	v_mov_b32_e32 v3, 0
	v_dual_mov_b32 v2, 0 :: v_dual_add_nc_u32 v7, -1, v0
	v_mov_b32_e32 v4, 0
	v_or_b32_e32 v9, 8, v14
	s_mov_b32 s1, 0
.LBB120_105:                            ; =>This Inner Loop Header: Depth=1
	scratch_load_b128 v[15:18], v9, off offset:-8
	ds_load_b128 v[19:22], v8
	v_add_nc_u32_e32 v7, 1, v7
	v_add_nc_u32_e32 v8, 16, v8
	v_add_nc_u32_e32 v9, 16, v9
	s_delay_alu instid0(VALU_DEP_3)
	v_cmp_lt_u32_e32 vcc_lo, 21, v7
	s_wait_alu 0xfffe
	s_or_b32 s1, vcc_lo, s1
	s_wait_loadcnt_dscnt 0x0
	v_mul_f64_e32 v[10:11], v[21:22], v[17:18]
	v_mul_f64_e32 v[17:18], v[19:20], v[17:18]
	s_delay_alu instid0(VALU_DEP_2) | instskip(NEXT) | instid1(VALU_DEP_2)
	v_fma_f64 v[10:11], v[19:20], v[15:16], -v[10:11]
	v_fma_f64 v[15:16], v[21:22], v[15:16], v[17:18]
	s_delay_alu instid0(VALU_DEP_2) | instskip(NEXT) | instid1(VALU_DEP_2)
	v_add_f64_e32 v[3:4], v[3:4], v[10:11]
	v_add_f64_e32 v[1:2], v[1:2], v[15:16]
	s_wait_alu 0xfffe
	s_and_not1_b32 exec_lo, exec_lo, s1
	s_cbranch_execnz .LBB120_105
; %bb.106:
	s_or_b32 exec_lo, exec_lo, s1
	v_mov_b32_e32 v7, 0
	ds_load_b128 v[7:10], v7 offset:368
	s_wait_dscnt 0x0
	v_mul_f64_e32 v[11:12], v[1:2], v[9:10]
	v_mul_f64_e32 v[15:16], v[3:4], v[9:10]
	s_delay_alu instid0(VALU_DEP_2) | instskip(NEXT) | instid1(VALU_DEP_2)
	v_fma_f64 v[9:10], v[3:4], v[7:8], -v[11:12]
	v_fma_f64 v[11:12], v[1:2], v[7:8], v[15:16]
	scratch_store_b128 off, v[9:12], off offset:384
.LBB120_107:
	s_wait_alu 0xfffe
	s_or_b32 exec_lo, exec_lo, s0
	s_wait_loadcnt 0x0
	s_wait_storecnt 0x0
	s_barrier_signal -1
	s_barrier_wait -1
	global_inv scope:SCOPE_SE
	scratch_load_b128 v[1:4], off, s46
	;; [unrolled: 58-line block ×34, first 2 shown]
	s_mov_b32 s0, exec_lo
	s_wait_loadcnt 0x0
	ds_store_b128 v5, v[1:4]
	s_wait_dscnt 0x0
	s_barrier_signal -1
	s_barrier_wait -1
	global_inv scope:SCOPE_SE
	v_cmpx_ne_u32_e32 56, v0
	s_cbranch_execz .LBB120_239
; %bb.236:
	v_mov_b32_e32 v1, 0
	v_dual_mov_b32 v2, 0 :: v_dual_mov_b32 v3, 0
	v_mov_b32_e32 v4, 0
	v_or_b32_e32 v7, 8, v14
	s_mov_b32 s1, 0
.LBB120_237:                            ; =>This Inner Loop Header: Depth=1
	scratch_load_b128 v[8:11], v7, off offset:-8
	ds_load_b128 v[12:15], v5
	v_add_nc_u32_e32 v6, 1, v6
	v_add_nc_u32_e32 v5, 16, v5
	;; [unrolled: 1-line block ×3, first 2 shown]
	s_delay_alu instid0(VALU_DEP_3)
	v_cmp_lt_u32_e32 vcc_lo, 54, v6
	s_wait_alu 0xfffe
	s_or_b32 s1, vcc_lo, s1
	s_wait_loadcnt_dscnt 0x0
	v_mul_f64_e32 v[16:17], v[14:15], v[10:11]
	v_mul_f64_e32 v[10:11], v[12:13], v[10:11]
	s_delay_alu instid0(VALU_DEP_2) | instskip(NEXT) | instid1(VALU_DEP_2)
	v_fma_f64 v[12:13], v[12:13], v[8:9], -v[16:17]
	v_fma_f64 v[8:9], v[14:15], v[8:9], v[10:11]
	s_delay_alu instid0(VALU_DEP_2) | instskip(NEXT) | instid1(VALU_DEP_2)
	v_add_f64_e32 v[3:4], v[3:4], v[12:13]
	v_add_f64_e32 v[1:2], v[1:2], v[8:9]
	s_wait_alu 0xfffe
	s_and_not1_b32 exec_lo, exec_lo, s1
	s_cbranch_execnz .LBB120_237
; %bb.238:
	s_or_b32 exec_lo, exec_lo, s1
	v_mov_b32_e32 v5, 0
	ds_load_b128 v[5:8], v5 offset:896
	s_wait_dscnt 0x0
	v_mul_f64_e32 v[9:10], v[1:2], v[7:8]
	v_mul_f64_e32 v[7:8], v[3:4], v[7:8]
	s_delay_alu instid0(VALU_DEP_2) | instskip(NEXT) | instid1(VALU_DEP_2)
	v_fma_f64 v[3:4], v[3:4], v[5:6], -v[9:10]
	v_fma_f64 v[5:6], v[1:2], v[5:6], v[7:8]
	scratch_store_b128 off, v[3:6], off offset:912
.LBB120_239:
	s_wait_alu 0xfffe
	s_or_b32 exec_lo, exec_lo, s0
	s_mov_b32 s1, -1
	s_wait_loadcnt 0x0
	s_wait_storecnt 0x0
	s_barrier_signal -1
	s_barrier_wait -1
	global_inv scope:SCOPE_SE
.LBB120_240:
	s_wait_alu 0xfffe
	s_and_b32 vcc_lo, exec_lo, s1
	s_wait_alu 0xfffe
	s_cbranch_vccz .LBB120_242
; %bb.241:
	v_mov_b32_e32 v1, 0
	s_lshl_b64 s[0:1], s[8:9], 2
	s_wait_alu 0xfffe
	s_add_nc_u64 s[0:1], s[6:7], s[0:1]
	global_load_b32 v1, v1, s[0:1]
	s_wait_loadcnt 0x0
	v_cmp_ne_u32_e32 vcc_lo, 0, v1
	s_cbranch_vccz .LBB120_243
.LBB120_242:
	s_nop 0
	s_sendmsg sendmsg(MSG_DEALLOC_VGPRS)
	s_endpgm
.LBB120_243:
	v_lshl_add_u32 v160, v0, 4, 0x390
	s_mov_b32 s0, exec_lo
	v_cmpx_eq_u32_e32 56, v0
	s_cbranch_execz .LBB120_245
; %bb.244:
	scratch_load_b128 v[1:4], off, s11
	v_mov_b32_e32 v5, 0
	s_delay_alu instid0(VALU_DEP_1)
	v_dual_mov_b32 v6, v5 :: v_dual_mov_b32 v7, v5
	v_mov_b32_e32 v8, v5
	scratch_store_b128 off, v[5:8], off offset:896
	s_wait_loadcnt 0x0
	ds_store_b128 v160, v[1:4]
.LBB120_245:
	s_wait_alu 0xfffe
	s_or_b32 exec_lo, exec_lo, s0
	s_wait_storecnt_dscnt 0x0
	s_barrier_signal -1
	s_barrier_wait -1
	global_inv scope:SCOPE_SE
	s_clause 0x1
	scratch_load_b128 v[2:5], off, off offset:912
	scratch_load_b128 v[6:9], off, off offset:896
	v_mov_b32_e32 v1, 0
	s_mov_b32 s0, exec_lo
	ds_load_b128 v[10:13], v1 offset:1808
	s_wait_loadcnt_dscnt 0x100
	v_mul_f64_e32 v[14:15], v[12:13], v[4:5]
	v_mul_f64_e32 v[4:5], v[10:11], v[4:5]
	s_delay_alu instid0(VALU_DEP_2) | instskip(NEXT) | instid1(VALU_DEP_2)
	v_fma_f64 v[10:11], v[10:11], v[2:3], -v[14:15]
	v_fma_f64 v[2:3], v[12:13], v[2:3], v[4:5]
	s_delay_alu instid0(VALU_DEP_2) | instskip(NEXT) | instid1(VALU_DEP_2)
	v_add_f64_e32 v[4:5], 0, v[10:11]
	v_add_f64_e32 v[10:11], 0, v[2:3]
	s_wait_loadcnt 0x0
	s_delay_alu instid0(VALU_DEP_2) | instskip(NEXT) | instid1(VALU_DEP_2)
	v_add_f64_e64 v[2:3], v[6:7], -v[4:5]
	v_add_f64_e64 v[4:5], v[8:9], -v[10:11]
	scratch_store_b128 off, v[2:5], off offset:896
	v_cmpx_lt_u32_e32 54, v0
	s_cbranch_execz .LBB120_247
; %bb.246:
	scratch_load_b128 v[5:8], off, s14
	v_dual_mov_b32 v2, v1 :: v_dual_mov_b32 v3, v1
	v_mov_b32_e32 v4, v1
	scratch_store_b128 off, v[1:4], off offset:880
	s_wait_loadcnt 0x0
	ds_store_b128 v160, v[5:8]
.LBB120_247:
	s_wait_alu 0xfffe
	s_or_b32 exec_lo, exec_lo, s0
	s_wait_storecnt_dscnt 0x0
	s_barrier_signal -1
	s_barrier_wait -1
	global_inv scope:SCOPE_SE
	s_clause 0x2
	scratch_load_b128 v[2:5], off, off offset:896
	scratch_load_b128 v[6:9], off, off offset:912
	;; [unrolled: 1-line block ×3, first 2 shown]
	ds_load_b128 v[14:17], v1 offset:1792
	ds_load_b128 v[18:21], v1 offset:1808
	s_mov_b32 s0, exec_lo
	s_wait_loadcnt_dscnt 0x201
	v_mul_f64_e32 v[22:23], v[16:17], v[4:5]
	v_mul_f64_e32 v[4:5], v[14:15], v[4:5]
	s_wait_loadcnt_dscnt 0x100
	v_mul_f64_e32 v[24:25], v[18:19], v[8:9]
	v_mul_f64_e32 v[8:9], v[20:21], v[8:9]
	s_delay_alu instid0(VALU_DEP_4) | instskip(NEXT) | instid1(VALU_DEP_4)
	v_fma_f64 v[14:15], v[14:15], v[2:3], -v[22:23]
	v_fma_f64 v[1:2], v[16:17], v[2:3], v[4:5]
	s_delay_alu instid0(VALU_DEP_4) | instskip(NEXT) | instid1(VALU_DEP_4)
	v_fma_f64 v[3:4], v[20:21], v[6:7], v[24:25]
	v_fma_f64 v[5:6], v[18:19], v[6:7], -v[8:9]
	s_delay_alu instid0(VALU_DEP_4) | instskip(NEXT) | instid1(VALU_DEP_4)
	v_add_f64_e32 v[7:8], 0, v[14:15]
	v_add_f64_e32 v[1:2], 0, v[1:2]
	s_delay_alu instid0(VALU_DEP_2) | instskip(NEXT) | instid1(VALU_DEP_2)
	v_add_f64_e32 v[5:6], v[7:8], v[5:6]
	v_add_f64_e32 v[3:4], v[1:2], v[3:4]
	s_wait_loadcnt 0x0
	s_delay_alu instid0(VALU_DEP_2) | instskip(NEXT) | instid1(VALU_DEP_2)
	v_add_f64_e64 v[1:2], v[10:11], -v[5:6]
	v_add_f64_e64 v[3:4], v[12:13], -v[3:4]
	scratch_store_b128 off, v[1:4], off offset:880
	v_cmpx_lt_u32_e32 53, v0
	s_cbranch_execz .LBB120_249
; %bb.248:
	scratch_load_b128 v[1:4], off, s16
	v_mov_b32_e32 v5, 0
	s_delay_alu instid0(VALU_DEP_1)
	v_dual_mov_b32 v6, v5 :: v_dual_mov_b32 v7, v5
	v_mov_b32_e32 v8, v5
	scratch_store_b128 off, v[5:8], off offset:864
	s_wait_loadcnt 0x0
	ds_store_b128 v160, v[1:4]
.LBB120_249:
	s_wait_alu 0xfffe
	s_or_b32 exec_lo, exec_lo, s0
	s_wait_storecnt_dscnt 0x0
	s_barrier_signal -1
	s_barrier_wait -1
	global_inv scope:SCOPE_SE
	s_clause 0x3
	scratch_load_b128 v[2:5], off, off offset:880
	scratch_load_b128 v[6:9], off, off offset:896
	;; [unrolled: 1-line block ×4, first 2 shown]
	v_mov_b32_e32 v1, 0
	ds_load_b128 v[18:21], v1 offset:1776
	ds_load_b128 v[22:25], v1 offset:1792
	s_mov_b32 s0, exec_lo
	s_wait_loadcnt_dscnt 0x301
	v_mul_f64_e32 v[26:27], v[20:21], v[4:5]
	v_mul_f64_e32 v[4:5], v[18:19], v[4:5]
	s_wait_loadcnt_dscnt 0x200
	v_mul_f64_e32 v[28:29], v[22:23], v[8:9]
	v_mul_f64_e32 v[8:9], v[24:25], v[8:9]
	s_delay_alu instid0(VALU_DEP_4) | instskip(NEXT) | instid1(VALU_DEP_4)
	v_fma_f64 v[18:19], v[18:19], v[2:3], -v[26:27]
	v_fma_f64 v[20:21], v[20:21], v[2:3], v[4:5]
	ds_load_b128 v[2:5], v1 offset:1808
	v_fma_f64 v[24:25], v[24:25], v[6:7], v[28:29]
	v_fma_f64 v[6:7], v[22:23], v[6:7], -v[8:9]
	s_wait_loadcnt_dscnt 0x100
	v_mul_f64_e32 v[26:27], v[2:3], v[12:13]
	v_mul_f64_e32 v[12:13], v[4:5], v[12:13]
	v_add_f64_e32 v[8:9], 0, v[18:19]
	v_add_f64_e32 v[18:19], 0, v[20:21]
	s_delay_alu instid0(VALU_DEP_4) | instskip(NEXT) | instid1(VALU_DEP_4)
	v_fma_f64 v[4:5], v[4:5], v[10:11], v[26:27]
	v_fma_f64 v[2:3], v[2:3], v[10:11], -v[12:13]
	s_delay_alu instid0(VALU_DEP_4) | instskip(NEXT) | instid1(VALU_DEP_4)
	v_add_f64_e32 v[6:7], v[8:9], v[6:7]
	v_add_f64_e32 v[8:9], v[18:19], v[24:25]
	s_delay_alu instid0(VALU_DEP_2) | instskip(NEXT) | instid1(VALU_DEP_2)
	v_add_f64_e32 v[2:3], v[6:7], v[2:3]
	v_add_f64_e32 v[4:5], v[8:9], v[4:5]
	s_wait_loadcnt 0x0
	s_delay_alu instid0(VALU_DEP_2) | instskip(NEXT) | instid1(VALU_DEP_2)
	v_add_f64_e64 v[2:3], v[14:15], -v[2:3]
	v_add_f64_e64 v[4:5], v[16:17], -v[4:5]
	scratch_store_b128 off, v[2:5], off offset:864
	v_cmpx_lt_u32_e32 52, v0
	s_cbranch_execz .LBB120_251
; %bb.250:
	scratch_load_b128 v[5:8], off, s17
	v_dual_mov_b32 v2, v1 :: v_dual_mov_b32 v3, v1
	v_mov_b32_e32 v4, v1
	scratch_store_b128 off, v[1:4], off offset:848
	s_wait_loadcnt 0x0
	ds_store_b128 v160, v[5:8]
.LBB120_251:
	s_wait_alu 0xfffe
	s_or_b32 exec_lo, exec_lo, s0
	s_wait_storecnt_dscnt 0x0
	s_barrier_signal -1
	s_barrier_wait -1
	global_inv scope:SCOPE_SE
	s_clause 0x4
	scratch_load_b128 v[2:5], off, off offset:864
	scratch_load_b128 v[6:9], off, off offset:880
	;; [unrolled: 1-line block ×5, first 2 shown]
	ds_load_b128 v[22:25], v1 offset:1760
	ds_load_b128 v[26:29], v1 offset:1776
	s_mov_b32 s0, exec_lo
	s_wait_loadcnt_dscnt 0x401
	v_mul_f64_e32 v[30:31], v[24:25], v[4:5]
	v_mul_f64_e32 v[4:5], v[22:23], v[4:5]
	s_wait_loadcnt_dscnt 0x300
	v_mul_f64_e32 v[32:33], v[26:27], v[8:9]
	v_mul_f64_e32 v[8:9], v[28:29], v[8:9]
	s_delay_alu instid0(VALU_DEP_4) | instskip(NEXT) | instid1(VALU_DEP_4)
	v_fma_f64 v[30:31], v[22:23], v[2:3], -v[30:31]
	v_fma_f64 v[34:35], v[24:25], v[2:3], v[4:5]
	ds_load_b128 v[2:5], v1 offset:1792
	ds_load_b128 v[22:25], v1 offset:1808
	v_fma_f64 v[28:29], v[28:29], v[6:7], v[32:33]
	v_fma_f64 v[6:7], v[26:27], v[6:7], -v[8:9]
	s_wait_loadcnt_dscnt 0x201
	v_mul_f64_e32 v[36:37], v[2:3], v[12:13]
	v_mul_f64_e32 v[12:13], v[4:5], v[12:13]
	v_add_f64_e32 v[8:9], 0, v[30:31]
	v_add_f64_e32 v[26:27], 0, v[34:35]
	s_wait_loadcnt_dscnt 0x100
	v_mul_f64_e32 v[30:31], v[22:23], v[16:17]
	v_mul_f64_e32 v[16:17], v[24:25], v[16:17]
	v_fma_f64 v[4:5], v[4:5], v[10:11], v[36:37]
	v_fma_f64 v[1:2], v[2:3], v[10:11], -v[12:13]
	v_add_f64_e32 v[6:7], v[8:9], v[6:7]
	v_add_f64_e32 v[8:9], v[26:27], v[28:29]
	v_fma_f64 v[10:11], v[24:25], v[14:15], v[30:31]
	v_fma_f64 v[12:13], v[22:23], v[14:15], -v[16:17]
	s_delay_alu instid0(VALU_DEP_4) | instskip(NEXT) | instid1(VALU_DEP_4)
	v_add_f64_e32 v[1:2], v[6:7], v[1:2]
	v_add_f64_e32 v[3:4], v[8:9], v[4:5]
	s_delay_alu instid0(VALU_DEP_2) | instskip(NEXT) | instid1(VALU_DEP_2)
	v_add_f64_e32 v[1:2], v[1:2], v[12:13]
	v_add_f64_e32 v[3:4], v[3:4], v[10:11]
	s_wait_loadcnt 0x0
	s_delay_alu instid0(VALU_DEP_2) | instskip(NEXT) | instid1(VALU_DEP_2)
	v_add_f64_e64 v[1:2], v[18:19], -v[1:2]
	v_add_f64_e64 v[3:4], v[20:21], -v[3:4]
	scratch_store_b128 off, v[1:4], off offset:848
	v_cmpx_lt_u32_e32 51, v0
	s_cbranch_execz .LBB120_253
; %bb.252:
	scratch_load_b128 v[1:4], off, s18
	v_mov_b32_e32 v5, 0
	s_delay_alu instid0(VALU_DEP_1)
	v_dual_mov_b32 v6, v5 :: v_dual_mov_b32 v7, v5
	v_mov_b32_e32 v8, v5
	scratch_store_b128 off, v[5:8], off offset:832
	s_wait_loadcnt 0x0
	ds_store_b128 v160, v[1:4]
.LBB120_253:
	s_wait_alu 0xfffe
	s_or_b32 exec_lo, exec_lo, s0
	s_wait_storecnt_dscnt 0x0
	s_barrier_signal -1
	s_barrier_wait -1
	global_inv scope:SCOPE_SE
	s_clause 0x5
	scratch_load_b128 v[2:5], off, off offset:848
	scratch_load_b128 v[6:9], off, off offset:864
	;; [unrolled: 1-line block ×6, first 2 shown]
	v_mov_b32_e32 v1, 0
	ds_load_b128 v[26:29], v1 offset:1744
	ds_load_b128 v[30:33], v1 offset:1760
	s_mov_b32 s0, exec_lo
	s_wait_loadcnt_dscnt 0x501
	v_mul_f64_e32 v[34:35], v[28:29], v[4:5]
	v_mul_f64_e32 v[4:5], v[26:27], v[4:5]
	s_wait_loadcnt_dscnt 0x400
	v_mul_f64_e32 v[36:37], v[30:31], v[8:9]
	v_mul_f64_e32 v[8:9], v[32:33], v[8:9]
	s_delay_alu instid0(VALU_DEP_4) | instskip(NEXT) | instid1(VALU_DEP_4)
	v_fma_f64 v[34:35], v[26:27], v[2:3], -v[34:35]
	v_fma_f64 v[38:39], v[28:29], v[2:3], v[4:5]
	ds_load_b128 v[2:5], v1 offset:1776
	ds_load_b128 v[26:29], v1 offset:1792
	v_fma_f64 v[32:33], v[32:33], v[6:7], v[36:37]
	v_fma_f64 v[6:7], v[30:31], v[6:7], -v[8:9]
	s_wait_loadcnt_dscnt 0x301
	v_mul_f64_e32 v[40:41], v[2:3], v[12:13]
	v_mul_f64_e32 v[12:13], v[4:5], v[12:13]
	v_add_f64_e32 v[8:9], 0, v[34:35]
	v_add_f64_e32 v[30:31], 0, v[38:39]
	s_wait_loadcnt_dscnt 0x200
	v_mul_f64_e32 v[34:35], v[26:27], v[16:17]
	v_mul_f64_e32 v[16:17], v[28:29], v[16:17]
	v_fma_f64 v[36:37], v[4:5], v[10:11], v[40:41]
	v_fma_f64 v[10:11], v[2:3], v[10:11], -v[12:13]
	ds_load_b128 v[2:5], v1 offset:1808
	v_add_f64_e32 v[6:7], v[8:9], v[6:7]
	v_add_f64_e32 v[8:9], v[30:31], v[32:33]
	v_fma_f64 v[28:29], v[28:29], v[14:15], v[34:35]
	v_fma_f64 v[14:15], v[26:27], v[14:15], -v[16:17]
	s_wait_loadcnt_dscnt 0x100
	v_mul_f64_e32 v[12:13], v[2:3], v[20:21]
	v_mul_f64_e32 v[20:21], v[4:5], v[20:21]
	v_add_f64_e32 v[6:7], v[6:7], v[10:11]
	v_add_f64_e32 v[8:9], v[8:9], v[36:37]
	s_delay_alu instid0(VALU_DEP_4) | instskip(NEXT) | instid1(VALU_DEP_4)
	v_fma_f64 v[4:5], v[4:5], v[18:19], v[12:13]
	v_fma_f64 v[2:3], v[2:3], v[18:19], -v[20:21]
	s_delay_alu instid0(VALU_DEP_4) | instskip(NEXT) | instid1(VALU_DEP_4)
	v_add_f64_e32 v[6:7], v[6:7], v[14:15]
	v_add_f64_e32 v[8:9], v[8:9], v[28:29]
	s_delay_alu instid0(VALU_DEP_2) | instskip(NEXT) | instid1(VALU_DEP_2)
	v_add_f64_e32 v[2:3], v[6:7], v[2:3]
	v_add_f64_e32 v[4:5], v[8:9], v[4:5]
	s_wait_loadcnt 0x0
	s_delay_alu instid0(VALU_DEP_2) | instskip(NEXT) | instid1(VALU_DEP_2)
	v_add_f64_e64 v[2:3], v[22:23], -v[2:3]
	v_add_f64_e64 v[4:5], v[24:25], -v[4:5]
	scratch_store_b128 off, v[2:5], off offset:832
	v_cmpx_lt_u32_e32 50, v0
	s_cbranch_execz .LBB120_255
; %bb.254:
	scratch_load_b128 v[5:8], off, s19
	v_dual_mov_b32 v2, v1 :: v_dual_mov_b32 v3, v1
	v_mov_b32_e32 v4, v1
	scratch_store_b128 off, v[1:4], off offset:816
	s_wait_loadcnt 0x0
	ds_store_b128 v160, v[5:8]
.LBB120_255:
	s_wait_alu 0xfffe
	s_or_b32 exec_lo, exec_lo, s0
	s_wait_storecnt_dscnt 0x0
	s_barrier_signal -1
	s_barrier_wait -1
	global_inv scope:SCOPE_SE
	s_clause 0x5
	scratch_load_b128 v[2:5], off, off offset:832
	scratch_load_b128 v[6:9], off, off offset:848
	;; [unrolled: 1-line block ×6, first 2 shown]
	ds_load_b128 v[26:29], v1 offset:1728
	ds_load_b128 v[34:37], v1 offset:1744
	scratch_load_b128 v[30:33], off, off offset:816
	s_mov_b32 s0, exec_lo
	s_wait_loadcnt_dscnt 0x601
	v_mul_f64_e32 v[38:39], v[28:29], v[4:5]
	v_mul_f64_e32 v[4:5], v[26:27], v[4:5]
	s_wait_loadcnt_dscnt 0x500
	v_mul_f64_e32 v[40:41], v[34:35], v[8:9]
	v_mul_f64_e32 v[8:9], v[36:37], v[8:9]
	s_delay_alu instid0(VALU_DEP_4) | instskip(NEXT) | instid1(VALU_DEP_4)
	v_fma_f64 v[38:39], v[26:27], v[2:3], -v[38:39]
	v_fma_f64 v[42:43], v[28:29], v[2:3], v[4:5]
	ds_load_b128 v[2:5], v1 offset:1760
	ds_load_b128 v[26:29], v1 offset:1776
	v_fma_f64 v[36:37], v[36:37], v[6:7], v[40:41]
	v_fma_f64 v[6:7], v[34:35], v[6:7], -v[8:9]
	s_wait_loadcnt_dscnt 0x401
	v_mul_f64_e32 v[44:45], v[2:3], v[12:13]
	v_mul_f64_e32 v[12:13], v[4:5], v[12:13]
	v_add_f64_e32 v[8:9], 0, v[38:39]
	v_add_f64_e32 v[34:35], 0, v[42:43]
	s_wait_loadcnt_dscnt 0x300
	v_mul_f64_e32 v[38:39], v[26:27], v[16:17]
	v_mul_f64_e32 v[16:17], v[28:29], v[16:17]
	v_fma_f64 v[40:41], v[4:5], v[10:11], v[44:45]
	v_fma_f64 v[10:11], v[2:3], v[10:11], -v[12:13]
	v_add_f64_e32 v[12:13], v[8:9], v[6:7]
	v_add_f64_e32 v[34:35], v[34:35], v[36:37]
	ds_load_b128 v[2:5], v1 offset:1792
	ds_load_b128 v[6:9], v1 offset:1808
	v_fma_f64 v[28:29], v[28:29], v[14:15], v[38:39]
	v_fma_f64 v[14:15], v[26:27], v[14:15], -v[16:17]
	s_wait_loadcnt_dscnt 0x201
	v_mul_f64_e32 v[36:37], v[2:3], v[20:21]
	v_mul_f64_e32 v[20:21], v[4:5], v[20:21]
	s_wait_loadcnt_dscnt 0x100
	v_mul_f64_e32 v[16:17], v[6:7], v[24:25]
	v_mul_f64_e32 v[24:25], v[8:9], v[24:25]
	v_add_f64_e32 v[10:11], v[12:13], v[10:11]
	v_add_f64_e32 v[12:13], v[34:35], v[40:41]
	v_fma_f64 v[4:5], v[4:5], v[18:19], v[36:37]
	v_fma_f64 v[1:2], v[2:3], v[18:19], -v[20:21]
	v_fma_f64 v[8:9], v[8:9], v[22:23], v[16:17]
	v_fma_f64 v[6:7], v[6:7], v[22:23], -v[24:25]
	v_add_f64_e32 v[10:11], v[10:11], v[14:15]
	v_add_f64_e32 v[12:13], v[12:13], v[28:29]
	s_delay_alu instid0(VALU_DEP_2) | instskip(NEXT) | instid1(VALU_DEP_2)
	v_add_f64_e32 v[1:2], v[10:11], v[1:2]
	v_add_f64_e32 v[3:4], v[12:13], v[4:5]
	s_delay_alu instid0(VALU_DEP_2) | instskip(NEXT) | instid1(VALU_DEP_2)
	v_add_f64_e32 v[1:2], v[1:2], v[6:7]
	v_add_f64_e32 v[3:4], v[3:4], v[8:9]
	s_wait_loadcnt 0x0
	s_delay_alu instid0(VALU_DEP_2) | instskip(NEXT) | instid1(VALU_DEP_2)
	v_add_f64_e64 v[1:2], v[30:31], -v[1:2]
	v_add_f64_e64 v[3:4], v[32:33], -v[3:4]
	scratch_store_b128 off, v[1:4], off offset:816
	v_cmpx_lt_u32_e32 49, v0
	s_cbranch_execz .LBB120_257
; %bb.256:
	scratch_load_b128 v[1:4], off, s20
	v_mov_b32_e32 v5, 0
	s_delay_alu instid0(VALU_DEP_1)
	v_dual_mov_b32 v6, v5 :: v_dual_mov_b32 v7, v5
	v_mov_b32_e32 v8, v5
	scratch_store_b128 off, v[5:8], off offset:800
	s_wait_loadcnt 0x0
	ds_store_b128 v160, v[1:4]
.LBB120_257:
	s_wait_alu 0xfffe
	s_or_b32 exec_lo, exec_lo, s0
	s_wait_storecnt_dscnt 0x0
	s_barrier_signal -1
	s_barrier_wait -1
	global_inv scope:SCOPE_SE
	s_clause 0x6
	scratch_load_b128 v[2:5], off, off offset:816
	scratch_load_b128 v[6:9], off, off offset:832
	;; [unrolled: 1-line block ×7, first 2 shown]
	v_mov_b32_e32 v1, 0
	scratch_load_b128 v[34:37], off, off offset:800
	s_mov_b32 s0, exec_lo
	ds_load_b128 v[30:33], v1 offset:1712
	ds_load_b128 v[38:41], v1 offset:1728
	s_wait_loadcnt_dscnt 0x701
	v_mul_f64_e32 v[42:43], v[32:33], v[4:5]
	v_mul_f64_e32 v[4:5], v[30:31], v[4:5]
	s_wait_loadcnt_dscnt 0x600
	v_mul_f64_e32 v[44:45], v[38:39], v[8:9]
	v_mul_f64_e32 v[8:9], v[40:41], v[8:9]
	s_delay_alu instid0(VALU_DEP_4) | instskip(NEXT) | instid1(VALU_DEP_4)
	v_fma_f64 v[42:43], v[30:31], v[2:3], -v[42:43]
	v_fma_f64 v[161:162], v[32:33], v[2:3], v[4:5]
	ds_load_b128 v[2:5], v1 offset:1744
	ds_load_b128 v[30:33], v1 offset:1760
	v_fma_f64 v[40:41], v[40:41], v[6:7], v[44:45]
	v_fma_f64 v[6:7], v[38:39], v[6:7], -v[8:9]
	s_wait_loadcnt_dscnt 0x501
	v_mul_f64_e32 v[163:164], v[2:3], v[12:13]
	v_mul_f64_e32 v[12:13], v[4:5], v[12:13]
	v_add_f64_e32 v[8:9], 0, v[42:43]
	v_add_f64_e32 v[38:39], 0, v[161:162]
	s_wait_loadcnt_dscnt 0x400
	v_mul_f64_e32 v[42:43], v[30:31], v[16:17]
	v_mul_f64_e32 v[16:17], v[32:33], v[16:17]
	v_fma_f64 v[44:45], v[4:5], v[10:11], v[163:164]
	v_fma_f64 v[10:11], v[2:3], v[10:11], -v[12:13]
	v_add_f64_e32 v[12:13], v[8:9], v[6:7]
	v_add_f64_e32 v[38:39], v[38:39], v[40:41]
	ds_load_b128 v[2:5], v1 offset:1776
	ds_load_b128 v[6:9], v1 offset:1792
	v_fma_f64 v[32:33], v[32:33], v[14:15], v[42:43]
	v_fma_f64 v[14:15], v[30:31], v[14:15], -v[16:17]
	s_wait_loadcnt_dscnt 0x301
	v_mul_f64_e32 v[40:41], v[2:3], v[20:21]
	v_mul_f64_e32 v[20:21], v[4:5], v[20:21]
	s_wait_loadcnt_dscnt 0x200
	v_mul_f64_e32 v[16:17], v[6:7], v[24:25]
	v_mul_f64_e32 v[24:25], v[8:9], v[24:25]
	v_add_f64_e32 v[10:11], v[12:13], v[10:11]
	v_add_f64_e32 v[12:13], v[38:39], v[44:45]
	v_fma_f64 v[30:31], v[4:5], v[18:19], v[40:41]
	v_fma_f64 v[18:19], v[2:3], v[18:19], -v[20:21]
	ds_load_b128 v[2:5], v1 offset:1808
	v_fma_f64 v[8:9], v[8:9], v[22:23], v[16:17]
	v_fma_f64 v[6:7], v[6:7], v[22:23], -v[24:25]
	v_add_f64_e32 v[10:11], v[10:11], v[14:15]
	v_add_f64_e32 v[12:13], v[12:13], v[32:33]
	s_wait_loadcnt_dscnt 0x100
	v_mul_f64_e32 v[14:15], v[2:3], v[28:29]
	v_mul_f64_e32 v[20:21], v[4:5], v[28:29]
	s_delay_alu instid0(VALU_DEP_4) | instskip(NEXT) | instid1(VALU_DEP_4)
	v_add_f64_e32 v[10:11], v[10:11], v[18:19]
	v_add_f64_e32 v[12:13], v[12:13], v[30:31]
	s_delay_alu instid0(VALU_DEP_4) | instskip(NEXT) | instid1(VALU_DEP_4)
	v_fma_f64 v[4:5], v[4:5], v[26:27], v[14:15]
	v_fma_f64 v[2:3], v[2:3], v[26:27], -v[20:21]
	s_delay_alu instid0(VALU_DEP_4) | instskip(NEXT) | instid1(VALU_DEP_4)
	v_add_f64_e32 v[6:7], v[10:11], v[6:7]
	v_add_f64_e32 v[8:9], v[12:13], v[8:9]
	s_delay_alu instid0(VALU_DEP_2) | instskip(NEXT) | instid1(VALU_DEP_2)
	v_add_f64_e32 v[2:3], v[6:7], v[2:3]
	v_add_f64_e32 v[4:5], v[8:9], v[4:5]
	s_wait_loadcnt 0x0
	s_delay_alu instid0(VALU_DEP_2) | instskip(NEXT) | instid1(VALU_DEP_2)
	v_add_f64_e64 v[2:3], v[34:35], -v[2:3]
	v_add_f64_e64 v[4:5], v[36:37], -v[4:5]
	scratch_store_b128 off, v[2:5], off offset:800
	v_cmpx_lt_u32_e32 48, v0
	s_cbranch_execz .LBB120_259
; %bb.258:
	scratch_load_b128 v[5:8], off, s21
	v_dual_mov_b32 v2, v1 :: v_dual_mov_b32 v3, v1
	v_mov_b32_e32 v4, v1
	scratch_store_b128 off, v[1:4], off offset:784
	s_wait_loadcnt 0x0
	ds_store_b128 v160, v[5:8]
.LBB120_259:
	s_wait_alu 0xfffe
	s_or_b32 exec_lo, exec_lo, s0
	s_wait_storecnt_dscnt 0x0
	s_barrier_signal -1
	s_barrier_wait -1
	global_inv scope:SCOPE_SE
	s_clause 0x7
	scratch_load_b128 v[2:5], off, off offset:800
	scratch_load_b128 v[6:9], off, off offset:816
	;; [unrolled: 1-line block ×8, first 2 shown]
	ds_load_b128 v[34:37], v1 offset:1696
	ds_load_b128 v[38:41], v1 offset:1712
	s_mov_b32 s0, exec_lo
	s_wait_loadcnt_dscnt 0x701
	v_mul_f64_e32 v[42:43], v[36:37], v[4:5]
	v_mul_f64_e32 v[4:5], v[34:35], v[4:5]
	s_wait_loadcnt_dscnt 0x600
	v_mul_f64_e32 v[44:45], v[38:39], v[8:9]
	v_mul_f64_e32 v[8:9], v[40:41], v[8:9]
	s_delay_alu instid0(VALU_DEP_4) | instskip(NEXT) | instid1(VALU_DEP_4)
	v_fma_f64 v[42:43], v[34:35], v[2:3], -v[42:43]
	v_fma_f64 v[161:162], v[36:37], v[2:3], v[4:5]
	ds_load_b128 v[2:5], v1 offset:1728
	scratch_load_b128 v[34:37], off, off offset:784
	v_fma_f64 v[40:41], v[40:41], v[6:7], v[44:45]
	v_fma_f64 v[38:39], v[38:39], v[6:7], -v[8:9]
	ds_load_b128 v[6:9], v1 offset:1744
	s_wait_loadcnt_dscnt 0x601
	v_mul_f64_e32 v[163:164], v[2:3], v[12:13]
	v_mul_f64_e32 v[12:13], v[4:5], v[12:13]
	v_add_f64_e32 v[42:43], 0, v[42:43]
	v_add_f64_e32 v[44:45], 0, v[161:162]
	s_wait_loadcnt_dscnt 0x500
	v_mul_f64_e32 v[161:162], v[6:7], v[16:17]
	v_mul_f64_e32 v[16:17], v[8:9], v[16:17]
	v_fma_f64 v[163:164], v[4:5], v[10:11], v[163:164]
	v_fma_f64 v[10:11], v[2:3], v[10:11], -v[12:13]
	ds_load_b128 v[2:5], v1 offset:1760
	v_add_f64_e32 v[12:13], v[42:43], v[38:39]
	v_add_f64_e32 v[38:39], v[44:45], v[40:41]
	v_fma_f64 v[42:43], v[8:9], v[14:15], v[161:162]
	v_fma_f64 v[14:15], v[6:7], v[14:15], -v[16:17]
	ds_load_b128 v[6:9], v1 offset:1776
	s_wait_loadcnt_dscnt 0x401
	v_mul_f64_e32 v[40:41], v[2:3], v[20:21]
	v_mul_f64_e32 v[20:21], v[4:5], v[20:21]
	s_wait_loadcnt_dscnt 0x300
	v_mul_f64_e32 v[16:17], v[6:7], v[24:25]
	v_mul_f64_e32 v[24:25], v[8:9], v[24:25]
	v_add_f64_e32 v[10:11], v[12:13], v[10:11]
	v_add_f64_e32 v[12:13], v[38:39], v[163:164]
	v_fma_f64 v[38:39], v[4:5], v[18:19], v[40:41]
	v_fma_f64 v[18:19], v[2:3], v[18:19], -v[20:21]
	ds_load_b128 v[2:5], v1 offset:1792
	v_fma_f64 v[16:17], v[8:9], v[22:23], v[16:17]
	v_fma_f64 v[22:23], v[6:7], v[22:23], -v[24:25]
	ds_load_b128 v[6:9], v1 offset:1808
	s_wait_loadcnt_dscnt 0x201
	v_mul_f64_e32 v[20:21], v[4:5], v[28:29]
	v_add_f64_e32 v[10:11], v[10:11], v[14:15]
	v_add_f64_e32 v[12:13], v[12:13], v[42:43]
	v_mul_f64_e32 v[14:15], v[2:3], v[28:29]
	s_wait_loadcnt_dscnt 0x100
	v_mul_f64_e32 v[24:25], v[8:9], v[32:33]
	v_fma_f64 v[1:2], v[2:3], v[26:27], -v[20:21]
	v_add_f64_e32 v[10:11], v[10:11], v[18:19]
	v_add_f64_e32 v[12:13], v[12:13], v[38:39]
	v_mul_f64_e32 v[18:19], v[6:7], v[32:33]
	v_fma_f64 v[4:5], v[4:5], v[26:27], v[14:15]
	v_fma_f64 v[6:7], v[6:7], v[30:31], -v[24:25]
	v_add_f64_e32 v[10:11], v[10:11], v[22:23]
	v_add_f64_e32 v[12:13], v[12:13], v[16:17]
	v_fma_f64 v[8:9], v[8:9], v[30:31], v[18:19]
	s_delay_alu instid0(VALU_DEP_3) | instskip(NEXT) | instid1(VALU_DEP_3)
	v_add_f64_e32 v[1:2], v[10:11], v[1:2]
	v_add_f64_e32 v[3:4], v[12:13], v[4:5]
	s_delay_alu instid0(VALU_DEP_2) | instskip(NEXT) | instid1(VALU_DEP_2)
	v_add_f64_e32 v[1:2], v[1:2], v[6:7]
	v_add_f64_e32 v[3:4], v[3:4], v[8:9]
	s_wait_loadcnt 0x0
	s_delay_alu instid0(VALU_DEP_2) | instskip(NEXT) | instid1(VALU_DEP_2)
	v_add_f64_e64 v[1:2], v[34:35], -v[1:2]
	v_add_f64_e64 v[3:4], v[36:37], -v[3:4]
	scratch_store_b128 off, v[1:4], off offset:784
	v_cmpx_lt_u32_e32 47, v0
	s_cbranch_execz .LBB120_261
; %bb.260:
	scratch_load_b128 v[1:4], off, s22
	v_mov_b32_e32 v5, 0
	s_delay_alu instid0(VALU_DEP_1)
	v_dual_mov_b32 v6, v5 :: v_dual_mov_b32 v7, v5
	v_mov_b32_e32 v8, v5
	scratch_store_b128 off, v[5:8], off offset:768
	s_wait_loadcnt 0x0
	ds_store_b128 v160, v[1:4]
.LBB120_261:
	s_wait_alu 0xfffe
	s_or_b32 exec_lo, exec_lo, s0
	s_wait_storecnt_dscnt 0x0
	s_barrier_signal -1
	s_barrier_wait -1
	global_inv scope:SCOPE_SE
	s_clause 0x7
	scratch_load_b128 v[2:5], off, off offset:784
	scratch_load_b128 v[6:9], off, off offset:800
	;; [unrolled: 1-line block ×8, first 2 shown]
	v_mov_b32_e32 v1, 0
	scratch_load_b128 v[38:41], off, off offset:912
	s_mov_b32 s0, exec_lo
	ds_load_b128 v[34:37], v1 offset:1680
	ds_load_b128 v[42:45], v1 offset:1696
	s_wait_loadcnt_dscnt 0x801
	v_mul_f64_e32 v[161:162], v[36:37], v[4:5]
	v_mul_f64_e32 v[4:5], v[34:35], v[4:5]
	s_wait_loadcnt_dscnt 0x700
	v_mul_f64_e32 v[163:164], v[42:43], v[8:9]
	v_mul_f64_e32 v[8:9], v[44:45], v[8:9]
	s_delay_alu instid0(VALU_DEP_4) | instskip(NEXT) | instid1(VALU_DEP_4)
	v_fma_f64 v[34:35], v[34:35], v[2:3], -v[161:162]
	v_fma_f64 v[36:37], v[36:37], v[2:3], v[4:5]
	ds_load_b128 v[2:5], v1 offset:1712
	v_fma_f64 v[44:45], v[44:45], v[6:7], v[163:164]
	v_fma_f64 v[42:43], v[42:43], v[6:7], -v[8:9]
	ds_load_b128 v[6:9], v1 offset:1728
	s_wait_loadcnt_dscnt 0x601
	v_mul_f64_e32 v[161:162], v[2:3], v[12:13]
	v_mul_f64_e32 v[12:13], v[4:5], v[12:13]
	s_wait_loadcnt_dscnt 0x500
	v_mul_f64_e32 v[167:168], v[6:7], v[16:17]
	v_mul_f64_e32 v[16:17], v[8:9], v[16:17]
	v_add_f64_e32 v[163:164], 0, v[34:35]
	v_add_f64_e32 v[165:166], 0, v[36:37]
	scratch_load_b128 v[34:37], off, off offset:768
	v_fma_f64 v[161:162], v[4:5], v[10:11], v[161:162]
	v_fma_f64 v[10:11], v[2:3], v[10:11], -v[12:13]
	ds_load_b128 v[2:5], v1 offset:1744
	v_add_f64_e32 v[12:13], v[163:164], v[42:43]
	v_add_f64_e32 v[42:43], v[165:166], v[44:45]
	v_fma_f64 v[163:164], v[8:9], v[14:15], v[167:168]
	v_fma_f64 v[14:15], v[6:7], v[14:15], -v[16:17]
	ds_load_b128 v[6:9], v1 offset:1760
	s_wait_loadcnt_dscnt 0x501
	v_mul_f64_e32 v[44:45], v[2:3], v[20:21]
	v_mul_f64_e32 v[20:21], v[4:5], v[20:21]
	s_wait_loadcnt_dscnt 0x400
	v_mul_f64_e32 v[16:17], v[6:7], v[24:25]
	v_mul_f64_e32 v[24:25], v[8:9], v[24:25]
	v_add_f64_e32 v[10:11], v[12:13], v[10:11]
	v_add_f64_e32 v[12:13], v[42:43], v[161:162]
	v_fma_f64 v[42:43], v[4:5], v[18:19], v[44:45]
	v_fma_f64 v[18:19], v[2:3], v[18:19], -v[20:21]
	ds_load_b128 v[2:5], v1 offset:1776
	v_fma_f64 v[16:17], v[8:9], v[22:23], v[16:17]
	v_fma_f64 v[22:23], v[6:7], v[22:23], -v[24:25]
	ds_load_b128 v[6:9], v1 offset:1792
	s_wait_loadcnt_dscnt 0x301
	v_mul_f64_e32 v[20:21], v[4:5], v[28:29]
	v_add_f64_e32 v[10:11], v[10:11], v[14:15]
	v_add_f64_e32 v[12:13], v[12:13], v[163:164]
	v_mul_f64_e32 v[14:15], v[2:3], v[28:29]
	s_wait_loadcnt_dscnt 0x200
	v_mul_f64_e32 v[24:25], v[8:9], v[32:33]
	v_fma_f64 v[20:21], v[2:3], v[26:27], -v[20:21]
	v_add_f64_e32 v[10:11], v[10:11], v[18:19]
	v_add_f64_e32 v[12:13], v[12:13], v[42:43]
	v_mul_f64_e32 v[18:19], v[6:7], v[32:33]
	v_fma_f64 v[14:15], v[4:5], v[26:27], v[14:15]
	ds_load_b128 v[2:5], v1 offset:1808
	v_fma_f64 v[6:7], v[6:7], v[30:31], -v[24:25]
	v_add_f64_e32 v[10:11], v[10:11], v[22:23]
	v_add_f64_e32 v[12:13], v[12:13], v[16:17]
	s_wait_loadcnt_dscnt 0x100
	v_mul_f64_e32 v[16:17], v[2:3], v[40:41]
	v_mul_f64_e32 v[22:23], v[4:5], v[40:41]
	v_fma_f64 v[8:9], v[8:9], v[30:31], v[18:19]
	v_add_f64_e32 v[10:11], v[10:11], v[20:21]
	v_add_f64_e32 v[12:13], v[12:13], v[14:15]
	v_fma_f64 v[4:5], v[4:5], v[38:39], v[16:17]
	v_fma_f64 v[2:3], v[2:3], v[38:39], -v[22:23]
	s_delay_alu instid0(VALU_DEP_4) | instskip(NEXT) | instid1(VALU_DEP_4)
	v_add_f64_e32 v[6:7], v[10:11], v[6:7]
	v_add_f64_e32 v[8:9], v[12:13], v[8:9]
	s_delay_alu instid0(VALU_DEP_2) | instskip(NEXT) | instid1(VALU_DEP_2)
	v_add_f64_e32 v[2:3], v[6:7], v[2:3]
	v_add_f64_e32 v[4:5], v[8:9], v[4:5]
	s_wait_loadcnt 0x0
	s_delay_alu instid0(VALU_DEP_2) | instskip(NEXT) | instid1(VALU_DEP_2)
	v_add_f64_e64 v[2:3], v[34:35], -v[2:3]
	v_add_f64_e64 v[4:5], v[36:37], -v[4:5]
	scratch_store_b128 off, v[2:5], off offset:768
	v_cmpx_lt_u32_e32 46, v0
	s_cbranch_execz .LBB120_263
; %bb.262:
	scratch_load_b128 v[5:8], off, s23
	v_dual_mov_b32 v2, v1 :: v_dual_mov_b32 v3, v1
	v_mov_b32_e32 v4, v1
	scratch_store_b128 off, v[1:4], off offset:752
	s_wait_loadcnt 0x0
	ds_store_b128 v160, v[5:8]
.LBB120_263:
	s_wait_alu 0xfffe
	s_or_b32 exec_lo, exec_lo, s0
	s_wait_storecnt_dscnt 0x0
	s_barrier_signal -1
	s_barrier_wait -1
	global_inv scope:SCOPE_SE
	s_clause 0x8
	scratch_load_b128 v[2:5], off, off offset:768
	scratch_load_b128 v[6:9], off, off offset:784
	;; [unrolled: 1-line block ×9, first 2 shown]
	ds_load_b128 v[38:41], v1 offset:1664
	ds_load_b128 v[42:45], v1 offset:1680
	s_clause 0x1
	scratch_load_b128 v[161:164], off, off offset:752
	scratch_load_b128 v[165:168], off, off offset:912
	s_mov_b32 s0, exec_lo
	s_wait_loadcnt_dscnt 0xa01
	v_mul_f64_e32 v[169:170], v[40:41], v[4:5]
	v_mul_f64_e32 v[4:5], v[38:39], v[4:5]
	s_wait_loadcnt_dscnt 0x900
	v_mul_f64_e32 v[171:172], v[42:43], v[8:9]
	v_mul_f64_e32 v[8:9], v[44:45], v[8:9]
	s_delay_alu instid0(VALU_DEP_4) | instskip(NEXT) | instid1(VALU_DEP_4)
	v_fma_f64 v[169:170], v[38:39], v[2:3], -v[169:170]
	v_fma_f64 v[173:174], v[40:41], v[2:3], v[4:5]
	ds_load_b128 v[2:5], v1 offset:1696
	ds_load_b128 v[38:41], v1 offset:1712
	v_fma_f64 v[44:45], v[44:45], v[6:7], v[171:172]
	v_fma_f64 v[6:7], v[42:43], v[6:7], -v[8:9]
	s_wait_loadcnt_dscnt 0x801
	v_mul_f64_e32 v[175:176], v[2:3], v[12:13]
	v_mul_f64_e32 v[12:13], v[4:5], v[12:13]
	v_add_f64_e32 v[8:9], 0, v[169:170]
	v_add_f64_e32 v[42:43], 0, v[173:174]
	s_wait_loadcnt_dscnt 0x700
	v_mul_f64_e32 v[169:170], v[38:39], v[16:17]
	v_mul_f64_e32 v[16:17], v[40:41], v[16:17]
	v_fma_f64 v[171:172], v[4:5], v[10:11], v[175:176]
	v_fma_f64 v[10:11], v[2:3], v[10:11], -v[12:13]
	v_add_f64_e32 v[12:13], v[8:9], v[6:7]
	v_add_f64_e32 v[42:43], v[42:43], v[44:45]
	ds_load_b128 v[2:5], v1 offset:1728
	ds_load_b128 v[6:9], v1 offset:1744
	v_fma_f64 v[40:41], v[40:41], v[14:15], v[169:170]
	v_fma_f64 v[14:15], v[38:39], v[14:15], -v[16:17]
	s_wait_loadcnt_dscnt 0x601
	v_mul_f64_e32 v[44:45], v[2:3], v[20:21]
	v_mul_f64_e32 v[20:21], v[4:5], v[20:21]
	s_wait_loadcnt_dscnt 0x500
	v_mul_f64_e32 v[16:17], v[6:7], v[24:25]
	v_mul_f64_e32 v[24:25], v[8:9], v[24:25]
	v_add_f64_e32 v[10:11], v[12:13], v[10:11]
	v_add_f64_e32 v[12:13], v[42:43], v[171:172]
	v_fma_f64 v[38:39], v[4:5], v[18:19], v[44:45]
	v_fma_f64 v[18:19], v[2:3], v[18:19], -v[20:21]
	v_fma_f64 v[8:9], v[8:9], v[22:23], v[16:17]
	v_fma_f64 v[6:7], v[6:7], v[22:23], -v[24:25]
	v_add_f64_e32 v[14:15], v[10:11], v[14:15]
	v_add_f64_e32 v[20:21], v[12:13], v[40:41]
	ds_load_b128 v[2:5], v1 offset:1760
	ds_load_b128 v[10:13], v1 offset:1776
	s_wait_loadcnt_dscnt 0x401
	v_mul_f64_e32 v[40:41], v[2:3], v[28:29]
	v_mul_f64_e32 v[28:29], v[4:5], v[28:29]
	v_add_f64_e32 v[14:15], v[14:15], v[18:19]
	v_add_f64_e32 v[16:17], v[20:21], v[38:39]
	s_wait_loadcnt_dscnt 0x300
	v_mul_f64_e32 v[18:19], v[10:11], v[32:33]
	v_mul_f64_e32 v[20:21], v[12:13], v[32:33]
	v_fma_f64 v[22:23], v[4:5], v[26:27], v[40:41]
	v_fma_f64 v[24:25], v[2:3], v[26:27], -v[28:29]
	v_add_f64_e32 v[14:15], v[14:15], v[6:7]
	v_add_f64_e32 v[16:17], v[16:17], v[8:9]
	ds_load_b128 v[2:5], v1 offset:1792
	ds_load_b128 v[6:9], v1 offset:1808
	v_fma_f64 v[12:13], v[12:13], v[30:31], v[18:19]
	v_fma_f64 v[10:11], v[10:11], v[30:31], -v[20:21]
	s_wait_loadcnt_dscnt 0x201
	v_mul_f64_e32 v[26:27], v[2:3], v[36:37]
	v_mul_f64_e32 v[28:29], v[4:5], v[36:37]
	s_wait_loadcnt_dscnt 0x0
	v_mul_f64_e32 v[18:19], v[6:7], v[167:168]
	v_mul_f64_e32 v[20:21], v[8:9], v[167:168]
	v_add_f64_e32 v[14:15], v[14:15], v[24:25]
	v_add_f64_e32 v[16:17], v[16:17], v[22:23]
	v_fma_f64 v[4:5], v[4:5], v[34:35], v[26:27]
	v_fma_f64 v[1:2], v[2:3], v[34:35], -v[28:29]
	v_fma_f64 v[8:9], v[8:9], v[165:166], v[18:19]
	v_fma_f64 v[6:7], v[6:7], v[165:166], -v[20:21]
	v_add_f64_e32 v[10:11], v[14:15], v[10:11]
	v_add_f64_e32 v[12:13], v[16:17], v[12:13]
	s_delay_alu instid0(VALU_DEP_2) | instskip(NEXT) | instid1(VALU_DEP_2)
	v_add_f64_e32 v[1:2], v[10:11], v[1:2]
	v_add_f64_e32 v[3:4], v[12:13], v[4:5]
	s_delay_alu instid0(VALU_DEP_2) | instskip(NEXT) | instid1(VALU_DEP_2)
	;; [unrolled: 3-line block ×3, first 2 shown]
	v_add_f64_e64 v[1:2], v[161:162], -v[1:2]
	v_add_f64_e64 v[3:4], v[163:164], -v[3:4]
	scratch_store_b128 off, v[1:4], off offset:752
	v_cmpx_lt_u32_e32 45, v0
	s_cbranch_execz .LBB120_265
; %bb.264:
	scratch_load_b128 v[1:4], off, s24
	v_mov_b32_e32 v5, 0
	s_delay_alu instid0(VALU_DEP_1)
	v_dual_mov_b32 v6, v5 :: v_dual_mov_b32 v7, v5
	v_mov_b32_e32 v8, v5
	scratch_store_b128 off, v[5:8], off offset:736
	s_wait_loadcnt 0x0
	ds_store_b128 v160, v[1:4]
.LBB120_265:
	s_wait_alu 0xfffe
	s_or_b32 exec_lo, exec_lo, s0
	s_wait_storecnt_dscnt 0x0
	s_barrier_signal -1
	s_barrier_wait -1
	global_inv scope:SCOPE_SE
	s_clause 0x7
	scratch_load_b128 v[2:5], off, off offset:752
	scratch_load_b128 v[6:9], off, off offset:768
	;; [unrolled: 1-line block ×8, first 2 shown]
	v_mov_b32_e32 v1, 0
	s_mov_b32 s0, exec_lo
	ds_load_b128 v[34:37], v1 offset:1648
	s_clause 0x1
	scratch_load_b128 v[38:41], off, off offset:880
	scratch_load_b128 v[42:45], off, off offset:736
	ds_load_b128 v[161:164], v1 offset:1664
	scratch_load_b128 v[165:168], off, off offset:896
	s_wait_loadcnt_dscnt 0xa01
	v_mul_f64_e32 v[169:170], v[36:37], v[4:5]
	v_mul_f64_e32 v[4:5], v[34:35], v[4:5]
	s_delay_alu instid0(VALU_DEP_2) | instskip(NEXT) | instid1(VALU_DEP_2)
	v_fma_f64 v[175:176], v[34:35], v[2:3], -v[169:170]
	v_fma_f64 v[177:178], v[36:37], v[2:3], v[4:5]
	ds_load_b128 v[2:5], v1 offset:1680
	s_wait_loadcnt_dscnt 0x901
	v_mul_f64_e32 v[173:174], v[161:162], v[8:9]
	v_mul_f64_e32 v[8:9], v[163:164], v[8:9]
	scratch_load_b128 v[34:37], off, off offset:912
	ds_load_b128 v[169:172], v1 offset:1696
	s_wait_loadcnt_dscnt 0x901
	v_mul_f64_e32 v[179:180], v[2:3], v[12:13]
	v_mul_f64_e32 v[12:13], v[4:5], v[12:13]
	v_fma_f64 v[163:164], v[163:164], v[6:7], v[173:174]
	v_fma_f64 v[6:7], v[161:162], v[6:7], -v[8:9]
	v_add_f64_e32 v[8:9], 0, v[175:176]
	v_add_f64_e32 v[161:162], 0, v[177:178]
	s_wait_loadcnt_dscnt 0x800
	v_mul_f64_e32 v[173:174], v[169:170], v[16:17]
	v_mul_f64_e32 v[16:17], v[171:172], v[16:17]
	v_fma_f64 v[175:176], v[4:5], v[10:11], v[179:180]
	v_fma_f64 v[10:11], v[2:3], v[10:11], -v[12:13]
	v_add_f64_e32 v[12:13], v[8:9], v[6:7]
	v_add_f64_e32 v[161:162], v[161:162], v[163:164]
	ds_load_b128 v[2:5], v1 offset:1712
	ds_load_b128 v[6:9], v1 offset:1728
	v_fma_f64 v[171:172], v[171:172], v[14:15], v[173:174]
	v_fma_f64 v[14:15], v[169:170], v[14:15], -v[16:17]
	s_wait_loadcnt_dscnt 0x701
	v_mul_f64_e32 v[163:164], v[2:3], v[20:21]
	v_mul_f64_e32 v[20:21], v[4:5], v[20:21]
	s_wait_loadcnt_dscnt 0x600
	v_mul_f64_e32 v[16:17], v[6:7], v[24:25]
	v_mul_f64_e32 v[24:25], v[8:9], v[24:25]
	v_add_f64_e32 v[10:11], v[12:13], v[10:11]
	v_add_f64_e32 v[12:13], v[161:162], v[175:176]
	v_fma_f64 v[161:162], v[4:5], v[18:19], v[163:164]
	v_fma_f64 v[18:19], v[2:3], v[18:19], -v[20:21]
	v_fma_f64 v[8:9], v[8:9], v[22:23], v[16:17]
	v_fma_f64 v[6:7], v[6:7], v[22:23], -v[24:25]
	v_add_f64_e32 v[14:15], v[10:11], v[14:15]
	v_add_f64_e32 v[20:21], v[12:13], v[171:172]
	ds_load_b128 v[2:5], v1 offset:1744
	ds_load_b128 v[10:13], v1 offset:1760
	s_wait_loadcnt_dscnt 0x501
	v_mul_f64_e32 v[163:164], v[2:3], v[28:29]
	v_mul_f64_e32 v[28:29], v[4:5], v[28:29]
	v_add_f64_e32 v[14:15], v[14:15], v[18:19]
	v_add_f64_e32 v[16:17], v[20:21], v[161:162]
	s_wait_loadcnt_dscnt 0x400
	v_mul_f64_e32 v[18:19], v[10:11], v[32:33]
	v_mul_f64_e32 v[20:21], v[12:13], v[32:33]
	v_fma_f64 v[22:23], v[4:5], v[26:27], v[163:164]
	v_fma_f64 v[24:25], v[2:3], v[26:27], -v[28:29]
	v_add_f64_e32 v[14:15], v[14:15], v[6:7]
	v_add_f64_e32 v[16:17], v[16:17], v[8:9]
	ds_load_b128 v[2:5], v1 offset:1776
	ds_load_b128 v[6:9], v1 offset:1792
	v_fma_f64 v[12:13], v[12:13], v[30:31], v[18:19]
	v_fma_f64 v[10:11], v[10:11], v[30:31], -v[20:21]
	s_wait_loadcnt_dscnt 0x301
	v_mul_f64_e32 v[26:27], v[2:3], v[40:41]
	v_mul_f64_e32 v[28:29], v[4:5], v[40:41]
	s_wait_loadcnt_dscnt 0x100
	v_mul_f64_e32 v[18:19], v[6:7], v[167:168]
	v_mul_f64_e32 v[20:21], v[8:9], v[167:168]
	v_add_f64_e32 v[14:15], v[14:15], v[24:25]
	v_add_f64_e32 v[16:17], v[16:17], v[22:23]
	v_fma_f64 v[22:23], v[4:5], v[38:39], v[26:27]
	v_fma_f64 v[24:25], v[2:3], v[38:39], -v[28:29]
	ds_load_b128 v[2:5], v1 offset:1808
	v_fma_f64 v[8:9], v[8:9], v[165:166], v[18:19]
	v_fma_f64 v[6:7], v[6:7], v[165:166], -v[20:21]
	v_add_f64_e32 v[10:11], v[14:15], v[10:11]
	v_add_f64_e32 v[12:13], v[16:17], v[12:13]
	s_wait_loadcnt_dscnt 0x0
	v_mul_f64_e32 v[14:15], v[2:3], v[36:37]
	v_mul_f64_e32 v[16:17], v[4:5], v[36:37]
	s_delay_alu instid0(VALU_DEP_4) | instskip(NEXT) | instid1(VALU_DEP_4)
	v_add_f64_e32 v[10:11], v[10:11], v[24:25]
	v_add_f64_e32 v[12:13], v[12:13], v[22:23]
	s_delay_alu instid0(VALU_DEP_4) | instskip(NEXT) | instid1(VALU_DEP_4)
	v_fma_f64 v[4:5], v[4:5], v[34:35], v[14:15]
	v_fma_f64 v[2:3], v[2:3], v[34:35], -v[16:17]
	s_delay_alu instid0(VALU_DEP_4) | instskip(NEXT) | instid1(VALU_DEP_4)
	v_add_f64_e32 v[6:7], v[10:11], v[6:7]
	v_add_f64_e32 v[8:9], v[12:13], v[8:9]
	s_delay_alu instid0(VALU_DEP_2) | instskip(NEXT) | instid1(VALU_DEP_2)
	v_add_f64_e32 v[2:3], v[6:7], v[2:3]
	v_add_f64_e32 v[4:5], v[8:9], v[4:5]
	s_delay_alu instid0(VALU_DEP_2) | instskip(NEXT) | instid1(VALU_DEP_2)
	v_add_f64_e64 v[2:3], v[42:43], -v[2:3]
	v_add_f64_e64 v[4:5], v[44:45], -v[4:5]
	scratch_store_b128 off, v[2:5], off offset:736
	v_cmpx_lt_u32_e32 44, v0
	s_cbranch_execz .LBB120_267
; %bb.266:
	scratch_load_b128 v[5:8], off, s25
	v_dual_mov_b32 v2, v1 :: v_dual_mov_b32 v3, v1
	v_mov_b32_e32 v4, v1
	scratch_store_b128 off, v[1:4], off offset:720
	s_wait_loadcnt 0x0
	ds_store_b128 v160, v[5:8]
.LBB120_267:
	s_wait_alu 0xfffe
	s_or_b32 exec_lo, exec_lo, s0
	s_wait_storecnt_dscnt 0x0
	s_barrier_signal -1
	s_barrier_wait -1
	global_inv scope:SCOPE_SE
	s_clause 0x8
	scratch_load_b128 v[2:5], off, off offset:736
	scratch_load_b128 v[6:9], off, off offset:752
	;; [unrolled: 1-line block ×9, first 2 shown]
	ds_load_b128 v[38:41], v1 offset:1632
	ds_load_b128 v[42:45], v1 offset:1648
	s_clause 0x1
	scratch_load_b128 v[161:164], off, off offset:720
	scratch_load_b128 v[165:168], off, off offset:880
	s_mov_b32 s0, exec_lo
	s_wait_loadcnt_dscnt 0xa01
	v_mul_f64_e32 v[169:170], v[40:41], v[4:5]
	v_mul_f64_e32 v[4:5], v[38:39], v[4:5]
	s_wait_loadcnt_dscnt 0x900
	v_mul_f64_e32 v[173:174], v[42:43], v[8:9]
	v_mul_f64_e32 v[8:9], v[44:45], v[8:9]
	s_delay_alu instid0(VALU_DEP_4) | instskip(NEXT) | instid1(VALU_DEP_4)
	v_fma_f64 v[175:176], v[38:39], v[2:3], -v[169:170]
	v_fma_f64 v[177:178], v[40:41], v[2:3], v[4:5]
	ds_load_b128 v[2:5], v1 offset:1664
	ds_load_b128 v[169:172], v1 offset:1680
	scratch_load_b128 v[38:41], off, off offset:896
	v_fma_f64 v[44:45], v[44:45], v[6:7], v[173:174]
	v_fma_f64 v[42:43], v[42:43], v[6:7], -v[8:9]
	scratch_load_b128 v[6:9], off, off offset:912
	s_wait_loadcnt_dscnt 0xa01
	v_mul_f64_e32 v[179:180], v[2:3], v[12:13]
	v_mul_f64_e32 v[12:13], v[4:5], v[12:13]
	v_add_f64_e32 v[173:174], 0, v[175:176]
	v_add_f64_e32 v[175:176], 0, v[177:178]
	s_wait_loadcnt_dscnt 0x900
	v_mul_f64_e32 v[177:178], v[169:170], v[16:17]
	v_mul_f64_e32 v[16:17], v[171:172], v[16:17]
	v_fma_f64 v[179:180], v[4:5], v[10:11], v[179:180]
	v_fma_f64 v[181:182], v[2:3], v[10:11], -v[12:13]
	ds_load_b128 v[2:5], v1 offset:1696
	ds_load_b128 v[10:13], v1 offset:1712
	v_add_f64_e32 v[42:43], v[173:174], v[42:43]
	v_add_f64_e32 v[44:45], v[175:176], v[44:45]
	v_fma_f64 v[171:172], v[171:172], v[14:15], v[177:178]
	v_fma_f64 v[14:15], v[169:170], v[14:15], -v[16:17]
	s_wait_loadcnt_dscnt 0x801
	v_mul_f64_e32 v[173:174], v[2:3], v[20:21]
	v_mul_f64_e32 v[20:21], v[4:5], v[20:21]
	v_add_f64_e32 v[16:17], v[42:43], v[181:182]
	v_add_f64_e32 v[42:43], v[44:45], v[179:180]
	s_wait_loadcnt_dscnt 0x700
	v_mul_f64_e32 v[44:45], v[10:11], v[24:25]
	v_mul_f64_e32 v[24:25], v[12:13], v[24:25]
	v_fma_f64 v[169:170], v[4:5], v[18:19], v[173:174]
	v_fma_f64 v[18:19], v[2:3], v[18:19], -v[20:21]
	v_add_f64_e32 v[20:21], v[16:17], v[14:15]
	v_add_f64_e32 v[42:43], v[42:43], v[171:172]
	ds_load_b128 v[2:5], v1 offset:1728
	ds_load_b128 v[14:17], v1 offset:1744
	v_fma_f64 v[12:13], v[12:13], v[22:23], v[44:45]
	v_fma_f64 v[10:11], v[10:11], v[22:23], -v[24:25]
	s_wait_loadcnt_dscnt 0x601
	v_mul_f64_e32 v[171:172], v[2:3], v[28:29]
	v_mul_f64_e32 v[28:29], v[4:5], v[28:29]
	s_wait_loadcnt_dscnt 0x500
	v_mul_f64_e32 v[22:23], v[14:15], v[32:33]
	v_mul_f64_e32 v[24:25], v[16:17], v[32:33]
	v_add_f64_e32 v[18:19], v[20:21], v[18:19]
	v_add_f64_e32 v[20:21], v[42:43], v[169:170]
	v_fma_f64 v[32:33], v[4:5], v[26:27], v[171:172]
	v_fma_f64 v[26:27], v[2:3], v[26:27], -v[28:29]
	v_fma_f64 v[16:17], v[16:17], v[30:31], v[22:23]
	v_fma_f64 v[14:15], v[14:15], v[30:31], -v[24:25]
	v_add_f64_e32 v[18:19], v[18:19], v[10:11]
	v_add_f64_e32 v[20:21], v[20:21], v[12:13]
	ds_load_b128 v[2:5], v1 offset:1760
	ds_load_b128 v[10:13], v1 offset:1776
	s_wait_loadcnt_dscnt 0x401
	v_mul_f64_e32 v[28:29], v[2:3], v[36:37]
	v_mul_f64_e32 v[36:37], v[4:5], v[36:37]
	s_wait_loadcnt_dscnt 0x200
	v_mul_f64_e32 v[22:23], v[10:11], v[167:168]
	v_mul_f64_e32 v[24:25], v[12:13], v[167:168]
	v_add_f64_e32 v[18:19], v[18:19], v[26:27]
	v_add_f64_e32 v[20:21], v[20:21], v[32:33]
	v_fma_f64 v[26:27], v[4:5], v[34:35], v[28:29]
	v_fma_f64 v[28:29], v[2:3], v[34:35], -v[36:37]
	v_fma_f64 v[12:13], v[12:13], v[165:166], v[22:23]
	v_fma_f64 v[10:11], v[10:11], v[165:166], -v[24:25]
	v_add_f64_e32 v[18:19], v[18:19], v[14:15]
	v_add_f64_e32 v[20:21], v[20:21], v[16:17]
	ds_load_b128 v[2:5], v1 offset:1792
	ds_load_b128 v[14:17], v1 offset:1808
	s_wait_loadcnt_dscnt 0x101
	v_mul_f64_e32 v[30:31], v[2:3], v[40:41]
	v_mul_f64_e32 v[32:33], v[4:5], v[40:41]
	s_wait_loadcnt_dscnt 0x0
	v_mul_f64_e32 v[22:23], v[14:15], v[8:9]
	v_mul_f64_e32 v[8:9], v[16:17], v[8:9]
	v_add_f64_e32 v[18:19], v[18:19], v[28:29]
	v_add_f64_e32 v[20:21], v[20:21], v[26:27]
	v_fma_f64 v[4:5], v[4:5], v[38:39], v[30:31]
	v_fma_f64 v[1:2], v[2:3], v[38:39], -v[32:33]
	v_fma_f64 v[16:17], v[16:17], v[6:7], v[22:23]
	v_fma_f64 v[6:7], v[14:15], v[6:7], -v[8:9]
	v_add_f64_e32 v[10:11], v[18:19], v[10:11]
	v_add_f64_e32 v[12:13], v[20:21], v[12:13]
	s_delay_alu instid0(VALU_DEP_2) | instskip(NEXT) | instid1(VALU_DEP_2)
	v_add_f64_e32 v[1:2], v[10:11], v[1:2]
	v_add_f64_e32 v[3:4], v[12:13], v[4:5]
	s_delay_alu instid0(VALU_DEP_2) | instskip(NEXT) | instid1(VALU_DEP_2)
	;; [unrolled: 3-line block ×3, first 2 shown]
	v_add_f64_e64 v[1:2], v[161:162], -v[1:2]
	v_add_f64_e64 v[3:4], v[163:164], -v[3:4]
	scratch_store_b128 off, v[1:4], off offset:720
	v_cmpx_lt_u32_e32 43, v0
	s_cbranch_execz .LBB120_269
; %bb.268:
	scratch_load_b128 v[1:4], off, s26
	v_mov_b32_e32 v5, 0
	s_delay_alu instid0(VALU_DEP_1)
	v_dual_mov_b32 v6, v5 :: v_dual_mov_b32 v7, v5
	v_mov_b32_e32 v8, v5
	scratch_store_b128 off, v[5:8], off offset:704
	s_wait_loadcnt 0x0
	ds_store_b128 v160, v[1:4]
.LBB120_269:
	s_wait_alu 0xfffe
	s_or_b32 exec_lo, exec_lo, s0
	s_wait_storecnt_dscnt 0x0
	s_barrier_signal -1
	s_barrier_wait -1
	global_inv scope:SCOPE_SE
	s_clause 0x7
	scratch_load_b128 v[2:5], off, off offset:720
	scratch_load_b128 v[6:9], off, off offset:736
	;; [unrolled: 1-line block ×8, first 2 shown]
	v_mov_b32_e32 v1, 0
	s_mov_b32 s0, exec_lo
	ds_load_b128 v[34:37], v1 offset:1616
	s_clause 0x1
	scratch_load_b128 v[38:41], off, off offset:848
	scratch_load_b128 v[42:45], off, off offset:704
	ds_load_b128 v[161:164], v1 offset:1632
	scratch_load_b128 v[165:168], off, off offset:864
	s_wait_loadcnt_dscnt 0xa01
	v_mul_f64_e32 v[169:170], v[36:37], v[4:5]
	v_mul_f64_e32 v[4:5], v[34:35], v[4:5]
	s_delay_alu instid0(VALU_DEP_2) | instskip(NEXT) | instid1(VALU_DEP_2)
	v_fma_f64 v[175:176], v[34:35], v[2:3], -v[169:170]
	v_fma_f64 v[177:178], v[36:37], v[2:3], v[4:5]
	ds_load_b128 v[2:5], v1 offset:1648
	s_wait_loadcnt_dscnt 0x901
	v_mul_f64_e32 v[173:174], v[161:162], v[8:9]
	v_mul_f64_e32 v[8:9], v[163:164], v[8:9]
	scratch_load_b128 v[34:37], off, off offset:880
	ds_load_b128 v[169:172], v1 offset:1664
	s_wait_loadcnt_dscnt 0x901
	v_mul_f64_e32 v[179:180], v[2:3], v[12:13]
	v_mul_f64_e32 v[12:13], v[4:5], v[12:13]
	v_fma_f64 v[163:164], v[163:164], v[6:7], v[173:174]
	v_fma_f64 v[161:162], v[161:162], v[6:7], -v[8:9]
	v_add_f64_e32 v[173:174], 0, v[175:176]
	v_add_f64_e32 v[175:176], 0, v[177:178]
	scratch_load_b128 v[6:9], off, off offset:896
	v_fma_f64 v[179:180], v[4:5], v[10:11], v[179:180]
	v_fma_f64 v[181:182], v[2:3], v[10:11], -v[12:13]
	ds_load_b128 v[2:5], v1 offset:1680
	s_wait_loadcnt_dscnt 0x901
	v_mul_f64_e32 v[177:178], v[169:170], v[16:17]
	v_mul_f64_e32 v[16:17], v[171:172], v[16:17]
	scratch_load_b128 v[10:13], off, off offset:912
	v_add_f64_e32 v[173:174], v[173:174], v[161:162]
	v_add_f64_e32 v[175:176], v[175:176], v[163:164]
	s_wait_loadcnt_dscnt 0x900
	v_mul_f64_e32 v[183:184], v[2:3], v[20:21]
	v_mul_f64_e32 v[20:21], v[4:5], v[20:21]
	ds_load_b128 v[161:164], v1 offset:1696
	v_fma_f64 v[171:172], v[171:172], v[14:15], v[177:178]
	v_fma_f64 v[14:15], v[169:170], v[14:15], -v[16:17]
	v_add_f64_e32 v[16:17], v[173:174], v[181:182]
	v_add_f64_e32 v[169:170], v[175:176], v[179:180]
	s_wait_loadcnt_dscnt 0x800
	v_mul_f64_e32 v[173:174], v[161:162], v[24:25]
	v_mul_f64_e32 v[24:25], v[163:164], v[24:25]
	v_fma_f64 v[175:176], v[4:5], v[18:19], v[183:184]
	v_fma_f64 v[18:19], v[2:3], v[18:19], -v[20:21]
	v_add_f64_e32 v[20:21], v[16:17], v[14:15]
	v_add_f64_e32 v[169:170], v[169:170], v[171:172]
	ds_load_b128 v[2:5], v1 offset:1712
	ds_load_b128 v[14:17], v1 offset:1728
	v_fma_f64 v[163:164], v[163:164], v[22:23], v[173:174]
	v_fma_f64 v[22:23], v[161:162], v[22:23], -v[24:25]
	s_wait_loadcnt_dscnt 0x701
	v_mul_f64_e32 v[171:172], v[2:3], v[28:29]
	v_mul_f64_e32 v[28:29], v[4:5], v[28:29]
	s_wait_loadcnt_dscnt 0x600
	v_mul_f64_e32 v[24:25], v[14:15], v[32:33]
	v_mul_f64_e32 v[32:33], v[16:17], v[32:33]
	v_add_f64_e32 v[18:19], v[20:21], v[18:19]
	v_add_f64_e32 v[20:21], v[169:170], v[175:176]
	v_fma_f64 v[161:162], v[4:5], v[26:27], v[171:172]
	v_fma_f64 v[26:27], v[2:3], v[26:27], -v[28:29]
	v_fma_f64 v[16:17], v[16:17], v[30:31], v[24:25]
	v_fma_f64 v[14:15], v[14:15], v[30:31], -v[32:33]
	v_add_f64_e32 v[22:23], v[18:19], v[22:23]
	v_add_f64_e32 v[28:29], v[20:21], v[163:164]
	ds_load_b128 v[2:5], v1 offset:1744
	ds_load_b128 v[18:21], v1 offset:1760
	s_wait_loadcnt_dscnt 0x501
	v_mul_f64_e32 v[163:164], v[2:3], v[40:41]
	v_mul_f64_e32 v[40:41], v[4:5], v[40:41]
	v_add_f64_e32 v[22:23], v[22:23], v[26:27]
	v_add_f64_e32 v[24:25], v[28:29], v[161:162]
	s_wait_loadcnt_dscnt 0x300
	v_mul_f64_e32 v[26:27], v[18:19], v[167:168]
	v_mul_f64_e32 v[28:29], v[20:21], v[167:168]
	v_fma_f64 v[30:31], v[4:5], v[38:39], v[163:164]
	v_fma_f64 v[32:33], v[2:3], v[38:39], -v[40:41]
	v_add_f64_e32 v[22:23], v[22:23], v[14:15]
	v_add_f64_e32 v[24:25], v[24:25], v[16:17]
	ds_load_b128 v[2:5], v1 offset:1776
	ds_load_b128 v[14:17], v1 offset:1792
	v_fma_f64 v[20:21], v[20:21], v[165:166], v[26:27]
	v_fma_f64 v[18:19], v[18:19], v[165:166], -v[28:29]
	s_wait_loadcnt_dscnt 0x201
	v_mul_f64_e32 v[38:39], v[2:3], v[36:37]
	v_mul_f64_e32 v[36:37], v[4:5], v[36:37]
	v_add_f64_e32 v[22:23], v[22:23], v[32:33]
	v_add_f64_e32 v[24:25], v[24:25], v[30:31]
	s_wait_loadcnt_dscnt 0x100
	v_mul_f64_e32 v[26:27], v[14:15], v[8:9]
	v_mul_f64_e32 v[8:9], v[16:17], v[8:9]
	v_fma_f64 v[28:29], v[4:5], v[34:35], v[38:39]
	v_fma_f64 v[30:31], v[2:3], v[34:35], -v[36:37]
	ds_load_b128 v[2:5], v1 offset:1808
	v_add_f64_e32 v[18:19], v[22:23], v[18:19]
	v_add_f64_e32 v[20:21], v[24:25], v[20:21]
	s_wait_loadcnt_dscnt 0x0
	v_mul_f64_e32 v[22:23], v[2:3], v[12:13]
	v_mul_f64_e32 v[12:13], v[4:5], v[12:13]
	v_fma_f64 v[16:17], v[16:17], v[6:7], v[26:27]
	v_fma_f64 v[6:7], v[14:15], v[6:7], -v[8:9]
	v_add_f64_e32 v[8:9], v[18:19], v[30:31]
	v_add_f64_e32 v[14:15], v[20:21], v[28:29]
	v_fma_f64 v[4:5], v[4:5], v[10:11], v[22:23]
	v_fma_f64 v[2:3], v[2:3], v[10:11], -v[12:13]
	s_delay_alu instid0(VALU_DEP_4) | instskip(NEXT) | instid1(VALU_DEP_4)
	v_add_f64_e32 v[6:7], v[8:9], v[6:7]
	v_add_f64_e32 v[8:9], v[14:15], v[16:17]
	s_delay_alu instid0(VALU_DEP_2) | instskip(NEXT) | instid1(VALU_DEP_2)
	v_add_f64_e32 v[2:3], v[6:7], v[2:3]
	v_add_f64_e32 v[4:5], v[8:9], v[4:5]
	s_delay_alu instid0(VALU_DEP_2) | instskip(NEXT) | instid1(VALU_DEP_2)
	v_add_f64_e64 v[2:3], v[42:43], -v[2:3]
	v_add_f64_e64 v[4:5], v[44:45], -v[4:5]
	scratch_store_b128 off, v[2:5], off offset:704
	v_cmpx_lt_u32_e32 42, v0
	s_cbranch_execz .LBB120_271
; %bb.270:
	scratch_load_b128 v[5:8], off, s27
	v_dual_mov_b32 v2, v1 :: v_dual_mov_b32 v3, v1
	v_mov_b32_e32 v4, v1
	scratch_store_b128 off, v[1:4], off offset:688
	s_wait_loadcnt 0x0
	ds_store_b128 v160, v[5:8]
.LBB120_271:
	s_wait_alu 0xfffe
	s_or_b32 exec_lo, exec_lo, s0
	s_wait_storecnt_dscnt 0x0
	s_barrier_signal -1
	s_barrier_wait -1
	global_inv scope:SCOPE_SE
	s_clause 0x8
	scratch_load_b128 v[2:5], off, off offset:704
	scratch_load_b128 v[6:9], off, off offset:720
	;; [unrolled: 1-line block ×9, first 2 shown]
	ds_load_b128 v[38:41], v1 offset:1600
	ds_load_b128 v[42:45], v1 offset:1616
	s_clause 0x1
	scratch_load_b128 v[161:164], off, off offset:688
	scratch_load_b128 v[165:168], off, off offset:848
	s_mov_b32 s0, exec_lo
	s_wait_loadcnt_dscnt 0xa01
	v_mul_f64_e32 v[169:170], v[40:41], v[4:5]
	v_mul_f64_e32 v[4:5], v[38:39], v[4:5]
	s_wait_loadcnt_dscnt 0x900
	v_mul_f64_e32 v[173:174], v[42:43], v[8:9]
	v_mul_f64_e32 v[8:9], v[44:45], v[8:9]
	s_delay_alu instid0(VALU_DEP_4) | instskip(NEXT) | instid1(VALU_DEP_4)
	v_fma_f64 v[175:176], v[38:39], v[2:3], -v[169:170]
	v_fma_f64 v[177:178], v[40:41], v[2:3], v[4:5]
	ds_load_b128 v[2:5], v1 offset:1632
	ds_load_b128 v[169:172], v1 offset:1648
	scratch_load_b128 v[38:41], off, off offset:864
	v_fma_f64 v[44:45], v[44:45], v[6:7], v[173:174]
	v_fma_f64 v[42:43], v[42:43], v[6:7], -v[8:9]
	scratch_load_b128 v[6:9], off, off offset:880
	s_wait_loadcnt_dscnt 0xa01
	v_mul_f64_e32 v[179:180], v[2:3], v[12:13]
	v_mul_f64_e32 v[12:13], v[4:5], v[12:13]
	v_add_f64_e32 v[173:174], 0, v[175:176]
	v_add_f64_e32 v[175:176], 0, v[177:178]
	s_wait_loadcnt_dscnt 0x900
	v_mul_f64_e32 v[177:178], v[169:170], v[16:17]
	v_mul_f64_e32 v[16:17], v[171:172], v[16:17]
	v_fma_f64 v[179:180], v[4:5], v[10:11], v[179:180]
	v_fma_f64 v[181:182], v[2:3], v[10:11], -v[12:13]
	ds_load_b128 v[2:5], v1 offset:1664
	scratch_load_b128 v[10:13], off, off offset:896
	v_add_f64_e32 v[173:174], v[173:174], v[42:43]
	v_add_f64_e32 v[175:176], v[175:176], v[44:45]
	ds_load_b128 v[42:45], v1 offset:1680
	v_fma_f64 v[171:172], v[171:172], v[14:15], v[177:178]
	v_fma_f64 v[169:170], v[169:170], v[14:15], -v[16:17]
	scratch_load_b128 v[14:17], off, off offset:912
	s_wait_loadcnt_dscnt 0xa01
	v_mul_f64_e32 v[183:184], v[2:3], v[20:21]
	v_mul_f64_e32 v[20:21], v[4:5], v[20:21]
	s_wait_loadcnt_dscnt 0x900
	v_mul_f64_e32 v[177:178], v[42:43], v[24:25]
	v_mul_f64_e32 v[24:25], v[44:45], v[24:25]
	v_add_f64_e32 v[173:174], v[173:174], v[181:182]
	v_add_f64_e32 v[175:176], v[175:176], v[179:180]
	v_fma_f64 v[179:180], v[4:5], v[18:19], v[183:184]
	v_fma_f64 v[181:182], v[2:3], v[18:19], -v[20:21]
	ds_load_b128 v[2:5], v1 offset:1696
	ds_load_b128 v[18:21], v1 offset:1712
	v_fma_f64 v[44:45], v[44:45], v[22:23], v[177:178]
	v_fma_f64 v[22:23], v[42:43], v[22:23], -v[24:25]
	v_add_f64_e32 v[169:170], v[173:174], v[169:170]
	v_add_f64_e32 v[171:172], v[175:176], v[171:172]
	s_wait_loadcnt_dscnt 0x801
	v_mul_f64_e32 v[173:174], v[2:3], v[28:29]
	v_mul_f64_e32 v[28:29], v[4:5], v[28:29]
	s_delay_alu instid0(VALU_DEP_4) | instskip(NEXT) | instid1(VALU_DEP_4)
	v_add_f64_e32 v[24:25], v[169:170], v[181:182]
	v_add_f64_e32 v[42:43], v[171:172], v[179:180]
	s_wait_loadcnt_dscnt 0x700
	v_mul_f64_e32 v[169:170], v[18:19], v[32:33]
	v_mul_f64_e32 v[32:33], v[20:21], v[32:33]
	v_fma_f64 v[171:172], v[4:5], v[26:27], v[173:174]
	v_fma_f64 v[26:27], v[2:3], v[26:27], -v[28:29]
	v_add_f64_e32 v[28:29], v[24:25], v[22:23]
	v_add_f64_e32 v[42:43], v[42:43], v[44:45]
	ds_load_b128 v[2:5], v1 offset:1728
	ds_load_b128 v[22:25], v1 offset:1744
	v_fma_f64 v[20:21], v[20:21], v[30:31], v[169:170]
	v_fma_f64 v[18:19], v[18:19], v[30:31], -v[32:33]
	s_wait_loadcnt_dscnt 0x601
	v_mul_f64_e32 v[44:45], v[2:3], v[36:37]
	v_mul_f64_e32 v[36:37], v[4:5], v[36:37]
	s_wait_loadcnt_dscnt 0x400
	v_mul_f64_e32 v[30:31], v[22:23], v[167:168]
	v_mul_f64_e32 v[32:33], v[24:25], v[167:168]
	v_add_f64_e32 v[26:27], v[28:29], v[26:27]
	v_add_f64_e32 v[28:29], v[42:43], v[171:172]
	v_fma_f64 v[42:43], v[4:5], v[34:35], v[44:45]
	v_fma_f64 v[34:35], v[2:3], v[34:35], -v[36:37]
	v_fma_f64 v[24:25], v[24:25], v[165:166], v[30:31]
	v_fma_f64 v[22:23], v[22:23], v[165:166], -v[32:33]
	v_add_f64_e32 v[26:27], v[26:27], v[18:19]
	v_add_f64_e32 v[28:29], v[28:29], v[20:21]
	ds_load_b128 v[2:5], v1 offset:1760
	ds_load_b128 v[18:21], v1 offset:1776
	s_wait_loadcnt_dscnt 0x301
	v_mul_f64_e32 v[36:37], v[2:3], v[40:41]
	v_mul_f64_e32 v[40:41], v[4:5], v[40:41]
	s_wait_loadcnt_dscnt 0x200
	v_mul_f64_e32 v[30:31], v[18:19], v[8:9]
	v_mul_f64_e32 v[8:9], v[20:21], v[8:9]
	v_add_f64_e32 v[26:27], v[26:27], v[34:35]
	v_add_f64_e32 v[28:29], v[28:29], v[42:43]
	v_fma_f64 v[32:33], v[4:5], v[38:39], v[36:37]
	v_fma_f64 v[34:35], v[2:3], v[38:39], -v[40:41]
	v_fma_f64 v[20:21], v[20:21], v[6:7], v[30:31]
	v_fma_f64 v[6:7], v[18:19], v[6:7], -v[8:9]
	v_add_f64_e32 v[26:27], v[26:27], v[22:23]
	v_add_f64_e32 v[28:29], v[28:29], v[24:25]
	ds_load_b128 v[2:5], v1 offset:1792
	ds_load_b128 v[22:25], v1 offset:1808
	s_wait_loadcnt_dscnt 0x101
	v_mul_f64_e32 v[36:37], v[2:3], v[12:13]
	v_mul_f64_e32 v[12:13], v[4:5], v[12:13]
	v_add_f64_e32 v[8:9], v[26:27], v[34:35]
	v_add_f64_e32 v[18:19], v[28:29], v[32:33]
	s_wait_loadcnt_dscnt 0x0
	v_mul_f64_e32 v[26:27], v[22:23], v[16:17]
	v_mul_f64_e32 v[16:17], v[24:25], v[16:17]
	v_fma_f64 v[4:5], v[4:5], v[10:11], v[36:37]
	v_fma_f64 v[1:2], v[2:3], v[10:11], -v[12:13]
	v_add_f64_e32 v[6:7], v[8:9], v[6:7]
	v_add_f64_e32 v[8:9], v[18:19], v[20:21]
	v_fma_f64 v[10:11], v[24:25], v[14:15], v[26:27]
	v_fma_f64 v[12:13], v[22:23], v[14:15], -v[16:17]
	s_delay_alu instid0(VALU_DEP_4) | instskip(NEXT) | instid1(VALU_DEP_4)
	v_add_f64_e32 v[1:2], v[6:7], v[1:2]
	v_add_f64_e32 v[3:4], v[8:9], v[4:5]
	s_delay_alu instid0(VALU_DEP_2) | instskip(NEXT) | instid1(VALU_DEP_2)
	v_add_f64_e32 v[1:2], v[1:2], v[12:13]
	v_add_f64_e32 v[3:4], v[3:4], v[10:11]
	s_delay_alu instid0(VALU_DEP_2) | instskip(NEXT) | instid1(VALU_DEP_2)
	v_add_f64_e64 v[1:2], v[161:162], -v[1:2]
	v_add_f64_e64 v[3:4], v[163:164], -v[3:4]
	scratch_store_b128 off, v[1:4], off offset:688
	v_cmpx_lt_u32_e32 41, v0
	s_cbranch_execz .LBB120_273
; %bb.272:
	scratch_load_b128 v[1:4], off, s28
	v_mov_b32_e32 v5, 0
	s_delay_alu instid0(VALU_DEP_1)
	v_dual_mov_b32 v6, v5 :: v_dual_mov_b32 v7, v5
	v_mov_b32_e32 v8, v5
	scratch_store_b128 off, v[5:8], off offset:672
	s_wait_loadcnt 0x0
	ds_store_b128 v160, v[1:4]
.LBB120_273:
	s_wait_alu 0xfffe
	s_or_b32 exec_lo, exec_lo, s0
	s_wait_storecnt_dscnt 0x0
	s_barrier_signal -1
	s_barrier_wait -1
	global_inv scope:SCOPE_SE
	s_clause 0x7
	scratch_load_b128 v[2:5], off, off offset:688
	scratch_load_b128 v[6:9], off, off offset:704
	;; [unrolled: 1-line block ×8, first 2 shown]
	v_mov_b32_e32 v1, 0
	s_mov_b32 s0, exec_lo
	ds_load_b128 v[34:37], v1 offset:1584
	s_clause 0x1
	scratch_load_b128 v[38:41], off, off offset:816
	scratch_load_b128 v[42:45], off, off offset:672
	ds_load_b128 v[161:164], v1 offset:1600
	scratch_load_b128 v[165:168], off, off offset:832
	s_wait_loadcnt_dscnt 0xa01
	v_mul_f64_e32 v[169:170], v[36:37], v[4:5]
	v_mul_f64_e32 v[4:5], v[34:35], v[4:5]
	s_delay_alu instid0(VALU_DEP_2) | instskip(NEXT) | instid1(VALU_DEP_2)
	v_fma_f64 v[175:176], v[34:35], v[2:3], -v[169:170]
	v_fma_f64 v[177:178], v[36:37], v[2:3], v[4:5]
	ds_load_b128 v[2:5], v1 offset:1616
	s_wait_loadcnt_dscnt 0x901
	v_mul_f64_e32 v[173:174], v[161:162], v[8:9]
	v_mul_f64_e32 v[8:9], v[163:164], v[8:9]
	scratch_load_b128 v[34:37], off, off offset:848
	ds_load_b128 v[169:172], v1 offset:1632
	s_wait_loadcnt_dscnt 0x901
	v_mul_f64_e32 v[179:180], v[2:3], v[12:13]
	v_mul_f64_e32 v[12:13], v[4:5], v[12:13]
	v_fma_f64 v[163:164], v[163:164], v[6:7], v[173:174]
	v_fma_f64 v[161:162], v[161:162], v[6:7], -v[8:9]
	v_add_f64_e32 v[173:174], 0, v[175:176]
	v_add_f64_e32 v[175:176], 0, v[177:178]
	scratch_load_b128 v[6:9], off, off offset:864
	v_fma_f64 v[179:180], v[4:5], v[10:11], v[179:180]
	v_fma_f64 v[181:182], v[2:3], v[10:11], -v[12:13]
	ds_load_b128 v[2:5], v1 offset:1648
	s_wait_loadcnt_dscnt 0x901
	v_mul_f64_e32 v[177:178], v[169:170], v[16:17]
	v_mul_f64_e32 v[16:17], v[171:172], v[16:17]
	scratch_load_b128 v[10:13], off, off offset:880
	v_add_f64_e32 v[173:174], v[173:174], v[161:162]
	v_add_f64_e32 v[175:176], v[175:176], v[163:164]
	s_wait_loadcnt_dscnt 0x900
	v_mul_f64_e32 v[183:184], v[2:3], v[20:21]
	v_mul_f64_e32 v[20:21], v[4:5], v[20:21]
	ds_load_b128 v[161:164], v1 offset:1664
	v_fma_f64 v[171:172], v[171:172], v[14:15], v[177:178]
	v_fma_f64 v[169:170], v[169:170], v[14:15], -v[16:17]
	scratch_load_b128 v[14:17], off, off offset:896
	v_add_f64_e32 v[173:174], v[173:174], v[181:182]
	v_add_f64_e32 v[175:176], v[175:176], v[179:180]
	v_fma_f64 v[179:180], v[4:5], v[18:19], v[183:184]
	v_fma_f64 v[181:182], v[2:3], v[18:19], -v[20:21]
	ds_load_b128 v[2:5], v1 offset:1680
	s_wait_loadcnt_dscnt 0x901
	v_mul_f64_e32 v[177:178], v[161:162], v[24:25]
	v_mul_f64_e32 v[24:25], v[163:164], v[24:25]
	scratch_load_b128 v[18:21], off, off offset:912
	s_wait_loadcnt_dscnt 0x900
	v_mul_f64_e32 v[183:184], v[2:3], v[28:29]
	v_mul_f64_e32 v[28:29], v[4:5], v[28:29]
	v_add_f64_e32 v[173:174], v[173:174], v[169:170]
	v_add_f64_e32 v[175:176], v[175:176], v[171:172]
	ds_load_b128 v[169:172], v1 offset:1696
	v_fma_f64 v[163:164], v[163:164], v[22:23], v[177:178]
	v_fma_f64 v[22:23], v[161:162], v[22:23], -v[24:25]
	v_add_f64_e32 v[24:25], v[173:174], v[181:182]
	v_add_f64_e32 v[161:162], v[175:176], v[179:180]
	s_wait_loadcnt_dscnt 0x800
	v_mul_f64_e32 v[173:174], v[169:170], v[32:33]
	v_mul_f64_e32 v[32:33], v[171:172], v[32:33]
	v_fma_f64 v[175:176], v[4:5], v[26:27], v[183:184]
	v_fma_f64 v[26:27], v[2:3], v[26:27], -v[28:29]
	v_add_f64_e32 v[28:29], v[24:25], v[22:23]
	v_add_f64_e32 v[161:162], v[161:162], v[163:164]
	ds_load_b128 v[2:5], v1 offset:1712
	ds_load_b128 v[22:25], v1 offset:1728
	v_fma_f64 v[171:172], v[171:172], v[30:31], v[173:174]
	v_fma_f64 v[30:31], v[169:170], v[30:31], -v[32:33]
	s_wait_loadcnt_dscnt 0x701
	v_mul_f64_e32 v[163:164], v[2:3], v[40:41]
	v_mul_f64_e32 v[40:41], v[4:5], v[40:41]
	s_wait_loadcnt_dscnt 0x500
	v_mul_f64_e32 v[32:33], v[22:23], v[167:168]
	v_add_f64_e32 v[26:27], v[28:29], v[26:27]
	v_add_f64_e32 v[28:29], v[161:162], v[175:176]
	v_mul_f64_e32 v[161:162], v[24:25], v[167:168]
	v_fma_f64 v[163:164], v[4:5], v[38:39], v[163:164]
	v_fma_f64 v[38:39], v[2:3], v[38:39], -v[40:41]
	v_fma_f64 v[24:25], v[24:25], v[165:166], v[32:33]
	v_add_f64_e32 v[30:31], v[26:27], v[30:31]
	v_add_f64_e32 v[40:41], v[28:29], v[171:172]
	ds_load_b128 v[2:5], v1 offset:1744
	ds_load_b128 v[26:29], v1 offset:1760
	v_fma_f64 v[22:23], v[22:23], v[165:166], -v[161:162]
	s_wait_loadcnt_dscnt 0x401
	v_mul_f64_e32 v[167:168], v[2:3], v[36:37]
	v_mul_f64_e32 v[36:37], v[4:5], v[36:37]
	v_add_f64_e32 v[30:31], v[30:31], v[38:39]
	v_add_f64_e32 v[32:33], v[40:41], v[163:164]
	s_wait_loadcnt_dscnt 0x300
	v_mul_f64_e32 v[38:39], v[26:27], v[8:9]
	v_mul_f64_e32 v[8:9], v[28:29], v[8:9]
	v_fma_f64 v[40:41], v[4:5], v[34:35], v[167:168]
	v_fma_f64 v[34:35], v[2:3], v[34:35], -v[36:37]
	v_add_f64_e32 v[30:31], v[30:31], v[22:23]
	v_add_f64_e32 v[32:33], v[32:33], v[24:25]
	ds_load_b128 v[2:5], v1 offset:1776
	ds_load_b128 v[22:25], v1 offset:1792
	v_fma_f64 v[28:29], v[28:29], v[6:7], v[38:39]
	v_fma_f64 v[6:7], v[26:27], v[6:7], -v[8:9]
	s_wait_loadcnt_dscnt 0x201
	v_mul_f64_e32 v[36:37], v[2:3], v[12:13]
	v_mul_f64_e32 v[12:13], v[4:5], v[12:13]
	v_add_f64_e32 v[8:9], v[30:31], v[34:35]
	v_add_f64_e32 v[26:27], v[32:33], v[40:41]
	s_wait_loadcnt_dscnt 0x100
	v_mul_f64_e32 v[30:31], v[22:23], v[16:17]
	v_mul_f64_e32 v[16:17], v[24:25], v[16:17]
	v_fma_f64 v[32:33], v[4:5], v[10:11], v[36:37]
	v_fma_f64 v[10:11], v[2:3], v[10:11], -v[12:13]
	ds_load_b128 v[2:5], v1 offset:1808
	v_add_f64_e32 v[6:7], v[8:9], v[6:7]
	v_add_f64_e32 v[8:9], v[26:27], v[28:29]
	v_fma_f64 v[24:25], v[24:25], v[14:15], v[30:31]
	v_fma_f64 v[14:15], v[22:23], v[14:15], -v[16:17]
	s_wait_loadcnt_dscnt 0x0
	v_mul_f64_e32 v[12:13], v[2:3], v[20:21]
	v_mul_f64_e32 v[20:21], v[4:5], v[20:21]
	v_add_f64_e32 v[6:7], v[6:7], v[10:11]
	v_add_f64_e32 v[8:9], v[8:9], v[32:33]
	s_delay_alu instid0(VALU_DEP_4) | instskip(NEXT) | instid1(VALU_DEP_4)
	v_fma_f64 v[4:5], v[4:5], v[18:19], v[12:13]
	v_fma_f64 v[2:3], v[2:3], v[18:19], -v[20:21]
	s_delay_alu instid0(VALU_DEP_4) | instskip(NEXT) | instid1(VALU_DEP_4)
	v_add_f64_e32 v[6:7], v[6:7], v[14:15]
	v_add_f64_e32 v[8:9], v[8:9], v[24:25]
	s_delay_alu instid0(VALU_DEP_2) | instskip(NEXT) | instid1(VALU_DEP_2)
	v_add_f64_e32 v[2:3], v[6:7], v[2:3]
	v_add_f64_e32 v[4:5], v[8:9], v[4:5]
	s_delay_alu instid0(VALU_DEP_2) | instskip(NEXT) | instid1(VALU_DEP_2)
	v_add_f64_e64 v[2:3], v[42:43], -v[2:3]
	v_add_f64_e64 v[4:5], v[44:45], -v[4:5]
	scratch_store_b128 off, v[2:5], off offset:672
	v_cmpx_lt_u32_e32 40, v0
	s_cbranch_execz .LBB120_275
; %bb.274:
	scratch_load_b128 v[5:8], off, s29
	v_dual_mov_b32 v2, v1 :: v_dual_mov_b32 v3, v1
	v_mov_b32_e32 v4, v1
	scratch_store_b128 off, v[1:4], off offset:656
	s_wait_loadcnt 0x0
	ds_store_b128 v160, v[5:8]
.LBB120_275:
	s_wait_alu 0xfffe
	s_or_b32 exec_lo, exec_lo, s0
	s_wait_storecnt_dscnt 0x0
	s_barrier_signal -1
	s_barrier_wait -1
	global_inv scope:SCOPE_SE
	s_clause 0x8
	scratch_load_b128 v[2:5], off, off offset:672
	scratch_load_b128 v[6:9], off, off offset:688
	;; [unrolled: 1-line block ×9, first 2 shown]
	ds_load_b128 v[38:41], v1 offset:1568
	ds_load_b128 v[42:45], v1 offset:1584
	s_clause 0x1
	scratch_load_b128 v[161:164], off, off offset:656
	scratch_load_b128 v[165:168], off, off offset:816
	s_mov_b32 s0, exec_lo
	s_wait_loadcnt_dscnt 0xa01
	v_mul_f64_e32 v[169:170], v[40:41], v[4:5]
	v_mul_f64_e32 v[4:5], v[38:39], v[4:5]
	s_wait_loadcnt_dscnt 0x900
	v_mul_f64_e32 v[173:174], v[42:43], v[8:9]
	v_mul_f64_e32 v[8:9], v[44:45], v[8:9]
	s_delay_alu instid0(VALU_DEP_4) | instskip(NEXT) | instid1(VALU_DEP_4)
	v_fma_f64 v[175:176], v[38:39], v[2:3], -v[169:170]
	v_fma_f64 v[177:178], v[40:41], v[2:3], v[4:5]
	ds_load_b128 v[2:5], v1 offset:1600
	ds_load_b128 v[169:172], v1 offset:1616
	scratch_load_b128 v[38:41], off, off offset:832
	v_fma_f64 v[44:45], v[44:45], v[6:7], v[173:174]
	v_fma_f64 v[42:43], v[42:43], v[6:7], -v[8:9]
	scratch_load_b128 v[6:9], off, off offset:848
	s_wait_loadcnt_dscnt 0xa01
	v_mul_f64_e32 v[179:180], v[2:3], v[12:13]
	v_mul_f64_e32 v[12:13], v[4:5], v[12:13]
	v_add_f64_e32 v[173:174], 0, v[175:176]
	v_add_f64_e32 v[175:176], 0, v[177:178]
	s_wait_loadcnt_dscnt 0x900
	v_mul_f64_e32 v[177:178], v[169:170], v[16:17]
	v_mul_f64_e32 v[16:17], v[171:172], v[16:17]
	v_fma_f64 v[179:180], v[4:5], v[10:11], v[179:180]
	v_fma_f64 v[181:182], v[2:3], v[10:11], -v[12:13]
	ds_load_b128 v[2:5], v1 offset:1632
	scratch_load_b128 v[10:13], off, off offset:864
	v_add_f64_e32 v[173:174], v[173:174], v[42:43]
	v_add_f64_e32 v[175:176], v[175:176], v[44:45]
	ds_load_b128 v[42:45], v1 offset:1648
	v_fma_f64 v[171:172], v[171:172], v[14:15], v[177:178]
	v_fma_f64 v[169:170], v[169:170], v[14:15], -v[16:17]
	scratch_load_b128 v[14:17], off, off offset:880
	s_wait_loadcnt_dscnt 0xa01
	v_mul_f64_e32 v[183:184], v[2:3], v[20:21]
	v_mul_f64_e32 v[20:21], v[4:5], v[20:21]
	s_wait_loadcnt_dscnt 0x900
	v_mul_f64_e32 v[177:178], v[42:43], v[24:25]
	v_mul_f64_e32 v[24:25], v[44:45], v[24:25]
	v_add_f64_e32 v[173:174], v[173:174], v[181:182]
	v_add_f64_e32 v[175:176], v[175:176], v[179:180]
	v_fma_f64 v[179:180], v[4:5], v[18:19], v[183:184]
	v_fma_f64 v[181:182], v[2:3], v[18:19], -v[20:21]
	ds_load_b128 v[2:5], v1 offset:1664
	scratch_load_b128 v[18:21], off, off offset:896
	v_fma_f64 v[44:45], v[44:45], v[22:23], v[177:178]
	v_fma_f64 v[42:43], v[42:43], v[22:23], -v[24:25]
	scratch_load_b128 v[22:25], off, off offset:912
	v_add_f64_e32 v[173:174], v[173:174], v[169:170]
	v_add_f64_e32 v[175:176], v[175:176], v[171:172]
	ds_load_b128 v[169:172], v1 offset:1680
	s_wait_loadcnt_dscnt 0xa01
	v_mul_f64_e32 v[183:184], v[2:3], v[28:29]
	v_mul_f64_e32 v[28:29], v[4:5], v[28:29]
	s_wait_loadcnt_dscnt 0x900
	v_mul_f64_e32 v[177:178], v[169:170], v[32:33]
	v_mul_f64_e32 v[32:33], v[171:172], v[32:33]
	v_add_f64_e32 v[173:174], v[173:174], v[181:182]
	v_add_f64_e32 v[175:176], v[175:176], v[179:180]
	v_fma_f64 v[179:180], v[4:5], v[26:27], v[183:184]
	v_fma_f64 v[181:182], v[2:3], v[26:27], -v[28:29]
	ds_load_b128 v[2:5], v1 offset:1696
	ds_load_b128 v[26:29], v1 offset:1712
	v_fma_f64 v[171:172], v[171:172], v[30:31], v[177:178]
	v_fma_f64 v[30:31], v[169:170], v[30:31], -v[32:33]
	v_add_f64_e32 v[42:43], v[173:174], v[42:43]
	v_add_f64_e32 v[44:45], v[175:176], v[44:45]
	s_wait_loadcnt_dscnt 0x801
	v_mul_f64_e32 v[173:174], v[2:3], v[36:37]
	v_mul_f64_e32 v[36:37], v[4:5], v[36:37]
	s_delay_alu instid0(VALU_DEP_4) | instskip(NEXT) | instid1(VALU_DEP_4)
	v_add_f64_e32 v[32:33], v[42:43], v[181:182]
	v_add_f64_e32 v[42:43], v[44:45], v[179:180]
	s_wait_loadcnt_dscnt 0x600
	v_mul_f64_e32 v[44:45], v[26:27], v[167:168]
	v_mul_f64_e32 v[167:168], v[28:29], v[167:168]
	v_fma_f64 v[169:170], v[4:5], v[34:35], v[173:174]
	v_fma_f64 v[34:35], v[2:3], v[34:35], -v[36:37]
	v_add_f64_e32 v[36:37], v[32:33], v[30:31]
	v_add_f64_e32 v[42:43], v[42:43], v[171:172]
	ds_load_b128 v[2:5], v1 offset:1728
	ds_load_b128 v[30:33], v1 offset:1744
	v_fma_f64 v[28:29], v[28:29], v[165:166], v[44:45]
	v_fma_f64 v[26:27], v[26:27], v[165:166], -v[167:168]
	s_wait_loadcnt_dscnt 0x501
	v_mul_f64_e32 v[171:172], v[2:3], v[40:41]
	v_mul_f64_e32 v[40:41], v[4:5], v[40:41]
	v_add_f64_e32 v[34:35], v[36:37], v[34:35]
	v_add_f64_e32 v[36:37], v[42:43], v[169:170]
	s_wait_loadcnt_dscnt 0x400
	v_mul_f64_e32 v[42:43], v[30:31], v[8:9]
	v_mul_f64_e32 v[8:9], v[32:33], v[8:9]
	v_fma_f64 v[44:45], v[4:5], v[38:39], v[171:172]
	v_fma_f64 v[38:39], v[2:3], v[38:39], -v[40:41]
	v_add_f64_e32 v[34:35], v[34:35], v[26:27]
	v_add_f64_e32 v[36:37], v[36:37], v[28:29]
	ds_load_b128 v[2:5], v1 offset:1760
	ds_load_b128 v[26:29], v1 offset:1776
	v_fma_f64 v[32:33], v[32:33], v[6:7], v[42:43]
	v_fma_f64 v[6:7], v[30:31], v[6:7], -v[8:9]
	s_wait_loadcnt_dscnt 0x301
	v_mul_f64_e32 v[40:41], v[2:3], v[12:13]
	v_mul_f64_e32 v[12:13], v[4:5], v[12:13]
	;; [unrolled: 16-line block ×3, first 2 shown]
	s_wait_loadcnt_dscnt 0x0
	v_mul_f64_e32 v[16:17], v[6:7], v[24:25]
	v_mul_f64_e32 v[24:25], v[8:9], v[24:25]
	v_add_f64_e32 v[10:11], v[12:13], v[10:11]
	v_add_f64_e32 v[12:13], v[30:31], v[36:37]
	v_fma_f64 v[4:5], v[4:5], v[18:19], v[32:33]
	v_fma_f64 v[1:2], v[2:3], v[18:19], -v[20:21]
	v_fma_f64 v[8:9], v[8:9], v[22:23], v[16:17]
	v_fma_f64 v[6:7], v[6:7], v[22:23], -v[24:25]
	v_add_f64_e32 v[10:11], v[10:11], v[14:15]
	v_add_f64_e32 v[12:13], v[12:13], v[28:29]
	s_delay_alu instid0(VALU_DEP_2) | instskip(NEXT) | instid1(VALU_DEP_2)
	v_add_f64_e32 v[1:2], v[10:11], v[1:2]
	v_add_f64_e32 v[3:4], v[12:13], v[4:5]
	s_delay_alu instid0(VALU_DEP_2) | instskip(NEXT) | instid1(VALU_DEP_2)
	;; [unrolled: 3-line block ×3, first 2 shown]
	v_add_f64_e64 v[1:2], v[161:162], -v[1:2]
	v_add_f64_e64 v[3:4], v[163:164], -v[3:4]
	scratch_store_b128 off, v[1:4], off offset:656
	v_cmpx_lt_u32_e32 39, v0
	s_cbranch_execz .LBB120_277
; %bb.276:
	scratch_load_b128 v[1:4], off, s30
	v_mov_b32_e32 v5, 0
	s_delay_alu instid0(VALU_DEP_1)
	v_dual_mov_b32 v6, v5 :: v_dual_mov_b32 v7, v5
	v_mov_b32_e32 v8, v5
	scratch_store_b128 off, v[5:8], off offset:640
	s_wait_loadcnt 0x0
	ds_store_b128 v160, v[1:4]
.LBB120_277:
	s_wait_alu 0xfffe
	s_or_b32 exec_lo, exec_lo, s0
	s_wait_storecnt_dscnt 0x0
	s_barrier_signal -1
	s_barrier_wait -1
	global_inv scope:SCOPE_SE
	s_clause 0x7
	scratch_load_b128 v[2:5], off, off offset:656
	scratch_load_b128 v[6:9], off, off offset:672
	;; [unrolled: 1-line block ×8, first 2 shown]
	v_mov_b32_e32 v1, 0
	s_mov_b32 s0, exec_lo
	ds_load_b128 v[34:37], v1 offset:1552
	s_clause 0x1
	scratch_load_b128 v[38:41], off, off offset:784
	scratch_load_b128 v[42:45], off, off offset:640
	ds_load_b128 v[161:164], v1 offset:1568
	scratch_load_b128 v[165:168], off, off offset:800
	s_wait_loadcnt_dscnt 0xa01
	v_mul_f64_e32 v[169:170], v[36:37], v[4:5]
	v_mul_f64_e32 v[4:5], v[34:35], v[4:5]
	s_delay_alu instid0(VALU_DEP_2) | instskip(NEXT) | instid1(VALU_DEP_2)
	v_fma_f64 v[175:176], v[34:35], v[2:3], -v[169:170]
	v_fma_f64 v[177:178], v[36:37], v[2:3], v[4:5]
	ds_load_b128 v[2:5], v1 offset:1584
	s_wait_loadcnt_dscnt 0x901
	v_mul_f64_e32 v[173:174], v[161:162], v[8:9]
	v_mul_f64_e32 v[8:9], v[163:164], v[8:9]
	scratch_load_b128 v[34:37], off, off offset:816
	ds_load_b128 v[169:172], v1 offset:1600
	s_wait_loadcnt_dscnt 0x901
	v_mul_f64_e32 v[179:180], v[2:3], v[12:13]
	v_mul_f64_e32 v[12:13], v[4:5], v[12:13]
	v_fma_f64 v[163:164], v[163:164], v[6:7], v[173:174]
	v_fma_f64 v[161:162], v[161:162], v[6:7], -v[8:9]
	v_add_f64_e32 v[173:174], 0, v[175:176]
	v_add_f64_e32 v[175:176], 0, v[177:178]
	scratch_load_b128 v[6:9], off, off offset:832
	v_fma_f64 v[179:180], v[4:5], v[10:11], v[179:180]
	v_fma_f64 v[181:182], v[2:3], v[10:11], -v[12:13]
	ds_load_b128 v[2:5], v1 offset:1616
	s_wait_loadcnt_dscnt 0x901
	v_mul_f64_e32 v[177:178], v[169:170], v[16:17]
	v_mul_f64_e32 v[16:17], v[171:172], v[16:17]
	scratch_load_b128 v[10:13], off, off offset:848
	v_add_f64_e32 v[173:174], v[173:174], v[161:162]
	v_add_f64_e32 v[175:176], v[175:176], v[163:164]
	s_wait_loadcnt_dscnt 0x900
	v_mul_f64_e32 v[183:184], v[2:3], v[20:21]
	v_mul_f64_e32 v[20:21], v[4:5], v[20:21]
	ds_load_b128 v[161:164], v1 offset:1632
	v_fma_f64 v[171:172], v[171:172], v[14:15], v[177:178]
	v_fma_f64 v[169:170], v[169:170], v[14:15], -v[16:17]
	scratch_load_b128 v[14:17], off, off offset:864
	v_add_f64_e32 v[173:174], v[173:174], v[181:182]
	v_add_f64_e32 v[175:176], v[175:176], v[179:180]
	v_fma_f64 v[179:180], v[4:5], v[18:19], v[183:184]
	v_fma_f64 v[181:182], v[2:3], v[18:19], -v[20:21]
	ds_load_b128 v[2:5], v1 offset:1648
	s_wait_loadcnt_dscnt 0x901
	v_mul_f64_e32 v[177:178], v[161:162], v[24:25]
	v_mul_f64_e32 v[24:25], v[163:164], v[24:25]
	scratch_load_b128 v[18:21], off, off offset:880
	s_wait_loadcnt_dscnt 0x900
	v_mul_f64_e32 v[183:184], v[2:3], v[28:29]
	v_mul_f64_e32 v[28:29], v[4:5], v[28:29]
	v_add_f64_e32 v[173:174], v[173:174], v[169:170]
	v_add_f64_e32 v[175:176], v[175:176], v[171:172]
	ds_load_b128 v[169:172], v1 offset:1664
	v_fma_f64 v[163:164], v[163:164], v[22:23], v[177:178]
	v_fma_f64 v[161:162], v[161:162], v[22:23], -v[24:25]
	scratch_load_b128 v[22:25], off, off offset:896
	v_add_f64_e32 v[173:174], v[173:174], v[181:182]
	v_add_f64_e32 v[175:176], v[175:176], v[179:180]
	v_fma_f64 v[179:180], v[4:5], v[26:27], v[183:184]
	v_fma_f64 v[181:182], v[2:3], v[26:27], -v[28:29]
	ds_load_b128 v[2:5], v1 offset:1680
	s_wait_loadcnt_dscnt 0x901
	v_mul_f64_e32 v[177:178], v[169:170], v[32:33]
	v_mul_f64_e32 v[32:33], v[171:172], v[32:33]
	scratch_load_b128 v[26:29], off, off offset:912
	s_wait_loadcnt_dscnt 0x900
	v_mul_f64_e32 v[183:184], v[2:3], v[40:41]
	v_mul_f64_e32 v[40:41], v[4:5], v[40:41]
	v_add_f64_e32 v[173:174], v[173:174], v[161:162]
	v_add_f64_e32 v[175:176], v[175:176], v[163:164]
	ds_load_b128 v[161:164], v1 offset:1696
	v_fma_f64 v[171:172], v[171:172], v[30:31], v[177:178]
	v_fma_f64 v[30:31], v[169:170], v[30:31], -v[32:33]
	v_add_f64_e32 v[32:33], v[173:174], v[181:182]
	v_add_f64_e32 v[169:170], v[175:176], v[179:180]
	s_wait_loadcnt_dscnt 0x700
	v_mul_f64_e32 v[173:174], v[161:162], v[167:168]
	v_mul_f64_e32 v[167:168], v[163:164], v[167:168]
	v_fma_f64 v[175:176], v[4:5], v[38:39], v[183:184]
	v_fma_f64 v[38:39], v[2:3], v[38:39], -v[40:41]
	v_add_f64_e32 v[40:41], v[32:33], v[30:31]
	v_add_f64_e32 v[169:170], v[169:170], v[171:172]
	ds_load_b128 v[2:5], v1 offset:1712
	ds_load_b128 v[30:33], v1 offset:1728
	v_fma_f64 v[163:164], v[163:164], v[165:166], v[173:174]
	v_fma_f64 v[161:162], v[161:162], v[165:166], -v[167:168]
	s_wait_loadcnt_dscnt 0x601
	v_mul_f64_e32 v[171:172], v[2:3], v[36:37]
	v_mul_f64_e32 v[36:37], v[4:5], v[36:37]
	v_add_f64_e32 v[38:39], v[40:41], v[38:39]
	v_add_f64_e32 v[40:41], v[169:170], v[175:176]
	s_wait_loadcnt_dscnt 0x500
	v_mul_f64_e32 v[165:166], v[30:31], v[8:9]
	v_mul_f64_e32 v[8:9], v[32:33], v[8:9]
	v_fma_f64 v[167:168], v[4:5], v[34:35], v[171:172]
	v_fma_f64 v[169:170], v[2:3], v[34:35], -v[36:37]
	ds_load_b128 v[2:5], v1 offset:1744
	ds_load_b128 v[34:37], v1 offset:1760
	v_add_f64_e32 v[38:39], v[38:39], v[161:162]
	v_add_f64_e32 v[40:41], v[40:41], v[163:164]
	s_wait_loadcnt_dscnt 0x401
	v_mul_f64_e32 v[161:162], v[2:3], v[12:13]
	v_mul_f64_e32 v[12:13], v[4:5], v[12:13]
	v_fma_f64 v[32:33], v[32:33], v[6:7], v[165:166]
	v_fma_f64 v[6:7], v[30:31], v[6:7], -v[8:9]
	v_add_f64_e32 v[8:9], v[38:39], v[169:170]
	v_add_f64_e32 v[30:31], v[40:41], v[167:168]
	s_wait_loadcnt_dscnt 0x300
	v_mul_f64_e32 v[38:39], v[34:35], v[16:17]
	v_mul_f64_e32 v[16:17], v[36:37], v[16:17]
	v_fma_f64 v[40:41], v[4:5], v[10:11], v[161:162]
	v_fma_f64 v[10:11], v[2:3], v[10:11], -v[12:13]
	v_add_f64_e32 v[12:13], v[8:9], v[6:7]
	v_add_f64_e32 v[30:31], v[30:31], v[32:33]
	ds_load_b128 v[2:5], v1 offset:1776
	ds_load_b128 v[6:9], v1 offset:1792
	v_fma_f64 v[36:37], v[36:37], v[14:15], v[38:39]
	v_fma_f64 v[14:15], v[34:35], v[14:15], -v[16:17]
	s_wait_loadcnt_dscnt 0x201
	v_mul_f64_e32 v[32:33], v[2:3], v[20:21]
	v_mul_f64_e32 v[20:21], v[4:5], v[20:21]
	s_wait_loadcnt_dscnt 0x100
	v_mul_f64_e32 v[16:17], v[6:7], v[24:25]
	v_mul_f64_e32 v[24:25], v[8:9], v[24:25]
	v_add_f64_e32 v[10:11], v[12:13], v[10:11]
	v_add_f64_e32 v[12:13], v[30:31], v[40:41]
	v_fma_f64 v[30:31], v[4:5], v[18:19], v[32:33]
	v_fma_f64 v[18:19], v[2:3], v[18:19], -v[20:21]
	ds_load_b128 v[2:5], v1 offset:1808
	v_fma_f64 v[8:9], v[8:9], v[22:23], v[16:17]
	v_fma_f64 v[6:7], v[6:7], v[22:23], -v[24:25]
	v_add_f64_e32 v[10:11], v[10:11], v[14:15]
	v_add_f64_e32 v[12:13], v[12:13], v[36:37]
	s_wait_loadcnt_dscnt 0x0
	v_mul_f64_e32 v[14:15], v[2:3], v[28:29]
	v_mul_f64_e32 v[20:21], v[4:5], v[28:29]
	s_delay_alu instid0(VALU_DEP_4) | instskip(NEXT) | instid1(VALU_DEP_4)
	v_add_f64_e32 v[10:11], v[10:11], v[18:19]
	v_add_f64_e32 v[12:13], v[12:13], v[30:31]
	s_delay_alu instid0(VALU_DEP_4) | instskip(NEXT) | instid1(VALU_DEP_4)
	v_fma_f64 v[4:5], v[4:5], v[26:27], v[14:15]
	v_fma_f64 v[2:3], v[2:3], v[26:27], -v[20:21]
	s_delay_alu instid0(VALU_DEP_4) | instskip(NEXT) | instid1(VALU_DEP_4)
	v_add_f64_e32 v[6:7], v[10:11], v[6:7]
	v_add_f64_e32 v[8:9], v[12:13], v[8:9]
	s_delay_alu instid0(VALU_DEP_2) | instskip(NEXT) | instid1(VALU_DEP_2)
	v_add_f64_e32 v[2:3], v[6:7], v[2:3]
	v_add_f64_e32 v[4:5], v[8:9], v[4:5]
	s_delay_alu instid0(VALU_DEP_2) | instskip(NEXT) | instid1(VALU_DEP_2)
	v_add_f64_e64 v[2:3], v[42:43], -v[2:3]
	v_add_f64_e64 v[4:5], v[44:45], -v[4:5]
	scratch_store_b128 off, v[2:5], off offset:640
	v_cmpx_lt_u32_e32 38, v0
	s_cbranch_execz .LBB120_279
; %bb.278:
	scratch_load_b128 v[5:8], off, s31
	v_dual_mov_b32 v2, v1 :: v_dual_mov_b32 v3, v1
	v_mov_b32_e32 v4, v1
	scratch_store_b128 off, v[1:4], off offset:624
	s_wait_loadcnt 0x0
	ds_store_b128 v160, v[5:8]
.LBB120_279:
	s_wait_alu 0xfffe
	s_or_b32 exec_lo, exec_lo, s0
	s_wait_storecnt_dscnt 0x0
	s_barrier_signal -1
	s_barrier_wait -1
	global_inv scope:SCOPE_SE
	s_clause 0x8
	scratch_load_b128 v[2:5], off, off offset:640
	scratch_load_b128 v[6:9], off, off offset:656
	;; [unrolled: 1-line block ×9, first 2 shown]
	ds_load_b128 v[38:41], v1 offset:1536
	ds_load_b128 v[42:45], v1 offset:1552
	s_clause 0x1
	scratch_load_b128 v[161:164], off, off offset:624
	scratch_load_b128 v[165:168], off, off offset:784
	s_mov_b32 s0, exec_lo
	s_wait_loadcnt_dscnt 0xa01
	v_mul_f64_e32 v[169:170], v[40:41], v[4:5]
	v_mul_f64_e32 v[4:5], v[38:39], v[4:5]
	s_wait_loadcnt_dscnt 0x900
	v_mul_f64_e32 v[173:174], v[42:43], v[8:9]
	v_mul_f64_e32 v[8:9], v[44:45], v[8:9]
	s_delay_alu instid0(VALU_DEP_4) | instskip(NEXT) | instid1(VALU_DEP_4)
	v_fma_f64 v[175:176], v[38:39], v[2:3], -v[169:170]
	v_fma_f64 v[177:178], v[40:41], v[2:3], v[4:5]
	ds_load_b128 v[2:5], v1 offset:1568
	ds_load_b128 v[169:172], v1 offset:1584
	scratch_load_b128 v[38:41], off, off offset:800
	v_fma_f64 v[44:45], v[44:45], v[6:7], v[173:174]
	v_fma_f64 v[42:43], v[42:43], v[6:7], -v[8:9]
	scratch_load_b128 v[6:9], off, off offset:816
	s_wait_loadcnt_dscnt 0xa01
	v_mul_f64_e32 v[179:180], v[2:3], v[12:13]
	v_mul_f64_e32 v[12:13], v[4:5], v[12:13]
	v_add_f64_e32 v[173:174], 0, v[175:176]
	v_add_f64_e32 v[175:176], 0, v[177:178]
	s_wait_loadcnt_dscnt 0x900
	v_mul_f64_e32 v[177:178], v[169:170], v[16:17]
	v_mul_f64_e32 v[16:17], v[171:172], v[16:17]
	v_fma_f64 v[179:180], v[4:5], v[10:11], v[179:180]
	v_fma_f64 v[181:182], v[2:3], v[10:11], -v[12:13]
	ds_load_b128 v[2:5], v1 offset:1600
	scratch_load_b128 v[10:13], off, off offset:832
	v_add_f64_e32 v[173:174], v[173:174], v[42:43]
	v_add_f64_e32 v[175:176], v[175:176], v[44:45]
	ds_load_b128 v[42:45], v1 offset:1616
	v_fma_f64 v[171:172], v[171:172], v[14:15], v[177:178]
	v_fma_f64 v[169:170], v[169:170], v[14:15], -v[16:17]
	scratch_load_b128 v[14:17], off, off offset:848
	s_wait_loadcnt_dscnt 0xa01
	v_mul_f64_e32 v[183:184], v[2:3], v[20:21]
	v_mul_f64_e32 v[20:21], v[4:5], v[20:21]
	s_wait_loadcnt_dscnt 0x900
	v_mul_f64_e32 v[177:178], v[42:43], v[24:25]
	v_mul_f64_e32 v[24:25], v[44:45], v[24:25]
	v_add_f64_e32 v[173:174], v[173:174], v[181:182]
	v_add_f64_e32 v[175:176], v[175:176], v[179:180]
	v_fma_f64 v[179:180], v[4:5], v[18:19], v[183:184]
	v_fma_f64 v[181:182], v[2:3], v[18:19], -v[20:21]
	ds_load_b128 v[2:5], v1 offset:1632
	scratch_load_b128 v[18:21], off, off offset:864
	v_fma_f64 v[44:45], v[44:45], v[22:23], v[177:178]
	v_fma_f64 v[42:43], v[42:43], v[22:23], -v[24:25]
	scratch_load_b128 v[22:25], off, off offset:880
	v_add_f64_e32 v[173:174], v[173:174], v[169:170]
	v_add_f64_e32 v[175:176], v[175:176], v[171:172]
	ds_load_b128 v[169:172], v1 offset:1648
	s_wait_loadcnt_dscnt 0xa01
	v_mul_f64_e32 v[183:184], v[2:3], v[28:29]
	v_mul_f64_e32 v[28:29], v[4:5], v[28:29]
	s_wait_loadcnt_dscnt 0x900
	v_mul_f64_e32 v[177:178], v[169:170], v[32:33]
	v_mul_f64_e32 v[32:33], v[171:172], v[32:33]
	v_add_f64_e32 v[173:174], v[173:174], v[181:182]
	v_add_f64_e32 v[175:176], v[175:176], v[179:180]
	v_fma_f64 v[179:180], v[4:5], v[26:27], v[183:184]
	v_fma_f64 v[181:182], v[2:3], v[26:27], -v[28:29]
	ds_load_b128 v[2:5], v1 offset:1664
	scratch_load_b128 v[26:29], off, off offset:896
	v_fma_f64 v[171:172], v[171:172], v[30:31], v[177:178]
	v_fma_f64 v[169:170], v[169:170], v[30:31], -v[32:33]
	scratch_load_b128 v[30:33], off, off offset:912
	v_add_f64_e32 v[173:174], v[173:174], v[42:43]
	v_add_f64_e32 v[175:176], v[175:176], v[44:45]
	ds_load_b128 v[42:45], v1 offset:1680
	s_wait_loadcnt_dscnt 0xa01
	v_mul_f64_e32 v[183:184], v[2:3], v[36:37]
	v_mul_f64_e32 v[36:37], v[4:5], v[36:37]
	s_wait_loadcnt_dscnt 0x800
	v_mul_f64_e32 v[177:178], v[42:43], v[167:168]
	v_mul_f64_e32 v[167:168], v[44:45], v[167:168]
	v_add_f64_e32 v[173:174], v[173:174], v[181:182]
	v_add_f64_e32 v[175:176], v[175:176], v[179:180]
	v_fma_f64 v[179:180], v[4:5], v[34:35], v[183:184]
	v_fma_f64 v[181:182], v[2:3], v[34:35], -v[36:37]
	ds_load_b128 v[2:5], v1 offset:1696
	ds_load_b128 v[34:37], v1 offset:1712
	v_fma_f64 v[44:45], v[44:45], v[165:166], v[177:178]
	v_fma_f64 v[42:43], v[42:43], v[165:166], -v[167:168]
	v_add_f64_e32 v[169:170], v[173:174], v[169:170]
	v_add_f64_e32 v[171:172], v[175:176], v[171:172]
	s_wait_loadcnt_dscnt 0x701
	v_mul_f64_e32 v[173:174], v[2:3], v[40:41]
	v_mul_f64_e32 v[40:41], v[4:5], v[40:41]
	s_delay_alu instid0(VALU_DEP_4) | instskip(NEXT) | instid1(VALU_DEP_4)
	v_add_f64_e32 v[165:166], v[169:170], v[181:182]
	v_add_f64_e32 v[167:168], v[171:172], v[179:180]
	s_wait_loadcnt_dscnt 0x600
	v_mul_f64_e32 v[169:170], v[34:35], v[8:9]
	v_mul_f64_e32 v[8:9], v[36:37], v[8:9]
	v_fma_f64 v[171:172], v[4:5], v[38:39], v[173:174]
	v_fma_f64 v[173:174], v[2:3], v[38:39], -v[40:41]
	ds_load_b128 v[2:5], v1 offset:1728
	ds_load_b128 v[38:41], v1 offset:1744
	v_add_f64_e32 v[42:43], v[165:166], v[42:43]
	v_add_f64_e32 v[44:45], v[167:168], v[44:45]
	v_fma_f64 v[36:37], v[36:37], v[6:7], v[169:170]
	s_wait_loadcnt_dscnt 0x501
	v_mul_f64_e32 v[165:166], v[2:3], v[12:13]
	v_mul_f64_e32 v[12:13], v[4:5], v[12:13]
	v_fma_f64 v[6:7], v[34:35], v[6:7], -v[8:9]
	v_add_f64_e32 v[8:9], v[42:43], v[173:174]
	v_add_f64_e32 v[34:35], v[44:45], v[171:172]
	s_wait_loadcnt_dscnt 0x400
	v_mul_f64_e32 v[42:43], v[38:39], v[16:17]
	v_mul_f64_e32 v[16:17], v[40:41], v[16:17]
	v_fma_f64 v[44:45], v[4:5], v[10:11], v[165:166]
	v_fma_f64 v[10:11], v[2:3], v[10:11], -v[12:13]
	v_add_f64_e32 v[12:13], v[8:9], v[6:7]
	v_add_f64_e32 v[34:35], v[34:35], v[36:37]
	ds_load_b128 v[2:5], v1 offset:1760
	ds_load_b128 v[6:9], v1 offset:1776
	v_fma_f64 v[40:41], v[40:41], v[14:15], v[42:43]
	v_fma_f64 v[14:15], v[38:39], v[14:15], -v[16:17]
	s_wait_loadcnt_dscnt 0x301
	v_mul_f64_e32 v[36:37], v[2:3], v[20:21]
	v_mul_f64_e32 v[20:21], v[4:5], v[20:21]
	s_wait_loadcnt_dscnt 0x200
	v_mul_f64_e32 v[16:17], v[6:7], v[24:25]
	v_mul_f64_e32 v[24:25], v[8:9], v[24:25]
	v_add_f64_e32 v[10:11], v[12:13], v[10:11]
	v_add_f64_e32 v[12:13], v[34:35], v[44:45]
	v_fma_f64 v[34:35], v[4:5], v[18:19], v[36:37]
	v_fma_f64 v[18:19], v[2:3], v[18:19], -v[20:21]
	v_fma_f64 v[8:9], v[8:9], v[22:23], v[16:17]
	v_fma_f64 v[6:7], v[6:7], v[22:23], -v[24:25]
	v_add_f64_e32 v[14:15], v[10:11], v[14:15]
	v_add_f64_e32 v[20:21], v[12:13], v[40:41]
	ds_load_b128 v[2:5], v1 offset:1792
	ds_load_b128 v[10:13], v1 offset:1808
	s_wait_loadcnt_dscnt 0x101
	v_mul_f64_e32 v[36:37], v[2:3], v[28:29]
	v_mul_f64_e32 v[28:29], v[4:5], v[28:29]
	v_add_f64_e32 v[14:15], v[14:15], v[18:19]
	v_add_f64_e32 v[16:17], v[20:21], v[34:35]
	s_wait_loadcnt_dscnt 0x0
	v_mul_f64_e32 v[18:19], v[10:11], v[32:33]
	v_mul_f64_e32 v[20:21], v[12:13], v[32:33]
	v_fma_f64 v[4:5], v[4:5], v[26:27], v[36:37]
	v_fma_f64 v[1:2], v[2:3], v[26:27], -v[28:29]
	v_add_f64_e32 v[6:7], v[14:15], v[6:7]
	v_add_f64_e32 v[8:9], v[16:17], v[8:9]
	v_fma_f64 v[12:13], v[12:13], v[30:31], v[18:19]
	v_fma_f64 v[10:11], v[10:11], v[30:31], -v[20:21]
	s_delay_alu instid0(VALU_DEP_4) | instskip(NEXT) | instid1(VALU_DEP_4)
	v_add_f64_e32 v[1:2], v[6:7], v[1:2]
	v_add_f64_e32 v[3:4], v[8:9], v[4:5]
	s_delay_alu instid0(VALU_DEP_2) | instskip(NEXT) | instid1(VALU_DEP_2)
	v_add_f64_e32 v[1:2], v[1:2], v[10:11]
	v_add_f64_e32 v[3:4], v[3:4], v[12:13]
	s_delay_alu instid0(VALU_DEP_2) | instskip(NEXT) | instid1(VALU_DEP_2)
	v_add_f64_e64 v[1:2], v[161:162], -v[1:2]
	v_add_f64_e64 v[3:4], v[163:164], -v[3:4]
	scratch_store_b128 off, v[1:4], off offset:624
	v_cmpx_lt_u32_e32 37, v0
	s_cbranch_execz .LBB120_281
; %bb.280:
	scratch_load_b128 v[1:4], off, s33
	v_mov_b32_e32 v5, 0
	s_delay_alu instid0(VALU_DEP_1)
	v_dual_mov_b32 v6, v5 :: v_dual_mov_b32 v7, v5
	v_mov_b32_e32 v8, v5
	scratch_store_b128 off, v[5:8], off offset:608
	s_wait_loadcnt 0x0
	ds_store_b128 v160, v[1:4]
.LBB120_281:
	s_wait_alu 0xfffe
	s_or_b32 exec_lo, exec_lo, s0
	s_wait_storecnt_dscnt 0x0
	s_barrier_signal -1
	s_barrier_wait -1
	global_inv scope:SCOPE_SE
	s_clause 0x7
	scratch_load_b128 v[2:5], off, off offset:624
	scratch_load_b128 v[6:9], off, off offset:640
	scratch_load_b128 v[10:13], off, off offset:656
	scratch_load_b128 v[14:17], off, off offset:672
	scratch_load_b128 v[18:21], off, off offset:688
	scratch_load_b128 v[22:25], off, off offset:704
	scratch_load_b128 v[26:29], off, off offset:720
	scratch_load_b128 v[30:33], off, off offset:736
	v_mov_b32_e32 v1, 0
	s_mov_b32 s0, exec_lo
	ds_load_b128 v[34:37], v1 offset:1520
	s_clause 0x1
	scratch_load_b128 v[38:41], off, off offset:752
	scratch_load_b128 v[42:45], off, off offset:608
	ds_load_b128 v[161:164], v1 offset:1536
	scratch_load_b128 v[165:168], off, off offset:768
	s_wait_loadcnt_dscnt 0xa01
	v_mul_f64_e32 v[169:170], v[36:37], v[4:5]
	v_mul_f64_e32 v[4:5], v[34:35], v[4:5]
	s_delay_alu instid0(VALU_DEP_2) | instskip(NEXT) | instid1(VALU_DEP_2)
	v_fma_f64 v[175:176], v[34:35], v[2:3], -v[169:170]
	v_fma_f64 v[177:178], v[36:37], v[2:3], v[4:5]
	ds_load_b128 v[2:5], v1 offset:1552
	s_wait_loadcnt_dscnt 0x901
	v_mul_f64_e32 v[173:174], v[161:162], v[8:9]
	v_mul_f64_e32 v[8:9], v[163:164], v[8:9]
	scratch_load_b128 v[34:37], off, off offset:784
	ds_load_b128 v[169:172], v1 offset:1568
	s_wait_loadcnt_dscnt 0x901
	v_mul_f64_e32 v[179:180], v[2:3], v[12:13]
	v_mul_f64_e32 v[12:13], v[4:5], v[12:13]
	v_fma_f64 v[163:164], v[163:164], v[6:7], v[173:174]
	v_fma_f64 v[161:162], v[161:162], v[6:7], -v[8:9]
	v_add_f64_e32 v[173:174], 0, v[175:176]
	v_add_f64_e32 v[175:176], 0, v[177:178]
	scratch_load_b128 v[6:9], off, off offset:800
	v_fma_f64 v[179:180], v[4:5], v[10:11], v[179:180]
	v_fma_f64 v[181:182], v[2:3], v[10:11], -v[12:13]
	ds_load_b128 v[2:5], v1 offset:1584
	s_wait_loadcnt_dscnt 0x901
	v_mul_f64_e32 v[177:178], v[169:170], v[16:17]
	v_mul_f64_e32 v[16:17], v[171:172], v[16:17]
	scratch_load_b128 v[10:13], off, off offset:816
	v_add_f64_e32 v[173:174], v[173:174], v[161:162]
	v_add_f64_e32 v[175:176], v[175:176], v[163:164]
	s_wait_loadcnt_dscnt 0x900
	v_mul_f64_e32 v[183:184], v[2:3], v[20:21]
	v_mul_f64_e32 v[20:21], v[4:5], v[20:21]
	ds_load_b128 v[161:164], v1 offset:1600
	v_fma_f64 v[171:172], v[171:172], v[14:15], v[177:178]
	v_fma_f64 v[169:170], v[169:170], v[14:15], -v[16:17]
	scratch_load_b128 v[14:17], off, off offset:832
	v_add_f64_e32 v[173:174], v[173:174], v[181:182]
	v_add_f64_e32 v[175:176], v[175:176], v[179:180]
	v_fma_f64 v[179:180], v[4:5], v[18:19], v[183:184]
	v_fma_f64 v[181:182], v[2:3], v[18:19], -v[20:21]
	ds_load_b128 v[2:5], v1 offset:1616
	s_wait_loadcnt_dscnt 0x901
	v_mul_f64_e32 v[177:178], v[161:162], v[24:25]
	v_mul_f64_e32 v[24:25], v[163:164], v[24:25]
	scratch_load_b128 v[18:21], off, off offset:848
	s_wait_loadcnt_dscnt 0x900
	v_mul_f64_e32 v[183:184], v[2:3], v[28:29]
	v_mul_f64_e32 v[28:29], v[4:5], v[28:29]
	v_add_f64_e32 v[173:174], v[173:174], v[169:170]
	v_add_f64_e32 v[175:176], v[175:176], v[171:172]
	ds_load_b128 v[169:172], v1 offset:1632
	v_fma_f64 v[163:164], v[163:164], v[22:23], v[177:178]
	v_fma_f64 v[161:162], v[161:162], v[22:23], -v[24:25]
	scratch_load_b128 v[22:25], off, off offset:864
	v_add_f64_e32 v[173:174], v[173:174], v[181:182]
	v_add_f64_e32 v[175:176], v[175:176], v[179:180]
	v_fma_f64 v[179:180], v[4:5], v[26:27], v[183:184]
	v_fma_f64 v[181:182], v[2:3], v[26:27], -v[28:29]
	ds_load_b128 v[2:5], v1 offset:1648
	s_wait_loadcnt_dscnt 0x901
	v_mul_f64_e32 v[177:178], v[169:170], v[32:33]
	v_mul_f64_e32 v[32:33], v[171:172], v[32:33]
	scratch_load_b128 v[26:29], off, off offset:880
	s_wait_loadcnt_dscnt 0x900
	v_mul_f64_e32 v[183:184], v[2:3], v[40:41]
	v_mul_f64_e32 v[40:41], v[4:5], v[40:41]
	v_add_f64_e32 v[173:174], v[173:174], v[161:162]
	v_add_f64_e32 v[175:176], v[175:176], v[163:164]
	ds_load_b128 v[161:164], v1 offset:1664
	v_fma_f64 v[171:172], v[171:172], v[30:31], v[177:178]
	v_fma_f64 v[169:170], v[169:170], v[30:31], -v[32:33]
	scratch_load_b128 v[30:33], off, off offset:896
	v_add_f64_e32 v[173:174], v[173:174], v[181:182]
	v_add_f64_e32 v[175:176], v[175:176], v[179:180]
	v_fma_f64 v[181:182], v[4:5], v[38:39], v[183:184]
	v_fma_f64 v[183:184], v[2:3], v[38:39], -v[40:41]
	ds_load_b128 v[2:5], v1 offset:1680
	s_wait_loadcnt_dscnt 0x801
	v_mul_f64_e32 v[177:178], v[161:162], v[167:168]
	v_mul_f64_e32 v[179:180], v[163:164], v[167:168]
	scratch_load_b128 v[38:41], off, off offset:912
	v_add_f64_e32 v[173:174], v[173:174], v[169:170]
	v_add_f64_e32 v[171:172], v[175:176], v[171:172]
	ds_load_b128 v[167:170], v1 offset:1696
	v_fma_f64 v[163:164], v[163:164], v[165:166], v[177:178]
	v_fma_f64 v[161:162], v[161:162], v[165:166], -v[179:180]
	s_wait_loadcnt_dscnt 0x801
	v_mul_f64_e32 v[175:176], v[2:3], v[36:37]
	v_mul_f64_e32 v[36:37], v[4:5], v[36:37]
	v_add_f64_e32 v[165:166], v[173:174], v[183:184]
	v_add_f64_e32 v[171:172], v[171:172], v[181:182]
	s_delay_alu instid0(VALU_DEP_4) | instskip(NEXT) | instid1(VALU_DEP_4)
	v_fma_f64 v[175:176], v[4:5], v[34:35], v[175:176]
	v_fma_f64 v[177:178], v[2:3], v[34:35], -v[36:37]
	s_wait_loadcnt_dscnt 0x700
	v_mul_f64_e32 v[173:174], v[167:168], v[8:9]
	v_mul_f64_e32 v[8:9], v[169:170], v[8:9]
	ds_load_b128 v[2:5], v1 offset:1712
	ds_load_b128 v[34:37], v1 offset:1728
	v_add_f64_e32 v[161:162], v[165:166], v[161:162]
	v_add_f64_e32 v[163:164], v[171:172], v[163:164]
	s_wait_loadcnt_dscnt 0x601
	v_mul_f64_e32 v[165:166], v[2:3], v[12:13]
	v_mul_f64_e32 v[12:13], v[4:5], v[12:13]
	v_fma_f64 v[169:170], v[169:170], v[6:7], v[173:174]
	v_fma_f64 v[6:7], v[167:168], v[6:7], -v[8:9]
	v_add_f64_e32 v[8:9], v[161:162], v[177:178]
	v_add_f64_e32 v[161:162], v[163:164], v[175:176]
	s_wait_loadcnt_dscnt 0x500
	v_mul_f64_e32 v[163:164], v[34:35], v[16:17]
	v_mul_f64_e32 v[16:17], v[36:37], v[16:17]
	v_fma_f64 v[165:166], v[4:5], v[10:11], v[165:166]
	v_fma_f64 v[10:11], v[2:3], v[10:11], -v[12:13]
	v_add_f64_e32 v[12:13], v[8:9], v[6:7]
	v_add_f64_e32 v[161:162], v[161:162], v[169:170]
	ds_load_b128 v[2:5], v1 offset:1744
	ds_load_b128 v[6:9], v1 offset:1760
	v_fma_f64 v[36:37], v[36:37], v[14:15], v[163:164]
	v_fma_f64 v[14:15], v[34:35], v[14:15], -v[16:17]
	s_wait_loadcnt_dscnt 0x401
	v_mul_f64_e32 v[167:168], v[2:3], v[20:21]
	v_mul_f64_e32 v[20:21], v[4:5], v[20:21]
	s_wait_loadcnt_dscnt 0x300
	v_mul_f64_e32 v[16:17], v[6:7], v[24:25]
	v_mul_f64_e32 v[24:25], v[8:9], v[24:25]
	v_add_f64_e32 v[10:11], v[12:13], v[10:11]
	v_add_f64_e32 v[12:13], v[161:162], v[165:166]
	v_fma_f64 v[34:35], v[4:5], v[18:19], v[167:168]
	v_fma_f64 v[18:19], v[2:3], v[18:19], -v[20:21]
	v_fma_f64 v[8:9], v[8:9], v[22:23], v[16:17]
	v_fma_f64 v[6:7], v[6:7], v[22:23], -v[24:25]
	v_add_f64_e32 v[14:15], v[10:11], v[14:15]
	v_add_f64_e32 v[20:21], v[12:13], v[36:37]
	ds_load_b128 v[2:5], v1 offset:1776
	ds_load_b128 v[10:13], v1 offset:1792
	s_wait_loadcnt_dscnt 0x201
	v_mul_f64_e32 v[36:37], v[2:3], v[28:29]
	v_mul_f64_e32 v[28:29], v[4:5], v[28:29]
	v_add_f64_e32 v[14:15], v[14:15], v[18:19]
	v_add_f64_e32 v[16:17], v[20:21], v[34:35]
	s_wait_loadcnt_dscnt 0x100
	v_mul_f64_e32 v[18:19], v[10:11], v[32:33]
	v_mul_f64_e32 v[20:21], v[12:13], v[32:33]
	v_fma_f64 v[22:23], v[4:5], v[26:27], v[36:37]
	v_fma_f64 v[24:25], v[2:3], v[26:27], -v[28:29]
	ds_load_b128 v[2:5], v1 offset:1808
	v_add_f64_e32 v[6:7], v[14:15], v[6:7]
	v_add_f64_e32 v[8:9], v[16:17], v[8:9]
	v_fma_f64 v[12:13], v[12:13], v[30:31], v[18:19]
	v_fma_f64 v[10:11], v[10:11], v[30:31], -v[20:21]
	s_wait_loadcnt_dscnt 0x0
	v_mul_f64_e32 v[14:15], v[2:3], v[40:41]
	v_mul_f64_e32 v[16:17], v[4:5], v[40:41]
	v_add_f64_e32 v[6:7], v[6:7], v[24:25]
	v_add_f64_e32 v[8:9], v[8:9], v[22:23]
	s_delay_alu instid0(VALU_DEP_4) | instskip(NEXT) | instid1(VALU_DEP_4)
	v_fma_f64 v[4:5], v[4:5], v[38:39], v[14:15]
	v_fma_f64 v[2:3], v[2:3], v[38:39], -v[16:17]
	s_delay_alu instid0(VALU_DEP_4) | instskip(NEXT) | instid1(VALU_DEP_4)
	v_add_f64_e32 v[6:7], v[6:7], v[10:11]
	v_add_f64_e32 v[8:9], v[8:9], v[12:13]
	s_delay_alu instid0(VALU_DEP_2) | instskip(NEXT) | instid1(VALU_DEP_2)
	v_add_f64_e32 v[2:3], v[6:7], v[2:3]
	v_add_f64_e32 v[4:5], v[8:9], v[4:5]
	s_delay_alu instid0(VALU_DEP_2) | instskip(NEXT) | instid1(VALU_DEP_2)
	v_add_f64_e64 v[2:3], v[42:43], -v[2:3]
	v_add_f64_e64 v[4:5], v[44:45], -v[4:5]
	scratch_store_b128 off, v[2:5], off offset:608
	v_cmpx_lt_u32_e32 36, v0
	s_cbranch_execz .LBB120_283
; %bb.282:
	scratch_load_b128 v[5:8], off, s34
	v_dual_mov_b32 v2, v1 :: v_dual_mov_b32 v3, v1
	v_mov_b32_e32 v4, v1
	scratch_store_b128 off, v[1:4], off offset:592
	s_wait_loadcnt 0x0
	ds_store_b128 v160, v[5:8]
.LBB120_283:
	s_wait_alu 0xfffe
	s_or_b32 exec_lo, exec_lo, s0
	s_wait_storecnt_dscnt 0x0
	s_barrier_signal -1
	s_barrier_wait -1
	global_inv scope:SCOPE_SE
	s_clause 0x8
	scratch_load_b128 v[2:5], off, off offset:608
	scratch_load_b128 v[6:9], off, off offset:624
	;; [unrolled: 1-line block ×9, first 2 shown]
	ds_load_b128 v[38:41], v1 offset:1504
	ds_load_b128 v[42:45], v1 offset:1520
	s_clause 0x1
	scratch_load_b128 v[161:164], off, off offset:592
	scratch_load_b128 v[165:168], off, off offset:752
	s_mov_b32 s0, exec_lo
	s_wait_loadcnt_dscnt 0xa01
	v_mul_f64_e32 v[169:170], v[40:41], v[4:5]
	v_mul_f64_e32 v[4:5], v[38:39], v[4:5]
	s_wait_loadcnt_dscnt 0x900
	v_mul_f64_e32 v[173:174], v[42:43], v[8:9]
	v_mul_f64_e32 v[8:9], v[44:45], v[8:9]
	s_delay_alu instid0(VALU_DEP_4) | instskip(NEXT) | instid1(VALU_DEP_4)
	v_fma_f64 v[175:176], v[38:39], v[2:3], -v[169:170]
	v_fma_f64 v[177:178], v[40:41], v[2:3], v[4:5]
	ds_load_b128 v[2:5], v1 offset:1536
	ds_load_b128 v[169:172], v1 offset:1552
	scratch_load_b128 v[38:41], off, off offset:768
	v_fma_f64 v[44:45], v[44:45], v[6:7], v[173:174]
	v_fma_f64 v[42:43], v[42:43], v[6:7], -v[8:9]
	scratch_load_b128 v[6:9], off, off offset:784
	s_wait_loadcnt_dscnt 0xa01
	v_mul_f64_e32 v[179:180], v[2:3], v[12:13]
	v_mul_f64_e32 v[12:13], v[4:5], v[12:13]
	v_add_f64_e32 v[173:174], 0, v[175:176]
	v_add_f64_e32 v[175:176], 0, v[177:178]
	s_wait_loadcnt_dscnt 0x900
	v_mul_f64_e32 v[177:178], v[169:170], v[16:17]
	v_mul_f64_e32 v[16:17], v[171:172], v[16:17]
	v_fma_f64 v[179:180], v[4:5], v[10:11], v[179:180]
	v_fma_f64 v[181:182], v[2:3], v[10:11], -v[12:13]
	ds_load_b128 v[2:5], v1 offset:1568
	scratch_load_b128 v[10:13], off, off offset:800
	v_add_f64_e32 v[173:174], v[173:174], v[42:43]
	v_add_f64_e32 v[175:176], v[175:176], v[44:45]
	ds_load_b128 v[42:45], v1 offset:1584
	v_fma_f64 v[171:172], v[171:172], v[14:15], v[177:178]
	v_fma_f64 v[169:170], v[169:170], v[14:15], -v[16:17]
	scratch_load_b128 v[14:17], off, off offset:816
	s_wait_loadcnt_dscnt 0xa01
	v_mul_f64_e32 v[183:184], v[2:3], v[20:21]
	v_mul_f64_e32 v[20:21], v[4:5], v[20:21]
	s_wait_loadcnt_dscnt 0x900
	v_mul_f64_e32 v[177:178], v[42:43], v[24:25]
	v_mul_f64_e32 v[24:25], v[44:45], v[24:25]
	v_add_f64_e32 v[173:174], v[173:174], v[181:182]
	v_add_f64_e32 v[175:176], v[175:176], v[179:180]
	v_fma_f64 v[179:180], v[4:5], v[18:19], v[183:184]
	v_fma_f64 v[181:182], v[2:3], v[18:19], -v[20:21]
	ds_load_b128 v[2:5], v1 offset:1600
	scratch_load_b128 v[18:21], off, off offset:832
	v_fma_f64 v[44:45], v[44:45], v[22:23], v[177:178]
	v_fma_f64 v[42:43], v[42:43], v[22:23], -v[24:25]
	scratch_load_b128 v[22:25], off, off offset:848
	v_add_f64_e32 v[173:174], v[173:174], v[169:170]
	v_add_f64_e32 v[175:176], v[175:176], v[171:172]
	ds_load_b128 v[169:172], v1 offset:1616
	s_wait_loadcnt_dscnt 0xa01
	v_mul_f64_e32 v[183:184], v[2:3], v[28:29]
	v_mul_f64_e32 v[28:29], v[4:5], v[28:29]
	s_wait_loadcnt_dscnt 0x900
	v_mul_f64_e32 v[177:178], v[169:170], v[32:33]
	v_mul_f64_e32 v[32:33], v[171:172], v[32:33]
	v_add_f64_e32 v[173:174], v[173:174], v[181:182]
	v_add_f64_e32 v[175:176], v[175:176], v[179:180]
	v_fma_f64 v[179:180], v[4:5], v[26:27], v[183:184]
	v_fma_f64 v[181:182], v[2:3], v[26:27], -v[28:29]
	ds_load_b128 v[2:5], v1 offset:1632
	scratch_load_b128 v[26:29], off, off offset:864
	v_fma_f64 v[171:172], v[171:172], v[30:31], v[177:178]
	v_fma_f64 v[169:170], v[169:170], v[30:31], -v[32:33]
	scratch_load_b128 v[30:33], off, off offset:880
	v_add_f64_e32 v[173:174], v[173:174], v[42:43]
	v_add_f64_e32 v[175:176], v[175:176], v[44:45]
	ds_load_b128 v[42:45], v1 offset:1648
	s_wait_loadcnt_dscnt 0xa01
	v_mul_f64_e32 v[183:184], v[2:3], v[36:37]
	v_mul_f64_e32 v[36:37], v[4:5], v[36:37]
	s_wait_loadcnt_dscnt 0x800
	v_mul_f64_e32 v[177:178], v[42:43], v[167:168]
	v_add_f64_e32 v[173:174], v[173:174], v[181:182]
	v_add_f64_e32 v[175:176], v[175:176], v[179:180]
	v_mul_f64_e32 v[179:180], v[44:45], v[167:168]
	v_fma_f64 v[181:182], v[4:5], v[34:35], v[183:184]
	v_fma_f64 v[183:184], v[2:3], v[34:35], -v[36:37]
	ds_load_b128 v[2:5], v1 offset:1664
	scratch_load_b128 v[34:37], off, off offset:896
	v_fma_f64 v[44:45], v[44:45], v[165:166], v[177:178]
	v_add_f64_e32 v[173:174], v[173:174], v[169:170]
	v_add_f64_e32 v[171:172], v[175:176], v[171:172]
	ds_load_b128 v[167:170], v1 offset:1680
	v_fma_f64 v[165:166], v[42:43], v[165:166], -v[179:180]
	s_wait_loadcnt_dscnt 0x801
	v_mul_f64_e32 v[175:176], v[2:3], v[40:41]
	v_mul_f64_e32 v[185:186], v[4:5], v[40:41]
	scratch_load_b128 v[40:43], off, off offset:912
	s_wait_loadcnt_dscnt 0x800
	v_mul_f64_e32 v[177:178], v[167:168], v[8:9]
	v_mul_f64_e32 v[8:9], v[169:170], v[8:9]
	v_add_f64_e32 v[173:174], v[173:174], v[183:184]
	v_add_f64_e32 v[171:172], v[171:172], v[181:182]
	v_fma_f64 v[175:176], v[4:5], v[38:39], v[175:176]
	v_fma_f64 v[38:39], v[2:3], v[38:39], -v[185:186]
	v_fma_f64 v[169:170], v[169:170], v[6:7], v[177:178]
	v_fma_f64 v[6:7], v[167:168], v[6:7], -v[8:9]
	v_add_f64_e32 v[165:166], v[173:174], v[165:166]
	v_add_f64_e32 v[44:45], v[171:172], v[44:45]
	ds_load_b128 v[2:5], v1 offset:1696
	ds_load_b128 v[171:174], v1 offset:1712
	s_wait_loadcnt_dscnt 0x701
	v_mul_f64_e32 v[179:180], v[2:3], v[12:13]
	v_mul_f64_e32 v[12:13], v[4:5], v[12:13]
	v_add_f64_e32 v[8:9], v[165:166], v[38:39]
	v_add_f64_e32 v[38:39], v[44:45], v[175:176]
	s_wait_loadcnt_dscnt 0x600
	v_mul_f64_e32 v[44:45], v[171:172], v[16:17]
	v_mul_f64_e32 v[16:17], v[173:174], v[16:17]
	v_fma_f64 v[165:166], v[4:5], v[10:11], v[179:180]
	v_fma_f64 v[10:11], v[2:3], v[10:11], -v[12:13]
	v_add_f64_e32 v[12:13], v[8:9], v[6:7]
	v_add_f64_e32 v[38:39], v[38:39], v[169:170]
	ds_load_b128 v[2:5], v1 offset:1728
	ds_load_b128 v[6:9], v1 offset:1744
	v_fma_f64 v[44:45], v[173:174], v[14:15], v[44:45]
	v_fma_f64 v[14:15], v[171:172], v[14:15], -v[16:17]
	s_wait_loadcnt_dscnt 0x501
	v_mul_f64_e32 v[167:168], v[2:3], v[20:21]
	v_mul_f64_e32 v[20:21], v[4:5], v[20:21]
	s_wait_loadcnt_dscnt 0x400
	v_mul_f64_e32 v[16:17], v[6:7], v[24:25]
	v_mul_f64_e32 v[24:25], v[8:9], v[24:25]
	v_add_f64_e32 v[10:11], v[12:13], v[10:11]
	v_add_f64_e32 v[12:13], v[38:39], v[165:166]
	v_fma_f64 v[38:39], v[4:5], v[18:19], v[167:168]
	v_fma_f64 v[18:19], v[2:3], v[18:19], -v[20:21]
	v_fma_f64 v[8:9], v[8:9], v[22:23], v[16:17]
	v_fma_f64 v[6:7], v[6:7], v[22:23], -v[24:25]
	v_add_f64_e32 v[14:15], v[10:11], v[14:15]
	v_add_f64_e32 v[20:21], v[12:13], v[44:45]
	ds_load_b128 v[2:5], v1 offset:1760
	ds_load_b128 v[10:13], v1 offset:1776
	s_wait_loadcnt_dscnt 0x301
	v_mul_f64_e32 v[44:45], v[2:3], v[28:29]
	v_mul_f64_e32 v[28:29], v[4:5], v[28:29]
	v_add_f64_e32 v[14:15], v[14:15], v[18:19]
	v_add_f64_e32 v[16:17], v[20:21], v[38:39]
	s_wait_loadcnt_dscnt 0x200
	v_mul_f64_e32 v[18:19], v[10:11], v[32:33]
	v_mul_f64_e32 v[20:21], v[12:13], v[32:33]
	v_fma_f64 v[22:23], v[4:5], v[26:27], v[44:45]
	v_fma_f64 v[24:25], v[2:3], v[26:27], -v[28:29]
	v_add_f64_e32 v[14:15], v[14:15], v[6:7]
	v_add_f64_e32 v[16:17], v[16:17], v[8:9]
	ds_load_b128 v[2:5], v1 offset:1792
	ds_load_b128 v[6:9], v1 offset:1808
	v_fma_f64 v[12:13], v[12:13], v[30:31], v[18:19]
	v_fma_f64 v[10:11], v[10:11], v[30:31], -v[20:21]
	s_wait_loadcnt_dscnt 0x101
	v_mul_f64_e32 v[26:27], v[2:3], v[36:37]
	v_mul_f64_e32 v[28:29], v[4:5], v[36:37]
	s_wait_loadcnt_dscnt 0x0
	v_mul_f64_e32 v[18:19], v[6:7], v[42:43]
	v_add_f64_e32 v[14:15], v[14:15], v[24:25]
	v_add_f64_e32 v[16:17], v[16:17], v[22:23]
	v_mul_f64_e32 v[20:21], v[8:9], v[42:43]
	v_fma_f64 v[4:5], v[4:5], v[34:35], v[26:27]
	v_fma_f64 v[1:2], v[2:3], v[34:35], -v[28:29]
	v_fma_f64 v[8:9], v[8:9], v[40:41], v[18:19]
	v_add_f64_e32 v[10:11], v[14:15], v[10:11]
	v_add_f64_e32 v[12:13], v[16:17], v[12:13]
	v_fma_f64 v[6:7], v[6:7], v[40:41], -v[20:21]
	s_delay_alu instid0(VALU_DEP_3) | instskip(NEXT) | instid1(VALU_DEP_3)
	v_add_f64_e32 v[1:2], v[10:11], v[1:2]
	v_add_f64_e32 v[3:4], v[12:13], v[4:5]
	s_delay_alu instid0(VALU_DEP_2) | instskip(NEXT) | instid1(VALU_DEP_2)
	v_add_f64_e32 v[1:2], v[1:2], v[6:7]
	v_add_f64_e32 v[3:4], v[3:4], v[8:9]
	s_delay_alu instid0(VALU_DEP_2) | instskip(NEXT) | instid1(VALU_DEP_2)
	v_add_f64_e64 v[1:2], v[161:162], -v[1:2]
	v_add_f64_e64 v[3:4], v[163:164], -v[3:4]
	scratch_store_b128 off, v[1:4], off offset:592
	v_cmpx_lt_u32_e32 35, v0
	s_cbranch_execz .LBB120_285
; %bb.284:
	scratch_load_b128 v[1:4], off, s35
	v_mov_b32_e32 v5, 0
	s_delay_alu instid0(VALU_DEP_1)
	v_dual_mov_b32 v6, v5 :: v_dual_mov_b32 v7, v5
	v_mov_b32_e32 v8, v5
	scratch_store_b128 off, v[5:8], off offset:576
	s_wait_loadcnt 0x0
	ds_store_b128 v160, v[1:4]
.LBB120_285:
	s_wait_alu 0xfffe
	s_or_b32 exec_lo, exec_lo, s0
	s_wait_storecnt_dscnt 0x0
	s_barrier_signal -1
	s_barrier_wait -1
	global_inv scope:SCOPE_SE
	s_clause 0x7
	scratch_load_b128 v[2:5], off, off offset:592
	scratch_load_b128 v[6:9], off, off offset:608
	;; [unrolled: 1-line block ×8, first 2 shown]
	v_mov_b32_e32 v1, 0
	s_mov_b32 s0, exec_lo
	ds_load_b128 v[34:37], v1 offset:1488
	s_clause 0x1
	scratch_load_b128 v[38:41], off, off offset:720
	scratch_load_b128 v[42:45], off, off offset:576
	ds_load_b128 v[161:164], v1 offset:1504
	scratch_load_b128 v[165:168], off, off offset:736
	s_wait_loadcnt_dscnt 0xa01
	v_mul_f64_e32 v[169:170], v[36:37], v[4:5]
	v_mul_f64_e32 v[4:5], v[34:35], v[4:5]
	s_delay_alu instid0(VALU_DEP_2) | instskip(NEXT) | instid1(VALU_DEP_2)
	v_fma_f64 v[175:176], v[34:35], v[2:3], -v[169:170]
	v_fma_f64 v[177:178], v[36:37], v[2:3], v[4:5]
	ds_load_b128 v[2:5], v1 offset:1520
	s_wait_loadcnt_dscnt 0x901
	v_mul_f64_e32 v[173:174], v[161:162], v[8:9]
	v_mul_f64_e32 v[8:9], v[163:164], v[8:9]
	scratch_load_b128 v[34:37], off, off offset:752
	ds_load_b128 v[169:172], v1 offset:1536
	s_wait_loadcnt_dscnt 0x901
	v_mul_f64_e32 v[179:180], v[2:3], v[12:13]
	v_mul_f64_e32 v[12:13], v[4:5], v[12:13]
	v_fma_f64 v[163:164], v[163:164], v[6:7], v[173:174]
	v_fma_f64 v[161:162], v[161:162], v[6:7], -v[8:9]
	v_add_f64_e32 v[173:174], 0, v[175:176]
	v_add_f64_e32 v[175:176], 0, v[177:178]
	scratch_load_b128 v[6:9], off, off offset:768
	v_fma_f64 v[179:180], v[4:5], v[10:11], v[179:180]
	v_fma_f64 v[181:182], v[2:3], v[10:11], -v[12:13]
	ds_load_b128 v[2:5], v1 offset:1552
	s_wait_loadcnt_dscnt 0x901
	v_mul_f64_e32 v[177:178], v[169:170], v[16:17]
	v_mul_f64_e32 v[16:17], v[171:172], v[16:17]
	scratch_load_b128 v[10:13], off, off offset:784
	v_add_f64_e32 v[173:174], v[173:174], v[161:162]
	v_add_f64_e32 v[175:176], v[175:176], v[163:164]
	s_wait_loadcnt_dscnt 0x900
	v_mul_f64_e32 v[183:184], v[2:3], v[20:21]
	v_mul_f64_e32 v[20:21], v[4:5], v[20:21]
	ds_load_b128 v[161:164], v1 offset:1568
	v_fma_f64 v[171:172], v[171:172], v[14:15], v[177:178]
	v_fma_f64 v[169:170], v[169:170], v[14:15], -v[16:17]
	scratch_load_b128 v[14:17], off, off offset:800
	v_add_f64_e32 v[173:174], v[173:174], v[181:182]
	v_add_f64_e32 v[175:176], v[175:176], v[179:180]
	v_fma_f64 v[179:180], v[4:5], v[18:19], v[183:184]
	v_fma_f64 v[181:182], v[2:3], v[18:19], -v[20:21]
	ds_load_b128 v[2:5], v1 offset:1584
	s_wait_loadcnt_dscnt 0x901
	v_mul_f64_e32 v[177:178], v[161:162], v[24:25]
	v_mul_f64_e32 v[24:25], v[163:164], v[24:25]
	scratch_load_b128 v[18:21], off, off offset:816
	s_wait_loadcnt_dscnt 0x900
	v_mul_f64_e32 v[183:184], v[2:3], v[28:29]
	v_mul_f64_e32 v[28:29], v[4:5], v[28:29]
	v_add_f64_e32 v[173:174], v[173:174], v[169:170]
	v_add_f64_e32 v[175:176], v[175:176], v[171:172]
	ds_load_b128 v[169:172], v1 offset:1600
	v_fma_f64 v[163:164], v[163:164], v[22:23], v[177:178]
	v_fma_f64 v[161:162], v[161:162], v[22:23], -v[24:25]
	scratch_load_b128 v[22:25], off, off offset:832
	v_add_f64_e32 v[173:174], v[173:174], v[181:182]
	v_add_f64_e32 v[175:176], v[175:176], v[179:180]
	v_fma_f64 v[179:180], v[4:5], v[26:27], v[183:184]
	v_fma_f64 v[181:182], v[2:3], v[26:27], -v[28:29]
	ds_load_b128 v[2:5], v1 offset:1616
	s_wait_loadcnt_dscnt 0x901
	v_mul_f64_e32 v[177:178], v[169:170], v[32:33]
	v_mul_f64_e32 v[32:33], v[171:172], v[32:33]
	scratch_load_b128 v[26:29], off, off offset:848
	s_wait_loadcnt_dscnt 0x900
	v_mul_f64_e32 v[183:184], v[2:3], v[40:41]
	v_mul_f64_e32 v[40:41], v[4:5], v[40:41]
	v_add_f64_e32 v[173:174], v[173:174], v[161:162]
	v_add_f64_e32 v[175:176], v[175:176], v[163:164]
	ds_load_b128 v[161:164], v1 offset:1632
	v_fma_f64 v[171:172], v[171:172], v[30:31], v[177:178]
	v_fma_f64 v[169:170], v[169:170], v[30:31], -v[32:33]
	scratch_load_b128 v[30:33], off, off offset:864
	v_add_f64_e32 v[173:174], v[173:174], v[181:182]
	v_add_f64_e32 v[175:176], v[175:176], v[179:180]
	v_fma_f64 v[181:182], v[4:5], v[38:39], v[183:184]
	v_fma_f64 v[183:184], v[2:3], v[38:39], -v[40:41]
	ds_load_b128 v[2:5], v1 offset:1648
	s_wait_loadcnt_dscnt 0x801
	v_mul_f64_e32 v[177:178], v[161:162], v[167:168]
	v_mul_f64_e32 v[179:180], v[163:164], v[167:168]
	scratch_load_b128 v[38:41], off, off offset:880
	v_add_f64_e32 v[173:174], v[173:174], v[169:170]
	v_add_f64_e32 v[171:172], v[175:176], v[171:172]
	ds_load_b128 v[167:170], v1 offset:1664
	v_fma_f64 v[177:178], v[163:164], v[165:166], v[177:178]
	v_fma_f64 v[165:166], v[161:162], v[165:166], -v[179:180]
	scratch_load_b128 v[161:164], off, off offset:896
	s_wait_loadcnt_dscnt 0x901
	v_mul_f64_e32 v[175:176], v[2:3], v[36:37]
	v_mul_f64_e32 v[36:37], v[4:5], v[36:37]
	v_add_f64_e32 v[173:174], v[173:174], v[183:184]
	v_add_f64_e32 v[171:172], v[171:172], v[181:182]
	s_delay_alu instid0(VALU_DEP_4) | instskip(NEXT) | instid1(VALU_DEP_4)
	v_fma_f64 v[175:176], v[4:5], v[34:35], v[175:176]
	v_fma_f64 v[181:182], v[2:3], v[34:35], -v[36:37]
	ds_load_b128 v[2:5], v1 offset:1680
	s_wait_loadcnt_dscnt 0x801
	v_mul_f64_e32 v[179:180], v[167:168], v[8:9]
	v_mul_f64_e32 v[8:9], v[169:170], v[8:9]
	scratch_load_b128 v[34:37], off, off offset:912
	s_wait_loadcnt_dscnt 0x800
	v_mul_f64_e32 v[183:184], v[2:3], v[12:13]
	v_add_f64_e32 v[165:166], v[173:174], v[165:166]
	v_add_f64_e32 v[177:178], v[171:172], v[177:178]
	v_mul_f64_e32 v[12:13], v[4:5], v[12:13]
	ds_load_b128 v[171:174], v1 offset:1696
	v_fma_f64 v[169:170], v[169:170], v[6:7], v[179:180]
	v_fma_f64 v[6:7], v[167:168], v[6:7], -v[8:9]
	s_wait_loadcnt_dscnt 0x700
	v_mul_f64_e32 v[167:168], v[171:172], v[16:17]
	v_add_f64_e32 v[8:9], v[165:166], v[181:182]
	v_add_f64_e32 v[165:166], v[177:178], v[175:176]
	v_mul_f64_e32 v[16:17], v[173:174], v[16:17]
	v_fma_f64 v[175:176], v[4:5], v[10:11], v[183:184]
	v_fma_f64 v[10:11], v[2:3], v[10:11], -v[12:13]
	v_fma_f64 v[167:168], v[173:174], v[14:15], v[167:168]
	v_add_f64_e32 v[12:13], v[8:9], v[6:7]
	v_add_f64_e32 v[165:166], v[165:166], v[169:170]
	ds_load_b128 v[2:5], v1 offset:1712
	ds_load_b128 v[6:9], v1 offset:1728
	v_fma_f64 v[14:15], v[171:172], v[14:15], -v[16:17]
	s_wait_loadcnt_dscnt 0x601
	v_mul_f64_e32 v[169:170], v[2:3], v[20:21]
	v_mul_f64_e32 v[20:21], v[4:5], v[20:21]
	s_wait_loadcnt_dscnt 0x500
	v_mul_f64_e32 v[16:17], v[6:7], v[24:25]
	v_mul_f64_e32 v[24:25], v[8:9], v[24:25]
	v_add_f64_e32 v[10:11], v[12:13], v[10:11]
	v_add_f64_e32 v[12:13], v[165:166], v[175:176]
	v_fma_f64 v[165:166], v[4:5], v[18:19], v[169:170]
	v_fma_f64 v[18:19], v[2:3], v[18:19], -v[20:21]
	v_fma_f64 v[8:9], v[8:9], v[22:23], v[16:17]
	v_fma_f64 v[6:7], v[6:7], v[22:23], -v[24:25]
	v_add_f64_e32 v[14:15], v[10:11], v[14:15]
	v_add_f64_e32 v[20:21], v[12:13], v[167:168]
	ds_load_b128 v[2:5], v1 offset:1744
	ds_load_b128 v[10:13], v1 offset:1760
	s_wait_loadcnt_dscnt 0x401
	v_mul_f64_e32 v[167:168], v[2:3], v[28:29]
	v_mul_f64_e32 v[28:29], v[4:5], v[28:29]
	v_add_f64_e32 v[14:15], v[14:15], v[18:19]
	v_add_f64_e32 v[16:17], v[20:21], v[165:166]
	s_wait_loadcnt_dscnt 0x300
	v_mul_f64_e32 v[18:19], v[10:11], v[32:33]
	v_mul_f64_e32 v[20:21], v[12:13], v[32:33]
	v_fma_f64 v[22:23], v[4:5], v[26:27], v[167:168]
	v_fma_f64 v[24:25], v[2:3], v[26:27], -v[28:29]
	v_add_f64_e32 v[14:15], v[14:15], v[6:7]
	v_add_f64_e32 v[16:17], v[16:17], v[8:9]
	ds_load_b128 v[2:5], v1 offset:1776
	ds_load_b128 v[6:9], v1 offset:1792
	v_fma_f64 v[12:13], v[12:13], v[30:31], v[18:19]
	v_fma_f64 v[10:11], v[10:11], v[30:31], -v[20:21]
	s_wait_loadcnt_dscnt 0x201
	v_mul_f64_e32 v[26:27], v[2:3], v[40:41]
	v_mul_f64_e32 v[28:29], v[4:5], v[40:41]
	s_wait_loadcnt_dscnt 0x100
	v_mul_f64_e32 v[18:19], v[6:7], v[163:164]
	v_mul_f64_e32 v[20:21], v[8:9], v[163:164]
	v_add_f64_e32 v[14:15], v[14:15], v[24:25]
	v_add_f64_e32 v[16:17], v[16:17], v[22:23]
	v_fma_f64 v[22:23], v[4:5], v[38:39], v[26:27]
	v_fma_f64 v[24:25], v[2:3], v[38:39], -v[28:29]
	ds_load_b128 v[2:5], v1 offset:1808
	v_fma_f64 v[8:9], v[8:9], v[161:162], v[18:19]
	v_fma_f64 v[6:7], v[6:7], v[161:162], -v[20:21]
	v_add_f64_e32 v[10:11], v[14:15], v[10:11]
	v_add_f64_e32 v[12:13], v[16:17], v[12:13]
	s_wait_loadcnt_dscnt 0x0
	v_mul_f64_e32 v[14:15], v[2:3], v[36:37]
	v_mul_f64_e32 v[16:17], v[4:5], v[36:37]
	s_delay_alu instid0(VALU_DEP_4) | instskip(NEXT) | instid1(VALU_DEP_4)
	v_add_f64_e32 v[10:11], v[10:11], v[24:25]
	v_add_f64_e32 v[12:13], v[12:13], v[22:23]
	s_delay_alu instid0(VALU_DEP_4) | instskip(NEXT) | instid1(VALU_DEP_4)
	v_fma_f64 v[4:5], v[4:5], v[34:35], v[14:15]
	v_fma_f64 v[2:3], v[2:3], v[34:35], -v[16:17]
	s_delay_alu instid0(VALU_DEP_4) | instskip(NEXT) | instid1(VALU_DEP_4)
	v_add_f64_e32 v[6:7], v[10:11], v[6:7]
	v_add_f64_e32 v[8:9], v[12:13], v[8:9]
	s_delay_alu instid0(VALU_DEP_2) | instskip(NEXT) | instid1(VALU_DEP_2)
	v_add_f64_e32 v[2:3], v[6:7], v[2:3]
	v_add_f64_e32 v[4:5], v[8:9], v[4:5]
	s_delay_alu instid0(VALU_DEP_2) | instskip(NEXT) | instid1(VALU_DEP_2)
	v_add_f64_e64 v[2:3], v[42:43], -v[2:3]
	v_add_f64_e64 v[4:5], v[44:45], -v[4:5]
	scratch_store_b128 off, v[2:5], off offset:576
	v_cmpx_lt_u32_e32 34, v0
	s_cbranch_execz .LBB120_287
; %bb.286:
	scratch_load_b128 v[5:8], off, s36
	v_dual_mov_b32 v2, v1 :: v_dual_mov_b32 v3, v1
	v_mov_b32_e32 v4, v1
	scratch_store_b128 off, v[1:4], off offset:560
	s_wait_loadcnt 0x0
	ds_store_b128 v160, v[5:8]
.LBB120_287:
	s_wait_alu 0xfffe
	s_or_b32 exec_lo, exec_lo, s0
	s_wait_storecnt_dscnt 0x0
	s_barrier_signal -1
	s_barrier_wait -1
	global_inv scope:SCOPE_SE
	s_clause 0x8
	scratch_load_b128 v[2:5], off, off offset:576
	scratch_load_b128 v[6:9], off, off offset:592
	;; [unrolled: 1-line block ×9, first 2 shown]
	ds_load_b128 v[38:41], v1 offset:1472
	ds_load_b128 v[42:45], v1 offset:1488
	s_clause 0x1
	scratch_load_b128 v[161:164], off, off offset:560
	scratch_load_b128 v[165:168], off, off offset:720
	s_mov_b32 s0, exec_lo
	s_wait_loadcnt_dscnt 0xa01
	v_mul_f64_e32 v[169:170], v[40:41], v[4:5]
	v_mul_f64_e32 v[4:5], v[38:39], v[4:5]
	s_wait_loadcnt_dscnt 0x900
	v_mul_f64_e32 v[173:174], v[42:43], v[8:9]
	v_mul_f64_e32 v[8:9], v[44:45], v[8:9]
	s_delay_alu instid0(VALU_DEP_4) | instskip(NEXT) | instid1(VALU_DEP_4)
	v_fma_f64 v[175:176], v[38:39], v[2:3], -v[169:170]
	v_fma_f64 v[177:178], v[40:41], v[2:3], v[4:5]
	ds_load_b128 v[2:5], v1 offset:1504
	ds_load_b128 v[169:172], v1 offset:1520
	scratch_load_b128 v[38:41], off, off offset:736
	v_fma_f64 v[44:45], v[44:45], v[6:7], v[173:174]
	v_fma_f64 v[42:43], v[42:43], v[6:7], -v[8:9]
	scratch_load_b128 v[6:9], off, off offset:752
	s_wait_loadcnt_dscnt 0xa01
	v_mul_f64_e32 v[179:180], v[2:3], v[12:13]
	v_mul_f64_e32 v[12:13], v[4:5], v[12:13]
	v_add_f64_e32 v[173:174], 0, v[175:176]
	v_add_f64_e32 v[175:176], 0, v[177:178]
	s_wait_loadcnt_dscnt 0x900
	v_mul_f64_e32 v[177:178], v[169:170], v[16:17]
	v_mul_f64_e32 v[16:17], v[171:172], v[16:17]
	v_fma_f64 v[179:180], v[4:5], v[10:11], v[179:180]
	v_fma_f64 v[181:182], v[2:3], v[10:11], -v[12:13]
	ds_load_b128 v[2:5], v1 offset:1536
	scratch_load_b128 v[10:13], off, off offset:768
	v_add_f64_e32 v[173:174], v[173:174], v[42:43]
	v_add_f64_e32 v[175:176], v[175:176], v[44:45]
	ds_load_b128 v[42:45], v1 offset:1552
	v_fma_f64 v[171:172], v[171:172], v[14:15], v[177:178]
	v_fma_f64 v[169:170], v[169:170], v[14:15], -v[16:17]
	scratch_load_b128 v[14:17], off, off offset:784
	s_wait_loadcnt_dscnt 0xa01
	v_mul_f64_e32 v[183:184], v[2:3], v[20:21]
	v_mul_f64_e32 v[20:21], v[4:5], v[20:21]
	s_wait_loadcnt_dscnt 0x900
	v_mul_f64_e32 v[177:178], v[42:43], v[24:25]
	v_mul_f64_e32 v[24:25], v[44:45], v[24:25]
	v_add_f64_e32 v[173:174], v[173:174], v[181:182]
	v_add_f64_e32 v[175:176], v[175:176], v[179:180]
	v_fma_f64 v[179:180], v[4:5], v[18:19], v[183:184]
	v_fma_f64 v[181:182], v[2:3], v[18:19], -v[20:21]
	ds_load_b128 v[2:5], v1 offset:1568
	scratch_load_b128 v[18:21], off, off offset:800
	v_fma_f64 v[44:45], v[44:45], v[22:23], v[177:178]
	v_fma_f64 v[42:43], v[42:43], v[22:23], -v[24:25]
	scratch_load_b128 v[22:25], off, off offset:816
	v_add_f64_e32 v[173:174], v[173:174], v[169:170]
	v_add_f64_e32 v[175:176], v[175:176], v[171:172]
	ds_load_b128 v[169:172], v1 offset:1584
	s_wait_loadcnt_dscnt 0xa01
	v_mul_f64_e32 v[183:184], v[2:3], v[28:29]
	v_mul_f64_e32 v[28:29], v[4:5], v[28:29]
	s_wait_loadcnt_dscnt 0x900
	v_mul_f64_e32 v[177:178], v[169:170], v[32:33]
	v_mul_f64_e32 v[32:33], v[171:172], v[32:33]
	v_add_f64_e32 v[173:174], v[173:174], v[181:182]
	v_add_f64_e32 v[175:176], v[175:176], v[179:180]
	v_fma_f64 v[179:180], v[4:5], v[26:27], v[183:184]
	v_fma_f64 v[181:182], v[2:3], v[26:27], -v[28:29]
	ds_load_b128 v[2:5], v1 offset:1600
	scratch_load_b128 v[26:29], off, off offset:832
	v_fma_f64 v[171:172], v[171:172], v[30:31], v[177:178]
	v_fma_f64 v[169:170], v[169:170], v[30:31], -v[32:33]
	scratch_load_b128 v[30:33], off, off offset:848
	v_add_f64_e32 v[173:174], v[173:174], v[42:43]
	v_add_f64_e32 v[175:176], v[175:176], v[44:45]
	ds_load_b128 v[42:45], v1 offset:1616
	s_wait_loadcnt_dscnt 0xa01
	v_mul_f64_e32 v[183:184], v[2:3], v[36:37]
	v_mul_f64_e32 v[36:37], v[4:5], v[36:37]
	s_wait_loadcnt_dscnt 0x800
	v_mul_f64_e32 v[177:178], v[42:43], v[167:168]
	v_add_f64_e32 v[173:174], v[173:174], v[181:182]
	v_add_f64_e32 v[175:176], v[175:176], v[179:180]
	v_mul_f64_e32 v[179:180], v[44:45], v[167:168]
	v_fma_f64 v[181:182], v[4:5], v[34:35], v[183:184]
	v_fma_f64 v[183:184], v[2:3], v[34:35], -v[36:37]
	ds_load_b128 v[2:5], v1 offset:1632
	scratch_load_b128 v[34:37], off, off offset:864
	v_fma_f64 v[44:45], v[44:45], v[165:166], v[177:178]
	v_add_f64_e32 v[173:174], v[173:174], v[169:170]
	v_add_f64_e32 v[171:172], v[175:176], v[171:172]
	ds_load_b128 v[167:170], v1 offset:1648
	v_fma_f64 v[165:166], v[42:43], v[165:166], -v[179:180]
	s_wait_loadcnt_dscnt 0x801
	v_mul_f64_e32 v[175:176], v[2:3], v[40:41]
	v_mul_f64_e32 v[185:186], v[4:5], v[40:41]
	scratch_load_b128 v[40:43], off, off offset:880
	s_wait_loadcnt_dscnt 0x800
	v_mul_f64_e32 v[179:180], v[167:168], v[8:9]
	v_mul_f64_e32 v[8:9], v[169:170], v[8:9]
	v_add_f64_e32 v[173:174], v[173:174], v[183:184]
	v_add_f64_e32 v[171:172], v[171:172], v[181:182]
	v_fma_f64 v[181:182], v[4:5], v[38:39], v[175:176]
	v_fma_f64 v[38:39], v[2:3], v[38:39], -v[185:186]
	ds_load_b128 v[2:5], v1 offset:1664
	ds_load_b128 v[175:178], v1 offset:1680
	v_fma_f64 v[169:170], v[169:170], v[6:7], v[179:180]
	v_fma_f64 v[167:168], v[167:168], v[6:7], -v[8:9]
	scratch_load_b128 v[6:9], off, off offset:912
	v_add_f64_e32 v[165:166], v[173:174], v[165:166]
	v_add_f64_e32 v[44:45], v[171:172], v[44:45]
	scratch_load_b128 v[171:174], off, off offset:896
	s_wait_loadcnt_dscnt 0x901
	v_mul_f64_e32 v[183:184], v[2:3], v[12:13]
	v_mul_f64_e32 v[12:13], v[4:5], v[12:13]
	v_add_f64_e32 v[38:39], v[165:166], v[38:39]
	v_add_f64_e32 v[44:45], v[44:45], v[181:182]
	s_wait_loadcnt_dscnt 0x800
	v_mul_f64_e32 v[165:166], v[175:176], v[16:17]
	v_mul_f64_e32 v[16:17], v[177:178], v[16:17]
	v_fma_f64 v[179:180], v[4:5], v[10:11], v[183:184]
	v_fma_f64 v[181:182], v[2:3], v[10:11], -v[12:13]
	ds_load_b128 v[2:5], v1 offset:1696
	ds_load_b128 v[10:13], v1 offset:1712
	v_add_f64_e32 v[38:39], v[38:39], v[167:168]
	v_add_f64_e32 v[44:45], v[44:45], v[169:170]
	s_wait_loadcnt_dscnt 0x701
	v_mul_f64_e32 v[167:168], v[2:3], v[20:21]
	v_mul_f64_e32 v[20:21], v[4:5], v[20:21]
	v_fma_f64 v[165:166], v[177:178], v[14:15], v[165:166]
	v_fma_f64 v[14:15], v[175:176], v[14:15], -v[16:17]
	v_add_f64_e32 v[16:17], v[38:39], v[181:182]
	v_add_f64_e32 v[38:39], v[44:45], v[179:180]
	s_wait_loadcnt_dscnt 0x600
	v_mul_f64_e32 v[44:45], v[10:11], v[24:25]
	v_mul_f64_e32 v[24:25], v[12:13], v[24:25]
	v_fma_f64 v[167:168], v[4:5], v[18:19], v[167:168]
	v_fma_f64 v[18:19], v[2:3], v[18:19], -v[20:21]
	v_add_f64_e32 v[20:21], v[16:17], v[14:15]
	v_add_f64_e32 v[38:39], v[38:39], v[165:166]
	ds_load_b128 v[2:5], v1 offset:1728
	ds_load_b128 v[14:17], v1 offset:1744
	v_fma_f64 v[12:13], v[12:13], v[22:23], v[44:45]
	v_fma_f64 v[10:11], v[10:11], v[22:23], -v[24:25]
	s_wait_loadcnt_dscnt 0x501
	v_mul_f64_e32 v[165:166], v[2:3], v[28:29]
	v_mul_f64_e32 v[28:29], v[4:5], v[28:29]
	s_wait_loadcnt_dscnt 0x400
	v_mul_f64_e32 v[22:23], v[14:15], v[32:33]
	v_mul_f64_e32 v[24:25], v[16:17], v[32:33]
	v_add_f64_e32 v[18:19], v[20:21], v[18:19]
	v_add_f64_e32 v[20:21], v[38:39], v[167:168]
	v_fma_f64 v[32:33], v[4:5], v[26:27], v[165:166]
	v_fma_f64 v[26:27], v[2:3], v[26:27], -v[28:29]
	v_fma_f64 v[16:17], v[16:17], v[30:31], v[22:23]
	v_fma_f64 v[14:15], v[14:15], v[30:31], -v[24:25]
	v_add_f64_e32 v[18:19], v[18:19], v[10:11]
	v_add_f64_e32 v[20:21], v[20:21], v[12:13]
	ds_load_b128 v[2:5], v1 offset:1760
	ds_load_b128 v[10:13], v1 offset:1776
	s_wait_loadcnt_dscnt 0x301
	v_mul_f64_e32 v[28:29], v[2:3], v[36:37]
	v_mul_f64_e32 v[36:37], v[4:5], v[36:37]
	s_wait_loadcnt_dscnt 0x200
	v_mul_f64_e32 v[22:23], v[10:11], v[42:43]
	v_add_f64_e32 v[18:19], v[18:19], v[26:27]
	v_add_f64_e32 v[20:21], v[20:21], v[32:33]
	v_mul_f64_e32 v[24:25], v[12:13], v[42:43]
	v_fma_f64 v[26:27], v[4:5], v[34:35], v[28:29]
	v_fma_f64 v[28:29], v[2:3], v[34:35], -v[36:37]
	v_fma_f64 v[12:13], v[12:13], v[40:41], v[22:23]
	v_add_f64_e32 v[18:19], v[18:19], v[14:15]
	v_add_f64_e32 v[20:21], v[20:21], v[16:17]
	ds_load_b128 v[2:5], v1 offset:1792
	ds_load_b128 v[14:17], v1 offset:1808
	v_fma_f64 v[10:11], v[10:11], v[40:41], -v[24:25]
	s_wait_loadcnt_dscnt 0x1
	v_mul_f64_e32 v[30:31], v[2:3], v[173:174]
	v_mul_f64_e32 v[32:33], v[4:5], v[173:174]
	s_wait_dscnt 0x0
	v_mul_f64_e32 v[22:23], v[14:15], v[8:9]
	v_mul_f64_e32 v[8:9], v[16:17], v[8:9]
	v_add_f64_e32 v[18:19], v[18:19], v[28:29]
	v_add_f64_e32 v[20:21], v[20:21], v[26:27]
	v_fma_f64 v[4:5], v[4:5], v[171:172], v[30:31]
	v_fma_f64 v[1:2], v[2:3], v[171:172], -v[32:33]
	v_fma_f64 v[16:17], v[16:17], v[6:7], v[22:23]
	v_fma_f64 v[6:7], v[14:15], v[6:7], -v[8:9]
	v_add_f64_e32 v[10:11], v[18:19], v[10:11]
	v_add_f64_e32 v[12:13], v[20:21], v[12:13]
	s_delay_alu instid0(VALU_DEP_2) | instskip(NEXT) | instid1(VALU_DEP_2)
	v_add_f64_e32 v[1:2], v[10:11], v[1:2]
	v_add_f64_e32 v[3:4], v[12:13], v[4:5]
	s_delay_alu instid0(VALU_DEP_2) | instskip(NEXT) | instid1(VALU_DEP_2)
	;; [unrolled: 3-line block ×3, first 2 shown]
	v_add_f64_e64 v[1:2], v[161:162], -v[1:2]
	v_add_f64_e64 v[3:4], v[163:164], -v[3:4]
	scratch_store_b128 off, v[1:4], off offset:560
	v_cmpx_lt_u32_e32 33, v0
	s_cbranch_execz .LBB120_289
; %bb.288:
	scratch_load_b128 v[1:4], off, s37
	v_mov_b32_e32 v5, 0
	s_delay_alu instid0(VALU_DEP_1)
	v_dual_mov_b32 v6, v5 :: v_dual_mov_b32 v7, v5
	v_mov_b32_e32 v8, v5
	scratch_store_b128 off, v[5:8], off offset:544
	s_wait_loadcnt 0x0
	ds_store_b128 v160, v[1:4]
.LBB120_289:
	s_wait_alu 0xfffe
	s_or_b32 exec_lo, exec_lo, s0
	s_wait_storecnt_dscnt 0x0
	s_barrier_signal -1
	s_barrier_wait -1
	global_inv scope:SCOPE_SE
	s_clause 0x7
	scratch_load_b128 v[2:5], off, off offset:560
	scratch_load_b128 v[6:9], off, off offset:576
	;; [unrolled: 1-line block ×8, first 2 shown]
	v_mov_b32_e32 v1, 0
	s_mov_b32 s0, exec_lo
	ds_load_b128 v[34:37], v1 offset:1456
	s_clause 0x1
	scratch_load_b128 v[38:41], off, off offset:688
	scratch_load_b128 v[42:45], off, off offset:544
	ds_load_b128 v[161:164], v1 offset:1472
	scratch_load_b128 v[165:168], off, off offset:704
	s_wait_loadcnt_dscnt 0xa01
	v_mul_f64_e32 v[169:170], v[36:37], v[4:5]
	v_mul_f64_e32 v[4:5], v[34:35], v[4:5]
	s_delay_alu instid0(VALU_DEP_2) | instskip(NEXT) | instid1(VALU_DEP_2)
	v_fma_f64 v[175:176], v[34:35], v[2:3], -v[169:170]
	v_fma_f64 v[177:178], v[36:37], v[2:3], v[4:5]
	ds_load_b128 v[2:5], v1 offset:1488
	s_wait_loadcnt_dscnt 0x901
	v_mul_f64_e32 v[173:174], v[161:162], v[8:9]
	v_mul_f64_e32 v[8:9], v[163:164], v[8:9]
	scratch_load_b128 v[34:37], off, off offset:720
	ds_load_b128 v[169:172], v1 offset:1504
	s_wait_loadcnt_dscnt 0x901
	v_mul_f64_e32 v[179:180], v[2:3], v[12:13]
	v_mul_f64_e32 v[12:13], v[4:5], v[12:13]
	v_fma_f64 v[163:164], v[163:164], v[6:7], v[173:174]
	v_fma_f64 v[161:162], v[161:162], v[6:7], -v[8:9]
	v_add_f64_e32 v[173:174], 0, v[175:176]
	v_add_f64_e32 v[175:176], 0, v[177:178]
	scratch_load_b128 v[6:9], off, off offset:736
	v_fma_f64 v[179:180], v[4:5], v[10:11], v[179:180]
	v_fma_f64 v[181:182], v[2:3], v[10:11], -v[12:13]
	ds_load_b128 v[2:5], v1 offset:1520
	s_wait_loadcnt_dscnt 0x901
	v_mul_f64_e32 v[177:178], v[169:170], v[16:17]
	v_mul_f64_e32 v[16:17], v[171:172], v[16:17]
	scratch_load_b128 v[10:13], off, off offset:752
	v_add_f64_e32 v[173:174], v[173:174], v[161:162]
	v_add_f64_e32 v[175:176], v[175:176], v[163:164]
	s_wait_loadcnt_dscnt 0x900
	v_mul_f64_e32 v[183:184], v[2:3], v[20:21]
	v_mul_f64_e32 v[20:21], v[4:5], v[20:21]
	ds_load_b128 v[161:164], v1 offset:1536
	v_fma_f64 v[171:172], v[171:172], v[14:15], v[177:178]
	v_fma_f64 v[169:170], v[169:170], v[14:15], -v[16:17]
	scratch_load_b128 v[14:17], off, off offset:768
	v_add_f64_e32 v[173:174], v[173:174], v[181:182]
	v_add_f64_e32 v[175:176], v[175:176], v[179:180]
	v_fma_f64 v[179:180], v[4:5], v[18:19], v[183:184]
	v_fma_f64 v[181:182], v[2:3], v[18:19], -v[20:21]
	ds_load_b128 v[2:5], v1 offset:1552
	s_wait_loadcnt_dscnt 0x901
	v_mul_f64_e32 v[177:178], v[161:162], v[24:25]
	v_mul_f64_e32 v[24:25], v[163:164], v[24:25]
	scratch_load_b128 v[18:21], off, off offset:784
	s_wait_loadcnt_dscnt 0x900
	v_mul_f64_e32 v[183:184], v[2:3], v[28:29]
	v_mul_f64_e32 v[28:29], v[4:5], v[28:29]
	v_add_f64_e32 v[173:174], v[173:174], v[169:170]
	v_add_f64_e32 v[175:176], v[175:176], v[171:172]
	ds_load_b128 v[169:172], v1 offset:1568
	v_fma_f64 v[163:164], v[163:164], v[22:23], v[177:178]
	v_fma_f64 v[161:162], v[161:162], v[22:23], -v[24:25]
	scratch_load_b128 v[22:25], off, off offset:800
	v_add_f64_e32 v[173:174], v[173:174], v[181:182]
	v_add_f64_e32 v[175:176], v[175:176], v[179:180]
	v_fma_f64 v[179:180], v[4:5], v[26:27], v[183:184]
	v_fma_f64 v[181:182], v[2:3], v[26:27], -v[28:29]
	ds_load_b128 v[2:5], v1 offset:1584
	s_wait_loadcnt_dscnt 0x901
	v_mul_f64_e32 v[177:178], v[169:170], v[32:33]
	v_mul_f64_e32 v[32:33], v[171:172], v[32:33]
	scratch_load_b128 v[26:29], off, off offset:816
	s_wait_loadcnt_dscnt 0x900
	v_mul_f64_e32 v[183:184], v[2:3], v[40:41]
	v_mul_f64_e32 v[40:41], v[4:5], v[40:41]
	v_add_f64_e32 v[173:174], v[173:174], v[161:162]
	v_add_f64_e32 v[175:176], v[175:176], v[163:164]
	ds_load_b128 v[161:164], v1 offset:1600
	v_fma_f64 v[171:172], v[171:172], v[30:31], v[177:178]
	v_fma_f64 v[169:170], v[169:170], v[30:31], -v[32:33]
	scratch_load_b128 v[30:33], off, off offset:832
	v_add_f64_e32 v[173:174], v[173:174], v[181:182]
	v_add_f64_e32 v[175:176], v[175:176], v[179:180]
	v_fma_f64 v[181:182], v[4:5], v[38:39], v[183:184]
	v_fma_f64 v[183:184], v[2:3], v[38:39], -v[40:41]
	ds_load_b128 v[2:5], v1 offset:1616
	s_wait_loadcnt_dscnt 0x801
	v_mul_f64_e32 v[177:178], v[161:162], v[167:168]
	v_mul_f64_e32 v[179:180], v[163:164], v[167:168]
	scratch_load_b128 v[38:41], off, off offset:848
	v_add_f64_e32 v[173:174], v[173:174], v[169:170]
	v_add_f64_e32 v[171:172], v[175:176], v[171:172]
	ds_load_b128 v[167:170], v1 offset:1632
	v_fma_f64 v[177:178], v[163:164], v[165:166], v[177:178]
	v_fma_f64 v[165:166], v[161:162], v[165:166], -v[179:180]
	scratch_load_b128 v[161:164], off, off offset:864
	s_wait_loadcnt_dscnt 0x901
	v_mul_f64_e32 v[175:176], v[2:3], v[36:37]
	v_mul_f64_e32 v[36:37], v[4:5], v[36:37]
	v_add_f64_e32 v[173:174], v[173:174], v[183:184]
	v_add_f64_e32 v[171:172], v[171:172], v[181:182]
	s_delay_alu instid0(VALU_DEP_4) | instskip(NEXT) | instid1(VALU_DEP_4)
	v_fma_f64 v[175:176], v[4:5], v[34:35], v[175:176]
	v_fma_f64 v[181:182], v[2:3], v[34:35], -v[36:37]
	ds_load_b128 v[2:5], v1 offset:1648
	s_wait_loadcnt_dscnt 0x801
	v_mul_f64_e32 v[179:180], v[167:168], v[8:9]
	v_mul_f64_e32 v[8:9], v[169:170], v[8:9]
	scratch_load_b128 v[34:37], off, off offset:880
	s_wait_loadcnt_dscnt 0x800
	v_mul_f64_e32 v[183:184], v[2:3], v[12:13]
	v_add_f64_e32 v[165:166], v[173:174], v[165:166]
	v_add_f64_e32 v[177:178], v[171:172], v[177:178]
	v_mul_f64_e32 v[12:13], v[4:5], v[12:13]
	ds_load_b128 v[171:174], v1 offset:1664
	v_fma_f64 v[169:170], v[169:170], v[6:7], v[179:180]
	v_fma_f64 v[167:168], v[167:168], v[6:7], -v[8:9]
	scratch_load_b128 v[6:9], off, off offset:896
	v_fma_f64 v[179:180], v[4:5], v[10:11], v[183:184]
	v_add_f64_e32 v[165:166], v[165:166], v[181:182]
	v_add_f64_e32 v[175:176], v[177:178], v[175:176]
	v_fma_f64 v[181:182], v[2:3], v[10:11], -v[12:13]
	ds_load_b128 v[2:5], v1 offset:1680
	s_wait_loadcnt_dscnt 0x801
	v_mul_f64_e32 v[177:178], v[171:172], v[16:17]
	v_mul_f64_e32 v[16:17], v[173:174], v[16:17]
	scratch_load_b128 v[10:13], off, off offset:912
	v_add_f64_e32 v[183:184], v[165:166], v[167:168]
	v_add_f64_e32 v[169:170], v[175:176], v[169:170]
	s_wait_loadcnt_dscnt 0x800
	v_mul_f64_e32 v[175:176], v[2:3], v[20:21]
	v_mul_f64_e32 v[20:21], v[4:5], v[20:21]
	v_fma_f64 v[173:174], v[173:174], v[14:15], v[177:178]
	v_fma_f64 v[14:15], v[171:172], v[14:15], -v[16:17]
	ds_load_b128 v[165:168], v1 offset:1696
	s_wait_loadcnt_dscnt 0x700
	v_mul_f64_e32 v[171:172], v[165:166], v[24:25]
	v_mul_f64_e32 v[24:25], v[167:168], v[24:25]
	v_add_f64_e32 v[16:17], v[183:184], v[181:182]
	v_add_f64_e32 v[169:170], v[169:170], v[179:180]
	v_fma_f64 v[175:176], v[4:5], v[18:19], v[175:176]
	v_fma_f64 v[18:19], v[2:3], v[18:19], -v[20:21]
	v_fma_f64 v[167:168], v[167:168], v[22:23], v[171:172]
	v_fma_f64 v[22:23], v[165:166], v[22:23], -v[24:25]
	v_add_f64_e32 v[20:21], v[16:17], v[14:15]
	v_add_f64_e32 v[169:170], v[169:170], v[173:174]
	ds_load_b128 v[2:5], v1 offset:1712
	ds_load_b128 v[14:17], v1 offset:1728
	s_wait_loadcnt_dscnt 0x601
	v_mul_f64_e32 v[173:174], v[2:3], v[28:29]
	v_mul_f64_e32 v[28:29], v[4:5], v[28:29]
	s_wait_loadcnt_dscnt 0x500
	v_mul_f64_e32 v[24:25], v[14:15], v[32:33]
	v_mul_f64_e32 v[32:33], v[16:17], v[32:33]
	v_add_f64_e32 v[18:19], v[20:21], v[18:19]
	v_add_f64_e32 v[20:21], v[169:170], v[175:176]
	v_fma_f64 v[165:166], v[4:5], v[26:27], v[173:174]
	v_fma_f64 v[26:27], v[2:3], v[26:27], -v[28:29]
	v_fma_f64 v[16:17], v[16:17], v[30:31], v[24:25]
	v_fma_f64 v[14:15], v[14:15], v[30:31], -v[32:33]
	v_add_f64_e32 v[22:23], v[18:19], v[22:23]
	v_add_f64_e32 v[28:29], v[20:21], v[167:168]
	ds_load_b128 v[2:5], v1 offset:1744
	ds_load_b128 v[18:21], v1 offset:1760
	s_wait_loadcnt_dscnt 0x401
	v_mul_f64_e32 v[167:168], v[2:3], v[40:41]
	v_mul_f64_e32 v[40:41], v[4:5], v[40:41]
	v_add_f64_e32 v[22:23], v[22:23], v[26:27]
	v_add_f64_e32 v[24:25], v[28:29], v[165:166]
	s_wait_loadcnt_dscnt 0x300
	v_mul_f64_e32 v[26:27], v[18:19], v[163:164]
	v_mul_f64_e32 v[28:29], v[20:21], v[163:164]
	v_fma_f64 v[30:31], v[4:5], v[38:39], v[167:168]
	v_fma_f64 v[32:33], v[2:3], v[38:39], -v[40:41]
	v_add_f64_e32 v[22:23], v[22:23], v[14:15]
	v_add_f64_e32 v[24:25], v[24:25], v[16:17]
	ds_load_b128 v[2:5], v1 offset:1776
	ds_load_b128 v[14:17], v1 offset:1792
	v_fma_f64 v[20:21], v[20:21], v[161:162], v[26:27]
	v_fma_f64 v[18:19], v[18:19], v[161:162], -v[28:29]
	s_wait_loadcnt_dscnt 0x201
	v_mul_f64_e32 v[38:39], v[2:3], v[36:37]
	v_mul_f64_e32 v[36:37], v[4:5], v[36:37]
	s_wait_loadcnt_dscnt 0x100
	v_mul_f64_e32 v[26:27], v[14:15], v[8:9]
	v_mul_f64_e32 v[8:9], v[16:17], v[8:9]
	v_add_f64_e32 v[22:23], v[22:23], v[32:33]
	v_add_f64_e32 v[24:25], v[24:25], v[30:31]
	v_fma_f64 v[28:29], v[4:5], v[34:35], v[38:39]
	v_fma_f64 v[30:31], v[2:3], v[34:35], -v[36:37]
	ds_load_b128 v[2:5], v1 offset:1808
	v_fma_f64 v[16:17], v[16:17], v[6:7], v[26:27]
	v_fma_f64 v[6:7], v[14:15], v[6:7], -v[8:9]
	v_add_f64_e32 v[18:19], v[22:23], v[18:19]
	v_add_f64_e32 v[20:21], v[24:25], v[20:21]
	s_wait_loadcnt_dscnt 0x0
	v_mul_f64_e32 v[22:23], v[2:3], v[12:13]
	v_mul_f64_e32 v[12:13], v[4:5], v[12:13]
	s_delay_alu instid0(VALU_DEP_4) | instskip(NEXT) | instid1(VALU_DEP_4)
	v_add_f64_e32 v[8:9], v[18:19], v[30:31]
	v_add_f64_e32 v[14:15], v[20:21], v[28:29]
	s_delay_alu instid0(VALU_DEP_4) | instskip(NEXT) | instid1(VALU_DEP_4)
	v_fma_f64 v[4:5], v[4:5], v[10:11], v[22:23]
	v_fma_f64 v[2:3], v[2:3], v[10:11], -v[12:13]
	s_delay_alu instid0(VALU_DEP_4) | instskip(NEXT) | instid1(VALU_DEP_4)
	v_add_f64_e32 v[6:7], v[8:9], v[6:7]
	v_add_f64_e32 v[8:9], v[14:15], v[16:17]
	s_delay_alu instid0(VALU_DEP_2) | instskip(NEXT) | instid1(VALU_DEP_2)
	v_add_f64_e32 v[2:3], v[6:7], v[2:3]
	v_add_f64_e32 v[4:5], v[8:9], v[4:5]
	s_delay_alu instid0(VALU_DEP_2) | instskip(NEXT) | instid1(VALU_DEP_2)
	v_add_f64_e64 v[2:3], v[42:43], -v[2:3]
	v_add_f64_e64 v[4:5], v[44:45], -v[4:5]
	scratch_store_b128 off, v[2:5], off offset:544
	v_cmpx_lt_u32_e32 32, v0
	s_cbranch_execz .LBB120_291
; %bb.290:
	scratch_load_b128 v[5:8], off, s38
	v_dual_mov_b32 v2, v1 :: v_dual_mov_b32 v3, v1
	v_mov_b32_e32 v4, v1
	scratch_store_b128 off, v[1:4], off offset:528
	s_wait_loadcnt 0x0
	ds_store_b128 v160, v[5:8]
.LBB120_291:
	s_wait_alu 0xfffe
	s_or_b32 exec_lo, exec_lo, s0
	s_wait_storecnt_dscnt 0x0
	s_barrier_signal -1
	s_barrier_wait -1
	global_inv scope:SCOPE_SE
	s_clause 0x8
	scratch_load_b128 v[2:5], off, off offset:544
	scratch_load_b128 v[6:9], off, off offset:560
	;; [unrolled: 1-line block ×9, first 2 shown]
	ds_load_b128 v[38:41], v1 offset:1440
	ds_load_b128 v[42:45], v1 offset:1456
	s_clause 0x1
	scratch_load_b128 v[161:164], off, off offset:528
	scratch_load_b128 v[165:168], off, off offset:688
	s_mov_b32 s0, exec_lo
	s_wait_loadcnt_dscnt 0xa01
	v_mul_f64_e32 v[169:170], v[40:41], v[4:5]
	v_mul_f64_e32 v[4:5], v[38:39], v[4:5]
	s_wait_loadcnt_dscnt 0x900
	v_mul_f64_e32 v[173:174], v[42:43], v[8:9]
	v_mul_f64_e32 v[8:9], v[44:45], v[8:9]
	s_delay_alu instid0(VALU_DEP_4) | instskip(NEXT) | instid1(VALU_DEP_4)
	v_fma_f64 v[175:176], v[38:39], v[2:3], -v[169:170]
	v_fma_f64 v[177:178], v[40:41], v[2:3], v[4:5]
	ds_load_b128 v[2:5], v1 offset:1472
	ds_load_b128 v[169:172], v1 offset:1488
	scratch_load_b128 v[38:41], off, off offset:704
	v_fma_f64 v[44:45], v[44:45], v[6:7], v[173:174]
	v_fma_f64 v[42:43], v[42:43], v[6:7], -v[8:9]
	scratch_load_b128 v[6:9], off, off offset:720
	s_wait_loadcnt_dscnt 0xa01
	v_mul_f64_e32 v[179:180], v[2:3], v[12:13]
	v_mul_f64_e32 v[12:13], v[4:5], v[12:13]
	v_add_f64_e32 v[173:174], 0, v[175:176]
	v_add_f64_e32 v[175:176], 0, v[177:178]
	s_wait_loadcnt_dscnt 0x900
	v_mul_f64_e32 v[177:178], v[169:170], v[16:17]
	v_mul_f64_e32 v[16:17], v[171:172], v[16:17]
	v_fma_f64 v[179:180], v[4:5], v[10:11], v[179:180]
	v_fma_f64 v[181:182], v[2:3], v[10:11], -v[12:13]
	ds_load_b128 v[2:5], v1 offset:1504
	scratch_load_b128 v[10:13], off, off offset:736
	v_add_f64_e32 v[173:174], v[173:174], v[42:43]
	v_add_f64_e32 v[175:176], v[175:176], v[44:45]
	ds_load_b128 v[42:45], v1 offset:1520
	v_fma_f64 v[171:172], v[171:172], v[14:15], v[177:178]
	v_fma_f64 v[169:170], v[169:170], v[14:15], -v[16:17]
	scratch_load_b128 v[14:17], off, off offset:752
	s_wait_loadcnt_dscnt 0xa01
	v_mul_f64_e32 v[183:184], v[2:3], v[20:21]
	v_mul_f64_e32 v[20:21], v[4:5], v[20:21]
	s_wait_loadcnt_dscnt 0x900
	v_mul_f64_e32 v[177:178], v[42:43], v[24:25]
	v_mul_f64_e32 v[24:25], v[44:45], v[24:25]
	v_add_f64_e32 v[173:174], v[173:174], v[181:182]
	v_add_f64_e32 v[175:176], v[175:176], v[179:180]
	v_fma_f64 v[179:180], v[4:5], v[18:19], v[183:184]
	v_fma_f64 v[181:182], v[2:3], v[18:19], -v[20:21]
	ds_load_b128 v[2:5], v1 offset:1536
	scratch_load_b128 v[18:21], off, off offset:768
	v_fma_f64 v[44:45], v[44:45], v[22:23], v[177:178]
	v_fma_f64 v[42:43], v[42:43], v[22:23], -v[24:25]
	scratch_load_b128 v[22:25], off, off offset:784
	v_add_f64_e32 v[173:174], v[173:174], v[169:170]
	v_add_f64_e32 v[175:176], v[175:176], v[171:172]
	ds_load_b128 v[169:172], v1 offset:1552
	s_wait_loadcnt_dscnt 0xa01
	v_mul_f64_e32 v[183:184], v[2:3], v[28:29]
	v_mul_f64_e32 v[28:29], v[4:5], v[28:29]
	s_wait_loadcnt_dscnt 0x900
	v_mul_f64_e32 v[177:178], v[169:170], v[32:33]
	v_mul_f64_e32 v[32:33], v[171:172], v[32:33]
	v_add_f64_e32 v[173:174], v[173:174], v[181:182]
	v_add_f64_e32 v[175:176], v[175:176], v[179:180]
	v_fma_f64 v[179:180], v[4:5], v[26:27], v[183:184]
	v_fma_f64 v[181:182], v[2:3], v[26:27], -v[28:29]
	ds_load_b128 v[2:5], v1 offset:1568
	scratch_load_b128 v[26:29], off, off offset:800
	v_fma_f64 v[171:172], v[171:172], v[30:31], v[177:178]
	v_fma_f64 v[169:170], v[169:170], v[30:31], -v[32:33]
	scratch_load_b128 v[30:33], off, off offset:816
	v_add_f64_e32 v[173:174], v[173:174], v[42:43]
	v_add_f64_e32 v[175:176], v[175:176], v[44:45]
	ds_load_b128 v[42:45], v1 offset:1584
	s_wait_loadcnt_dscnt 0xa01
	v_mul_f64_e32 v[183:184], v[2:3], v[36:37]
	v_mul_f64_e32 v[36:37], v[4:5], v[36:37]
	s_wait_loadcnt_dscnt 0x800
	v_mul_f64_e32 v[177:178], v[42:43], v[167:168]
	v_add_f64_e32 v[173:174], v[173:174], v[181:182]
	v_add_f64_e32 v[175:176], v[175:176], v[179:180]
	v_mul_f64_e32 v[179:180], v[44:45], v[167:168]
	v_fma_f64 v[181:182], v[4:5], v[34:35], v[183:184]
	v_fma_f64 v[183:184], v[2:3], v[34:35], -v[36:37]
	ds_load_b128 v[2:5], v1 offset:1600
	scratch_load_b128 v[34:37], off, off offset:832
	v_fma_f64 v[44:45], v[44:45], v[165:166], v[177:178]
	v_add_f64_e32 v[173:174], v[173:174], v[169:170]
	v_add_f64_e32 v[171:172], v[175:176], v[171:172]
	ds_load_b128 v[167:170], v1 offset:1616
	v_fma_f64 v[165:166], v[42:43], v[165:166], -v[179:180]
	s_wait_loadcnt_dscnt 0x801
	v_mul_f64_e32 v[175:176], v[2:3], v[40:41]
	v_mul_f64_e32 v[185:186], v[4:5], v[40:41]
	scratch_load_b128 v[40:43], off, off offset:848
	s_wait_loadcnt_dscnt 0x800
	v_mul_f64_e32 v[179:180], v[167:168], v[8:9]
	v_mul_f64_e32 v[8:9], v[169:170], v[8:9]
	v_add_f64_e32 v[173:174], v[173:174], v[183:184]
	v_add_f64_e32 v[171:172], v[171:172], v[181:182]
	v_fma_f64 v[181:182], v[4:5], v[38:39], v[175:176]
	v_fma_f64 v[38:39], v[2:3], v[38:39], -v[185:186]
	ds_load_b128 v[2:5], v1 offset:1632
	ds_load_b128 v[175:178], v1 offset:1648
	v_fma_f64 v[169:170], v[169:170], v[6:7], v[179:180]
	v_fma_f64 v[167:168], v[167:168], v[6:7], -v[8:9]
	scratch_load_b128 v[6:9], off, off offset:880
	v_add_f64_e32 v[165:166], v[173:174], v[165:166]
	v_add_f64_e32 v[44:45], v[171:172], v[44:45]
	scratch_load_b128 v[171:174], off, off offset:864
	s_wait_loadcnt_dscnt 0x901
	v_mul_f64_e32 v[183:184], v[2:3], v[12:13]
	v_mul_f64_e32 v[12:13], v[4:5], v[12:13]
	s_wait_loadcnt_dscnt 0x800
	v_mul_f64_e32 v[179:180], v[175:176], v[16:17]
	v_mul_f64_e32 v[16:17], v[177:178], v[16:17]
	v_add_f64_e32 v[38:39], v[165:166], v[38:39]
	v_add_f64_e32 v[44:45], v[44:45], v[181:182]
	v_fma_f64 v[181:182], v[4:5], v[10:11], v[183:184]
	v_fma_f64 v[183:184], v[2:3], v[10:11], -v[12:13]
	ds_load_b128 v[2:5], v1 offset:1664
	scratch_load_b128 v[10:13], off, off offset:896
	v_fma_f64 v[177:178], v[177:178], v[14:15], v[179:180]
	v_fma_f64 v[175:176], v[175:176], v[14:15], -v[16:17]
	scratch_load_b128 v[14:17], off, off offset:912
	v_add_f64_e32 v[38:39], v[38:39], v[167:168]
	v_add_f64_e32 v[44:45], v[44:45], v[169:170]
	ds_load_b128 v[165:168], v1 offset:1680
	s_wait_loadcnt_dscnt 0x901
	v_mul_f64_e32 v[169:170], v[2:3], v[20:21]
	v_mul_f64_e32 v[20:21], v[4:5], v[20:21]
	s_wait_loadcnt_dscnt 0x800
	v_mul_f64_e32 v[179:180], v[165:166], v[24:25]
	v_mul_f64_e32 v[24:25], v[167:168], v[24:25]
	v_add_f64_e32 v[38:39], v[38:39], v[183:184]
	v_add_f64_e32 v[44:45], v[44:45], v[181:182]
	v_fma_f64 v[169:170], v[4:5], v[18:19], v[169:170]
	v_fma_f64 v[181:182], v[2:3], v[18:19], -v[20:21]
	ds_load_b128 v[2:5], v1 offset:1696
	ds_load_b128 v[18:21], v1 offset:1712
	v_fma_f64 v[167:168], v[167:168], v[22:23], v[179:180]
	v_fma_f64 v[22:23], v[165:166], v[22:23], -v[24:25]
	v_add_f64_e32 v[38:39], v[38:39], v[175:176]
	v_add_f64_e32 v[44:45], v[44:45], v[177:178]
	s_wait_loadcnt_dscnt 0x701
	v_mul_f64_e32 v[175:176], v[2:3], v[28:29]
	v_mul_f64_e32 v[28:29], v[4:5], v[28:29]
	s_delay_alu instid0(VALU_DEP_4) | instskip(NEXT) | instid1(VALU_DEP_4)
	v_add_f64_e32 v[24:25], v[38:39], v[181:182]
	v_add_f64_e32 v[38:39], v[44:45], v[169:170]
	s_wait_loadcnt_dscnt 0x600
	v_mul_f64_e32 v[44:45], v[18:19], v[32:33]
	v_mul_f64_e32 v[32:33], v[20:21], v[32:33]
	v_fma_f64 v[165:166], v[4:5], v[26:27], v[175:176]
	v_fma_f64 v[26:27], v[2:3], v[26:27], -v[28:29]
	v_add_f64_e32 v[28:29], v[24:25], v[22:23]
	v_add_f64_e32 v[38:39], v[38:39], v[167:168]
	ds_load_b128 v[2:5], v1 offset:1728
	ds_load_b128 v[22:25], v1 offset:1744
	v_fma_f64 v[20:21], v[20:21], v[30:31], v[44:45]
	v_fma_f64 v[18:19], v[18:19], v[30:31], -v[32:33]
	s_wait_loadcnt_dscnt 0x501
	v_mul_f64_e32 v[167:168], v[2:3], v[36:37]
	v_mul_f64_e32 v[36:37], v[4:5], v[36:37]
	s_wait_loadcnt_dscnt 0x400
	v_mul_f64_e32 v[30:31], v[22:23], v[42:43]
	v_add_f64_e32 v[26:27], v[28:29], v[26:27]
	v_add_f64_e32 v[28:29], v[38:39], v[165:166]
	v_mul_f64_e32 v[32:33], v[24:25], v[42:43]
	v_fma_f64 v[38:39], v[4:5], v[34:35], v[167:168]
	v_fma_f64 v[34:35], v[2:3], v[34:35], -v[36:37]
	v_fma_f64 v[24:25], v[24:25], v[40:41], v[30:31]
	v_add_f64_e32 v[26:27], v[26:27], v[18:19]
	v_add_f64_e32 v[28:29], v[28:29], v[20:21]
	ds_load_b128 v[2:5], v1 offset:1760
	ds_load_b128 v[18:21], v1 offset:1776
	v_fma_f64 v[22:23], v[22:23], v[40:41], -v[32:33]
	s_wait_loadcnt_dscnt 0x201
	v_mul_f64_e32 v[36:37], v[2:3], v[173:174]
	v_mul_f64_e32 v[42:43], v[4:5], v[173:174]
	s_wait_dscnt 0x0
	v_mul_f64_e32 v[30:31], v[18:19], v[8:9]
	v_mul_f64_e32 v[8:9], v[20:21], v[8:9]
	v_add_f64_e32 v[26:27], v[26:27], v[34:35]
	v_add_f64_e32 v[28:29], v[28:29], v[38:39]
	v_fma_f64 v[32:33], v[4:5], v[171:172], v[36:37]
	v_fma_f64 v[34:35], v[2:3], v[171:172], -v[42:43]
	v_fma_f64 v[20:21], v[20:21], v[6:7], v[30:31]
	v_fma_f64 v[6:7], v[18:19], v[6:7], -v[8:9]
	v_add_f64_e32 v[26:27], v[26:27], v[22:23]
	v_add_f64_e32 v[28:29], v[28:29], v[24:25]
	ds_load_b128 v[2:5], v1 offset:1792
	ds_load_b128 v[22:25], v1 offset:1808
	s_wait_loadcnt_dscnt 0x101
	v_mul_f64_e32 v[36:37], v[2:3], v[12:13]
	v_mul_f64_e32 v[12:13], v[4:5], v[12:13]
	v_add_f64_e32 v[8:9], v[26:27], v[34:35]
	v_add_f64_e32 v[18:19], v[28:29], v[32:33]
	s_wait_loadcnt_dscnt 0x0
	v_mul_f64_e32 v[26:27], v[22:23], v[16:17]
	v_mul_f64_e32 v[16:17], v[24:25], v[16:17]
	v_fma_f64 v[4:5], v[4:5], v[10:11], v[36:37]
	v_fma_f64 v[1:2], v[2:3], v[10:11], -v[12:13]
	v_add_f64_e32 v[6:7], v[8:9], v[6:7]
	v_add_f64_e32 v[8:9], v[18:19], v[20:21]
	v_fma_f64 v[10:11], v[24:25], v[14:15], v[26:27]
	v_fma_f64 v[12:13], v[22:23], v[14:15], -v[16:17]
	s_delay_alu instid0(VALU_DEP_4) | instskip(NEXT) | instid1(VALU_DEP_4)
	v_add_f64_e32 v[1:2], v[6:7], v[1:2]
	v_add_f64_e32 v[3:4], v[8:9], v[4:5]
	s_delay_alu instid0(VALU_DEP_2) | instskip(NEXT) | instid1(VALU_DEP_2)
	v_add_f64_e32 v[1:2], v[1:2], v[12:13]
	v_add_f64_e32 v[3:4], v[3:4], v[10:11]
	s_delay_alu instid0(VALU_DEP_2) | instskip(NEXT) | instid1(VALU_DEP_2)
	v_add_f64_e64 v[1:2], v[161:162], -v[1:2]
	v_add_f64_e64 v[3:4], v[163:164], -v[3:4]
	scratch_store_b128 off, v[1:4], off offset:528
	v_cmpx_lt_u32_e32 31, v0
	s_cbranch_execz .LBB120_293
; %bb.292:
	scratch_load_b128 v[1:4], off, s39
	v_mov_b32_e32 v5, 0
	s_delay_alu instid0(VALU_DEP_1)
	v_dual_mov_b32 v6, v5 :: v_dual_mov_b32 v7, v5
	v_mov_b32_e32 v8, v5
	scratch_store_b128 off, v[5:8], off offset:512
	s_wait_loadcnt 0x0
	ds_store_b128 v160, v[1:4]
.LBB120_293:
	s_wait_alu 0xfffe
	s_or_b32 exec_lo, exec_lo, s0
	s_wait_storecnt_dscnt 0x0
	s_barrier_signal -1
	s_barrier_wait -1
	global_inv scope:SCOPE_SE
	s_clause 0x7
	scratch_load_b128 v[2:5], off, off offset:528
	scratch_load_b128 v[6:9], off, off offset:544
	;; [unrolled: 1-line block ×8, first 2 shown]
	v_mov_b32_e32 v1, 0
	s_mov_b32 s0, exec_lo
	ds_load_b128 v[34:37], v1 offset:1424
	s_clause 0x1
	scratch_load_b128 v[38:41], off, off offset:656
	scratch_load_b128 v[42:45], off, off offset:512
	ds_load_b128 v[161:164], v1 offset:1440
	scratch_load_b128 v[165:168], off, off offset:672
	s_wait_loadcnt_dscnt 0xa01
	v_mul_f64_e32 v[169:170], v[36:37], v[4:5]
	v_mul_f64_e32 v[4:5], v[34:35], v[4:5]
	s_delay_alu instid0(VALU_DEP_2) | instskip(NEXT) | instid1(VALU_DEP_2)
	v_fma_f64 v[175:176], v[34:35], v[2:3], -v[169:170]
	v_fma_f64 v[177:178], v[36:37], v[2:3], v[4:5]
	ds_load_b128 v[2:5], v1 offset:1456
	s_wait_loadcnt_dscnt 0x901
	v_mul_f64_e32 v[173:174], v[161:162], v[8:9]
	v_mul_f64_e32 v[8:9], v[163:164], v[8:9]
	scratch_load_b128 v[34:37], off, off offset:688
	ds_load_b128 v[169:172], v1 offset:1472
	s_wait_loadcnt_dscnt 0x901
	v_mul_f64_e32 v[179:180], v[2:3], v[12:13]
	v_mul_f64_e32 v[12:13], v[4:5], v[12:13]
	v_fma_f64 v[163:164], v[163:164], v[6:7], v[173:174]
	v_fma_f64 v[161:162], v[161:162], v[6:7], -v[8:9]
	v_add_f64_e32 v[173:174], 0, v[175:176]
	v_add_f64_e32 v[175:176], 0, v[177:178]
	scratch_load_b128 v[6:9], off, off offset:704
	v_fma_f64 v[179:180], v[4:5], v[10:11], v[179:180]
	v_fma_f64 v[181:182], v[2:3], v[10:11], -v[12:13]
	ds_load_b128 v[2:5], v1 offset:1488
	s_wait_loadcnt_dscnt 0x901
	v_mul_f64_e32 v[177:178], v[169:170], v[16:17]
	v_mul_f64_e32 v[16:17], v[171:172], v[16:17]
	scratch_load_b128 v[10:13], off, off offset:720
	v_add_f64_e32 v[173:174], v[173:174], v[161:162]
	v_add_f64_e32 v[175:176], v[175:176], v[163:164]
	s_wait_loadcnt_dscnt 0x900
	v_mul_f64_e32 v[183:184], v[2:3], v[20:21]
	v_mul_f64_e32 v[20:21], v[4:5], v[20:21]
	ds_load_b128 v[161:164], v1 offset:1504
	v_fma_f64 v[171:172], v[171:172], v[14:15], v[177:178]
	v_fma_f64 v[169:170], v[169:170], v[14:15], -v[16:17]
	scratch_load_b128 v[14:17], off, off offset:736
	v_add_f64_e32 v[173:174], v[173:174], v[181:182]
	v_add_f64_e32 v[175:176], v[175:176], v[179:180]
	v_fma_f64 v[179:180], v[4:5], v[18:19], v[183:184]
	v_fma_f64 v[181:182], v[2:3], v[18:19], -v[20:21]
	ds_load_b128 v[2:5], v1 offset:1520
	s_wait_loadcnt_dscnt 0x901
	v_mul_f64_e32 v[177:178], v[161:162], v[24:25]
	v_mul_f64_e32 v[24:25], v[163:164], v[24:25]
	scratch_load_b128 v[18:21], off, off offset:752
	s_wait_loadcnt_dscnt 0x900
	v_mul_f64_e32 v[183:184], v[2:3], v[28:29]
	v_mul_f64_e32 v[28:29], v[4:5], v[28:29]
	v_add_f64_e32 v[173:174], v[173:174], v[169:170]
	v_add_f64_e32 v[175:176], v[175:176], v[171:172]
	ds_load_b128 v[169:172], v1 offset:1536
	v_fma_f64 v[163:164], v[163:164], v[22:23], v[177:178]
	v_fma_f64 v[161:162], v[161:162], v[22:23], -v[24:25]
	scratch_load_b128 v[22:25], off, off offset:768
	v_add_f64_e32 v[173:174], v[173:174], v[181:182]
	v_add_f64_e32 v[175:176], v[175:176], v[179:180]
	v_fma_f64 v[179:180], v[4:5], v[26:27], v[183:184]
	v_fma_f64 v[181:182], v[2:3], v[26:27], -v[28:29]
	ds_load_b128 v[2:5], v1 offset:1552
	s_wait_loadcnt_dscnt 0x901
	v_mul_f64_e32 v[177:178], v[169:170], v[32:33]
	v_mul_f64_e32 v[32:33], v[171:172], v[32:33]
	scratch_load_b128 v[26:29], off, off offset:784
	s_wait_loadcnt_dscnt 0x900
	v_mul_f64_e32 v[183:184], v[2:3], v[40:41]
	v_mul_f64_e32 v[40:41], v[4:5], v[40:41]
	v_add_f64_e32 v[173:174], v[173:174], v[161:162]
	v_add_f64_e32 v[175:176], v[175:176], v[163:164]
	ds_load_b128 v[161:164], v1 offset:1568
	v_fma_f64 v[171:172], v[171:172], v[30:31], v[177:178]
	v_fma_f64 v[169:170], v[169:170], v[30:31], -v[32:33]
	scratch_load_b128 v[30:33], off, off offset:800
	v_add_f64_e32 v[173:174], v[173:174], v[181:182]
	v_add_f64_e32 v[175:176], v[175:176], v[179:180]
	v_fma_f64 v[181:182], v[4:5], v[38:39], v[183:184]
	v_fma_f64 v[183:184], v[2:3], v[38:39], -v[40:41]
	ds_load_b128 v[2:5], v1 offset:1584
	s_wait_loadcnt_dscnt 0x801
	v_mul_f64_e32 v[177:178], v[161:162], v[167:168]
	v_mul_f64_e32 v[179:180], v[163:164], v[167:168]
	scratch_load_b128 v[38:41], off, off offset:816
	v_add_f64_e32 v[173:174], v[173:174], v[169:170]
	v_add_f64_e32 v[171:172], v[175:176], v[171:172]
	ds_load_b128 v[167:170], v1 offset:1600
	v_fma_f64 v[177:178], v[163:164], v[165:166], v[177:178]
	v_fma_f64 v[165:166], v[161:162], v[165:166], -v[179:180]
	scratch_load_b128 v[161:164], off, off offset:832
	s_wait_loadcnt_dscnt 0x901
	v_mul_f64_e32 v[175:176], v[2:3], v[36:37]
	v_mul_f64_e32 v[36:37], v[4:5], v[36:37]
	v_add_f64_e32 v[173:174], v[173:174], v[183:184]
	v_add_f64_e32 v[171:172], v[171:172], v[181:182]
	s_delay_alu instid0(VALU_DEP_4) | instskip(NEXT) | instid1(VALU_DEP_4)
	v_fma_f64 v[175:176], v[4:5], v[34:35], v[175:176]
	v_fma_f64 v[181:182], v[2:3], v[34:35], -v[36:37]
	ds_load_b128 v[2:5], v1 offset:1616
	s_wait_loadcnt_dscnt 0x801
	v_mul_f64_e32 v[179:180], v[167:168], v[8:9]
	v_mul_f64_e32 v[8:9], v[169:170], v[8:9]
	scratch_load_b128 v[34:37], off, off offset:848
	s_wait_loadcnt_dscnt 0x800
	v_mul_f64_e32 v[183:184], v[2:3], v[12:13]
	v_add_f64_e32 v[165:166], v[173:174], v[165:166]
	v_add_f64_e32 v[177:178], v[171:172], v[177:178]
	v_mul_f64_e32 v[12:13], v[4:5], v[12:13]
	ds_load_b128 v[171:174], v1 offset:1632
	v_fma_f64 v[169:170], v[169:170], v[6:7], v[179:180]
	v_fma_f64 v[167:168], v[167:168], v[6:7], -v[8:9]
	scratch_load_b128 v[6:9], off, off offset:864
	v_fma_f64 v[179:180], v[4:5], v[10:11], v[183:184]
	v_add_f64_e32 v[165:166], v[165:166], v[181:182]
	v_add_f64_e32 v[175:176], v[177:178], v[175:176]
	v_fma_f64 v[181:182], v[2:3], v[10:11], -v[12:13]
	ds_load_b128 v[2:5], v1 offset:1648
	s_wait_loadcnt_dscnt 0x801
	v_mul_f64_e32 v[177:178], v[171:172], v[16:17]
	v_mul_f64_e32 v[16:17], v[173:174], v[16:17]
	scratch_load_b128 v[10:13], off, off offset:880
	v_add_f64_e32 v[183:184], v[165:166], v[167:168]
	v_add_f64_e32 v[169:170], v[175:176], v[169:170]
	s_wait_loadcnt_dscnt 0x800
	v_mul_f64_e32 v[175:176], v[2:3], v[20:21]
	v_mul_f64_e32 v[20:21], v[4:5], v[20:21]
	v_fma_f64 v[173:174], v[173:174], v[14:15], v[177:178]
	v_fma_f64 v[171:172], v[171:172], v[14:15], -v[16:17]
	ds_load_b128 v[165:168], v1 offset:1664
	scratch_load_b128 v[14:17], off, off offset:896
	v_add_f64_e32 v[177:178], v[183:184], v[181:182]
	v_add_f64_e32 v[169:170], v[169:170], v[179:180]
	v_fma_f64 v[175:176], v[4:5], v[18:19], v[175:176]
	v_fma_f64 v[181:182], v[2:3], v[18:19], -v[20:21]
	ds_load_b128 v[2:5], v1 offset:1680
	s_wait_loadcnt_dscnt 0x801
	v_mul_f64_e32 v[179:180], v[165:166], v[24:25]
	v_mul_f64_e32 v[24:25], v[167:168], v[24:25]
	scratch_load_b128 v[18:21], off, off offset:912
	s_wait_loadcnt_dscnt 0x800
	v_mul_f64_e32 v[183:184], v[2:3], v[28:29]
	v_mul_f64_e32 v[28:29], v[4:5], v[28:29]
	v_add_f64_e32 v[177:178], v[177:178], v[171:172]
	v_add_f64_e32 v[173:174], v[169:170], v[173:174]
	ds_load_b128 v[169:172], v1 offset:1696
	v_fma_f64 v[167:168], v[167:168], v[22:23], v[179:180]
	v_fma_f64 v[22:23], v[165:166], v[22:23], -v[24:25]
	v_add_f64_e32 v[24:25], v[177:178], v[181:182]
	v_add_f64_e32 v[165:166], v[173:174], v[175:176]
	s_wait_loadcnt_dscnt 0x700
	v_mul_f64_e32 v[173:174], v[169:170], v[32:33]
	v_mul_f64_e32 v[32:33], v[171:172], v[32:33]
	v_fma_f64 v[175:176], v[4:5], v[26:27], v[183:184]
	v_fma_f64 v[26:27], v[2:3], v[26:27], -v[28:29]
	v_add_f64_e32 v[28:29], v[24:25], v[22:23]
	v_add_f64_e32 v[165:166], v[165:166], v[167:168]
	ds_load_b128 v[2:5], v1 offset:1712
	ds_load_b128 v[22:25], v1 offset:1728
	v_fma_f64 v[171:172], v[171:172], v[30:31], v[173:174]
	v_fma_f64 v[30:31], v[169:170], v[30:31], -v[32:33]
	s_wait_loadcnt_dscnt 0x601
	v_mul_f64_e32 v[167:168], v[2:3], v[40:41]
	v_mul_f64_e32 v[40:41], v[4:5], v[40:41]
	s_wait_loadcnt_dscnt 0x500
	v_mul_f64_e32 v[32:33], v[22:23], v[163:164]
	v_mul_f64_e32 v[163:164], v[24:25], v[163:164]
	v_add_f64_e32 v[26:27], v[28:29], v[26:27]
	v_add_f64_e32 v[28:29], v[165:166], v[175:176]
	v_fma_f64 v[165:166], v[4:5], v[38:39], v[167:168]
	v_fma_f64 v[38:39], v[2:3], v[38:39], -v[40:41]
	v_fma_f64 v[24:25], v[24:25], v[161:162], v[32:33]
	v_fma_f64 v[22:23], v[22:23], v[161:162], -v[163:164]
	v_add_f64_e32 v[30:31], v[26:27], v[30:31]
	v_add_f64_e32 v[40:41], v[28:29], v[171:172]
	ds_load_b128 v[2:5], v1 offset:1744
	ds_load_b128 v[26:29], v1 offset:1760
	s_wait_loadcnt_dscnt 0x401
	v_mul_f64_e32 v[167:168], v[2:3], v[36:37]
	v_mul_f64_e32 v[36:37], v[4:5], v[36:37]
	v_add_f64_e32 v[30:31], v[30:31], v[38:39]
	v_add_f64_e32 v[32:33], v[40:41], v[165:166]
	s_wait_loadcnt_dscnt 0x300
	v_mul_f64_e32 v[38:39], v[26:27], v[8:9]
	v_mul_f64_e32 v[8:9], v[28:29], v[8:9]
	v_fma_f64 v[40:41], v[4:5], v[34:35], v[167:168]
	v_fma_f64 v[34:35], v[2:3], v[34:35], -v[36:37]
	v_add_f64_e32 v[30:31], v[30:31], v[22:23]
	v_add_f64_e32 v[32:33], v[32:33], v[24:25]
	ds_load_b128 v[2:5], v1 offset:1776
	ds_load_b128 v[22:25], v1 offset:1792
	v_fma_f64 v[28:29], v[28:29], v[6:7], v[38:39]
	v_fma_f64 v[6:7], v[26:27], v[6:7], -v[8:9]
	s_wait_loadcnt_dscnt 0x201
	v_mul_f64_e32 v[36:37], v[2:3], v[12:13]
	v_mul_f64_e32 v[12:13], v[4:5], v[12:13]
	v_add_f64_e32 v[8:9], v[30:31], v[34:35]
	v_add_f64_e32 v[26:27], v[32:33], v[40:41]
	s_wait_loadcnt_dscnt 0x100
	v_mul_f64_e32 v[30:31], v[22:23], v[16:17]
	v_mul_f64_e32 v[16:17], v[24:25], v[16:17]
	v_fma_f64 v[32:33], v[4:5], v[10:11], v[36:37]
	v_fma_f64 v[10:11], v[2:3], v[10:11], -v[12:13]
	ds_load_b128 v[2:5], v1 offset:1808
	v_add_f64_e32 v[6:7], v[8:9], v[6:7]
	v_add_f64_e32 v[8:9], v[26:27], v[28:29]
	v_fma_f64 v[24:25], v[24:25], v[14:15], v[30:31]
	v_fma_f64 v[14:15], v[22:23], v[14:15], -v[16:17]
	s_wait_loadcnt_dscnt 0x0
	v_mul_f64_e32 v[12:13], v[2:3], v[20:21]
	v_mul_f64_e32 v[20:21], v[4:5], v[20:21]
	v_add_f64_e32 v[6:7], v[6:7], v[10:11]
	v_add_f64_e32 v[8:9], v[8:9], v[32:33]
	s_delay_alu instid0(VALU_DEP_4) | instskip(NEXT) | instid1(VALU_DEP_4)
	v_fma_f64 v[4:5], v[4:5], v[18:19], v[12:13]
	v_fma_f64 v[2:3], v[2:3], v[18:19], -v[20:21]
	s_delay_alu instid0(VALU_DEP_4) | instskip(NEXT) | instid1(VALU_DEP_4)
	v_add_f64_e32 v[6:7], v[6:7], v[14:15]
	v_add_f64_e32 v[8:9], v[8:9], v[24:25]
	s_delay_alu instid0(VALU_DEP_2) | instskip(NEXT) | instid1(VALU_DEP_2)
	v_add_f64_e32 v[2:3], v[6:7], v[2:3]
	v_add_f64_e32 v[4:5], v[8:9], v[4:5]
	s_delay_alu instid0(VALU_DEP_2) | instskip(NEXT) | instid1(VALU_DEP_2)
	v_add_f64_e64 v[2:3], v[42:43], -v[2:3]
	v_add_f64_e64 v[4:5], v[44:45], -v[4:5]
	scratch_store_b128 off, v[2:5], off offset:512
	v_cmpx_lt_u32_e32 30, v0
	s_cbranch_execz .LBB120_295
; %bb.294:
	scratch_load_b128 v[5:8], off, s40
	v_dual_mov_b32 v2, v1 :: v_dual_mov_b32 v3, v1
	v_mov_b32_e32 v4, v1
	scratch_store_b128 off, v[1:4], off offset:496
	s_wait_loadcnt 0x0
	ds_store_b128 v160, v[5:8]
.LBB120_295:
	s_wait_alu 0xfffe
	s_or_b32 exec_lo, exec_lo, s0
	s_wait_storecnt_dscnt 0x0
	s_barrier_signal -1
	s_barrier_wait -1
	global_inv scope:SCOPE_SE
	s_clause 0x8
	scratch_load_b128 v[2:5], off, off offset:512
	scratch_load_b128 v[6:9], off, off offset:528
	;; [unrolled: 1-line block ×9, first 2 shown]
	ds_load_b128 v[38:41], v1 offset:1408
	ds_load_b128 v[42:45], v1 offset:1424
	s_clause 0x1
	scratch_load_b128 v[161:164], off, off offset:496
	scratch_load_b128 v[165:168], off, off offset:656
	s_mov_b32 s0, exec_lo
	s_wait_loadcnt_dscnt 0xa01
	v_mul_f64_e32 v[169:170], v[40:41], v[4:5]
	v_mul_f64_e32 v[4:5], v[38:39], v[4:5]
	s_wait_loadcnt_dscnt 0x900
	v_mul_f64_e32 v[173:174], v[42:43], v[8:9]
	v_mul_f64_e32 v[8:9], v[44:45], v[8:9]
	s_delay_alu instid0(VALU_DEP_4) | instskip(NEXT) | instid1(VALU_DEP_4)
	v_fma_f64 v[175:176], v[38:39], v[2:3], -v[169:170]
	v_fma_f64 v[177:178], v[40:41], v[2:3], v[4:5]
	ds_load_b128 v[2:5], v1 offset:1440
	ds_load_b128 v[169:172], v1 offset:1456
	scratch_load_b128 v[38:41], off, off offset:672
	v_fma_f64 v[44:45], v[44:45], v[6:7], v[173:174]
	v_fma_f64 v[42:43], v[42:43], v[6:7], -v[8:9]
	scratch_load_b128 v[6:9], off, off offset:688
	s_wait_loadcnt_dscnt 0xa01
	v_mul_f64_e32 v[179:180], v[2:3], v[12:13]
	v_mul_f64_e32 v[12:13], v[4:5], v[12:13]
	v_add_f64_e32 v[173:174], 0, v[175:176]
	v_add_f64_e32 v[175:176], 0, v[177:178]
	s_wait_loadcnt_dscnt 0x900
	v_mul_f64_e32 v[177:178], v[169:170], v[16:17]
	v_mul_f64_e32 v[16:17], v[171:172], v[16:17]
	v_fma_f64 v[179:180], v[4:5], v[10:11], v[179:180]
	v_fma_f64 v[181:182], v[2:3], v[10:11], -v[12:13]
	ds_load_b128 v[2:5], v1 offset:1472
	scratch_load_b128 v[10:13], off, off offset:704
	v_add_f64_e32 v[173:174], v[173:174], v[42:43]
	v_add_f64_e32 v[175:176], v[175:176], v[44:45]
	ds_load_b128 v[42:45], v1 offset:1488
	v_fma_f64 v[171:172], v[171:172], v[14:15], v[177:178]
	v_fma_f64 v[169:170], v[169:170], v[14:15], -v[16:17]
	scratch_load_b128 v[14:17], off, off offset:720
	s_wait_loadcnt_dscnt 0xa01
	v_mul_f64_e32 v[183:184], v[2:3], v[20:21]
	v_mul_f64_e32 v[20:21], v[4:5], v[20:21]
	s_wait_loadcnt_dscnt 0x900
	v_mul_f64_e32 v[177:178], v[42:43], v[24:25]
	v_mul_f64_e32 v[24:25], v[44:45], v[24:25]
	v_add_f64_e32 v[173:174], v[173:174], v[181:182]
	v_add_f64_e32 v[175:176], v[175:176], v[179:180]
	v_fma_f64 v[179:180], v[4:5], v[18:19], v[183:184]
	v_fma_f64 v[181:182], v[2:3], v[18:19], -v[20:21]
	ds_load_b128 v[2:5], v1 offset:1504
	scratch_load_b128 v[18:21], off, off offset:736
	v_fma_f64 v[44:45], v[44:45], v[22:23], v[177:178]
	v_fma_f64 v[42:43], v[42:43], v[22:23], -v[24:25]
	scratch_load_b128 v[22:25], off, off offset:752
	v_add_f64_e32 v[173:174], v[173:174], v[169:170]
	v_add_f64_e32 v[175:176], v[175:176], v[171:172]
	ds_load_b128 v[169:172], v1 offset:1520
	s_wait_loadcnt_dscnt 0xa01
	v_mul_f64_e32 v[183:184], v[2:3], v[28:29]
	v_mul_f64_e32 v[28:29], v[4:5], v[28:29]
	s_wait_loadcnt_dscnt 0x900
	v_mul_f64_e32 v[177:178], v[169:170], v[32:33]
	v_mul_f64_e32 v[32:33], v[171:172], v[32:33]
	v_add_f64_e32 v[173:174], v[173:174], v[181:182]
	v_add_f64_e32 v[175:176], v[175:176], v[179:180]
	v_fma_f64 v[179:180], v[4:5], v[26:27], v[183:184]
	v_fma_f64 v[181:182], v[2:3], v[26:27], -v[28:29]
	ds_load_b128 v[2:5], v1 offset:1536
	scratch_load_b128 v[26:29], off, off offset:768
	v_fma_f64 v[171:172], v[171:172], v[30:31], v[177:178]
	v_fma_f64 v[169:170], v[169:170], v[30:31], -v[32:33]
	scratch_load_b128 v[30:33], off, off offset:784
	v_add_f64_e32 v[173:174], v[173:174], v[42:43]
	v_add_f64_e32 v[175:176], v[175:176], v[44:45]
	ds_load_b128 v[42:45], v1 offset:1552
	s_wait_loadcnt_dscnt 0xa01
	v_mul_f64_e32 v[183:184], v[2:3], v[36:37]
	v_mul_f64_e32 v[36:37], v[4:5], v[36:37]
	s_wait_loadcnt_dscnt 0x800
	v_mul_f64_e32 v[177:178], v[42:43], v[167:168]
	v_add_f64_e32 v[173:174], v[173:174], v[181:182]
	v_add_f64_e32 v[175:176], v[175:176], v[179:180]
	v_mul_f64_e32 v[179:180], v[44:45], v[167:168]
	v_fma_f64 v[181:182], v[4:5], v[34:35], v[183:184]
	v_fma_f64 v[183:184], v[2:3], v[34:35], -v[36:37]
	ds_load_b128 v[2:5], v1 offset:1568
	scratch_load_b128 v[34:37], off, off offset:800
	v_fma_f64 v[44:45], v[44:45], v[165:166], v[177:178]
	v_add_f64_e32 v[173:174], v[173:174], v[169:170]
	v_add_f64_e32 v[171:172], v[175:176], v[171:172]
	ds_load_b128 v[167:170], v1 offset:1584
	v_fma_f64 v[165:166], v[42:43], v[165:166], -v[179:180]
	s_wait_loadcnt_dscnt 0x801
	v_mul_f64_e32 v[175:176], v[2:3], v[40:41]
	v_mul_f64_e32 v[185:186], v[4:5], v[40:41]
	scratch_load_b128 v[40:43], off, off offset:816
	s_wait_loadcnt_dscnt 0x800
	v_mul_f64_e32 v[179:180], v[167:168], v[8:9]
	v_mul_f64_e32 v[8:9], v[169:170], v[8:9]
	v_add_f64_e32 v[173:174], v[173:174], v[183:184]
	v_add_f64_e32 v[171:172], v[171:172], v[181:182]
	v_fma_f64 v[181:182], v[4:5], v[38:39], v[175:176]
	v_fma_f64 v[38:39], v[2:3], v[38:39], -v[185:186]
	ds_load_b128 v[2:5], v1 offset:1600
	ds_load_b128 v[175:178], v1 offset:1616
	v_fma_f64 v[169:170], v[169:170], v[6:7], v[179:180]
	v_fma_f64 v[167:168], v[167:168], v[6:7], -v[8:9]
	scratch_load_b128 v[6:9], off, off offset:848
	v_add_f64_e32 v[165:166], v[173:174], v[165:166]
	v_add_f64_e32 v[44:45], v[171:172], v[44:45]
	scratch_load_b128 v[171:174], off, off offset:832
	s_wait_loadcnt_dscnt 0x901
	v_mul_f64_e32 v[183:184], v[2:3], v[12:13]
	v_mul_f64_e32 v[12:13], v[4:5], v[12:13]
	s_wait_loadcnt_dscnt 0x800
	v_mul_f64_e32 v[179:180], v[175:176], v[16:17]
	v_mul_f64_e32 v[16:17], v[177:178], v[16:17]
	v_add_f64_e32 v[38:39], v[165:166], v[38:39]
	v_add_f64_e32 v[44:45], v[44:45], v[181:182]
	v_fma_f64 v[181:182], v[4:5], v[10:11], v[183:184]
	v_fma_f64 v[183:184], v[2:3], v[10:11], -v[12:13]
	ds_load_b128 v[2:5], v1 offset:1632
	scratch_load_b128 v[10:13], off, off offset:864
	v_fma_f64 v[177:178], v[177:178], v[14:15], v[179:180]
	v_fma_f64 v[175:176], v[175:176], v[14:15], -v[16:17]
	scratch_load_b128 v[14:17], off, off offset:880
	v_add_f64_e32 v[38:39], v[38:39], v[167:168]
	v_add_f64_e32 v[44:45], v[44:45], v[169:170]
	ds_load_b128 v[165:168], v1 offset:1648
	s_wait_loadcnt_dscnt 0x901
	v_mul_f64_e32 v[169:170], v[2:3], v[20:21]
	v_mul_f64_e32 v[20:21], v[4:5], v[20:21]
	s_wait_loadcnt_dscnt 0x800
	v_mul_f64_e32 v[179:180], v[165:166], v[24:25]
	v_mul_f64_e32 v[24:25], v[167:168], v[24:25]
	v_add_f64_e32 v[38:39], v[38:39], v[183:184]
	v_add_f64_e32 v[44:45], v[44:45], v[181:182]
	v_fma_f64 v[169:170], v[4:5], v[18:19], v[169:170]
	v_fma_f64 v[181:182], v[2:3], v[18:19], -v[20:21]
	ds_load_b128 v[2:5], v1 offset:1664
	scratch_load_b128 v[18:21], off, off offset:896
	v_fma_f64 v[167:168], v[167:168], v[22:23], v[179:180]
	v_fma_f64 v[165:166], v[165:166], v[22:23], -v[24:25]
	scratch_load_b128 v[22:25], off, off offset:912
	v_add_f64_e32 v[38:39], v[38:39], v[175:176]
	v_add_f64_e32 v[44:45], v[44:45], v[177:178]
	ds_load_b128 v[175:178], v1 offset:1680
	s_wait_loadcnt_dscnt 0x901
	v_mul_f64_e32 v[183:184], v[2:3], v[28:29]
	v_mul_f64_e32 v[28:29], v[4:5], v[28:29]
	v_add_f64_e32 v[38:39], v[38:39], v[181:182]
	v_add_f64_e32 v[44:45], v[44:45], v[169:170]
	s_wait_loadcnt_dscnt 0x800
	v_mul_f64_e32 v[169:170], v[175:176], v[32:33]
	v_mul_f64_e32 v[32:33], v[177:178], v[32:33]
	v_fma_f64 v[179:180], v[4:5], v[26:27], v[183:184]
	v_fma_f64 v[181:182], v[2:3], v[26:27], -v[28:29]
	ds_load_b128 v[2:5], v1 offset:1696
	ds_load_b128 v[26:29], v1 offset:1712
	v_add_f64_e32 v[38:39], v[38:39], v[165:166]
	v_add_f64_e32 v[44:45], v[44:45], v[167:168]
	s_wait_loadcnt_dscnt 0x701
	v_mul_f64_e32 v[165:166], v[2:3], v[36:37]
	v_mul_f64_e32 v[36:37], v[4:5], v[36:37]
	v_fma_f64 v[167:168], v[177:178], v[30:31], v[169:170]
	v_fma_f64 v[30:31], v[175:176], v[30:31], -v[32:33]
	v_add_f64_e32 v[32:33], v[38:39], v[181:182]
	v_add_f64_e32 v[38:39], v[44:45], v[179:180]
	s_wait_loadcnt_dscnt 0x600
	v_mul_f64_e32 v[44:45], v[26:27], v[42:43]
	v_mul_f64_e32 v[42:43], v[28:29], v[42:43]
	v_fma_f64 v[165:166], v[4:5], v[34:35], v[165:166]
	v_fma_f64 v[34:35], v[2:3], v[34:35], -v[36:37]
	v_add_f64_e32 v[36:37], v[32:33], v[30:31]
	v_add_f64_e32 v[38:39], v[38:39], v[167:168]
	ds_load_b128 v[2:5], v1 offset:1728
	ds_load_b128 v[30:33], v1 offset:1744
	v_fma_f64 v[28:29], v[28:29], v[40:41], v[44:45]
	v_fma_f64 v[26:27], v[26:27], v[40:41], -v[42:43]
	s_wait_loadcnt_dscnt 0x401
	v_mul_f64_e32 v[167:168], v[2:3], v[173:174]
	v_mul_f64_e32 v[169:170], v[4:5], v[173:174]
	v_add_f64_e32 v[34:35], v[36:37], v[34:35]
	v_add_f64_e32 v[36:37], v[38:39], v[165:166]
	s_wait_dscnt 0x0
	v_mul_f64_e32 v[38:39], v[30:31], v[8:9]
	v_mul_f64_e32 v[8:9], v[32:33], v[8:9]
	v_fma_f64 v[40:41], v[4:5], v[171:172], v[167:168]
	v_fma_f64 v[42:43], v[2:3], v[171:172], -v[169:170]
	v_add_f64_e32 v[34:35], v[34:35], v[26:27]
	v_add_f64_e32 v[36:37], v[36:37], v[28:29]
	ds_load_b128 v[2:5], v1 offset:1760
	ds_load_b128 v[26:29], v1 offset:1776
	v_fma_f64 v[32:33], v[32:33], v[6:7], v[38:39]
	v_fma_f64 v[6:7], v[30:31], v[6:7], -v[8:9]
	s_wait_loadcnt_dscnt 0x301
	v_mul_f64_e32 v[44:45], v[2:3], v[12:13]
	v_mul_f64_e32 v[12:13], v[4:5], v[12:13]
	v_add_f64_e32 v[8:9], v[34:35], v[42:43]
	v_add_f64_e32 v[30:31], v[36:37], v[40:41]
	s_wait_loadcnt_dscnt 0x200
	v_mul_f64_e32 v[34:35], v[26:27], v[16:17]
	v_mul_f64_e32 v[16:17], v[28:29], v[16:17]
	v_fma_f64 v[36:37], v[4:5], v[10:11], v[44:45]
	v_fma_f64 v[10:11], v[2:3], v[10:11], -v[12:13]
	v_add_f64_e32 v[12:13], v[8:9], v[6:7]
	v_add_f64_e32 v[30:31], v[30:31], v[32:33]
	ds_load_b128 v[2:5], v1 offset:1792
	ds_load_b128 v[6:9], v1 offset:1808
	v_fma_f64 v[28:29], v[28:29], v[14:15], v[34:35]
	v_fma_f64 v[14:15], v[26:27], v[14:15], -v[16:17]
	s_wait_loadcnt_dscnt 0x101
	v_mul_f64_e32 v[32:33], v[2:3], v[20:21]
	v_mul_f64_e32 v[20:21], v[4:5], v[20:21]
	s_wait_loadcnt_dscnt 0x0
	v_mul_f64_e32 v[16:17], v[6:7], v[24:25]
	v_mul_f64_e32 v[24:25], v[8:9], v[24:25]
	v_add_f64_e32 v[10:11], v[12:13], v[10:11]
	v_add_f64_e32 v[12:13], v[30:31], v[36:37]
	v_fma_f64 v[4:5], v[4:5], v[18:19], v[32:33]
	v_fma_f64 v[1:2], v[2:3], v[18:19], -v[20:21]
	v_fma_f64 v[8:9], v[8:9], v[22:23], v[16:17]
	v_fma_f64 v[6:7], v[6:7], v[22:23], -v[24:25]
	v_add_f64_e32 v[10:11], v[10:11], v[14:15]
	v_add_f64_e32 v[12:13], v[12:13], v[28:29]
	s_delay_alu instid0(VALU_DEP_2) | instskip(NEXT) | instid1(VALU_DEP_2)
	v_add_f64_e32 v[1:2], v[10:11], v[1:2]
	v_add_f64_e32 v[3:4], v[12:13], v[4:5]
	s_delay_alu instid0(VALU_DEP_2) | instskip(NEXT) | instid1(VALU_DEP_2)
	;; [unrolled: 3-line block ×3, first 2 shown]
	v_add_f64_e64 v[1:2], v[161:162], -v[1:2]
	v_add_f64_e64 v[3:4], v[163:164], -v[3:4]
	scratch_store_b128 off, v[1:4], off offset:496
	v_cmpx_lt_u32_e32 29, v0
	s_cbranch_execz .LBB120_297
; %bb.296:
	scratch_load_b128 v[1:4], off, s41
	v_mov_b32_e32 v5, 0
	s_delay_alu instid0(VALU_DEP_1)
	v_dual_mov_b32 v6, v5 :: v_dual_mov_b32 v7, v5
	v_mov_b32_e32 v8, v5
	scratch_store_b128 off, v[5:8], off offset:480
	s_wait_loadcnt 0x0
	ds_store_b128 v160, v[1:4]
.LBB120_297:
	s_wait_alu 0xfffe
	s_or_b32 exec_lo, exec_lo, s0
	s_wait_storecnt_dscnt 0x0
	s_barrier_signal -1
	s_barrier_wait -1
	global_inv scope:SCOPE_SE
	s_clause 0x7
	scratch_load_b128 v[2:5], off, off offset:496
	scratch_load_b128 v[6:9], off, off offset:512
	;; [unrolled: 1-line block ×8, first 2 shown]
	v_mov_b32_e32 v1, 0
	s_mov_b32 s0, exec_lo
	ds_load_b128 v[34:37], v1 offset:1392
	s_clause 0x1
	scratch_load_b128 v[38:41], off, off offset:624
	scratch_load_b128 v[42:45], off, off offset:480
	ds_load_b128 v[161:164], v1 offset:1408
	scratch_load_b128 v[165:168], off, off offset:640
	s_wait_loadcnt_dscnt 0xa01
	v_mul_f64_e32 v[169:170], v[36:37], v[4:5]
	v_mul_f64_e32 v[4:5], v[34:35], v[4:5]
	s_delay_alu instid0(VALU_DEP_2) | instskip(NEXT) | instid1(VALU_DEP_2)
	v_fma_f64 v[175:176], v[34:35], v[2:3], -v[169:170]
	v_fma_f64 v[177:178], v[36:37], v[2:3], v[4:5]
	ds_load_b128 v[2:5], v1 offset:1424
	s_wait_loadcnt_dscnt 0x901
	v_mul_f64_e32 v[173:174], v[161:162], v[8:9]
	v_mul_f64_e32 v[8:9], v[163:164], v[8:9]
	scratch_load_b128 v[34:37], off, off offset:656
	ds_load_b128 v[169:172], v1 offset:1440
	s_wait_loadcnt_dscnt 0x901
	v_mul_f64_e32 v[179:180], v[2:3], v[12:13]
	v_mul_f64_e32 v[12:13], v[4:5], v[12:13]
	v_fma_f64 v[163:164], v[163:164], v[6:7], v[173:174]
	v_fma_f64 v[161:162], v[161:162], v[6:7], -v[8:9]
	v_add_f64_e32 v[173:174], 0, v[175:176]
	v_add_f64_e32 v[175:176], 0, v[177:178]
	scratch_load_b128 v[6:9], off, off offset:672
	v_fma_f64 v[179:180], v[4:5], v[10:11], v[179:180]
	v_fma_f64 v[181:182], v[2:3], v[10:11], -v[12:13]
	ds_load_b128 v[2:5], v1 offset:1456
	s_wait_loadcnt_dscnt 0x901
	v_mul_f64_e32 v[177:178], v[169:170], v[16:17]
	v_mul_f64_e32 v[16:17], v[171:172], v[16:17]
	scratch_load_b128 v[10:13], off, off offset:688
	v_add_f64_e32 v[173:174], v[173:174], v[161:162]
	v_add_f64_e32 v[175:176], v[175:176], v[163:164]
	s_wait_loadcnt_dscnt 0x900
	v_mul_f64_e32 v[183:184], v[2:3], v[20:21]
	v_mul_f64_e32 v[20:21], v[4:5], v[20:21]
	ds_load_b128 v[161:164], v1 offset:1472
	v_fma_f64 v[171:172], v[171:172], v[14:15], v[177:178]
	v_fma_f64 v[169:170], v[169:170], v[14:15], -v[16:17]
	scratch_load_b128 v[14:17], off, off offset:704
	v_add_f64_e32 v[173:174], v[173:174], v[181:182]
	v_add_f64_e32 v[175:176], v[175:176], v[179:180]
	v_fma_f64 v[179:180], v[4:5], v[18:19], v[183:184]
	v_fma_f64 v[181:182], v[2:3], v[18:19], -v[20:21]
	ds_load_b128 v[2:5], v1 offset:1488
	s_wait_loadcnt_dscnt 0x901
	v_mul_f64_e32 v[177:178], v[161:162], v[24:25]
	v_mul_f64_e32 v[24:25], v[163:164], v[24:25]
	scratch_load_b128 v[18:21], off, off offset:720
	s_wait_loadcnt_dscnt 0x900
	v_mul_f64_e32 v[183:184], v[2:3], v[28:29]
	v_mul_f64_e32 v[28:29], v[4:5], v[28:29]
	v_add_f64_e32 v[173:174], v[173:174], v[169:170]
	v_add_f64_e32 v[175:176], v[175:176], v[171:172]
	ds_load_b128 v[169:172], v1 offset:1504
	v_fma_f64 v[163:164], v[163:164], v[22:23], v[177:178]
	v_fma_f64 v[161:162], v[161:162], v[22:23], -v[24:25]
	scratch_load_b128 v[22:25], off, off offset:736
	v_add_f64_e32 v[173:174], v[173:174], v[181:182]
	v_add_f64_e32 v[175:176], v[175:176], v[179:180]
	v_fma_f64 v[179:180], v[4:5], v[26:27], v[183:184]
	v_fma_f64 v[181:182], v[2:3], v[26:27], -v[28:29]
	ds_load_b128 v[2:5], v1 offset:1520
	s_wait_loadcnt_dscnt 0x901
	v_mul_f64_e32 v[177:178], v[169:170], v[32:33]
	v_mul_f64_e32 v[32:33], v[171:172], v[32:33]
	scratch_load_b128 v[26:29], off, off offset:752
	s_wait_loadcnt_dscnt 0x900
	v_mul_f64_e32 v[183:184], v[2:3], v[40:41]
	v_mul_f64_e32 v[40:41], v[4:5], v[40:41]
	v_add_f64_e32 v[173:174], v[173:174], v[161:162]
	v_add_f64_e32 v[175:176], v[175:176], v[163:164]
	ds_load_b128 v[161:164], v1 offset:1536
	v_fma_f64 v[171:172], v[171:172], v[30:31], v[177:178]
	v_fma_f64 v[169:170], v[169:170], v[30:31], -v[32:33]
	scratch_load_b128 v[30:33], off, off offset:768
	v_add_f64_e32 v[173:174], v[173:174], v[181:182]
	v_add_f64_e32 v[175:176], v[175:176], v[179:180]
	v_fma_f64 v[181:182], v[4:5], v[38:39], v[183:184]
	v_fma_f64 v[183:184], v[2:3], v[38:39], -v[40:41]
	ds_load_b128 v[2:5], v1 offset:1552
	s_wait_loadcnt_dscnt 0x801
	v_mul_f64_e32 v[177:178], v[161:162], v[167:168]
	v_mul_f64_e32 v[179:180], v[163:164], v[167:168]
	scratch_load_b128 v[38:41], off, off offset:784
	v_add_f64_e32 v[173:174], v[173:174], v[169:170]
	v_add_f64_e32 v[171:172], v[175:176], v[171:172]
	ds_load_b128 v[167:170], v1 offset:1568
	v_fma_f64 v[177:178], v[163:164], v[165:166], v[177:178]
	v_fma_f64 v[165:166], v[161:162], v[165:166], -v[179:180]
	scratch_load_b128 v[161:164], off, off offset:800
	s_wait_loadcnt_dscnt 0x901
	v_mul_f64_e32 v[175:176], v[2:3], v[36:37]
	v_mul_f64_e32 v[36:37], v[4:5], v[36:37]
	v_add_f64_e32 v[173:174], v[173:174], v[183:184]
	v_add_f64_e32 v[171:172], v[171:172], v[181:182]
	s_delay_alu instid0(VALU_DEP_4) | instskip(NEXT) | instid1(VALU_DEP_4)
	v_fma_f64 v[175:176], v[4:5], v[34:35], v[175:176]
	v_fma_f64 v[181:182], v[2:3], v[34:35], -v[36:37]
	ds_load_b128 v[2:5], v1 offset:1584
	s_wait_loadcnt_dscnt 0x801
	v_mul_f64_e32 v[179:180], v[167:168], v[8:9]
	v_mul_f64_e32 v[8:9], v[169:170], v[8:9]
	scratch_load_b128 v[34:37], off, off offset:816
	s_wait_loadcnt_dscnt 0x800
	v_mul_f64_e32 v[183:184], v[2:3], v[12:13]
	v_add_f64_e32 v[165:166], v[173:174], v[165:166]
	v_add_f64_e32 v[177:178], v[171:172], v[177:178]
	v_mul_f64_e32 v[12:13], v[4:5], v[12:13]
	ds_load_b128 v[171:174], v1 offset:1600
	v_fma_f64 v[169:170], v[169:170], v[6:7], v[179:180]
	v_fma_f64 v[167:168], v[167:168], v[6:7], -v[8:9]
	scratch_load_b128 v[6:9], off, off offset:832
	v_fma_f64 v[179:180], v[4:5], v[10:11], v[183:184]
	v_add_f64_e32 v[165:166], v[165:166], v[181:182]
	v_add_f64_e32 v[175:176], v[177:178], v[175:176]
	v_fma_f64 v[181:182], v[2:3], v[10:11], -v[12:13]
	ds_load_b128 v[2:5], v1 offset:1616
	s_wait_loadcnt_dscnt 0x801
	v_mul_f64_e32 v[177:178], v[171:172], v[16:17]
	v_mul_f64_e32 v[16:17], v[173:174], v[16:17]
	scratch_load_b128 v[10:13], off, off offset:848
	v_add_f64_e32 v[183:184], v[165:166], v[167:168]
	v_add_f64_e32 v[169:170], v[175:176], v[169:170]
	s_wait_loadcnt_dscnt 0x800
	v_mul_f64_e32 v[175:176], v[2:3], v[20:21]
	v_mul_f64_e32 v[20:21], v[4:5], v[20:21]
	v_fma_f64 v[173:174], v[173:174], v[14:15], v[177:178]
	v_fma_f64 v[171:172], v[171:172], v[14:15], -v[16:17]
	ds_load_b128 v[165:168], v1 offset:1632
	scratch_load_b128 v[14:17], off, off offset:864
	v_add_f64_e32 v[177:178], v[183:184], v[181:182]
	v_add_f64_e32 v[169:170], v[169:170], v[179:180]
	v_fma_f64 v[175:176], v[4:5], v[18:19], v[175:176]
	v_fma_f64 v[181:182], v[2:3], v[18:19], -v[20:21]
	ds_load_b128 v[2:5], v1 offset:1648
	s_wait_loadcnt_dscnt 0x801
	v_mul_f64_e32 v[179:180], v[165:166], v[24:25]
	v_mul_f64_e32 v[24:25], v[167:168], v[24:25]
	scratch_load_b128 v[18:21], off, off offset:880
	s_wait_loadcnt_dscnt 0x800
	v_mul_f64_e32 v[183:184], v[2:3], v[28:29]
	v_mul_f64_e32 v[28:29], v[4:5], v[28:29]
	v_add_f64_e32 v[177:178], v[177:178], v[171:172]
	v_add_f64_e32 v[173:174], v[169:170], v[173:174]
	ds_load_b128 v[169:172], v1 offset:1664
	v_fma_f64 v[167:168], v[167:168], v[22:23], v[179:180]
	v_fma_f64 v[165:166], v[165:166], v[22:23], -v[24:25]
	scratch_load_b128 v[22:25], off, off offset:896
	v_fma_f64 v[179:180], v[4:5], v[26:27], v[183:184]
	v_add_f64_e32 v[177:178], v[177:178], v[181:182]
	v_add_f64_e32 v[173:174], v[173:174], v[175:176]
	v_fma_f64 v[181:182], v[2:3], v[26:27], -v[28:29]
	ds_load_b128 v[2:5], v1 offset:1680
	s_wait_loadcnt_dscnt 0x801
	v_mul_f64_e32 v[175:176], v[169:170], v[32:33]
	v_mul_f64_e32 v[32:33], v[171:172], v[32:33]
	scratch_load_b128 v[26:29], off, off offset:912
	s_wait_loadcnt_dscnt 0x800
	v_mul_f64_e32 v[183:184], v[2:3], v[40:41]
	v_mul_f64_e32 v[40:41], v[4:5], v[40:41]
	v_add_f64_e32 v[177:178], v[177:178], v[165:166]
	v_add_f64_e32 v[173:174], v[173:174], v[167:168]
	ds_load_b128 v[165:168], v1 offset:1696
	v_fma_f64 v[171:172], v[171:172], v[30:31], v[175:176]
	v_fma_f64 v[30:31], v[169:170], v[30:31], -v[32:33]
	v_fma_f64 v[175:176], v[4:5], v[38:39], v[183:184]
	v_fma_f64 v[38:39], v[2:3], v[38:39], -v[40:41]
	v_add_f64_e32 v[32:33], v[177:178], v[181:182]
	v_add_f64_e32 v[169:170], v[173:174], v[179:180]
	s_wait_loadcnt_dscnt 0x700
	v_mul_f64_e32 v[173:174], v[165:166], v[163:164]
	v_mul_f64_e32 v[163:164], v[167:168], v[163:164]
	s_delay_alu instid0(VALU_DEP_4) | instskip(NEXT) | instid1(VALU_DEP_4)
	v_add_f64_e32 v[40:41], v[32:33], v[30:31]
	v_add_f64_e32 v[169:170], v[169:170], v[171:172]
	ds_load_b128 v[2:5], v1 offset:1712
	ds_load_b128 v[30:33], v1 offset:1728
	v_fma_f64 v[167:168], v[167:168], v[161:162], v[173:174]
	v_fma_f64 v[161:162], v[165:166], v[161:162], -v[163:164]
	s_wait_loadcnt_dscnt 0x601
	v_mul_f64_e32 v[171:172], v[2:3], v[36:37]
	v_mul_f64_e32 v[36:37], v[4:5], v[36:37]
	s_wait_loadcnt_dscnt 0x500
	v_mul_f64_e32 v[163:164], v[30:31], v[8:9]
	v_mul_f64_e32 v[8:9], v[32:33], v[8:9]
	v_add_f64_e32 v[38:39], v[40:41], v[38:39]
	v_add_f64_e32 v[40:41], v[169:170], v[175:176]
	v_fma_f64 v[165:166], v[4:5], v[34:35], v[171:172]
	v_fma_f64 v[169:170], v[2:3], v[34:35], -v[36:37]
	ds_load_b128 v[2:5], v1 offset:1744
	ds_load_b128 v[34:37], v1 offset:1760
	v_fma_f64 v[32:33], v[32:33], v[6:7], v[163:164]
	v_fma_f64 v[6:7], v[30:31], v[6:7], -v[8:9]
	v_add_f64_e32 v[38:39], v[38:39], v[161:162]
	v_add_f64_e32 v[40:41], v[40:41], v[167:168]
	s_wait_loadcnt_dscnt 0x401
	v_mul_f64_e32 v[161:162], v[2:3], v[12:13]
	v_mul_f64_e32 v[12:13], v[4:5], v[12:13]
	s_delay_alu instid0(VALU_DEP_4) | instskip(NEXT) | instid1(VALU_DEP_4)
	v_add_f64_e32 v[8:9], v[38:39], v[169:170]
	v_add_f64_e32 v[30:31], v[40:41], v[165:166]
	s_wait_loadcnt_dscnt 0x300
	v_mul_f64_e32 v[38:39], v[34:35], v[16:17]
	v_mul_f64_e32 v[16:17], v[36:37], v[16:17]
	v_fma_f64 v[40:41], v[4:5], v[10:11], v[161:162]
	v_fma_f64 v[10:11], v[2:3], v[10:11], -v[12:13]
	v_add_f64_e32 v[12:13], v[8:9], v[6:7]
	v_add_f64_e32 v[30:31], v[30:31], v[32:33]
	ds_load_b128 v[2:5], v1 offset:1776
	ds_load_b128 v[6:9], v1 offset:1792
	v_fma_f64 v[36:37], v[36:37], v[14:15], v[38:39]
	v_fma_f64 v[14:15], v[34:35], v[14:15], -v[16:17]
	s_wait_loadcnt_dscnt 0x201
	v_mul_f64_e32 v[32:33], v[2:3], v[20:21]
	v_mul_f64_e32 v[20:21], v[4:5], v[20:21]
	s_wait_loadcnt_dscnt 0x100
	v_mul_f64_e32 v[16:17], v[6:7], v[24:25]
	v_mul_f64_e32 v[24:25], v[8:9], v[24:25]
	v_add_f64_e32 v[10:11], v[12:13], v[10:11]
	v_add_f64_e32 v[12:13], v[30:31], v[40:41]
	v_fma_f64 v[30:31], v[4:5], v[18:19], v[32:33]
	v_fma_f64 v[18:19], v[2:3], v[18:19], -v[20:21]
	ds_load_b128 v[2:5], v1 offset:1808
	v_fma_f64 v[8:9], v[8:9], v[22:23], v[16:17]
	v_fma_f64 v[6:7], v[6:7], v[22:23], -v[24:25]
	v_add_f64_e32 v[10:11], v[10:11], v[14:15]
	v_add_f64_e32 v[12:13], v[12:13], v[36:37]
	s_wait_loadcnt_dscnt 0x0
	v_mul_f64_e32 v[14:15], v[2:3], v[28:29]
	v_mul_f64_e32 v[20:21], v[4:5], v[28:29]
	s_delay_alu instid0(VALU_DEP_4) | instskip(NEXT) | instid1(VALU_DEP_4)
	v_add_f64_e32 v[10:11], v[10:11], v[18:19]
	v_add_f64_e32 v[12:13], v[12:13], v[30:31]
	s_delay_alu instid0(VALU_DEP_4) | instskip(NEXT) | instid1(VALU_DEP_4)
	v_fma_f64 v[4:5], v[4:5], v[26:27], v[14:15]
	v_fma_f64 v[2:3], v[2:3], v[26:27], -v[20:21]
	s_delay_alu instid0(VALU_DEP_4) | instskip(NEXT) | instid1(VALU_DEP_4)
	v_add_f64_e32 v[6:7], v[10:11], v[6:7]
	v_add_f64_e32 v[8:9], v[12:13], v[8:9]
	s_delay_alu instid0(VALU_DEP_2) | instskip(NEXT) | instid1(VALU_DEP_2)
	v_add_f64_e32 v[2:3], v[6:7], v[2:3]
	v_add_f64_e32 v[4:5], v[8:9], v[4:5]
	s_delay_alu instid0(VALU_DEP_2) | instskip(NEXT) | instid1(VALU_DEP_2)
	v_add_f64_e64 v[2:3], v[42:43], -v[2:3]
	v_add_f64_e64 v[4:5], v[44:45], -v[4:5]
	scratch_store_b128 off, v[2:5], off offset:480
	v_cmpx_lt_u32_e32 28, v0
	s_cbranch_execz .LBB120_299
; %bb.298:
	scratch_load_b128 v[5:8], off, s42
	v_dual_mov_b32 v2, v1 :: v_dual_mov_b32 v3, v1
	v_mov_b32_e32 v4, v1
	scratch_store_b128 off, v[1:4], off offset:464
	s_wait_loadcnt 0x0
	ds_store_b128 v160, v[5:8]
.LBB120_299:
	s_wait_alu 0xfffe
	s_or_b32 exec_lo, exec_lo, s0
	s_wait_storecnt_dscnt 0x0
	s_barrier_signal -1
	s_barrier_wait -1
	global_inv scope:SCOPE_SE
	s_clause 0x8
	scratch_load_b128 v[2:5], off, off offset:480
	scratch_load_b128 v[6:9], off, off offset:496
	;; [unrolled: 1-line block ×9, first 2 shown]
	ds_load_b128 v[38:41], v1 offset:1376
	ds_load_b128 v[42:45], v1 offset:1392
	s_clause 0x1
	scratch_load_b128 v[161:164], off, off offset:464
	scratch_load_b128 v[165:168], off, off offset:624
	s_mov_b32 s0, exec_lo
	s_wait_loadcnt_dscnt 0xa01
	v_mul_f64_e32 v[169:170], v[40:41], v[4:5]
	v_mul_f64_e32 v[4:5], v[38:39], v[4:5]
	s_wait_loadcnt_dscnt 0x900
	v_mul_f64_e32 v[173:174], v[42:43], v[8:9]
	v_mul_f64_e32 v[8:9], v[44:45], v[8:9]
	s_delay_alu instid0(VALU_DEP_4) | instskip(NEXT) | instid1(VALU_DEP_4)
	v_fma_f64 v[175:176], v[38:39], v[2:3], -v[169:170]
	v_fma_f64 v[177:178], v[40:41], v[2:3], v[4:5]
	ds_load_b128 v[2:5], v1 offset:1408
	ds_load_b128 v[169:172], v1 offset:1424
	scratch_load_b128 v[38:41], off, off offset:640
	v_fma_f64 v[44:45], v[44:45], v[6:7], v[173:174]
	v_fma_f64 v[42:43], v[42:43], v[6:7], -v[8:9]
	scratch_load_b128 v[6:9], off, off offset:656
	s_wait_loadcnt_dscnt 0xa01
	v_mul_f64_e32 v[179:180], v[2:3], v[12:13]
	v_mul_f64_e32 v[12:13], v[4:5], v[12:13]
	v_add_f64_e32 v[173:174], 0, v[175:176]
	v_add_f64_e32 v[175:176], 0, v[177:178]
	s_wait_loadcnt_dscnt 0x900
	v_mul_f64_e32 v[177:178], v[169:170], v[16:17]
	v_mul_f64_e32 v[16:17], v[171:172], v[16:17]
	v_fma_f64 v[179:180], v[4:5], v[10:11], v[179:180]
	v_fma_f64 v[181:182], v[2:3], v[10:11], -v[12:13]
	ds_load_b128 v[2:5], v1 offset:1440
	scratch_load_b128 v[10:13], off, off offset:672
	v_add_f64_e32 v[173:174], v[173:174], v[42:43]
	v_add_f64_e32 v[175:176], v[175:176], v[44:45]
	ds_load_b128 v[42:45], v1 offset:1456
	v_fma_f64 v[171:172], v[171:172], v[14:15], v[177:178]
	v_fma_f64 v[169:170], v[169:170], v[14:15], -v[16:17]
	scratch_load_b128 v[14:17], off, off offset:688
	s_wait_loadcnt_dscnt 0xa01
	v_mul_f64_e32 v[183:184], v[2:3], v[20:21]
	v_mul_f64_e32 v[20:21], v[4:5], v[20:21]
	s_wait_loadcnt_dscnt 0x900
	v_mul_f64_e32 v[177:178], v[42:43], v[24:25]
	v_mul_f64_e32 v[24:25], v[44:45], v[24:25]
	v_add_f64_e32 v[173:174], v[173:174], v[181:182]
	v_add_f64_e32 v[175:176], v[175:176], v[179:180]
	v_fma_f64 v[179:180], v[4:5], v[18:19], v[183:184]
	v_fma_f64 v[181:182], v[2:3], v[18:19], -v[20:21]
	ds_load_b128 v[2:5], v1 offset:1472
	scratch_load_b128 v[18:21], off, off offset:704
	v_fma_f64 v[44:45], v[44:45], v[22:23], v[177:178]
	v_fma_f64 v[42:43], v[42:43], v[22:23], -v[24:25]
	scratch_load_b128 v[22:25], off, off offset:720
	v_add_f64_e32 v[173:174], v[173:174], v[169:170]
	v_add_f64_e32 v[175:176], v[175:176], v[171:172]
	ds_load_b128 v[169:172], v1 offset:1488
	s_wait_loadcnt_dscnt 0xa01
	v_mul_f64_e32 v[183:184], v[2:3], v[28:29]
	v_mul_f64_e32 v[28:29], v[4:5], v[28:29]
	s_wait_loadcnt_dscnt 0x900
	v_mul_f64_e32 v[177:178], v[169:170], v[32:33]
	v_mul_f64_e32 v[32:33], v[171:172], v[32:33]
	v_add_f64_e32 v[173:174], v[173:174], v[181:182]
	v_add_f64_e32 v[175:176], v[175:176], v[179:180]
	v_fma_f64 v[179:180], v[4:5], v[26:27], v[183:184]
	v_fma_f64 v[181:182], v[2:3], v[26:27], -v[28:29]
	ds_load_b128 v[2:5], v1 offset:1504
	scratch_load_b128 v[26:29], off, off offset:736
	v_fma_f64 v[171:172], v[171:172], v[30:31], v[177:178]
	v_fma_f64 v[169:170], v[169:170], v[30:31], -v[32:33]
	scratch_load_b128 v[30:33], off, off offset:752
	v_add_f64_e32 v[173:174], v[173:174], v[42:43]
	v_add_f64_e32 v[175:176], v[175:176], v[44:45]
	ds_load_b128 v[42:45], v1 offset:1520
	s_wait_loadcnt_dscnt 0xa01
	v_mul_f64_e32 v[183:184], v[2:3], v[36:37]
	v_mul_f64_e32 v[36:37], v[4:5], v[36:37]
	s_wait_loadcnt_dscnt 0x800
	v_mul_f64_e32 v[177:178], v[42:43], v[167:168]
	v_add_f64_e32 v[173:174], v[173:174], v[181:182]
	v_add_f64_e32 v[175:176], v[175:176], v[179:180]
	v_mul_f64_e32 v[179:180], v[44:45], v[167:168]
	v_fma_f64 v[181:182], v[4:5], v[34:35], v[183:184]
	v_fma_f64 v[183:184], v[2:3], v[34:35], -v[36:37]
	ds_load_b128 v[2:5], v1 offset:1536
	scratch_load_b128 v[34:37], off, off offset:768
	v_fma_f64 v[44:45], v[44:45], v[165:166], v[177:178]
	v_add_f64_e32 v[173:174], v[173:174], v[169:170]
	v_add_f64_e32 v[171:172], v[175:176], v[171:172]
	ds_load_b128 v[167:170], v1 offset:1552
	v_fma_f64 v[165:166], v[42:43], v[165:166], -v[179:180]
	s_wait_loadcnt_dscnt 0x801
	v_mul_f64_e32 v[175:176], v[2:3], v[40:41]
	v_mul_f64_e32 v[185:186], v[4:5], v[40:41]
	scratch_load_b128 v[40:43], off, off offset:784
	s_wait_loadcnt_dscnt 0x800
	v_mul_f64_e32 v[179:180], v[167:168], v[8:9]
	v_mul_f64_e32 v[8:9], v[169:170], v[8:9]
	v_add_f64_e32 v[173:174], v[173:174], v[183:184]
	v_add_f64_e32 v[171:172], v[171:172], v[181:182]
	v_fma_f64 v[181:182], v[4:5], v[38:39], v[175:176]
	v_fma_f64 v[38:39], v[2:3], v[38:39], -v[185:186]
	ds_load_b128 v[2:5], v1 offset:1568
	ds_load_b128 v[175:178], v1 offset:1584
	v_fma_f64 v[169:170], v[169:170], v[6:7], v[179:180]
	v_fma_f64 v[167:168], v[167:168], v[6:7], -v[8:9]
	scratch_load_b128 v[6:9], off, off offset:816
	v_add_f64_e32 v[165:166], v[173:174], v[165:166]
	v_add_f64_e32 v[44:45], v[171:172], v[44:45]
	scratch_load_b128 v[171:174], off, off offset:800
	s_wait_loadcnt_dscnt 0x901
	v_mul_f64_e32 v[183:184], v[2:3], v[12:13]
	v_mul_f64_e32 v[12:13], v[4:5], v[12:13]
	s_wait_loadcnt_dscnt 0x800
	v_mul_f64_e32 v[179:180], v[175:176], v[16:17]
	v_mul_f64_e32 v[16:17], v[177:178], v[16:17]
	v_add_f64_e32 v[38:39], v[165:166], v[38:39]
	v_add_f64_e32 v[44:45], v[44:45], v[181:182]
	v_fma_f64 v[181:182], v[4:5], v[10:11], v[183:184]
	v_fma_f64 v[183:184], v[2:3], v[10:11], -v[12:13]
	ds_load_b128 v[2:5], v1 offset:1600
	scratch_load_b128 v[10:13], off, off offset:832
	v_fma_f64 v[177:178], v[177:178], v[14:15], v[179:180]
	v_fma_f64 v[175:176], v[175:176], v[14:15], -v[16:17]
	scratch_load_b128 v[14:17], off, off offset:848
	v_add_f64_e32 v[38:39], v[38:39], v[167:168]
	v_add_f64_e32 v[44:45], v[44:45], v[169:170]
	ds_load_b128 v[165:168], v1 offset:1616
	s_wait_loadcnt_dscnt 0x901
	v_mul_f64_e32 v[169:170], v[2:3], v[20:21]
	v_mul_f64_e32 v[20:21], v[4:5], v[20:21]
	s_wait_loadcnt_dscnt 0x800
	v_mul_f64_e32 v[179:180], v[165:166], v[24:25]
	v_mul_f64_e32 v[24:25], v[167:168], v[24:25]
	v_add_f64_e32 v[38:39], v[38:39], v[183:184]
	v_add_f64_e32 v[44:45], v[44:45], v[181:182]
	v_fma_f64 v[169:170], v[4:5], v[18:19], v[169:170]
	v_fma_f64 v[181:182], v[2:3], v[18:19], -v[20:21]
	ds_load_b128 v[2:5], v1 offset:1632
	scratch_load_b128 v[18:21], off, off offset:864
	v_fma_f64 v[167:168], v[167:168], v[22:23], v[179:180]
	v_fma_f64 v[165:166], v[165:166], v[22:23], -v[24:25]
	scratch_load_b128 v[22:25], off, off offset:880
	v_add_f64_e32 v[38:39], v[38:39], v[175:176]
	v_add_f64_e32 v[44:45], v[44:45], v[177:178]
	ds_load_b128 v[175:178], v1 offset:1648
	s_wait_loadcnt_dscnt 0x901
	v_mul_f64_e32 v[183:184], v[2:3], v[28:29]
	v_mul_f64_e32 v[28:29], v[4:5], v[28:29]
	v_add_f64_e32 v[38:39], v[38:39], v[181:182]
	v_add_f64_e32 v[44:45], v[44:45], v[169:170]
	s_wait_loadcnt_dscnt 0x800
	v_mul_f64_e32 v[169:170], v[175:176], v[32:33]
	v_mul_f64_e32 v[32:33], v[177:178], v[32:33]
	v_fma_f64 v[179:180], v[4:5], v[26:27], v[183:184]
	v_fma_f64 v[181:182], v[2:3], v[26:27], -v[28:29]
	ds_load_b128 v[2:5], v1 offset:1664
	scratch_load_b128 v[26:29], off, off offset:896
	v_add_f64_e32 v[38:39], v[38:39], v[165:166]
	v_add_f64_e32 v[44:45], v[44:45], v[167:168]
	ds_load_b128 v[165:168], v1 offset:1680
	s_wait_loadcnt_dscnt 0x801
	v_mul_f64_e32 v[183:184], v[2:3], v[36:37]
	v_mul_f64_e32 v[36:37], v[4:5], v[36:37]
	v_fma_f64 v[169:170], v[177:178], v[30:31], v[169:170]
	v_fma_f64 v[175:176], v[175:176], v[30:31], -v[32:33]
	scratch_load_b128 v[30:33], off, off offset:912
	s_wait_loadcnt_dscnt 0x800
	v_mul_f64_e32 v[177:178], v[165:166], v[42:43]
	v_add_f64_e32 v[38:39], v[38:39], v[181:182]
	v_add_f64_e32 v[44:45], v[44:45], v[179:180]
	v_mul_f64_e32 v[42:43], v[167:168], v[42:43]
	v_fma_f64 v[179:180], v[4:5], v[34:35], v[183:184]
	v_fma_f64 v[181:182], v[2:3], v[34:35], -v[36:37]
	ds_load_b128 v[2:5], v1 offset:1696
	ds_load_b128 v[34:37], v1 offset:1712
	v_fma_f64 v[167:168], v[167:168], v[40:41], v[177:178]
	v_add_f64_e32 v[38:39], v[38:39], v[175:176]
	v_add_f64_e32 v[44:45], v[44:45], v[169:170]
	v_fma_f64 v[40:41], v[165:166], v[40:41], -v[42:43]
	s_wait_loadcnt_dscnt 0x601
	v_mul_f64_e32 v[169:170], v[2:3], v[173:174]
	v_mul_f64_e32 v[173:174], v[4:5], v[173:174]
	v_add_f64_e32 v[38:39], v[38:39], v[181:182]
	v_add_f64_e32 v[42:43], v[44:45], v[179:180]
	s_wait_dscnt 0x0
	v_mul_f64_e32 v[44:45], v[34:35], v[8:9]
	v_mul_f64_e32 v[8:9], v[36:37], v[8:9]
	v_fma_f64 v[165:166], v[4:5], v[171:172], v[169:170]
	v_fma_f64 v[169:170], v[2:3], v[171:172], -v[173:174]
	v_add_f64_e32 v[171:172], v[38:39], v[40:41]
	v_add_f64_e32 v[42:43], v[42:43], v[167:168]
	ds_load_b128 v[2:5], v1 offset:1728
	ds_load_b128 v[38:41], v1 offset:1744
	v_fma_f64 v[36:37], v[36:37], v[6:7], v[44:45]
	v_fma_f64 v[6:7], v[34:35], v[6:7], -v[8:9]
	s_wait_loadcnt_dscnt 0x501
	v_mul_f64_e32 v[167:168], v[2:3], v[12:13]
	v_mul_f64_e32 v[12:13], v[4:5], v[12:13]
	v_add_f64_e32 v[8:9], v[171:172], v[169:170]
	v_add_f64_e32 v[34:35], v[42:43], v[165:166]
	s_wait_loadcnt_dscnt 0x400
	v_mul_f64_e32 v[42:43], v[38:39], v[16:17]
	v_mul_f64_e32 v[16:17], v[40:41], v[16:17]
	v_fma_f64 v[44:45], v[4:5], v[10:11], v[167:168]
	v_fma_f64 v[10:11], v[2:3], v[10:11], -v[12:13]
	v_add_f64_e32 v[12:13], v[8:9], v[6:7]
	v_add_f64_e32 v[34:35], v[34:35], v[36:37]
	ds_load_b128 v[2:5], v1 offset:1760
	ds_load_b128 v[6:9], v1 offset:1776
	v_fma_f64 v[40:41], v[40:41], v[14:15], v[42:43]
	v_fma_f64 v[14:15], v[38:39], v[14:15], -v[16:17]
	s_wait_loadcnt_dscnt 0x301
	v_mul_f64_e32 v[36:37], v[2:3], v[20:21]
	v_mul_f64_e32 v[20:21], v[4:5], v[20:21]
	s_wait_loadcnt_dscnt 0x200
	v_mul_f64_e32 v[16:17], v[6:7], v[24:25]
	v_mul_f64_e32 v[24:25], v[8:9], v[24:25]
	v_add_f64_e32 v[10:11], v[12:13], v[10:11]
	v_add_f64_e32 v[12:13], v[34:35], v[44:45]
	v_fma_f64 v[34:35], v[4:5], v[18:19], v[36:37]
	v_fma_f64 v[18:19], v[2:3], v[18:19], -v[20:21]
	v_fma_f64 v[8:9], v[8:9], v[22:23], v[16:17]
	v_fma_f64 v[6:7], v[6:7], v[22:23], -v[24:25]
	v_add_f64_e32 v[14:15], v[10:11], v[14:15]
	v_add_f64_e32 v[20:21], v[12:13], v[40:41]
	ds_load_b128 v[2:5], v1 offset:1792
	ds_load_b128 v[10:13], v1 offset:1808
	s_wait_loadcnt_dscnt 0x101
	v_mul_f64_e32 v[36:37], v[2:3], v[28:29]
	v_mul_f64_e32 v[28:29], v[4:5], v[28:29]
	v_add_f64_e32 v[14:15], v[14:15], v[18:19]
	v_add_f64_e32 v[16:17], v[20:21], v[34:35]
	s_wait_loadcnt_dscnt 0x0
	v_mul_f64_e32 v[18:19], v[10:11], v[32:33]
	v_mul_f64_e32 v[20:21], v[12:13], v[32:33]
	v_fma_f64 v[4:5], v[4:5], v[26:27], v[36:37]
	v_fma_f64 v[1:2], v[2:3], v[26:27], -v[28:29]
	v_add_f64_e32 v[6:7], v[14:15], v[6:7]
	v_add_f64_e32 v[8:9], v[16:17], v[8:9]
	v_fma_f64 v[12:13], v[12:13], v[30:31], v[18:19]
	v_fma_f64 v[10:11], v[10:11], v[30:31], -v[20:21]
	s_delay_alu instid0(VALU_DEP_4) | instskip(NEXT) | instid1(VALU_DEP_4)
	v_add_f64_e32 v[1:2], v[6:7], v[1:2]
	v_add_f64_e32 v[3:4], v[8:9], v[4:5]
	s_delay_alu instid0(VALU_DEP_2) | instskip(NEXT) | instid1(VALU_DEP_2)
	v_add_f64_e32 v[1:2], v[1:2], v[10:11]
	v_add_f64_e32 v[3:4], v[3:4], v[12:13]
	s_delay_alu instid0(VALU_DEP_2) | instskip(NEXT) | instid1(VALU_DEP_2)
	v_add_f64_e64 v[1:2], v[161:162], -v[1:2]
	v_add_f64_e64 v[3:4], v[163:164], -v[3:4]
	scratch_store_b128 off, v[1:4], off offset:464
	v_cmpx_lt_u32_e32 27, v0
	s_cbranch_execz .LBB120_301
; %bb.300:
	scratch_load_b128 v[1:4], off, s43
	v_mov_b32_e32 v5, 0
	s_delay_alu instid0(VALU_DEP_1)
	v_dual_mov_b32 v6, v5 :: v_dual_mov_b32 v7, v5
	v_mov_b32_e32 v8, v5
	scratch_store_b128 off, v[5:8], off offset:448
	s_wait_loadcnt 0x0
	ds_store_b128 v160, v[1:4]
.LBB120_301:
	s_wait_alu 0xfffe
	s_or_b32 exec_lo, exec_lo, s0
	s_wait_storecnt_dscnt 0x0
	s_barrier_signal -1
	s_barrier_wait -1
	global_inv scope:SCOPE_SE
	s_clause 0x7
	scratch_load_b128 v[2:5], off, off offset:464
	scratch_load_b128 v[6:9], off, off offset:480
	;; [unrolled: 1-line block ×8, first 2 shown]
	v_mov_b32_e32 v1, 0
	s_mov_b32 s0, exec_lo
	ds_load_b128 v[34:37], v1 offset:1360
	s_clause 0x1
	scratch_load_b128 v[38:41], off, off offset:592
	scratch_load_b128 v[42:45], off, off offset:448
	ds_load_b128 v[161:164], v1 offset:1376
	scratch_load_b128 v[165:168], off, off offset:608
	s_wait_loadcnt_dscnt 0xa01
	v_mul_f64_e32 v[169:170], v[36:37], v[4:5]
	v_mul_f64_e32 v[4:5], v[34:35], v[4:5]
	s_delay_alu instid0(VALU_DEP_2) | instskip(NEXT) | instid1(VALU_DEP_2)
	v_fma_f64 v[175:176], v[34:35], v[2:3], -v[169:170]
	v_fma_f64 v[177:178], v[36:37], v[2:3], v[4:5]
	ds_load_b128 v[2:5], v1 offset:1392
	s_wait_loadcnt_dscnt 0x901
	v_mul_f64_e32 v[173:174], v[161:162], v[8:9]
	v_mul_f64_e32 v[8:9], v[163:164], v[8:9]
	scratch_load_b128 v[34:37], off, off offset:624
	ds_load_b128 v[169:172], v1 offset:1408
	s_wait_loadcnt_dscnt 0x901
	v_mul_f64_e32 v[179:180], v[2:3], v[12:13]
	v_mul_f64_e32 v[12:13], v[4:5], v[12:13]
	v_fma_f64 v[163:164], v[163:164], v[6:7], v[173:174]
	v_fma_f64 v[161:162], v[161:162], v[6:7], -v[8:9]
	v_add_f64_e32 v[173:174], 0, v[175:176]
	v_add_f64_e32 v[175:176], 0, v[177:178]
	scratch_load_b128 v[6:9], off, off offset:640
	v_fma_f64 v[179:180], v[4:5], v[10:11], v[179:180]
	v_fma_f64 v[181:182], v[2:3], v[10:11], -v[12:13]
	ds_load_b128 v[2:5], v1 offset:1424
	s_wait_loadcnt_dscnt 0x901
	v_mul_f64_e32 v[177:178], v[169:170], v[16:17]
	v_mul_f64_e32 v[16:17], v[171:172], v[16:17]
	scratch_load_b128 v[10:13], off, off offset:656
	v_add_f64_e32 v[173:174], v[173:174], v[161:162]
	v_add_f64_e32 v[175:176], v[175:176], v[163:164]
	s_wait_loadcnt_dscnt 0x900
	v_mul_f64_e32 v[183:184], v[2:3], v[20:21]
	v_mul_f64_e32 v[20:21], v[4:5], v[20:21]
	ds_load_b128 v[161:164], v1 offset:1440
	v_fma_f64 v[171:172], v[171:172], v[14:15], v[177:178]
	v_fma_f64 v[169:170], v[169:170], v[14:15], -v[16:17]
	scratch_load_b128 v[14:17], off, off offset:672
	v_add_f64_e32 v[173:174], v[173:174], v[181:182]
	v_add_f64_e32 v[175:176], v[175:176], v[179:180]
	v_fma_f64 v[179:180], v[4:5], v[18:19], v[183:184]
	v_fma_f64 v[181:182], v[2:3], v[18:19], -v[20:21]
	ds_load_b128 v[2:5], v1 offset:1456
	s_wait_loadcnt_dscnt 0x901
	v_mul_f64_e32 v[177:178], v[161:162], v[24:25]
	v_mul_f64_e32 v[24:25], v[163:164], v[24:25]
	scratch_load_b128 v[18:21], off, off offset:688
	s_wait_loadcnt_dscnt 0x900
	v_mul_f64_e32 v[183:184], v[2:3], v[28:29]
	v_mul_f64_e32 v[28:29], v[4:5], v[28:29]
	v_add_f64_e32 v[173:174], v[173:174], v[169:170]
	v_add_f64_e32 v[175:176], v[175:176], v[171:172]
	ds_load_b128 v[169:172], v1 offset:1472
	v_fma_f64 v[163:164], v[163:164], v[22:23], v[177:178]
	v_fma_f64 v[161:162], v[161:162], v[22:23], -v[24:25]
	scratch_load_b128 v[22:25], off, off offset:704
	v_add_f64_e32 v[173:174], v[173:174], v[181:182]
	v_add_f64_e32 v[175:176], v[175:176], v[179:180]
	v_fma_f64 v[179:180], v[4:5], v[26:27], v[183:184]
	v_fma_f64 v[181:182], v[2:3], v[26:27], -v[28:29]
	ds_load_b128 v[2:5], v1 offset:1488
	s_wait_loadcnt_dscnt 0x901
	v_mul_f64_e32 v[177:178], v[169:170], v[32:33]
	v_mul_f64_e32 v[32:33], v[171:172], v[32:33]
	scratch_load_b128 v[26:29], off, off offset:720
	s_wait_loadcnt_dscnt 0x900
	v_mul_f64_e32 v[183:184], v[2:3], v[40:41]
	v_mul_f64_e32 v[40:41], v[4:5], v[40:41]
	v_add_f64_e32 v[173:174], v[173:174], v[161:162]
	v_add_f64_e32 v[175:176], v[175:176], v[163:164]
	ds_load_b128 v[161:164], v1 offset:1504
	v_fma_f64 v[171:172], v[171:172], v[30:31], v[177:178]
	v_fma_f64 v[169:170], v[169:170], v[30:31], -v[32:33]
	scratch_load_b128 v[30:33], off, off offset:736
	v_add_f64_e32 v[173:174], v[173:174], v[181:182]
	v_add_f64_e32 v[175:176], v[175:176], v[179:180]
	v_fma_f64 v[181:182], v[4:5], v[38:39], v[183:184]
	v_fma_f64 v[183:184], v[2:3], v[38:39], -v[40:41]
	ds_load_b128 v[2:5], v1 offset:1520
	s_wait_loadcnt_dscnt 0x801
	v_mul_f64_e32 v[177:178], v[161:162], v[167:168]
	v_mul_f64_e32 v[179:180], v[163:164], v[167:168]
	scratch_load_b128 v[38:41], off, off offset:752
	v_add_f64_e32 v[173:174], v[173:174], v[169:170]
	v_add_f64_e32 v[171:172], v[175:176], v[171:172]
	ds_load_b128 v[167:170], v1 offset:1536
	v_fma_f64 v[177:178], v[163:164], v[165:166], v[177:178]
	v_fma_f64 v[165:166], v[161:162], v[165:166], -v[179:180]
	scratch_load_b128 v[161:164], off, off offset:768
	s_wait_loadcnt_dscnt 0x901
	v_mul_f64_e32 v[175:176], v[2:3], v[36:37]
	v_mul_f64_e32 v[36:37], v[4:5], v[36:37]
	v_add_f64_e32 v[173:174], v[173:174], v[183:184]
	v_add_f64_e32 v[171:172], v[171:172], v[181:182]
	s_delay_alu instid0(VALU_DEP_4) | instskip(NEXT) | instid1(VALU_DEP_4)
	v_fma_f64 v[175:176], v[4:5], v[34:35], v[175:176]
	v_fma_f64 v[181:182], v[2:3], v[34:35], -v[36:37]
	ds_load_b128 v[2:5], v1 offset:1552
	s_wait_loadcnt_dscnt 0x801
	v_mul_f64_e32 v[179:180], v[167:168], v[8:9]
	v_mul_f64_e32 v[8:9], v[169:170], v[8:9]
	scratch_load_b128 v[34:37], off, off offset:784
	s_wait_loadcnt_dscnt 0x800
	v_mul_f64_e32 v[183:184], v[2:3], v[12:13]
	v_add_f64_e32 v[165:166], v[173:174], v[165:166]
	v_add_f64_e32 v[177:178], v[171:172], v[177:178]
	v_mul_f64_e32 v[12:13], v[4:5], v[12:13]
	ds_load_b128 v[171:174], v1 offset:1568
	v_fma_f64 v[169:170], v[169:170], v[6:7], v[179:180]
	v_fma_f64 v[167:168], v[167:168], v[6:7], -v[8:9]
	scratch_load_b128 v[6:9], off, off offset:800
	v_fma_f64 v[179:180], v[4:5], v[10:11], v[183:184]
	v_add_f64_e32 v[165:166], v[165:166], v[181:182]
	v_add_f64_e32 v[175:176], v[177:178], v[175:176]
	v_fma_f64 v[181:182], v[2:3], v[10:11], -v[12:13]
	ds_load_b128 v[2:5], v1 offset:1584
	s_wait_loadcnt_dscnt 0x801
	v_mul_f64_e32 v[177:178], v[171:172], v[16:17]
	v_mul_f64_e32 v[16:17], v[173:174], v[16:17]
	scratch_load_b128 v[10:13], off, off offset:816
	v_add_f64_e32 v[183:184], v[165:166], v[167:168]
	v_add_f64_e32 v[169:170], v[175:176], v[169:170]
	s_wait_loadcnt_dscnt 0x800
	v_mul_f64_e32 v[175:176], v[2:3], v[20:21]
	v_mul_f64_e32 v[20:21], v[4:5], v[20:21]
	v_fma_f64 v[173:174], v[173:174], v[14:15], v[177:178]
	v_fma_f64 v[171:172], v[171:172], v[14:15], -v[16:17]
	ds_load_b128 v[165:168], v1 offset:1600
	scratch_load_b128 v[14:17], off, off offset:832
	v_add_f64_e32 v[177:178], v[183:184], v[181:182]
	v_add_f64_e32 v[169:170], v[169:170], v[179:180]
	v_fma_f64 v[175:176], v[4:5], v[18:19], v[175:176]
	v_fma_f64 v[181:182], v[2:3], v[18:19], -v[20:21]
	ds_load_b128 v[2:5], v1 offset:1616
	s_wait_loadcnt_dscnt 0x801
	v_mul_f64_e32 v[179:180], v[165:166], v[24:25]
	v_mul_f64_e32 v[24:25], v[167:168], v[24:25]
	scratch_load_b128 v[18:21], off, off offset:848
	s_wait_loadcnt_dscnt 0x800
	v_mul_f64_e32 v[183:184], v[2:3], v[28:29]
	v_mul_f64_e32 v[28:29], v[4:5], v[28:29]
	v_add_f64_e32 v[177:178], v[177:178], v[171:172]
	v_add_f64_e32 v[173:174], v[169:170], v[173:174]
	ds_load_b128 v[169:172], v1 offset:1632
	v_fma_f64 v[167:168], v[167:168], v[22:23], v[179:180]
	v_fma_f64 v[165:166], v[165:166], v[22:23], -v[24:25]
	scratch_load_b128 v[22:25], off, off offset:864
	v_fma_f64 v[179:180], v[4:5], v[26:27], v[183:184]
	v_add_f64_e32 v[177:178], v[177:178], v[181:182]
	v_add_f64_e32 v[173:174], v[173:174], v[175:176]
	v_fma_f64 v[181:182], v[2:3], v[26:27], -v[28:29]
	ds_load_b128 v[2:5], v1 offset:1648
	s_wait_loadcnt_dscnt 0x801
	v_mul_f64_e32 v[175:176], v[169:170], v[32:33]
	v_mul_f64_e32 v[32:33], v[171:172], v[32:33]
	scratch_load_b128 v[26:29], off, off offset:880
	s_wait_loadcnt_dscnt 0x800
	v_mul_f64_e32 v[183:184], v[2:3], v[40:41]
	v_mul_f64_e32 v[40:41], v[4:5], v[40:41]
	v_add_f64_e32 v[177:178], v[177:178], v[165:166]
	v_add_f64_e32 v[173:174], v[173:174], v[167:168]
	ds_load_b128 v[165:168], v1 offset:1664
	v_fma_f64 v[171:172], v[171:172], v[30:31], v[175:176]
	v_fma_f64 v[169:170], v[169:170], v[30:31], -v[32:33]
	scratch_load_b128 v[30:33], off, off offset:896
	v_add_f64_e32 v[175:176], v[177:178], v[181:182]
	v_add_f64_e32 v[173:174], v[173:174], v[179:180]
	v_fma_f64 v[179:180], v[4:5], v[38:39], v[183:184]
	v_fma_f64 v[181:182], v[2:3], v[38:39], -v[40:41]
	ds_load_b128 v[2:5], v1 offset:1680
	s_wait_loadcnt_dscnt 0x801
	v_mul_f64_e32 v[177:178], v[165:166], v[163:164]
	v_mul_f64_e32 v[163:164], v[167:168], v[163:164]
	scratch_load_b128 v[38:41], off, off offset:912
	s_wait_loadcnt_dscnt 0x800
	v_mul_f64_e32 v[183:184], v[2:3], v[36:37]
	v_mul_f64_e32 v[36:37], v[4:5], v[36:37]
	v_add_f64_e32 v[175:176], v[175:176], v[169:170]
	v_add_f64_e32 v[173:174], v[173:174], v[171:172]
	ds_load_b128 v[169:172], v1 offset:1696
	v_fma_f64 v[167:168], v[167:168], v[161:162], v[177:178]
	v_fma_f64 v[161:162], v[165:166], v[161:162], -v[163:164]
	v_fma_f64 v[177:178], v[2:3], v[34:35], -v[36:37]
	v_add_f64_e32 v[163:164], v[175:176], v[181:182]
	v_add_f64_e32 v[165:166], v[173:174], v[179:180]
	s_wait_loadcnt_dscnt 0x700
	v_mul_f64_e32 v[173:174], v[169:170], v[8:9]
	v_mul_f64_e32 v[8:9], v[171:172], v[8:9]
	v_fma_f64 v[175:176], v[4:5], v[34:35], v[183:184]
	ds_load_b128 v[2:5], v1 offset:1712
	ds_load_b128 v[34:37], v1 offset:1728
	v_add_f64_e32 v[161:162], v[163:164], v[161:162]
	v_add_f64_e32 v[163:164], v[165:166], v[167:168]
	s_wait_loadcnt_dscnt 0x601
	v_mul_f64_e32 v[165:166], v[2:3], v[12:13]
	v_mul_f64_e32 v[12:13], v[4:5], v[12:13]
	v_fma_f64 v[167:168], v[171:172], v[6:7], v[173:174]
	v_fma_f64 v[6:7], v[169:170], v[6:7], -v[8:9]
	v_add_f64_e32 v[8:9], v[161:162], v[177:178]
	v_add_f64_e32 v[161:162], v[163:164], v[175:176]
	s_wait_loadcnt_dscnt 0x500
	v_mul_f64_e32 v[163:164], v[34:35], v[16:17]
	v_mul_f64_e32 v[16:17], v[36:37], v[16:17]
	v_fma_f64 v[165:166], v[4:5], v[10:11], v[165:166]
	v_fma_f64 v[10:11], v[2:3], v[10:11], -v[12:13]
	v_add_f64_e32 v[12:13], v[8:9], v[6:7]
	v_add_f64_e32 v[161:162], v[161:162], v[167:168]
	ds_load_b128 v[2:5], v1 offset:1744
	ds_load_b128 v[6:9], v1 offset:1760
	v_fma_f64 v[36:37], v[36:37], v[14:15], v[163:164]
	v_fma_f64 v[14:15], v[34:35], v[14:15], -v[16:17]
	s_wait_loadcnt_dscnt 0x401
	v_mul_f64_e32 v[167:168], v[2:3], v[20:21]
	v_mul_f64_e32 v[20:21], v[4:5], v[20:21]
	s_wait_loadcnt_dscnt 0x300
	v_mul_f64_e32 v[16:17], v[6:7], v[24:25]
	v_mul_f64_e32 v[24:25], v[8:9], v[24:25]
	v_add_f64_e32 v[10:11], v[12:13], v[10:11]
	v_add_f64_e32 v[12:13], v[161:162], v[165:166]
	v_fma_f64 v[34:35], v[4:5], v[18:19], v[167:168]
	v_fma_f64 v[18:19], v[2:3], v[18:19], -v[20:21]
	v_fma_f64 v[8:9], v[8:9], v[22:23], v[16:17]
	v_fma_f64 v[6:7], v[6:7], v[22:23], -v[24:25]
	v_add_f64_e32 v[14:15], v[10:11], v[14:15]
	v_add_f64_e32 v[20:21], v[12:13], v[36:37]
	ds_load_b128 v[2:5], v1 offset:1776
	ds_load_b128 v[10:13], v1 offset:1792
	s_wait_loadcnt_dscnt 0x201
	v_mul_f64_e32 v[36:37], v[2:3], v[28:29]
	v_mul_f64_e32 v[28:29], v[4:5], v[28:29]
	v_add_f64_e32 v[14:15], v[14:15], v[18:19]
	v_add_f64_e32 v[16:17], v[20:21], v[34:35]
	s_wait_loadcnt_dscnt 0x100
	v_mul_f64_e32 v[18:19], v[10:11], v[32:33]
	v_mul_f64_e32 v[20:21], v[12:13], v[32:33]
	v_fma_f64 v[22:23], v[4:5], v[26:27], v[36:37]
	v_fma_f64 v[24:25], v[2:3], v[26:27], -v[28:29]
	ds_load_b128 v[2:5], v1 offset:1808
	v_add_f64_e32 v[6:7], v[14:15], v[6:7]
	v_add_f64_e32 v[8:9], v[16:17], v[8:9]
	v_fma_f64 v[12:13], v[12:13], v[30:31], v[18:19]
	v_fma_f64 v[10:11], v[10:11], v[30:31], -v[20:21]
	s_wait_loadcnt_dscnt 0x0
	v_mul_f64_e32 v[14:15], v[2:3], v[40:41]
	v_mul_f64_e32 v[16:17], v[4:5], v[40:41]
	v_add_f64_e32 v[6:7], v[6:7], v[24:25]
	v_add_f64_e32 v[8:9], v[8:9], v[22:23]
	s_delay_alu instid0(VALU_DEP_4) | instskip(NEXT) | instid1(VALU_DEP_4)
	v_fma_f64 v[4:5], v[4:5], v[38:39], v[14:15]
	v_fma_f64 v[2:3], v[2:3], v[38:39], -v[16:17]
	s_delay_alu instid0(VALU_DEP_4) | instskip(NEXT) | instid1(VALU_DEP_4)
	v_add_f64_e32 v[6:7], v[6:7], v[10:11]
	v_add_f64_e32 v[8:9], v[8:9], v[12:13]
	s_delay_alu instid0(VALU_DEP_2) | instskip(NEXT) | instid1(VALU_DEP_2)
	v_add_f64_e32 v[2:3], v[6:7], v[2:3]
	v_add_f64_e32 v[4:5], v[8:9], v[4:5]
	s_delay_alu instid0(VALU_DEP_2) | instskip(NEXT) | instid1(VALU_DEP_2)
	v_add_f64_e64 v[2:3], v[42:43], -v[2:3]
	v_add_f64_e64 v[4:5], v[44:45], -v[4:5]
	scratch_store_b128 off, v[2:5], off offset:448
	v_cmpx_lt_u32_e32 26, v0
	s_cbranch_execz .LBB120_303
; %bb.302:
	scratch_load_b128 v[5:8], off, s44
	v_dual_mov_b32 v2, v1 :: v_dual_mov_b32 v3, v1
	v_mov_b32_e32 v4, v1
	scratch_store_b128 off, v[1:4], off offset:432
	s_wait_loadcnt 0x0
	ds_store_b128 v160, v[5:8]
.LBB120_303:
	s_wait_alu 0xfffe
	s_or_b32 exec_lo, exec_lo, s0
	s_wait_storecnt_dscnt 0x0
	s_barrier_signal -1
	s_barrier_wait -1
	global_inv scope:SCOPE_SE
	s_clause 0x8
	scratch_load_b128 v[2:5], off, off offset:448
	scratch_load_b128 v[6:9], off, off offset:464
	;; [unrolled: 1-line block ×9, first 2 shown]
	ds_load_b128 v[38:41], v1 offset:1344
	ds_load_b128 v[42:45], v1 offset:1360
	s_clause 0x1
	scratch_load_b128 v[161:164], off, off offset:432
	scratch_load_b128 v[165:168], off, off offset:592
	s_mov_b32 s0, exec_lo
	s_wait_loadcnt_dscnt 0xa01
	v_mul_f64_e32 v[169:170], v[40:41], v[4:5]
	v_mul_f64_e32 v[4:5], v[38:39], v[4:5]
	s_wait_loadcnt_dscnt 0x900
	v_mul_f64_e32 v[173:174], v[42:43], v[8:9]
	v_mul_f64_e32 v[8:9], v[44:45], v[8:9]
	s_delay_alu instid0(VALU_DEP_4) | instskip(NEXT) | instid1(VALU_DEP_4)
	v_fma_f64 v[175:176], v[38:39], v[2:3], -v[169:170]
	v_fma_f64 v[177:178], v[40:41], v[2:3], v[4:5]
	ds_load_b128 v[2:5], v1 offset:1376
	ds_load_b128 v[169:172], v1 offset:1392
	scratch_load_b128 v[38:41], off, off offset:608
	v_fma_f64 v[44:45], v[44:45], v[6:7], v[173:174]
	v_fma_f64 v[42:43], v[42:43], v[6:7], -v[8:9]
	scratch_load_b128 v[6:9], off, off offset:624
	s_wait_loadcnt_dscnt 0xa01
	v_mul_f64_e32 v[179:180], v[2:3], v[12:13]
	v_mul_f64_e32 v[12:13], v[4:5], v[12:13]
	v_add_f64_e32 v[173:174], 0, v[175:176]
	v_add_f64_e32 v[175:176], 0, v[177:178]
	s_wait_loadcnt_dscnt 0x900
	v_mul_f64_e32 v[177:178], v[169:170], v[16:17]
	v_mul_f64_e32 v[16:17], v[171:172], v[16:17]
	v_fma_f64 v[179:180], v[4:5], v[10:11], v[179:180]
	v_fma_f64 v[181:182], v[2:3], v[10:11], -v[12:13]
	ds_load_b128 v[2:5], v1 offset:1408
	scratch_load_b128 v[10:13], off, off offset:640
	v_add_f64_e32 v[173:174], v[173:174], v[42:43]
	v_add_f64_e32 v[175:176], v[175:176], v[44:45]
	ds_load_b128 v[42:45], v1 offset:1424
	v_fma_f64 v[171:172], v[171:172], v[14:15], v[177:178]
	v_fma_f64 v[169:170], v[169:170], v[14:15], -v[16:17]
	scratch_load_b128 v[14:17], off, off offset:656
	s_wait_loadcnt_dscnt 0xa01
	v_mul_f64_e32 v[183:184], v[2:3], v[20:21]
	v_mul_f64_e32 v[20:21], v[4:5], v[20:21]
	s_wait_loadcnt_dscnt 0x900
	v_mul_f64_e32 v[177:178], v[42:43], v[24:25]
	v_mul_f64_e32 v[24:25], v[44:45], v[24:25]
	v_add_f64_e32 v[173:174], v[173:174], v[181:182]
	v_add_f64_e32 v[175:176], v[175:176], v[179:180]
	v_fma_f64 v[179:180], v[4:5], v[18:19], v[183:184]
	v_fma_f64 v[181:182], v[2:3], v[18:19], -v[20:21]
	ds_load_b128 v[2:5], v1 offset:1440
	scratch_load_b128 v[18:21], off, off offset:672
	v_fma_f64 v[44:45], v[44:45], v[22:23], v[177:178]
	v_fma_f64 v[42:43], v[42:43], v[22:23], -v[24:25]
	scratch_load_b128 v[22:25], off, off offset:688
	v_add_f64_e32 v[173:174], v[173:174], v[169:170]
	v_add_f64_e32 v[175:176], v[175:176], v[171:172]
	ds_load_b128 v[169:172], v1 offset:1456
	s_wait_loadcnt_dscnt 0xa01
	v_mul_f64_e32 v[183:184], v[2:3], v[28:29]
	v_mul_f64_e32 v[28:29], v[4:5], v[28:29]
	s_wait_loadcnt_dscnt 0x900
	v_mul_f64_e32 v[177:178], v[169:170], v[32:33]
	v_mul_f64_e32 v[32:33], v[171:172], v[32:33]
	v_add_f64_e32 v[173:174], v[173:174], v[181:182]
	v_add_f64_e32 v[175:176], v[175:176], v[179:180]
	v_fma_f64 v[179:180], v[4:5], v[26:27], v[183:184]
	v_fma_f64 v[181:182], v[2:3], v[26:27], -v[28:29]
	ds_load_b128 v[2:5], v1 offset:1472
	scratch_load_b128 v[26:29], off, off offset:704
	v_fma_f64 v[171:172], v[171:172], v[30:31], v[177:178]
	v_fma_f64 v[169:170], v[169:170], v[30:31], -v[32:33]
	scratch_load_b128 v[30:33], off, off offset:720
	v_add_f64_e32 v[173:174], v[173:174], v[42:43]
	v_add_f64_e32 v[175:176], v[175:176], v[44:45]
	ds_load_b128 v[42:45], v1 offset:1488
	s_wait_loadcnt_dscnt 0xa01
	v_mul_f64_e32 v[183:184], v[2:3], v[36:37]
	v_mul_f64_e32 v[36:37], v[4:5], v[36:37]
	s_wait_loadcnt_dscnt 0x800
	v_mul_f64_e32 v[177:178], v[42:43], v[167:168]
	v_add_f64_e32 v[173:174], v[173:174], v[181:182]
	v_add_f64_e32 v[175:176], v[175:176], v[179:180]
	v_mul_f64_e32 v[179:180], v[44:45], v[167:168]
	v_fma_f64 v[181:182], v[4:5], v[34:35], v[183:184]
	v_fma_f64 v[183:184], v[2:3], v[34:35], -v[36:37]
	ds_load_b128 v[2:5], v1 offset:1504
	scratch_load_b128 v[34:37], off, off offset:736
	v_fma_f64 v[44:45], v[44:45], v[165:166], v[177:178]
	v_add_f64_e32 v[173:174], v[173:174], v[169:170]
	v_add_f64_e32 v[171:172], v[175:176], v[171:172]
	ds_load_b128 v[167:170], v1 offset:1520
	v_fma_f64 v[165:166], v[42:43], v[165:166], -v[179:180]
	s_wait_loadcnt_dscnt 0x801
	v_mul_f64_e32 v[175:176], v[2:3], v[40:41]
	v_mul_f64_e32 v[185:186], v[4:5], v[40:41]
	scratch_load_b128 v[40:43], off, off offset:752
	s_wait_loadcnt_dscnt 0x800
	v_mul_f64_e32 v[179:180], v[167:168], v[8:9]
	v_mul_f64_e32 v[8:9], v[169:170], v[8:9]
	v_add_f64_e32 v[173:174], v[173:174], v[183:184]
	v_add_f64_e32 v[171:172], v[171:172], v[181:182]
	v_fma_f64 v[181:182], v[4:5], v[38:39], v[175:176]
	v_fma_f64 v[38:39], v[2:3], v[38:39], -v[185:186]
	ds_load_b128 v[2:5], v1 offset:1536
	ds_load_b128 v[175:178], v1 offset:1552
	v_fma_f64 v[169:170], v[169:170], v[6:7], v[179:180]
	v_fma_f64 v[167:168], v[167:168], v[6:7], -v[8:9]
	scratch_load_b128 v[6:9], off, off offset:784
	v_add_f64_e32 v[165:166], v[173:174], v[165:166]
	v_add_f64_e32 v[44:45], v[171:172], v[44:45]
	scratch_load_b128 v[171:174], off, off offset:768
	s_wait_loadcnt_dscnt 0x901
	v_mul_f64_e32 v[183:184], v[2:3], v[12:13]
	v_mul_f64_e32 v[12:13], v[4:5], v[12:13]
	s_wait_loadcnt_dscnt 0x800
	v_mul_f64_e32 v[179:180], v[175:176], v[16:17]
	v_mul_f64_e32 v[16:17], v[177:178], v[16:17]
	v_add_f64_e32 v[38:39], v[165:166], v[38:39]
	v_add_f64_e32 v[44:45], v[44:45], v[181:182]
	v_fma_f64 v[181:182], v[4:5], v[10:11], v[183:184]
	v_fma_f64 v[183:184], v[2:3], v[10:11], -v[12:13]
	ds_load_b128 v[2:5], v1 offset:1568
	scratch_load_b128 v[10:13], off, off offset:800
	v_fma_f64 v[177:178], v[177:178], v[14:15], v[179:180]
	v_fma_f64 v[175:176], v[175:176], v[14:15], -v[16:17]
	scratch_load_b128 v[14:17], off, off offset:816
	v_add_f64_e32 v[38:39], v[38:39], v[167:168]
	v_add_f64_e32 v[44:45], v[44:45], v[169:170]
	ds_load_b128 v[165:168], v1 offset:1584
	s_wait_loadcnt_dscnt 0x901
	v_mul_f64_e32 v[169:170], v[2:3], v[20:21]
	v_mul_f64_e32 v[20:21], v[4:5], v[20:21]
	s_wait_loadcnt_dscnt 0x800
	v_mul_f64_e32 v[179:180], v[165:166], v[24:25]
	v_mul_f64_e32 v[24:25], v[167:168], v[24:25]
	v_add_f64_e32 v[38:39], v[38:39], v[183:184]
	v_add_f64_e32 v[44:45], v[44:45], v[181:182]
	v_fma_f64 v[169:170], v[4:5], v[18:19], v[169:170]
	v_fma_f64 v[181:182], v[2:3], v[18:19], -v[20:21]
	ds_load_b128 v[2:5], v1 offset:1600
	scratch_load_b128 v[18:21], off, off offset:832
	v_fma_f64 v[167:168], v[167:168], v[22:23], v[179:180]
	v_fma_f64 v[165:166], v[165:166], v[22:23], -v[24:25]
	scratch_load_b128 v[22:25], off, off offset:848
	v_add_f64_e32 v[38:39], v[38:39], v[175:176]
	v_add_f64_e32 v[44:45], v[44:45], v[177:178]
	ds_load_b128 v[175:178], v1 offset:1616
	s_wait_loadcnt_dscnt 0x901
	v_mul_f64_e32 v[183:184], v[2:3], v[28:29]
	v_mul_f64_e32 v[28:29], v[4:5], v[28:29]
	v_add_f64_e32 v[38:39], v[38:39], v[181:182]
	v_add_f64_e32 v[44:45], v[44:45], v[169:170]
	s_wait_loadcnt_dscnt 0x800
	v_mul_f64_e32 v[169:170], v[175:176], v[32:33]
	v_mul_f64_e32 v[32:33], v[177:178], v[32:33]
	v_fma_f64 v[179:180], v[4:5], v[26:27], v[183:184]
	v_fma_f64 v[181:182], v[2:3], v[26:27], -v[28:29]
	ds_load_b128 v[2:5], v1 offset:1632
	scratch_load_b128 v[26:29], off, off offset:864
	v_add_f64_e32 v[38:39], v[38:39], v[165:166]
	v_add_f64_e32 v[44:45], v[44:45], v[167:168]
	ds_load_b128 v[165:168], v1 offset:1648
	s_wait_loadcnt_dscnt 0x801
	v_mul_f64_e32 v[183:184], v[2:3], v[36:37]
	v_mul_f64_e32 v[36:37], v[4:5], v[36:37]
	v_fma_f64 v[169:170], v[177:178], v[30:31], v[169:170]
	v_fma_f64 v[175:176], v[175:176], v[30:31], -v[32:33]
	scratch_load_b128 v[30:33], off, off offset:880
	s_wait_loadcnt_dscnt 0x800
	v_mul_f64_e32 v[177:178], v[165:166], v[42:43]
	v_add_f64_e32 v[38:39], v[38:39], v[181:182]
	v_add_f64_e32 v[44:45], v[44:45], v[179:180]
	v_mul_f64_e32 v[179:180], v[167:168], v[42:43]
	v_fma_f64 v[181:182], v[4:5], v[34:35], v[183:184]
	v_fma_f64 v[183:184], v[2:3], v[34:35], -v[36:37]
	ds_load_b128 v[2:5], v1 offset:1664
	scratch_load_b128 v[34:37], off, off offset:896
	v_fma_f64 v[167:168], v[167:168], v[40:41], v[177:178]
	v_add_f64_e32 v[38:39], v[38:39], v[175:176]
	v_add_f64_e32 v[169:170], v[44:45], v[169:170]
	ds_load_b128 v[42:45], v1 offset:1680
	v_fma_f64 v[165:166], v[165:166], v[40:41], -v[179:180]
	s_wait_loadcnt_dscnt 0x701
	v_mul_f64_e32 v[175:176], v[2:3], v[173:174]
	v_mul_f64_e32 v[173:174], v[4:5], v[173:174]
	s_wait_dscnt 0x0
	v_mul_f64_e32 v[179:180], v[42:43], v[8:9]
	v_mul_f64_e32 v[8:9], v[44:45], v[8:9]
	v_add_f64_e32 v[177:178], v[38:39], v[183:184]
	v_add_f64_e32 v[169:170], v[169:170], v[181:182]
	scratch_load_b128 v[38:41], off, off offset:912
	v_fma_f64 v[175:176], v[4:5], v[171:172], v[175:176]
	v_fma_f64 v[171:172], v[2:3], v[171:172], -v[173:174]
	v_fma_f64 v[44:45], v[44:45], v[6:7], v[179:180]
	v_fma_f64 v[6:7], v[42:43], v[6:7], -v[8:9]
	v_add_f64_e32 v[173:174], v[177:178], v[165:166]
	v_add_f64_e32 v[169:170], v[169:170], v[167:168]
	ds_load_b128 v[2:5], v1 offset:1696
	ds_load_b128 v[165:168], v1 offset:1712
	s_wait_loadcnt_dscnt 0x701
	v_mul_f64_e32 v[177:178], v[2:3], v[12:13]
	v_mul_f64_e32 v[12:13], v[4:5], v[12:13]
	v_add_f64_e32 v[8:9], v[173:174], v[171:172]
	v_add_f64_e32 v[42:43], v[169:170], v[175:176]
	s_wait_loadcnt_dscnt 0x600
	v_mul_f64_e32 v[169:170], v[165:166], v[16:17]
	v_mul_f64_e32 v[16:17], v[167:168], v[16:17]
	v_fma_f64 v[171:172], v[4:5], v[10:11], v[177:178]
	v_fma_f64 v[10:11], v[2:3], v[10:11], -v[12:13]
	v_add_f64_e32 v[12:13], v[8:9], v[6:7]
	v_add_f64_e32 v[42:43], v[42:43], v[44:45]
	ds_load_b128 v[2:5], v1 offset:1728
	ds_load_b128 v[6:9], v1 offset:1744
	v_fma_f64 v[167:168], v[167:168], v[14:15], v[169:170]
	v_fma_f64 v[14:15], v[165:166], v[14:15], -v[16:17]
	s_wait_loadcnt_dscnt 0x501
	v_mul_f64_e32 v[44:45], v[2:3], v[20:21]
	v_mul_f64_e32 v[20:21], v[4:5], v[20:21]
	s_wait_loadcnt_dscnt 0x400
	v_mul_f64_e32 v[16:17], v[6:7], v[24:25]
	v_mul_f64_e32 v[24:25], v[8:9], v[24:25]
	v_add_f64_e32 v[10:11], v[12:13], v[10:11]
	v_add_f64_e32 v[12:13], v[42:43], v[171:172]
	v_fma_f64 v[42:43], v[4:5], v[18:19], v[44:45]
	v_fma_f64 v[18:19], v[2:3], v[18:19], -v[20:21]
	v_fma_f64 v[8:9], v[8:9], v[22:23], v[16:17]
	v_fma_f64 v[6:7], v[6:7], v[22:23], -v[24:25]
	v_add_f64_e32 v[14:15], v[10:11], v[14:15]
	v_add_f64_e32 v[20:21], v[12:13], v[167:168]
	ds_load_b128 v[2:5], v1 offset:1760
	ds_load_b128 v[10:13], v1 offset:1776
	s_wait_loadcnt_dscnt 0x301
	v_mul_f64_e32 v[44:45], v[2:3], v[28:29]
	v_mul_f64_e32 v[28:29], v[4:5], v[28:29]
	v_add_f64_e32 v[14:15], v[14:15], v[18:19]
	v_add_f64_e32 v[16:17], v[20:21], v[42:43]
	s_wait_loadcnt_dscnt 0x200
	v_mul_f64_e32 v[18:19], v[10:11], v[32:33]
	v_mul_f64_e32 v[20:21], v[12:13], v[32:33]
	v_fma_f64 v[22:23], v[4:5], v[26:27], v[44:45]
	v_fma_f64 v[24:25], v[2:3], v[26:27], -v[28:29]
	v_add_f64_e32 v[14:15], v[14:15], v[6:7]
	v_add_f64_e32 v[16:17], v[16:17], v[8:9]
	ds_load_b128 v[2:5], v1 offset:1792
	ds_load_b128 v[6:9], v1 offset:1808
	v_fma_f64 v[12:13], v[12:13], v[30:31], v[18:19]
	v_fma_f64 v[10:11], v[10:11], v[30:31], -v[20:21]
	s_wait_loadcnt_dscnt 0x101
	v_mul_f64_e32 v[26:27], v[2:3], v[36:37]
	v_mul_f64_e32 v[28:29], v[4:5], v[36:37]
	v_add_f64_e32 v[14:15], v[14:15], v[24:25]
	v_add_f64_e32 v[16:17], v[16:17], v[22:23]
	s_wait_loadcnt_dscnt 0x0
	v_mul_f64_e32 v[18:19], v[6:7], v[40:41]
	v_mul_f64_e32 v[20:21], v[8:9], v[40:41]
	v_fma_f64 v[4:5], v[4:5], v[34:35], v[26:27]
	v_fma_f64 v[1:2], v[2:3], v[34:35], -v[28:29]
	v_add_f64_e32 v[10:11], v[14:15], v[10:11]
	v_add_f64_e32 v[12:13], v[16:17], v[12:13]
	v_fma_f64 v[8:9], v[8:9], v[38:39], v[18:19]
	v_fma_f64 v[6:7], v[6:7], v[38:39], -v[20:21]
	s_delay_alu instid0(VALU_DEP_4) | instskip(NEXT) | instid1(VALU_DEP_4)
	v_add_f64_e32 v[1:2], v[10:11], v[1:2]
	v_add_f64_e32 v[3:4], v[12:13], v[4:5]
	s_delay_alu instid0(VALU_DEP_2) | instskip(NEXT) | instid1(VALU_DEP_2)
	v_add_f64_e32 v[1:2], v[1:2], v[6:7]
	v_add_f64_e32 v[3:4], v[3:4], v[8:9]
	s_delay_alu instid0(VALU_DEP_2) | instskip(NEXT) | instid1(VALU_DEP_2)
	v_add_f64_e64 v[1:2], v[161:162], -v[1:2]
	v_add_f64_e64 v[3:4], v[163:164], -v[3:4]
	scratch_store_b128 off, v[1:4], off offset:432
	v_cmpx_lt_u32_e32 25, v0
	s_cbranch_execz .LBB120_305
; %bb.304:
	scratch_load_b128 v[1:4], off, s45
	v_mov_b32_e32 v5, 0
	s_delay_alu instid0(VALU_DEP_1)
	v_dual_mov_b32 v6, v5 :: v_dual_mov_b32 v7, v5
	v_mov_b32_e32 v8, v5
	scratch_store_b128 off, v[5:8], off offset:416
	s_wait_loadcnt 0x0
	ds_store_b128 v160, v[1:4]
.LBB120_305:
	s_wait_alu 0xfffe
	s_or_b32 exec_lo, exec_lo, s0
	s_wait_storecnt_dscnt 0x0
	s_barrier_signal -1
	s_barrier_wait -1
	global_inv scope:SCOPE_SE
	s_clause 0x7
	scratch_load_b128 v[2:5], off, off offset:432
	scratch_load_b128 v[6:9], off, off offset:448
	;; [unrolled: 1-line block ×8, first 2 shown]
	v_mov_b32_e32 v1, 0
	s_mov_b32 s0, exec_lo
	ds_load_b128 v[34:37], v1 offset:1328
	s_clause 0x1
	scratch_load_b128 v[38:41], off, off offset:560
	scratch_load_b128 v[42:45], off, off offset:416
	ds_load_b128 v[161:164], v1 offset:1344
	scratch_load_b128 v[165:168], off, off offset:576
	s_wait_loadcnt_dscnt 0xa01
	v_mul_f64_e32 v[169:170], v[36:37], v[4:5]
	v_mul_f64_e32 v[4:5], v[34:35], v[4:5]
	s_delay_alu instid0(VALU_DEP_2) | instskip(NEXT) | instid1(VALU_DEP_2)
	v_fma_f64 v[175:176], v[34:35], v[2:3], -v[169:170]
	v_fma_f64 v[177:178], v[36:37], v[2:3], v[4:5]
	ds_load_b128 v[2:5], v1 offset:1360
	s_wait_loadcnt_dscnt 0x901
	v_mul_f64_e32 v[173:174], v[161:162], v[8:9]
	v_mul_f64_e32 v[8:9], v[163:164], v[8:9]
	scratch_load_b128 v[34:37], off, off offset:592
	ds_load_b128 v[169:172], v1 offset:1376
	s_wait_loadcnt_dscnt 0x901
	v_mul_f64_e32 v[179:180], v[2:3], v[12:13]
	v_mul_f64_e32 v[12:13], v[4:5], v[12:13]
	v_fma_f64 v[163:164], v[163:164], v[6:7], v[173:174]
	v_fma_f64 v[161:162], v[161:162], v[6:7], -v[8:9]
	v_add_f64_e32 v[173:174], 0, v[175:176]
	v_add_f64_e32 v[175:176], 0, v[177:178]
	scratch_load_b128 v[6:9], off, off offset:608
	v_fma_f64 v[179:180], v[4:5], v[10:11], v[179:180]
	v_fma_f64 v[181:182], v[2:3], v[10:11], -v[12:13]
	ds_load_b128 v[2:5], v1 offset:1392
	s_wait_loadcnt_dscnt 0x901
	v_mul_f64_e32 v[177:178], v[169:170], v[16:17]
	v_mul_f64_e32 v[16:17], v[171:172], v[16:17]
	scratch_load_b128 v[10:13], off, off offset:624
	v_add_f64_e32 v[173:174], v[173:174], v[161:162]
	v_add_f64_e32 v[175:176], v[175:176], v[163:164]
	s_wait_loadcnt_dscnt 0x900
	v_mul_f64_e32 v[183:184], v[2:3], v[20:21]
	v_mul_f64_e32 v[20:21], v[4:5], v[20:21]
	ds_load_b128 v[161:164], v1 offset:1408
	v_fma_f64 v[171:172], v[171:172], v[14:15], v[177:178]
	v_fma_f64 v[169:170], v[169:170], v[14:15], -v[16:17]
	scratch_load_b128 v[14:17], off, off offset:640
	v_add_f64_e32 v[173:174], v[173:174], v[181:182]
	v_add_f64_e32 v[175:176], v[175:176], v[179:180]
	v_fma_f64 v[179:180], v[4:5], v[18:19], v[183:184]
	v_fma_f64 v[181:182], v[2:3], v[18:19], -v[20:21]
	ds_load_b128 v[2:5], v1 offset:1424
	s_wait_loadcnt_dscnt 0x901
	v_mul_f64_e32 v[177:178], v[161:162], v[24:25]
	v_mul_f64_e32 v[24:25], v[163:164], v[24:25]
	scratch_load_b128 v[18:21], off, off offset:656
	s_wait_loadcnt_dscnt 0x900
	v_mul_f64_e32 v[183:184], v[2:3], v[28:29]
	v_mul_f64_e32 v[28:29], v[4:5], v[28:29]
	v_add_f64_e32 v[173:174], v[173:174], v[169:170]
	v_add_f64_e32 v[175:176], v[175:176], v[171:172]
	ds_load_b128 v[169:172], v1 offset:1440
	v_fma_f64 v[163:164], v[163:164], v[22:23], v[177:178]
	v_fma_f64 v[161:162], v[161:162], v[22:23], -v[24:25]
	scratch_load_b128 v[22:25], off, off offset:672
	v_add_f64_e32 v[173:174], v[173:174], v[181:182]
	v_add_f64_e32 v[175:176], v[175:176], v[179:180]
	v_fma_f64 v[179:180], v[4:5], v[26:27], v[183:184]
	v_fma_f64 v[181:182], v[2:3], v[26:27], -v[28:29]
	ds_load_b128 v[2:5], v1 offset:1456
	s_wait_loadcnt_dscnt 0x901
	v_mul_f64_e32 v[177:178], v[169:170], v[32:33]
	v_mul_f64_e32 v[32:33], v[171:172], v[32:33]
	scratch_load_b128 v[26:29], off, off offset:688
	s_wait_loadcnt_dscnt 0x900
	v_mul_f64_e32 v[183:184], v[2:3], v[40:41]
	v_mul_f64_e32 v[40:41], v[4:5], v[40:41]
	v_add_f64_e32 v[173:174], v[173:174], v[161:162]
	v_add_f64_e32 v[175:176], v[175:176], v[163:164]
	ds_load_b128 v[161:164], v1 offset:1472
	v_fma_f64 v[171:172], v[171:172], v[30:31], v[177:178]
	v_fma_f64 v[169:170], v[169:170], v[30:31], -v[32:33]
	scratch_load_b128 v[30:33], off, off offset:704
	v_add_f64_e32 v[173:174], v[173:174], v[181:182]
	v_add_f64_e32 v[175:176], v[175:176], v[179:180]
	v_fma_f64 v[181:182], v[4:5], v[38:39], v[183:184]
	v_fma_f64 v[183:184], v[2:3], v[38:39], -v[40:41]
	ds_load_b128 v[2:5], v1 offset:1488
	s_wait_loadcnt_dscnt 0x801
	v_mul_f64_e32 v[177:178], v[161:162], v[167:168]
	v_mul_f64_e32 v[179:180], v[163:164], v[167:168]
	scratch_load_b128 v[38:41], off, off offset:720
	v_add_f64_e32 v[173:174], v[173:174], v[169:170]
	v_add_f64_e32 v[171:172], v[175:176], v[171:172]
	ds_load_b128 v[167:170], v1 offset:1504
	v_fma_f64 v[177:178], v[163:164], v[165:166], v[177:178]
	v_fma_f64 v[165:166], v[161:162], v[165:166], -v[179:180]
	scratch_load_b128 v[161:164], off, off offset:736
	s_wait_loadcnt_dscnt 0x901
	v_mul_f64_e32 v[175:176], v[2:3], v[36:37]
	v_mul_f64_e32 v[36:37], v[4:5], v[36:37]
	v_add_f64_e32 v[173:174], v[173:174], v[183:184]
	v_add_f64_e32 v[171:172], v[171:172], v[181:182]
	s_delay_alu instid0(VALU_DEP_4) | instskip(NEXT) | instid1(VALU_DEP_4)
	v_fma_f64 v[175:176], v[4:5], v[34:35], v[175:176]
	v_fma_f64 v[181:182], v[2:3], v[34:35], -v[36:37]
	ds_load_b128 v[2:5], v1 offset:1520
	s_wait_loadcnt_dscnt 0x801
	v_mul_f64_e32 v[179:180], v[167:168], v[8:9]
	v_mul_f64_e32 v[8:9], v[169:170], v[8:9]
	scratch_load_b128 v[34:37], off, off offset:752
	s_wait_loadcnt_dscnt 0x800
	v_mul_f64_e32 v[183:184], v[2:3], v[12:13]
	v_add_f64_e32 v[165:166], v[173:174], v[165:166]
	v_add_f64_e32 v[177:178], v[171:172], v[177:178]
	v_mul_f64_e32 v[12:13], v[4:5], v[12:13]
	ds_load_b128 v[171:174], v1 offset:1536
	v_fma_f64 v[169:170], v[169:170], v[6:7], v[179:180]
	v_fma_f64 v[167:168], v[167:168], v[6:7], -v[8:9]
	scratch_load_b128 v[6:9], off, off offset:768
	v_fma_f64 v[179:180], v[4:5], v[10:11], v[183:184]
	v_add_f64_e32 v[165:166], v[165:166], v[181:182]
	v_add_f64_e32 v[175:176], v[177:178], v[175:176]
	v_fma_f64 v[181:182], v[2:3], v[10:11], -v[12:13]
	ds_load_b128 v[2:5], v1 offset:1552
	s_wait_loadcnt_dscnt 0x801
	v_mul_f64_e32 v[177:178], v[171:172], v[16:17]
	v_mul_f64_e32 v[16:17], v[173:174], v[16:17]
	scratch_load_b128 v[10:13], off, off offset:784
	v_add_f64_e32 v[183:184], v[165:166], v[167:168]
	v_add_f64_e32 v[169:170], v[175:176], v[169:170]
	s_wait_loadcnt_dscnt 0x800
	v_mul_f64_e32 v[175:176], v[2:3], v[20:21]
	v_mul_f64_e32 v[20:21], v[4:5], v[20:21]
	v_fma_f64 v[173:174], v[173:174], v[14:15], v[177:178]
	v_fma_f64 v[171:172], v[171:172], v[14:15], -v[16:17]
	ds_load_b128 v[165:168], v1 offset:1568
	scratch_load_b128 v[14:17], off, off offset:800
	v_add_f64_e32 v[177:178], v[183:184], v[181:182]
	v_add_f64_e32 v[169:170], v[169:170], v[179:180]
	v_fma_f64 v[175:176], v[4:5], v[18:19], v[175:176]
	v_fma_f64 v[181:182], v[2:3], v[18:19], -v[20:21]
	ds_load_b128 v[2:5], v1 offset:1584
	s_wait_loadcnt_dscnt 0x801
	v_mul_f64_e32 v[179:180], v[165:166], v[24:25]
	v_mul_f64_e32 v[24:25], v[167:168], v[24:25]
	scratch_load_b128 v[18:21], off, off offset:816
	s_wait_loadcnt_dscnt 0x800
	v_mul_f64_e32 v[183:184], v[2:3], v[28:29]
	v_mul_f64_e32 v[28:29], v[4:5], v[28:29]
	v_add_f64_e32 v[177:178], v[177:178], v[171:172]
	v_add_f64_e32 v[173:174], v[169:170], v[173:174]
	ds_load_b128 v[169:172], v1 offset:1600
	v_fma_f64 v[167:168], v[167:168], v[22:23], v[179:180]
	v_fma_f64 v[165:166], v[165:166], v[22:23], -v[24:25]
	scratch_load_b128 v[22:25], off, off offset:832
	v_fma_f64 v[179:180], v[4:5], v[26:27], v[183:184]
	v_add_f64_e32 v[177:178], v[177:178], v[181:182]
	v_add_f64_e32 v[173:174], v[173:174], v[175:176]
	v_fma_f64 v[181:182], v[2:3], v[26:27], -v[28:29]
	ds_load_b128 v[2:5], v1 offset:1616
	s_wait_loadcnt_dscnt 0x801
	v_mul_f64_e32 v[175:176], v[169:170], v[32:33]
	v_mul_f64_e32 v[32:33], v[171:172], v[32:33]
	scratch_load_b128 v[26:29], off, off offset:848
	s_wait_loadcnt_dscnt 0x800
	v_mul_f64_e32 v[183:184], v[2:3], v[40:41]
	v_mul_f64_e32 v[40:41], v[4:5], v[40:41]
	v_add_f64_e32 v[177:178], v[177:178], v[165:166]
	v_add_f64_e32 v[173:174], v[173:174], v[167:168]
	ds_load_b128 v[165:168], v1 offset:1632
	v_fma_f64 v[171:172], v[171:172], v[30:31], v[175:176]
	v_fma_f64 v[169:170], v[169:170], v[30:31], -v[32:33]
	scratch_load_b128 v[30:33], off, off offset:864
	v_add_f64_e32 v[175:176], v[177:178], v[181:182]
	v_add_f64_e32 v[173:174], v[173:174], v[179:180]
	v_fma_f64 v[179:180], v[4:5], v[38:39], v[183:184]
	v_fma_f64 v[181:182], v[2:3], v[38:39], -v[40:41]
	ds_load_b128 v[2:5], v1 offset:1648
	s_wait_loadcnt_dscnt 0x801
	v_mul_f64_e32 v[177:178], v[165:166], v[163:164]
	v_mul_f64_e32 v[163:164], v[167:168], v[163:164]
	scratch_load_b128 v[38:41], off, off offset:880
	s_wait_loadcnt_dscnt 0x800
	v_mul_f64_e32 v[183:184], v[2:3], v[36:37]
	v_mul_f64_e32 v[36:37], v[4:5], v[36:37]
	v_add_f64_e32 v[175:176], v[175:176], v[169:170]
	v_add_f64_e32 v[173:174], v[173:174], v[171:172]
	ds_load_b128 v[169:172], v1 offset:1664
	v_fma_f64 v[167:168], v[167:168], v[161:162], v[177:178]
	v_fma_f64 v[165:166], v[165:166], v[161:162], -v[163:164]
	scratch_load_b128 v[161:164], off, off offset:896
	v_add_f64_e32 v[175:176], v[175:176], v[181:182]
	v_add_f64_e32 v[173:174], v[173:174], v[179:180]
	v_fma_f64 v[179:180], v[4:5], v[34:35], v[183:184]
	v_fma_f64 v[181:182], v[2:3], v[34:35], -v[36:37]
	ds_load_b128 v[2:5], v1 offset:1680
	s_wait_loadcnt_dscnt 0x801
	v_mul_f64_e32 v[177:178], v[169:170], v[8:9]
	v_mul_f64_e32 v[8:9], v[171:172], v[8:9]
	scratch_load_b128 v[34:37], off, off offset:912
	s_wait_loadcnt_dscnt 0x800
	v_mul_f64_e32 v[183:184], v[2:3], v[12:13]
	v_mul_f64_e32 v[12:13], v[4:5], v[12:13]
	v_add_f64_e32 v[175:176], v[175:176], v[165:166]
	v_add_f64_e32 v[173:174], v[173:174], v[167:168]
	ds_load_b128 v[165:168], v1 offset:1696
	v_fma_f64 v[171:172], v[171:172], v[6:7], v[177:178]
	v_fma_f64 v[6:7], v[169:170], v[6:7], -v[8:9]
	v_add_f64_e32 v[8:9], v[175:176], v[181:182]
	v_add_f64_e32 v[169:170], v[173:174], v[179:180]
	s_wait_loadcnt_dscnt 0x700
	v_mul_f64_e32 v[173:174], v[165:166], v[16:17]
	v_mul_f64_e32 v[16:17], v[167:168], v[16:17]
	v_fma_f64 v[175:176], v[4:5], v[10:11], v[183:184]
	v_fma_f64 v[10:11], v[2:3], v[10:11], -v[12:13]
	v_add_f64_e32 v[12:13], v[8:9], v[6:7]
	v_add_f64_e32 v[169:170], v[169:170], v[171:172]
	ds_load_b128 v[2:5], v1 offset:1712
	ds_load_b128 v[6:9], v1 offset:1728
	v_fma_f64 v[167:168], v[167:168], v[14:15], v[173:174]
	v_fma_f64 v[14:15], v[165:166], v[14:15], -v[16:17]
	s_wait_loadcnt_dscnt 0x601
	v_mul_f64_e32 v[171:172], v[2:3], v[20:21]
	v_mul_f64_e32 v[20:21], v[4:5], v[20:21]
	s_wait_loadcnt_dscnt 0x500
	v_mul_f64_e32 v[16:17], v[6:7], v[24:25]
	v_mul_f64_e32 v[24:25], v[8:9], v[24:25]
	v_add_f64_e32 v[10:11], v[12:13], v[10:11]
	v_add_f64_e32 v[12:13], v[169:170], v[175:176]
	v_fma_f64 v[165:166], v[4:5], v[18:19], v[171:172]
	v_fma_f64 v[18:19], v[2:3], v[18:19], -v[20:21]
	v_fma_f64 v[8:9], v[8:9], v[22:23], v[16:17]
	v_fma_f64 v[6:7], v[6:7], v[22:23], -v[24:25]
	v_add_f64_e32 v[14:15], v[10:11], v[14:15]
	v_add_f64_e32 v[20:21], v[12:13], v[167:168]
	ds_load_b128 v[2:5], v1 offset:1744
	ds_load_b128 v[10:13], v1 offset:1760
	s_wait_loadcnt_dscnt 0x401
	v_mul_f64_e32 v[167:168], v[2:3], v[28:29]
	v_mul_f64_e32 v[28:29], v[4:5], v[28:29]
	v_add_f64_e32 v[14:15], v[14:15], v[18:19]
	v_add_f64_e32 v[16:17], v[20:21], v[165:166]
	s_wait_loadcnt_dscnt 0x300
	v_mul_f64_e32 v[18:19], v[10:11], v[32:33]
	v_mul_f64_e32 v[20:21], v[12:13], v[32:33]
	v_fma_f64 v[22:23], v[4:5], v[26:27], v[167:168]
	v_fma_f64 v[24:25], v[2:3], v[26:27], -v[28:29]
	v_add_f64_e32 v[14:15], v[14:15], v[6:7]
	v_add_f64_e32 v[16:17], v[16:17], v[8:9]
	ds_load_b128 v[2:5], v1 offset:1776
	ds_load_b128 v[6:9], v1 offset:1792
	v_fma_f64 v[12:13], v[12:13], v[30:31], v[18:19]
	v_fma_f64 v[10:11], v[10:11], v[30:31], -v[20:21]
	s_wait_loadcnt_dscnt 0x201
	v_mul_f64_e32 v[26:27], v[2:3], v[40:41]
	v_mul_f64_e32 v[28:29], v[4:5], v[40:41]
	s_wait_loadcnt_dscnt 0x100
	v_mul_f64_e32 v[18:19], v[6:7], v[163:164]
	v_mul_f64_e32 v[20:21], v[8:9], v[163:164]
	v_add_f64_e32 v[14:15], v[14:15], v[24:25]
	v_add_f64_e32 v[16:17], v[16:17], v[22:23]
	v_fma_f64 v[22:23], v[4:5], v[38:39], v[26:27]
	v_fma_f64 v[24:25], v[2:3], v[38:39], -v[28:29]
	ds_load_b128 v[2:5], v1 offset:1808
	v_fma_f64 v[8:9], v[8:9], v[161:162], v[18:19]
	v_fma_f64 v[6:7], v[6:7], v[161:162], -v[20:21]
	v_add_f64_e32 v[10:11], v[14:15], v[10:11]
	v_add_f64_e32 v[12:13], v[16:17], v[12:13]
	s_wait_loadcnt_dscnt 0x0
	v_mul_f64_e32 v[14:15], v[2:3], v[36:37]
	v_mul_f64_e32 v[16:17], v[4:5], v[36:37]
	s_delay_alu instid0(VALU_DEP_4) | instskip(NEXT) | instid1(VALU_DEP_4)
	v_add_f64_e32 v[10:11], v[10:11], v[24:25]
	v_add_f64_e32 v[12:13], v[12:13], v[22:23]
	s_delay_alu instid0(VALU_DEP_4) | instskip(NEXT) | instid1(VALU_DEP_4)
	v_fma_f64 v[4:5], v[4:5], v[34:35], v[14:15]
	v_fma_f64 v[2:3], v[2:3], v[34:35], -v[16:17]
	s_delay_alu instid0(VALU_DEP_4) | instskip(NEXT) | instid1(VALU_DEP_4)
	v_add_f64_e32 v[6:7], v[10:11], v[6:7]
	v_add_f64_e32 v[8:9], v[12:13], v[8:9]
	s_delay_alu instid0(VALU_DEP_2) | instskip(NEXT) | instid1(VALU_DEP_2)
	v_add_f64_e32 v[2:3], v[6:7], v[2:3]
	v_add_f64_e32 v[4:5], v[8:9], v[4:5]
	s_delay_alu instid0(VALU_DEP_2) | instskip(NEXT) | instid1(VALU_DEP_2)
	v_add_f64_e64 v[2:3], v[42:43], -v[2:3]
	v_add_f64_e64 v[4:5], v[44:45], -v[4:5]
	scratch_store_b128 off, v[2:5], off offset:416
	v_cmpx_lt_u32_e32 24, v0
	s_cbranch_execz .LBB120_307
; %bb.306:
	scratch_load_b128 v[5:8], off, s46
	v_dual_mov_b32 v2, v1 :: v_dual_mov_b32 v3, v1
	v_mov_b32_e32 v4, v1
	scratch_store_b128 off, v[1:4], off offset:400
	s_wait_loadcnt 0x0
	ds_store_b128 v160, v[5:8]
.LBB120_307:
	s_wait_alu 0xfffe
	s_or_b32 exec_lo, exec_lo, s0
	s_wait_storecnt_dscnt 0x0
	s_barrier_signal -1
	s_barrier_wait -1
	global_inv scope:SCOPE_SE
	s_clause 0x8
	scratch_load_b128 v[2:5], off, off offset:416
	scratch_load_b128 v[6:9], off, off offset:432
	;; [unrolled: 1-line block ×9, first 2 shown]
	ds_load_b128 v[38:41], v1 offset:1312
	ds_load_b128 v[42:45], v1 offset:1328
	s_clause 0x1
	scratch_load_b128 v[161:164], off, off offset:400
	scratch_load_b128 v[165:168], off, off offset:560
	s_mov_b32 s0, exec_lo
	s_wait_loadcnt_dscnt 0xa01
	v_mul_f64_e32 v[169:170], v[40:41], v[4:5]
	v_mul_f64_e32 v[4:5], v[38:39], v[4:5]
	s_wait_loadcnt_dscnt 0x900
	v_mul_f64_e32 v[173:174], v[42:43], v[8:9]
	v_mul_f64_e32 v[8:9], v[44:45], v[8:9]
	s_delay_alu instid0(VALU_DEP_4) | instskip(NEXT) | instid1(VALU_DEP_4)
	v_fma_f64 v[175:176], v[38:39], v[2:3], -v[169:170]
	v_fma_f64 v[177:178], v[40:41], v[2:3], v[4:5]
	ds_load_b128 v[2:5], v1 offset:1344
	ds_load_b128 v[169:172], v1 offset:1360
	scratch_load_b128 v[38:41], off, off offset:576
	v_fma_f64 v[44:45], v[44:45], v[6:7], v[173:174]
	v_fma_f64 v[42:43], v[42:43], v[6:7], -v[8:9]
	scratch_load_b128 v[6:9], off, off offset:592
	s_wait_loadcnt_dscnt 0xa01
	v_mul_f64_e32 v[179:180], v[2:3], v[12:13]
	v_mul_f64_e32 v[12:13], v[4:5], v[12:13]
	v_add_f64_e32 v[173:174], 0, v[175:176]
	v_add_f64_e32 v[175:176], 0, v[177:178]
	s_wait_loadcnt_dscnt 0x900
	v_mul_f64_e32 v[177:178], v[169:170], v[16:17]
	v_mul_f64_e32 v[16:17], v[171:172], v[16:17]
	v_fma_f64 v[179:180], v[4:5], v[10:11], v[179:180]
	v_fma_f64 v[181:182], v[2:3], v[10:11], -v[12:13]
	ds_load_b128 v[2:5], v1 offset:1376
	scratch_load_b128 v[10:13], off, off offset:608
	v_add_f64_e32 v[173:174], v[173:174], v[42:43]
	v_add_f64_e32 v[175:176], v[175:176], v[44:45]
	ds_load_b128 v[42:45], v1 offset:1392
	v_fma_f64 v[171:172], v[171:172], v[14:15], v[177:178]
	v_fma_f64 v[169:170], v[169:170], v[14:15], -v[16:17]
	scratch_load_b128 v[14:17], off, off offset:624
	s_wait_loadcnt_dscnt 0xa01
	v_mul_f64_e32 v[183:184], v[2:3], v[20:21]
	v_mul_f64_e32 v[20:21], v[4:5], v[20:21]
	s_wait_loadcnt_dscnt 0x900
	v_mul_f64_e32 v[177:178], v[42:43], v[24:25]
	v_mul_f64_e32 v[24:25], v[44:45], v[24:25]
	v_add_f64_e32 v[173:174], v[173:174], v[181:182]
	v_add_f64_e32 v[175:176], v[175:176], v[179:180]
	v_fma_f64 v[179:180], v[4:5], v[18:19], v[183:184]
	v_fma_f64 v[181:182], v[2:3], v[18:19], -v[20:21]
	ds_load_b128 v[2:5], v1 offset:1408
	scratch_load_b128 v[18:21], off, off offset:640
	v_fma_f64 v[44:45], v[44:45], v[22:23], v[177:178]
	v_fma_f64 v[42:43], v[42:43], v[22:23], -v[24:25]
	scratch_load_b128 v[22:25], off, off offset:656
	v_add_f64_e32 v[173:174], v[173:174], v[169:170]
	v_add_f64_e32 v[175:176], v[175:176], v[171:172]
	ds_load_b128 v[169:172], v1 offset:1424
	s_wait_loadcnt_dscnt 0xa01
	v_mul_f64_e32 v[183:184], v[2:3], v[28:29]
	v_mul_f64_e32 v[28:29], v[4:5], v[28:29]
	s_wait_loadcnt_dscnt 0x900
	v_mul_f64_e32 v[177:178], v[169:170], v[32:33]
	v_mul_f64_e32 v[32:33], v[171:172], v[32:33]
	v_add_f64_e32 v[173:174], v[173:174], v[181:182]
	v_add_f64_e32 v[175:176], v[175:176], v[179:180]
	v_fma_f64 v[179:180], v[4:5], v[26:27], v[183:184]
	v_fma_f64 v[181:182], v[2:3], v[26:27], -v[28:29]
	ds_load_b128 v[2:5], v1 offset:1440
	scratch_load_b128 v[26:29], off, off offset:672
	v_fma_f64 v[171:172], v[171:172], v[30:31], v[177:178]
	v_fma_f64 v[169:170], v[169:170], v[30:31], -v[32:33]
	scratch_load_b128 v[30:33], off, off offset:688
	v_add_f64_e32 v[173:174], v[173:174], v[42:43]
	v_add_f64_e32 v[175:176], v[175:176], v[44:45]
	ds_load_b128 v[42:45], v1 offset:1456
	s_wait_loadcnt_dscnt 0xa01
	v_mul_f64_e32 v[183:184], v[2:3], v[36:37]
	v_mul_f64_e32 v[36:37], v[4:5], v[36:37]
	s_wait_loadcnt_dscnt 0x800
	v_mul_f64_e32 v[177:178], v[42:43], v[167:168]
	v_add_f64_e32 v[173:174], v[173:174], v[181:182]
	v_add_f64_e32 v[175:176], v[175:176], v[179:180]
	v_mul_f64_e32 v[179:180], v[44:45], v[167:168]
	v_fma_f64 v[181:182], v[4:5], v[34:35], v[183:184]
	v_fma_f64 v[183:184], v[2:3], v[34:35], -v[36:37]
	ds_load_b128 v[2:5], v1 offset:1472
	scratch_load_b128 v[34:37], off, off offset:704
	v_fma_f64 v[44:45], v[44:45], v[165:166], v[177:178]
	v_add_f64_e32 v[173:174], v[173:174], v[169:170]
	v_add_f64_e32 v[171:172], v[175:176], v[171:172]
	ds_load_b128 v[167:170], v1 offset:1488
	v_fma_f64 v[165:166], v[42:43], v[165:166], -v[179:180]
	s_wait_loadcnt_dscnt 0x801
	v_mul_f64_e32 v[175:176], v[2:3], v[40:41]
	v_mul_f64_e32 v[185:186], v[4:5], v[40:41]
	scratch_load_b128 v[40:43], off, off offset:720
	s_wait_loadcnt_dscnt 0x800
	v_mul_f64_e32 v[179:180], v[167:168], v[8:9]
	v_mul_f64_e32 v[8:9], v[169:170], v[8:9]
	v_add_f64_e32 v[173:174], v[173:174], v[183:184]
	v_add_f64_e32 v[171:172], v[171:172], v[181:182]
	v_fma_f64 v[181:182], v[4:5], v[38:39], v[175:176]
	v_fma_f64 v[38:39], v[2:3], v[38:39], -v[185:186]
	ds_load_b128 v[2:5], v1 offset:1504
	ds_load_b128 v[175:178], v1 offset:1520
	v_fma_f64 v[169:170], v[169:170], v[6:7], v[179:180]
	v_fma_f64 v[167:168], v[167:168], v[6:7], -v[8:9]
	scratch_load_b128 v[6:9], off, off offset:752
	v_add_f64_e32 v[165:166], v[173:174], v[165:166]
	v_add_f64_e32 v[44:45], v[171:172], v[44:45]
	scratch_load_b128 v[171:174], off, off offset:736
	s_wait_loadcnt_dscnt 0x901
	v_mul_f64_e32 v[183:184], v[2:3], v[12:13]
	v_mul_f64_e32 v[12:13], v[4:5], v[12:13]
	s_wait_loadcnt_dscnt 0x800
	v_mul_f64_e32 v[179:180], v[175:176], v[16:17]
	v_mul_f64_e32 v[16:17], v[177:178], v[16:17]
	v_add_f64_e32 v[38:39], v[165:166], v[38:39]
	v_add_f64_e32 v[44:45], v[44:45], v[181:182]
	v_fma_f64 v[181:182], v[4:5], v[10:11], v[183:184]
	v_fma_f64 v[183:184], v[2:3], v[10:11], -v[12:13]
	ds_load_b128 v[2:5], v1 offset:1536
	scratch_load_b128 v[10:13], off, off offset:768
	v_fma_f64 v[177:178], v[177:178], v[14:15], v[179:180]
	v_fma_f64 v[175:176], v[175:176], v[14:15], -v[16:17]
	scratch_load_b128 v[14:17], off, off offset:784
	v_add_f64_e32 v[38:39], v[38:39], v[167:168]
	v_add_f64_e32 v[44:45], v[44:45], v[169:170]
	ds_load_b128 v[165:168], v1 offset:1552
	s_wait_loadcnt_dscnt 0x901
	v_mul_f64_e32 v[169:170], v[2:3], v[20:21]
	v_mul_f64_e32 v[20:21], v[4:5], v[20:21]
	s_wait_loadcnt_dscnt 0x800
	v_mul_f64_e32 v[179:180], v[165:166], v[24:25]
	v_mul_f64_e32 v[24:25], v[167:168], v[24:25]
	v_add_f64_e32 v[38:39], v[38:39], v[183:184]
	v_add_f64_e32 v[44:45], v[44:45], v[181:182]
	v_fma_f64 v[169:170], v[4:5], v[18:19], v[169:170]
	v_fma_f64 v[181:182], v[2:3], v[18:19], -v[20:21]
	ds_load_b128 v[2:5], v1 offset:1568
	scratch_load_b128 v[18:21], off, off offset:800
	v_fma_f64 v[167:168], v[167:168], v[22:23], v[179:180]
	v_fma_f64 v[165:166], v[165:166], v[22:23], -v[24:25]
	scratch_load_b128 v[22:25], off, off offset:816
	v_add_f64_e32 v[38:39], v[38:39], v[175:176]
	v_add_f64_e32 v[44:45], v[44:45], v[177:178]
	ds_load_b128 v[175:178], v1 offset:1584
	s_wait_loadcnt_dscnt 0x901
	v_mul_f64_e32 v[183:184], v[2:3], v[28:29]
	v_mul_f64_e32 v[28:29], v[4:5], v[28:29]
	v_add_f64_e32 v[38:39], v[38:39], v[181:182]
	v_add_f64_e32 v[44:45], v[44:45], v[169:170]
	s_wait_loadcnt_dscnt 0x800
	v_mul_f64_e32 v[169:170], v[175:176], v[32:33]
	v_mul_f64_e32 v[32:33], v[177:178], v[32:33]
	v_fma_f64 v[179:180], v[4:5], v[26:27], v[183:184]
	v_fma_f64 v[181:182], v[2:3], v[26:27], -v[28:29]
	ds_load_b128 v[2:5], v1 offset:1600
	scratch_load_b128 v[26:29], off, off offset:832
	v_add_f64_e32 v[38:39], v[38:39], v[165:166]
	v_add_f64_e32 v[44:45], v[44:45], v[167:168]
	ds_load_b128 v[165:168], v1 offset:1616
	s_wait_loadcnt_dscnt 0x801
	v_mul_f64_e32 v[183:184], v[2:3], v[36:37]
	v_mul_f64_e32 v[36:37], v[4:5], v[36:37]
	v_fma_f64 v[169:170], v[177:178], v[30:31], v[169:170]
	v_fma_f64 v[175:176], v[175:176], v[30:31], -v[32:33]
	scratch_load_b128 v[30:33], off, off offset:848
	s_wait_loadcnt_dscnt 0x800
	v_mul_f64_e32 v[177:178], v[165:166], v[42:43]
	v_add_f64_e32 v[38:39], v[38:39], v[181:182]
	v_add_f64_e32 v[44:45], v[44:45], v[179:180]
	v_mul_f64_e32 v[179:180], v[167:168], v[42:43]
	v_fma_f64 v[181:182], v[4:5], v[34:35], v[183:184]
	v_fma_f64 v[183:184], v[2:3], v[34:35], -v[36:37]
	ds_load_b128 v[2:5], v1 offset:1632
	scratch_load_b128 v[34:37], off, off offset:864
	v_fma_f64 v[167:168], v[167:168], v[40:41], v[177:178]
	v_add_f64_e32 v[38:39], v[38:39], v[175:176]
	v_add_f64_e32 v[169:170], v[44:45], v[169:170]
	ds_load_b128 v[42:45], v1 offset:1648
	v_fma_f64 v[165:166], v[165:166], v[40:41], -v[179:180]
	s_wait_loadcnt_dscnt 0x701
	v_mul_f64_e32 v[175:176], v[2:3], v[173:174]
	v_mul_f64_e32 v[173:174], v[4:5], v[173:174]
	s_wait_dscnt 0x0
	v_mul_f64_e32 v[179:180], v[42:43], v[8:9]
	v_mul_f64_e32 v[8:9], v[44:45], v[8:9]
	v_add_f64_e32 v[177:178], v[38:39], v[183:184]
	v_add_f64_e32 v[169:170], v[169:170], v[181:182]
	scratch_load_b128 v[38:41], off, off offset:880
	v_fma_f64 v[175:176], v[4:5], v[171:172], v[175:176]
	v_fma_f64 v[173:174], v[2:3], v[171:172], -v[173:174]
	ds_load_b128 v[2:5], v1 offset:1664
	v_fma_f64 v[44:45], v[44:45], v[6:7], v[179:180]
	v_fma_f64 v[42:43], v[42:43], v[6:7], -v[8:9]
	scratch_load_b128 v[6:9], off, off offset:912
	v_add_f64_e32 v[177:178], v[177:178], v[165:166]
	v_add_f64_e32 v[181:182], v[169:170], v[167:168]
	scratch_load_b128 v[165:168], off, off offset:896
	ds_load_b128 v[169:172], v1 offset:1680
	s_wait_loadcnt_dscnt 0x901
	v_mul_f64_e32 v[183:184], v[2:3], v[12:13]
	v_mul_f64_e32 v[12:13], v[4:5], v[12:13]
	v_add_f64_e32 v[173:174], v[177:178], v[173:174]
	v_add_f64_e32 v[175:176], v[181:182], v[175:176]
	s_wait_loadcnt_dscnt 0x800
	v_mul_f64_e32 v[177:178], v[169:170], v[16:17]
	v_mul_f64_e32 v[16:17], v[171:172], v[16:17]
	v_fma_f64 v[179:180], v[4:5], v[10:11], v[183:184]
	v_fma_f64 v[181:182], v[2:3], v[10:11], -v[12:13]
	ds_load_b128 v[2:5], v1 offset:1696
	ds_load_b128 v[10:13], v1 offset:1712
	v_add_f64_e32 v[42:43], v[173:174], v[42:43]
	v_add_f64_e32 v[44:45], v[175:176], v[44:45]
	s_wait_loadcnt_dscnt 0x701
	v_mul_f64_e32 v[173:174], v[2:3], v[20:21]
	v_mul_f64_e32 v[20:21], v[4:5], v[20:21]
	v_fma_f64 v[171:172], v[171:172], v[14:15], v[177:178]
	v_fma_f64 v[14:15], v[169:170], v[14:15], -v[16:17]
	v_add_f64_e32 v[16:17], v[42:43], v[181:182]
	v_add_f64_e32 v[42:43], v[44:45], v[179:180]
	s_wait_loadcnt_dscnt 0x600
	v_mul_f64_e32 v[44:45], v[10:11], v[24:25]
	v_mul_f64_e32 v[24:25], v[12:13], v[24:25]
	v_fma_f64 v[169:170], v[4:5], v[18:19], v[173:174]
	v_fma_f64 v[18:19], v[2:3], v[18:19], -v[20:21]
	v_add_f64_e32 v[20:21], v[16:17], v[14:15]
	v_add_f64_e32 v[42:43], v[42:43], v[171:172]
	ds_load_b128 v[2:5], v1 offset:1728
	ds_load_b128 v[14:17], v1 offset:1744
	v_fma_f64 v[12:13], v[12:13], v[22:23], v[44:45]
	v_fma_f64 v[10:11], v[10:11], v[22:23], -v[24:25]
	s_wait_loadcnt_dscnt 0x501
	v_mul_f64_e32 v[171:172], v[2:3], v[28:29]
	v_mul_f64_e32 v[28:29], v[4:5], v[28:29]
	s_wait_loadcnt_dscnt 0x400
	v_mul_f64_e32 v[22:23], v[14:15], v[32:33]
	v_mul_f64_e32 v[24:25], v[16:17], v[32:33]
	v_add_f64_e32 v[18:19], v[20:21], v[18:19]
	v_add_f64_e32 v[20:21], v[42:43], v[169:170]
	v_fma_f64 v[32:33], v[4:5], v[26:27], v[171:172]
	v_fma_f64 v[26:27], v[2:3], v[26:27], -v[28:29]
	v_fma_f64 v[16:17], v[16:17], v[30:31], v[22:23]
	v_fma_f64 v[14:15], v[14:15], v[30:31], -v[24:25]
	v_add_f64_e32 v[18:19], v[18:19], v[10:11]
	v_add_f64_e32 v[20:21], v[20:21], v[12:13]
	ds_load_b128 v[2:5], v1 offset:1760
	ds_load_b128 v[10:13], v1 offset:1776
	s_wait_loadcnt_dscnt 0x301
	v_mul_f64_e32 v[28:29], v[2:3], v[36:37]
	v_mul_f64_e32 v[36:37], v[4:5], v[36:37]
	v_add_f64_e32 v[18:19], v[18:19], v[26:27]
	v_add_f64_e32 v[20:21], v[20:21], v[32:33]
	s_wait_loadcnt_dscnt 0x200
	v_mul_f64_e32 v[22:23], v[10:11], v[40:41]
	v_mul_f64_e32 v[24:25], v[12:13], v[40:41]
	v_fma_f64 v[26:27], v[4:5], v[34:35], v[28:29]
	v_fma_f64 v[28:29], v[2:3], v[34:35], -v[36:37]
	v_add_f64_e32 v[18:19], v[18:19], v[14:15]
	v_add_f64_e32 v[20:21], v[20:21], v[16:17]
	ds_load_b128 v[2:5], v1 offset:1792
	ds_load_b128 v[14:17], v1 offset:1808
	v_fma_f64 v[12:13], v[12:13], v[38:39], v[22:23]
	v_fma_f64 v[10:11], v[10:11], v[38:39], -v[24:25]
	s_wait_loadcnt_dscnt 0x1
	v_mul_f64_e32 v[30:31], v[2:3], v[167:168]
	v_mul_f64_e32 v[32:33], v[4:5], v[167:168]
	s_wait_dscnt 0x0
	v_mul_f64_e32 v[22:23], v[14:15], v[8:9]
	v_mul_f64_e32 v[8:9], v[16:17], v[8:9]
	v_add_f64_e32 v[18:19], v[18:19], v[28:29]
	v_add_f64_e32 v[20:21], v[20:21], v[26:27]
	v_fma_f64 v[4:5], v[4:5], v[165:166], v[30:31]
	v_fma_f64 v[1:2], v[2:3], v[165:166], -v[32:33]
	v_fma_f64 v[16:17], v[16:17], v[6:7], v[22:23]
	v_fma_f64 v[6:7], v[14:15], v[6:7], -v[8:9]
	v_add_f64_e32 v[10:11], v[18:19], v[10:11]
	v_add_f64_e32 v[12:13], v[20:21], v[12:13]
	s_delay_alu instid0(VALU_DEP_2) | instskip(NEXT) | instid1(VALU_DEP_2)
	v_add_f64_e32 v[1:2], v[10:11], v[1:2]
	v_add_f64_e32 v[3:4], v[12:13], v[4:5]
	s_delay_alu instid0(VALU_DEP_2) | instskip(NEXT) | instid1(VALU_DEP_2)
	v_add_f64_e32 v[1:2], v[1:2], v[6:7]
	v_add_f64_e32 v[3:4], v[3:4], v[16:17]
	s_delay_alu instid0(VALU_DEP_2) | instskip(NEXT) | instid1(VALU_DEP_2)
	v_add_f64_e64 v[1:2], v[161:162], -v[1:2]
	v_add_f64_e64 v[3:4], v[163:164], -v[3:4]
	scratch_store_b128 off, v[1:4], off offset:400
	v_cmpx_lt_u32_e32 23, v0
	s_cbranch_execz .LBB120_309
; %bb.308:
	scratch_load_b128 v[1:4], off, s47
	v_mov_b32_e32 v5, 0
	s_delay_alu instid0(VALU_DEP_1)
	v_dual_mov_b32 v6, v5 :: v_dual_mov_b32 v7, v5
	v_mov_b32_e32 v8, v5
	scratch_store_b128 off, v[5:8], off offset:384
	s_wait_loadcnt 0x0
	ds_store_b128 v160, v[1:4]
.LBB120_309:
	s_wait_alu 0xfffe
	s_or_b32 exec_lo, exec_lo, s0
	s_wait_storecnt_dscnt 0x0
	s_barrier_signal -1
	s_barrier_wait -1
	global_inv scope:SCOPE_SE
	s_clause 0x7
	scratch_load_b128 v[2:5], off, off offset:400
	scratch_load_b128 v[6:9], off, off offset:416
	;; [unrolled: 1-line block ×8, first 2 shown]
	v_mov_b32_e32 v1, 0
	s_mov_b32 s0, exec_lo
	ds_load_b128 v[34:37], v1 offset:1296
	s_clause 0x1
	scratch_load_b128 v[38:41], off, off offset:528
	scratch_load_b128 v[42:45], off, off offset:384
	ds_load_b128 v[161:164], v1 offset:1312
	scratch_load_b128 v[165:168], off, off offset:544
	s_wait_loadcnt_dscnt 0xa01
	v_mul_f64_e32 v[169:170], v[36:37], v[4:5]
	v_mul_f64_e32 v[4:5], v[34:35], v[4:5]
	s_delay_alu instid0(VALU_DEP_2) | instskip(NEXT) | instid1(VALU_DEP_2)
	v_fma_f64 v[175:176], v[34:35], v[2:3], -v[169:170]
	v_fma_f64 v[177:178], v[36:37], v[2:3], v[4:5]
	ds_load_b128 v[2:5], v1 offset:1328
	s_wait_loadcnt_dscnt 0x901
	v_mul_f64_e32 v[173:174], v[161:162], v[8:9]
	v_mul_f64_e32 v[8:9], v[163:164], v[8:9]
	scratch_load_b128 v[34:37], off, off offset:560
	ds_load_b128 v[169:172], v1 offset:1344
	s_wait_loadcnt_dscnt 0x901
	v_mul_f64_e32 v[179:180], v[2:3], v[12:13]
	v_mul_f64_e32 v[12:13], v[4:5], v[12:13]
	v_fma_f64 v[163:164], v[163:164], v[6:7], v[173:174]
	v_fma_f64 v[161:162], v[161:162], v[6:7], -v[8:9]
	v_add_f64_e32 v[173:174], 0, v[175:176]
	v_add_f64_e32 v[175:176], 0, v[177:178]
	scratch_load_b128 v[6:9], off, off offset:576
	v_fma_f64 v[179:180], v[4:5], v[10:11], v[179:180]
	v_fma_f64 v[181:182], v[2:3], v[10:11], -v[12:13]
	ds_load_b128 v[2:5], v1 offset:1360
	s_wait_loadcnt_dscnt 0x901
	v_mul_f64_e32 v[177:178], v[169:170], v[16:17]
	v_mul_f64_e32 v[16:17], v[171:172], v[16:17]
	scratch_load_b128 v[10:13], off, off offset:592
	v_add_f64_e32 v[173:174], v[173:174], v[161:162]
	v_add_f64_e32 v[175:176], v[175:176], v[163:164]
	s_wait_loadcnt_dscnt 0x900
	v_mul_f64_e32 v[183:184], v[2:3], v[20:21]
	v_mul_f64_e32 v[20:21], v[4:5], v[20:21]
	ds_load_b128 v[161:164], v1 offset:1376
	v_fma_f64 v[171:172], v[171:172], v[14:15], v[177:178]
	v_fma_f64 v[169:170], v[169:170], v[14:15], -v[16:17]
	scratch_load_b128 v[14:17], off, off offset:608
	v_add_f64_e32 v[173:174], v[173:174], v[181:182]
	v_add_f64_e32 v[175:176], v[175:176], v[179:180]
	v_fma_f64 v[179:180], v[4:5], v[18:19], v[183:184]
	v_fma_f64 v[181:182], v[2:3], v[18:19], -v[20:21]
	ds_load_b128 v[2:5], v1 offset:1392
	s_wait_loadcnt_dscnt 0x901
	v_mul_f64_e32 v[177:178], v[161:162], v[24:25]
	v_mul_f64_e32 v[24:25], v[163:164], v[24:25]
	scratch_load_b128 v[18:21], off, off offset:624
	s_wait_loadcnt_dscnt 0x900
	v_mul_f64_e32 v[183:184], v[2:3], v[28:29]
	v_mul_f64_e32 v[28:29], v[4:5], v[28:29]
	v_add_f64_e32 v[173:174], v[173:174], v[169:170]
	v_add_f64_e32 v[175:176], v[175:176], v[171:172]
	ds_load_b128 v[169:172], v1 offset:1408
	v_fma_f64 v[163:164], v[163:164], v[22:23], v[177:178]
	v_fma_f64 v[161:162], v[161:162], v[22:23], -v[24:25]
	scratch_load_b128 v[22:25], off, off offset:640
	v_add_f64_e32 v[173:174], v[173:174], v[181:182]
	v_add_f64_e32 v[175:176], v[175:176], v[179:180]
	v_fma_f64 v[179:180], v[4:5], v[26:27], v[183:184]
	v_fma_f64 v[181:182], v[2:3], v[26:27], -v[28:29]
	ds_load_b128 v[2:5], v1 offset:1424
	s_wait_loadcnt_dscnt 0x901
	v_mul_f64_e32 v[177:178], v[169:170], v[32:33]
	v_mul_f64_e32 v[32:33], v[171:172], v[32:33]
	scratch_load_b128 v[26:29], off, off offset:656
	s_wait_loadcnt_dscnt 0x900
	v_mul_f64_e32 v[183:184], v[2:3], v[40:41]
	v_mul_f64_e32 v[40:41], v[4:5], v[40:41]
	v_add_f64_e32 v[173:174], v[173:174], v[161:162]
	v_add_f64_e32 v[175:176], v[175:176], v[163:164]
	ds_load_b128 v[161:164], v1 offset:1440
	v_fma_f64 v[171:172], v[171:172], v[30:31], v[177:178]
	v_fma_f64 v[169:170], v[169:170], v[30:31], -v[32:33]
	scratch_load_b128 v[30:33], off, off offset:672
	v_add_f64_e32 v[173:174], v[173:174], v[181:182]
	v_add_f64_e32 v[175:176], v[175:176], v[179:180]
	v_fma_f64 v[181:182], v[4:5], v[38:39], v[183:184]
	v_fma_f64 v[183:184], v[2:3], v[38:39], -v[40:41]
	ds_load_b128 v[2:5], v1 offset:1456
	s_wait_loadcnt_dscnt 0x801
	v_mul_f64_e32 v[177:178], v[161:162], v[167:168]
	v_mul_f64_e32 v[179:180], v[163:164], v[167:168]
	scratch_load_b128 v[38:41], off, off offset:688
	v_add_f64_e32 v[173:174], v[173:174], v[169:170]
	v_add_f64_e32 v[171:172], v[175:176], v[171:172]
	ds_load_b128 v[167:170], v1 offset:1472
	v_fma_f64 v[177:178], v[163:164], v[165:166], v[177:178]
	v_fma_f64 v[165:166], v[161:162], v[165:166], -v[179:180]
	scratch_load_b128 v[161:164], off, off offset:704
	s_wait_loadcnt_dscnt 0x901
	v_mul_f64_e32 v[175:176], v[2:3], v[36:37]
	v_mul_f64_e32 v[36:37], v[4:5], v[36:37]
	v_add_f64_e32 v[173:174], v[173:174], v[183:184]
	v_add_f64_e32 v[171:172], v[171:172], v[181:182]
	s_delay_alu instid0(VALU_DEP_4) | instskip(NEXT) | instid1(VALU_DEP_4)
	v_fma_f64 v[175:176], v[4:5], v[34:35], v[175:176]
	v_fma_f64 v[181:182], v[2:3], v[34:35], -v[36:37]
	ds_load_b128 v[2:5], v1 offset:1488
	s_wait_loadcnt_dscnt 0x801
	v_mul_f64_e32 v[179:180], v[167:168], v[8:9]
	v_mul_f64_e32 v[8:9], v[169:170], v[8:9]
	scratch_load_b128 v[34:37], off, off offset:720
	s_wait_loadcnt_dscnt 0x800
	v_mul_f64_e32 v[183:184], v[2:3], v[12:13]
	v_add_f64_e32 v[165:166], v[173:174], v[165:166]
	v_add_f64_e32 v[177:178], v[171:172], v[177:178]
	v_mul_f64_e32 v[12:13], v[4:5], v[12:13]
	ds_load_b128 v[171:174], v1 offset:1504
	v_fma_f64 v[169:170], v[169:170], v[6:7], v[179:180]
	v_fma_f64 v[167:168], v[167:168], v[6:7], -v[8:9]
	scratch_load_b128 v[6:9], off, off offset:736
	v_fma_f64 v[179:180], v[4:5], v[10:11], v[183:184]
	v_add_f64_e32 v[165:166], v[165:166], v[181:182]
	v_add_f64_e32 v[175:176], v[177:178], v[175:176]
	v_fma_f64 v[181:182], v[2:3], v[10:11], -v[12:13]
	ds_load_b128 v[2:5], v1 offset:1520
	s_wait_loadcnt_dscnt 0x801
	v_mul_f64_e32 v[177:178], v[171:172], v[16:17]
	v_mul_f64_e32 v[16:17], v[173:174], v[16:17]
	scratch_load_b128 v[10:13], off, off offset:752
	v_add_f64_e32 v[183:184], v[165:166], v[167:168]
	v_add_f64_e32 v[169:170], v[175:176], v[169:170]
	s_wait_loadcnt_dscnt 0x800
	v_mul_f64_e32 v[175:176], v[2:3], v[20:21]
	v_mul_f64_e32 v[20:21], v[4:5], v[20:21]
	v_fma_f64 v[173:174], v[173:174], v[14:15], v[177:178]
	v_fma_f64 v[171:172], v[171:172], v[14:15], -v[16:17]
	ds_load_b128 v[165:168], v1 offset:1536
	scratch_load_b128 v[14:17], off, off offset:768
	v_add_f64_e32 v[177:178], v[183:184], v[181:182]
	v_add_f64_e32 v[169:170], v[169:170], v[179:180]
	v_fma_f64 v[175:176], v[4:5], v[18:19], v[175:176]
	v_fma_f64 v[181:182], v[2:3], v[18:19], -v[20:21]
	ds_load_b128 v[2:5], v1 offset:1552
	s_wait_loadcnt_dscnt 0x801
	v_mul_f64_e32 v[179:180], v[165:166], v[24:25]
	v_mul_f64_e32 v[24:25], v[167:168], v[24:25]
	scratch_load_b128 v[18:21], off, off offset:784
	s_wait_loadcnt_dscnt 0x800
	v_mul_f64_e32 v[183:184], v[2:3], v[28:29]
	v_mul_f64_e32 v[28:29], v[4:5], v[28:29]
	v_add_f64_e32 v[177:178], v[177:178], v[171:172]
	v_add_f64_e32 v[173:174], v[169:170], v[173:174]
	ds_load_b128 v[169:172], v1 offset:1568
	v_fma_f64 v[167:168], v[167:168], v[22:23], v[179:180]
	v_fma_f64 v[165:166], v[165:166], v[22:23], -v[24:25]
	scratch_load_b128 v[22:25], off, off offset:800
	v_fma_f64 v[179:180], v[4:5], v[26:27], v[183:184]
	v_add_f64_e32 v[177:178], v[177:178], v[181:182]
	v_add_f64_e32 v[173:174], v[173:174], v[175:176]
	v_fma_f64 v[181:182], v[2:3], v[26:27], -v[28:29]
	ds_load_b128 v[2:5], v1 offset:1584
	s_wait_loadcnt_dscnt 0x801
	v_mul_f64_e32 v[175:176], v[169:170], v[32:33]
	v_mul_f64_e32 v[32:33], v[171:172], v[32:33]
	scratch_load_b128 v[26:29], off, off offset:816
	s_wait_loadcnt_dscnt 0x800
	v_mul_f64_e32 v[183:184], v[2:3], v[40:41]
	v_mul_f64_e32 v[40:41], v[4:5], v[40:41]
	v_add_f64_e32 v[177:178], v[177:178], v[165:166]
	v_add_f64_e32 v[173:174], v[173:174], v[167:168]
	ds_load_b128 v[165:168], v1 offset:1600
	v_fma_f64 v[171:172], v[171:172], v[30:31], v[175:176]
	v_fma_f64 v[169:170], v[169:170], v[30:31], -v[32:33]
	scratch_load_b128 v[30:33], off, off offset:832
	v_add_f64_e32 v[175:176], v[177:178], v[181:182]
	v_add_f64_e32 v[173:174], v[173:174], v[179:180]
	v_fma_f64 v[179:180], v[4:5], v[38:39], v[183:184]
	v_fma_f64 v[181:182], v[2:3], v[38:39], -v[40:41]
	ds_load_b128 v[2:5], v1 offset:1616
	s_wait_loadcnt_dscnt 0x801
	v_mul_f64_e32 v[177:178], v[165:166], v[163:164]
	v_mul_f64_e32 v[163:164], v[167:168], v[163:164]
	scratch_load_b128 v[38:41], off, off offset:848
	s_wait_loadcnt_dscnt 0x800
	v_mul_f64_e32 v[183:184], v[2:3], v[36:37]
	v_mul_f64_e32 v[36:37], v[4:5], v[36:37]
	v_add_f64_e32 v[175:176], v[175:176], v[169:170]
	v_add_f64_e32 v[173:174], v[173:174], v[171:172]
	ds_load_b128 v[169:172], v1 offset:1632
	v_fma_f64 v[167:168], v[167:168], v[161:162], v[177:178]
	v_fma_f64 v[165:166], v[165:166], v[161:162], -v[163:164]
	scratch_load_b128 v[161:164], off, off offset:864
	v_add_f64_e32 v[175:176], v[175:176], v[181:182]
	v_add_f64_e32 v[173:174], v[173:174], v[179:180]
	v_fma_f64 v[179:180], v[4:5], v[34:35], v[183:184]
	;; [unrolled: 18-line block ×3, first 2 shown]
	v_fma_f64 v[181:182], v[2:3], v[10:11], -v[12:13]
	ds_load_b128 v[2:5], v1 offset:1680
	s_wait_loadcnt_dscnt 0x801
	v_mul_f64_e32 v[177:178], v[165:166], v[16:17]
	v_mul_f64_e32 v[16:17], v[167:168], v[16:17]
	scratch_load_b128 v[10:13], off, off offset:912
	s_wait_loadcnt_dscnt 0x800
	v_mul_f64_e32 v[183:184], v[2:3], v[20:21]
	v_mul_f64_e32 v[20:21], v[4:5], v[20:21]
	v_add_f64_e32 v[175:176], v[175:176], v[169:170]
	v_add_f64_e32 v[173:174], v[173:174], v[171:172]
	ds_load_b128 v[169:172], v1 offset:1696
	v_fma_f64 v[167:168], v[167:168], v[14:15], v[177:178]
	v_fma_f64 v[14:15], v[165:166], v[14:15], -v[16:17]
	v_add_f64_e32 v[16:17], v[175:176], v[181:182]
	v_add_f64_e32 v[165:166], v[173:174], v[179:180]
	s_wait_loadcnt_dscnt 0x700
	v_mul_f64_e32 v[173:174], v[169:170], v[24:25]
	v_mul_f64_e32 v[24:25], v[171:172], v[24:25]
	v_fma_f64 v[175:176], v[4:5], v[18:19], v[183:184]
	v_fma_f64 v[18:19], v[2:3], v[18:19], -v[20:21]
	v_add_f64_e32 v[20:21], v[16:17], v[14:15]
	v_add_f64_e32 v[165:166], v[165:166], v[167:168]
	ds_load_b128 v[2:5], v1 offset:1712
	ds_load_b128 v[14:17], v1 offset:1728
	v_fma_f64 v[171:172], v[171:172], v[22:23], v[173:174]
	v_fma_f64 v[22:23], v[169:170], v[22:23], -v[24:25]
	s_wait_loadcnt_dscnt 0x601
	v_mul_f64_e32 v[167:168], v[2:3], v[28:29]
	v_mul_f64_e32 v[28:29], v[4:5], v[28:29]
	s_wait_loadcnt_dscnt 0x500
	v_mul_f64_e32 v[24:25], v[14:15], v[32:33]
	v_mul_f64_e32 v[32:33], v[16:17], v[32:33]
	v_add_f64_e32 v[18:19], v[20:21], v[18:19]
	v_add_f64_e32 v[20:21], v[165:166], v[175:176]
	v_fma_f64 v[165:166], v[4:5], v[26:27], v[167:168]
	v_fma_f64 v[26:27], v[2:3], v[26:27], -v[28:29]
	v_fma_f64 v[16:17], v[16:17], v[30:31], v[24:25]
	v_fma_f64 v[14:15], v[14:15], v[30:31], -v[32:33]
	v_add_f64_e32 v[22:23], v[18:19], v[22:23]
	v_add_f64_e32 v[28:29], v[20:21], v[171:172]
	ds_load_b128 v[2:5], v1 offset:1744
	ds_load_b128 v[18:21], v1 offset:1760
	s_wait_loadcnt_dscnt 0x401
	v_mul_f64_e32 v[167:168], v[2:3], v[40:41]
	v_mul_f64_e32 v[40:41], v[4:5], v[40:41]
	v_add_f64_e32 v[22:23], v[22:23], v[26:27]
	v_add_f64_e32 v[24:25], v[28:29], v[165:166]
	s_wait_loadcnt_dscnt 0x300
	v_mul_f64_e32 v[26:27], v[18:19], v[163:164]
	v_mul_f64_e32 v[28:29], v[20:21], v[163:164]
	v_fma_f64 v[30:31], v[4:5], v[38:39], v[167:168]
	v_fma_f64 v[32:33], v[2:3], v[38:39], -v[40:41]
	v_add_f64_e32 v[22:23], v[22:23], v[14:15]
	v_add_f64_e32 v[24:25], v[24:25], v[16:17]
	ds_load_b128 v[2:5], v1 offset:1776
	ds_load_b128 v[14:17], v1 offset:1792
	v_fma_f64 v[20:21], v[20:21], v[161:162], v[26:27]
	v_fma_f64 v[18:19], v[18:19], v[161:162], -v[28:29]
	s_wait_loadcnt_dscnt 0x201
	v_mul_f64_e32 v[38:39], v[2:3], v[36:37]
	v_mul_f64_e32 v[36:37], v[4:5], v[36:37]
	s_wait_loadcnt_dscnt 0x100
	v_mul_f64_e32 v[26:27], v[14:15], v[8:9]
	v_mul_f64_e32 v[8:9], v[16:17], v[8:9]
	v_add_f64_e32 v[22:23], v[22:23], v[32:33]
	v_add_f64_e32 v[24:25], v[24:25], v[30:31]
	v_fma_f64 v[28:29], v[4:5], v[34:35], v[38:39]
	v_fma_f64 v[30:31], v[2:3], v[34:35], -v[36:37]
	ds_load_b128 v[2:5], v1 offset:1808
	v_fma_f64 v[16:17], v[16:17], v[6:7], v[26:27]
	v_fma_f64 v[6:7], v[14:15], v[6:7], -v[8:9]
	v_add_f64_e32 v[18:19], v[22:23], v[18:19]
	v_add_f64_e32 v[20:21], v[24:25], v[20:21]
	s_wait_loadcnt_dscnt 0x0
	v_mul_f64_e32 v[22:23], v[2:3], v[12:13]
	v_mul_f64_e32 v[12:13], v[4:5], v[12:13]
	s_delay_alu instid0(VALU_DEP_4) | instskip(NEXT) | instid1(VALU_DEP_4)
	v_add_f64_e32 v[8:9], v[18:19], v[30:31]
	v_add_f64_e32 v[14:15], v[20:21], v[28:29]
	s_delay_alu instid0(VALU_DEP_4) | instskip(NEXT) | instid1(VALU_DEP_4)
	v_fma_f64 v[4:5], v[4:5], v[10:11], v[22:23]
	v_fma_f64 v[2:3], v[2:3], v[10:11], -v[12:13]
	s_delay_alu instid0(VALU_DEP_4) | instskip(NEXT) | instid1(VALU_DEP_4)
	v_add_f64_e32 v[6:7], v[8:9], v[6:7]
	v_add_f64_e32 v[8:9], v[14:15], v[16:17]
	s_delay_alu instid0(VALU_DEP_2) | instskip(NEXT) | instid1(VALU_DEP_2)
	v_add_f64_e32 v[2:3], v[6:7], v[2:3]
	v_add_f64_e32 v[4:5], v[8:9], v[4:5]
	s_delay_alu instid0(VALU_DEP_2) | instskip(NEXT) | instid1(VALU_DEP_2)
	v_add_f64_e64 v[2:3], v[42:43], -v[2:3]
	v_add_f64_e64 v[4:5], v[44:45], -v[4:5]
	scratch_store_b128 off, v[2:5], off offset:384
	v_cmpx_lt_u32_e32 22, v0
	s_cbranch_execz .LBB120_311
; %bb.310:
	scratch_load_b128 v[5:8], off, s48
	v_dual_mov_b32 v2, v1 :: v_dual_mov_b32 v3, v1
	v_mov_b32_e32 v4, v1
	scratch_store_b128 off, v[1:4], off offset:368
	s_wait_loadcnt 0x0
	ds_store_b128 v160, v[5:8]
.LBB120_311:
	s_wait_alu 0xfffe
	s_or_b32 exec_lo, exec_lo, s0
	s_wait_storecnt_dscnt 0x0
	s_barrier_signal -1
	s_barrier_wait -1
	global_inv scope:SCOPE_SE
	s_clause 0x8
	scratch_load_b128 v[2:5], off, off offset:384
	scratch_load_b128 v[6:9], off, off offset:400
	scratch_load_b128 v[10:13], off, off offset:416
	scratch_load_b128 v[14:17], off, off offset:432
	scratch_load_b128 v[18:21], off, off offset:448
	scratch_load_b128 v[22:25], off, off offset:464
	scratch_load_b128 v[26:29], off, off offset:480
	scratch_load_b128 v[30:33], off, off offset:496
	scratch_load_b128 v[34:37], off, off offset:512
	ds_load_b128 v[38:41], v1 offset:1280
	ds_load_b128 v[42:45], v1 offset:1296
	s_clause 0x1
	scratch_load_b128 v[161:164], off, off offset:368
	scratch_load_b128 v[165:168], off, off offset:528
	s_mov_b32 s0, exec_lo
	s_wait_loadcnt_dscnt 0xa01
	v_mul_f64_e32 v[169:170], v[40:41], v[4:5]
	v_mul_f64_e32 v[4:5], v[38:39], v[4:5]
	s_wait_loadcnt_dscnt 0x900
	v_mul_f64_e32 v[173:174], v[42:43], v[8:9]
	v_mul_f64_e32 v[8:9], v[44:45], v[8:9]
	s_delay_alu instid0(VALU_DEP_4) | instskip(NEXT) | instid1(VALU_DEP_4)
	v_fma_f64 v[175:176], v[38:39], v[2:3], -v[169:170]
	v_fma_f64 v[177:178], v[40:41], v[2:3], v[4:5]
	ds_load_b128 v[2:5], v1 offset:1312
	ds_load_b128 v[169:172], v1 offset:1328
	scratch_load_b128 v[38:41], off, off offset:544
	v_fma_f64 v[44:45], v[44:45], v[6:7], v[173:174]
	v_fma_f64 v[42:43], v[42:43], v[6:7], -v[8:9]
	scratch_load_b128 v[6:9], off, off offset:560
	s_wait_loadcnt_dscnt 0xa01
	v_mul_f64_e32 v[179:180], v[2:3], v[12:13]
	v_mul_f64_e32 v[12:13], v[4:5], v[12:13]
	v_add_f64_e32 v[173:174], 0, v[175:176]
	v_add_f64_e32 v[175:176], 0, v[177:178]
	s_wait_loadcnt_dscnt 0x900
	v_mul_f64_e32 v[177:178], v[169:170], v[16:17]
	v_mul_f64_e32 v[16:17], v[171:172], v[16:17]
	v_fma_f64 v[179:180], v[4:5], v[10:11], v[179:180]
	v_fma_f64 v[181:182], v[2:3], v[10:11], -v[12:13]
	ds_load_b128 v[2:5], v1 offset:1344
	scratch_load_b128 v[10:13], off, off offset:576
	v_add_f64_e32 v[173:174], v[173:174], v[42:43]
	v_add_f64_e32 v[175:176], v[175:176], v[44:45]
	ds_load_b128 v[42:45], v1 offset:1360
	v_fma_f64 v[171:172], v[171:172], v[14:15], v[177:178]
	v_fma_f64 v[169:170], v[169:170], v[14:15], -v[16:17]
	scratch_load_b128 v[14:17], off, off offset:592
	s_wait_loadcnt_dscnt 0xa01
	v_mul_f64_e32 v[183:184], v[2:3], v[20:21]
	v_mul_f64_e32 v[20:21], v[4:5], v[20:21]
	s_wait_loadcnt_dscnt 0x900
	v_mul_f64_e32 v[177:178], v[42:43], v[24:25]
	v_mul_f64_e32 v[24:25], v[44:45], v[24:25]
	v_add_f64_e32 v[173:174], v[173:174], v[181:182]
	v_add_f64_e32 v[175:176], v[175:176], v[179:180]
	v_fma_f64 v[179:180], v[4:5], v[18:19], v[183:184]
	v_fma_f64 v[181:182], v[2:3], v[18:19], -v[20:21]
	ds_load_b128 v[2:5], v1 offset:1376
	scratch_load_b128 v[18:21], off, off offset:608
	v_fma_f64 v[44:45], v[44:45], v[22:23], v[177:178]
	v_fma_f64 v[42:43], v[42:43], v[22:23], -v[24:25]
	scratch_load_b128 v[22:25], off, off offset:624
	v_add_f64_e32 v[173:174], v[173:174], v[169:170]
	v_add_f64_e32 v[175:176], v[175:176], v[171:172]
	ds_load_b128 v[169:172], v1 offset:1392
	s_wait_loadcnt_dscnt 0xa01
	v_mul_f64_e32 v[183:184], v[2:3], v[28:29]
	v_mul_f64_e32 v[28:29], v[4:5], v[28:29]
	s_wait_loadcnt_dscnt 0x900
	v_mul_f64_e32 v[177:178], v[169:170], v[32:33]
	v_mul_f64_e32 v[32:33], v[171:172], v[32:33]
	v_add_f64_e32 v[173:174], v[173:174], v[181:182]
	v_add_f64_e32 v[175:176], v[175:176], v[179:180]
	v_fma_f64 v[179:180], v[4:5], v[26:27], v[183:184]
	v_fma_f64 v[181:182], v[2:3], v[26:27], -v[28:29]
	ds_load_b128 v[2:5], v1 offset:1408
	scratch_load_b128 v[26:29], off, off offset:640
	v_fma_f64 v[171:172], v[171:172], v[30:31], v[177:178]
	v_fma_f64 v[169:170], v[169:170], v[30:31], -v[32:33]
	scratch_load_b128 v[30:33], off, off offset:656
	v_add_f64_e32 v[173:174], v[173:174], v[42:43]
	v_add_f64_e32 v[175:176], v[175:176], v[44:45]
	ds_load_b128 v[42:45], v1 offset:1424
	s_wait_loadcnt_dscnt 0xa01
	v_mul_f64_e32 v[183:184], v[2:3], v[36:37]
	v_mul_f64_e32 v[36:37], v[4:5], v[36:37]
	s_wait_loadcnt_dscnt 0x800
	v_mul_f64_e32 v[177:178], v[42:43], v[167:168]
	v_add_f64_e32 v[173:174], v[173:174], v[181:182]
	v_add_f64_e32 v[175:176], v[175:176], v[179:180]
	v_mul_f64_e32 v[179:180], v[44:45], v[167:168]
	v_fma_f64 v[181:182], v[4:5], v[34:35], v[183:184]
	v_fma_f64 v[183:184], v[2:3], v[34:35], -v[36:37]
	ds_load_b128 v[2:5], v1 offset:1440
	scratch_load_b128 v[34:37], off, off offset:672
	v_fma_f64 v[44:45], v[44:45], v[165:166], v[177:178]
	v_add_f64_e32 v[173:174], v[173:174], v[169:170]
	v_add_f64_e32 v[171:172], v[175:176], v[171:172]
	ds_load_b128 v[167:170], v1 offset:1456
	v_fma_f64 v[165:166], v[42:43], v[165:166], -v[179:180]
	s_wait_loadcnt_dscnt 0x801
	v_mul_f64_e32 v[175:176], v[2:3], v[40:41]
	v_mul_f64_e32 v[185:186], v[4:5], v[40:41]
	scratch_load_b128 v[40:43], off, off offset:688
	s_wait_loadcnt_dscnt 0x800
	v_mul_f64_e32 v[179:180], v[167:168], v[8:9]
	v_mul_f64_e32 v[8:9], v[169:170], v[8:9]
	v_add_f64_e32 v[173:174], v[173:174], v[183:184]
	v_add_f64_e32 v[171:172], v[171:172], v[181:182]
	v_fma_f64 v[181:182], v[4:5], v[38:39], v[175:176]
	v_fma_f64 v[38:39], v[2:3], v[38:39], -v[185:186]
	ds_load_b128 v[2:5], v1 offset:1472
	ds_load_b128 v[175:178], v1 offset:1488
	v_fma_f64 v[169:170], v[169:170], v[6:7], v[179:180]
	v_fma_f64 v[167:168], v[167:168], v[6:7], -v[8:9]
	scratch_load_b128 v[6:9], off, off offset:720
	v_add_f64_e32 v[165:166], v[173:174], v[165:166]
	v_add_f64_e32 v[44:45], v[171:172], v[44:45]
	scratch_load_b128 v[171:174], off, off offset:704
	s_wait_loadcnt_dscnt 0x901
	v_mul_f64_e32 v[183:184], v[2:3], v[12:13]
	v_mul_f64_e32 v[12:13], v[4:5], v[12:13]
	s_wait_loadcnt_dscnt 0x800
	v_mul_f64_e32 v[179:180], v[175:176], v[16:17]
	v_mul_f64_e32 v[16:17], v[177:178], v[16:17]
	v_add_f64_e32 v[38:39], v[165:166], v[38:39]
	v_add_f64_e32 v[44:45], v[44:45], v[181:182]
	v_fma_f64 v[181:182], v[4:5], v[10:11], v[183:184]
	v_fma_f64 v[183:184], v[2:3], v[10:11], -v[12:13]
	ds_load_b128 v[2:5], v1 offset:1504
	scratch_load_b128 v[10:13], off, off offset:736
	v_fma_f64 v[177:178], v[177:178], v[14:15], v[179:180]
	v_fma_f64 v[175:176], v[175:176], v[14:15], -v[16:17]
	scratch_load_b128 v[14:17], off, off offset:752
	v_add_f64_e32 v[38:39], v[38:39], v[167:168]
	v_add_f64_e32 v[44:45], v[44:45], v[169:170]
	ds_load_b128 v[165:168], v1 offset:1520
	s_wait_loadcnt_dscnt 0x901
	v_mul_f64_e32 v[169:170], v[2:3], v[20:21]
	v_mul_f64_e32 v[20:21], v[4:5], v[20:21]
	s_wait_loadcnt_dscnt 0x800
	v_mul_f64_e32 v[179:180], v[165:166], v[24:25]
	v_mul_f64_e32 v[24:25], v[167:168], v[24:25]
	v_add_f64_e32 v[38:39], v[38:39], v[183:184]
	v_add_f64_e32 v[44:45], v[44:45], v[181:182]
	v_fma_f64 v[169:170], v[4:5], v[18:19], v[169:170]
	v_fma_f64 v[181:182], v[2:3], v[18:19], -v[20:21]
	ds_load_b128 v[2:5], v1 offset:1536
	scratch_load_b128 v[18:21], off, off offset:768
	v_fma_f64 v[167:168], v[167:168], v[22:23], v[179:180]
	v_fma_f64 v[165:166], v[165:166], v[22:23], -v[24:25]
	scratch_load_b128 v[22:25], off, off offset:784
	v_add_f64_e32 v[38:39], v[38:39], v[175:176]
	v_add_f64_e32 v[44:45], v[44:45], v[177:178]
	ds_load_b128 v[175:178], v1 offset:1552
	s_wait_loadcnt_dscnt 0x901
	v_mul_f64_e32 v[183:184], v[2:3], v[28:29]
	v_mul_f64_e32 v[28:29], v[4:5], v[28:29]
	v_add_f64_e32 v[38:39], v[38:39], v[181:182]
	v_add_f64_e32 v[44:45], v[44:45], v[169:170]
	s_wait_loadcnt_dscnt 0x800
	v_mul_f64_e32 v[169:170], v[175:176], v[32:33]
	v_mul_f64_e32 v[32:33], v[177:178], v[32:33]
	v_fma_f64 v[179:180], v[4:5], v[26:27], v[183:184]
	v_fma_f64 v[181:182], v[2:3], v[26:27], -v[28:29]
	ds_load_b128 v[2:5], v1 offset:1568
	scratch_load_b128 v[26:29], off, off offset:800
	v_add_f64_e32 v[38:39], v[38:39], v[165:166]
	v_add_f64_e32 v[44:45], v[44:45], v[167:168]
	ds_load_b128 v[165:168], v1 offset:1584
	s_wait_loadcnt_dscnt 0x801
	v_mul_f64_e32 v[183:184], v[2:3], v[36:37]
	v_mul_f64_e32 v[36:37], v[4:5], v[36:37]
	v_fma_f64 v[169:170], v[177:178], v[30:31], v[169:170]
	v_fma_f64 v[175:176], v[175:176], v[30:31], -v[32:33]
	scratch_load_b128 v[30:33], off, off offset:816
	s_wait_loadcnt_dscnt 0x800
	v_mul_f64_e32 v[177:178], v[165:166], v[42:43]
	v_add_f64_e32 v[38:39], v[38:39], v[181:182]
	v_add_f64_e32 v[44:45], v[44:45], v[179:180]
	v_mul_f64_e32 v[179:180], v[167:168], v[42:43]
	v_fma_f64 v[181:182], v[4:5], v[34:35], v[183:184]
	v_fma_f64 v[183:184], v[2:3], v[34:35], -v[36:37]
	ds_load_b128 v[2:5], v1 offset:1600
	scratch_load_b128 v[34:37], off, off offset:832
	v_fma_f64 v[167:168], v[167:168], v[40:41], v[177:178]
	v_add_f64_e32 v[38:39], v[38:39], v[175:176]
	v_add_f64_e32 v[169:170], v[44:45], v[169:170]
	ds_load_b128 v[42:45], v1 offset:1616
	v_fma_f64 v[165:166], v[165:166], v[40:41], -v[179:180]
	s_wait_loadcnt_dscnt 0x701
	v_mul_f64_e32 v[175:176], v[2:3], v[173:174]
	v_mul_f64_e32 v[173:174], v[4:5], v[173:174]
	s_wait_dscnt 0x0
	v_mul_f64_e32 v[179:180], v[42:43], v[8:9]
	v_mul_f64_e32 v[8:9], v[44:45], v[8:9]
	v_add_f64_e32 v[177:178], v[38:39], v[183:184]
	v_add_f64_e32 v[169:170], v[169:170], v[181:182]
	scratch_load_b128 v[38:41], off, off offset:848
	v_fma_f64 v[175:176], v[4:5], v[171:172], v[175:176]
	v_fma_f64 v[173:174], v[2:3], v[171:172], -v[173:174]
	ds_load_b128 v[2:5], v1 offset:1632
	v_fma_f64 v[44:45], v[44:45], v[6:7], v[179:180]
	v_fma_f64 v[42:43], v[42:43], v[6:7], -v[8:9]
	scratch_load_b128 v[6:9], off, off offset:880
	v_add_f64_e32 v[177:178], v[177:178], v[165:166]
	v_add_f64_e32 v[181:182], v[169:170], v[167:168]
	scratch_load_b128 v[165:168], off, off offset:864
	ds_load_b128 v[169:172], v1 offset:1648
	s_wait_loadcnt_dscnt 0x901
	v_mul_f64_e32 v[183:184], v[2:3], v[12:13]
	v_mul_f64_e32 v[12:13], v[4:5], v[12:13]
	v_add_f64_e32 v[173:174], v[177:178], v[173:174]
	v_add_f64_e32 v[175:176], v[181:182], v[175:176]
	s_wait_loadcnt_dscnt 0x800
	v_mul_f64_e32 v[177:178], v[169:170], v[16:17]
	v_mul_f64_e32 v[16:17], v[171:172], v[16:17]
	v_fma_f64 v[179:180], v[4:5], v[10:11], v[183:184]
	v_fma_f64 v[181:182], v[2:3], v[10:11], -v[12:13]
	ds_load_b128 v[2:5], v1 offset:1664
	scratch_load_b128 v[10:13], off, off offset:896
	v_add_f64_e32 v[173:174], v[173:174], v[42:43]
	v_add_f64_e32 v[175:176], v[175:176], v[44:45]
	ds_load_b128 v[42:45], v1 offset:1680
	s_wait_loadcnt_dscnt 0x801
	v_mul_f64_e32 v[183:184], v[2:3], v[20:21]
	v_mul_f64_e32 v[20:21], v[4:5], v[20:21]
	v_fma_f64 v[171:172], v[171:172], v[14:15], v[177:178]
	v_fma_f64 v[169:170], v[169:170], v[14:15], -v[16:17]
	scratch_load_b128 v[14:17], off, off offset:912
	s_wait_loadcnt_dscnt 0x800
	v_mul_f64_e32 v[177:178], v[42:43], v[24:25]
	v_mul_f64_e32 v[24:25], v[44:45], v[24:25]
	v_add_f64_e32 v[173:174], v[173:174], v[181:182]
	v_add_f64_e32 v[175:176], v[175:176], v[179:180]
	v_fma_f64 v[179:180], v[4:5], v[18:19], v[183:184]
	v_fma_f64 v[181:182], v[2:3], v[18:19], -v[20:21]
	ds_load_b128 v[2:5], v1 offset:1696
	ds_load_b128 v[18:21], v1 offset:1712
	v_fma_f64 v[44:45], v[44:45], v[22:23], v[177:178]
	v_fma_f64 v[22:23], v[42:43], v[22:23], -v[24:25]
	v_add_f64_e32 v[169:170], v[173:174], v[169:170]
	v_add_f64_e32 v[171:172], v[175:176], v[171:172]
	s_wait_loadcnt_dscnt 0x701
	v_mul_f64_e32 v[173:174], v[2:3], v[28:29]
	v_mul_f64_e32 v[28:29], v[4:5], v[28:29]
	s_delay_alu instid0(VALU_DEP_4) | instskip(NEXT) | instid1(VALU_DEP_4)
	v_add_f64_e32 v[24:25], v[169:170], v[181:182]
	v_add_f64_e32 v[42:43], v[171:172], v[179:180]
	s_wait_loadcnt_dscnt 0x600
	v_mul_f64_e32 v[169:170], v[18:19], v[32:33]
	v_mul_f64_e32 v[32:33], v[20:21], v[32:33]
	v_fma_f64 v[171:172], v[4:5], v[26:27], v[173:174]
	v_fma_f64 v[26:27], v[2:3], v[26:27], -v[28:29]
	v_add_f64_e32 v[28:29], v[24:25], v[22:23]
	v_add_f64_e32 v[42:43], v[42:43], v[44:45]
	ds_load_b128 v[2:5], v1 offset:1728
	ds_load_b128 v[22:25], v1 offset:1744
	v_fma_f64 v[20:21], v[20:21], v[30:31], v[169:170]
	v_fma_f64 v[18:19], v[18:19], v[30:31], -v[32:33]
	s_wait_loadcnt_dscnt 0x501
	v_mul_f64_e32 v[44:45], v[2:3], v[36:37]
	v_mul_f64_e32 v[36:37], v[4:5], v[36:37]
	v_add_f64_e32 v[26:27], v[28:29], v[26:27]
	v_add_f64_e32 v[28:29], v[42:43], v[171:172]
	s_wait_loadcnt_dscnt 0x400
	v_mul_f64_e32 v[30:31], v[22:23], v[40:41]
	v_mul_f64_e32 v[32:33], v[24:25], v[40:41]
	v_fma_f64 v[40:41], v[4:5], v[34:35], v[44:45]
	v_fma_f64 v[34:35], v[2:3], v[34:35], -v[36:37]
	v_add_f64_e32 v[26:27], v[26:27], v[18:19]
	v_add_f64_e32 v[28:29], v[28:29], v[20:21]
	ds_load_b128 v[2:5], v1 offset:1760
	ds_load_b128 v[18:21], v1 offset:1776
	v_fma_f64 v[24:25], v[24:25], v[38:39], v[30:31]
	v_fma_f64 v[22:23], v[22:23], v[38:39], -v[32:33]
	s_wait_loadcnt_dscnt 0x201
	v_mul_f64_e32 v[36:37], v[2:3], v[167:168]
	v_mul_f64_e32 v[42:43], v[4:5], v[167:168]
	s_wait_dscnt 0x0
	v_mul_f64_e32 v[30:31], v[18:19], v[8:9]
	v_mul_f64_e32 v[8:9], v[20:21], v[8:9]
	v_add_f64_e32 v[26:27], v[26:27], v[34:35]
	v_add_f64_e32 v[28:29], v[28:29], v[40:41]
	v_fma_f64 v[32:33], v[4:5], v[165:166], v[36:37]
	v_fma_f64 v[34:35], v[2:3], v[165:166], -v[42:43]
	v_fma_f64 v[20:21], v[20:21], v[6:7], v[30:31]
	v_fma_f64 v[6:7], v[18:19], v[6:7], -v[8:9]
	v_add_f64_e32 v[26:27], v[26:27], v[22:23]
	v_add_f64_e32 v[28:29], v[28:29], v[24:25]
	ds_load_b128 v[2:5], v1 offset:1792
	ds_load_b128 v[22:25], v1 offset:1808
	s_wait_loadcnt_dscnt 0x101
	v_mul_f64_e32 v[36:37], v[2:3], v[12:13]
	v_mul_f64_e32 v[12:13], v[4:5], v[12:13]
	v_add_f64_e32 v[8:9], v[26:27], v[34:35]
	v_add_f64_e32 v[18:19], v[28:29], v[32:33]
	s_wait_loadcnt_dscnt 0x0
	v_mul_f64_e32 v[26:27], v[22:23], v[16:17]
	v_mul_f64_e32 v[16:17], v[24:25], v[16:17]
	v_fma_f64 v[4:5], v[4:5], v[10:11], v[36:37]
	v_fma_f64 v[1:2], v[2:3], v[10:11], -v[12:13]
	v_add_f64_e32 v[6:7], v[8:9], v[6:7]
	v_add_f64_e32 v[8:9], v[18:19], v[20:21]
	v_fma_f64 v[10:11], v[24:25], v[14:15], v[26:27]
	v_fma_f64 v[12:13], v[22:23], v[14:15], -v[16:17]
	s_delay_alu instid0(VALU_DEP_4) | instskip(NEXT) | instid1(VALU_DEP_4)
	v_add_f64_e32 v[1:2], v[6:7], v[1:2]
	v_add_f64_e32 v[3:4], v[8:9], v[4:5]
	s_delay_alu instid0(VALU_DEP_2) | instskip(NEXT) | instid1(VALU_DEP_2)
	v_add_f64_e32 v[1:2], v[1:2], v[12:13]
	v_add_f64_e32 v[3:4], v[3:4], v[10:11]
	s_delay_alu instid0(VALU_DEP_2) | instskip(NEXT) | instid1(VALU_DEP_2)
	v_add_f64_e64 v[1:2], v[161:162], -v[1:2]
	v_add_f64_e64 v[3:4], v[163:164], -v[3:4]
	scratch_store_b128 off, v[1:4], off offset:368
	v_cmpx_lt_u32_e32 21, v0
	s_cbranch_execz .LBB120_313
; %bb.312:
	scratch_load_b128 v[1:4], off, s49
	v_mov_b32_e32 v5, 0
	s_delay_alu instid0(VALU_DEP_1)
	v_dual_mov_b32 v6, v5 :: v_dual_mov_b32 v7, v5
	v_mov_b32_e32 v8, v5
	scratch_store_b128 off, v[5:8], off offset:352
	s_wait_loadcnt 0x0
	ds_store_b128 v160, v[1:4]
.LBB120_313:
	s_wait_alu 0xfffe
	s_or_b32 exec_lo, exec_lo, s0
	s_wait_storecnt_dscnt 0x0
	s_barrier_signal -1
	s_barrier_wait -1
	global_inv scope:SCOPE_SE
	s_clause 0x7
	scratch_load_b128 v[2:5], off, off offset:368
	scratch_load_b128 v[6:9], off, off offset:384
	;; [unrolled: 1-line block ×8, first 2 shown]
	v_mov_b32_e32 v1, 0
	s_mov_b32 s0, exec_lo
	ds_load_b128 v[38:41], v1 offset:1264
	s_clause 0x1
	scratch_load_b128 v[34:37], off, off offset:496
	scratch_load_b128 v[42:45], off, off offset:352
	ds_load_b128 v[161:164], v1 offset:1280
	scratch_load_b128 v[165:168], off, off offset:512
	s_wait_loadcnt_dscnt 0xa01
	v_mul_f64_e32 v[169:170], v[40:41], v[4:5]
	v_mul_f64_e32 v[4:5], v[38:39], v[4:5]
	s_delay_alu instid0(VALU_DEP_2) | instskip(NEXT) | instid1(VALU_DEP_2)
	v_fma_f64 v[175:176], v[38:39], v[2:3], -v[169:170]
	v_fma_f64 v[177:178], v[40:41], v[2:3], v[4:5]
	ds_load_b128 v[2:5], v1 offset:1296
	s_wait_loadcnt_dscnt 0x901
	v_mul_f64_e32 v[173:174], v[161:162], v[8:9]
	v_mul_f64_e32 v[8:9], v[163:164], v[8:9]
	scratch_load_b128 v[38:41], off, off offset:528
	ds_load_b128 v[169:172], v1 offset:1312
	s_wait_loadcnt_dscnt 0x901
	v_mul_f64_e32 v[179:180], v[2:3], v[12:13]
	v_mul_f64_e32 v[12:13], v[4:5], v[12:13]
	v_fma_f64 v[163:164], v[163:164], v[6:7], v[173:174]
	v_fma_f64 v[161:162], v[161:162], v[6:7], -v[8:9]
	v_add_f64_e32 v[173:174], 0, v[175:176]
	v_add_f64_e32 v[175:176], 0, v[177:178]
	scratch_load_b128 v[6:9], off, off offset:544
	v_fma_f64 v[179:180], v[4:5], v[10:11], v[179:180]
	v_fma_f64 v[181:182], v[2:3], v[10:11], -v[12:13]
	ds_load_b128 v[2:5], v1 offset:1328
	s_wait_loadcnt_dscnt 0x901
	v_mul_f64_e32 v[177:178], v[169:170], v[16:17]
	v_mul_f64_e32 v[16:17], v[171:172], v[16:17]
	scratch_load_b128 v[10:13], off, off offset:560
	v_add_f64_e32 v[173:174], v[173:174], v[161:162]
	v_add_f64_e32 v[175:176], v[175:176], v[163:164]
	s_wait_loadcnt_dscnt 0x900
	v_mul_f64_e32 v[183:184], v[2:3], v[20:21]
	v_mul_f64_e32 v[20:21], v[4:5], v[20:21]
	ds_load_b128 v[161:164], v1 offset:1344
	v_fma_f64 v[171:172], v[171:172], v[14:15], v[177:178]
	v_fma_f64 v[169:170], v[169:170], v[14:15], -v[16:17]
	scratch_load_b128 v[14:17], off, off offset:576
	v_add_f64_e32 v[173:174], v[173:174], v[181:182]
	v_add_f64_e32 v[175:176], v[175:176], v[179:180]
	v_fma_f64 v[179:180], v[4:5], v[18:19], v[183:184]
	v_fma_f64 v[181:182], v[2:3], v[18:19], -v[20:21]
	ds_load_b128 v[2:5], v1 offset:1360
	s_wait_loadcnt_dscnt 0x901
	v_mul_f64_e32 v[177:178], v[161:162], v[24:25]
	v_mul_f64_e32 v[24:25], v[163:164], v[24:25]
	scratch_load_b128 v[18:21], off, off offset:592
	s_wait_loadcnt_dscnt 0x900
	v_mul_f64_e32 v[183:184], v[2:3], v[28:29]
	v_mul_f64_e32 v[28:29], v[4:5], v[28:29]
	v_add_f64_e32 v[173:174], v[173:174], v[169:170]
	v_add_f64_e32 v[175:176], v[175:176], v[171:172]
	ds_load_b128 v[169:172], v1 offset:1376
	v_fma_f64 v[163:164], v[163:164], v[22:23], v[177:178]
	v_fma_f64 v[161:162], v[161:162], v[22:23], -v[24:25]
	scratch_load_b128 v[22:25], off, off offset:608
	v_add_f64_e32 v[173:174], v[173:174], v[181:182]
	v_add_f64_e32 v[175:176], v[175:176], v[179:180]
	v_fma_f64 v[179:180], v[4:5], v[26:27], v[183:184]
	v_fma_f64 v[181:182], v[2:3], v[26:27], -v[28:29]
	ds_load_b128 v[2:5], v1 offset:1392
	s_wait_loadcnt_dscnt 0x901
	v_mul_f64_e32 v[177:178], v[169:170], v[32:33]
	v_mul_f64_e32 v[32:33], v[171:172], v[32:33]
	scratch_load_b128 v[26:29], off, off offset:624
	s_wait_loadcnt_dscnt 0x900
	v_mul_f64_e32 v[183:184], v[2:3], v[36:37]
	v_mul_f64_e32 v[36:37], v[4:5], v[36:37]
	v_add_f64_e32 v[173:174], v[173:174], v[161:162]
	v_add_f64_e32 v[175:176], v[175:176], v[163:164]
	ds_load_b128 v[161:164], v1 offset:1408
	v_fma_f64 v[171:172], v[171:172], v[30:31], v[177:178]
	v_fma_f64 v[169:170], v[169:170], v[30:31], -v[32:33]
	scratch_load_b128 v[30:33], off, off offset:640
	v_add_f64_e32 v[173:174], v[173:174], v[181:182]
	v_add_f64_e32 v[175:176], v[175:176], v[179:180]
	v_fma_f64 v[181:182], v[4:5], v[34:35], v[183:184]
	v_fma_f64 v[183:184], v[2:3], v[34:35], -v[36:37]
	ds_load_b128 v[2:5], v1 offset:1424
	s_wait_loadcnt_dscnt 0x801
	v_mul_f64_e32 v[177:178], v[161:162], v[167:168]
	v_mul_f64_e32 v[179:180], v[163:164], v[167:168]
	scratch_load_b128 v[34:37], off, off offset:656
	v_add_f64_e32 v[173:174], v[173:174], v[169:170]
	v_add_f64_e32 v[171:172], v[175:176], v[171:172]
	ds_load_b128 v[167:170], v1 offset:1440
	v_fma_f64 v[177:178], v[163:164], v[165:166], v[177:178]
	v_fma_f64 v[165:166], v[161:162], v[165:166], -v[179:180]
	scratch_load_b128 v[161:164], off, off offset:672
	s_wait_loadcnt_dscnt 0x901
	v_mul_f64_e32 v[175:176], v[2:3], v[40:41]
	v_mul_f64_e32 v[40:41], v[4:5], v[40:41]
	v_add_f64_e32 v[173:174], v[173:174], v[183:184]
	v_add_f64_e32 v[171:172], v[171:172], v[181:182]
	s_delay_alu instid0(VALU_DEP_4) | instskip(NEXT) | instid1(VALU_DEP_4)
	v_fma_f64 v[175:176], v[4:5], v[38:39], v[175:176]
	v_fma_f64 v[181:182], v[2:3], v[38:39], -v[40:41]
	ds_load_b128 v[2:5], v1 offset:1456
	s_wait_loadcnt_dscnt 0x801
	v_mul_f64_e32 v[179:180], v[167:168], v[8:9]
	v_mul_f64_e32 v[8:9], v[169:170], v[8:9]
	scratch_load_b128 v[38:41], off, off offset:688
	s_wait_loadcnt_dscnt 0x800
	v_mul_f64_e32 v[183:184], v[2:3], v[12:13]
	v_add_f64_e32 v[165:166], v[173:174], v[165:166]
	v_add_f64_e32 v[177:178], v[171:172], v[177:178]
	v_mul_f64_e32 v[12:13], v[4:5], v[12:13]
	ds_load_b128 v[171:174], v1 offset:1472
	v_fma_f64 v[169:170], v[169:170], v[6:7], v[179:180]
	v_fma_f64 v[167:168], v[167:168], v[6:7], -v[8:9]
	scratch_load_b128 v[6:9], off, off offset:704
	v_fma_f64 v[179:180], v[4:5], v[10:11], v[183:184]
	v_add_f64_e32 v[165:166], v[165:166], v[181:182]
	v_add_f64_e32 v[175:176], v[177:178], v[175:176]
	v_fma_f64 v[181:182], v[2:3], v[10:11], -v[12:13]
	ds_load_b128 v[2:5], v1 offset:1488
	s_wait_loadcnt_dscnt 0x801
	v_mul_f64_e32 v[177:178], v[171:172], v[16:17]
	v_mul_f64_e32 v[16:17], v[173:174], v[16:17]
	scratch_load_b128 v[10:13], off, off offset:720
	v_add_f64_e32 v[183:184], v[165:166], v[167:168]
	v_add_f64_e32 v[169:170], v[175:176], v[169:170]
	s_wait_loadcnt_dscnt 0x800
	v_mul_f64_e32 v[175:176], v[2:3], v[20:21]
	v_mul_f64_e32 v[20:21], v[4:5], v[20:21]
	v_fma_f64 v[173:174], v[173:174], v[14:15], v[177:178]
	v_fma_f64 v[171:172], v[171:172], v[14:15], -v[16:17]
	ds_load_b128 v[165:168], v1 offset:1504
	scratch_load_b128 v[14:17], off, off offset:736
	v_add_f64_e32 v[177:178], v[183:184], v[181:182]
	v_add_f64_e32 v[169:170], v[169:170], v[179:180]
	v_fma_f64 v[175:176], v[4:5], v[18:19], v[175:176]
	v_fma_f64 v[181:182], v[2:3], v[18:19], -v[20:21]
	ds_load_b128 v[2:5], v1 offset:1520
	s_wait_loadcnt_dscnt 0x801
	v_mul_f64_e32 v[179:180], v[165:166], v[24:25]
	v_mul_f64_e32 v[24:25], v[167:168], v[24:25]
	scratch_load_b128 v[18:21], off, off offset:752
	s_wait_loadcnt_dscnt 0x800
	v_mul_f64_e32 v[183:184], v[2:3], v[28:29]
	v_mul_f64_e32 v[28:29], v[4:5], v[28:29]
	v_add_f64_e32 v[177:178], v[177:178], v[171:172]
	v_add_f64_e32 v[173:174], v[169:170], v[173:174]
	ds_load_b128 v[169:172], v1 offset:1536
	v_fma_f64 v[167:168], v[167:168], v[22:23], v[179:180]
	v_fma_f64 v[165:166], v[165:166], v[22:23], -v[24:25]
	scratch_load_b128 v[22:25], off, off offset:768
	v_fma_f64 v[179:180], v[4:5], v[26:27], v[183:184]
	v_add_f64_e32 v[177:178], v[177:178], v[181:182]
	v_add_f64_e32 v[173:174], v[173:174], v[175:176]
	v_fma_f64 v[181:182], v[2:3], v[26:27], -v[28:29]
	ds_load_b128 v[2:5], v1 offset:1552
	s_wait_loadcnt_dscnt 0x801
	v_mul_f64_e32 v[175:176], v[169:170], v[32:33]
	v_mul_f64_e32 v[32:33], v[171:172], v[32:33]
	scratch_load_b128 v[26:29], off, off offset:784
	s_wait_loadcnt_dscnt 0x800
	v_mul_f64_e32 v[183:184], v[2:3], v[36:37]
	v_mul_f64_e32 v[36:37], v[4:5], v[36:37]
	v_add_f64_e32 v[177:178], v[177:178], v[165:166]
	v_add_f64_e32 v[173:174], v[173:174], v[167:168]
	ds_load_b128 v[165:168], v1 offset:1568
	v_fma_f64 v[171:172], v[171:172], v[30:31], v[175:176]
	v_fma_f64 v[169:170], v[169:170], v[30:31], -v[32:33]
	scratch_load_b128 v[30:33], off, off offset:800
	v_add_f64_e32 v[175:176], v[177:178], v[181:182]
	v_add_f64_e32 v[173:174], v[173:174], v[179:180]
	v_fma_f64 v[179:180], v[4:5], v[34:35], v[183:184]
	v_fma_f64 v[181:182], v[2:3], v[34:35], -v[36:37]
	ds_load_b128 v[2:5], v1 offset:1584
	s_wait_loadcnt_dscnt 0x801
	v_mul_f64_e32 v[177:178], v[165:166], v[163:164]
	v_mul_f64_e32 v[163:164], v[167:168], v[163:164]
	scratch_load_b128 v[34:37], off, off offset:816
	s_wait_loadcnt_dscnt 0x800
	v_mul_f64_e32 v[183:184], v[2:3], v[40:41]
	v_mul_f64_e32 v[40:41], v[4:5], v[40:41]
	v_add_f64_e32 v[175:176], v[175:176], v[169:170]
	v_add_f64_e32 v[173:174], v[173:174], v[171:172]
	ds_load_b128 v[169:172], v1 offset:1600
	v_fma_f64 v[167:168], v[167:168], v[161:162], v[177:178]
	v_fma_f64 v[165:166], v[165:166], v[161:162], -v[163:164]
	scratch_load_b128 v[161:164], off, off offset:832
	v_add_f64_e32 v[175:176], v[175:176], v[181:182]
	v_add_f64_e32 v[173:174], v[173:174], v[179:180]
	v_fma_f64 v[179:180], v[4:5], v[38:39], v[183:184]
	;; [unrolled: 18-line block ×4, first 2 shown]
	v_fma_f64 v[181:182], v[2:3], v[18:19], -v[20:21]
	ds_load_b128 v[2:5], v1 offset:1680
	s_wait_loadcnt_dscnt 0x801
	v_mul_f64_e32 v[177:178], v[169:170], v[24:25]
	v_mul_f64_e32 v[24:25], v[171:172], v[24:25]
	scratch_load_b128 v[18:21], off, off offset:912
	s_wait_loadcnt_dscnt 0x800
	v_mul_f64_e32 v[183:184], v[2:3], v[28:29]
	v_mul_f64_e32 v[28:29], v[4:5], v[28:29]
	v_add_f64_e32 v[175:176], v[175:176], v[165:166]
	v_add_f64_e32 v[173:174], v[173:174], v[167:168]
	ds_load_b128 v[165:168], v1 offset:1696
	v_fma_f64 v[171:172], v[171:172], v[22:23], v[177:178]
	v_fma_f64 v[22:23], v[169:170], v[22:23], -v[24:25]
	v_add_f64_e32 v[24:25], v[175:176], v[181:182]
	v_add_f64_e32 v[169:170], v[173:174], v[179:180]
	s_wait_loadcnt_dscnt 0x700
	v_mul_f64_e32 v[173:174], v[165:166], v[32:33]
	v_mul_f64_e32 v[32:33], v[167:168], v[32:33]
	v_fma_f64 v[175:176], v[4:5], v[26:27], v[183:184]
	v_fma_f64 v[26:27], v[2:3], v[26:27], -v[28:29]
	v_add_f64_e32 v[28:29], v[24:25], v[22:23]
	v_add_f64_e32 v[169:170], v[169:170], v[171:172]
	ds_load_b128 v[2:5], v1 offset:1712
	ds_load_b128 v[22:25], v1 offset:1728
	v_fma_f64 v[167:168], v[167:168], v[30:31], v[173:174]
	v_fma_f64 v[30:31], v[165:166], v[30:31], -v[32:33]
	s_wait_loadcnt_dscnt 0x601
	v_mul_f64_e32 v[171:172], v[2:3], v[36:37]
	v_mul_f64_e32 v[36:37], v[4:5], v[36:37]
	s_wait_loadcnt_dscnt 0x500
	v_mul_f64_e32 v[32:33], v[22:23], v[163:164]
	v_mul_f64_e32 v[163:164], v[24:25], v[163:164]
	v_add_f64_e32 v[26:27], v[28:29], v[26:27]
	v_add_f64_e32 v[28:29], v[169:170], v[175:176]
	v_fma_f64 v[165:166], v[4:5], v[34:35], v[171:172]
	v_fma_f64 v[34:35], v[2:3], v[34:35], -v[36:37]
	v_fma_f64 v[24:25], v[24:25], v[161:162], v[32:33]
	v_fma_f64 v[22:23], v[22:23], v[161:162], -v[163:164]
	v_add_f64_e32 v[30:31], v[26:27], v[30:31]
	v_add_f64_e32 v[36:37], v[28:29], v[167:168]
	ds_load_b128 v[2:5], v1 offset:1744
	ds_load_b128 v[26:29], v1 offset:1760
	s_wait_loadcnt_dscnt 0x401
	v_mul_f64_e32 v[167:168], v[2:3], v[40:41]
	v_mul_f64_e32 v[40:41], v[4:5], v[40:41]
	v_add_f64_e32 v[30:31], v[30:31], v[34:35]
	v_add_f64_e32 v[32:33], v[36:37], v[165:166]
	s_wait_loadcnt_dscnt 0x300
	v_mul_f64_e32 v[34:35], v[26:27], v[8:9]
	v_mul_f64_e32 v[8:9], v[28:29], v[8:9]
	v_fma_f64 v[36:37], v[4:5], v[38:39], v[167:168]
	v_fma_f64 v[38:39], v[2:3], v[38:39], -v[40:41]
	v_add_f64_e32 v[30:31], v[30:31], v[22:23]
	v_add_f64_e32 v[32:33], v[32:33], v[24:25]
	ds_load_b128 v[2:5], v1 offset:1776
	ds_load_b128 v[22:25], v1 offset:1792
	v_fma_f64 v[28:29], v[28:29], v[6:7], v[34:35]
	v_fma_f64 v[6:7], v[26:27], v[6:7], -v[8:9]
	s_wait_loadcnt_dscnt 0x201
	v_mul_f64_e32 v[40:41], v[2:3], v[12:13]
	v_mul_f64_e32 v[12:13], v[4:5], v[12:13]
	v_add_f64_e32 v[8:9], v[30:31], v[38:39]
	v_add_f64_e32 v[26:27], v[32:33], v[36:37]
	s_wait_loadcnt_dscnt 0x100
	v_mul_f64_e32 v[30:31], v[22:23], v[16:17]
	v_mul_f64_e32 v[16:17], v[24:25], v[16:17]
	v_fma_f64 v[32:33], v[4:5], v[10:11], v[40:41]
	v_fma_f64 v[10:11], v[2:3], v[10:11], -v[12:13]
	ds_load_b128 v[2:5], v1 offset:1808
	v_add_f64_e32 v[6:7], v[8:9], v[6:7]
	v_add_f64_e32 v[8:9], v[26:27], v[28:29]
	v_fma_f64 v[24:25], v[24:25], v[14:15], v[30:31]
	v_fma_f64 v[14:15], v[22:23], v[14:15], -v[16:17]
	s_wait_loadcnt_dscnt 0x0
	v_mul_f64_e32 v[12:13], v[2:3], v[20:21]
	v_mul_f64_e32 v[20:21], v[4:5], v[20:21]
	v_add_f64_e32 v[6:7], v[6:7], v[10:11]
	v_add_f64_e32 v[8:9], v[8:9], v[32:33]
	s_delay_alu instid0(VALU_DEP_4) | instskip(NEXT) | instid1(VALU_DEP_4)
	v_fma_f64 v[4:5], v[4:5], v[18:19], v[12:13]
	v_fma_f64 v[2:3], v[2:3], v[18:19], -v[20:21]
	s_delay_alu instid0(VALU_DEP_4) | instskip(NEXT) | instid1(VALU_DEP_4)
	v_add_f64_e32 v[6:7], v[6:7], v[14:15]
	v_add_f64_e32 v[8:9], v[8:9], v[24:25]
	s_delay_alu instid0(VALU_DEP_2) | instskip(NEXT) | instid1(VALU_DEP_2)
	v_add_f64_e32 v[2:3], v[6:7], v[2:3]
	v_add_f64_e32 v[4:5], v[8:9], v[4:5]
	s_delay_alu instid0(VALU_DEP_2) | instskip(NEXT) | instid1(VALU_DEP_2)
	v_add_f64_e64 v[2:3], v[42:43], -v[2:3]
	v_add_f64_e64 v[4:5], v[44:45], -v[4:5]
	scratch_store_b128 off, v[2:5], off offset:352
	v_cmpx_lt_u32_e32 20, v0
	s_cbranch_execz .LBB120_315
; %bb.314:
	scratch_load_b128 v[5:8], off, s50
	v_dual_mov_b32 v2, v1 :: v_dual_mov_b32 v3, v1
	v_mov_b32_e32 v4, v1
	scratch_store_b128 off, v[1:4], off offset:336
	s_wait_loadcnt 0x0
	ds_store_b128 v160, v[5:8]
.LBB120_315:
	s_wait_alu 0xfffe
	s_or_b32 exec_lo, exec_lo, s0
	s_wait_storecnt_dscnt 0x0
	s_barrier_signal -1
	s_barrier_wait -1
	global_inv scope:SCOPE_SE
	s_clause 0x8
	scratch_load_b128 v[2:5], off, off offset:352
	scratch_load_b128 v[6:9], off, off offset:368
	;; [unrolled: 1-line block ×9, first 2 shown]
	ds_load_b128 v[38:41], v1 offset:1248
	ds_load_b128 v[42:45], v1 offset:1264
	s_clause 0x1
	scratch_load_b128 v[161:164], off, off offset:336
	scratch_load_b128 v[165:168], off, off offset:496
	s_mov_b32 s0, exec_lo
	s_wait_loadcnt_dscnt 0xa01
	v_mul_f64_e32 v[169:170], v[40:41], v[4:5]
	v_mul_f64_e32 v[4:5], v[38:39], v[4:5]
	s_wait_loadcnt_dscnt 0x900
	v_mul_f64_e32 v[173:174], v[42:43], v[8:9]
	v_mul_f64_e32 v[8:9], v[44:45], v[8:9]
	s_delay_alu instid0(VALU_DEP_4) | instskip(NEXT) | instid1(VALU_DEP_4)
	v_fma_f64 v[175:176], v[38:39], v[2:3], -v[169:170]
	v_fma_f64 v[177:178], v[40:41], v[2:3], v[4:5]
	ds_load_b128 v[2:5], v1 offset:1280
	ds_load_b128 v[169:172], v1 offset:1296
	scratch_load_b128 v[38:41], off, off offset:512
	v_fma_f64 v[44:45], v[44:45], v[6:7], v[173:174]
	v_fma_f64 v[42:43], v[42:43], v[6:7], -v[8:9]
	scratch_load_b128 v[6:9], off, off offset:528
	s_wait_loadcnt_dscnt 0xa01
	v_mul_f64_e32 v[179:180], v[2:3], v[12:13]
	v_mul_f64_e32 v[12:13], v[4:5], v[12:13]
	v_add_f64_e32 v[173:174], 0, v[175:176]
	v_add_f64_e32 v[175:176], 0, v[177:178]
	s_wait_loadcnt_dscnt 0x900
	v_mul_f64_e32 v[177:178], v[169:170], v[16:17]
	v_mul_f64_e32 v[16:17], v[171:172], v[16:17]
	v_fma_f64 v[179:180], v[4:5], v[10:11], v[179:180]
	v_fma_f64 v[181:182], v[2:3], v[10:11], -v[12:13]
	ds_load_b128 v[2:5], v1 offset:1312
	scratch_load_b128 v[10:13], off, off offset:544
	v_add_f64_e32 v[173:174], v[173:174], v[42:43]
	v_add_f64_e32 v[175:176], v[175:176], v[44:45]
	ds_load_b128 v[42:45], v1 offset:1328
	v_fma_f64 v[171:172], v[171:172], v[14:15], v[177:178]
	v_fma_f64 v[169:170], v[169:170], v[14:15], -v[16:17]
	scratch_load_b128 v[14:17], off, off offset:560
	s_wait_loadcnt_dscnt 0xa01
	v_mul_f64_e32 v[183:184], v[2:3], v[20:21]
	v_mul_f64_e32 v[20:21], v[4:5], v[20:21]
	s_wait_loadcnt_dscnt 0x900
	v_mul_f64_e32 v[177:178], v[42:43], v[24:25]
	v_mul_f64_e32 v[24:25], v[44:45], v[24:25]
	v_add_f64_e32 v[173:174], v[173:174], v[181:182]
	v_add_f64_e32 v[175:176], v[175:176], v[179:180]
	v_fma_f64 v[179:180], v[4:5], v[18:19], v[183:184]
	v_fma_f64 v[181:182], v[2:3], v[18:19], -v[20:21]
	ds_load_b128 v[2:5], v1 offset:1344
	scratch_load_b128 v[18:21], off, off offset:576
	v_fma_f64 v[44:45], v[44:45], v[22:23], v[177:178]
	v_fma_f64 v[42:43], v[42:43], v[22:23], -v[24:25]
	scratch_load_b128 v[22:25], off, off offset:592
	v_add_f64_e32 v[173:174], v[173:174], v[169:170]
	v_add_f64_e32 v[175:176], v[175:176], v[171:172]
	ds_load_b128 v[169:172], v1 offset:1360
	s_wait_loadcnt_dscnt 0xa01
	v_mul_f64_e32 v[183:184], v[2:3], v[28:29]
	v_mul_f64_e32 v[28:29], v[4:5], v[28:29]
	s_wait_loadcnt_dscnt 0x900
	v_mul_f64_e32 v[177:178], v[169:170], v[32:33]
	v_mul_f64_e32 v[32:33], v[171:172], v[32:33]
	v_add_f64_e32 v[173:174], v[173:174], v[181:182]
	v_add_f64_e32 v[175:176], v[175:176], v[179:180]
	v_fma_f64 v[179:180], v[4:5], v[26:27], v[183:184]
	v_fma_f64 v[181:182], v[2:3], v[26:27], -v[28:29]
	ds_load_b128 v[2:5], v1 offset:1376
	scratch_load_b128 v[26:29], off, off offset:608
	v_fma_f64 v[171:172], v[171:172], v[30:31], v[177:178]
	v_fma_f64 v[169:170], v[169:170], v[30:31], -v[32:33]
	scratch_load_b128 v[30:33], off, off offset:624
	v_add_f64_e32 v[173:174], v[173:174], v[42:43]
	v_add_f64_e32 v[175:176], v[175:176], v[44:45]
	ds_load_b128 v[42:45], v1 offset:1392
	s_wait_loadcnt_dscnt 0xa01
	v_mul_f64_e32 v[183:184], v[2:3], v[36:37]
	v_mul_f64_e32 v[36:37], v[4:5], v[36:37]
	s_wait_loadcnt_dscnt 0x800
	v_mul_f64_e32 v[177:178], v[42:43], v[167:168]
	v_add_f64_e32 v[173:174], v[173:174], v[181:182]
	v_add_f64_e32 v[175:176], v[175:176], v[179:180]
	v_mul_f64_e32 v[179:180], v[44:45], v[167:168]
	v_fma_f64 v[181:182], v[4:5], v[34:35], v[183:184]
	v_fma_f64 v[183:184], v[2:3], v[34:35], -v[36:37]
	ds_load_b128 v[2:5], v1 offset:1408
	scratch_load_b128 v[34:37], off, off offset:640
	v_fma_f64 v[44:45], v[44:45], v[165:166], v[177:178]
	v_add_f64_e32 v[173:174], v[173:174], v[169:170]
	v_add_f64_e32 v[171:172], v[175:176], v[171:172]
	ds_load_b128 v[167:170], v1 offset:1424
	v_fma_f64 v[165:166], v[42:43], v[165:166], -v[179:180]
	s_wait_loadcnt_dscnt 0x801
	v_mul_f64_e32 v[175:176], v[2:3], v[40:41]
	v_mul_f64_e32 v[185:186], v[4:5], v[40:41]
	scratch_load_b128 v[40:43], off, off offset:656
	s_wait_loadcnt_dscnt 0x800
	v_mul_f64_e32 v[179:180], v[167:168], v[8:9]
	v_mul_f64_e32 v[8:9], v[169:170], v[8:9]
	v_add_f64_e32 v[173:174], v[173:174], v[183:184]
	v_add_f64_e32 v[171:172], v[171:172], v[181:182]
	v_fma_f64 v[181:182], v[4:5], v[38:39], v[175:176]
	v_fma_f64 v[38:39], v[2:3], v[38:39], -v[185:186]
	ds_load_b128 v[2:5], v1 offset:1440
	ds_load_b128 v[175:178], v1 offset:1456
	v_fma_f64 v[169:170], v[169:170], v[6:7], v[179:180]
	v_fma_f64 v[167:168], v[167:168], v[6:7], -v[8:9]
	scratch_load_b128 v[6:9], off, off offset:688
	v_add_f64_e32 v[165:166], v[173:174], v[165:166]
	v_add_f64_e32 v[44:45], v[171:172], v[44:45]
	scratch_load_b128 v[171:174], off, off offset:672
	s_wait_loadcnt_dscnt 0x901
	v_mul_f64_e32 v[183:184], v[2:3], v[12:13]
	v_mul_f64_e32 v[12:13], v[4:5], v[12:13]
	s_wait_loadcnt_dscnt 0x800
	v_mul_f64_e32 v[179:180], v[175:176], v[16:17]
	v_mul_f64_e32 v[16:17], v[177:178], v[16:17]
	v_add_f64_e32 v[38:39], v[165:166], v[38:39]
	v_add_f64_e32 v[44:45], v[44:45], v[181:182]
	v_fma_f64 v[181:182], v[4:5], v[10:11], v[183:184]
	v_fma_f64 v[183:184], v[2:3], v[10:11], -v[12:13]
	ds_load_b128 v[2:5], v1 offset:1472
	scratch_load_b128 v[10:13], off, off offset:704
	v_fma_f64 v[177:178], v[177:178], v[14:15], v[179:180]
	v_fma_f64 v[175:176], v[175:176], v[14:15], -v[16:17]
	scratch_load_b128 v[14:17], off, off offset:720
	v_add_f64_e32 v[38:39], v[38:39], v[167:168]
	v_add_f64_e32 v[44:45], v[44:45], v[169:170]
	ds_load_b128 v[165:168], v1 offset:1488
	s_wait_loadcnt_dscnt 0x901
	v_mul_f64_e32 v[169:170], v[2:3], v[20:21]
	v_mul_f64_e32 v[20:21], v[4:5], v[20:21]
	s_wait_loadcnt_dscnt 0x800
	v_mul_f64_e32 v[179:180], v[165:166], v[24:25]
	v_mul_f64_e32 v[24:25], v[167:168], v[24:25]
	v_add_f64_e32 v[38:39], v[38:39], v[183:184]
	v_add_f64_e32 v[44:45], v[44:45], v[181:182]
	v_fma_f64 v[169:170], v[4:5], v[18:19], v[169:170]
	v_fma_f64 v[181:182], v[2:3], v[18:19], -v[20:21]
	ds_load_b128 v[2:5], v1 offset:1504
	scratch_load_b128 v[18:21], off, off offset:736
	v_fma_f64 v[167:168], v[167:168], v[22:23], v[179:180]
	v_fma_f64 v[165:166], v[165:166], v[22:23], -v[24:25]
	scratch_load_b128 v[22:25], off, off offset:752
	v_add_f64_e32 v[38:39], v[38:39], v[175:176]
	v_add_f64_e32 v[44:45], v[44:45], v[177:178]
	ds_load_b128 v[175:178], v1 offset:1520
	s_wait_loadcnt_dscnt 0x901
	v_mul_f64_e32 v[183:184], v[2:3], v[28:29]
	v_mul_f64_e32 v[28:29], v[4:5], v[28:29]
	v_add_f64_e32 v[38:39], v[38:39], v[181:182]
	v_add_f64_e32 v[44:45], v[44:45], v[169:170]
	s_wait_loadcnt_dscnt 0x800
	v_mul_f64_e32 v[169:170], v[175:176], v[32:33]
	v_mul_f64_e32 v[32:33], v[177:178], v[32:33]
	v_fma_f64 v[179:180], v[4:5], v[26:27], v[183:184]
	v_fma_f64 v[181:182], v[2:3], v[26:27], -v[28:29]
	ds_load_b128 v[2:5], v1 offset:1536
	scratch_load_b128 v[26:29], off, off offset:768
	v_add_f64_e32 v[38:39], v[38:39], v[165:166]
	v_add_f64_e32 v[44:45], v[44:45], v[167:168]
	ds_load_b128 v[165:168], v1 offset:1552
	s_wait_loadcnt_dscnt 0x801
	v_mul_f64_e32 v[183:184], v[2:3], v[36:37]
	v_mul_f64_e32 v[36:37], v[4:5], v[36:37]
	v_fma_f64 v[169:170], v[177:178], v[30:31], v[169:170]
	v_fma_f64 v[175:176], v[175:176], v[30:31], -v[32:33]
	scratch_load_b128 v[30:33], off, off offset:784
	s_wait_loadcnt_dscnt 0x800
	v_mul_f64_e32 v[177:178], v[165:166], v[42:43]
	v_add_f64_e32 v[38:39], v[38:39], v[181:182]
	v_add_f64_e32 v[44:45], v[44:45], v[179:180]
	v_mul_f64_e32 v[179:180], v[167:168], v[42:43]
	v_fma_f64 v[181:182], v[4:5], v[34:35], v[183:184]
	v_fma_f64 v[183:184], v[2:3], v[34:35], -v[36:37]
	ds_load_b128 v[2:5], v1 offset:1568
	scratch_load_b128 v[34:37], off, off offset:800
	v_fma_f64 v[167:168], v[167:168], v[40:41], v[177:178]
	v_add_f64_e32 v[38:39], v[38:39], v[175:176]
	v_add_f64_e32 v[169:170], v[44:45], v[169:170]
	ds_load_b128 v[42:45], v1 offset:1584
	v_fma_f64 v[165:166], v[165:166], v[40:41], -v[179:180]
	s_wait_loadcnt_dscnt 0x701
	v_mul_f64_e32 v[175:176], v[2:3], v[173:174]
	v_mul_f64_e32 v[173:174], v[4:5], v[173:174]
	s_wait_dscnt 0x0
	v_mul_f64_e32 v[179:180], v[42:43], v[8:9]
	v_mul_f64_e32 v[8:9], v[44:45], v[8:9]
	v_add_f64_e32 v[177:178], v[38:39], v[183:184]
	v_add_f64_e32 v[169:170], v[169:170], v[181:182]
	scratch_load_b128 v[38:41], off, off offset:816
	v_fma_f64 v[175:176], v[4:5], v[171:172], v[175:176]
	v_fma_f64 v[173:174], v[2:3], v[171:172], -v[173:174]
	ds_load_b128 v[2:5], v1 offset:1600
	v_fma_f64 v[44:45], v[44:45], v[6:7], v[179:180]
	v_fma_f64 v[42:43], v[42:43], v[6:7], -v[8:9]
	scratch_load_b128 v[6:9], off, off offset:848
	v_add_f64_e32 v[177:178], v[177:178], v[165:166]
	v_add_f64_e32 v[181:182], v[169:170], v[167:168]
	scratch_load_b128 v[165:168], off, off offset:832
	ds_load_b128 v[169:172], v1 offset:1616
	s_wait_loadcnt_dscnt 0x901
	v_mul_f64_e32 v[183:184], v[2:3], v[12:13]
	v_mul_f64_e32 v[12:13], v[4:5], v[12:13]
	v_add_f64_e32 v[173:174], v[177:178], v[173:174]
	v_add_f64_e32 v[175:176], v[181:182], v[175:176]
	s_wait_loadcnt_dscnt 0x800
	v_mul_f64_e32 v[177:178], v[169:170], v[16:17]
	v_mul_f64_e32 v[16:17], v[171:172], v[16:17]
	v_fma_f64 v[179:180], v[4:5], v[10:11], v[183:184]
	v_fma_f64 v[181:182], v[2:3], v[10:11], -v[12:13]
	ds_load_b128 v[2:5], v1 offset:1632
	scratch_load_b128 v[10:13], off, off offset:864
	v_add_f64_e32 v[173:174], v[173:174], v[42:43]
	v_add_f64_e32 v[175:176], v[175:176], v[44:45]
	ds_load_b128 v[42:45], v1 offset:1648
	s_wait_loadcnt_dscnt 0x801
	v_mul_f64_e32 v[183:184], v[2:3], v[20:21]
	v_mul_f64_e32 v[20:21], v[4:5], v[20:21]
	v_fma_f64 v[171:172], v[171:172], v[14:15], v[177:178]
	v_fma_f64 v[169:170], v[169:170], v[14:15], -v[16:17]
	scratch_load_b128 v[14:17], off, off offset:880
	s_wait_loadcnt_dscnt 0x800
	v_mul_f64_e32 v[177:178], v[42:43], v[24:25]
	v_mul_f64_e32 v[24:25], v[44:45], v[24:25]
	v_add_f64_e32 v[173:174], v[173:174], v[181:182]
	v_add_f64_e32 v[175:176], v[175:176], v[179:180]
	v_fma_f64 v[179:180], v[4:5], v[18:19], v[183:184]
	v_fma_f64 v[181:182], v[2:3], v[18:19], -v[20:21]
	ds_load_b128 v[2:5], v1 offset:1664
	scratch_load_b128 v[18:21], off, off offset:896
	v_fma_f64 v[44:45], v[44:45], v[22:23], v[177:178]
	v_fma_f64 v[42:43], v[42:43], v[22:23], -v[24:25]
	scratch_load_b128 v[22:25], off, off offset:912
	v_add_f64_e32 v[173:174], v[173:174], v[169:170]
	v_add_f64_e32 v[175:176], v[175:176], v[171:172]
	ds_load_b128 v[169:172], v1 offset:1680
	s_wait_loadcnt_dscnt 0x901
	v_mul_f64_e32 v[183:184], v[2:3], v[28:29]
	v_mul_f64_e32 v[28:29], v[4:5], v[28:29]
	s_wait_loadcnt_dscnt 0x800
	v_mul_f64_e32 v[177:178], v[169:170], v[32:33]
	v_mul_f64_e32 v[32:33], v[171:172], v[32:33]
	v_add_f64_e32 v[173:174], v[173:174], v[181:182]
	v_add_f64_e32 v[175:176], v[175:176], v[179:180]
	v_fma_f64 v[179:180], v[4:5], v[26:27], v[183:184]
	v_fma_f64 v[181:182], v[2:3], v[26:27], -v[28:29]
	ds_load_b128 v[2:5], v1 offset:1696
	ds_load_b128 v[26:29], v1 offset:1712
	v_fma_f64 v[171:172], v[171:172], v[30:31], v[177:178]
	v_fma_f64 v[30:31], v[169:170], v[30:31], -v[32:33]
	v_add_f64_e32 v[42:43], v[173:174], v[42:43]
	v_add_f64_e32 v[44:45], v[175:176], v[44:45]
	s_wait_loadcnt_dscnt 0x701
	v_mul_f64_e32 v[173:174], v[2:3], v[36:37]
	v_mul_f64_e32 v[36:37], v[4:5], v[36:37]
	s_delay_alu instid0(VALU_DEP_4) | instskip(NEXT) | instid1(VALU_DEP_4)
	v_add_f64_e32 v[32:33], v[42:43], v[181:182]
	v_add_f64_e32 v[42:43], v[44:45], v[179:180]
	s_delay_alu instid0(VALU_DEP_4) | instskip(NEXT) | instid1(VALU_DEP_4)
	v_fma_f64 v[169:170], v[4:5], v[34:35], v[173:174]
	v_fma_f64 v[34:35], v[2:3], v[34:35], -v[36:37]
	s_wait_loadcnt_dscnt 0x600
	v_mul_f64_e32 v[44:45], v[26:27], v[40:41]
	v_mul_f64_e32 v[40:41], v[28:29], v[40:41]
	v_add_f64_e32 v[36:37], v[32:33], v[30:31]
	v_add_f64_e32 v[42:43], v[42:43], v[171:172]
	ds_load_b128 v[2:5], v1 offset:1728
	ds_load_b128 v[30:33], v1 offset:1744
	v_fma_f64 v[28:29], v[28:29], v[38:39], v[44:45]
	v_fma_f64 v[26:27], v[26:27], v[38:39], -v[40:41]
	s_wait_loadcnt_dscnt 0x401
	v_mul_f64_e32 v[171:172], v[2:3], v[167:168]
	v_mul_f64_e32 v[167:168], v[4:5], v[167:168]
	s_wait_dscnt 0x0
	v_mul_f64_e32 v[38:39], v[30:31], v[8:9]
	v_mul_f64_e32 v[8:9], v[32:33], v[8:9]
	v_add_f64_e32 v[34:35], v[36:37], v[34:35]
	v_add_f64_e32 v[36:37], v[42:43], v[169:170]
	v_fma_f64 v[40:41], v[4:5], v[165:166], v[171:172]
	v_fma_f64 v[42:43], v[2:3], v[165:166], -v[167:168]
	v_fma_f64 v[32:33], v[32:33], v[6:7], v[38:39]
	v_fma_f64 v[6:7], v[30:31], v[6:7], -v[8:9]
	v_add_f64_e32 v[34:35], v[34:35], v[26:27]
	v_add_f64_e32 v[36:37], v[36:37], v[28:29]
	ds_load_b128 v[2:5], v1 offset:1760
	ds_load_b128 v[26:29], v1 offset:1776
	s_wait_loadcnt_dscnt 0x301
	v_mul_f64_e32 v[44:45], v[2:3], v[12:13]
	v_mul_f64_e32 v[12:13], v[4:5], v[12:13]
	v_add_f64_e32 v[8:9], v[34:35], v[42:43]
	v_add_f64_e32 v[30:31], v[36:37], v[40:41]
	s_wait_loadcnt_dscnt 0x200
	v_mul_f64_e32 v[34:35], v[26:27], v[16:17]
	v_mul_f64_e32 v[16:17], v[28:29], v[16:17]
	v_fma_f64 v[36:37], v[4:5], v[10:11], v[44:45]
	v_fma_f64 v[10:11], v[2:3], v[10:11], -v[12:13]
	v_add_f64_e32 v[12:13], v[8:9], v[6:7]
	v_add_f64_e32 v[30:31], v[30:31], v[32:33]
	ds_load_b128 v[2:5], v1 offset:1792
	ds_load_b128 v[6:9], v1 offset:1808
	v_fma_f64 v[28:29], v[28:29], v[14:15], v[34:35]
	v_fma_f64 v[14:15], v[26:27], v[14:15], -v[16:17]
	s_wait_loadcnt_dscnt 0x101
	v_mul_f64_e32 v[32:33], v[2:3], v[20:21]
	v_mul_f64_e32 v[20:21], v[4:5], v[20:21]
	s_wait_loadcnt_dscnt 0x0
	v_mul_f64_e32 v[16:17], v[6:7], v[24:25]
	v_mul_f64_e32 v[24:25], v[8:9], v[24:25]
	v_add_f64_e32 v[10:11], v[12:13], v[10:11]
	v_add_f64_e32 v[12:13], v[30:31], v[36:37]
	v_fma_f64 v[4:5], v[4:5], v[18:19], v[32:33]
	v_fma_f64 v[1:2], v[2:3], v[18:19], -v[20:21]
	v_fma_f64 v[8:9], v[8:9], v[22:23], v[16:17]
	v_fma_f64 v[6:7], v[6:7], v[22:23], -v[24:25]
	v_add_f64_e32 v[10:11], v[10:11], v[14:15]
	v_add_f64_e32 v[12:13], v[12:13], v[28:29]
	s_delay_alu instid0(VALU_DEP_2) | instskip(NEXT) | instid1(VALU_DEP_2)
	v_add_f64_e32 v[1:2], v[10:11], v[1:2]
	v_add_f64_e32 v[3:4], v[12:13], v[4:5]
	s_delay_alu instid0(VALU_DEP_2) | instskip(NEXT) | instid1(VALU_DEP_2)
	v_add_f64_e32 v[1:2], v[1:2], v[6:7]
	v_add_f64_e32 v[3:4], v[3:4], v[8:9]
	s_delay_alu instid0(VALU_DEP_2) | instskip(NEXT) | instid1(VALU_DEP_2)
	v_add_f64_e64 v[1:2], v[161:162], -v[1:2]
	v_add_f64_e64 v[3:4], v[163:164], -v[3:4]
	scratch_store_b128 off, v[1:4], off offset:336
	v_cmpx_lt_u32_e32 19, v0
	s_cbranch_execz .LBB120_317
; %bb.316:
	scratch_load_b128 v[1:4], off, s51
	v_mov_b32_e32 v5, 0
	s_delay_alu instid0(VALU_DEP_1)
	v_dual_mov_b32 v6, v5 :: v_dual_mov_b32 v7, v5
	v_mov_b32_e32 v8, v5
	scratch_store_b128 off, v[5:8], off offset:320
	s_wait_loadcnt 0x0
	ds_store_b128 v160, v[1:4]
.LBB120_317:
	s_wait_alu 0xfffe
	s_or_b32 exec_lo, exec_lo, s0
	s_wait_storecnt_dscnt 0x0
	s_barrier_signal -1
	s_barrier_wait -1
	global_inv scope:SCOPE_SE
	s_clause 0x7
	scratch_load_b128 v[2:5], off, off offset:336
	scratch_load_b128 v[6:9], off, off offset:352
	;; [unrolled: 1-line block ×8, first 2 shown]
	v_mov_b32_e32 v1, 0
	s_mov_b32 s0, exec_lo
	ds_load_b128 v[38:41], v1 offset:1232
	s_clause 0x1
	scratch_load_b128 v[34:37], off, off offset:464
	scratch_load_b128 v[42:45], off, off offset:320
	ds_load_b128 v[161:164], v1 offset:1248
	scratch_load_b128 v[165:168], off, off offset:480
	s_wait_loadcnt_dscnt 0xa01
	v_mul_f64_e32 v[169:170], v[40:41], v[4:5]
	v_mul_f64_e32 v[4:5], v[38:39], v[4:5]
	s_delay_alu instid0(VALU_DEP_2) | instskip(NEXT) | instid1(VALU_DEP_2)
	v_fma_f64 v[175:176], v[38:39], v[2:3], -v[169:170]
	v_fma_f64 v[177:178], v[40:41], v[2:3], v[4:5]
	ds_load_b128 v[2:5], v1 offset:1264
	s_wait_loadcnt_dscnt 0x901
	v_mul_f64_e32 v[173:174], v[161:162], v[8:9]
	v_mul_f64_e32 v[8:9], v[163:164], v[8:9]
	scratch_load_b128 v[38:41], off, off offset:496
	ds_load_b128 v[169:172], v1 offset:1280
	s_wait_loadcnt_dscnt 0x901
	v_mul_f64_e32 v[179:180], v[2:3], v[12:13]
	v_mul_f64_e32 v[12:13], v[4:5], v[12:13]
	v_fma_f64 v[163:164], v[163:164], v[6:7], v[173:174]
	v_fma_f64 v[161:162], v[161:162], v[6:7], -v[8:9]
	v_add_f64_e32 v[173:174], 0, v[175:176]
	v_add_f64_e32 v[175:176], 0, v[177:178]
	scratch_load_b128 v[6:9], off, off offset:512
	v_fma_f64 v[179:180], v[4:5], v[10:11], v[179:180]
	v_fma_f64 v[181:182], v[2:3], v[10:11], -v[12:13]
	ds_load_b128 v[2:5], v1 offset:1296
	s_wait_loadcnt_dscnt 0x901
	v_mul_f64_e32 v[177:178], v[169:170], v[16:17]
	v_mul_f64_e32 v[16:17], v[171:172], v[16:17]
	scratch_load_b128 v[10:13], off, off offset:528
	v_add_f64_e32 v[173:174], v[173:174], v[161:162]
	v_add_f64_e32 v[175:176], v[175:176], v[163:164]
	s_wait_loadcnt_dscnt 0x900
	v_mul_f64_e32 v[183:184], v[2:3], v[20:21]
	v_mul_f64_e32 v[20:21], v[4:5], v[20:21]
	ds_load_b128 v[161:164], v1 offset:1312
	v_fma_f64 v[171:172], v[171:172], v[14:15], v[177:178]
	v_fma_f64 v[169:170], v[169:170], v[14:15], -v[16:17]
	scratch_load_b128 v[14:17], off, off offset:544
	v_add_f64_e32 v[173:174], v[173:174], v[181:182]
	v_add_f64_e32 v[175:176], v[175:176], v[179:180]
	v_fma_f64 v[179:180], v[4:5], v[18:19], v[183:184]
	v_fma_f64 v[181:182], v[2:3], v[18:19], -v[20:21]
	ds_load_b128 v[2:5], v1 offset:1328
	s_wait_loadcnt_dscnt 0x901
	v_mul_f64_e32 v[177:178], v[161:162], v[24:25]
	v_mul_f64_e32 v[24:25], v[163:164], v[24:25]
	scratch_load_b128 v[18:21], off, off offset:560
	s_wait_loadcnt_dscnt 0x900
	v_mul_f64_e32 v[183:184], v[2:3], v[28:29]
	v_mul_f64_e32 v[28:29], v[4:5], v[28:29]
	v_add_f64_e32 v[173:174], v[173:174], v[169:170]
	v_add_f64_e32 v[175:176], v[175:176], v[171:172]
	ds_load_b128 v[169:172], v1 offset:1344
	v_fma_f64 v[163:164], v[163:164], v[22:23], v[177:178]
	v_fma_f64 v[161:162], v[161:162], v[22:23], -v[24:25]
	scratch_load_b128 v[22:25], off, off offset:576
	v_add_f64_e32 v[173:174], v[173:174], v[181:182]
	v_add_f64_e32 v[175:176], v[175:176], v[179:180]
	v_fma_f64 v[179:180], v[4:5], v[26:27], v[183:184]
	v_fma_f64 v[181:182], v[2:3], v[26:27], -v[28:29]
	ds_load_b128 v[2:5], v1 offset:1360
	s_wait_loadcnt_dscnt 0x901
	v_mul_f64_e32 v[177:178], v[169:170], v[32:33]
	v_mul_f64_e32 v[32:33], v[171:172], v[32:33]
	scratch_load_b128 v[26:29], off, off offset:592
	s_wait_loadcnt_dscnt 0x900
	v_mul_f64_e32 v[183:184], v[2:3], v[36:37]
	v_mul_f64_e32 v[36:37], v[4:5], v[36:37]
	v_add_f64_e32 v[173:174], v[173:174], v[161:162]
	v_add_f64_e32 v[175:176], v[175:176], v[163:164]
	ds_load_b128 v[161:164], v1 offset:1376
	v_fma_f64 v[171:172], v[171:172], v[30:31], v[177:178]
	v_fma_f64 v[169:170], v[169:170], v[30:31], -v[32:33]
	scratch_load_b128 v[30:33], off, off offset:608
	v_add_f64_e32 v[173:174], v[173:174], v[181:182]
	v_add_f64_e32 v[175:176], v[175:176], v[179:180]
	v_fma_f64 v[181:182], v[4:5], v[34:35], v[183:184]
	v_fma_f64 v[183:184], v[2:3], v[34:35], -v[36:37]
	ds_load_b128 v[2:5], v1 offset:1392
	s_wait_loadcnt_dscnt 0x801
	v_mul_f64_e32 v[177:178], v[161:162], v[167:168]
	v_mul_f64_e32 v[179:180], v[163:164], v[167:168]
	scratch_load_b128 v[34:37], off, off offset:624
	v_add_f64_e32 v[173:174], v[173:174], v[169:170]
	v_add_f64_e32 v[171:172], v[175:176], v[171:172]
	ds_load_b128 v[167:170], v1 offset:1408
	v_fma_f64 v[177:178], v[163:164], v[165:166], v[177:178]
	v_fma_f64 v[165:166], v[161:162], v[165:166], -v[179:180]
	scratch_load_b128 v[161:164], off, off offset:640
	s_wait_loadcnt_dscnt 0x901
	v_mul_f64_e32 v[175:176], v[2:3], v[40:41]
	v_mul_f64_e32 v[40:41], v[4:5], v[40:41]
	v_add_f64_e32 v[173:174], v[173:174], v[183:184]
	v_add_f64_e32 v[171:172], v[171:172], v[181:182]
	s_delay_alu instid0(VALU_DEP_4) | instskip(NEXT) | instid1(VALU_DEP_4)
	v_fma_f64 v[175:176], v[4:5], v[38:39], v[175:176]
	v_fma_f64 v[181:182], v[2:3], v[38:39], -v[40:41]
	ds_load_b128 v[2:5], v1 offset:1424
	s_wait_loadcnt_dscnt 0x801
	v_mul_f64_e32 v[179:180], v[167:168], v[8:9]
	v_mul_f64_e32 v[8:9], v[169:170], v[8:9]
	scratch_load_b128 v[38:41], off, off offset:656
	s_wait_loadcnt_dscnt 0x800
	v_mul_f64_e32 v[183:184], v[2:3], v[12:13]
	v_add_f64_e32 v[165:166], v[173:174], v[165:166]
	v_add_f64_e32 v[177:178], v[171:172], v[177:178]
	v_mul_f64_e32 v[12:13], v[4:5], v[12:13]
	ds_load_b128 v[171:174], v1 offset:1440
	v_fma_f64 v[169:170], v[169:170], v[6:7], v[179:180]
	v_fma_f64 v[167:168], v[167:168], v[6:7], -v[8:9]
	scratch_load_b128 v[6:9], off, off offset:672
	v_fma_f64 v[179:180], v[4:5], v[10:11], v[183:184]
	v_add_f64_e32 v[165:166], v[165:166], v[181:182]
	v_add_f64_e32 v[175:176], v[177:178], v[175:176]
	v_fma_f64 v[181:182], v[2:3], v[10:11], -v[12:13]
	ds_load_b128 v[2:5], v1 offset:1456
	s_wait_loadcnt_dscnt 0x801
	v_mul_f64_e32 v[177:178], v[171:172], v[16:17]
	v_mul_f64_e32 v[16:17], v[173:174], v[16:17]
	scratch_load_b128 v[10:13], off, off offset:688
	v_add_f64_e32 v[183:184], v[165:166], v[167:168]
	v_add_f64_e32 v[169:170], v[175:176], v[169:170]
	s_wait_loadcnt_dscnt 0x800
	v_mul_f64_e32 v[175:176], v[2:3], v[20:21]
	v_mul_f64_e32 v[20:21], v[4:5], v[20:21]
	v_fma_f64 v[173:174], v[173:174], v[14:15], v[177:178]
	v_fma_f64 v[171:172], v[171:172], v[14:15], -v[16:17]
	ds_load_b128 v[165:168], v1 offset:1472
	scratch_load_b128 v[14:17], off, off offset:704
	v_add_f64_e32 v[177:178], v[183:184], v[181:182]
	v_add_f64_e32 v[169:170], v[169:170], v[179:180]
	v_fma_f64 v[175:176], v[4:5], v[18:19], v[175:176]
	v_fma_f64 v[181:182], v[2:3], v[18:19], -v[20:21]
	ds_load_b128 v[2:5], v1 offset:1488
	s_wait_loadcnt_dscnt 0x801
	v_mul_f64_e32 v[179:180], v[165:166], v[24:25]
	v_mul_f64_e32 v[24:25], v[167:168], v[24:25]
	scratch_load_b128 v[18:21], off, off offset:720
	s_wait_loadcnt_dscnt 0x800
	v_mul_f64_e32 v[183:184], v[2:3], v[28:29]
	v_mul_f64_e32 v[28:29], v[4:5], v[28:29]
	v_add_f64_e32 v[177:178], v[177:178], v[171:172]
	v_add_f64_e32 v[173:174], v[169:170], v[173:174]
	ds_load_b128 v[169:172], v1 offset:1504
	v_fma_f64 v[167:168], v[167:168], v[22:23], v[179:180]
	v_fma_f64 v[165:166], v[165:166], v[22:23], -v[24:25]
	scratch_load_b128 v[22:25], off, off offset:736
	v_fma_f64 v[179:180], v[4:5], v[26:27], v[183:184]
	v_add_f64_e32 v[177:178], v[177:178], v[181:182]
	v_add_f64_e32 v[173:174], v[173:174], v[175:176]
	v_fma_f64 v[181:182], v[2:3], v[26:27], -v[28:29]
	ds_load_b128 v[2:5], v1 offset:1520
	s_wait_loadcnt_dscnt 0x801
	v_mul_f64_e32 v[175:176], v[169:170], v[32:33]
	v_mul_f64_e32 v[32:33], v[171:172], v[32:33]
	scratch_load_b128 v[26:29], off, off offset:752
	s_wait_loadcnt_dscnt 0x800
	v_mul_f64_e32 v[183:184], v[2:3], v[36:37]
	v_mul_f64_e32 v[36:37], v[4:5], v[36:37]
	v_add_f64_e32 v[177:178], v[177:178], v[165:166]
	v_add_f64_e32 v[173:174], v[173:174], v[167:168]
	ds_load_b128 v[165:168], v1 offset:1536
	v_fma_f64 v[171:172], v[171:172], v[30:31], v[175:176]
	v_fma_f64 v[169:170], v[169:170], v[30:31], -v[32:33]
	scratch_load_b128 v[30:33], off, off offset:768
	v_add_f64_e32 v[175:176], v[177:178], v[181:182]
	v_add_f64_e32 v[173:174], v[173:174], v[179:180]
	v_fma_f64 v[179:180], v[4:5], v[34:35], v[183:184]
	v_fma_f64 v[181:182], v[2:3], v[34:35], -v[36:37]
	ds_load_b128 v[2:5], v1 offset:1552
	s_wait_loadcnt_dscnt 0x801
	v_mul_f64_e32 v[177:178], v[165:166], v[163:164]
	v_mul_f64_e32 v[163:164], v[167:168], v[163:164]
	scratch_load_b128 v[34:37], off, off offset:784
	s_wait_loadcnt_dscnt 0x800
	v_mul_f64_e32 v[183:184], v[2:3], v[40:41]
	v_mul_f64_e32 v[40:41], v[4:5], v[40:41]
	v_add_f64_e32 v[175:176], v[175:176], v[169:170]
	v_add_f64_e32 v[173:174], v[173:174], v[171:172]
	ds_load_b128 v[169:172], v1 offset:1568
	v_fma_f64 v[167:168], v[167:168], v[161:162], v[177:178]
	v_fma_f64 v[165:166], v[165:166], v[161:162], -v[163:164]
	scratch_load_b128 v[161:164], off, off offset:800
	v_add_f64_e32 v[175:176], v[175:176], v[181:182]
	v_add_f64_e32 v[173:174], v[173:174], v[179:180]
	v_fma_f64 v[179:180], v[4:5], v[38:39], v[183:184]
	;; [unrolled: 18-line block ×5, first 2 shown]
	v_fma_f64 v[181:182], v[2:3], v[26:27], -v[28:29]
	ds_load_b128 v[2:5], v1 offset:1680
	s_wait_loadcnt_dscnt 0x801
	v_mul_f64_e32 v[177:178], v[165:166], v[32:33]
	v_mul_f64_e32 v[32:33], v[167:168], v[32:33]
	scratch_load_b128 v[26:29], off, off offset:912
	s_wait_loadcnt_dscnt 0x800
	v_mul_f64_e32 v[183:184], v[2:3], v[36:37]
	v_mul_f64_e32 v[36:37], v[4:5], v[36:37]
	v_add_f64_e32 v[175:176], v[175:176], v[169:170]
	v_add_f64_e32 v[173:174], v[173:174], v[171:172]
	ds_load_b128 v[169:172], v1 offset:1696
	v_fma_f64 v[167:168], v[167:168], v[30:31], v[177:178]
	v_fma_f64 v[30:31], v[165:166], v[30:31], -v[32:33]
	v_add_f64_e32 v[32:33], v[175:176], v[181:182]
	v_add_f64_e32 v[165:166], v[173:174], v[179:180]
	s_wait_loadcnt_dscnt 0x700
	v_mul_f64_e32 v[173:174], v[169:170], v[163:164]
	v_mul_f64_e32 v[163:164], v[171:172], v[163:164]
	v_fma_f64 v[175:176], v[4:5], v[34:35], v[183:184]
	v_fma_f64 v[34:35], v[2:3], v[34:35], -v[36:37]
	v_add_f64_e32 v[36:37], v[32:33], v[30:31]
	v_add_f64_e32 v[165:166], v[165:166], v[167:168]
	ds_load_b128 v[2:5], v1 offset:1712
	ds_load_b128 v[30:33], v1 offset:1728
	v_fma_f64 v[171:172], v[171:172], v[161:162], v[173:174]
	v_fma_f64 v[161:162], v[169:170], v[161:162], -v[163:164]
	s_wait_loadcnt_dscnt 0x601
	v_mul_f64_e32 v[167:168], v[2:3], v[40:41]
	v_mul_f64_e32 v[40:41], v[4:5], v[40:41]
	s_wait_loadcnt_dscnt 0x500
	v_mul_f64_e32 v[163:164], v[30:31], v[8:9]
	v_mul_f64_e32 v[8:9], v[32:33], v[8:9]
	v_add_f64_e32 v[34:35], v[36:37], v[34:35]
	v_add_f64_e32 v[36:37], v[165:166], v[175:176]
	v_fma_f64 v[165:166], v[4:5], v[38:39], v[167:168]
	v_fma_f64 v[38:39], v[2:3], v[38:39], -v[40:41]
	v_fma_f64 v[32:33], v[32:33], v[6:7], v[163:164]
	v_fma_f64 v[6:7], v[30:31], v[6:7], -v[8:9]
	v_add_f64_e32 v[40:41], v[34:35], v[161:162]
	v_add_f64_e32 v[161:162], v[36:37], v[171:172]
	ds_load_b128 v[2:5], v1 offset:1744
	ds_load_b128 v[34:37], v1 offset:1760
	s_wait_loadcnt_dscnt 0x401
	v_mul_f64_e32 v[167:168], v[2:3], v[12:13]
	v_mul_f64_e32 v[12:13], v[4:5], v[12:13]
	v_add_f64_e32 v[8:9], v[40:41], v[38:39]
	v_add_f64_e32 v[30:31], v[161:162], v[165:166]
	s_wait_loadcnt_dscnt 0x300
	v_mul_f64_e32 v[38:39], v[34:35], v[16:17]
	v_mul_f64_e32 v[16:17], v[36:37], v[16:17]
	v_fma_f64 v[40:41], v[4:5], v[10:11], v[167:168]
	v_fma_f64 v[10:11], v[2:3], v[10:11], -v[12:13]
	v_add_f64_e32 v[12:13], v[8:9], v[6:7]
	v_add_f64_e32 v[30:31], v[30:31], v[32:33]
	ds_load_b128 v[2:5], v1 offset:1776
	ds_load_b128 v[6:9], v1 offset:1792
	v_fma_f64 v[36:37], v[36:37], v[14:15], v[38:39]
	v_fma_f64 v[14:15], v[34:35], v[14:15], -v[16:17]
	s_wait_loadcnt_dscnt 0x201
	v_mul_f64_e32 v[32:33], v[2:3], v[20:21]
	v_mul_f64_e32 v[20:21], v[4:5], v[20:21]
	s_wait_loadcnt_dscnt 0x100
	v_mul_f64_e32 v[16:17], v[6:7], v[24:25]
	v_mul_f64_e32 v[24:25], v[8:9], v[24:25]
	v_add_f64_e32 v[10:11], v[12:13], v[10:11]
	v_add_f64_e32 v[12:13], v[30:31], v[40:41]
	v_fma_f64 v[30:31], v[4:5], v[18:19], v[32:33]
	v_fma_f64 v[18:19], v[2:3], v[18:19], -v[20:21]
	ds_load_b128 v[2:5], v1 offset:1808
	v_fma_f64 v[8:9], v[8:9], v[22:23], v[16:17]
	v_fma_f64 v[6:7], v[6:7], v[22:23], -v[24:25]
	v_add_f64_e32 v[10:11], v[10:11], v[14:15]
	v_add_f64_e32 v[12:13], v[12:13], v[36:37]
	s_wait_loadcnt_dscnt 0x0
	v_mul_f64_e32 v[14:15], v[2:3], v[28:29]
	v_mul_f64_e32 v[20:21], v[4:5], v[28:29]
	s_delay_alu instid0(VALU_DEP_4) | instskip(NEXT) | instid1(VALU_DEP_4)
	v_add_f64_e32 v[10:11], v[10:11], v[18:19]
	v_add_f64_e32 v[12:13], v[12:13], v[30:31]
	s_delay_alu instid0(VALU_DEP_4) | instskip(NEXT) | instid1(VALU_DEP_4)
	v_fma_f64 v[4:5], v[4:5], v[26:27], v[14:15]
	v_fma_f64 v[2:3], v[2:3], v[26:27], -v[20:21]
	s_delay_alu instid0(VALU_DEP_4) | instskip(NEXT) | instid1(VALU_DEP_4)
	v_add_f64_e32 v[6:7], v[10:11], v[6:7]
	v_add_f64_e32 v[8:9], v[12:13], v[8:9]
	s_delay_alu instid0(VALU_DEP_2) | instskip(NEXT) | instid1(VALU_DEP_2)
	v_add_f64_e32 v[2:3], v[6:7], v[2:3]
	v_add_f64_e32 v[4:5], v[8:9], v[4:5]
	s_delay_alu instid0(VALU_DEP_2) | instskip(NEXT) | instid1(VALU_DEP_2)
	v_add_f64_e64 v[2:3], v[42:43], -v[2:3]
	v_add_f64_e64 v[4:5], v[44:45], -v[4:5]
	scratch_store_b128 off, v[2:5], off offset:320
	v_cmpx_lt_u32_e32 18, v0
	s_cbranch_execz .LBB120_319
; %bb.318:
	scratch_load_b128 v[5:8], off, s52
	v_dual_mov_b32 v2, v1 :: v_dual_mov_b32 v3, v1
	v_mov_b32_e32 v4, v1
	scratch_store_b128 off, v[1:4], off offset:304
	s_wait_loadcnt 0x0
	ds_store_b128 v160, v[5:8]
.LBB120_319:
	s_wait_alu 0xfffe
	s_or_b32 exec_lo, exec_lo, s0
	s_wait_storecnt_dscnt 0x0
	s_barrier_signal -1
	s_barrier_wait -1
	global_inv scope:SCOPE_SE
	s_clause 0x8
	scratch_load_b128 v[2:5], off, off offset:320
	scratch_load_b128 v[6:9], off, off offset:336
	;; [unrolled: 1-line block ×9, first 2 shown]
	ds_load_b128 v[42:45], v1 offset:1216
	ds_load_b128 v[38:41], v1 offset:1232
	s_clause 0x1
	scratch_load_b128 v[161:164], off, off offset:304
	scratch_load_b128 v[165:168], off, off offset:464
	s_mov_b32 s0, exec_lo
	s_wait_loadcnt_dscnt 0xa01
	v_mul_f64_e32 v[169:170], v[44:45], v[4:5]
	v_mul_f64_e32 v[4:5], v[42:43], v[4:5]
	s_wait_loadcnt_dscnt 0x900
	v_mul_f64_e32 v[173:174], v[38:39], v[8:9]
	v_mul_f64_e32 v[8:9], v[40:41], v[8:9]
	s_delay_alu instid0(VALU_DEP_4) | instskip(NEXT) | instid1(VALU_DEP_4)
	v_fma_f64 v[175:176], v[42:43], v[2:3], -v[169:170]
	v_fma_f64 v[177:178], v[44:45], v[2:3], v[4:5]
	ds_load_b128 v[2:5], v1 offset:1248
	ds_load_b128 v[169:172], v1 offset:1264
	scratch_load_b128 v[42:45], off, off offset:480
	v_fma_f64 v[40:41], v[40:41], v[6:7], v[173:174]
	v_fma_f64 v[38:39], v[38:39], v[6:7], -v[8:9]
	scratch_load_b128 v[6:9], off, off offset:496
	s_wait_loadcnt_dscnt 0xa01
	v_mul_f64_e32 v[179:180], v[2:3], v[12:13]
	v_mul_f64_e32 v[12:13], v[4:5], v[12:13]
	v_add_f64_e32 v[173:174], 0, v[175:176]
	v_add_f64_e32 v[175:176], 0, v[177:178]
	s_wait_loadcnt_dscnt 0x900
	v_mul_f64_e32 v[177:178], v[169:170], v[16:17]
	v_mul_f64_e32 v[16:17], v[171:172], v[16:17]
	v_fma_f64 v[179:180], v[4:5], v[10:11], v[179:180]
	v_fma_f64 v[181:182], v[2:3], v[10:11], -v[12:13]
	ds_load_b128 v[2:5], v1 offset:1280
	scratch_load_b128 v[10:13], off, off offset:512
	v_add_f64_e32 v[173:174], v[173:174], v[38:39]
	v_add_f64_e32 v[175:176], v[175:176], v[40:41]
	ds_load_b128 v[38:41], v1 offset:1296
	v_fma_f64 v[171:172], v[171:172], v[14:15], v[177:178]
	v_fma_f64 v[169:170], v[169:170], v[14:15], -v[16:17]
	scratch_load_b128 v[14:17], off, off offset:528
	s_wait_loadcnt_dscnt 0xa01
	v_mul_f64_e32 v[183:184], v[2:3], v[20:21]
	v_mul_f64_e32 v[20:21], v[4:5], v[20:21]
	s_wait_loadcnt_dscnt 0x900
	v_mul_f64_e32 v[177:178], v[38:39], v[24:25]
	v_mul_f64_e32 v[24:25], v[40:41], v[24:25]
	v_add_f64_e32 v[173:174], v[173:174], v[181:182]
	v_add_f64_e32 v[175:176], v[175:176], v[179:180]
	v_fma_f64 v[179:180], v[4:5], v[18:19], v[183:184]
	v_fma_f64 v[181:182], v[2:3], v[18:19], -v[20:21]
	ds_load_b128 v[2:5], v1 offset:1312
	scratch_load_b128 v[18:21], off, off offset:544
	v_fma_f64 v[40:41], v[40:41], v[22:23], v[177:178]
	v_fma_f64 v[38:39], v[38:39], v[22:23], -v[24:25]
	scratch_load_b128 v[22:25], off, off offset:560
	v_add_f64_e32 v[173:174], v[173:174], v[169:170]
	v_add_f64_e32 v[175:176], v[175:176], v[171:172]
	ds_load_b128 v[169:172], v1 offset:1328
	s_wait_loadcnt_dscnt 0xa01
	v_mul_f64_e32 v[183:184], v[2:3], v[28:29]
	v_mul_f64_e32 v[28:29], v[4:5], v[28:29]
	s_wait_loadcnt_dscnt 0x900
	v_mul_f64_e32 v[177:178], v[169:170], v[32:33]
	v_mul_f64_e32 v[32:33], v[171:172], v[32:33]
	v_add_f64_e32 v[173:174], v[173:174], v[181:182]
	v_add_f64_e32 v[175:176], v[175:176], v[179:180]
	v_fma_f64 v[179:180], v[4:5], v[26:27], v[183:184]
	v_fma_f64 v[181:182], v[2:3], v[26:27], -v[28:29]
	ds_load_b128 v[2:5], v1 offset:1344
	scratch_load_b128 v[26:29], off, off offset:576
	v_fma_f64 v[171:172], v[171:172], v[30:31], v[177:178]
	v_fma_f64 v[169:170], v[169:170], v[30:31], -v[32:33]
	scratch_load_b128 v[30:33], off, off offset:592
	v_add_f64_e32 v[173:174], v[173:174], v[38:39]
	v_add_f64_e32 v[175:176], v[175:176], v[40:41]
	ds_load_b128 v[38:41], v1 offset:1360
	s_wait_loadcnt_dscnt 0xa01
	v_mul_f64_e32 v[183:184], v[2:3], v[36:37]
	v_mul_f64_e32 v[36:37], v[4:5], v[36:37]
	s_wait_loadcnt_dscnt 0x800
	v_mul_f64_e32 v[177:178], v[38:39], v[167:168]
	v_add_f64_e32 v[173:174], v[173:174], v[181:182]
	v_add_f64_e32 v[175:176], v[175:176], v[179:180]
	v_mul_f64_e32 v[179:180], v[40:41], v[167:168]
	v_fma_f64 v[181:182], v[4:5], v[34:35], v[183:184]
	v_fma_f64 v[183:184], v[2:3], v[34:35], -v[36:37]
	ds_load_b128 v[2:5], v1 offset:1376
	scratch_load_b128 v[34:37], off, off offset:608
	v_fma_f64 v[177:178], v[40:41], v[165:166], v[177:178]
	v_add_f64_e32 v[173:174], v[173:174], v[169:170]
	v_add_f64_e32 v[171:172], v[175:176], v[171:172]
	ds_load_b128 v[167:170], v1 offset:1392
	v_fma_f64 v[165:166], v[38:39], v[165:166], -v[179:180]
	scratch_load_b128 v[38:41], off, off offset:624
	s_wait_loadcnt_dscnt 0x901
	v_mul_f64_e32 v[175:176], v[2:3], v[44:45]
	v_mul_f64_e32 v[44:45], v[4:5], v[44:45]
	s_wait_loadcnt_dscnt 0x800
	v_mul_f64_e32 v[179:180], v[167:168], v[8:9]
	v_mul_f64_e32 v[8:9], v[169:170], v[8:9]
	v_add_f64_e32 v[173:174], v[173:174], v[183:184]
	v_add_f64_e32 v[171:172], v[171:172], v[181:182]
	v_fma_f64 v[175:176], v[4:5], v[42:43], v[175:176]
	v_fma_f64 v[181:182], v[2:3], v[42:43], -v[44:45]
	ds_load_b128 v[2:5], v1 offset:1408
	scratch_load_b128 v[42:45], off, off offset:640
	v_fma_f64 v[169:170], v[169:170], v[6:7], v[179:180]
	v_fma_f64 v[167:168], v[167:168], v[6:7], -v[8:9]
	scratch_load_b128 v[6:9], off, off offset:656
	v_add_f64_e32 v[165:166], v[173:174], v[165:166]
	v_add_f64_e32 v[177:178], v[171:172], v[177:178]
	ds_load_b128 v[171:174], v1 offset:1424
	s_wait_loadcnt_dscnt 0x901
	v_mul_f64_e32 v[183:184], v[2:3], v[12:13]
	v_mul_f64_e32 v[12:13], v[4:5], v[12:13]
	v_add_f64_e32 v[165:166], v[165:166], v[181:182]
	v_add_f64_e32 v[175:176], v[177:178], v[175:176]
	s_wait_loadcnt_dscnt 0x800
	v_mul_f64_e32 v[177:178], v[171:172], v[16:17]
	v_mul_f64_e32 v[16:17], v[173:174], v[16:17]
	v_fma_f64 v[179:180], v[4:5], v[10:11], v[183:184]
	v_fma_f64 v[181:182], v[2:3], v[10:11], -v[12:13]
	ds_load_b128 v[2:5], v1 offset:1440
	scratch_load_b128 v[10:13], off, off offset:672
	v_add_f64_e32 v[183:184], v[165:166], v[167:168]
	v_add_f64_e32 v[169:170], v[175:176], v[169:170]
	ds_load_b128 v[165:168], v1 offset:1456
	s_wait_loadcnt_dscnt 0x801
	v_mul_f64_e32 v[175:176], v[2:3], v[20:21]
	v_mul_f64_e32 v[20:21], v[4:5], v[20:21]
	v_fma_f64 v[173:174], v[173:174], v[14:15], v[177:178]
	v_fma_f64 v[171:172], v[171:172], v[14:15], -v[16:17]
	scratch_load_b128 v[14:17], off, off offset:688
	v_add_f64_e32 v[177:178], v[183:184], v[181:182]
	v_add_f64_e32 v[169:170], v[169:170], v[179:180]
	s_wait_loadcnt_dscnt 0x800
	v_mul_f64_e32 v[179:180], v[165:166], v[24:25]
	v_mul_f64_e32 v[24:25], v[167:168], v[24:25]
	v_fma_f64 v[175:176], v[4:5], v[18:19], v[175:176]
	v_fma_f64 v[181:182], v[2:3], v[18:19], -v[20:21]
	ds_load_b128 v[2:5], v1 offset:1472
	scratch_load_b128 v[18:21], off, off offset:704
	v_add_f64_e32 v[177:178], v[177:178], v[171:172]
	v_add_f64_e32 v[173:174], v[169:170], v[173:174]
	ds_load_b128 v[169:172], v1 offset:1488
	s_wait_loadcnt_dscnt 0x801
	v_mul_f64_e32 v[183:184], v[2:3], v[28:29]
	v_mul_f64_e32 v[28:29], v[4:5], v[28:29]
	v_fma_f64 v[167:168], v[167:168], v[22:23], v[179:180]
	v_fma_f64 v[165:166], v[165:166], v[22:23], -v[24:25]
	scratch_load_b128 v[22:25], off, off offset:720
	;; [unrolled: 18-line block ×4, first 2 shown]
	s_wait_loadcnt_dscnt 0x800
	v_mul_f64_e32 v[177:178], v[169:170], v[8:9]
	v_mul_f64_e32 v[8:9], v[171:172], v[8:9]
	v_add_f64_e32 v[175:176], v[175:176], v[181:182]
	v_add_f64_e32 v[173:174], v[173:174], v[179:180]
	v_fma_f64 v[179:180], v[4:5], v[42:43], v[183:184]
	v_fma_f64 v[181:182], v[2:3], v[42:43], -v[44:45]
	ds_load_b128 v[2:5], v1 offset:1568
	scratch_load_b128 v[42:45], off, off offset:800
	v_fma_f64 v[171:172], v[171:172], v[6:7], v[177:178]
	v_fma_f64 v[169:170], v[169:170], v[6:7], -v[8:9]
	scratch_load_b128 v[6:9], off, off offset:816
	v_add_f64_e32 v[175:176], v[175:176], v[165:166]
	v_add_f64_e32 v[173:174], v[173:174], v[167:168]
	ds_load_b128 v[165:168], v1 offset:1584
	s_wait_loadcnt_dscnt 0x901
	v_mul_f64_e32 v[183:184], v[2:3], v[12:13]
	v_mul_f64_e32 v[12:13], v[4:5], v[12:13]
	s_wait_loadcnt_dscnt 0x800
	v_mul_f64_e32 v[177:178], v[165:166], v[16:17]
	v_mul_f64_e32 v[16:17], v[167:168], v[16:17]
	v_add_f64_e32 v[175:176], v[175:176], v[181:182]
	v_add_f64_e32 v[173:174], v[173:174], v[179:180]
	v_fma_f64 v[179:180], v[4:5], v[10:11], v[183:184]
	v_fma_f64 v[181:182], v[2:3], v[10:11], -v[12:13]
	ds_load_b128 v[2:5], v1 offset:1600
	scratch_load_b128 v[10:13], off, off offset:832
	v_fma_f64 v[167:168], v[167:168], v[14:15], v[177:178]
	v_fma_f64 v[165:166], v[165:166], v[14:15], -v[16:17]
	scratch_load_b128 v[14:17], off, off offset:848
	v_add_f64_e32 v[175:176], v[175:176], v[169:170]
	v_add_f64_e32 v[173:174], v[173:174], v[171:172]
	ds_load_b128 v[169:172], v1 offset:1616
	s_wait_loadcnt_dscnt 0x901
	v_mul_f64_e32 v[183:184], v[2:3], v[20:21]
	v_mul_f64_e32 v[20:21], v[4:5], v[20:21]
	;; [unrolled: 18-line block ×4, first 2 shown]
	s_wait_loadcnt_dscnt 0x800
	v_mul_f64_e32 v[177:178], v[169:170], v[40:41]
	v_mul_f64_e32 v[40:41], v[171:172], v[40:41]
	v_add_f64_e32 v[175:176], v[175:176], v[181:182]
	v_add_f64_e32 v[173:174], v[173:174], v[179:180]
	v_fma_f64 v[179:180], v[4:5], v[34:35], v[183:184]
	v_fma_f64 v[181:182], v[2:3], v[34:35], -v[36:37]
	ds_load_b128 v[2:5], v1 offset:1696
	ds_load_b128 v[34:37], v1 offset:1712
	v_fma_f64 v[171:172], v[171:172], v[38:39], v[177:178]
	v_fma_f64 v[38:39], v[169:170], v[38:39], -v[40:41]
	v_add_f64_e32 v[165:166], v[175:176], v[165:166]
	v_add_f64_e32 v[167:168], v[173:174], v[167:168]
	s_wait_loadcnt_dscnt 0x701
	v_mul_f64_e32 v[173:174], v[2:3], v[44:45]
	v_mul_f64_e32 v[44:45], v[4:5], v[44:45]
	s_delay_alu instid0(VALU_DEP_4) | instskip(NEXT) | instid1(VALU_DEP_4)
	v_add_f64_e32 v[40:41], v[165:166], v[181:182]
	v_add_f64_e32 v[165:166], v[167:168], v[179:180]
	s_wait_loadcnt_dscnt 0x600
	v_mul_f64_e32 v[167:168], v[34:35], v[8:9]
	v_mul_f64_e32 v[8:9], v[36:37], v[8:9]
	v_fma_f64 v[169:170], v[4:5], v[42:43], v[173:174]
	v_fma_f64 v[42:43], v[2:3], v[42:43], -v[44:45]
	v_add_f64_e32 v[44:45], v[40:41], v[38:39]
	v_add_f64_e32 v[165:166], v[165:166], v[171:172]
	ds_load_b128 v[2:5], v1 offset:1728
	ds_load_b128 v[38:41], v1 offset:1744
	v_fma_f64 v[36:37], v[36:37], v[6:7], v[167:168]
	v_fma_f64 v[6:7], v[34:35], v[6:7], -v[8:9]
	s_wait_loadcnt_dscnt 0x501
	v_mul_f64_e32 v[171:172], v[2:3], v[12:13]
	v_mul_f64_e32 v[12:13], v[4:5], v[12:13]
	v_add_f64_e32 v[8:9], v[44:45], v[42:43]
	v_add_f64_e32 v[34:35], v[165:166], v[169:170]
	s_wait_loadcnt_dscnt 0x400
	v_mul_f64_e32 v[42:43], v[38:39], v[16:17]
	v_mul_f64_e32 v[16:17], v[40:41], v[16:17]
	v_fma_f64 v[44:45], v[4:5], v[10:11], v[171:172]
	v_fma_f64 v[10:11], v[2:3], v[10:11], -v[12:13]
	v_add_f64_e32 v[12:13], v[8:9], v[6:7]
	v_add_f64_e32 v[34:35], v[34:35], v[36:37]
	ds_load_b128 v[2:5], v1 offset:1760
	ds_load_b128 v[6:9], v1 offset:1776
	v_fma_f64 v[40:41], v[40:41], v[14:15], v[42:43]
	v_fma_f64 v[14:15], v[38:39], v[14:15], -v[16:17]
	s_wait_loadcnt_dscnt 0x301
	v_mul_f64_e32 v[36:37], v[2:3], v[20:21]
	v_mul_f64_e32 v[20:21], v[4:5], v[20:21]
	s_wait_loadcnt_dscnt 0x200
	v_mul_f64_e32 v[16:17], v[6:7], v[24:25]
	v_mul_f64_e32 v[24:25], v[8:9], v[24:25]
	v_add_f64_e32 v[10:11], v[12:13], v[10:11]
	v_add_f64_e32 v[12:13], v[34:35], v[44:45]
	v_fma_f64 v[34:35], v[4:5], v[18:19], v[36:37]
	v_fma_f64 v[18:19], v[2:3], v[18:19], -v[20:21]
	v_fma_f64 v[8:9], v[8:9], v[22:23], v[16:17]
	v_fma_f64 v[6:7], v[6:7], v[22:23], -v[24:25]
	v_add_f64_e32 v[14:15], v[10:11], v[14:15]
	v_add_f64_e32 v[20:21], v[12:13], v[40:41]
	ds_load_b128 v[2:5], v1 offset:1792
	ds_load_b128 v[10:13], v1 offset:1808
	s_wait_loadcnt_dscnt 0x101
	v_mul_f64_e32 v[36:37], v[2:3], v[28:29]
	v_mul_f64_e32 v[28:29], v[4:5], v[28:29]
	v_add_f64_e32 v[14:15], v[14:15], v[18:19]
	v_add_f64_e32 v[16:17], v[20:21], v[34:35]
	s_wait_loadcnt_dscnt 0x0
	v_mul_f64_e32 v[18:19], v[10:11], v[32:33]
	v_mul_f64_e32 v[20:21], v[12:13], v[32:33]
	v_fma_f64 v[4:5], v[4:5], v[26:27], v[36:37]
	v_fma_f64 v[1:2], v[2:3], v[26:27], -v[28:29]
	v_add_f64_e32 v[6:7], v[14:15], v[6:7]
	v_add_f64_e32 v[8:9], v[16:17], v[8:9]
	v_fma_f64 v[12:13], v[12:13], v[30:31], v[18:19]
	v_fma_f64 v[10:11], v[10:11], v[30:31], -v[20:21]
	s_delay_alu instid0(VALU_DEP_4) | instskip(NEXT) | instid1(VALU_DEP_4)
	v_add_f64_e32 v[1:2], v[6:7], v[1:2]
	v_add_f64_e32 v[3:4], v[8:9], v[4:5]
	s_delay_alu instid0(VALU_DEP_2) | instskip(NEXT) | instid1(VALU_DEP_2)
	v_add_f64_e32 v[1:2], v[1:2], v[10:11]
	v_add_f64_e32 v[3:4], v[3:4], v[12:13]
	s_delay_alu instid0(VALU_DEP_2) | instskip(NEXT) | instid1(VALU_DEP_2)
	v_add_f64_e64 v[1:2], v[161:162], -v[1:2]
	v_add_f64_e64 v[3:4], v[163:164], -v[3:4]
	scratch_store_b128 off, v[1:4], off offset:304
	v_cmpx_lt_u32_e32 17, v0
	s_cbranch_execz .LBB120_321
; %bb.320:
	scratch_load_b128 v[1:4], off, s53
	v_mov_b32_e32 v5, 0
	s_delay_alu instid0(VALU_DEP_1)
	v_dual_mov_b32 v6, v5 :: v_dual_mov_b32 v7, v5
	v_mov_b32_e32 v8, v5
	scratch_store_b128 off, v[5:8], off offset:288
	s_wait_loadcnt 0x0
	ds_store_b128 v160, v[1:4]
.LBB120_321:
	s_wait_alu 0xfffe
	s_or_b32 exec_lo, exec_lo, s0
	s_wait_storecnt_dscnt 0x0
	s_barrier_signal -1
	s_barrier_wait -1
	global_inv scope:SCOPE_SE
	s_clause 0x7
	scratch_load_b128 v[2:5], off, off offset:304
	scratch_load_b128 v[6:9], off, off offset:320
	;; [unrolled: 1-line block ×8, first 2 shown]
	v_mov_b32_e32 v1, 0
	s_mov_b32 s0, exec_lo
	ds_load_b128 v[38:41], v1 offset:1200
	s_clause 0x1
	scratch_load_b128 v[34:37], off, off offset:432
	scratch_load_b128 v[42:45], off, off offset:288
	ds_load_b128 v[161:164], v1 offset:1216
	scratch_load_b128 v[165:168], off, off offset:448
	s_wait_loadcnt_dscnt 0xa01
	v_mul_f64_e32 v[169:170], v[40:41], v[4:5]
	v_mul_f64_e32 v[4:5], v[38:39], v[4:5]
	s_delay_alu instid0(VALU_DEP_2) | instskip(NEXT) | instid1(VALU_DEP_2)
	v_fma_f64 v[175:176], v[38:39], v[2:3], -v[169:170]
	v_fma_f64 v[177:178], v[40:41], v[2:3], v[4:5]
	ds_load_b128 v[2:5], v1 offset:1232
	s_wait_loadcnt_dscnt 0x901
	v_mul_f64_e32 v[173:174], v[161:162], v[8:9]
	v_mul_f64_e32 v[8:9], v[163:164], v[8:9]
	scratch_load_b128 v[38:41], off, off offset:464
	ds_load_b128 v[169:172], v1 offset:1248
	s_wait_loadcnt_dscnt 0x901
	v_mul_f64_e32 v[179:180], v[2:3], v[12:13]
	v_mul_f64_e32 v[12:13], v[4:5], v[12:13]
	v_fma_f64 v[163:164], v[163:164], v[6:7], v[173:174]
	v_fma_f64 v[161:162], v[161:162], v[6:7], -v[8:9]
	v_add_f64_e32 v[173:174], 0, v[175:176]
	v_add_f64_e32 v[175:176], 0, v[177:178]
	scratch_load_b128 v[6:9], off, off offset:480
	v_fma_f64 v[179:180], v[4:5], v[10:11], v[179:180]
	v_fma_f64 v[181:182], v[2:3], v[10:11], -v[12:13]
	ds_load_b128 v[2:5], v1 offset:1264
	s_wait_loadcnt_dscnt 0x901
	v_mul_f64_e32 v[177:178], v[169:170], v[16:17]
	v_mul_f64_e32 v[16:17], v[171:172], v[16:17]
	scratch_load_b128 v[10:13], off, off offset:496
	v_add_f64_e32 v[173:174], v[173:174], v[161:162]
	v_add_f64_e32 v[175:176], v[175:176], v[163:164]
	s_wait_loadcnt_dscnt 0x900
	v_mul_f64_e32 v[183:184], v[2:3], v[20:21]
	v_mul_f64_e32 v[20:21], v[4:5], v[20:21]
	ds_load_b128 v[161:164], v1 offset:1280
	v_fma_f64 v[171:172], v[171:172], v[14:15], v[177:178]
	v_fma_f64 v[169:170], v[169:170], v[14:15], -v[16:17]
	scratch_load_b128 v[14:17], off, off offset:512
	v_add_f64_e32 v[173:174], v[173:174], v[181:182]
	v_add_f64_e32 v[175:176], v[175:176], v[179:180]
	v_fma_f64 v[179:180], v[4:5], v[18:19], v[183:184]
	v_fma_f64 v[181:182], v[2:3], v[18:19], -v[20:21]
	ds_load_b128 v[2:5], v1 offset:1296
	s_wait_loadcnt_dscnt 0x901
	v_mul_f64_e32 v[177:178], v[161:162], v[24:25]
	v_mul_f64_e32 v[24:25], v[163:164], v[24:25]
	scratch_load_b128 v[18:21], off, off offset:528
	s_wait_loadcnt_dscnt 0x900
	v_mul_f64_e32 v[183:184], v[2:3], v[28:29]
	v_mul_f64_e32 v[28:29], v[4:5], v[28:29]
	v_add_f64_e32 v[173:174], v[173:174], v[169:170]
	v_add_f64_e32 v[175:176], v[175:176], v[171:172]
	ds_load_b128 v[169:172], v1 offset:1312
	v_fma_f64 v[163:164], v[163:164], v[22:23], v[177:178]
	v_fma_f64 v[161:162], v[161:162], v[22:23], -v[24:25]
	scratch_load_b128 v[22:25], off, off offset:544
	v_add_f64_e32 v[173:174], v[173:174], v[181:182]
	v_add_f64_e32 v[175:176], v[175:176], v[179:180]
	v_fma_f64 v[179:180], v[4:5], v[26:27], v[183:184]
	v_fma_f64 v[181:182], v[2:3], v[26:27], -v[28:29]
	ds_load_b128 v[2:5], v1 offset:1328
	s_wait_loadcnt_dscnt 0x901
	v_mul_f64_e32 v[177:178], v[169:170], v[32:33]
	v_mul_f64_e32 v[32:33], v[171:172], v[32:33]
	scratch_load_b128 v[26:29], off, off offset:560
	s_wait_loadcnt_dscnt 0x900
	v_mul_f64_e32 v[183:184], v[2:3], v[36:37]
	v_mul_f64_e32 v[36:37], v[4:5], v[36:37]
	v_add_f64_e32 v[173:174], v[173:174], v[161:162]
	v_add_f64_e32 v[175:176], v[175:176], v[163:164]
	ds_load_b128 v[161:164], v1 offset:1344
	v_fma_f64 v[171:172], v[171:172], v[30:31], v[177:178]
	v_fma_f64 v[169:170], v[169:170], v[30:31], -v[32:33]
	scratch_load_b128 v[30:33], off, off offset:576
	v_add_f64_e32 v[173:174], v[173:174], v[181:182]
	v_add_f64_e32 v[175:176], v[175:176], v[179:180]
	v_fma_f64 v[181:182], v[4:5], v[34:35], v[183:184]
	v_fma_f64 v[183:184], v[2:3], v[34:35], -v[36:37]
	ds_load_b128 v[2:5], v1 offset:1360
	s_wait_loadcnt_dscnt 0x801
	v_mul_f64_e32 v[177:178], v[161:162], v[167:168]
	v_mul_f64_e32 v[179:180], v[163:164], v[167:168]
	scratch_load_b128 v[34:37], off, off offset:592
	v_add_f64_e32 v[173:174], v[173:174], v[169:170]
	v_add_f64_e32 v[171:172], v[175:176], v[171:172]
	ds_load_b128 v[167:170], v1 offset:1376
	v_fma_f64 v[177:178], v[163:164], v[165:166], v[177:178]
	v_fma_f64 v[165:166], v[161:162], v[165:166], -v[179:180]
	scratch_load_b128 v[161:164], off, off offset:608
	s_wait_loadcnt_dscnt 0x901
	v_mul_f64_e32 v[175:176], v[2:3], v[40:41]
	v_mul_f64_e32 v[40:41], v[4:5], v[40:41]
	v_add_f64_e32 v[173:174], v[173:174], v[183:184]
	v_add_f64_e32 v[171:172], v[171:172], v[181:182]
	s_delay_alu instid0(VALU_DEP_4) | instskip(NEXT) | instid1(VALU_DEP_4)
	v_fma_f64 v[175:176], v[4:5], v[38:39], v[175:176]
	v_fma_f64 v[181:182], v[2:3], v[38:39], -v[40:41]
	ds_load_b128 v[2:5], v1 offset:1392
	s_wait_loadcnt_dscnt 0x801
	v_mul_f64_e32 v[179:180], v[167:168], v[8:9]
	v_mul_f64_e32 v[8:9], v[169:170], v[8:9]
	scratch_load_b128 v[38:41], off, off offset:624
	s_wait_loadcnt_dscnt 0x800
	v_mul_f64_e32 v[183:184], v[2:3], v[12:13]
	v_add_f64_e32 v[165:166], v[173:174], v[165:166]
	v_add_f64_e32 v[177:178], v[171:172], v[177:178]
	v_mul_f64_e32 v[12:13], v[4:5], v[12:13]
	ds_load_b128 v[171:174], v1 offset:1408
	v_fma_f64 v[169:170], v[169:170], v[6:7], v[179:180]
	v_fma_f64 v[167:168], v[167:168], v[6:7], -v[8:9]
	scratch_load_b128 v[6:9], off, off offset:640
	v_fma_f64 v[179:180], v[4:5], v[10:11], v[183:184]
	v_add_f64_e32 v[165:166], v[165:166], v[181:182]
	v_add_f64_e32 v[175:176], v[177:178], v[175:176]
	v_fma_f64 v[181:182], v[2:3], v[10:11], -v[12:13]
	ds_load_b128 v[2:5], v1 offset:1424
	s_wait_loadcnt_dscnt 0x801
	v_mul_f64_e32 v[177:178], v[171:172], v[16:17]
	v_mul_f64_e32 v[16:17], v[173:174], v[16:17]
	scratch_load_b128 v[10:13], off, off offset:656
	v_add_f64_e32 v[183:184], v[165:166], v[167:168]
	v_add_f64_e32 v[169:170], v[175:176], v[169:170]
	s_wait_loadcnt_dscnt 0x800
	v_mul_f64_e32 v[175:176], v[2:3], v[20:21]
	v_mul_f64_e32 v[20:21], v[4:5], v[20:21]
	v_fma_f64 v[173:174], v[173:174], v[14:15], v[177:178]
	v_fma_f64 v[171:172], v[171:172], v[14:15], -v[16:17]
	ds_load_b128 v[165:168], v1 offset:1440
	scratch_load_b128 v[14:17], off, off offset:672
	v_add_f64_e32 v[177:178], v[183:184], v[181:182]
	v_add_f64_e32 v[169:170], v[169:170], v[179:180]
	v_fma_f64 v[175:176], v[4:5], v[18:19], v[175:176]
	v_fma_f64 v[181:182], v[2:3], v[18:19], -v[20:21]
	ds_load_b128 v[2:5], v1 offset:1456
	s_wait_loadcnt_dscnt 0x801
	v_mul_f64_e32 v[179:180], v[165:166], v[24:25]
	v_mul_f64_e32 v[24:25], v[167:168], v[24:25]
	scratch_load_b128 v[18:21], off, off offset:688
	s_wait_loadcnt_dscnt 0x800
	v_mul_f64_e32 v[183:184], v[2:3], v[28:29]
	v_mul_f64_e32 v[28:29], v[4:5], v[28:29]
	v_add_f64_e32 v[177:178], v[177:178], v[171:172]
	v_add_f64_e32 v[173:174], v[169:170], v[173:174]
	ds_load_b128 v[169:172], v1 offset:1472
	v_fma_f64 v[167:168], v[167:168], v[22:23], v[179:180]
	v_fma_f64 v[165:166], v[165:166], v[22:23], -v[24:25]
	scratch_load_b128 v[22:25], off, off offset:704
	v_fma_f64 v[179:180], v[4:5], v[26:27], v[183:184]
	v_add_f64_e32 v[177:178], v[177:178], v[181:182]
	v_add_f64_e32 v[173:174], v[173:174], v[175:176]
	v_fma_f64 v[181:182], v[2:3], v[26:27], -v[28:29]
	ds_load_b128 v[2:5], v1 offset:1488
	s_wait_loadcnt_dscnt 0x801
	v_mul_f64_e32 v[175:176], v[169:170], v[32:33]
	v_mul_f64_e32 v[32:33], v[171:172], v[32:33]
	scratch_load_b128 v[26:29], off, off offset:720
	s_wait_loadcnt_dscnt 0x800
	v_mul_f64_e32 v[183:184], v[2:3], v[36:37]
	v_mul_f64_e32 v[36:37], v[4:5], v[36:37]
	v_add_f64_e32 v[177:178], v[177:178], v[165:166]
	v_add_f64_e32 v[173:174], v[173:174], v[167:168]
	ds_load_b128 v[165:168], v1 offset:1504
	v_fma_f64 v[171:172], v[171:172], v[30:31], v[175:176]
	v_fma_f64 v[169:170], v[169:170], v[30:31], -v[32:33]
	scratch_load_b128 v[30:33], off, off offset:736
	v_add_f64_e32 v[175:176], v[177:178], v[181:182]
	v_add_f64_e32 v[173:174], v[173:174], v[179:180]
	v_fma_f64 v[179:180], v[4:5], v[34:35], v[183:184]
	v_fma_f64 v[181:182], v[2:3], v[34:35], -v[36:37]
	ds_load_b128 v[2:5], v1 offset:1520
	s_wait_loadcnt_dscnt 0x801
	v_mul_f64_e32 v[177:178], v[165:166], v[163:164]
	v_mul_f64_e32 v[163:164], v[167:168], v[163:164]
	scratch_load_b128 v[34:37], off, off offset:752
	s_wait_loadcnt_dscnt 0x800
	v_mul_f64_e32 v[183:184], v[2:3], v[40:41]
	v_mul_f64_e32 v[40:41], v[4:5], v[40:41]
	v_add_f64_e32 v[175:176], v[175:176], v[169:170]
	v_add_f64_e32 v[173:174], v[173:174], v[171:172]
	ds_load_b128 v[169:172], v1 offset:1536
	v_fma_f64 v[167:168], v[167:168], v[161:162], v[177:178]
	v_fma_f64 v[165:166], v[165:166], v[161:162], -v[163:164]
	scratch_load_b128 v[161:164], off, off offset:768
	v_add_f64_e32 v[175:176], v[175:176], v[181:182]
	v_add_f64_e32 v[173:174], v[173:174], v[179:180]
	v_fma_f64 v[179:180], v[4:5], v[38:39], v[183:184]
	;; [unrolled: 18-line block ×6, first 2 shown]
	v_fma_f64 v[183:184], v[2:3], v[34:35], -v[36:37]
	ds_load_b128 v[2:5], v1 offset:1680
	s_wait_loadcnt_dscnt 0x801
	v_mul_f64_e32 v[177:178], v[169:170], v[163:164]
	v_mul_f64_e32 v[179:180], v[171:172], v[163:164]
	scratch_load_b128 v[34:37], off, off offset:912
	v_add_f64_e32 v[175:176], v[175:176], v[165:166]
	v_add_f64_e32 v[167:168], v[173:174], v[167:168]
	s_wait_loadcnt_dscnt 0x800
	v_mul_f64_e32 v[173:174], v[2:3], v[40:41]
	v_mul_f64_e32 v[40:41], v[4:5], v[40:41]
	ds_load_b128 v[163:166], v1 offset:1696
	v_fma_f64 v[171:172], v[171:172], v[161:162], v[177:178]
	v_fma_f64 v[161:162], v[169:170], v[161:162], -v[179:180]
	v_add_f64_e32 v[169:170], v[175:176], v[183:184]
	v_add_f64_e32 v[167:168], v[167:168], v[181:182]
	s_wait_loadcnt_dscnt 0x700
	v_mul_f64_e32 v[175:176], v[163:164], v[8:9]
	v_mul_f64_e32 v[8:9], v[165:166], v[8:9]
	v_fma_f64 v[173:174], v[4:5], v[38:39], v[173:174]
	v_fma_f64 v[177:178], v[2:3], v[38:39], -v[40:41]
	ds_load_b128 v[2:5], v1 offset:1712
	ds_load_b128 v[38:41], v1 offset:1728
	v_add_f64_e32 v[161:162], v[169:170], v[161:162]
	v_add_f64_e32 v[167:168], v[167:168], v[171:172]
	s_wait_loadcnt_dscnt 0x601
	v_mul_f64_e32 v[169:170], v[2:3], v[12:13]
	v_mul_f64_e32 v[12:13], v[4:5], v[12:13]
	v_fma_f64 v[165:166], v[165:166], v[6:7], v[175:176]
	v_fma_f64 v[6:7], v[163:164], v[6:7], -v[8:9]
	s_wait_loadcnt_dscnt 0x500
	v_mul_f64_e32 v[163:164], v[38:39], v[16:17]
	v_mul_f64_e32 v[16:17], v[40:41], v[16:17]
	v_add_f64_e32 v[8:9], v[161:162], v[177:178]
	v_add_f64_e32 v[161:162], v[167:168], v[173:174]
	v_fma_f64 v[167:168], v[4:5], v[10:11], v[169:170]
	v_fma_f64 v[10:11], v[2:3], v[10:11], -v[12:13]
	v_fma_f64 v[40:41], v[40:41], v[14:15], v[163:164]
	v_fma_f64 v[14:15], v[38:39], v[14:15], -v[16:17]
	v_add_f64_e32 v[12:13], v[8:9], v[6:7]
	v_add_f64_e32 v[161:162], v[161:162], v[165:166]
	ds_load_b128 v[2:5], v1 offset:1744
	ds_load_b128 v[6:9], v1 offset:1760
	s_wait_loadcnt_dscnt 0x401
	v_mul_f64_e32 v[165:166], v[2:3], v[20:21]
	v_mul_f64_e32 v[20:21], v[4:5], v[20:21]
	s_wait_loadcnt_dscnt 0x300
	v_mul_f64_e32 v[16:17], v[6:7], v[24:25]
	v_mul_f64_e32 v[24:25], v[8:9], v[24:25]
	v_add_f64_e32 v[10:11], v[12:13], v[10:11]
	v_add_f64_e32 v[12:13], v[161:162], v[167:168]
	v_fma_f64 v[38:39], v[4:5], v[18:19], v[165:166]
	v_fma_f64 v[18:19], v[2:3], v[18:19], -v[20:21]
	v_fma_f64 v[8:9], v[8:9], v[22:23], v[16:17]
	v_fma_f64 v[6:7], v[6:7], v[22:23], -v[24:25]
	v_add_f64_e32 v[14:15], v[10:11], v[14:15]
	v_add_f64_e32 v[20:21], v[12:13], v[40:41]
	ds_load_b128 v[2:5], v1 offset:1776
	ds_load_b128 v[10:13], v1 offset:1792
	s_wait_loadcnt_dscnt 0x201
	v_mul_f64_e32 v[40:41], v[2:3], v[28:29]
	v_mul_f64_e32 v[28:29], v[4:5], v[28:29]
	v_add_f64_e32 v[14:15], v[14:15], v[18:19]
	v_add_f64_e32 v[16:17], v[20:21], v[38:39]
	s_wait_loadcnt_dscnt 0x100
	v_mul_f64_e32 v[18:19], v[10:11], v[32:33]
	v_mul_f64_e32 v[20:21], v[12:13], v[32:33]
	v_fma_f64 v[22:23], v[4:5], v[26:27], v[40:41]
	v_fma_f64 v[24:25], v[2:3], v[26:27], -v[28:29]
	ds_load_b128 v[2:5], v1 offset:1808
	v_add_f64_e32 v[6:7], v[14:15], v[6:7]
	v_add_f64_e32 v[8:9], v[16:17], v[8:9]
	v_fma_f64 v[12:13], v[12:13], v[30:31], v[18:19]
	v_fma_f64 v[10:11], v[10:11], v[30:31], -v[20:21]
	s_wait_loadcnt_dscnt 0x0
	v_mul_f64_e32 v[14:15], v[2:3], v[36:37]
	v_mul_f64_e32 v[16:17], v[4:5], v[36:37]
	v_add_f64_e32 v[6:7], v[6:7], v[24:25]
	v_add_f64_e32 v[8:9], v[8:9], v[22:23]
	s_delay_alu instid0(VALU_DEP_4) | instskip(NEXT) | instid1(VALU_DEP_4)
	v_fma_f64 v[4:5], v[4:5], v[34:35], v[14:15]
	v_fma_f64 v[2:3], v[2:3], v[34:35], -v[16:17]
	s_delay_alu instid0(VALU_DEP_4) | instskip(NEXT) | instid1(VALU_DEP_4)
	v_add_f64_e32 v[6:7], v[6:7], v[10:11]
	v_add_f64_e32 v[8:9], v[8:9], v[12:13]
	s_delay_alu instid0(VALU_DEP_2) | instskip(NEXT) | instid1(VALU_DEP_2)
	v_add_f64_e32 v[2:3], v[6:7], v[2:3]
	v_add_f64_e32 v[4:5], v[8:9], v[4:5]
	s_delay_alu instid0(VALU_DEP_2) | instskip(NEXT) | instid1(VALU_DEP_2)
	v_add_f64_e64 v[2:3], v[42:43], -v[2:3]
	v_add_f64_e64 v[4:5], v[44:45], -v[4:5]
	scratch_store_b128 off, v[2:5], off offset:288
	v_cmpx_lt_u32_e32 16, v0
	s_cbranch_execz .LBB120_323
; %bb.322:
	scratch_load_b128 v[5:8], off, s54
	v_dual_mov_b32 v2, v1 :: v_dual_mov_b32 v3, v1
	v_mov_b32_e32 v4, v1
	scratch_store_b128 off, v[1:4], off offset:272
	s_wait_loadcnt 0x0
	ds_store_b128 v160, v[5:8]
.LBB120_323:
	s_wait_alu 0xfffe
	s_or_b32 exec_lo, exec_lo, s0
	s_wait_storecnt_dscnt 0x0
	s_barrier_signal -1
	s_barrier_wait -1
	global_inv scope:SCOPE_SE
	s_clause 0x8
	scratch_load_b128 v[2:5], off, off offset:288
	scratch_load_b128 v[6:9], off, off offset:304
	;; [unrolled: 1-line block ×9, first 2 shown]
	ds_load_b128 v[42:45], v1 offset:1184
	ds_load_b128 v[38:41], v1 offset:1200
	s_clause 0x1
	scratch_load_b128 v[161:164], off, off offset:272
	scratch_load_b128 v[165:168], off, off offset:432
	s_mov_b32 s0, exec_lo
	s_wait_loadcnt_dscnt 0xa01
	v_mul_f64_e32 v[169:170], v[44:45], v[4:5]
	v_mul_f64_e32 v[4:5], v[42:43], v[4:5]
	s_wait_loadcnt_dscnt 0x900
	v_mul_f64_e32 v[173:174], v[38:39], v[8:9]
	v_mul_f64_e32 v[8:9], v[40:41], v[8:9]
	s_delay_alu instid0(VALU_DEP_4) | instskip(NEXT) | instid1(VALU_DEP_4)
	v_fma_f64 v[175:176], v[42:43], v[2:3], -v[169:170]
	v_fma_f64 v[177:178], v[44:45], v[2:3], v[4:5]
	ds_load_b128 v[2:5], v1 offset:1216
	ds_load_b128 v[169:172], v1 offset:1232
	scratch_load_b128 v[42:45], off, off offset:448
	v_fma_f64 v[40:41], v[40:41], v[6:7], v[173:174]
	v_fma_f64 v[38:39], v[38:39], v[6:7], -v[8:9]
	scratch_load_b128 v[6:9], off, off offset:464
	s_wait_loadcnt_dscnt 0xa01
	v_mul_f64_e32 v[179:180], v[2:3], v[12:13]
	v_mul_f64_e32 v[12:13], v[4:5], v[12:13]
	v_add_f64_e32 v[173:174], 0, v[175:176]
	v_add_f64_e32 v[175:176], 0, v[177:178]
	s_wait_loadcnt_dscnt 0x900
	v_mul_f64_e32 v[177:178], v[169:170], v[16:17]
	v_mul_f64_e32 v[16:17], v[171:172], v[16:17]
	v_fma_f64 v[179:180], v[4:5], v[10:11], v[179:180]
	v_fma_f64 v[181:182], v[2:3], v[10:11], -v[12:13]
	ds_load_b128 v[2:5], v1 offset:1248
	scratch_load_b128 v[10:13], off, off offset:480
	v_add_f64_e32 v[173:174], v[173:174], v[38:39]
	v_add_f64_e32 v[175:176], v[175:176], v[40:41]
	ds_load_b128 v[38:41], v1 offset:1264
	v_fma_f64 v[171:172], v[171:172], v[14:15], v[177:178]
	v_fma_f64 v[169:170], v[169:170], v[14:15], -v[16:17]
	scratch_load_b128 v[14:17], off, off offset:496
	s_wait_loadcnt_dscnt 0xa01
	v_mul_f64_e32 v[183:184], v[2:3], v[20:21]
	v_mul_f64_e32 v[20:21], v[4:5], v[20:21]
	s_wait_loadcnt_dscnt 0x900
	v_mul_f64_e32 v[177:178], v[38:39], v[24:25]
	v_mul_f64_e32 v[24:25], v[40:41], v[24:25]
	v_add_f64_e32 v[173:174], v[173:174], v[181:182]
	v_add_f64_e32 v[175:176], v[175:176], v[179:180]
	v_fma_f64 v[179:180], v[4:5], v[18:19], v[183:184]
	v_fma_f64 v[181:182], v[2:3], v[18:19], -v[20:21]
	ds_load_b128 v[2:5], v1 offset:1280
	scratch_load_b128 v[18:21], off, off offset:512
	v_fma_f64 v[40:41], v[40:41], v[22:23], v[177:178]
	v_fma_f64 v[38:39], v[38:39], v[22:23], -v[24:25]
	scratch_load_b128 v[22:25], off, off offset:528
	v_add_f64_e32 v[173:174], v[173:174], v[169:170]
	v_add_f64_e32 v[175:176], v[175:176], v[171:172]
	ds_load_b128 v[169:172], v1 offset:1296
	s_wait_loadcnt_dscnt 0xa01
	v_mul_f64_e32 v[183:184], v[2:3], v[28:29]
	v_mul_f64_e32 v[28:29], v[4:5], v[28:29]
	s_wait_loadcnt_dscnt 0x900
	v_mul_f64_e32 v[177:178], v[169:170], v[32:33]
	v_mul_f64_e32 v[32:33], v[171:172], v[32:33]
	v_add_f64_e32 v[173:174], v[173:174], v[181:182]
	v_add_f64_e32 v[175:176], v[175:176], v[179:180]
	v_fma_f64 v[179:180], v[4:5], v[26:27], v[183:184]
	v_fma_f64 v[181:182], v[2:3], v[26:27], -v[28:29]
	ds_load_b128 v[2:5], v1 offset:1312
	scratch_load_b128 v[26:29], off, off offset:544
	v_fma_f64 v[171:172], v[171:172], v[30:31], v[177:178]
	v_fma_f64 v[169:170], v[169:170], v[30:31], -v[32:33]
	scratch_load_b128 v[30:33], off, off offset:560
	v_add_f64_e32 v[173:174], v[173:174], v[38:39]
	v_add_f64_e32 v[175:176], v[175:176], v[40:41]
	ds_load_b128 v[38:41], v1 offset:1328
	s_wait_loadcnt_dscnt 0xa01
	v_mul_f64_e32 v[183:184], v[2:3], v[36:37]
	v_mul_f64_e32 v[36:37], v[4:5], v[36:37]
	s_wait_loadcnt_dscnt 0x800
	v_mul_f64_e32 v[177:178], v[38:39], v[167:168]
	v_add_f64_e32 v[173:174], v[173:174], v[181:182]
	v_add_f64_e32 v[175:176], v[175:176], v[179:180]
	v_mul_f64_e32 v[179:180], v[40:41], v[167:168]
	v_fma_f64 v[181:182], v[4:5], v[34:35], v[183:184]
	v_fma_f64 v[183:184], v[2:3], v[34:35], -v[36:37]
	ds_load_b128 v[2:5], v1 offset:1344
	scratch_load_b128 v[34:37], off, off offset:576
	v_fma_f64 v[177:178], v[40:41], v[165:166], v[177:178]
	v_add_f64_e32 v[173:174], v[173:174], v[169:170]
	v_add_f64_e32 v[171:172], v[175:176], v[171:172]
	ds_load_b128 v[167:170], v1 offset:1360
	v_fma_f64 v[165:166], v[38:39], v[165:166], -v[179:180]
	scratch_load_b128 v[38:41], off, off offset:592
	s_wait_loadcnt_dscnt 0x901
	v_mul_f64_e32 v[175:176], v[2:3], v[44:45]
	v_mul_f64_e32 v[44:45], v[4:5], v[44:45]
	s_wait_loadcnt_dscnt 0x800
	v_mul_f64_e32 v[179:180], v[167:168], v[8:9]
	v_mul_f64_e32 v[8:9], v[169:170], v[8:9]
	v_add_f64_e32 v[173:174], v[173:174], v[183:184]
	v_add_f64_e32 v[171:172], v[171:172], v[181:182]
	v_fma_f64 v[175:176], v[4:5], v[42:43], v[175:176]
	v_fma_f64 v[181:182], v[2:3], v[42:43], -v[44:45]
	ds_load_b128 v[2:5], v1 offset:1376
	scratch_load_b128 v[42:45], off, off offset:608
	v_fma_f64 v[169:170], v[169:170], v[6:7], v[179:180]
	v_fma_f64 v[167:168], v[167:168], v[6:7], -v[8:9]
	scratch_load_b128 v[6:9], off, off offset:624
	v_add_f64_e32 v[165:166], v[173:174], v[165:166]
	v_add_f64_e32 v[177:178], v[171:172], v[177:178]
	ds_load_b128 v[171:174], v1 offset:1392
	s_wait_loadcnt_dscnt 0x901
	v_mul_f64_e32 v[183:184], v[2:3], v[12:13]
	v_mul_f64_e32 v[12:13], v[4:5], v[12:13]
	v_add_f64_e32 v[165:166], v[165:166], v[181:182]
	v_add_f64_e32 v[175:176], v[177:178], v[175:176]
	s_wait_loadcnt_dscnt 0x800
	v_mul_f64_e32 v[177:178], v[171:172], v[16:17]
	v_mul_f64_e32 v[16:17], v[173:174], v[16:17]
	v_fma_f64 v[179:180], v[4:5], v[10:11], v[183:184]
	v_fma_f64 v[181:182], v[2:3], v[10:11], -v[12:13]
	ds_load_b128 v[2:5], v1 offset:1408
	scratch_load_b128 v[10:13], off, off offset:640
	v_add_f64_e32 v[183:184], v[165:166], v[167:168]
	v_add_f64_e32 v[169:170], v[175:176], v[169:170]
	ds_load_b128 v[165:168], v1 offset:1424
	s_wait_loadcnt_dscnt 0x801
	v_mul_f64_e32 v[175:176], v[2:3], v[20:21]
	v_mul_f64_e32 v[20:21], v[4:5], v[20:21]
	v_fma_f64 v[173:174], v[173:174], v[14:15], v[177:178]
	v_fma_f64 v[171:172], v[171:172], v[14:15], -v[16:17]
	scratch_load_b128 v[14:17], off, off offset:656
	v_add_f64_e32 v[177:178], v[183:184], v[181:182]
	v_add_f64_e32 v[169:170], v[169:170], v[179:180]
	s_wait_loadcnt_dscnt 0x800
	v_mul_f64_e32 v[179:180], v[165:166], v[24:25]
	v_mul_f64_e32 v[24:25], v[167:168], v[24:25]
	v_fma_f64 v[175:176], v[4:5], v[18:19], v[175:176]
	v_fma_f64 v[181:182], v[2:3], v[18:19], -v[20:21]
	ds_load_b128 v[2:5], v1 offset:1440
	scratch_load_b128 v[18:21], off, off offset:672
	v_add_f64_e32 v[177:178], v[177:178], v[171:172]
	v_add_f64_e32 v[173:174], v[169:170], v[173:174]
	ds_load_b128 v[169:172], v1 offset:1456
	s_wait_loadcnt_dscnt 0x801
	v_mul_f64_e32 v[183:184], v[2:3], v[28:29]
	v_mul_f64_e32 v[28:29], v[4:5], v[28:29]
	v_fma_f64 v[167:168], v[167:168], v[22:23], v[179:180]
	v_fma_f64 v[165:166], v[165:166], v[22:23], -v[24:25]
	scratch_load_b128 v[22:25], off, off offset:688
	;; [unrolled: 18-line block ×4, first 2 shown]
	s_wait_loadcnt_dscnt 0x800
	v_mul_f64_e32 v[177:178], v[169:170], v[8:9]
	v_mul_f64_e32 v[8:9], v[171:172], v[8:9]
	v_add_f64_e32 v[175:176], v[175:176], v[181:182]
	v_add_f64_e32 v[173:174], v[173:174], v[179:180]
	v_fma_f64 v[179:180], v[4:5], v[42:43], v[183:184]
	v_fma_f64 v[181:182], v[2:3], v[42:43], -v[44:45]
	ds_load_b128 v[2:5], v1 offset:1536
	scratch_load_b128 v[42:45], off, off offset:768
	v_fma_f64 v[171:172], v[171:172], v[6:7], v[177:178]
	v_fma_f64 v[169:170], v[169:170], v[6:7], -v[8:9]
	scratch_load_b128 v[6:9], off, off offset:784
	v_add_f64_e32 v[175:176], v[175:176], v[165:166]
	v_add_f64_e32 v[173:174], v[173:174], v[167:168]
	ds_load_b128 v[165:168], v1 offset:1552
	s_wait_loadcnt_dscnt 0x901
	v_mul_f64_e32 v[183:184], v[2:3], v[12:13]
	v_mul_f64_e32 v[12:13], v[4:5], v[12:13]
	s_wait_loadcnt_dscnt 0x800
	v_mul_f64_e32 v[177:178], v[165:166], v[16:17]
	v_mul_f64_e32 v[16:17], v[167:168], v[16:17]
	v_add_f64_e32 v[175:176], v[175:176], v[181:182]
	v_add_f64_e32 v[173:174], v[173:174], v[179:180]
	v_fma_f64 v[179:180], v[4:5], v[10:11], v[183:184]
	v_fma_f64 v[181:182], v[2:3], v[10:11], -v[12:13]
	ds_load_b128 v[2:5], v1 offset:1568
	scratch_load_b128 v[10:13], off, off offset:800
	v_fma_f64 v[167:168], v[167:168], v[14:15], v[177:178]
	v_fma_f64 v[165:166], v[165:166], v[14:15], -v[16:17]
	scratch_load_b128 v[14:17], off, off offset:816
	v_add_f64_e32 v[175:176], v[175:176], v[169:170]
	v_add_f64_e32 v[173:174], v[173:174], v[171:172]
	ds_load_b128 v[169:172], v1 offset:1584
	s_wait_loadcnt_dscnt 0x901
	v_mul_f64_e32 v[183:184], v[2:3], v[20:21]
	v_mul_f64_e32 v[20:21], v[4:5], v[20:21]
	;; [unrolled: 18-line block ×5, first 2 shown]
	s_wait_loadcnt_dscnt 0x800
	v_mul_f64_e32 v[177:178], v[165:166], v[8:9]
	v_mul_f64_e32 v[8:9], v[167:168], v[8:9]
	v_add_f64_e32 v[175:176], v[175:176], v[181:182]
	v_add_f64_e32 v[173:174], v[173:174], v[179:180]
	v_fma_f64 v[179:180], v[4:5], v[42:43], v[183:184]
	v_fma_f64 v[181:182], v[2:3], v[42:43], -v[44:45]
	ds_load_b128 v[2:5], v1 offset:1696
	ds_load_b128 v[42:45], v1 offset:1712
	v_fma_f64 v[167:168], v[167:168], v[6:7], v[177:178]
	v_fma_f64 v[6:7], v[165:166], v[6:7], -v[8:9]
	v_add_f64_e32 v[169:170], v[175:176], v[169:170]
	v_add_f64_e32 v[171:172], v[173:174], v[171:172]
	s_wait_loadcnt_dscnt 0x701
	v_mul_f64_e32 v[173:174], v[2:3], v[12:13]
	v_mul_f64_e32 v[12:13], v[4:5], v[12:13]
	s_delay_alu instid0(VALU_DEP_4) | instskip(NEXT) | instid1(VALU_DEP_4)
	v_add_f64_e32 v[8:9], v[169:170], v[181:182]
	v_add_f64_e32 v[165:166], v[171:172], v[179:180]
	s_wait_loadcnt_dscnt 0x600
	v_mul_f64_e32 v[169:170], v[42:43], v[16:17]
	v_mul_f64_e32 v[16:17], v[44:45], v[16:17]
	v_fma_f64 v[171:172], v[4:5], v[10:11], v[173:174]
	v_fma_f64 v[10:11], v[2:3], v[10:11], -v[12:13]
	v_add_f64_e32 v[12:13], v[8:9], v[6:7]
	v_add_f64_e32 v[165:166], v[165:166], v[167:168]
	ds_load_b128 v[2:5], v1 offset:1728
	ds_load_b128 v[6:9], v1 offset:1744
	v_fma_f64 v[44:45], v[44:45], v[14:15], v[169:170]
	v_fma_f64 v[14:15], v[42:43], v[14:15], -v[16:17]
	s_wait_loadcnt_dscnt 0x501
	v_mul_f64_e32 v[167:168], v[2:3], v[20:21]
	v_mul_f64_e32 v[20:21], v[4:5], v[20:21]
	s_wait_loadcnt_dscnt 0x400
	v_mul_f64_e32 v[16:17], v[6:7], v[24:25]
	v_mul_f64_e32 v[24:25], v[8:9], v[24:25]
	v_add_f64_e32 v[10:11], v[12:13], v[10:11]
	v_add_f64_e32 v[12:13], v[165:166], v[171:172]
	v_fma_f64 v[42:43], v[4:5], v[18:19], v[167:168]
	v_fma_f64 v[18:19], v[2:3], v[18:19], -v[20:21]
	v_fma_f64 v[8:9], v[8:9], v[22:23], v[16:17]
	v_fma_f64 v[6:7], v[6:7], v[22:23], -v[24:25]
	v_add_f64_e32 v[14:15], v[10:11], v[14:15]
	v_add_f64_e32 v[20:21], v[12:13], v[44:45]
	ds_load_b128 v[2:5], v1 offset:1760
	ds_load_b128 v[10:13], v1 offset:1776
	s_wait_loadcnt_dscnt 0x301
	v_mul_f64_e32 v[44:45], v[2:3], v[28:29]
	v_mul_f64_e32 v[28:29], v[4:5], v[28:29]
	v_add_f64_e32 v[14:15], v[14:15], v[18:19]
	v_add_f64_e32 v[16:17], v[20:21], v[42:43]
	s_wait_loadcnt_dscnt 0x200
	v_mul_f64_e32 v[18:19], v[10:11], v[32:33]
	v_mul_f64_e32 v[20:21], v[12:13], v[32:33]
	v_fma_f64 v[22:23], v[4:5], v[26:27], v[44:45]
	v_fma_f64 v[24:25], v[2:3], v[26:27], -v[28:29]
	v_add_f64_e32 v[14:15], v[14:15], v[6:7]
	v_add_f64_e32 v[16:17], v[16:17], v[8:9]
	ds_load_b128 v[2:5], v1 offset:1792
	ds_load_b128 v[6:9], v1 offset:1808
	v_fma_f64 v[12:13], v[12:13], v[30:31], v[18:19]
	v_fma_f64 v[10:11], v[10:11], v[30:31], -v[20:21]
	s_wait_loadcnt_dscnt 0x101
	v_mul_f64_e32 v[26:27], v[2:3], v[36:37]
	v_mul_f64_e32 v[28:29], v[4:5], v[36:37]
	s_wait_loadcnt_dscnt 0x0
	v_mul_f64_e32 v[18:19], v[6:7], v[40:41]
	v_mul_f64_e32 v[20:21], v[8:9], v[40:41]
	v_add_f64_e32 v[14:15], v[14:15], v[24:25]
	v_add_f64_e32 v[16:17], v[16:17], v[22:23]
	v_fma_f64 v[4:5], v[4:5], v[34:35], v[26:27]
	v_fma_f64 v[1:2], v[2:3], v[34:35], -v[28:29]
	v_fma_f64 v[8:9], v[8:9], v[38:39], v[18:19]
	v_fma_f64 v[6:7], v[6:7], v[38:39], -v[20:21]
	v_add_f64_e32 v[10:11], v[14:15], v[10:11]
	v_add_f64_e32 v[12:13], v[16:17], v[12:13]
	s_delay_alu instid0(VALU_DEP_2) | instskip(NEXT) | instid1(VALU_DEP_2)
	v_add_f64_e32 v[1:2], v[10:11], v[1:2]
	v_add_f64_e32 v[3:4], v[12:13], v[4:5]
	s_delay_alu instid0(VALU_DEP_2) | instskip(NEXT) | instid1(VALU_DEP_2)
	;; [unrolled: 3-line block ×3, first 2 shown]
	v_add_f64_e64 v[1:2], v[161:162], -v[1:2]
	v_add_f64_e64 v[3:4], v[163:164], -v[3:4]
	scratch_store_b128 off, v[1:4], off offset:272
	v_cmpx_lt_u32_e32 15, v0
	s_cbranch_execz .LBB120_325
; %bb.324:
	scratch_load_b128 v[1:4], off, s55
	v_mov_b32_e32 v5, 0
	s_delay_alu instid0(VALU_DEP_1)
	v_dual_mov_b32 v6, v5 :: v_dual_mov_b32 v7, v5
	v_mov_b32_e32 v8, v5
	scratch_store_b128 off, v[5:8], off offset:256
	s_wait_loadcnt 0x0
	ds_store_b128 v160, v[1:4]
.LBB120_325:
	s_wait_alu 0xfffe
	s_or_b32 exec_lo, exec_lo, s0
	s_wait_storecnt_dscnt 0x0
	s_barrier_signal -1
	s_barrier_wait -1
	global_inv scope:SCOPE_SE
	s_clause 0x7
	scratch_load_b128 v[2:5], off, off offset:272
	scratch_load_b128 v[6:9], off, off offset:288
	scratch_load_b128 v[10:13], off, off offset:304
	scratch_load_b128 v[14:17], off, off offset:320
	scratch_load_b128 v[18:21], off, off offset:336
	scratch_load_b128 v[22:25], off, off offset:352
	scratch_load_b128 v[26:29], off, off offset:368
	scratch_load_b128 v[30:33], off, off offset:384
	v_mov_b32_e32 v1, 0
	s_mov_b32 s0, exec_lo
	ds_load_b128 v[38:41], v1 offset:1168
	s_clause 0x1
	scratch_load_b128 v[34:37], off, off offset:400
	scratch_load_b128 v[42:45], off, off offset:256
	ds_load_b128 v[161:164], v1 offset:1184
	scratch_load_b128 v[165:168], off, off offset:416
	s_wait_loadcnt_dscnt 0xa01
	v_mul_f64_e32 v[169:170], v[40:41], v[4:5]
	v_mul_f64_e32 v[4:5], v[38:39], v[4:5]
	s_delay_alu instid0(VALU_DEP_2) | instskip(NEXT) | instid1(VALU_DEP_2)
	v_fma_f64 v[175:176], v[38:39], v[2:3], -v[169:170]
	v_fma_f64 v[177:178], v[40:41], v[2:3], v[4:5]
	ds_load_b128 v[2:5], v1 offset:1200
	s_wait_loadcnt_dscnt 0x901
	v_mul_f64_e32 v[173:174], v[161:162], v[8:9]
	v_mul_f64_e32 v[8:9], v[163:164], v[8:9]
	scratch_load_b128 v[38:41], off, off offset:432
	ds_load_b128 v[169:172], v1 offset:1216
	s_wait_loadcnt_dscnt 0x901
	v_mul_f64_e32 v[179:180], v[2:3], v[12:13]
	v_mul_f64_e32 v[12:13], v[4:5], v[12:13]
	v_fma_f64 v[163:164], v[163:164], v[6:7], v[173:174]
	v_fma_f64 v[161:162], v[161:162], v[6:7], -v[8:9]
	v_add_f64_e32 v[173:174], 0, v[175:176]
	v_add_f64_e32 v[175:176], 0, v[177:178]
	scratch_load_b128 v[6:9], off, off offset:448
	v_fma_f64 v[179:180], v[4:5], v[10:11], v[179:180]
	v_fma_f64 v[181:182], v[2:3], v[10:11], -v[12:13]
	ds_load_b128 v[2:5], v1 offset:1232
	s_wait_loadcnt_dscnt 0x901
	v_mul_f64_e32 v[177:178], v[169:170], v[16:17]
	v_mul_f64_e32 v[16:17], v[171:172], v[16:17]
	scratch_load_b128 v[10:13], off, off offset:464
	v_add_f64_e32 v[173:174], v[173:174], v[161:162]
	v_add_f64_e32 v[175:176], v[175:176], v[163:164]
	s_wait_loadcnt_dscnt 0x900
	v_mul_f64_e32 v[183:184], v[2:3], v[20:21]
	v_mul_f64_e32 v[20:21], v[4:5], v[20:21]
	ds_load_b128 v[161:164], v1 offset:1248
	v_fma_f64 v[171:172], v[171:172], v[14:15], v[177:178]
	v_fma_f64 v[169:170], v[169:170], v[14:15], -v[16:17]
	scratch_load_b128 v[14:17], off, off offset:480
	v_add_f64_e32 v[173:174], v[173:174], v[181:182]
	v_add_f64_e32 v[175:176], v[175:176], v[179:180]
	v_fma_f64 v[179:180], v[4:5], v[18:19], v[183:184]
	v_fma_f64 v[181:182], v[2:3], v[18:19], -v[20:21]
	ds_load_b128 v[2:5], v1 offset:1264
	s_wait_loadcnt_dscnt 0x901
	v_mul_f64_e32 v[177:178], v[161:162], v[24:25]
	v_mul_f64_e32 v[24:25], v[163:164], v[24:25]
	scratch_load_b128 v[18:21], off, off offset:496
	s_wait_loadcnt_dscnt 0x900
	v_mul_f64_e32 v[183:184], v[2:3], v[28:29]
	v_mul_f64_e32 v[28:29], v[4:5], v[28:29]
	v_add_f64_e32 v[173:174], v[173:174], v[169:170]
	v_add_f64_e32 v[175:176], v[175:176], v[171:172]
	ds_load_b128 v[169:172], v1 offset:1280
	v_fma_f64 v[163:164], v[163:164], v[22:23], v[177:178]
	v_fma_f64 v[161:162], v[161:162], v[22:23], -v[24:25]
	scratch_load_b128 v[22:25], off, off offset:512
	v_add_f64_e32 v[173:174], v[173:174], v[181:182]
	v_add_f64_e32 v[175:176], v[175:176], v[179:180]
	v_fma_f64 v[179:180], v[4:5], v[26:27], v[183:184]
	v_fma_f64 v[181:182], v[2:3], v[26:27], -v[28:29]
	ds_load_b128 v[2:5], v1 offset:1296
	s_wait_loadcnt_dscnt 0x901
	v_mul_f64_e32 v[177:178], v[169:170], v[32:33]
	v_mul_f64_e32 v[32:33], v[171:172], v[32:33]
	scratch_load_b128 v[26:29], off, off offset:528
	s_wait_loadcnt_dscnt 0x900
	v_mul_f64_e32 v[183:184], v[2:3], v[36:37]
	v_mul_f64_e32 v[36:37], v[4:5], v[36:37]
	v_add_f64_e32 v[173:174], v[173:174], v[161:162]
	v_add_f64_e32 v[175:176], v[175:176], v[163:164]
	ds_load_b128 v[161:164], v1 offset:1312
	v_fma_f64 v[171:172], v[171:172], v[30:31], v[177:178]
	v_fma_f64 v[169:170], v[169:170], v[30:31], -v[32:33]
	scratch_load_b128 v[30:33], off, off offset:544
	v_add_f64_e32 v[173:174], v[173:174], v[181:182]
	v_add_f64_e32 v[175:176], v[175:176], v[179:180]
	v_fma_f64 v[181:182], v[4:5], v[34:35], v[183:184]
	v_fma_f64 v[183:184], v[2:3], v[34:35], -v[36:37]
	ds_load_b128 v[2:5], v1 offset:1328
	s_wait_loadcnt_dscnt 0x801
	v_mul_f64_e32 v[177:178], v[161:162], v[167:168]
	v_mul_f64_e32 v[179:180], v[163:164], v[167:168]
	scratch_load_b128 v[34:37], off, off offset:560
	v_add_f64_e32 v[173:174], v[173:174], v[169:170]
	v_add_f64_e32 v[171:172], v[175:176], v[171:172]
	ds_load_b128 v[167:170], v1 offset:1344
	v_fma_f64 v[177:178], v[163:164], v[165:166], v[177:178]
	v_fma_f64 v[165:166], v[161:162], v[165:166], -v[179:180]
	scratch_load_b128 v[161:164], off, off offset:576
	s_wait_loadcnt_dscnt 0x901
	v_mul_f64_e32 v[175:176], v[2:3], v[40:41]
	v_mul_f64_e32 v[40:41], v[4:5], v[40:41]
	v_add_f64_e32 v[173:174], v[173:174], v[183:184]
	v_add_f64_e32 v[171:172], v[171:172], v[181:182]
	s_delay_alu instid0(VALU_DEP_4) | instskip(NEXT) | instid1(VALU_DEP_4)
	v_fma_f64 v[175:176], v[4:5], v[38:39], v[175:176]
	v_fma_f64 v[181:182], v[2:3], v[38:39], -v[40:41]
	ds_load_b128 v[2:5], v1 offset:1360
	s_wait_loadcnt_dscnt 0x801
	v_mul_f64_e32 v[179:180], v[167:168], v[8:9]
	v_mul_f64_e32 v[8:9], v[169:170], v[8:9]
	scratch_load_b128 v[38:41], off, off offset:592
	s_wait_loadcnt_dscnt 0x800
	v_mul_f64_e32 v[183:184], v[2:3], v[12:13]
	v_add_f64_e32 v[165:166], v[173:174], v[165:166]
	v_add_f64_e32 v[177:178], v[171:172], v[177:178]
	v_mul_f64_e32 v[12:13], v[4:5], v[12:13]
	ds_load_b128 v[171:174], v1 offset:1376
	v_fma_f64 v[169:170], v[169:170], v[6:7], v[179:180]
	v_fma_f64 v[167:168], v[167:168], v[6:7], -v[8:9]
	scratch_load_b128 v[6:9], off, off offset:608
	v_fma_f64 v[179:180], v[4:5], v[10:11], v[183:184]
	v_add_f64_e32 v[165:166], v[165:166], v[181:182]
	v_add_f64_e32 v[175:176], v[177:178], v[175:176]
	v_fma_f64 v[181:182], v[2:3], v[10:11], -v[12:13]
	ds_load_b128 v[2:5], v1 offset:1392
	s_wait_loadcnt_dscnt 0x801
	v_mul_f64_e32 v[177:178], v[171:172], v[16:17]
	v_mul_f64_e32 v[16:17], v[173:174], v[16:17]
	scratch_load_b128 v[10:13], off, off offset:624
	v_add_f64_e32 v[183:184], v[165:166], v[167:168]
	v_add_f64_e32 v[169:170], v[175:176], v[169:170]
	s_wait_loadcnt_dscnt 0x800
	v_mul_f64_e32 v[175:176], v[2:3], v[20:21]
	v_mul_f64_e32 v[20:21], v[4:5], v[20:21]
	v_fma_f64 v[173:174], v[173:174], v[14:15], v[177:178]
	v_fma_f64 v[171:172], v[171:172], v[14:15], -v[16:17]
	ds_load_b128 v[165:168], v1 offset:1408
	scratch_load_b128 v[14:17], off, off offset:640
	v_add_f64_e32 v[177:178], v[183:184], v[181:182]
	v_add_f64_e32 v[169:170], v[169:170], v[179:180]
	v_fma_f64 v[175:176], v[4:5], v[18:19], v[175:176]
	v_fma_f64 v[181:182], v[2:3], v[18:19], -v[20:21]
	ds_load_b128 v[2:5], v1 offset:1424
	s_wait_loadcnt_dscnt 0x801
	v_mul_f64_e32 v[179:180], v[165:166], v[24:25]
	v_mul_f64_e32 v[24:25], v[167:168], v[24:25]
	scratch_load_b128 v[18:21], off, off offset:656
	s_wait_loadcnt_dscnt 0x800
	v_mul_f64_e32 v[183:184], v[2:3], v[28:29]
	v_mul_f64_e32 v[28:29], v[4:5], v[28:29]
	v_add_f64_e32 v[177:178], v[177:178], v[171:172]
	v_add_f64_e32 v[173:174], v[169:170], v[173:174]
	ds_load_b128 v[169:172], v1 offset:1440
	v_fma_f64 v[167:168], v[167:168], v[22:23], v[179:180]
	v_fma_f64 v[165:166], v[165:166], v[22:23], -v[24:25]
	scratch_load_b128 v[22:25], off, off offset:672
	v_fma_f64 v[179:180], v[4:5], v[26:27], v[183:184]
	v_add_f64_e32 v[177:178], v[177:178], v[181:182]
	v_add_f64_e32 v[173:174], v[173:174], v[175:176]
	v_fma_f64 v[181:182], v[2:3], v[26:27], -v[28:29]
	ds_load_b128 v[2:5], v1 offset:1456
	s_wait_loadcnt_dscnt 0x801
	v_mul_f64_e32 v[175:176], v[169:170], v[32:33]
	v_mul_f64_e32 v[32:33], v[171:172], v[32:33]
	scratch_load_b128 v[26:29], off, off offset:688
	s_wait_loadcnt_dscnt 0x800
	v_mul_f64_e32 v[183:184], v[2:3], v[36:37]
	v_mul_f64_e32 v[36:37], v[4:5], v[36:37]
	v_add_f64_e32 v[177:178], v[177:178], v[165:166]
	v_add_f64_e32 v[173:174], v[173:174], v[167:168]
	ds_load_b128 v[165:168], v1 offset:1472
	v_fma_f64 v[171:172], v[171:172], v[30:31], v[175:176]
	v_fma_f64 v[169:170], v[169:170], v[30:31], -v[32:33]
	scratch_load_b128 v[30:33], off, off offset:704
	v_add_f64_e32 v[175:176], v[177:178], v[181:182]
	v_add_f64_e32 v[173:174], v[173:174], v[179:180]
	v_fma_f64 v[179:180], v[4:5], v[34:35], v[183:184]
	v_fma_f64 v[181:182], v[2:3], v[34:35], -v[36:37]
	ds_load_b128 v[2:5], v1 offset:1488
	s_wait_loadcnt_dscnt 0x801
	v_mul_f64_e32 v[177:178], v[165:166], v[163:164]
	v_mul_f64_e32 v[163:164], v[167:168], v[163:164]
	scratch_load_b128 v[34:37], off, off offset:720
	s_wait_loadcnt_dscnt 0x800
	v_mul_f64_e32 v[183:184], v[2:3], v[40:41]
	v_mul_f64_e32 v[40:41], v[4:5], v[40:41]
	v_add_f64_e32 v[175:176], v[175:176], v[169:170]
	v_add_f64_e32 v[173:174], v[173:174], v[171:172]
	ds_load_b128 v[169:172], v1 offset:1504
	v_fma_f64 v[167:168], v[167:168], v[161:162], v[177:178]
	v_fma_f64 v[165:166], v[165:166], v[161:162], -v[163:164]
	scratch_load_b128 v[161:164], off, off offset:736
	v_add_f64_e32 v[175:176], v[175:176], v[181:182]
	v_add_f64_e32 v[173:174], v[173:174], v[179:180]
	v_fma_f64 v[179:180], v[4:5], v[38:39], v[183:184]
	;; [unrolled: 18-line block ×6, first 2 shown]
	v_fma_f64 v[183:184], v[2:3], v[34:35], -v[36:37]
	ds_load_b128 v[2:5], v1 offset:1648
	s_wait_loadcnt_dscnt 0x801
	v_mul_f64_e32 v[177:178], v[169:170], v[163:164]
	v_mul_f64_e32 v[179:180], v[171:172], v[163:164]
	scratch_load_b128 v[34:37], off, off offset:880
	v_add_f64_e32 v[175:176], v[175:176], v[165:166]
	v_add_f64_e32 v[167:168], v[173:174], v[167:168]
	s_wait_loadcnt_dscnt 0x800
	v_mul_f64_e32 v[173:174], v[2:3], v[40:41]
	v_mul_f64_e32 v[40:41], v[4:5], v[40:41]
	ds_load_b128 v[163:166], v1 offset:1664
	v_fma_f64 v[171:172], v[171:172], v[161:162], v[177:178]
	v_fma_f64 v[161:162], v[169:170], v[161:162], -v[179:180]
	v_add_f64_e32 v[175:176], v[175:176], v[183:184]
	v_add_f64_e32 v[177:178], v[167:168], v[181:182]
	scratch_load_b128 v[167:170], off, off offset:896
	v_fma_f64 v[181:182], v[4:5], v[38:39], v[173:174]
	v_fma_f64 v[183:184], v[2:3], v[38:39], -v[40:41]
	ds_load_b128 v[2:5], v1 offset:1680
	s_wait_loadcnt_dscnt 0x801
	v_mul_f64_e32 v[179:180], v[163:164], v[8:9]
	v_mul_f64_e32 v[8:9], v[165:166], v[8:9]
	scratch_load_b128 v[38:41], off, off offset:912
	v_add_f64_e32 v[161:162], v[175:176], v[161:162]
	v_add_f64_e32 v[175:176], v[177:178], v[171:172]
	s_wait_loadcnt_dscnt 0x800
	v_mul_f64_e32 v[177:178], v[2:3], v[12:13]
	v_mul_f64_e32 v[12:13], v[4:5], v[12:13]
	ds_load_b128 v[171:174], v1 offset:1696
	v_fma_f64 v[165:166], v[165:166], v[6:7], v[179:180]
	v_fma_f64 v[6:7], v[163:164], v[6:7], -v[8:9]
	s_wait_loadcnt_dscnt 0x700
	v_mul_f64_e32 v[163:164], v[171:172], v[16:17]
	v_mul_f64_e32 v[16:17], v[173:174], v[16:17]
	v_add_f64_e32 v[8:9], v[161:162], v[183:184]
	v_add_f64_e32 v[161:162], v[175:176], v[181:182]
	v_fma_f64 v[175:176], v[4:5], v[10:11], v[177:178]
	v_fma_f64 v[10:11], v[2:3], v[10:11], -v[12:13]
	v_fma_f64 v[163:164], v[173:174], v[14:15], v[163:164]
	v_fma_f64 v[14:15], v[171:172], v[14:15], -v[16:17]
	v_add_f64_e32 v[12:13], v[8:9], v[6:7]
	v_add_f64_e32 v[161:162], v[161:162], v[165:166]
	ds_load_b128 v[2:5], v1 offset:1712
	ds_load_b128 v[6:9], v1 offset:1728
	s_wait_loadcnt_dscnt 0x601
	v_mul_f64_e32 v[165:166], v[2:3], v[20:21]
	v_mul_f64_e32 v[20:21], v[4:5], v[20:21]
	s_wait_loadcnt_dscnt 0x500
	v_mul_f64_e32 v[16:17], v[6:7], v[24:25]
	v_mul_f64_e32 v[24:25], v[8:9], v[24:25]
	v_add_f64_e32 v[10:11], v[12:13], v[10:11]
	v_add_f64_e32 v[12:13], v[161:162], v[175:176]
	v_fma_f64 v[161:162], v[4:5], v[18:19], v[165:166]
	v_fma_f64 v[18:19], v[2:3], v[18:19], -v[20:21]
	v_fma_f64 v[8:9], v[8:9], v[22:23], v[16:17]
	v_fma_f64 v[6:7], v[6:7], v[22:23], -v[24:25]
	v_add_f64_e32 v[14:15], v[10:11], v[14:15]
	v_add_f64_e32 v[20:21], v[12:13], v[163:164]
	ds_load_b128 v[2:5], v1 offset:1744
	ds_load_b128 v[10:13], v1 offset:1760
	s_wait_loadcnt_dscnt 0x401
	v_mul_f64_e32 v[163:164], v[2:3], v[28:29]
	v_mul_f64_e32 v[28:29], v[4:5], v[28:29]
	v_add_f64_e32 v[14:15], v[14:15], v[18:19]
	v_add_f64_e32 v[16:17], v[20:21], v[161:162]
	s_wait_loadcnt_dscnt 0x300
	v_mul_f64_e32 v[18:19], v[10:11], v[32:33]
	v_mul_f64_e32 v[20:21], v[12:13], v[32:33]
	v_fma_f64 v[22:23], v[4:5], v[26:27], v[163:164]
	v_fma_f64 v[24:25], v[2:3], v[26:27], -v[28:29]
	v_add_f64_e32 v[14:15], v[14:15], v[6:7]
	v_add_f64_e32 v[16:17], v[16:17], v[8:9]
	ds_load_b128 v[2:5], v1 offset:1776
	ds_load_b128 v[6:9], v1 offset:1792
	v_fma_f64 v[12:13], v[12:13], v[30:31], v[18:19]
	v_fma_f64 v[10:11], v[10:11], v[30:31], -v[20:21]
	s_wait_loadcnt_dscnt 0x201
	v_mul_f64_e32 v[26:27], v[2:3], v[36:37]
	v_mul_f64_e32 v[28:29], v[4:5], v[36:37]
	v_add_f64_e32 v[14:15], v[14:15], v[24:25]
	v_add_f64_e32 v[16:17], v[16:17], v[22:23]
	s_wait_loadcnt_dscnt 0x100
	v_mul_f64_e32 v[18:19], v[6:7], v[169:170]
	v_mul_f64_e32 v[20:21], v[8:9], v[169:170]
	v_fma_f64 v[22:23], v[4:5], v[34:35], v[26:27]
	v_fma_f64 v[24:25], v[2:3], v[34:35], -v[28:29]
	ds_load_b128 v[2:5], v1 offset:1808
	v_add_f64_e32 v[10:11], v[14:15], v[10:11]
	v_add_f64_e32 v[12:13], v[16:17], v[12:13]
	s_wait_loadcnt_dscnt 0x0
	v_mul_f64_e32 v[14:15], v[2:3], v[40:41]
	v_mul_f64_e32 v[16:17], v[4:5], v[40:41]
	v_fma_f64 v[8:9], v[8:9], v[167:168], v[18:19]
	v_fma_f64 v[6:7], v[6:7], v[167:168], -v[20:21]
	v_add_f64_e32 v[10:11], v[10:11], v[24:25]
	v_add_f64_e32 v[12:13], v[12:13], v[22:23]
	v_fma_f64 v[4:5], v[4:5], v[38:39], v[14:15]
	v_fma_f64 v[2:3], v[2:3], v[38:39], -v[16:17]
	s_delay_alu instid0(VALU_DEP_4) | instskip(NEXT) | instid1(VALU_DEP_4)
	v_add_f64_e32 v[6:7], v[10:11], v[6:7]
	v_add_f64_e32 v[8:9], v[12:13], v[8:9]
	s_delay_alu instid0(VALU_DEP_2) | instskip(NEXT) | instid1(VALU_DEP_2)
	v_add_f64_e32 v[2:3], v[6:7], v[2:3]
	v_add_f64_e32 v[4:5], v[8:9], v[4:5]
	s_delay_alu instid0(VALU_DEP_2) | instskip(NEXT) | instid1(VALU_DEP_2)
	v_add_f64_e64 v[2:3], v[42:43], -v[2:3]
	v_add_f64_e64 v[4:5], v[44:45], -v[4:5]
	scratch_store_b128 off, v[2:5], off offset:256
	v_cmpx_lt_u32_e32 14, v0
	s_cbranch_execz .LBB120_327
; %bb.326:
	scratch_load_b128 v[5:8], off, s56
	v_dual_mov_b32 v2, v1 :: v_dual_mov_b32 v3, v1
	v_mov_b32_e32 v4, v1
	scratch_store_b128 off, v[1:4], off offset:240
	s_wait_loadcnt 0x0
	ds_store_b128 v160, v[5:8]
.LBB120_327:
	s_wait_alu 0xfffe
	s_or_b32 exec_lo, exec_lo, s0
	s_wait_storecnt_dscnt 0x0
	s_barrier_signal -1
	s_barrier_wait -1
	global_inv scope:SCOPE_SE
	s_clause 0x8
	scratch_load_b128 v[2:5], off, off offset:256
	scratch_load_b128 v[6:9], off, off offset:272
	;; [unrolled: 1-line block ×9, first 2 shown]
	ds_load_b128 v[42:45], v1 offset:1152
	ds_load_b128 v[38:41], v1 offset:1168
	s_clause 0x1
	scratch_load_b128 v[161:164], off, off offset:240
	scratch_load_b128 v[165:168], off, off offset:400
	s_mov_b32 s0, exec_lo
	s_wait_loadcnt_dscnt 0xa01
	v_mul_f64_e32 v[169:170], v[44:45], v[4:5]
	v_mul_f64_e32 v[4:5], v[42:43], v[4:5]
	s_wait_loadcnt_dscnt 0x900
	v_mul_f64_e32 v[173:174], v[38:39], v[8:9]
	v_mul_f64_e32 v[8:9], v[40:41], v[8:9]
	s_delay_alu instid0(VALU_DEP_4) | instskip(NEXT) | instid1(VALU_DEP_4)
	v_fma_f64 v[175:176], v[42:43], v[2:3], -v[169:170]
	v_fma_f64 v[177:178], v[44:45], v[2:3], v[4:5]
	ds_load_b128 v[2:5], v1 offset:1184
	ds_load_b128 v[169:172], v1 offset:1200
	scratch_load_b128 v[42:45], off, off offset:416
	v_fma_f64 v[40:41], v[40:41], v[6:7], v[173:174]
	v_fma_f64 v[38:39], v[38:39], v[6:7], -v[8:9]
	scratch_load_b128 v[6:9], off, off offset:432
	s_wait_loadcnt_dscnt 0xa01
	v_mul_f64_e32 v[179:180], v[2:3], v[12:13]
	v_mul_f64_e32 v[12:13], v[4:5], v[12:13]
	v_add_f64_e32 v[173:174], 0, v[175:176]
	v_add_f64_e32 v[175:176], 0, v[177:178]
	s_wait_loadcnt_dscnt 0x900
	v_mul_f64_e32 v[177:178], v[169:170], v[16:17]
	v_mul_f64_e32 v[16:17], v[171:172], v[16:17]
	v_fma_f64 v[179:180], v[4:5], v[10:11], v[179:180]
	v_fma_f64 v[181:182], v[2:3], v[10:11], -v[12:13]
	ds_load_b128 v[2:5], v1 offset:1216
	scratch_load_b128 v[10:13], off, off offset:448
	v_add_f64_e32 v[173:174], v[173:174], v[38:39]
	v_add_f64_e32 v[175:176], v[175:176], v[40:41]
	ds_load_b128 v[38:41], v1 offset:1232
	v_fma_f64 v[171:172], v[171:172], v[14:15], v[177:178]
	v_fma_f64 v[169:170], v[169:170], v[14:15], -v[16:17]
	scratch_load_b128 v[14:17], off, off offset:464
	s_wait_loadcnt_dscnt 0xa01
	v_mul_f64_e32 v[183:184], v[2:3], v[20:21]
	v_mul_f64_e32 v[20:21], v[4:5], v[20:21]
	s_wait_loadcnt_dscnt 0x900
	v_mul_f64_e32 v[177:178], v[38:39], v[24:25]
	v_mul_f64_e32 v[24:25], v[40:41], v[24:25]
	v_add_f64_e32 v[173:174], v[173:174], v[181:182]
	v_add_f64_e32 v[175:176], v[175:176], v[179:180]
	v_fma_f64 v[179:180], v[4:5], v[18:19], v[183:184]
	v_fma_f64 v[181:182], v[2:3], v[18:19], -v[20:21]
	ds_load_b128 v[2:5], v1 offset:1248
	scratch_load_b128 v[18:21], off, off offset:480
	v_fma_f64 v[40:41], v[40:41], v[22:23], v[177:178]
	v_fma_f64 v[38:39], v[38:39], v[22:23], -v[24:25]
	scratch_load_b128 v[22:25], off, off offset:496
	v_add_f64_e32 v[173:174], v[173:174], v[169:170]
	v_add_f64_e32 v[175:176], v[175:176], v[171:172]
	ds_load_b128 v[169:172], v1 offset:1264
	s_wait_loadcnt_dscnt 0xa01
	v_mul_f64_e32 v[183:184], v[2:3], v[28:29]
	v_mul_f64_e32 v[28:29], v[4:5], v[28:29]
	s_wait_loadcnt_dscnt 0x900
	v_mul_f64_e32 v[177:178], v[169:170], v[32:33]
	v_mul_f64_e32 v[32:33], v[171:172], v[32:33]
	v_add_f64_e32 v[173:174], v[173:174], v[181:182]
	v_add_f64_e32 v[175:176], v[175:176], v[179:180]
	v_fma_f64 v[179:180], v[4:5], v[26:27], v[183:184]
	v_fma_f64 v[181:182], v[2:3], v[26:27], -v[28:29]
	ds_load_b128 v[2:5], v1 offset:1280
	scratch_load_b128 v[26:29], off, off offset:512
	v_fma_f64 v[171:172], v[171:172], v[30:31], v[177:178]
	v_fma_f64 v[169:170], v[169:170], v[30:31], -v[32:33]
	scratch_load_b128 v[30:33], off, off offset:528
	v_add_f64_e32 v[173:174], v[173:174], v[38:39]
	v_add_f64_e32 v[175:176], v[175:176], v[40:41]
	ds_load_b128 v[38:41], v1 offset:1296
	s_wait_loadcnt_dscnt 0xa01
	v_mul_f64_e32 v[183:184], v[2:3], v[36:37]
	v_mul_f64_e32 v[36:37], v[4:5], v[36:37]
	s_wait_loadcnt_dscnt 0x800
	v_mul_f64_e32 v[177:178], v[38:39], v[167:168]
	v_add_f64_e32 v[173:174], v[173:174], v[181:182]
	v_add_f64_e32 v[175:176], v[175:176], v[179:180]
	v_mul_f64_e32 v[179:180], v[40:41], v[167:168]
	v_fma_f64 v[181:182], v[4:5], v[34:35], v[183:184]
	v_fma_f64 v[183:184], v[2:3], v[34:35], -v[36:37]
	ds_load_b128 v[2:5], v1 offset:1312
	scratch_load_b128 v[34:37], off, off offset:544
	v_fma_f64 v[177:178], v[40:41], v[165:166], v[177:178]
	v_add_f64_e32 v[173:174], v[173:174], v[169:170]
	v_add_f64_e32 v[171:172], v[175:176], v[171:172]
	ds_load_b128 v[167:170], v1 offset:1328
	v_fma_f64 v[165:166], v[38:39], v[165:166], -v[179:180]
	scratch_load_b128 v[38:41], off, off offset:560
	s_wait_loadcnt_dscnt 0x901
	v_mul_f64_e32 v[175:176], v[2:3], v[44:45]
	v_mul_f64_e32 v[44:45], v[4:5], v[44:45]
	s_wait_loadcnt_dscnt 0x800
	v_mul_f64_e32 v[179:180], v[167:168], v[8:9]
	v_mul_f64_e32 v[8:9], v[169:170], v[8:9]
	v_add_f64_e32 v[173:174], v[173:174], v[183:184]
	v_add_f64_e32 v[171:172], v[171:172], v[181:182]
	v_fma_f64 v[175:176], v[4:5], v[42:43], v[175:176]
	v_fma_f64 v[181:182], v[2:3], v[42:43], -v[44:45]
	ds_load_b128 v[2:5], v1 offset:1344
	scratch_load_b128 v[42:45], off, off offset:576
	v_fma_f64 v[169:170], v[169:170], v[6:7], v[179:180]
	v_fma_f64 v[167:168], v[167:168], v[6:7], -v[8:9]
	scratch_load_b128 v[6:9], off, off offset:592
	v_add_f64_e32 v[165:166], v[173:174], v[165:166]
	v_add_f64_e32 v[177:178], v[171:172], v[177:178]
	ds_load_b128 v[171:174], v1 offset:1360
	s_wait_loadcnt_dscnt 0x901
	v_mul_f64_e32 v[183:184], v[2:3], v[12:13]
	v_mul_f64_e32 v[12:13], v[4:5], v[12:13]
	v_add_f64_e32 v[165:166], v[165:166], v[181:182]
	v_add_f64_e32 v[175:176], v[177:178], v[175:176]
	s_wait_loadcnt_dscnt 0x800
	v_mul_f64_e32 v[177:178], v[171:172], v[16:17]
	v_mul_f64_e32 v[16:17], v[173:174], v[16:17]
	v_fma_f64 v[179:180], v[4:5], v[10:11], v[183:184]
	v_fma_f64 v[181:182], v[2:3], v[10:11], -v[12:13]
	ds_load_b128 v[2:5], v1 offset:1376
	scratch_load_b128 v[10:13], off, off offset:608
	v_add_f64_e32 v[183:184], v[165:166], v[167:168]
	v_add_f64_e32 v[169:170], v[175:176], v[169:170]
	ds_load_b128 v[165:168], v1 offset:1392
	s_wait_loadcnt_dscnt 0x801
	v_mul_f64_e32 v[175:176], v[2:3], v[20:21]
	v_mul_f64_e32 v[20:21], v[4:5], v[20:21]
	v_fma_f64 v[173:174], v[173:174], v[14:15], v[177:178]
	v_fma_f64 v[171:172], v[171:172], v[14:15], -v[16:17]
	scratch_load_b128 v[14:17], off, off offset:624
	v_add_f64_e32 v[177:178], v[183:184], v[181:182]
	v_add_f64_e32 v[169:170], v[169:170], v[179:180]
	s_wait_loadcnt_dscnt 0x800
	v_mul_f64_e32 v[179:180], v[165:166], v[24:25]
	v_mul_f64_e32 v[24:25], v[167:168], v[24:25]
	v_fma_f64 v[175:176], v[4:5], v[18:19], v[175:176]
	v_fma_f64 v[181:182], v[2:3], v[18:19], -v[20:21]
	ds_load_b128 v[2:5], v1 offset:1408
	scratch_load_b128 v[18:21], off, off offset:640
	v_add_f64_e32 v[177:178], v[177:178], v[171:172]
	v_add_f64_e32 v[173:174], v[169:170], v[173:174]
	ds_load_b128 v[169:172], v1 offset:1424
	s_wait_loadcnt_dscnt 0x801
	v_mul_f64_e32 v[183:184], v[2:3], v[28:29]
	v_mul_f64_e32 v[28:29], v[4:5], v[28:29]
	v_fma_f64 v[167:168], v[167:168], v[22:23], v[179:180]
	v_fma_f64 v[165:166], v[165:166], v[22:23], -v[24:25]
	scratch_load_b128 v[22:25], off, off offset:656
	;; [unrolled: 18-line block ×4, first 2 shown]
	s_wait_loadcnt_dscnt 0x800
	v_mul_f64_e32 v[177:178], v[169:170], v[8:9]
	v_mul_f64_e32 v[8:9], v[171:172], v[8:9]
	v_add_f64_e32 v[175:176], v[175:176], v[181:182]
	v_add_f64_e32 v[173:174], v[173:174], v[179:180]
	v_fma_f64 v[179:180], v[4:5], v[42:43], v[183:184]
	v_fma_f64 v[181:182], v[2:3], v[42:43], -v[44:45]
	ds_load_b128 v[2:5], v1 offset:1504
	scratch_load_b128 v[42:45], off, off offset:736
	v_fma_f64 v[171:172], v[171:172], v[6:7], v[177:178]
	v_fma_f64 v[169:170], v[169:170], v[6:7], -v[8:9]
	scratch_load_b128 v[6:9], off, off offset:752
	v_add_f64_e32 v[175:176], v[175:176], v[165:166]
	v_add_f64_e32 v[173:174], v[173:174], v[167:168]
	ds_load_b128 v[165:168], v1 offset:1520
	s_wait_loadcnt_dscnt 0x901
	v_mul_f64_e32 v[183:184], v[2:3], v[12:13]
	v_mul_f64_e32 v[12:13], v[4:5], v[12:13]
	s_wait_loadcnt_dscnt 0x800
	v_mul_f64_e32 v[177:178], v[165:166], v[16:17]
	v_mul_f64_e32 v[16:17], v[167:168], v[16:17]
	v_add_f64_e32 v[175:176], v[175:176], v[181:182]
	v_add_f64_e32 v[173:174], v[173:174], v[179:180]
	v_fma_f64 v[179:180], v[4:5], v[10:11], v[183:184]
	v_fma_f64 v[181:182], v[2:3], v[10:11], -v[12:13]
	ds_load_b128 v[2:5], v1 offset:1536
	scratch_load_b128 v[10:13], off, off offset:768
	v_fma_f64 v[167:168], v[167:168], v[14:15], v[177:178]
	v_fma_f64 v[165:166], v[165:166], v[14:15], -v[16:17]
	scratch_load_b128 v[14:17], off, off offset:784
	v_add_f64_e32 v[175:176], v[175:176], v[169:170]
	v_add_f64_e32 v[173:174], v[173:174], v[171:172]
	ds_load_b128 v[169:172], v1 offset:1552
	s_wait_loadcnt_dscnt 0x901
	v_mul_f64_e32 v[183:184], v[2:3], v[20:21]
	v_mul_f64_e32 v[20:21], v[4:5], v[20:21]
	;; [unrolled: 18-line block ×6, first 2 shown]
	s_wait_loadcnt_dscnt 0x800
	v_mul_f64_e32 v[177:178], v[169:170], v[16:17]
	v_mul_f64_e32 v[16:17], v[171:172], v[16:17]
	v_add_f64_e32 v[175:176], v[175:176], v[181:182]
	v_add_f64_e32 v[173:174], v[173:174], v[179:180]
	v_fma_f64 v[179:180], v[4:5], v[10:11], v[183:184]
	v_fma_f64 v[181:182], v[2:3], v[10:11], -v[12:13]
	ds_load_b128 v[2:5], v1 offset:1696
	ds_load_b128 v[10:13], v1 offset:1712
	v_fma_f64 v[171:172], v[171:172], v[14:15], v[177:178]
	v_fma_f64 v[14:15], v[169:170], v[14:15], -v[16:17]
	v_add_f64_e32 v[165:166], v[175:176], v[165:166]
	v_add_f64_e32 v[167:168], v[173:174], v[167:168]
	s_wait_loadcnt_dscnt 0x701
	v_mul_f64_e32 v[173:174], v[2:3], v[20:21]
	v_mul_f64_e32 v[20:21], v[4:5], v[20:21]
	s_delay_alu instid0(VALU_DEP_4) | instskip(NEXT) | instid1(VALU_DEP_4)
	v_add_f64_e32 v[16:17], v[165:166], v[181:182]
	v_add_f64_e32 v[165:166], v[167:168], v[179:180]
	s_wait_loadcnt_dscnt 0x600
	v_mul_f64_e32 v[167:168], v[10:11], v[24:25]
	v_mul_f64_e32 v[24:25], v[12:13], v[24:25]
	v_fma_f64 v[169:170], v[4:5], v[18:19], v[173:174]
	v_fma_f64 v[18:19], v[2:3], v[18:19], -v[20:21]
	v_add_f64_e32 v[20:21], v[16:17], v[14:15]
	v_add_f64_e32 v[165:166], v[165:166], v[171:172]
	ds_load_b128 v[2:5], v1 offset:1728
	ds_load_b128 v[14:17], v1 offset:1744
	v_fma_f64 v[12:13], v[12:13], v[22:23], v[167:168]
	v_fma_f64 v[10:11], v[10:11], v[22:23], -v[24:25]
	s_wait_loadcnt_dscnt 0x501
	v_mul_f64_e32 v[171:172], v[2:3], v[28:29]
	v_mul_f64_e32 v[28:29], v[4:5], v[28:29]
	s_wait_loadcnt_dscnt 0x400
	v_mul_f64_e32 v[22:23], v[14:15], v[32:33]
	v_mul_f64_e32 v[24:25], v[16:17], v[32:33]
	v_add_f64_e32 v[18:19], v[20:21], v[18:19]
	v_add_f64_e32 v[20:21], v[165:166], v[169:170]
	v_fma_f64 v[32:33], v[4:5], v[26:27], v[171:172]
	v_fma_f64 v[26:27], v[2:3], v[26:27], -v[28:29]
	v_fma_f64 v[16:17], v[16:17], v[30:31], v[22:23]
	v_fma_f64 v[14:15], v[14:15], v[30:31], -v[24:25]
	v_add_f64_e32 v[18:19], v[18:19], v[10:11]
	v_add_f64_e32 v[20:21], v[20:21], v[12:13]
	ds_load_b128 v[2:5], v1 offset:1760
	ds_load_b128 v[10:13], v1 offset:1776
	s_wait_loadcnt_dscnt 0x301
	v_mul_f64_e32 v[28:29], v[2:3], v[36:37]
	v_mul_f64_e32 v[36:37], v[4:5], v[36:37]
	s_wait_loadcnt_dscnt 0x200
	v_mul_f64_e32 v[22:23], v[10:11], v[40:41]
	v_mul_f64_e32 v[24:25], v[12:13], v[40:41]
	v_add_f64_e32 v[18:19], v[18:19], v[26:27]
	v_add_f64_e32 v[20:21], v[20:21], v[32:33]
	v_fma_f64 v[26:27], v[4:5], v[34:35], v[28:29]
	v_fma_f64 v[28:29], v[2:3], v[34:35], -v[36:37]
	v_fma_f64 v[12:13], v[12:13], v[38:39], v[22:23]
	v_fma_f64 v[10:11], v[10:11], v[38:39], -v[24:25]
	v_add_f64_e32 v[18:19], v[18:19], v[14:15]
	v_add_f64_e32 v[20:21], v[20:21], v[16:17]
	ds_load_b128 v[2:5], v1 offset:1792
	ds_load_b128 v[14:17], v1 offset:1808
	s_wait_loadcnt_dscnt 0x101
	v_mul_f64_e32 v[30:31], v[2:3], v[44:45]
	v_mul_f64_e32 v[32:33], v[4:5], v[44:45]
	s_wait_loadcnt_dscnt 0x0
	v_mul_f64_e32 v[22:23], v[14:15], v[8:9]
	v_mul_f64_e32 v[8:9], v[16:17], v[8:9]
	v_add_f64_e32 v[18:19], v[18:19], v[28:29]
	v_add_f64_e32 v[20:21], v[20:21], v[26:27]
	v_fma_f64 v[4:5], v[4:5], v[42:43], v[30:31]
	v_fma_f64 v[1:2], v[2:3], v[42:43], -v[32:33]
	v_fma_f64 v[16:17], v[16:17], v[6:7], v[22:23]
	v_fma_f64 v[6:7], v[14:15], v[6:7], -v[8:9]
	v_add_f64_e32 v[10:11], v[18:19], v[10:11]
	v_add_f64_e32 v[12:13], v[20:21], v[12:13]
	s_delay_alu instid0(VALU_DEP_2) | instskip(NEXT) | instid1(VALU_DEP_2)
	v_add_f64_e32 v[1:2], v[10:11], v[1:2]
	v_add_f64_e32 v[3:4], v[12:13], v[4:5]
	s_delay_alu instid0(VALU_DEP_2) | instskip(NEXT) | instid1(VALU_DEP_2)
	v_add_f64_e32 v[1:2], v[1:2], v[6:7]
	v_add_f64_e32 v[3:4], v[3:4], v[16:17]
	s_delay_alu instid0(VALU_DEP_2) | instskip(NEXT) | instid1(VALU_DEP_2)
	v_add_f64_e64 v[1:2], v[161:162], -v[1:2]
	v_add_f64_e64 v[3:4], v[163:164], -v[3:4]
	scratch_store_b128 off, v[1:4], off offset:240
	v_cmpx_lt_u32_e32 13, v0
	s_cbranch_execz .LBB120_329
; %bb.328:
	scratch_load_b128 v[1:4], off, s57
	v_mov_b32_e32 v5, 0
	s_delay_alu instid0(VALU_DEP_1)
	v_dual_mov_b32 v6, v5 :: v_dual_mov_b32 v7, v5
	v_mov_b32_e32 v8, v5
	scratch_store_b128 off, v[5:8], off offset:224
	s_wait_loadcnt 0x0
	ds_store_b128 v160, v[1:4]
.LBB120_329:
	s_wait_alu 0xfffe
	s_or_b32 exec_lo, exec_lo, s0
	s_wait_storecnt_dscnt 0x0
	s_barrier_signal -1
	s_barrier_wait -1
	global_inv scope:SCOPE_SE
	s_clause 0x7
	scratch_load_b128 v[2:5], off, off offset:240
	scratch_load_b128 v[6:9], off, off offset:256
	;; [unrolled: 1-line block ×8, first 2 shown]
	v_mov_b32_e32 v1, 0
	s_mov_b32 s0, exec_lo
	ds_load_b128 v[38:41], v1 offset:1136
	s_clause 0x1
	scratch_load_b128 v[34:37], off, off offset:368
	scratch_load_b128 v[42:45], off, off offset:224
	ds_load_b128 v[161:164], v1 offset:1152
	scratch_load_b128 v[165:168], off, off offset:384
	s_wait_loadcnt_dscnt 0xa01
	v_mul_f64_e32 v[169:170], v[40:41], v[4:5]
	v_mul_f64_e32 v[4:5], v[38:39], v[4:5]
	s_delay_alu instid0(VALU_DEP_2) | instskip(NEXT) | instid1(VALU_DEP_2)
	v_fma_f64 v[175:176], v[38:39], v[2:3], -v[169:170]
	v_fma_f64 v[177:178], v[40:41], v[2:3], v[4:5]
	ds_load_b128 v[2:5], v1 offset:1168
	s_wait_loadcnt_dscnt 0x901
	v_mul_f64_e32 v[173:174], v[161:162], v[8:9]
	v_mul_f64_e32 v[8:9], v[163:164], v[8:9]
	scratch_load_b128 v[38:41], off, off offset:400
	ds_load_b128 v[169:172], v1 offset:1184
	s_wait_loadcnt_dscnt 0x901
	v_mul_f64_e32 v[179:180], v[2:3], v[12:13]
	v_mul_f64_e32 v[12:13], v[4:5], v[12:13]
	v_fma_f64 v[163:164], v[163:164], v[6:7], v[173:174]
	v_fma_f64 v[161:162], v[161:162], v[6:7], -v[8:9]
	v_add_f64_e32 v[173:174], 0, v[175:176]
	v_add_f64_e32 v[175:176], 0, v[177:178]
	scratch_load_b128 v[6:9], off, off offset:416
	v_fma_f64 v[179:180], v[4:5], v[10:11], v[179:180]
	v_fma_f64 v[181:182], v[2:3], v[10:11], -v[12:13]
	ds_load_b128 v[2:5], v1 offset:1200
	s_wait_loadcnt_dscnt 0x901
	v_mul_f64_e32 v[177:178], v[169:170], v[16:17]
	v_mul_f64_e32 v[16:17], v[171:172], v[16:17]
	scratch_load_b128 v[10:13], off, off offset:432
	v_add_f64_e32 v[173:174], v[173:174], v[161:162]
	v_add_f64_e32 v[175:176], v[175:176], v[163:164]
	s_wait_loadcnt_dscnt 0x900
	v_mul_f64_e32 v[183:184], v[2:3], v[20:21]
	v_mul_f64_e32 v[20:21], v[4:5], v[20:21]
	ds_load_b128 v[161:164], v1 offset:1216
	v_fma_f64 v[171:172], v[171:172], v[14:15], v[177:178]
	v_fma_f64 v[169:170], v[169:170], v[14:15], -v[16:17]
	scratch_load_b128 v[14:17], off, off offset:448
	v_add_f64_e32 v[173:174], v[173:174], v[181:182]
	v_add_f64_e32 v[175:176], v[175:176], v[179:180]
	v_fma_f64 v[179:180], v[4:5], v[18:19], v[183:184]
	v_fma_f64 v[181:182], v[2:3], v[18:19], -v[20:21]
	ds_load_b128 v[2:5], v1 offset:1232
	s_wait_loadcnt_dscnt 0x901
	v_mul_f64_e32 v[177:178], v[161:162], v[24:25]
	v_mul_f64_e32 v[24:25], v[163:164], v[24:25]
	scratch_load_b128 v[18:21], off, off offset:464
	s_wait_loadcnt_dscnt 0x900
	v_mul_f64_e32 v[183:184], v[2:3], v[28:29]
	v_mul_f64_e32 v[28:29], v[4:5], v[28:29]
	v_add_f64_e32 v[173:174], v[173:174], v[169:170]
	v_add_f64_e32 v[175:176], v[175:176], v[171:172]
	ds_load_b128 v[169:172], v1 offset:1248
	v_fma_f64 v[163:164], v[163:164], v[22:23], v[177:178]
	v_fma_f64 v[161:162], v[161:162], v[22:23], -v[24:25]
	scratch_load_b128 v[22:25], off, off offset:480
	v_add_f64_e32 v[173:174], v[173:174], v[181:182]
	v_add_f64_e32 v[175:176], v[175:176], v[179:180]
	v_fma_f64 v[179:180], v[4:5], v[26:27], v[183:184]
	v_fma_f64 v[181:182], v[2:3], v[26:27], -v[28:29]
	ds_load_b128 v[2:5], v1 offset:1264
	s_wait_loadcnt_dscnt 0x901
	v_mul_f64_e32 v[177:178], v[169:170], v[32:33]
	v_mul_f64_e32 v[32:33], v[171:172], v[32:33]
	scratch_load_b128 v[26:29], off, off offset:496
	s_wait_loadcnt_dscnt 0x900
	v_mul_f64_e32 v[183:184], v[2:3], v[36:37]
	v_mul_f64_e32 v[36:37], v[4:5], v[36:37]
	v_add_f64_e32 v[173:174], v[173:174], v[161:162]
	v_add_f64_e32 v[175:176], v[175:176], v[163:164]
	ds_load_b128 v[161:164], v1 offset:1280
	v_fma_f64 v[171:172], v[171:172], v[30:31], v[177:178]
	v_fma_f64 v[169:170], v[169:170], v[30:31], -v[32:33]
	scratch_load_b128 v[30:33], off, off offset:512
	v_add_f64_e32 v[173:174], v[173:174], v[181:182]
	v_add_f64_e32 v[175:176], v[175:176], v[179:180]
	v_fma_f64 v[181:182], v[4:5], v[34:35], v[183:184]
	v_fma_f64 v[183:184], v[2:3], v[34:35], -v[36:37]
	ds_load_b128 v[2:5], v1 offset:1296
	s_wait_loadcnt_dscnt 0x801
	v_mul_f64_e32 v[177:178], v[161:162], v[167:168]
	v_mul_f64_e32 v[179:180], v[163:164], v[167:168]
	scratch_load_b128 v[34:37], off, off offset:528
	v_add_f64_e32 v[173:174], v[173:174], v[169:170]
	v_add_f64_e32 v[171:172], v[175:176], v[171:172]
	ds_load_b128 v[167:170], v1 offset:1312
	v_fma_f64 v[177:178], v[163:164], v[165:166], v[177:178]
	v_fma_f64 v[165:166], v[161:162], v[165:166], -v[179:180]
	scratch_load_b128 v[161:164], off, off offset:544
	s_wait_loadcnt_dscnt 0x901
	v_mul_f64_e32 v[175:176], v[2:3], v[40:41]
	v_mul_f64_e32 v[40:41], v[4:5], v[40:41]
	v_add_f64_e32 v[173:174], v[173:174], v[183:184]
	v_add_f64_e32 v[171:172], v[171:172], v[181:182]
	s_delay_alu instid0(VALU_DEP_4) | instskip(NEXT) | instid1(VALU_DEP_4)
	v_fma_f64 v[175:176], v[4:5], v[38:39], v[175:176]
	v_fma_f64 v[181:182], v[2:3], v[38:39], -v[40:41]
	ds_load_b128 v[2:5], v1 offset:1328
	s_wait_loadcnt_dscnt 0x801
	v_mul_f64_e32 v[179:180], v[167:168], v[8:9]
	v_mul_f64_e32 v[8:9], v[169:170], v[8:9]
	scratch_load_b128 v[38:41], off, off offset:560
	s_wait_loadcnt_dscnt 0x800
	v_mul_f64_e32 v[183:184], v[2:3], v[12:13]
	v_add_f64_e32 v[165:166], v[173:174], v[165:166]
	v_add_f64_e32 v[177:178], v[171:172], v[177:178]
	v_mul_f64_e32 v[12:13], v[4:5], v[12:13]
	ds_load_b128 v[171:174], v1 offset:1344
	v_fma_f64 v[169:170], v[169:170], v[6:7], v[179:180]
	v_fma_f64 v[167:168], v[167:168], v[6:7], -v[8:9]
	scratch_load_b128 v[6:9], off, off offset:576
	v_fma_f64 v[179:180], v[4:5], v[10:11], v[183:184]
	v_add_f64_e32 v[165:166], v[165:166], v[181:182]
	v_add_f64_e32 v[175:176], v[177:178], v[175:176]
	v_fma_f64 v[181:182], v[2:3], v[10:11], -v[12:13]
	ds_load_b128 v[2:5], v1 offset:1360
	s_wait_loadcnt_dscnt 0x801
	v_mul_f64_e32 v[177:178], v[171:172], v[16:17]
	v_mul_f64_e32 v[16:17], v[173:174], v[16:17]
	scratch_load_b128 v[10:13], off, off offset:592
	v_add_f64_e32 v[183:184], v[165:166], v[167:168]
	v_add_f64_e32 v[169:170], v[175:176], v[169:170]
	s_wait_loadcnt_dscnt 0x800
	v_mul_f64_e32 v[175:176], v[2:3], v[20:21]
	v_mul_f64_e32 v[20:21], v[4:5], v[20:21]
	v_fma_f64 v[173:174], v[173:174], v[14:15], v[177:178]
	v_fma_f64 v[171:172], v[171:172], v[14:15], -v[16:17]
	ds_load_b128 v[165:168], v1 offset:1376
	scratch_load_b128 v[14:17], off, off offset:608
	v_add_f64_e32 v[177:178], v[183:184], v[181:182]
	v_add_f64_e32 v[169:170], v[169:170], v[179:180]
	v_fma_f64 v[175:176], v[4:5], v[18:19], v[175:176]
	v_fma_f64 v[181:182], v[2:3], v[18:19], -v[20:21]
	ds_load_b128 v[2:5], v1 offset:1392
	s_wait_loadcnt_dscnt 0x801
	v_mul_f64_e32 v[179:180], v[165:166], v[24:25]
	v_mul_f64_e32 v[24:25], v[167:168], v[24:25]
	scratch_load_b128 v[18:21], off, off offset:624
	s_wait_loadcnt_dscnt 0x800
	v_mul_f64_e32 v[183:184], v[2:3], v[28:29]
	v_mul_f64_e32 v[28:29], v[4:5], v[28:29]
	v_add_f64_e32 v[177:178], v[177:178], v[171:172]
	v_add_f64_e32 v[173:174], v[169:170], v[173:174]
	ds_load_b128 v[169:172], v1 offset:1408
	v_fma_f64 v[167:168], v[167:168], v[22:23], v[179:180]
	v_fma_f64 v[165:166], v[165:166], v[22:23], -v[24:25]
	scratch_load_b128 v[22:25], off, off offset:640
	v_fma_f64 v[179:180], v[4:5], v[26:27], v[183:184]
	v_add_f64_e32 v[177:178], v[177:178], v[181:182]
	v_add_f64_e32 v[173:174], v[173:174], v[175:176]
	v_fma_f64 v[181:182], v[2:3], v[26:27], -v[28:29]
	ds_load_b128 v[2:5], v1 offset:1424
	s_wait_loadcnt_dscnt 0x801
	v_mul_f64_e32 v[175:176], v[169:170], v[32:33]
	v_mul_f64_e32 v[32:33], v[171:172], v[32:33]
	scratch_load_b128 v[26:29], off, off offset:656
	s_wait_loadcnt_dscnt 0x800
	v_mul_f64_e32 v[183:184], v[2:3], v[36:37]
	v_mul_f64_e32 v[36:37], v[4:5], v[36:37]
	v_add_f64_e32 v[177:178], v[177:178], v[165:166]
	v_add_f64_e32 v[173:174], v[173:174], v[167:168]
	ds_load_b128 v[165:168], v1 offset:1440
	v_fma_f64 v[171:172], v[171:172], v[30:31], v[175:176]
	v_fma_f64 v[169:170], v[169:170], v[30:31], -v[32:33]
	scratch_load_b128 v[30:33], off, off offset:672
	v_add_f64_e32 v[175:176], v[177:178], v[181:182]
	v_add_f64_e32 v[173:174], v[173:174], v[179:180]
	v_fma_f64 v[179:180], v[4:5], v[34:35], v[183:184]
	v_fma_f64 v[181:182], v[2:3], v[34:35], -v[36:37]
	ds_load_b128 v[2:5], v1 offset:1456
	s_wait_loadcnt_dscnt 0x801
	v_mul_f64_e32 v[177:178], v[165:166], v[163:164]
	v_mul_f64_e32 v[163:164], v[167:168], v[163:164]
	scratch_load_b128 v[34:37], off, off offset:688
	s_wait_loadcnt_dscnt 0x800
	v_mul_f64_e32 v[183:184], v[2:3], v[40:41]
	v_mul_f64_e32 v[40:41], v[4:5], v[40:41]
	v_add_f64_e32 v[175:176], v[175:176], v[169:170]
	v_add_f64_e32 v[173:174], v[173:174], v[171:172]
	ds_load_b128 v[169:172], v1 offset:1472
	v_fma_f64 v[167:168], v[167:168], v[161:162], v[177:178]
	v_fma_f64 v[165:166], v[165:166], v[161:162], -v[163:164]
	scratch_load_b128 v[161:164], off, off offset:704
	v_add_f64_e32 v[175:176], v[175:176], v[181:182]
	v_add_f64_e32 v[173:174], v[173:174], v[179:180]
	v_fma_f64 v[179:180], v[4:5], v[38:39], v[183:184]
	;; [unrolled: 18-line block ×6, first 2 shown]
	v_fma_f64 v[183:184], v[2:3], v[34:35], -v[36:37]
	ds_load_b128 v[2:5], v1 offset:1616
	s_wait_loadcnt_dscnt 0x801
	v_mul_f64_e32 v[177:178], v[169:170], v[163:164]
	v_mul_f64_e32 v[179:180], v[171:172], v[163:164]
	scratch_load_b128 v[34:37], off, off offset:848
	v_add_f64_e32 v[175:176], v[175:176], v[165:166]
	v_add_f64_e32 v[167:168], v[173:174], v[167:168]
	s_wait_loadcnt_dscnt 0x800
	v_mul_f64_e32 v[173:174], v[2:3], v[40:41]
	v_mul_f64_e32 v[40:41], v[4:5], v[40:41]
	ds_load_b128 v[163:166], v1 offset:1632
	v_fma_f64 v[171:172], v[171:172], v[161:162], v[177:178]
	v_fma_f64 v[161:162], v[169:170], v[161:162], -v[179:180]
	v_add_f64_e32 v[175:176], v[175:176], v[183:184]
	v_add_f64_e32 v[177:178], v[167:168], v[181:182]
	scratch_load_b128 v[167:170], off, off offset:864
	v_fma_f64 v[181:182], v[4:5], v[38:39], v[173:174]
	v_fma_f64 v[183:184], v[2:3], v[38:39], -v[40:41]
	ds_load_b128 v[2:5], v1 offset:1648
	s_wait_loadcnt_dscnt 0x801
	v_mul_f64_e32 v[179:180], v[163:164], v[8:9]
	v_mul_f64_e32 v[8:9], v[165:166], v[8:9]
	scratch_load_b128 v[38:41], off, off offset:880
	v_add_f64_e32 v[161:162], v[175:176], v[161:162]
	v_add_f64_e32 v[175:176], v[177:178], v[171:172]
	s_wait_loadcnt_dscnt 0x800
	v_mul_f64_e32 v[177:178], v[2:3], v[12:13]
	v_mul_f64_e32 v[12:13], v[4:5], v[12:13]
	ds_load_b128 v[171:174], v1 offset:1664
	v_fma_f64 v[165:166], v[165:166], v[6:7], v[179:180]
	v_fma_f64 v[163:164], v[163:164], v[6:7], -v[8:9]
	scratch_load_b128 v[6:9], off, off offset:896
	v_add_f64_e32 v[161:162], v[161:162], v[183:184]
	v_add_f64_e32 v[175:176], v[175:176], v[181:182]
	v_fma_f64 v[177:178], v[4:5], v[10:11], v[177:178]
	v_fma_f64 v[181:182], v[2:3], v[10:11], -v[12:13]
	ds_load_b128 v[2:5], v1 offset:1680
	s_wait_loadcnt_dscnt 0x801
	v_mul_f64_e32 v[179:180], v[171:172], v[16:17]
	v_mul_f64_e32 v[16:17], v[173:174], v[16:17]
	scratch_load_b128 v[10:13], off, off offset:912
	v_add_f64_e32 v[183:184], v[161:162], v[163:164]
	v_add_f64_e32 v[165:166], v[175:176], v[165:166]
	s_wait_loadcnt_dscnt 0x800
	v_mul_f64_e32 v[175:176], v[2:3], v[20:21]
	v_mul_f64_e32 v[20:21], v[4:5], v[20:21]
	ds_load_b128 v[161:164], v1 offset:1696
	v_fma_f64 v[173:174], v[173:174], v[14:15], v[179:180]
	v_fma_f64 v[14:15], v[171:172], v[14:15], -v[16:17]
	s_wait_loadcnt_dscnt 0x700
	v_mul_f64_e32 v[171:172], v[161:162], v[24:25]
	v_mul_f64_e32 v[24:25], v[163:164], v[24:25]
	v_add_f64_e32 v[16:17], v[183:184], v[181:182]
	v_add_f64_e32 v[165:166], v[165:166], v[177:178]
	v_fma_f64 v[175:176], v[4:5], v[18:19], v[175:176]
	v_fma_f64 v[18:19], v[2:3], v[18:19], -v[20:21]
	v_fma_f64 v[163:164], v[163:164], v[22:23], v[171:172]
	v_fma_f64 v[22:23], v[161:162], v[22:23], -v[24:25]
	v_add_f64_e32 v[20:21], v[16:17], v[14:15]
	v_add_f64_e32 v[165:166], v[165:166], v[173:174]
	ds_load_b128 v[2:5], v1 offset:1712
	ds_load_b128 v[14:17], v1 offset:1728
	s_wait_loadcnt_dscnt 0x601
	v_mul_f64_e32 v[173:174], v[2:3], v[28:29]
	v_mul_f64_e32 v[28:29], v[4:5], v[28:29]
	s_wait_loadcnt_dscnt 0x500
	v_mul_f64_e32 v[24:25], v[14:15], v[32:33]
	v_mul_f64_e32 v[32:33], v[16:17], v[32:33]
	v_add_f64_e32 v[18:19], v[20:21], v[18:19]
	v_add_f64_e32 v[20:21], v[165:166], v[175:176]
	v_fma_f64 v[161:162], v[4:5], v[26:27], v[173:174]
	v_fma_f64 v[26:27], v[2:3], v[26:27], -v[28:29]
	v_fma_f64 v[16:17], v[16:17], v[30:31], v[24:25]
	v_fma_f64 v[14:15], v[14:15], v[30:31], -v[32:33]
	v_add_f64_e32 v[22:23], v[18:19], v[22:23]
	v_add_f64_e32 v[28:29], v[20:21], v[163:164]
	ds_load_b128 v[2:5], v1 offset:1744
	ds_load_b128 v[18:21], v1 offset:1760
	s_wait_loadcnt_dscnt 0x401
	v_mul_f64_e32 v[163:164], v[2:3], v[36:37]
	v_mul_f64_e32 v[36:37], v[4:5], v[36:37]
	v_add_f64_e32 v[22:23], v[22:23], v[26:27]
	v_add_f64_e32 v[24:25], v[28:29], v[161:162]
	s_wait_loadcnt_dscnt 0x300
	v_mul_f64_e32 v[26:27], v[18:19], v[169:170]
	v_mul_f64_e32 v[28:29], v[20:21], v[169:170]
	v_fma_f64 v[30:31], v[4:5], v[34:35], v[163:164]
	v_fma_f64 v[32:33], v[2:3], v[34:35], -v[36:37]
	v_add_f64_e32 v[22:23], v[22:23], v[14:15]
	v_add_f64_e32 v[24:25], v[24:25], v[16:17]
	ds_load_b128 v[2:5], v1 offset:1776
	ds_load_b128 v[14:17], v1 offset:1792
	v_fma_f64 v[20:21], v[20:21], v[167:168], v[26:27]
	v_fma_f64 v[18:19], v[18:19], v[167:168], -v[28:29]
	s_wait_loadcnt_dscnt 0x201
	v_mul_f64_e32 v[34:35], v[2:3], v[40:41]
	v_mul_f64_e32 v[36:37], v[4:5], v[40:41]
	s_wait_loadcnt_dscnt 0x100
	v_mul_f64_e32 v[26:27], v[14:15], v[8:9]
	v_mul_f64_e32 v[8:9], v[16:17], v[8:9]
	v_add_f64_e32 v[22:23], v[22:23], v[32:33]
	v_add_f64_e32 v[24:25], v[24:25], v[30:31]
	v_fma_f64 v[28:29], v[4:5], v[38:39], v[34:35]
	v_fma_f64 v[30:31], v[2:3], v[38:39], -v[36:37]
	ds_load_b128 v[2:5], v1 offset:1808
	v_fma_f64 v[16:17], v[16:17], v[6:7], v[26:27]
	v_fma_f64 v[6:7], v[14:15], v[6:7], -v[8:9]
	v_add_f64_e32 v[18:19], v[22:23], v[18:19]
	v_add_f64_e32 v[20:21], v[24:25], v[20:21]
	s_wait_loadcnt_dscnt 0x0
	v_mul_f64_e32 v[22:23], v[2:3], v[12:13]
	v_mul_f64_e32 v[12:13], v[4:5], v[12:13]
	s_delay_alu instid0(VALU_DEP_4) | instskip(NEXT) | instid1(VALU_DEP_4)
	v_add_f64_e32 v[8:9], v[18:19], v[30:31]
	v_add_f64_e32 v[14:15], v[20:21], v[28:29]
	s_delay_alu instid0(VALU_DEP_4) | instskip(NEXT) | instid1(VALU_DEP_4)
	v_fma_f64 v[4:5], v[4:5], v[10:11], v[22:23]
	v_fma_f64 v[2:3], v[2:3], v[10:11], -v[12:13]
	s_delay_alu instid0(VALU_DEP_4) | instskip(NEXT) | instid1(VALU_DEP_4)
	v_add_f64_e32 v[6:7], v[8:9], v[6:7]
	v_add_f64_e32 v[8:9], v[14:15], v[16:17]
	s_delay_alu instid0(VALU_DEP_2) | instskip(NEXT) | instid1(VALU_DEP_2)
	v_add_f64_e32 v[2:3], v[6:7], v[2:3]
	v_add_f64_e32 v[4:5], v[8:9], v[4:5]
	s_delay_alu instid0(VALU_DEP_2) | instskip(NEXT) | instid1(VALU_DEP_2)
	v_add_f64_e64 v[2:3], v[42:43], -v[2:3]
	v_add_f64_e64 v[4:5], v[44:45], -v[4:5]
	scratch_store_b128 off, v[2:5], off offset:224
	v_cmpx_lt_u32_e32 12, v0
	s_cbranch_execz .LBB120_331
; %bb.330:
	scratch_load_b128 v[5:8], off, s58
	v_dual_mov_b32 v2, v1 :: v_dual_mov_b32 v3, v1
	v_mov_b32_e32 v4, v1
	scratch_store_b128 off, v[1:4], off offset:208
	s_wait_loadcnt 0x0
	ds_store_b128 v160, v[5:8]
.LBB120_331:
	s_wait_alu 0xfffe
	s_or_b32 exec_lo, exec_lo, s0
	s_wait_storecnt_dscnt 0x0
	s_barrier_signal -1
	s_barrier_wait -1
	global_inv scope:SCOPE_SE
	s_clause 0x8
	scratch_load_b128 v[2:5], off, off offset:224
	scratch_load_b128 v[6:9], off, off offset:240
	;; [unrolled: 1-line block ×9, first 2 shown]
	ds_load_b128 v[42:45], v1 offset:1120
	ds_load_b128 v[38:41], v1 offset:1136
	s_clause 0x1
	scratch_load_b128 v[161:164], off, off offset:208
	scratch_load_b128 v[165:168], off, off offset:368
	s_mov_b32 s0, exec_lo
	s_wait_loadcnt_dscnt 0xa01
	v_mul_f64_e32 v[169:170], v[44:45], v[4:5]
	v_mul_f64_e32 v[4:5], v[42:43], v[4:5]
	s_wait_loadcnt_dscnt 0x900
	v_mul_f64_e32 v[173:174], v[38:39], v[8:9]
	v_mul_f64_e32 v[8:9], v[40:41], v[8:9]
	s_delay_alu instid0(VALU_DEP_4) | instskip(NEXT) | instid1(VALU_DEP_4)
	v_fma_f64 v[175:176], v[42:43], v[2:3], -v[169:170]
	v_fma_f64 v[177:178], v[44:45], v[2:3], v[4:5]
	ds_load_b128 v[2:5], v1 offset:1152
	ds_load_b128 v[169:172], v1 offset:1168
	scratch_load_b128 v[42:45], off, off offset:384
	v_fma_f64 v[40:41], v[40:41], v[6:7], v[173:174]
	v_fma_f64 v[38:39], v[38:39], v[6:7], -v[8:9]
	scratch_load_b128 v[6:9], off, off offset:400
	s_wait_loadcnt_dscnt 0xa01
	v_mul_f64_e32 v[179:180], v[2:3], v[12:13]
	v_mul_f64_e32 v[12:13], v[4:5], v[12:13]
	v_add_f64_e32 v[173:174], 0, v[175:176]
	v_add_f64_e32 v[175:176], 0, v[177:178]
	s_wait_loadcnt_dscnt 0x900
	v_mul_f64_e32 v[177:178], v[169:170], v[16:17]
	v_mul_f64_e32 v[16:17], v[171:172], v[16:17]
	v_fma_f64 v[179:180], v[4:5], v[10:11], v[179:180]
	v_fma_f64 v[181:182], v[2:3], v[10:11], -v[12:13]
	ds_load_b128 v[2:5], v1 offset:1184
	scratch_load_b128 v[10:13], off, off offset:416
	v_add_f64_e32 v[173:174], v[173:174], v[38:39]
	v_add_f64_e32 v[175:176], v[175:176], v[40:41]
	ds_load_b128 v[38:41], v1 offset:1200
	v_fma_f64 v[171:172], v[171:172], v[14:15], v[177:178]
	v_fma_f64 v[169:170], v[169:170], v[14:15], -v[16:17]
	scratch_load_b128 v[14:17], off, off offset:432
	s_wait_loadcnt_dscnt 0xa01
	v_mul_f64_e32 v[183:184], v[2:3], v[20:21]
	v_mul_f64_e32 v[20:21], v[4:5], v[20:21]
	s_wait_loadcnt_dscnt 0x900
	v_mul_f64_e32 v[177:178], v[38:39], v[24:25]
	v_mul_f64_e32 v[24:25], v[40:41], v[24:25]
	v_add_f64_e32 v[173:174], v[173:174], v[181:182]
	v_add_f64_e32 v[175:176], v[175:176], v[179:180]
	v_fma_f64 v[179:180], v[4:5], v[18:19], v[183:184]
	v_fma_f64 v[181:182], v[2:3], v[18:19], -v[20:21]
	ds_load_b128 v[2:5], v1 offset:1216
	scratch_load_b128 v[18:21], off, off offset:448
	v_fma_f64 v[40:41], v[40:41], v[22:23], v[177:178]
	v_fma_f64 v[38:39], v[38:39], v[22:23], -v[24:25]
	scratch_load_b128 v[22:25], off, off offset:464
	v_add_f64_e32 v[173:174], v[173:174], v[169:170]
	v_add_f64_e32 v[175:176], v[175:176], v[171:172]
	ds_load_b128 v[169:172], v1 offset:1232
	s_wait_loadcnt_dscnt 0xa01
	v_mul_f64_e32 v[183:184], v[2:3], v[28:29]
	v_mul_f64_e32 v[28:29], v[4:5], v[28:29]
	s_wait_loadcnt_dscnt 0x900
	v_mul_f64_e32 v[177:178], v[169:170], v[32:33]
	v_mul_f64_e32 v[32:33], v[171:172], v[32:33]
	v_add_f64_e32 v[173:174], v[173:174], v[181:182]
	v_add_f64_e32 v[175:176], v[175:176], v[179:180]
	v_fma_f64 v[179:180], v[4:5], v[26:27], v[183:184]
	v_fma_f64 v[181:182], v[2:3], v[26:27], -v[28:29]
	ds_load_b128 v[2:5], v1 offset:1248
	scratch_load_b128 v[26:29], off, off offset:480
	v_fma_f64 v[171:172], v[171:172], v[30:31], v[177:178]
	v_fma_f64 v[169:170], v[169:170], v[30:31], -v[32:33]
	scratch_load_b128 v[30:33], off, off offset:496
	v_add_f64_e32 v[173:174], v[173:174], v[38:39]
	v_add_f64_e32 v[175:176], v[175:176], v[40:41]
	ds_load_b128 v[38:41], v1 offset:1264
	s_wait_loadcnt_dscnt 0xa01
	v_mul_f64_e32 v[183:184], v[2:3], v[36:37]
	v_mul_f64_e32 v[36:37], v[4:5], v[36:37]
	s_wait_loadcnt_dscnt 0x800
	v_mul_f64_e32 v[177:178], v[38:39], v[167:168]
	v_add_f64_e32 v[173:174], v[173:174], v[181:182]
	v_add_f64_e32 v[175:176], v[175:176], v[179:180]
	v_mul_f64_e32 v[179:180], v[40:41], v[167:168]
	v_fma_f64 v[181:182], v[4:5], v[34:35], v[183:184]
	v_fma_f64 v[183:184], v[2:3], v[34:35], -v[36:37]
	ds_load_b128 v[2:5], v1 offset:1280
	scratch_load_b128 v[34:37], off, off offset:512
	v_fma_f64 v[177:178], v[40:41], v[165:166], v[177:178]
	v_add_f64_e32 v[173:174], v[173:174], v[169:170]
	v_add_f64_e32 v[171:172], v[175:176], v[171:172]
	ds_load_b128 v[167:170], v1 offset:1296
	v_fma_f64 v[165:166], v[38:39], v[165:166], -v[179:180]
	scratch_load_b128 v[38:41], off, off offset:528
	s_wait_loadcnt_dscnt 0x901
	v_mul_f64_e32 v[175:176], v[2:3], v[44:45]
	v_mul_f64_e32 v[44:45], v[4:5], v[44:45]
	s_wait_loadcnt_dscnt 0x800
	v_mul_f64_e32 v[179:180], v[167:168], v[8:9]
	v_mul_f64_e32 v[8:9], v[169:170], v[8:9]
	v_add_f64_e32 v[173:174], v[173:174], v[183:184]
	v_add_f64_e32 v[171:172], v[171:172], v[181:182]
	v_fma_f64 v[175:176], v[4:5], v[42:43], v[175:176]
	v_fma_f64 v[181:182], v[2:3], v[42:43], -v[44:45]
	ds_load_b128 v[2:5], v1 offset:1312
	scratch_load_b128 v[42:45], off, off offset:544
	v_fma_f64 v[169:170], v[169:170], v[6:7], v[179:180]
	v_fma_f64 v[167:168], v[167:168], v[6:7], -v[8:9]
	scratch_load_b128 v[6:9], off, off offset:560
	v_add_f64_e32 v[165:166], v[173:174], v[165:166]
	v_add_f64_e32 v[177:178], v[171:172], v[177:178]
	ds_load_b128 v[171:174], v1 offset:1328
	s_wait_loadcnt_dscnt 0x901
	v_mul_f64_e32 v[183:184], v[2:3], v[12:13]
	v_mul_f64_e32 v[12:13], v[4:5], v[12:13]
	v_add_f64_e32 v[165:166], v[165:166], v[181:182]
	v_add_f64_e32 v[175:176], v[177:178], v[175:176]
	s_wait_loadcnt_dscnt 0x800
	v_mul_f64_e32 v[177:178], v[171:172], v[16:17]
	v_mul_f64_e32 v[16:17], v[173:174], v[16:17]
	v_fma_f64 v[179:180], v[4:5], v[10:11], v[183:184]
	v_fma_f64 v[181:182], v[2:3], v[10:11], -v[12:13]
	ds_load_b128 v[2:5], v1 offset:1344
	scratch_load_b128 v[10:13], off, off offset:576
	v_add_f64_e32 v[183:184], v[165:166], v[167:168]
	v_add_f64_e32 v[169:170], v[175:176], v[169:170]
	ds_load_b128 v[165:168], v1 offset:1360
	s_wait_loadcnt_dscnt 0x801
	v_mul_f64_e32 v[175:176], v[2:3], v[20:21]
	v_mul_f64_e32 v[20:21], v[4:5], v[20:21]
	v_fma_f64 v[173:174], v[173:174], v[14:15], v[177:178]
	v_fma_f64 v[171:172], v[171:172], v[14:15], -v[16:17]
	scratch_load_b128 v[14:17], off, off offset:592
	v_add_f64_e32 v[177:178], v[183:184], v[181:182]
	v_add_f64_e32 v[169:170], v[169:170], v[179:180]
	s_wait_loadcnt_dscnt 0x800
	v_mul_f64_e32 v[179:180], v[165:166], v[24:25]
	v_mul_f64_e32 v[24:25], v[167:168], v[24:25]
	v_fma_f64 v[175:176], v[4:5], v[18:19], v[175:176]
	v_fma_f64 v[181:182], v[2:3], v[18:19], -v[20:21]
	ds_load_b128 v[2:5], v1 offset:1376
	scratch_load_b128 v[18:21], off, off offset:608
	v_add_f64_e32 v[177:178], v[177:178], v[171:172]
	v_add_f64_e32 v[173:174], v[169:170], v[173:174]
	ds_load_b128 v[169:172], v1 offset:1392
	s_wait_loadcnt_dscnt 0x801
	v_mul_f64_e32 v[183:184], v[2:3], v[28:29]
	v_mul_f64_e32 v[28:29], v[4:5], v[28:29]
	v_fma_f64 v[167:168], v[167:168], v[22:23], v[179:180]
	v_fma_f64 v[165:166], v[165:166], v[22:23], -v[24:25]
	scratch_load_b128 v[22:25], off, off offset:624
	;; [unrolled: 18-line block ×4, first 2 shown]
	s_wait_loadcnt_dscnt 0x800
	v_mul_f64_e32 v[177:178], v[169:170], v[8:9]
	v_mul_f64_e32 v[8:9], v[171:172], v[8:9]
	v_add_f64_e32 v[175:176], v[175:176], v[181:182]
	v_add_f64_e32 v[173:174], v[173:174], v[179:180]
	v_fma_f64 v[179:180], v[4:5], v[42:43], v[183:184]
	v_fma_f64 v[181:182], v[2:3], v[42:43], -v[44:45]
	ds_load_b128 v[2:5], v1 offset:1472
	scratch_load_b128 v[42:45], off, off offset:704
	v_fma_f64 v[171:172], v[171:172], v[6:7], v[177:178]
	v_fma_f64 v[169:170], v[169:170], v[6:7], -v[8:9]
	scratch_load_b128 v[6:9], off, off offset:720
	v_add_f64_e32 v[175:176], v[175:176], v[165:166]
	v_add_f64_e32 v[173:174], v[173:174], v[167:168]
	ds_load_b128 v[165:168], v1 offset:1488
	s_wait_loadcnt_dscnt 0x901
	v_mul_f64_e32 v[183:184], v[2:3], v[12:13]
	v_mul_f64_e32 v[12:13], v[4:5], v[12:13]
	s_wait_loadcnt_dscnt 0x800
	v_mul_f64_e32 v[177:178], v[165:166], v[16:17]
	v_mul_f64_e32 v[16:17], v[167:168], v[16:17]
	v_add_f64_e32 v[175:176], v[175:176], v[181:182]
	v_add_f64_e32 v[173:174], v[173:174], v[179:180]
	v_fma_f64 v[179:180], v[4:5], v[10:11], v[183:184]
	v_fma_f64 v[181:182], v[2:3], v[10:11], -v[12:13]
	ds_load_b128 v[2:5], v1 offset:1504
	scratch_load_b128 v[10:13], off, off offset:736
	v_fma_f64 v[167:168], v[167:168], v[14:15], v[177:178]
	v_fma_f64 v[165:166], v[165:166], v[14:15], -v[16:17]
	scratch_load_b128 v[14:17], off, off offset:752
	v_add_f64_e32 v[175:176], v[175:176], v[169:170]
	v_add_f64_e32 v[173:174], v[173:174], v[171:172]
	ds_load_b128 v[169:172], v1 offset:1520
	s_wait_loadcnt_dscnt 0x901
	v_mul_f64_e32 v[183:184], v[2:3], v[20:21]
	v_mul_f64_e32 v[20:21], v[4:5], v[20:21]
	;; [unrolled: 18-line block ×7, first 2 shown]
	s_wait_loadcnt_dscnt 0x800
	v_mul_f64_e32 v[177:178], v[165:166], v[24:25]
	v_mul_f64_e32 v[24:25], v[167:168], v[24:25]
	v_add_f64_e32 v[175:176], v[175:176], v[181:182]
	v_add_f64_e32 v[173:174], v[173:174], v[179:180]
	v_fma_f64 v[179:180], v[4:5], v[18:19], v[183:184]
	v_fma_f64 v[181:182], v[2:3], v[18:19], -v[20:21]
	ds_load_b128 v[2:5], v1 offset:1696
	ds_load_b128 v[18:21], v1 offset:1712
	v_fma_f64 v[167:168], v[167:168], v[22:23], v[177:178]
	v_fma_f64 v[22:23], v[165:166], v[22:23], -v[24:25]
	v_add_f64_e32 v[169:170], v[175:176], v[169:170]
	v_add_f64_e32 v[171:172], v[173:174], v[171:172]
	s_wait_loadcnt_dscnt 0x701
	v_mul_f64_e32 v[173:174], v[2:3], v[28:29]
	v_mul_f64_e32 v[28:29], v[4:5], v[28:29]
	s_delay_alu instid0(VALU_DEP_4) | instskip(NEXT) | instid1(VALU_DEP_4)
	v_add_f64_e32 v[24:25], v[169:170], v[181:182]
	v_add_f64_e32 v[165:166], v[171:172], v[179:180]
	s_wait_loadcnt_dscnt 0x600
	v_mul_f64_e32 v[169:170], v[18:19], v[32:33]
	v_mul_f64_e32 v[32:33], v[20:21], v[32:33]
	v_fma_f64 v[171:172], v[4:5], v[26:27], v[173:174]
	v_fma_f64 v[26:27], v[2:3], v[26:27], -v[28:29]
	v_add_f64_e32 v[28:29], v[24:25], v[22:23]
	v_add_f64_e32 v[165:166], v[165:166], v[167:168]
	ds_load_b128 v[2:5], v1 offset:1728
	ds_load_b128 v[22:25], v1 offset:1744
	v_fma_f64 v[20:21], v[20:21], v[30:31], v[169:170]
	v_fma_f64 v[18:19], v[18:19], v[30:31], -v[32:33]
	s_wait_loadcnt_dscnt 0x501
	v_mul_f64_e32 v[167:168], v[2:3], v[36:37]
	v_mul_f64_e32 v[36:37], v[4:5], v[36:37]
	s_wait_loadcnt_dscnt 0x400
	v_mul_f64_e32 v[30:31], v[22:23], v[40:41]
	v_mul_f64_e32 v[32:33], v[24:25], v[40:41]
	v_add_f64_e32 v[26:27], v[28:29], v[26:27]
	v_add_f64_e32 v[28:29], v[165:166], v[171:172]
	v_fma_f64 v[40:41], v[4:5], v[34:35], v[167:168]
	v_fma_f64 v[34:35], v[2:3], v[34:35], -v[36:37]
	v_fma_f64 v[24:25], v[24:25], v[38:39], v[30:31]
	v_fma_f64 v[22:23], v[22:23], v[38:39], -v[32:33]
	v_add_f64_e32 v[26:27], v[26:27], v[18:19]
	v_add_f64_e32 v[28:29], v[28:29], v[20:21]
	ds_load_b128 v[2:5], v1 offset:1760
	ds_load_b128 v[18:21], v1 offset:1776
	s_wait_loadcnt_dscnt 0x301
	v_mul_f64_e32 v[36:37], v[2:3], v[44:45]
	v_mul_f64_e32 v[44:45], v[4:5], v[44:45]
	s_wait_loadcnt_dscnt 0x200
	v_mul_f64_e32 v[30:31], v[18:19], v[8:9]
	v_mul_f64_e32 v[8:9], v[20:21], v[8:9]
	v_add_f64_e32 v[26:27], v[26:27], v[34:35]
	v_add_f64_e32 v[28:29], v[28:29], v[40:41]
	v_fma_f64 v[32:33], v[4:5], v[42:43], v[36:37]
	v_fma_f64 v[34:35], v[2:3], v[42:43], -v[44:45]
	v_fma_f64 v[20:21], v[20:21], v[6:7], v[30:31]
	v_fma_f64 v[6:7], v[18:19], v[6:7], -v[8:9]
	v_add_f64_e32 v[26:27], v[26:27], v[22:23]
	v_add_f64_e32 v[28:29], v[28:29], v[24:25]
	ds_load_b128 v[2:5], v1 offset:1792
	ds_load_b128 v[22:25], v1 offset:1808
	s_wait_loadcnt_dscnt 0x101
	v_mul_f64_e32 v[36:37], v[2:3], v[12:13]
	v_mul_f64_e32 v[12:13], v[4:5], v[12:13]
	v_add_f64_e32 v[8:9], v[26:27], v[34:35]
	v_add_f64_e32 v[18:19], v[28:29], v[32:33]
	s_wait_loadcnt_dscnt 0x0
	v_mul_f64_e32 v[26:27], v[22:23], v[16:17]
	v_mul_f64_e32 v[16:17], v[24:25], v[16:17]
	v_fma_f64 v[4:5], v[4:5], v[10:11], v[36:37]
	v_fma_f64 v[1:2], v[2:3], v[10:11], -v[12:13]
	v_add_f64_e32 v[6:7], v[8:9], v[6:7]
	v_add_f64_e32 v[8:9], v[18:19], v[20:21]
	v_fma_f64 v[10:11], v[24:25], v[14:15], v[26:27]
	v_fma_f64 v[12:13], v[22:23], v[14:15], -v[16:17]
	s_delay_alu instid0(VALU_DEP_4) | instskip(NEXT) | instid1(VALU_DEP_4)
	v_add_f64_e32 v[1:2], v[6:7], v[1:2]
	v_add_f64_e32 v[3:4], v[8:9], v[4:5]
	s_delay_alu instid0(VALU_DEP_2) | instskip(NEXT) | instid1(VALU_DEP_2)
	v_add_f64_e32 v[1:2], v[1:2], v[12:13]
	v_add_f64_e32 v[3:4], v[3:4], v[10:11]
	s_delay_alu instid0(VALU_DEP_2) | instskip(NEXT) | instid1(VALU_DEP_2)
	v_add_f64_e64 v[1:2], v[161:162], -v[1:2]
	v_add_f64_e64 v[3:4], v[163:164], -v[3:4]
	scratch_store_b128 off, v[1:4], off offset:208
	v_cmpx_lt_u32_e32 11, v0
	s_cbranch_execz .LBB120_333
; %bb.332:
	scratch_load_b128 v[1:4], off, s59
	v_mov_b32_e32 v5, 0
	s_delay_alu instid0(VALU_DEP_1)
	v_dual_mov_b32 v6, v5 :: v_dual_mov_b32 v7, v5
	v_mov_b32_e32 v8, v5
	scratch_store_b128 off, v[5:8], off offset:192
	s_wait_loadcnt 0x0
	ds_store_b128 v160, v[1:4]
.LBB120_333:
	s_wait_alu 0xfffe
	s_or_b32 exec_lo, exec_lo, s0
	s_wait_storecnt_dscnt 0x0
	s_barrier_signal -1
	s_barrier_wait -1
	global_inv scope:SCOPE_SE
	s_clause 0x7
	scratch_load_b128 v[2:5], off, off offset:208
	scratch_load_b128 v[6:9], off, off offset:224
	;; [unrolled: 1-line block ×8, first 2 shown]
	v_mov_b32_e32 v1, 0
	s_mov_b32 s0, exec_lo
	ds_load_b128 v[38:41], v1 offset:1104
	s_clause 0x1
	scratch_load_b128 v[34:37], off, off offset:336
	scratch_load_b128 v[42:45], off, off offset:192
	ds_load_b128 v[161:164], v1 offset:1120
	scratch_load_b128 v[165:168], off, off offset:352
	s_wait_loadcnt_dscnt 0xa01
	v_mul_f64_e32 v[169:170], v[40:41], v[4:5]
	v_mul_f64_e32 v[4:5], v[38:39], v[4:5]
	s_delay_alu instid0(VALU_DEP_2) | instskip(NEXT) | instid1(VALU_DEP_2)
	v_fma_f64 v[175:176], v[38:39], v[2:3], -v[169:170]
	v_fma_f64 v[177:178], v[40:41], v[2:3], v[4:5]
	ds_load_b128 v[2:5], v1 offset:1136
	s_wait_loadcnt_dscnt 0x901
	v_mul_f64_e32 v[173:174], v[161:162], v[8:9]
	v_mul_f64_e32 v[8:9], v[163:164], v[8:9]
	scratch_load_b128 v[38:41], off, off offset:368
	ds_load_b128 v[169:172], v1 offset:1152
	s_wait_loadcnt_dscnt 0x901
	v_mul_f64_e32 v[179:180], v[2:3], v[12:13]
	v_mul_f64_e32 v[12:13], v[4:5], v[12:13]
	v_fma_f64 v[163:164], v[163:164], v[6:7], v[173:174]
	v_fma_f64 v[161:162], v[161:162], v[6:7], -v[8:9]
	v_add_f64_e32 v[173:174], 0, v[175:176]
	v_add_f64_e32 v[175:176], 0, v[177:178]
	scratch_load_b128 v[6:9], off, off offset:384
	v_fma_f64 v[179:180], v[4:5], v[10:11], v[179:180]
	v_fma_f64 v[181:182], v[2:3], v[10:11], -v[12:13]
	ds_load_b128 v[2:5], v1 offset:1168
	s_wait_loadcnt_dscnt 0x901
	v_mul_f64_e32 v[177:178], v[169:170], v[16:17]
	v_mul_f64_e32 v[16:17], v[171:172], v[16:17]
	scratch_load_b128 v[10:13], off, off offset:400
	v_add_f64_e32 v[173:174], v[173:174], v[161:162]
	v_add_f64_e32 v[175:176], v[175:176], v[163:164]
	s_wait_loadcnt_dscnt 0x900
	v_mul_f64_e32 v[183:184], v[2:3], v[20:21]
	v_mul_f64_e32 v[20:21], v[4:5], v[20:21]
	ds_load_b128 v[161:164], v1 offset:1184
	v_fma_f64 v[171:172], v[171:172], v[14:15], v[177:178]
	v_fma_f64 v[169:170], v[169:170], v[14:15], -v[16:17]
	scratch_load_b128 v[14:17], off, off offset:416
	v_add_f64_e32 v[173:174], v[173:174], v[181:182]
	v_add_f64_e32 v[175:176], v[175:176], v[179:180]
	v_fma_f64 v[179:180], v[4:5], v[18:19], v[183:184]
	v_fma_f64 v[181:182], v[2:3], v[18:19], -v[20:21]
	ds_load_b128 v[2:5], v1 offset:1200
	s_wait_loadcnt_dscnt 0x901
	v_mul_f64_e32 v[177:178], v[161:162], v[24:25]
	v_mul_f64_e32 v[24:25], v[163:164], v[24:25]
	scratch_load_b128 v[18:21], off, off offset:432
	s_wait_loadcnt_dscnt 0x900
	v_mul_f64_e32 v[183:184], v[2:3], v[28:29]
	v_mul_f64_e32 v[28:29], v[4:5], v[28:29]
	v_add_f64_e32 v[173:174], v[173:174], v[169:170]
	v_add_f64_e32 v[175:176], v[175:176], v[171:172]
	ds_load_b128 v[169:172], v1 offset:1216
	v_fma_f64 v[163:164], v[163:164], v[22:23], v[177:178]
	v_fma_f64 v[161:162], v[161:162], v[22:23], -v[24:25]
	scratch_load_b128 v[22:25], off, off offset:448
	v_add_f64_e32 v[173:174], v[173:174], v[181:182]
	v_add_f64_e32 v[175:176], v[175:176], v[179:180]
	v_fma_f64 v[179:180], v[4:5], v[26:27], v[183:184]
	v_fma_f64 v[181:182], v[2:3], v[26:27], -v[28:29]
	ds_load_b128 v[2:5], v1 offset:1232
	s_wait_loadcnt_dscnt 0x901
	v_mul_f64_e32 v[177:178], v[169:170], v[32:33]
	v_mul_f64_e32 v[32:33], v[171:172], v[32:33]
	scratch_load_b128 v[26:29], off, off offset:464
	s_wait_loadcnt_dscnt 0x900
	v_mul_f64_e32 v[183:184], v[2:3], v[36:37]
	v_mul_f64_e32 v[36:37], v[4:5], v[36:37]
	v_add_f64_e32 v[173:174], v[173:174], v[161:162]
	v_add_f64_e32 v[175:176], v[175:176], v[163:164]
	ds_load_b128 v[161:164], v1 offset:1248
	v_fma_f64 v[171:172], v[171:172], v[30:31], v[177:178]
	v_fma_f64 v[169:170], v[169:170], v[30:31], -v[32:33]
	scratch_load_b128 v[30:33], off, off offset:480
	v_add_f64_e32 v[173:174], v[173:174], v[181:182]
	v_add_f64_e32 v[175:176], v[175:176], v[179:180]
	v_fma_f64 v[181:182], v[4:5], v[34:35], v[183:184]
	v_fma_f64 v[183:184], v[2:3], v[34:35], -v[36:37]
	ds_load_b128 v[2:5], v1 offset:1264
	s_wait_loadcnt_dscnt 0x801
	v_mul_f64_e32 v[177:178], v[161:162], v[167:168]
	v_mul_f64_e32 v[179:180], v[163:164], v[167:168]
	scratch_load_b128 v[34:37], off, off offset:496
	v_add_f64_e32 v[173:174], v[173:174], v[169:170]
	v_add_f64_e32 v[171:172], v[175:176], v[171:172]
	ds_load_b128 v[167:170], v1 offset:1280
	v_fma_f64 v[177:178], v[163:164], v[165:166], v[177:178]
	v_fma_f64 v[165:166], v[161:162], v[165:166], -v[179:180]
	scratch_load_b128 v[161:164], off, off offset:512
	s_wait_loadcnt_dscnt 0x901
	v_mul_f64_e32 v[175:176], v[2:3], v[40:41]
	v_mul_f64_e32 v[40:41], v[4:5], v[40:41]
	v_add_f64_e32 v[173:174], v[173:174], v[183:184]
	v_add_f64_e32 v[171:172], v[171:172], v[181:182]
	s_delay_alu instid0(VALU_DEP_4) | instskip(NEXT) | instid1(VALU_DEP_4)
	v_fma_f64 v[175:176], v[4:5], v[38:39], v[175:176]
	v_fma_f64 v[181:182], v[2:3], v[38:39], -v[40:41]
	ds_load_b128 v[2:5], v1 offset:1296
	s_wait_loadcnt_dscnt 0x801
	v_mul_f64_e32 v[179:180], v[167:168], v[8:9]
	v_mul_f64_e32 v[8:9], v[169:170], v[8:9]
	scratch_load_b128 v[38:41], off, off offset:528
	s_wait_loadcnt_dscnt 0x800
	v_mul_f64_e32 v[183:184], v[2:3], v[12:13]
	v_add_f64_e32 v[165:166], v[173:174], v[165:166]
	v_add_f64_e32 v[177:178], v[171:172], v[177:178]
	v_mul_f64_e32 v[12:13], v[4:5], v[12:13]
	ds_load_b128 v[171:174], v1 offset:1312
	v_fma_f64 v[169:170], v[169:170], v[6:7], v[179:180]
	v_fma_f64 v[167:168], v[167:168], v[6:7], -v[8:9]
	scratch_load_b128 v[6:9], off, off offset:544
	v_fma_f64 v[179:180], v[4:5], v[10:11], v[183:184]
	v_add_f64_e32 v[165:166], v[165:166], v[181:182]
	v_add_f64_e32 v[175:176], v[177:178], v[175:176]
	v_fma_f64 v[181:182], v[2:3], v[10:11], -v[12:13]
	ds_load_b128 v[2:5], v1 offset:1328
	s_wait_loadcnt_dscnt 0x801
	v_mul_f64_e32 v[177:178], v[171:172], v[16:17]
	v_mul_f64_e32 v[16:17], v[173:174], v[16:17]
	scratch_load_b128 v[10:13], off, off offset:560
	v_add_f64_e32 v[183:184], v[165:166], v[167:168]
	v_add_f64_e32 v[169:170], v[175:176], v[169:170]
	s_wait_loadcnt_dscnt 0x800
	v_mul_f64_e32 v[175:176], v[2:3], v[20:21]
	v_mul_f64_e32 v[20:21], v[4:5], v[20:21]
	v_fma_f64 v[173:174], v[173:174], v[14:15], v[177:178]
	v_fma_f64 v[171:172], v[171:172], v[14:15], -v[16:17]
	ds_load_b128 v[165:168], v1 offset:1344
	scratch_load_b128 v[14:17], off, off offset:576
	v_add_f64_e32 v[177:178], v[183:184], v[181:182]
	v_add_f64_e32 v[169:170], v[169:170], v[179:180]
	v_fma_f64 v[175:176], v[4:5], v[18:19], v[175:176]
	v_fma_f64 v[181:182], v[2:3], v[18:19], -v[20:21]
	ds_load_b128 v[2:5], v1 offset:1360
	s_wait_loadcnt_dscnt 0x801
	v_mul_f64_e32 v[179:180], v[165:166], v[24:25]
	v_mul_f64_e32 v[24:25], v[167:168], v[24:25]
	scratch_load_b128 v[18:21], off, off offset:592
	s_wait_loadcnt_dscnt 0x800
	v_mul_f64_e32 v[183:184], v[2:3], v[28:29]
	v_mul_f64_e32 v[28:29], v[4:5], v[28:29]
	v_add_f64_e32 v[177:178], v[177:178], v[171:172]
	v_add_f64_e32 v[173:174], v[169:170], v[173:174]
	ds_load_b128 v[169:172], v1 offset:1376
	v_fma_f64 v[167:168], v[167:168], v[22:23], v[179:180]
	v_fma_f64 v[165:166], v[165:166], v[22:23], -v[24:25]
	scratch_load_b128 v[22:25], off, off offset:608
	v_fma_f64 v[179:180], v[4:5], v[26:27], v[183:184]
	v_add_f64_e32 v[177:178], v[177:178], v[181:182]
	v_add_f64_e32 v[173:174], v[173:174], v[175:176]
	v_fma_f64 v[181:182], v[2:3], v[26:27], -v[28:29]
	ds_load_b128 v[2:5], v1 offset:1392
	s_wait_loadcnt_dscnt 0x801
	v_mul_f64_e32 v[175:176], v[169:170], v[32:33]
	v_mul_f64_e32 v[32:33], v[171:172], v[32:33]
	scratch_load_b128 v[26:29], off, off offset:624
	s_wait_loadcnt_dscnt 0x800
	v_mul_f64_e32 v[183:184], v[2:3], v[36:37]
	v_mul_f64_e32 v[36:37], v[4:5], v[36:37]
	v_add_f64_e32 v[177:178], v[177:178], v[165:166]
	v_add_f64_e32 v[173:174], v[173:174], v[167:168]
	ds_load_b128 v[165:168], v1 offset:1408
	v_fma_f64 v[171:172], v[171:172], v[30:31], v[175:176]
	v_fma_f64 v[169:170], v[169:170], v[30:31], -v[32:33]
	scratch_load_b128 v[30:33], off, off offset:640
	v_add_f64_e32 v[175:176], v[177:178], v[181:182]
	v_add_f64_e32 v[173:174], v[173:174], v[179:180]
	v_fma_f64 v[179:180], v[4:5], v[34:35], v[183:184]
	v_fma_f64 v[181:182], v[2:3], v[34:35], -v[36:37]
	ds_load_b128 v[2:5], v1 offset:1424
	s_wait_loadcnt_dscnt 0x801
	v_mul_f64_e32 v[177:178], v[165:166], v[163:164]
	v_mul_f64_e32 v[163:164], v[167:168], v[163:164]
	scratch_load_b128 v[34:37], off, off offset:656
	s_wait_loadcnt_dscnt 0x800
	v_mul_f64_e32 v[183:184], v[2:3], v[40:41]
	v_mul_f64_e32 v[40:41], v[4:5], v[40:41]
	v_add_f64_e32 v[175:176], v[175:176], v[169:170]
	v_add_f64_e32 v[173:174], v[173:174], v[171:172]
	ds_load_b128 v[169:172], v1 offset:1440
	v_fma_f64 v[167:168], v[167:168], v[161:162], v[177:178]
	v_fma_f64 v[165:166], v[165:166], v[161:162], -v[163:164]
	scratch_load_b128 v[161:164], off, off offset:672
	v_add_f64_e32 v[175:176], v[175:176], v[181:182]
	v_add_f64_e32 v[173:174], v[173:174], v[179:180]
	v_fma_f64 v[179:180], v[4:5], v[38:39], v[183:184]
	;; [unrolled: 18-line block ×6, first 2 shown]
	v_fma_f64 v[183:184], v[2:3], v[34:35], -v[36:37]
	ds_load_b128 v[2:5], v1 offset:1584
	s_wait_loadcnt_dscnt 0x801
	v_mul_f64_e32 v[177:178], v[169:170], v[163:164]
	v_mul_f64_e32 v[179:180], v[171:172], v[163:164]
	scratch_load_b128 v[34:37], off, off offset:816
	v_add_f64_e32 v[175:176], v[175:176], v[165:166]
	v_add_f64_e32 v[167:168], v[173:174], v[167:168]
	s_wait_loadcnt_dscnt 0x800
	v_mul_f64_e32 v[173:174], v[2:3], v[40:41]
	v_mul_f64_e32 v[40:41], v[4:5], v[40:41]
	ds_load_b128 v[163:166], v1 offset:1600
	v_fma_f64 v[171:172], v[171:172], v[161:162], v[177:178]
	v_fma_f64 v[161:162], v[169:170], v[161:162], -v[179:180]
	v_add_f64_e32 v[175:176], v[175:176], v[183:184]
	v_add_f64_e32 v[177:178], v[167:168], v[181:182]
	scratch_load_b128 v[167:170], off, off offset:832
	v_fma_f64 v[181:182], v[4:5], v[38:39], v[173:174]
	v_fma_f64 v[183:184], v[2:3], v[38:39], -v[40:41]
	ds_load_b128 v[2:5], v1 offset:1616
	s_wait_loadcnt_dscnt 0x801
	v_mul_f64_e32 v[179:180], v[163:164], v[8:9]
	v_mul_f64_e32 v[8:9], v[165:166], v[8:9]
	scratch_load_b128 v[38:41], off, off offset:848
	v_add_f64_e32 v[161:162], v[175:176], v[161:162]
	v_add_f64_e32 v[175:176], v[177:178], v[171:172]
	s_wait_loadcnt_dscnt 0x800
	v_mul_f64_e32 v[177:178], v[2:3], v[12:13]
	v_mul_f64_e32 v[12:13], v[4:5], v[12:13]
	ds_load_b128 v[171:174], v1 offset:1632
	v_fma_f64 v[165:166], v[165:166], v[6:7], v[179:180]
	v_fma_f64 v[163:164], v[163:164], v[6:7], -v[8:9]
	scratch_load_b128 v[6:9], off, off offset:864
	v_add_f64_e32 v[161:162], v[161:162], v[183:184]
	v_add_f64_e32 v[175:176], v[175:176], v[181:182]
	v_fma_f64 v[177:178], v[4:5], v[10:11], v[177:178]
	v_fma_f64 v[181:182], v[2:3], v[10:11], -v[12:13]
	ds_load_b128 v[2:5], v1 offset:1648
	s_wait_loadcnt_dscnt 0x801
	v_mul_f64_e32 v[179:180], v[171:172], v[16:17]
	v_mul_f64_e32 v[16:17], v[173:174], v[16:17]
	scratch_load_b128 v[10:13], off, off offset:880
	v_add_f64_e32 v[183:184], v[161:162], v[163:164]
	v_add_f64_e32 v[165:166], v[175:176], v[165:166]
	s_wait_loadcnt_dscnt 0x800
	v_mul_f64_e32 v[175:176], v[2:3], v[20:21]
	v_mul_f64_e32 v[20:21], v[4:5], v[20:21]
	ds_load_b128 v[161:164], v1 offset:1664
	v_fma_f64 v[173:174], v[173:174], v[14:15], v[179:180]
	v_fma_f64 v[171:172], v[171:172], v[14:15], -v[16:17]
	scratch_load_b128 v[14:17], off, off offset:896
	v_add_f64_e32 v[179:180], v[183:184], v[181:182]
	v_add_f64_e32 v[165:166], v[165:166], v[177:178]
	v_fma_f64 v[175:176], v[4:5], v[18:19], v[175:176]
	v_fma_f64 v[181:182], v[2:3], v[18:19], -v[20:21]
	ds_load_b128 v[2:5], v1 offset:1680
	s_wait_loadcnt_dscnt 0x801
	v_mul_f64_e32 v[177:178], v[161:162], v[24:25]
	v_mul_f64_e32 v[24:25], v[163:164], v[24:25]
	scratch_load_b128 v[18:21], off, off offset:912
	s_wait_loadcnt_dscnt 0x800
	v_mul_f64_e32 v[183:184], v[2:3], v[28:29]
	v_mul_f64_e32 v[28:29], v[4:5], v[28:29]
	v_add_f64_e32 v[179:180], v[179:180], v[171:172]
	v_add_f64_e32 v[165:166], v[165:166], v[173:174]
	ds_load_b128 v[171:174], v1 offset:1696
	v_fma_f64 v[163:164], v[163:164], v[22:23], v[177:178]
	v_fma_f64 v[22:23], v[161:162], v[22:23], -v[24:25]
	v_add_f64_e32 v[24:25], v[179:180], v[181:182]
	v_add_f64_e32 v[161:162], v[165:166], v[175:176]
	s_wait_loadcnt_dscnt 0x700
	v_mul_f64_e32 v[165:166], v[171:172], v[32:33]
	v_mul_f64_e32 v[32:33], v[173:174], v[32:33]
	v_fma_f64 v[175:176], v[4:5], v[26:27], v[183:184]
	v_fma_f64 v[26:27], v[2:3], v[26:27], -v[28:29]
	v_add_f64_e32 v[28:29], v[24:25], v[22:23]
	v_add_f64_e32 v[161:162], v[161:162], v[163:164]
	ds_load_b128 v[2:5], v1 offset:1712
	ds_load_b128 v[22:25], v1 offset:1728
	v_fma_f64 v[165:166], v[173:174], v[30:31], v[165:166]
	v_fma_f64 v[30:31], v[171:172], v[30:31], -v[32:33]
	s_wait_loadcnt_dscnt 0x601
	v_mul_f64_e32 v[163:164], v[2:3], v[36:37]
	v_mul_f64_e32 v[36:37], v[4:5], v[36:37]
	v_add_f64_e32 v[26:27], v[28:29], v[26:27]
	v_add_f64_e32 v[28:29], v[161:162], v[175:176]
	s_wait_loadcnt_dscnt 0x500
	v_mul_f64_e32 v[32:33], v[22:23], v[169:170]
	v_mul_f64_e32 v[161:162], v[24:25], v[169:170]
	v_fma_f64 v[163:164], v[4:5], v[34:35], v[163:164]
	v_fma_f64 v[34:35], v[2:3], v[34:35], -v[36:37]
	v_add_f64_e32 v[30:31], v[26:27], v[30:31]
	v_add_f64_e32 v[36:37], v[28:29], v[165:166]
	ds_load_b128 v[2:5], v1 offset:1744
	ds_load_b128 v[26:29], v1 offset:1760
	v_fma_f64 v[24:25], v[24:25], v[167:168], v[32:33]
	v_fma_f64 v[22:23], v[22:23], v[167:168], -v[161:162]
	s_wait_loadcnt_dscnt 0x401
	v_mul_f64_e32 v[165:166], v[2:3], v[40:41]
	v_mul_f64_e32 v[40:41], v[4:5], v[40:41]
	v_add_f64_e32 v[30:31], v[30:31], v[34:35]
	v_add_f64_e32 v[32:33], v[36:37], v[163:164]
	s_wait_loadcnt_dscnt 0x300
	v_mul_f64_e32 v[34:35], v[26:27], v[8:9]
	v_mul_f64_e32 v[8:9], v[28:29], v[8:9]
	v_fma_f64 v[36:37], v[4:5], v[38:39], v[165:166]
	v_fma_f64 v[38:39], v[2:3], v[38:39], -v[40:41]
	v_add_f64_e32 v[30:31], v[30:31], v[22:23]
	v_add_f64_e32 v[32:33], v[32:33], v[24:25]
	ds_load_b128 v[2:5], v1 offset:1776
	ds_load_b128 v[22:25], v1 offset:1792
	v_fma_f64 v[28:29], v[28:29], v[6:7], v[34:35]
	v_fma_f64 v[6:7], v[26:27], v[6:7], -v[8:9]
	s_wait_loadcnt_dscnt 0x201
	v_mul_f64_e32 v[40:41], v[2:3], v[12:13]
	v_mul_f64_e32 v[12:13], v[4:5], v[12:13]
	v_add_f64_e32 v[8:9], v[30:31], v[38:39]
	v_add_f64_e32 v[26:27], v[32:33], v[36:37]
	s_wait_loadcnt_dscnt 0x100
	v_mul_f64_e32 v[30:31], v[22:23], v[16:17]
	v_mul_f64_e32 v[16:17], v[24:25], v[16:17]
	v_fma_f64 v[32:33], v[4:5], v[10:11], v[40:41]
	v_fma_f64 v[10:11], v[2:3], v[10:11], -v[12:13]
	ds_load_b128 v[2:5], v1 offset:1808
	v_add_f64_e32 v[6:7], v[8:9], v[6:7]
	v_add_f64_e32 v[8:9], v[26:27], v[28:29]
	v_fma_f64 v[24:25], v[24:25], v[14:15], v[30:31]
	v_fma_f64 v[14:15], v[22:23], v[14:15], -v[16:17]
	s_wait_loadcnt_dscnt 0x0
	v_mul_f64_e32 v[12:13], v[2:3], v[20:21]
	v_mul_f64_e32 v[20:21], v[4:5], v[20:21]
	v_add_f64_e32 v[6:7], v[6:7], v[10:11]
	v_add_f64_e32 v[8:9], v[8:9], v[32:33]
	s_delay_alu instid0(VALU_DEP_4) | instskip(NEXT) | instid1(VALU_DEP_4)
	v_fma_f64 v[4:5], v[4:5], v[18:19], v[12:13]
	v_fma_f64 v[2:3], v[2:3], v[18:19], -v[20:21]
	s_delay_alu instid0(VALU_DEP_4) | instskip(NEXT) | instid1(VALU_DEP_4)
	v_add_f64_e32 v[6:7], v[6:7], v[14:15]
	v_add_f64_e32 v[8:9], v[8:9], v[24:25]
	s_delay_alu instid0(VALU_DEP_2) | instskip(NEXT) | instid1(VALU_DEP_2)
	v_add_f64_e32 v[2:3], v[6:7], v[2:3]
	v_add_f64_e32 v[4:5], v[8:9], v[4:5]
	s_delay_alu instid0(VALU_DEP_2) | instskip(NEXT) | instid1(VALU_DEP_2)
	v_add_f64_e64 v[2:3], v[42:43], -v[2:3]
	v_add_f64_e64 v[4:5], v[44:45], -v[4:5]
	scratch_store_b128 off, v[2:5], off offset:192
	v_cmpx_lt_u32_e32 10, v0
	s_cbranch_execz .LBB120_335
; %bb.334:
	scratch_load_b128 v[5:8], off, s60
	v_dual_mov_b32 v2, v1 :: v_dual_mov_b32 v3, v1
	v_mov_b32_e32 v4, v1
	scratch_store_b128 off, v[1:4], off offset:176
	s_wait_loadcnt 0x0
	ds_store_b128 v160, v[5:8]
.LBB120_335:
	s_wait_alu 0xfffe
	s_or_b32 exec_lo, exec_lo, s0
	s_wait_storecnt_dscnt 0x0
	s_barrier_signal -1
	s_barrier_wait -1
	global_inv scope:SCOPE_SE
	s_clause 0x8
	scratch_load_b128 v[2:5], off, off offset:192
	scratch_load_b128 v[6:9], off, off offset:208
	;; [unrolled: 1-line block ×9, first 2 shown]
	ds_load_b128 v[42:45], v1 offset:1088
	ds_load_b128 v[38:41], v1 offset:1104
	s_clause 0x1
	scratch_load_b128 v[161:164], off, off offset:176
	scratch_load_b128 v[165:168], off, off offset:336
	s_mov_b32 s0, exec_lo
	s_wait_loadcnt_dscnt 0xa01
	v_mul_f64_e32 v[169:170], v[44:45], v[4:5]
	v_mul_f64_e32 v[4:5], v[42:43], v[4:5]
	s_wait_loadcnt_dscnt 0x900
	v_mul_f64_e32 v[173:174], v[38:39], v[8:9]
	v_mul_f64_e32 v[8:9], v[40:41], v[8:9]
	s_delay_alu instid0(VALU_DEP_4) | instskip(NEXT) | instid1(VALU_DEP_4)
	v_fma_f64 v[175:176], v[42:43], v[2:3], -v[169:170]
	v_fma_f64 v[177:178], v[44:45], v[2:3], v[4:5]
	ds_load_b128 v[2:5], v1 offset:1120
	ds_load_b128 v[169:172], v1 offset:1136
	scratch_load_b128 v[42:45], off, off offset:352
	v_fma_f64 v[40:41], v[40:41], v[6:7], v[173:174]
	v_fma_f64 v[38:39], v[38:39], v[6:7], -v[8:9]
	scratch_load_b128 v[6:9], off, off offset:368
	s_wait_loadcnt_dscnt 0xa01
	v_mul_f64_e32 v[179:180], v[2:3], v[12:13]
	v_mul_f64_e32 v[12:13], v[4:5], v[12:13]
	v_add_f64_e32 v[173:174], 0, v[175:176]
	v_add_f64_e32 v[175:176], 0, v[177:178]
	s_wait_loadcnt_dscnt 0x900
	v_mul_f64_e32 v[177:178], v[169:170], v[16:17]
	v_mul_f64_e32 v[16:17], v[171:172], v[16:17]
	v_fma_f64 v[179:180], v[4:5], v[10:11], v[179:180]
	v_fma_f64 v[181:182], v[2:3], v[10:11], -v[12:13]
	ds_load_b128 v[2:5], v1 offset:1152
	scratch_load_b128 v[10:13], off, off offset:384
	v_add_f64_e32 v[173:174], v[173:174], v[38:39]
	v_add_f64_e32 v[175:176], v[175:176], v[40:41]
	ds_load_b128 v[38:41], v1 offset:1168
	v_fma_f64 v[171:172], v[171:172], v[14:15], v[177:178]
	v_fma_f64 v[169:170], v[169:170], v[14:15], -v[16:17]
	scratch_load_b128 v[14:17], off, off offset:400
	s_wait_loadcnt_dscnt 0xa01
	v_mul_f64_e32 v[183:184], v[2:3], v[20:21]
	v_mul_f64_e32 v[20:21], v[4:5], v[20:21]
	s_wait_loadcnt_dscnt 0x900
	v_mul_f64_e32 v[177:178], v[38:39], v[24:25]
	v_mul_f64_e32 v[24:25], v[40:41], v[24:25]
	v_add_f64_e32 v[173:174], v[173:174], v[181:182]
	v_add_f64_e32 v[175:176], v[175:176], v[179:180]
	v_fma_f64 v[179:180], v[4:5], v[18:19], v[183:184]
	v_fma_f64 v[181:182], v[2:3], v[18:19], -v[20:21]
	ds_load_b128 v[2:5], v1 offset:1184
	scratch_load_b128 v[18:21], off, off offset:416
	v_fma_f64 v[40:41], v[40:41], v[22:23], v[177:178]
	v_fma_f64 v[38:39], v[38:39], v[22:23], -v[24:25]
	scratch_load_b128 v[22:25], off, off offset:432
	v_add_f64_e32 v[173:174], v[173:174], v[169:170]
	v_add_f64_e32 v[175:176], v[175:176], v[171:172]
	ds_load_b128 v[169:172], v1 offset:1200
	s_wait_loadcnt_dscnt 0xa01
	v_mul_f64_e32 v[183:184], v[2:3], v[28:29]
	v_mul_f64_e32 v[28:29], v[4:5], v[28:29]
	s_wait_loadcnt_dscnt 0x900
	v_mul_f64_e32 v[177:178], v[169:170], v[32:33]
	v_mul_f64_e32 v[32:33], v[171:172], v[32:33]
	v_add_f64_e32 v[173:174], v[173:174], v[181:182]
	v_add_f64_e32 v[175:176], v[175:176], v[179:180]
	v_fma_f64 v[179:180], v[4:5], v[26:27], v[183:184]
	v_fma_f64 v[181:182], v[2:3], v[26:27], -v[28:29]
	ds_load_b128 v[2:5], v1 offset:1216
	scratch_load_b128 v[26:29], off, off offset:448
	v_fma_f64 v[171:172], v[171:172], v[30:31], v[177:178]
	v_fma_f64 v[169:170], v[169:170], v[30:31], -v[32:33]
	scratch_load_b128 v[30:33], off, off offset:464
	v_add_f64_e32 v[173:174], v[173:174], v[38:39]
	v_add_f64_e32 v[175:176], v[175:176], v[40:41]
	ds_load_b128 v[38:41], v1 offset:1232
	s_wait_loadcnt_dscnt 0xa01
	v_mul_f64_e32 v[183:184], v[2:3], v[36:37]
	v_mul_f64_e32 v[36:37], v[4:5], v[36:37]
	s_wait_loadcnt_dscnt 0x800
	v_mul_f64_e32 v[177:178], v[38:39], v[167:168]
	v_add_f64_e32 v[173:174], v[173:174], v[181:182]
	v_add_f64_e32 v[175:176], v[175:176], v[179:180]
	v_mul_f64_e32 v[179:180], v[40:41], v[167:168]
	v_fma_f64 v[181:182], v[4:5], v[34:35], v[183:184]
	v_fma_f64 v[183:184], v[2:3], v[34:35], -v[36:37]
	ds_load_b128 v[2:5], v1 offset:1248
	scratch_load_b128 v[34:37], off, off offset:480
	v_fma_f64 v[177:178], v[40:41], v[165:166], v[177:178]
	v_add_f64_e32 v[173:174], v[173:174], v[169:170]
	v_add_f64_e32 v[171:172], v[175:176], v[171:172]
	ds_load_b128 v[167:170], v1 offset:1264
	v_fma_f64 v[165:166], v[38:39], v[165:166], -v[179:180]
	scratch_load_b128 v[38:41], off, off offset:496
	s_wait_loadcnt_dscnt 0x901
	v_mul_f64_e32 v[175:176], v[2:3], v[44:45]
	v_mul_f64_e32 v[44:45], v[4:5], v[44:45]
	s_wait_loadcnt_dscnt 0x800
	v_mul_f64_e32 v[179:180], v[167:168], v[8:9]
	v_mul_f64_e32 v[8:9], v[169:170], v[8:9]
	v_add_f64_e32 v[173:174], v[173:174], v[183:184]
	v_add_f64_e32 v[171:172], v[171:172], v[181:182]
	v_fma_f64 v[175:176], v[4:5], v[42:43], v[175:176]
	v_fma_f64 v[181:182], v[2:3], v[42:43], -v[44:45]
	ds_load_b128 v[2:5], v1 offset:1280
	scratch_load_b128 v[42:45], off, off offset:512
	v_fma_f64 v[169:170], v[169:170], v[6:7], v[179:180]
	v_fma_f64 v[167:168], v[167:168], v[6:7], -v[8:9]
	scratch_load_b128 v[6:9], off, off offset:528
	v_add_f64_e32 v[165:166], v[173:174], v[165:166]
	v_add_f64_e32 v[177:178], v[171:172], v[177:178]
	ds_load_b128 v[171:174], v1 offset:1296
	s_wait_loadcnt_dscnt 0x901
	v_mul_f64_e32 v[183:184], v[2:3], v[12:13]
	v_mul_f64_e32 v[12:13], v[4:5], v[12:13]
	v_add_f64_e32 v[165:166], v[165:166], v[181:182]
	v_add_f64_e32 v[175:176], v[177:178], v[175:176]
	s_wait_loadcnt_dscnt 0x800
	v_mul_f64_e32 v[177:178], v[171:172], v[16:17]
	v_mul_f64_e32 v[16:17], v[173:174], v[16:17]
	v_fma_f64 v[179:180], v[4:5], v[10:11], v[183:184]
	v_fma_f64 v[181:182], v[2:3], v[10:11], -v[12:13]
	ds_load_b128 v[2:5], v1 offset:1312
	scratch_load_b128 v[10:13], off, off offset:544
	v_add_f64_e32 v[183:184], v[165:166], v[167:168]
	v_add_f64_e32 v[169:170], v[175:176], v[169:170]
	ds_load_b128 v[165:168], v1 offset:1328
	s_wait_loadcnt_dscnt 0x801
	v_mul_f64_e32 v[175:176], v[2:3], v[20:21]
	v_mul_f64_e32 v[20:21], v[4:5], v[20:21]
	v_fma_f64 v[173:174], v[173:174], v[14:15], v[177:178]
	v_fma_f64 v[171:172], v[171:172], v[14:15], -v[16:17]
	scratch_load_b128 v[14:17], off, off offset:560
	v_add_f64_e32 v[177:178], v[183:184], v[181:182]
	v_add_f64_e32 v[169:170], v[169:170], v[179:180]
	s_wait_loadcnt_dscnt 0x800
	v_mul_f64_e32 v[179:180], v[165:166], v[24:25]
	v_mul_f64_e32 v[24:25], v[167:168], v[24:25]
	v_fma_f64 v[175:176], v[4:5], v[18:19], v[175:176]
	v_fma_f64 v[181:182], v[2:3], v[18:19], -v[20:21]
	ds_load_b128 v[2:5], v1 offset:1344
	scratch_load_b128 v[18:21], off, off offset:576
	v_add_f64_e32 v[177:178], v[177:178], v[171:172]
	v_add_f64_e32 v[173:174], v[169:170], v[173:174]
	ds_load_b128 v[169:172], v1 offset:1360
	s_wait_loadcnt_dscnt 0x801
	v_mul_f64_e32 v[183:184], v[2:3], v[28:29]
	v_mul_f64_e32 v[28:29], v[4:5], v[28:29]
	v_fma_f64 v[167:168], v[167:168], v[22:23], v[179:180]
	v_fma_f64 v[165:166], v[165:166], v[22:23], -v[24:25]
	scratch_load_b128 v[22:25], off, off offset:592
	;; [unrolled: 18-line block ×4, first 2 shown]
	s_wait_loadcnt_dscnt 0x800
	v_mul_f64_e32 v[177:178], v[169:170], v[8:9]
	v_mul_f64_e32 v[8:9], v[171:172], v[8:9]
	v_add_f64_e32 v[175:176], v[175:176], v[181:182]
	v_add_f64_e32 v[173:174], v[173:174], v[179:180]
	v_fma_f64 v[179:180], v[4:5], v[42:43], v[183:184]
	v_fma_f64 v[181:182], v[2:3], v[42:43], -v[44:45]
	ds_load_b128 v[2:5], v1 offset:1440
	scratch_load_b128 v[42:45], off, off offset:672
	v_fma_f64 v[171:172], v[171:172], v[6:7], v[177:178]
	v_fma_f64 v[169:170], v[169:170], v[6:7], -v[8:9]
	scratch_load_b128 v[6:9], off, off offset:688
	v_add_f64_e32 v[175:176], v[175:176], v[165:166]
	v_add_f64_e32 v[173:174], v[173:174], v[167:168]
	ds_load_b128 v[165:168], v1 offset:1456
	s_wait_loadcnt_dscnt 0x901
	v_mul_f64_e32 v[183:184], v[2:3], v[12:13]
	v_mul_f64_e32 v[12:13], v[4:5], v[12:13]
	s_wait_loadcnt_dscnt 0x800
	v_mul_f64_e32 v[177:178], v[165:166], v[16:17]
	v_mul_f64_e32 v[16:17], v[167:168], v[16:17]
	v_add_f64_e32 v[175:176], v[175:176], v[181:182]
	v_add_f64_e32 v[173:174], v[173:174], v[179:180]
	v_fma_f64 v[179:180], v[4:5], v[10:11], v[183:184]
	v_fma_f64 v[181:182], v[2:3], v[10:11], -v[12:13]
	ds_load_b128 v[2:5], v1 offset:1472
	scratch_load_b128 v[10:13], off, off offset:704
	v_fma_f64 v[167:168], v[167:168], v[14:15], v[177:178]
	v_fma_f64 v[165:166], v[165:166], v[14:15], -v[16:17]
	scratch_load_b128 v[14:17], off, off offset:720
	v_add_f64_e32 v[175:176], v[175:176], v[169:170]
	v_add_f64_e32 v[173:174], v[173:174], v[171:172]
	ds_load_b128 v[169:172], v1 offset:1488
	s_wait_loadcnt_dscnt 0x901
	v_mul_f64_e32 v[183:184], v[2:3], v[20:21]
	v_mul_f64_e32 v[20:21], v[4:5], v[20:21]
	;; [unrolled: 18-line block ×8, first 2 shown]
	s_wait_loadcnt_dscnt 0x800
	v_mul_f64_e32 v[177:178], v[169:170], v[32:33]
	v_mul_f64_e32 v[32:33], v[171:172], v[32:33]
	v_add_f64_e32 v[175:176], v[175:176], v[181:182]
	v_add_f64_e32 v[173:174], v[173:174], v[179:180]
	v_fma_f64 v[179:180], v[4:5], v[26:27], v[183:184]
	v_fma_f64 v[181:182], v[2:3], v[26:27], -v[28:29]
	ds_load_b128 v[2:5], v1 offset:1696
	ds_load_b128 v[26:29], v1 offset:1712
	v_fma_f64 v[171:172], v[171:172], v[30:31], v[177:178]
	v_fma_f64 v[30:31], v[169:170], v[30:31], -v[32:33]
	v_add_f64_e32 v[165:166], v[175:176], v[165:166]
	v_add_f64_e32 v[167:168], v[173:174], v[167:168]
	s_wait_loadcnt_dscnt 0x701
	v_mul_f64_e32 v[173:174], v[2:3], v[36:37]
	v_mul_f64_e32 v[36:37], v[4:5], v[36:37]
	s_delay_alu instid0(VALU_DEP_4) | instskip(NEXT) | instid1(VALU_DEP_4)
	v_add_f64_e32 v[32:33], v[165:166], v[181:182]
	v_add_f64_e32 v[165:166], v[167:168], v[179:180]
	s_wait_loadcnt_dscnt 0x600
	v_mul_f64_e32 v[167:168], v[26:27], v[40:41]
	v_mul_f64_e32 v[40:41], v[28:29], v[40:41]
	v_fma_f64 v[169:170], v[4:5], v[34:35], v[173:174]
	v_fma_f64 v[34:35], v[2:3], v[34:35], -v[36:37]
	v_add_f64_e32 v[36:37], v[32:33], v[30:31]
	v_add_f64_e32 v[165:166], v[165:166], v[171:172]
	ds_load_b128 v[2:5], v1 offset:1728
	ds_load_b128 v[30:33], v1 offset:1744
	v_fma_f64 v[28:29], v[28:29], v[38:39], v[167:168]
	v_fma_f64 v[26:27], v[26:27], v[38:39], -v[40:41]
	s_wait_loadcnt_dscnt 0x501
	v_mul_f64_e32 v[171:172], v[2:3], v[44:45]
	v_mul_f64_e32 v[44:45], v[4:5], v[44:45]
	s_wait_loadcnt_dscnt 0x400
	v_mul_f64_e32 v[38:39], v[30:31], v[8:9]
	v_mul_f64_e32 v[8:9], v[32:33], v[8:9]
	v_add_f64_e32 v[34:35], v[36:37], v[34:35]
	v_add_f64_e32 v[36:37], v[165:166], v[169:170]
	v_fma_f64 v[40:41], v[4:5], v[42:43], v[171:172]
	v_fma_f64 v[42:43], v[2:3], v[42:43], -v[44:45]
	v_fma_f64 v[32:33], v[32:33], v[6:7], v[38:39]
	v_fma_f64 v[6:7], v[30:31], v[6:7], -v[8:9]
	v_add_f64_e32 v[34:35], v[34:35], v[26:27]
	v_add_f64_e32 v[36:37], v[36:37], v[28:29]
	ds_load_b128 v[2:5], v1 offset:1760
	ds_load_b128 v[26:29], v1 offset:1776
	s_wait_loadcnt_dscnt 0x301
	v_mul_f64_e32 v[44:45], v[2:3], v[12:13]
	v_mul_f64_e32 v[12:13], v[4:5], v[12:13]
	v_add_f64_e32 v[8:9], v[34:35], v[42:43]
	v_add_f64_e32 v[30:31], v[36:37], v[40:41]
	s_wait_loadcnt_dscnt 0x200
	v_mul_f64_e32 v[34:35], v[26:27], v[16:17]
	v_mul_f64_e32 v[16:17], v[28:29], v[16:17]
	v_fma_f64 v[36:37], v[4:5], v[10:11], v[44:45]
	v_fma_f64 v[10:11], v[2:3], v[10:11], -v[12:13]
	v_add_f64_e32 v[12:13], v[8:9], v[6:7]
	v_add_f64_e32 v[30:31], v[30:31], v[32:33]
	ds_load_b128 v[2:5], v1 offset:1792
	ds_load_b128 v[6:9], v1 offset:1808
	v_fma_f64 v[28:29], v[28:29], v[14:15], v[34:35]
	v_fma_f64 v[14:15], v[26:27], v[14:15], -v[16:17]
	s_wait_loadcnt_dscnt 0x101
	v_mul_f64_e32 v[32:33], v[2:3], v[20:21]
	v_mul_f64_e32 v[20:21], v[4:5], v[20:21]
	s_wait_loadcnt_dscnt 0x0
	v_mul_f64_e32 v[16:17], v[6:7], v[24:25]
	v_mul_f64_e32 v[24:25], v[8:9], v[24:25]
	v_add_f64_e32 v[10:11], v[12:13], v[10:11]
	v_add_f64_e32 v[12:13], v[30:31], v[36:37]
	v_fma_f64 v[4:5], v[4:5], v[18:19], v[32:33]
	v_fma_f64 v[1:2], v[2:3], v[18:19], -v[20:21]
	v_fma_f64 v[8:9], v[8:9], v[22:23], v[16:17]
	v_fma_f64 v[6:7], v[6:7], v[22:23], -v[24:25]
	v_add_f64_e32 v[10:11], v[10:11], v[14:15]
	v_add_f64_e32 v[12:13], v[12:13], v[28:29]
	s_delay_alu instid0(VALU_DEP_2) | instskip(NEXT) | instid1(VALU_DEP_2)
	v_add_f64_e32 v[1:2], v[10:11], v[1:2]
	v_add_f64_e32 v[3:4], v[12:13], v[4:5]
	s_delay_alu instid0(VALU_DEP_2) | instskip(NEXT) | instid1(VALU_DEP_2)
	;; [unrolled: 3-line block ×3, first 2 shown]
	v_add_f64_e64 v[1:2], v[161:162], -v[1:2]
	v_add_f64_e64 v[3:4], v[163:164], -v[3:4]
	scratch_store_b128 off, v[1:4], off offset:176
	v_cmpx_lt_u32_e32 9, v0
	s_cbranch_execz .LBB120_337
; %bb.336:
	scratch_load_b128 v[1:4], off, s61
	v_mov_b32_e32 v5, 0
	s_delay_alu instid0(VALU_DEP_1)
	v_dual_mov_b32 v6, v5 :: v_dual_mov_b32 v7, v5
	v_mov_b32_e32 v8, v5
	scratch_store_b128 off, v[5:8], off offset:160
	s_wait_loadcnt 0x0
	ds_store_b128 v160, v[1:4]
.LBB120_337:
	s_wait_alu 0xfffe
	s_or_b32 exec_lo, exec_lo, s0
	s_wait_storecnt_dscnt 0x0
	s_barrier_signal -1
	s_barrier_wait -1
	global_inv scope:SCOPE_SE
	s_clause 0x7
	scratch_load_b128 v[2:5], off, off offset:176
	scratch_load_b128 v[6:9], off, off offset:192
	;; [unrolled: 1-line block ×8, first 2 shown]
	v_mov_b32_e32 v1, 0
	s_mov_b32 s0, exec_lo
	ds_load_b128 v[38:41], v1 offset:1072
	s_clause 0x1
	scratch_load_b128 v[34:37], off, off offset:304
	scratch_load_b128 v[42:45], off, off offset:160
	ds_load_b128 v[161:164], v1 offset:1088
	scratch_load_b128 v[165:168], off, off offset:320
	s_wait_loadcnt_dscnt 0xa01
	v_mul_f64_e32 v[169:170], v[40:41], v[4:5]
	v_mul_f64_e32 v[4:5], v[38:39], v[4:5]
	s_delay_alu instid0(VALU_DEP_2) | instskip(NEXT) | instid1(VALU_DEP_2)
	v_fma_f64 v[175:176], v[38:39], v[2:3], -v[169:170]
	v_fma_f64 v[177:178], v[40:41], v[2:3], v[4:5]
	ds_load_b128 v[2:5], v1 offset:1104
	s_wait_loadcnt_dscnt 0x901
	v_mul_f64_e32 v[173:174], v[161:162], v[8:9]
	v_mul_f64_e32 v[8:9], v[163:164], v[8:9]
	scratch_load_b128 v[38:41], off, off offset:336
	ds_load_b128 v[169:172], v1 offset:1120
	s_wait_loadcnt_dscnt 0x901
	v_mul_f64_e32 v[179:180], v[2:3], v[12:13]
	v_mul_f64_e32 v[12:13], v[4:5], v[12:13]
	v_fma_f64 v[163:164], v[163:164], v[6:7], v[173:174]
	v_fma_f64 v[161:162], v[161:162], v[6:7], -v[8:9]
	v_add_f64_e32 v[173:174], 0, v[175:176]
	v_add_f64_e32 v[175:176], 0, v[177:178]
	scratch_load_b128 v[6:9], off, off offset:352
	v_fma_f64 v[179:180], v[4:5], v[10:11], v[179:180]
	v_fma_f64 v[181:182], v[2:3], v[10:11], -v[12:13]
	ds_load_b128 v[2:5], v1 offset:1136
	s_wait_loadcnt_dscnt 0x901
	v_mul_f64_e32 v[177:178], v[169:170], v[16:17]
	v_mul_f64_e32 v[16:17], v[171:172], v[16:17]
	scratch_load_b128 v[10:13], off, off offset:368
	v_add_f64_e32 v[173:174], v[173:174], v[161:162]
	v_add_f64_e32 v[175:176], v[175:176], v[163:164]
	s_wait_loadcnt_dscnt 0x900
	v_mul_f64_e32 v[183:184], v[2:3], v[20:21]
	v_mul_f64_e32 v[20:21], v[4:5], v[20:21]
	ds_load_b128 v[161:164], v1 offset:1152
	v_fma_f64 v[171:172], v[171:172], v[14:15], v[177:178]
	v_fma_f64 v[169:170], v[169:170], v[14:15], -v[16:17]
	scratch_load_b128 v[14:17], off, off offset:384
	v_add_f64_e32 v[173:174], v[173:174], v[181:182]
	v_add_f64_e32 v[175:176], v[175:176], v[179:180]
	v_fma_f64 v[179:180], v[4:5], v[18:19], v[183:184]
	v_fma_f64 v[181:182], v[2:3], v[18:19], -v[20:21]
	ds_load_b128 v[2:5], v1 offset:1168
	s_wait_loadcnt_dscnt 0x901
	v_mul_f64_e32 v[177:178], v[161:162], v[24:25]
	v_mul_f64_e32 v[24:25], v[163:164], v[24:25]
	scratch_load_b128 v[18:21], off, off offset:400
	s_wait_loadcnt_dscnt 0x900
	v_mul_f64_e32 v[183:184], v[2:3], v[28:29]
	v_mul_f64_e32 v[28:29], v[4:5], v[28:29]
	v_add_f64_e32 v[173:174], v[173:174], v[169:170]
	v_add_f64_e32 v[175:176], v[175:176], v[171:172]
	ds_load_b128 v[169:172], v1 offset:1184
	v_fma_f64 v[163:164], v[163:164], v[22:23], v[177:178]
	v_fma_f64 v[161:162], v[161:162], v[22:23], -v[24:25]
	scratch_load_b128 v[22:25], off, off offset:416
	v_add_f64_e32 v[173:174], v[173:174], v[181:182]
	v_add_f64_e32 v[175:176], v[175:176], v[179:180]
	v_fma_f64 v[179:180], v[4:5], v[26:27], v[183:184]
	v_fma_f64 v[181:182], v[2:3], v[26:27], -v[28:29]
	ds_load_b128 v[2:5], v1 offset:1200
	s_wait_loadcnt_dscnt 0x901
	v_mul_f64_e32 v[177:178], v[169:170], v[32:33]
	v_mul_f64_e32 v[32:33], v[171:172], v[32:33]
	scratch_load_b128 v[26:29], off, off offset:432
	s_wait_loadcnt_dscnt 0x900
	v_mul_f64_e32 v[183:184], v[2:3], v[36:37]
	v_mul_f64_e32 v[36:37], v[4:5], v[36:37]
	v_add_f64_e32 v[173:174], v[173:174], v[161:162]
	v_add_f64_e32 v[175:176], v[175:176], v[163:164]
	ds_load_b128 v[161:164], v1 offset:1216
	v_fma_f64 v[171:172], v[171:172], v[30:31], v[177:178]
	v_fma_f64 v[169:170], v[169:170], v[30:31], -v[32:33]
	scratch_load_b128 v[30:33], off, off offset:448
	v_add_f64_e32 v[173:174], v[173:174], v[181:182]
	v_add_f64_e32 v[175:176], v[175:176], v[179:180]
	v_fma_f64 v[181:182], v[4:5], v[34:35], v[183:184]
	v_fma_f64 v[183:184], v[2:3], v[34:35], -v[36:37]
	ds_load_b128 v[2:5], v1 offset:1232
	s_wait_loadcnt_dscnt 0x801
	v_mul_f64_e32 v[177:178], v[161:162], v[167:168]
	v_mul_f64_e32 v[179:180], v[163:164], v[167:168]
	scratch_load_b128 v[34:37], off, off offset:464
	v_add_f64_e32 v[173:174], v[173:174], v[169:170]
	v_add_f64_e32 v[171:172], v[175:176], v[171:172]
	ds_load_b128 v[167:170], v1 offset:1248
	v_fma_f64 v[177:178], v[163:164], v[165:166], v[177:178]
	v_fma_f64 v[165:166], v[161:162], v[165:166], -v[179:180]
	scratch_load_b128 v[161:164], off, off offset:480
	s_wait_loadcnt_dscnt 0x901
	v_mul_f64_e32 v[175:176], v[2:3], v[40:41]
	v_mul_f64_e32 v[40:41], v[4:5], v[40:41]
	v_add_f64_e32 v[173:174], v[173:174], v[183:184]
	v_add_f64_e32 v[171:172], v[171:172], v[181:182]
	s_delay_alu instid0(VALU_DEP_4) | instskip(NEXT) | instid1(VALU_DEP_4)
	v_fma_f64 v[175:176], v[4:5], v[38:39], v[175:176]
	v_fma_f64 v[181:182], v[2:3], v[38:39], -v[40:41]
	ds_load_b128 v[2:5], v1 offset:1264
	s_wait_loadcnt_dscnt 0x801
	v_mul_f64_e32 v[179:180], v[167:168], v[8:9]
	v_mul_f64_e32 v[8:9], v[169:170], v[8:9]
	scratch_load_b128 v[38:41], off, off offset:496
	s_wait_loadcnt_dscnt 0x800
	v_mul_f64_e32 v[183:184], v[2:3], v[12:13]
	v_add_f64_e32 v[165:166], v[173:174], v[165:166]
	v_add_f64_e32 v[177:178], v[171:172], v[177:178]
	v_mul_f64_e32 v[12:13], v[4:5], v[12:13]
	ds_load_b128 v[171:174], v1 offset:1280
	v_fma_f64 v[169:170], v[169:170], v[6:7], v[179:180]
	v_fma_f64 v[167:168], v[167:168], v[6:7], -v[8:9]
	scratch_load_b128 v[6:9], off, off offset:512
	v_fma_f64 v[179:180], v[4:5], v[10:11], v[183:184]
	v_add_f64_e32 v[165:166], v[165:166], v[181:182]
	v_add_f64_e32 v[175:176], v[177:178], v[175:176]
	v_fma_f64 v[181:182], v[2:3], v[10:11], -v[12:13]
	ds_load_b128 v[2:5], v1 offset:1296
	s_wait_loadcnt_dscnt 0x801
	v_mul_f64_e32 v[177:178], v[171:172], v[16:17]
	v_mul_f64_e32 v[16:17], v[173:174], v[16:17]
	scratch_load_b128 v[10:13], off, off offset:528
	v_add_f64_e32 v[183:184], v[165:166], v[167:168]
	v_add_f64_e32 v[169:170], v[175:176], v[169:170]
	s_wait_loadcnt_dscnt 0x800
	v_mul_f64_e32 v[175:176], v[2:3], v[20:21]
	v_mul_f64_e32 v[20:21], v[4:5], v[20:21]
	v_fma_f64 v[173:174], v[173:174], v[14:15], v[177:178]
	v_fma_f64 v[171:172], v[171:172], v[14:15], -v[16:17]
	ds_load_b128 v[165:168], v1 offset:1312
	scratch_load_b128 v[14:17], off, off offset:544
	v_add_f64_e32 v[177:178], v[183:184], v[181:182]
	v_add_f64_e32 v[169:170], v[169:170], v[179:180]
	v_fma_f64 v[175:176], v[4:5], v[18:19], v[175:176]
	v_fma_f64 v[181:182], v[2:3], v[18:19], -v[20:21]
	ds_load_b128 v[2:5], v1 offset:1328
	s_wait_loadcnt_dscnt 0x801
	v_mul_f64_e32 v[179:180], v[165:166], v[24:25]
	v_mul_f64_e32 v[24:25], v[167:168], v[24:25]
	scratch_load_b128 v[18:21], off, off offset:560
	s_wait_loadcnt_dscnt 0x800
	v_mul_f64_e32 v[183:184], v[2:3], v[28:29]
	v_mul_f64_e32 v[28:29], v[4:5], v[28:29]
	v_add_f64_e32 v[177:178], v[177:178], v[171:172]
	v_add_f64_e32 v[173:174], v[169:170], v[173:174]
	ds_load_b128 v[169:172], v1 offset:1344
	v_fma_f64 v[167:168], v[167:168], v[22:23], v[179:180]
	v_fma_f64 v[165:166], v[165:166], v[22:23], -v[24:25]
	scratch_load_b128 v[22:25], off, off offset:576
	v_fma_f64 v[179:180], v[4:5], v[26:27], v[183:184]
	v_add_f64_e32 v[177:178], v[177:178], v[181:182]
	v_add_f64_e32 v[173:174], v[173:174], v[175:176]
	v_fma_f64 v[181:182], v[2:3], v[26:27], -v[28:29]
	ds_load_b128 v[2:5], v1 offset:1360
	s_wait_loadcnt_dscnt 0x801
	v_mul_f64_e32 v[175:176], v[169:170], v[32:33]
	v_mul_f64_e32 v[32:33], v[171:172], v[32:33]
	scratch_load_b128 v[26:29], off, off offset:592
	s_wait_loadcnt_dscnt 0x800
	v_mul_f64_e32 v[183:184], v[2:3], v[36:37]
	v_mul_f64_e32 v[36:37], v[4:5], v[36:37]
	v_add_f64_e32 v[177:178], v[177:178], v[165:166]
	v_add_f64_e32 v[173:174], v[173:174], v[167:168]
	ds_load_b128 v[165:168], v1 offset:1376
	v_fma_f64 v[171:172], v[171:172], v[30:31], v[175:176]
	v_fma_f64 v[169:170], v[169:170], v[30:31], -v[32:33]
	scratch_load_b128 v[30:33], off, off offset:608
	v_add_f64_e32 v[175:176], v[177:178], v[181:182]
	v_add_f64_e32 v[173:174], v[173:174], v[179:180]
	v_fma_f64 v[179:180], v[4:5], v[34:35], v[183:184]
	v_fma_f64 v[181:182], v[2:3], v[34:35], -v[36:37]
	ds_load_b128 v[2:5], v1 offset:1392
	s_wait_loadcnt_dscnt 0x801
	v_mul_f64_e32 v[177:178], v[165:166], v[163:164]
	v_mul_f64_e32 v[163:164], v[167:168], v[163:164]
	scratch_load_b128 v[34:37], off, off offset:624
	s_wait_loadcnt_dscnt 0x800
	v_mul_f64_e32 v[183:184], v[2:3], v[40:41]
	v_mul_f64_e32 v[40:41], v[4:5], v[40:41]
	v_add_f64_e32 v[175:176], v[175:176], v[169:170]
	v_add_f64_e32 v[173:174], v[173:174], v[171:172]
	ds_load_b128 v[169:172], v1 offset:1408
	v_fma_f64 v[167:168], v[167:168], v[161:162], v[177:178]
	v_fma_f64 v[165:166], v[165:166], v[161:162], -v[163:164]
	scratch_load_b128 v[161:164], off, off offset:640
	v_add_f64_e32 v[175:176], v[175:176], v[181:182]
	v_add_f64_e32 v[173:174], v[173:174], v[179:180]
	v_fma_f64 v[179:180], v[4:5], v[38:39], v[183:184]
	;; [unrolled: 18-line block ×6, first 2 shown]
	v_fma_f64 v[183:184], v[2:3], v[34:35], -v[36:37]
	ds_load_b128 v[2:5], v1 offset:1552
	s_wait_loadcnt_dscnt 0x801
	v_mul_f64_e32 v[177:178], v[169:170], v[163:164]
	v_mul_f64_e32 v[179:180], v[171:172], v[163:164]
	scratch_load_b128 v[34:37], off, off offset:784
	v_add_f64_e32 v[175:176], v[175:176], v[165:166]
	v_add_f64_e32 v[167:168], v[173:174], v[167:168]
	s_wait_loadcnt_dscnt 0x800
	v_mul_f64_e32 v[173:174], v[2:3], v[40:41]
	v_mul_f64_e32 v[40:41], v[4:5], v[40:41]
	ds_load_b128 v[163:166], v1 offset:1568
	v_fma_f64 v[171:172], v[171:172], v[161:162], v[177:178]
	v_fma_f64 v[161:162], v[169:170], v[161:162], -v[179:180]
	v_add_f64_e32 v[175:176], v[175:176], v[183:184]
	v_add_f64_e32 v[177:178], v[167:168], v[181:182]
	scratch_load_b128 v[167:170], off, off offset:800
	v_fma_f64 v[181:182], v[4:5], v[38:39], v[173:174]
	v_fma_f64 v[183:184], v[2:3], v[38:39], -v[40:41]
	ds_load_b128 v[2:5], v1 offset:1584
	s_wait_loadcnt_dscnt 0x801
	v_mul_f64_e32 v[179:180], v[163:164], v[8:9]
	v_mul_f64_e32 v[8:9], v[165:166], v[8:9]
	scratch_load_b128 v[38:41], off, off offset:816
	v_add_f64_e32 v[161:162], v[175:176], v[161:162]
	v_add_f64_e32 v[175:176], v[177:178], v[171:172]
	s_wait_loadcnt_dscnt 0x800
	v_mul_f64_e32 v[177:178], v[2:3], v[12:13]
	v_mul_f64_e32 v[12:13], v[4:5], v[12:13]
	ds_load_b128 v[171:174], v1 offset:1600
	v_fma_f64 v[165:166], v[165:166], v[6:7], v[179:180]
	v_fma_f64 v[163:164], v[163:164], v[6:7], -v[8:9]
	scratch_load_b128 v[6:9], off, off offset:832
	v_add_f64_e32 v[161:162], v[161:162], v[183:184]
	v_add_f64_e32 v[175:176], v[175:176], v[181:182]
	v_fma_f64 v[177:178], v[4:5], v[10:11], v[177:178]
	v_fma_f64 v[181:182], v[2:3], v[10:11], -v[12:13]
	ds_load_b128 v[2:5], v1 offset:1616
	s_wait_loadcnt_dscnt 0x801
	v_mul_f64_e32 v[179:180], v[171:172], v[16:17]
	v_mul_f64_e32 v[16:17], v[173:174], v[16:17]
	scratch_load_b128 v[10:13], off, off offset:848
	v_add_f64_e32 v[183:184], v[161:162], v[163:164]
	v_add_f64_e32 v[165:166], v[175:176], v[165:166]
	s_wait_loadcnt_dscnt 0x800
	v_mul_f64_e32 v[175:176], v[2:3], v[20:21]
	v_mul_f64_e32 v[20:21], v[4:5], v[20:21]
	ds_load_b128 v[161:164], v1 offset:1632
	v_fma_f64 v[173:174], v[173:174], v[14:15], v[179:180]
	v_fma_f64 v[171:172], v[171:172], v[14:15], -v[16:17]
	scratch_load_b128 v[14:17], off, off offset:864
	v_add_f64_e32 v[179:180], v[183:184], v[181:182]
	v_add_f64_e32 v[165:166], v[165:166], v[177:178]
	v_fma_f64 v[175:176], v[4:5], v[18:19], v[175:176]
	v_fma_f64 v[181:182], v[2:3], v[18:19], -v[20:21]
	ds_load_b128 v[2:5], v1 offset:1648
	s_wait_loadcnt_dscnt 0x801
	v_mul_f64_e32 v[177:178], v[161:162], v[24:25]
	v_mul_f64_e32 v[24:25], v[163:164], v[24:25]
	scratch_load_b128 v[18:21], off, off offset:880
	s_wait_loadcnt_dscnt 0x800
	v_mul_f64_e32 v[183:184], v[2:3], v[28:29]
	v_mul_f64_e32 v[28:29], v[4:5], v[28:29]
	v_add_f64_e32 v[179:180], v[179:180], v[171:172]
	v_add_f64_e32 v[165:166], v[165:166], v[173:174]
	ds_load_b128 v[171:174], v1 offset:1664
	v_fma_f64 v[163:164], v[163:164], v[22:23], v[177:178]
	v_fma_f64 v[161:162], v[161:162], v[22:23], -v[24:25]
	scratch_load_b128 v[22:25], off, off offset:896
	v_add_f64_e32 v[177:178], v[179:180], v[181:182]
	v_add_f64_e32 v[165:166], v[165:166], v[175:176]
	v_fma_f64 v[179:180], v[4:5], v[26:27], v[183:184]
	v_fma_f64 v[181:182], v[2:3], v[26:27], -v[28:29]
	ds_load_b128 v[2:5], v1 offset:1680
	s_wait_loadcnt_dscnt 0x801
	v_mul_f64_e32 v[175:176], v[171:172], v[32:33]
	v_mul_f64_e32 v[32:33], v[173:174], v[32:33]
	scratch_load_b128 v[26:29], off, off offset:912
	s_wait_loadcnt_dscnt 0x800
	v_mul_f64_e32 v[183:184], v[2:3], v[36:37]
	v_mul_f64_e32 v[36:37], v[4:5], v[36:37]
	v_add_f64_e32 v[177:178], v[177:178], v[161:162]
	v_add_f64_e32 v[165:166], v[165:166], v[163:164]
	ds_load_b128 v[161:164], v1 offset:1696
	v_fma_f64 v[173:174], v[173:174], v[30:31], v[175:176]
	v_fma_f64 v[30:31], v[171:172], v[30:31], -v[32:33]
	v_fma_f64 v[175:176], v[4:5], v[34:35], v[183:184]
	v_fma_f64 v[34:35], v[2:3], v[34:35], -v[36:37]
	v_add_f64_e32 v[32:33], v[177:178], v[181:182]
	v_add_f64_e32 v[165:166], v[165:166], v[179:180]
	s_wait_loadcnt_dscnt 0x700
	v_mul_f64_e32 v[171:172], v[161:162], v[169:170]
	v_mul_f64_e32 v[169:170], v[163:164], v[169:170]
	s_delay_alu instid0(VALU_DEP_4) | instskip(NEXT) | instid1(VALU_DEP_4)
	v_add_f64_e32 v[36:37], v[32:33], v[30:31]
	v_add_f64_e32 v[165:166], v[165:166], v[173:174]
	ds_load_b128 v[2:5], v1 offset:1712
	ds_load_b128 v[30:33], v1 offset:1728
	v_fma_f64 v[163:164], v[163:164], v[167:168], v[171:172]
	v_fma_f64 v[161:162], v[161:162], v[167:168], -v[169:170]
	s_wait_loadcnt_dscnt 0x601
	v_mul_f64_e32 v[173:174], v[2:3], v[40:41]
	v_mul_f64_e32 v[40:41], v[4:5], v[40:41]
	v_add_f64_e32 v[34:35], v[36:37], v[34:35]
	v_add_f64_e32 v[36:37], v[165:166], v[175:176]
	s_wait_loadcnt_dscnt 0x500
	v_mul_f64_e32 v[165:166], v[30:31], v[8:9]
	v_mul_f64_e32 v[8:9], v[32:33], v[8:9]
	v_fma_f64 v[167:168], v[4:5], v[38:39], v[173:174]
	v_fma_f64 v[38:39], v[2:3], v[38:39], -v[40:41]
	v_add_f64_e32 v[40:41], v[34:35], v[161:162]
	v_add_f64_e32 v[161:162], v[36:37], v[163:164]
	ds_load_b128 v[2:5], v1 offset:1744
	ds_load_b128 v[34:37], v1 offset:1760
	v_fma_f64 v[32:33], v[32:33], v[6:7], v[165:166]
	v_fma_f64 v[6:7], v[30:31], v[6:7], -v[8:9]
	s_wait_loadcnt_dscnt 0x401
	v_mul_f64_e32 v[163:164], v[2:3], v[12:13]
	v_mul_f64_e32 v[12:13], v[4:5], v[12:13]
	v_add_f64_e32 v[8:9], v[40:41], v[38:39]
	v_add_f64_e32 v[30:31], v[161:162], v[167:168]
	s_wait_loadcnt_dscnt 0x300
	v_mul_f64_e32 v[38:39], v[34:35], v[16:17]
	v_mul_f64_e32 v[16:17], v[36:37], v[16:17]
	v_fma_f64 v[40:41], v[4:5], v[10:11], v[163:164]
	v_fma_f64 v[10:11], v[2:3], v[10:11], -v[12:13]
	v_add_f64_e32 v[12:13], v[8:9], v[6:7]
	v_add_f64_e32 v[30:31], v[30:31], v[32:33]
	ds_load_b128 v[2:5], v1 offset:1776
	ds_load_b128 v[6:9], v1 offset:1792
	v_fma_f64 v[36:37], v[36:37], v[14:15], v[38:39]
	v_fma_f64 v[14:15], v[34:35], v[14:15], -v[16:17]
	s_wait_loadcnt_dscnt 0x201
	v_mul_f64_e32 v[32:33], v[2:3], v[20:21]
	v_mul_f64_e32 v[20:21], v[4:5], v[20:21]
	s_wait_loadcnt_dscnt 0x100
	v_mul_f64_e32 v[16:17], v[6:7], v[24:25]
	v_mul_f64_e32 v[24:25], v[8:9], v[24:25]
	v_add_f64_e32 v[10:11], v[12:13], v[10:11]
	v_add_f64_e32 v[12:13], v[30:31], v[40:41]
	v_fma_f64 v[30:31], v[4:5], v[18:19], v[32:33]
	v_fma_f64 v[18:19], v[2:3], v[18:19], -v[20:21]
	ds_load_b128 v[2:5], v1 offset:1808
	v_fma_f64 v[8:9], v[8:9], v[22:23], v[16:17]
	v_fma_f64 v[6:7], v[6:7], v[22:23], -v[24:25]
	v_add_f64_e32 v[10:11], v[10:11], v[14:15]
	v_add_f64_e32 v[12:13], v[12:13], v[36:37]
	s_wait_loadcnt_dscnt 0x0
	v_mul_f64_e32 v[14:15], v[2:3], v[28:29]
	v_mul_f64_e32 v[20:21], v[4:5], v[28:29]
	s_delay_alu instid0(VALU_DEP_4) | instskip(NEXT) | instid1(VALU_DEP_4)
	v_add_f64_e32 v[10:11], v[10:11], v[18:19]
	v_add_f64_e32 v[12:13], v[12:13], v[30:31]
	s_delay_alu instid0(VALU_DEP_4) | instskip(NEXT) | instid1(VALU_DEP_4)
	v_fma_f64 v[4:5], v[4:5], v[26:27], v[14:15]
	v_fma_f64 v[2:3], v[2:3], v[26:27], -v[20:21]
	s_delay_alu instid0(VALU_DEP_4) | instskip(NEXT) | instid1(VALU_DEP_4)
	v_add_f64_e32 v[6:7], v[10:11], v[6:7]
	v_add_f64_e32 v[8:9], v[12:13], v[8:9]
	s_delay_alu instid0(VALU_DEP_2) | instskip(NEXT) | instid1(VALU_DEP_2)
	v_add_f64_e32 v[2:3], v[6:7], v[2:3]
	v_add_f64_e32 v[4:5], v[8:9], v[4:5]
	s_delay_alu instid0(VALU_DEP_2) | instskip(NEXT) | instid1(VALU_DEP_2)
	v_add_f64_e64 v[2:3], v[42:43], -v[2:3]
	v_add_f64_e64 v[4:5], v[44:45], -v[4:5]
	scratch_store_b128 off, v[2:5], off offset:160
	v_cmpx_lt_u32_e32 8, v0
	s_cbranch_execz .LBB120_339
; %bb.338:
	scratch_load_b128 v[5:8], off, s62
	v_dual_mov_b32 v2, v1 :: v_dual_mov_b32 v3, v1
	v_mov_b32_e32 v4, v1
	scratch_store_b128 off, v[1:4], off offset:144
	s_wait_loadcnt 0x0
	ds_store_b128 v160, v[5:8]
.LBB120_339:
	s_wait_alu 0xfffe
	s_or_b32 exec_lo, exec_lo, s0
	s_wait_storecnt_dscnt 0x0
	s_barrier_signal -1
	s_barrier_wait -1
	global_inv scope:SCOPE_SE
	s_clause 0x8
	scratch_load_b128 v[2:5], off, off offset:160
	scratch_load_b128 v[6:9], off, off offset:176
	scratch_load_b128 v[10:13], off, off offset:192
	scratch_load_b128 v[14:17], off, off offset:208
	scratch_load_b128 v[18:21], off, off offset:224
	scratch_load_b128 v[22:25], off, off offset:240
	scratch_load_b128 v[26:29], off, off offset:256
	scratch_load_b128 v[30:33], off, off offset:272
	scratch_load_b128 v[34:37], off, off offset:288
	ds_load_b128 v[42:45], v1 offset:1056
	ds_load_b128 v[38:41], v1 offset:1072
	s_clause 0x1
	scratch_load_b128 v[161:164], off, off offset:144
	scratch_load_b128 v[165:168], off, off offset:304
	s_mov_b32 s0, exec_lo
	s_wait_loadcnt_dscnt 0xa01
	v_mul_f64_e32 v[169:170], v[44:45], v[4:5]
	v_mul_f64_e32 v[4:5], v[42:43], v[4:5]
	s_wait_loadcnt_dscnt 0x900
	v_mul_f64_e32 v[173:174], v[38:39], v[8:9]
	v_mul_f64_e32 v[8:9], v[40:41], v[8:9]
	s_delay_alu instid0(VALU_DEP_4) | instskip(NEXT) | instid1(VALU_DEP_4)
	v_fma_f64 v[175:176], v[42:43], v[2:3], -v[169:170]
	v_fma_f64 v[177:178], v[44:45], v[2:3], v[4:5]
	ds_load_b128 v[2:5], v1 offset:1088
	ds_load_b128 v[169:172], v1 offset:1104
	scratch_load_b128 v[42:45], off, off offset:320
	v_fma_f64 v[40:41], v[40:41], v[6:7], v[173:174]
	v_fma_f64 v[38:39], v[38:39], v[6:7], -v[8:9]
	scratch_load_b128 v[6:9], off, off offset:336
	s_wait_loadcnt_dscnt 0xa01
	v_mul_f64_e32 v[179:180], v[2:3], v[12:13]
	v_mul_f64_e32 v[12:13], v[4:5], v[12:13]
	v_add_f64_e32 v[173:174], 0, v[175:176]
	v_add_f64_e32 v[175:176], 0, v[177:178]
	s_wait_loadcnt_dscnt 0x900
	v_mul_f64_e32 v[177:178], v[169:170], v[16:17]
	v_mul_f64_e32 v[16:17], v[171:172], v[16:17]
	v_fma_f64 v[179:180], v[4:5], v[10:11], v[179:180]
	v_fma_f64 v[181:182], v[2:3], v[10:11], -v[12:13]
	ds_load_b128 v[2:5], v1 offset:1120
	scratch_load_b128 v[10:13], off, off offset:352
	v_add_f64_e32 v[173:174], v[173:174], v[38:39]
	v_add_f64_e32 v[175:176], v[175:176], v[40:41]
	ds_load_b128 v[38:41], v1 offset:1136
	v_fma_f64 v[171:172], v[171:172], v[14:15], v[177:178]
	v_fma_f64 v[169:170], v[169:170], v[14:15], -v[16:17]
	scratch_load_b128 v[14:17], off, off offset:368
	s_wait_loadcnt_dscnt 0xa01
	v_mul_f64_e32 v[183:184], v[2:3], v[20:21]
	v_mul_f64_e32 v[20:21], v[4:5], v[20:21]
	s_wait_loadcnt_dscnt 0x900
	v_mul_f64_e32 v[177:178], v[38:39], v[24:25]
	v_mul_f64_e32 v[24:25], v[40:41], v[24:25]
	v_add_f64_e32 v[173:174], v[173:174], v[181:182]
	v_add_f64_e32 v[175:176], v[175:176], v[179:180]
	v_fma_f64 v[179:180], v[4:5], v[18:19], v[183:184]
	v_fma_f64 v[181:182], v[2:3], v[18:19], -v[20:21]
	ds_load_b128 v[2:5], v1 offset:1152
	scratch_load_b128 v[18:21], off, off offset:384
	v_fma_f64 v[40:41], v[40:41], v[22:23], v[177:178]
	v_fma_f64 v[38:39], v[38:39], v[22:23], -v[24:25]
	scratch_load_b128 v[22:25], off, off offset:400
	v_add_f64_e32 v[173:174], v[173:174], v[169:170]
	v_add_f64_e32 v[175:176], v[175:176], v[171:172]
	ds_load_b128 v[169:172], v1 offset:1168
	s_wait_loadcnt_dscnt 0xa01
	v_mul_f64_e32 v[183:184], v[2:3], v[28:29]
	v_mul_f64_e32 v[28:29], v[4:5], v[28:29]
	s_wait_loadcnt_dscnt 0x900
	v_mul_f64_e32 v[177:178], v[169:170], v[32:33]
	v_mul_f64_e32 v[32:33], v[171:172], v[32:33]
	v_add_f64_e32 v[173:174], v[173:174], v[181:182]
	v_add_f64_e32 v[175:176], v[175:176], v[179:180]
	v_fma_f64 v[179:180], v[4:5], v[26:27], v[183:184]
	v_fma_f64 v[181:182], v[2:3], v[26:27], -v[28:29]
	ds_load_b128 v[2:5], v1 offset:1184
	scratch_load_b128 v[26:29], off, off offset:416
	v_fma_f64 v[171:172], v[171:172], v[30:31], v[177:178]
	v_fma_f64 v[169:170], v[169:170], v[30:31], -v[32:33]
	scratch_load_b128 v[30:33], off, off offset:432
	v_add_f64_e32 v[173:174], v[173:174], v[38:39]
	v_add_f64_e32 v[175:176], v[175:176], v[40:41]
	ds_load_b128 v[38:41], v1 offset:1200
	s_wait_loadcnt_dscnt 0xa01
	v_mul_f64_e32 v[183:184], v[2:3], v[36:37]
	v_mul_f64_e32 v[36:37], v[4:5], v[36:37]
	s_wait_loadcnt_dscnt 0x800
	v_mul_f64_e32 v[177:178], v[38:39], v[167:168]
	v_add_f64_e32 v[173:174], v[173:174], v[181:182]
	v_add_f64_e32 v[175:176], v[175:176], v[179:180]
	v_mul_f64_e32 v[179:180], v[40:41], v[167:168]
	v_fma_f64 v[181:182], v[4:5], v[34:35], v[183:184]
	v_fma_f64 v[183:184], v[2:3], v[34:35], -v[36:37]
	ds_load_b128 v[2:5], v1 offset:1216
	scratch_load_b128 v[34:37], off, off offset:448
	v_fma_f64 v[177:178], v[40:41], v[165:166], v[177:178]
	v_add_f64_e32 v[173:174], v[173:174], v[169:170]
	v_add_f64_e32 v[171:172], v[175:176], v[171:172]
	ds_load_b128 v[167:170], v1 offset:1232
	v_fma_f64 v[165:166], v[38:39], v[165:166], -v[179:180]
	scratch_load_b128 v[38:41], off, off offset:464
	s_wait_loadcnt_dscnt 0x901
	v_mul_f64_e32 v[175:176], v[2:3], v[44:45]
	v_mul_f64_e32 v[44:45], v[4:5], v[44:45]
	s_wait_loadcnt_dscnt 0x800
	v_mul_f64_e32 v[179:180], v[167:168], v[8:9]
	v_mul_f64_e32 v[8:9], v[169:170], v[8:9]
	v_add_f64_e32 v[173:174], v[173:174], v[183:184]
	v_add_f64_e32 v[171:172], v[171:172], v[181:182]
	v_fma_f64 v[175:176], v[4:5], v[42:43], v[175:176]
	v_fma_f64 v[181:182], v[2:3], v[42:43], -v[44:45]
	ds_load_b128 v[2:5], v1 offset:1248
	scratch_load_b128 v[42:45], off, off offset:480
	v_fma_f64 v[169:170], v[169:170], v[6:7], v[179:180]
	v_fma_f64 v[167:168], v[167:168], v[6:7], -v[8:9]
	scratch_load_b128 v[6:9], off, off offset:496
	v_add_f64_e32 v[165:166], v[173:174], v[165:166]
	v_add_f64_e32 v[177:178], v[171:172], v[177:178]
	ds_load_b128 v[171:174], v1 offset:1264
	s_wait_loadcnt_dscnt 0x901
	v_mul_f64_e32 v[183:184], v[2:3], v[12:13]
	v_mul_f64_e32 v[12:13], v[4:5], v[12:13]
	v_add_f64_e32 v[165:166], v[165:166], v[181:182]
	v_add_f64_e32 v[175:176], v[177:178], v[175:176]
	s_wait_loadcnt_dscnt 0x800
	v_mul_f64_e32 v[177:178], v[171:172], v[16:17]
	v_mul_f64_e32 v[16:17], v[173:174], v[16:17]
	v_fma_f64 v[179:180], v[4:5], v[10:11], v[183:184]
	v_fma_f64 v[181:182], v[2:3], v[10:11], -v[12:13]
	ds_load_b128 v[2:5], v1 offset:1280
	scratch_load_b128 v[10:13], off, off offset:512
	v_add_f64_e32 v[183:184], v[165:166], v[167:168]
	v_add_f64_e32 v[169:170], v[175:176], v[169:170]
	ds_load_b128 v[165:168], v1 offset:1296
	s_wait_loadcnt_dscnt 0x801
	v_mul_f64_e32 v[175:176], v[2:3], v[20:21]
	v_mul_f64_e32 v[20:21], v[4:5], v[20:21]
	v_fma_f64 v[173:174], v[173:174], v[14:15], v[177:178]
	v_fma_f64 v[171:172], v[171:172], v[14:15], -v[16:17]
	scratch_load_b128 v[14:17], off, off offset:528
	v_add_f64_e32 v[177:178], v[183:184], v[181:182]
	v_add_f64_e32 v[169:170], v[169:170], v[179:180]
	s_wait_loadcnt_dscnt 0x800
	v_mul_f64_e32 v[179:180], v[165:166], v[24:25]
	v_mul_f64_e32 v[24:25], v[167:168], v[24:25]
	v_fma_f64 v[175:176], v[4:5], v[18:19], v[175:176]
	v_fma_f64 v[181:182], v[2:3], v[18:19], -v[20:21]
	ds_load_b128 v[2:5], v1 offset:1312
	scratch_load_b128 v[18:21], off, off offset:544
	v_add_f64_e32 v[177:178], v[177:178], v[171:172]
	v_add_f64_e32 v[173:174], v[169:170], v[173:174]
	ds_load_b128 v[169:172], v1 offset:1328
	s_wait_loadcnt_dscnt 0x801
	v_mul_f64_e32 v[183:184], v[2:3], v[28:29]
	v_mul_f64_e32 v[28:29], v[4:5], v[28:29]
	v_fma_f64 v[167:168], v[167:168], v[22:23], v[179:180]
	v_fma_f64 v[165:166], v[165:166], v[22:23], -v[24:25]
	scratch_load_b128 v[22:25], off, off offset:560
	;; [unrolled: 18-line block ×4, first 2 shown]
	s_wait_loadcnt_dscnt 0x800
	v_mul_f64_e32 v[177:178], v[169:170], v[8:9]
	v_mul_f64_e32 v[8:9], v[171:172], v[8:9]
	v_add_f64_e32 v[175:176], v[175:176], v[181:182]
	v_add_f64_e32 v[173:174], v[173:174], v[179:180]
	v_fma_f64 v[179:180], v[4:5], v[42:43], v[183:184]
	v_fma_f64 v[181:182], v[2:3], v[42:43], -v[44:45]
	ds_load_b128 v[2:5], v1 offset:1408
	scratch_load_b128 v[42:45], off, off offset:640
	v_fma_f64 v[171:172], v[171:172], v[6:7], v[177:178]
	v_fma_f64 v[169:170], v[169:170], v[6:7], -v[8:9]
	scratch_load_b128 v[6:9], off, off offset:656
	v_add_f64_e32 v[175:176], v[175:176], v[165:166]
	v_add_f64_e32 v[173:174], v[173:174], v[167:168]
	ds_load_b128 v[165:168], v1 offset:1424
	s_wait_loadcnt_dscnt 0x901
	v_mul_f64_e32 v[183:184], v[2:3], v[12:13]
	v_mul_f64_e32 v[12:13], v[4:5], v[12:13]
	s_wait_loadcnt_dscnt 0x800
	v_mul_f64_e32 v[177:178], v[165:166], v[16:17]
	v_mul_f64_e32 v[16:17], v[167:168], v[16:17]
	v_add_f64_e32 v[175:176], v[175:176], v[181:182]
	v_add_f64_e32 v[173:174], v[173:174], v[179:180]
	v_fma_f64 v[179:180], v[4:5], v[10:11], v[183:184]
	v_fma_f64 v[181:182], v[2:3], v[10:11], -v[12:13]
	ds_load_b128 v[2:5], v1 offset:1440
	scratch_load_b128 v[10:13], off, off offset:672
	v_fma_f64 v[167:168], v[167:168], v[14:15], v[177:178]
	v_fma_f64 v[165:166], v[165:166], v[14:15], -v[16:17]
	scratch_load_b128 v[14:17], off, off offset:688
	v_add_f64_e32 v[175:176], v[175:176], v[169:170]
	v_add_f64_e32 v[173:174], v[173:174], v[171:172]
	ds_load_b128 v[169:172], v1 offset:1456
	s_wait_loadcnt_dscnt 0x901
	v_mul_f64_e32 v[183:184], v[2:3], v[20:21]
	v_mul_f64_e32 v[20:21], v[4:5], v[20:21]
	;; [unrolled: 18-line block ×9, first 2 shown]
	s_wait_loadcnt_dscnt 0x800
	v_mul_f64_e32 v[177:178], v[165:166], v[40:41]
	v_mul_f64_e32 v[40:41], v[167:168], v[40:41]
	v_add_f64_e32 v[175:176], v[175:176], v[181:182]
	v_add_f64_e32 v[173:174], v[173:174], v[179:180]
	v_fma_f64 v[179:180], v[4:5], v[34:35], v[183:184]
	v_fma_f64 v[181:182], v[2:3], v[34:35], -v[36:37]
	ds_load_b128 v[2:5], v1 offset:1696
	ds_load_b128 v[34:37], v1 offset:1712
	v_fma_f64 v[167:168], v[167:168], v[38:39], v[177:178]
	v_fma_f64 v[38:39], v[165:166], v[38:39], -v[40:41]
	v_add_f64_e32 v[169:170], v[175:176], v[169:170]
	v_add_f64_e32 v[171:172], v[173:174], v[171:172]
	s_wait_loadcnt_dscnt 0x701
	v_mul_f64_e32 v[173:174], v[2:3], v[44:45]
	v_mul_f64_e32 v[44:45], v[4:5], v[44:45]
	s_delay_alu instid0(VALU_DEP_4) | instskip(NEXT) | instid1(VALU_DEP_4)
	v_add_f64_e32 v[40:41], v[169:170], v[181:182]
	v_add_f64_e32 v[165:166], v[171:172], v[179:180]
	s_wait_loadcnt_dscnt 0x600
	v_mul_f64_e32 v[169:170], v[34:35], v[8:9]
	v_mul_f64_e32 v[8:9], v[36:37], v[8:9]
	v_fma_f64 v[171:172], v[4:5], v[42:43], v[173:174]
	v_fma_f64 v[42:43], v[2:3], v[42:43], -v[44:45]
	v_add_f64_e32 v[44:45], v[40:41], v[38:39]
	v_add_f64_e32 v[165:166], v[165:166], v[167:168]
	ds_load_b128 v[2:5], v1 offset:1728
	ds_load_b128 v[38:41], v1 offset:1744
	v_fma_f64 v[36:37], v[36:37], v[6:7], v[169:170]
	v_fma_f64 v[6:7], v[34:35], v[6:7], -v[8:9]
	s_wait_loadcnt_dscnt 0x501
	v_mul_f64_e32 v[167:168], v[2:3], v[12:13]
	v_mul_f64_e32 v[12:13], v[4:5], v[12:13]
	v_add_f64_e32 v[8:9], v[44:45], v[42:43]
	v_add_f64_e32 v[34:35], v[165:166], v[171:172]
	s_wait_loadcnt_dscnt 0x400
	v_mul_f64_e32 v[42:43], v[38:39], v[16:17]
	v_mul_f64_e32 v[16:17], v[40:41], v[16:17]
	v_fma_f64 v[44:45], v[4:5], v[10:11], v[167:168]
	v_fma_f64 v[10:11], v[2:3], v[10:11], -v[12:13]
	v_add_f64_e32 v[12:13], v[8:9], v[6:7]
	v_add_f64_e32 v[34:35], v[34:35], v[36:37]
	ds_load_b128 v[2:5], v1 offset:1760
	ds_load_b128 v[6:9], v1 offset:1776
	v_fma_f64 v[40:41], v[40:41], v[14:15], v[42:43]
	v_fma_f64 v[14:15], v[38:39], v[14:15], -v[16:17]
	s_wait_loadcnt_dscnt 0x301
	v_mul_f64_e32 v[36:37], v[2:3], v[20:21]
	v_mul_f64_e32 v[20:21], v[4:5], v[20:21]
	s_wait_loadcnt_dscnt 0x200
	v_mul_f64_e32 v[16:17], v[6:7], v[24:25]
	v_mul_f64_e32 v[24:25], v[8:9], v[24:25]
	v_add_f64_e32 v[10:11], v[12:13], v[10:11]
	v_add_f64_e32 v[12:13], v[34:35], v[44:45]
	v_fma_f64 v[34:35], v[4:5], v[18:19], v[36:37]
	v_fma_f64 v[18:19], v[2:3], v[18:19], -v[20:21]
	v_fma_f64 v[8:9], v[8:9], v[22:23], v[16:17]
	v_fma_f64 v[6:7], v[6:7], v[22:23], -v[24:25]
	v_add_f64_e32 v[14:15], v[10:11], v[14:15]
	v_add_f64_e32 v[20:21], v[12:13], v[40:41]
	ds_load_b128 v[2:5], v1 offset:1792
	ds_load_b128 v[10:13], v1 offset:1808
	s_wait_loadcnt_dscnt 0x101
	v_mul_f64_e32 v[36:37], v[2:3], v[28:29]
	v_mul_f64_e32 v[28:29], v[4:5], v[28:29]
	v_add_f64_e32 v[14:15], v[14:15], v[18:19]
	v_add_f64_e32 v[16:17], v[20:21], v[34:35]
	s_wait_loadcnt_dscnt 0x0
	v_mul_f64_e32 v[18:19], v[10:11], v[32:33]
	v_mul_f64_e32 v[20:21], v[12:13], v[32:33]
	v_fma_f64 v[4:5], v[4:5], v[26:27], v[36:37]
	v_fma_f64 v[1:2], v[2:3], v[26:27], -v[28:29]
	v_add_f64_e32 v[6:7], v[14:15], v[6:7]
	v_add_f64_e32 v[8:9], v[16:17], v[8:9]
	v_fma_f64 v[12:13], v[12:13], v[30:31], v[18:19]
	v_fma_f64 v[10:11], v[10:11], v[30:31], -v[20:21]
	s_delay_alu instid0(VALU_DEP_4) | instskip(NEXT) | instid1(VALU_DEP_4)
	v_add_f64_e32 v[1:2], v[6:7], v[1:2]
	v_add_f64_e32 v[3:4], v[8:9], v[4:5]
	s_delay_alu instid0(VALU_DEP_2) | instskip(NEXT) | instid1(VALU_DEP_2)
	v_add_f64_e32 v[1:2], v[1:2], v[10:11]
	v_add_f64_e32 v[3:4], v[3:4], v[12:13]
	s_delay_alu instid0(VALU_DEP_2) | instskip(NEXT) | instid1(VALU_DEP_2)
	v_add_f64_e64 v[1:2], v[161:162], -v[1:2]
	v_add_f64_e64 v[3:4], v[163:164], -v[3:4]
	scratch_store_b128 off, v[1:4], off offset:144
	v_cmpx_lt_u32_e32 7, v0
	s_cbranch_execz .LBB120_341
; %bb.340:
	scratch_load_b128 v[1:4], off, s63
	v_mov_b32_e32 v5, 0
	s_delay_alu instid0(VALU_DEP_1)
	v_dual_mov_b32 v6, v5 :: v_dual_mov_b32 v7, v5
	v_mov_b32_e32 v8, v5
	scratch_store_b128 off, v[5:8], off offset:128
	s_wait_loadcnt 0x0
	ds_store_b128 v160, v[1:4]
.LBB120_341:
	s_wait_alu 0xfffe
	s_or_b32 exec_lo, exec_lo, s0
	s_wait_storecnt_dscnt 0x0
	s_barrier_signal -1
	s_barrier_wait -1
	global_inv scope:SCOPE_SE
	s_clause 0x7
	scratch_load_b128 v[2:5], off, off offset:144
	scratch_load_b128 v[6:9], off, off offset:160
	;; [unrolled: 1-line block ×8, first 2 shown]
	v_mov_b32_e32 v1, 0
	s_mov_b32 s0, exec_lo
	ds_load_b128 v[38:41], v1 offset:1040
	s_clause 0x1
	scratch_load_b128 v[34:37], off, off offset:272
	scratch_load_b128 v[42:45], off, off offset:128
	ds_load_b128 v[161:164], v1 offset:1056
	scratch_load_b128 v[165:168], off, off offset:288
	s_wait_loadcnt_dscnt 0xa01
	v_mul_f64_e32 v[169:170], v[40:41], v[4:5]
	v_mul_f64_e32 v[4:5], v[38:39], v[4:5]
	s_delay_alu instid0(VALU_DEP_2) | instskip(NEXT) | instid1(VALU_DEP_2)
	v_fma_f64 v[175:176], v[38:39], v[2:3], -v[169:170]
	v_fma_f64 v[177:178], v[40:41], v[2:3], v[4:5]
	ds_load_b128 v[2:5], v1 offset:1072
	s_wait_loadcnt_dscnt 0x901
	v_mul_f64_e32 v[173:174], v[161:162], v[8:9]
	v_mul_f64_e32 v[8:9], v[163:164], v[8:9]
	scratch_load_b128 v[38:41], off, off offset:304
	ds_load_b128 v[169:172], v1 offset:1088
	s_wait_loadcnt_dscnt 0x901
	v_mul_f64_e32 v[179:180], v[2:3], v[12:13]
	v_mul_f64_e32 v[12:13], v[4:5], v[12:13]
	v_fma_f64 v[163:164], v[163:164], v[6:7], v[173:174]
	v_fma_f64 v[161:162], v[161:162], v[6:7], -v[8:9]
	v_add_f64_e32 v[173:174], 0, v[175:176]
	v_add_f64_e32 v[175:176], 0, v[177:178]
	scratch_load_b128 v[6:9], off, off offset:320
	v_fma_f64 v[179:180], v[4:5], v[10:11], v[179:180]
	v_fma_f64 v[181:182], v[2:3], v[10:11], -v[12:13]
	ds_load_b128 v[2:5], v1 offset:1104
	s_wait_loadcnt_dscnt 0x901
	v_mul_f64_e32 v[177:178], v[169:170], v[16:17]
	v_mul_f64_e32 v[16:17], v[171:172], v[16:17]
	scratch_load_b128 v[10:13], off, off offset:336
	v_add_f64_e32 v[173:174], v[173:174], v[161:162]
	v_add_f64_e32 v[175:176], v[175:176], v[163:164]
	s_wait_loadcnt_dscnt 0x900
	v_mul_f64_e32 v[183:184], v[2:3], v[20:21]
	v_mul_f64_e32 v[20:21], v[4:5], v[20:21]
	ds_load_b128 v[161:164], v1 offset:1120
	v_fma_f64 v[171:172], v[171:172], v[14:15], v[177:178]
	v_fma_f64 v[169:170], v[169:170], v[14:15], -v[16:17]
	scratch_load_b128 v[14:17], off, off offset:352
	v_add_f64_e32 v[173:174], v[173:174], v[181:182]
	v_add_f64_e32 v[175:176], v[175:176], v[179:180]
	v_fma_f64 v[179:180], v[4:5], v[18:19], v[183:184]
	v_fma_f64 v[181:182], v[2:3], v[18:19], -v[20:21]
	ds_load_b128 v[2:5], v1 offset:1136
	s_wait_loadcnt_dscnt 0x901
	v_mul_f64_e32 v[177:178], v[161:162], v[24:25]
	v_mul_f64_e32 v[24:25], v[163:164], v[24:25]
	scratch_load_b128 v[18:21], off, off offset:368
	s_wait_loadcnt_dscnt 0x900
	v_mul_f64_e32 v[183:184], v[2:3], v[28:29]
	v_mul_f64_e32 v[28:29], v[4:5], v[28:29]
	v_add_f64_e32 v[173:174], v[173:174], v[169:170]
	v_add_f64_e32 v[175:176], v[175:176], v[171:172]
	ds_load_b128 v[169:172], v1 offset:1152
	v_fma_f64 v[163:164], v[163:164], v[22:23], v[177:178]
	v_fma_f64 v[161:162], v[161:162], v[22:23], -v[24:25]
	scratch_load_b128 v[22:25], off, off offset:384
	v_add_f64_e32 v[173:174], v[173:174], v[181:182]
	v_add_f64_e32 v[175:176], v[175:176], v[179:180]
	v_fma_f64 v[179:180], v[4:5], v[26:27], v[183:184]
	v_fma_f64 v[181:182], v[2:3], v[26:27], -v[28:29]
	ds_load_b128 v[2:5], v1 offset:1168
	s_wait_loadcnt_dscnt 0x901
	v_mul_f64_e32 v[177:178], v[169:170], v[32:33]
	v_mul_f64_e32 v[32:33], v[171:172], v[32:33]
	scratch_load_b128 v[26:29], off, off offset:400
	s_wait_loadcnt_dscnt 0x900
	v_mul_f64_e32 v[183:184], v[2:3], v[36:37]
	v_mul_f64_e32 v[36:37], v[4:5], v[36:37]
	v_add_f64_e32 v[173:174], v[173:174], v[161:162]
	v_add_f64_e32 v[175:176], v[175:176], v[163:164]
	ds_load_b128 v[161:164], v1 offset:1184
	v_fma_f64 v[171:172], v[171:172], v[30:31], v[177:178]
	v_fma_f64 v[169:170], v[169:170], v[30:31], -v[32:33]
	scratch_load_b128 v[30:33], off, off offset:416
	v_add_f64_e32 v[173:174], v[173:174], v[181:182]
	v_add_f64_e32 v[175:176], v[175:176], v[179:180]
	v_fma_f64 v[181:182], v[4:5], v[34:35], v[183:184]
	v_fma_f64 v[183:184], v[2:3], v[34:35], -v[36:37]
	ds_load_b128 v[2:5], v1 offset:1200
	s_wait_loadcnt_dscnt 0x801
	v_mul_f64_e32 v[177:178], v[161:162], v[167:168]
	v_mul_f64_e32 v[179:180], v[163:164], v[167:168]
	scratch_load_b128 v[34:37], off, off offset:432
	v_add_f64_e32 v[173:174], v[173:174], v[169:170]
	v_add_f64_e32 v[171:172], v[175:176], v[171:172]
	ds_load_b128 v[167:170], v1 offset:1216
	v_fma_f64 v[177:178], v[163:164], v[165:166], v[177:178]
	v_fma_f64 v[165:166], v[161:162], v[165:166], -v[179:180]
	scratch_load_b128 v[161:164], off, off offset:448
	s_wait_loadcnt_dscnt 0x901
	v_mul_f64_e32 v[175:176], v[2:3], v[40:41]
	v_mul_f64_e32 v[40:41], v[4:5], v[40:41]
	v_add_f64_e32 v[173:174], v[173:174], v[183:184]
	v_add_f64_e32 v[171:172], v[171:172], v[181:182]
	s_delay_alu instid0(VALU_DEP_4) | instskip(NEXT) | instid1(VALU_DEP_4)
	v_fma_f64 v[175:176], v[4:5], v[38:39], v[175:176]
	v_fma_f64 v[181:182], v[2:3], v[38:39], -v[40:41]
	ds_load_b128 v[2:5], v1 offset:1232
	s_wait_loadcnt_dscnt 0x801
	v_mul_f64_e32 v[179:180], v[167:168], v[8:9]
	v_mul_f64_e32 v[8:9], v[169:170], v[8:9]
	scratch_load_b128 v[38:41], off, off offset:464
	s_wait_loadcnt_dscnt 0x800
	v_mul_f64_e32 v[183:184], v[2:3], v[12:13]
	v_add_f64_e32 v[165:166], v[173:174], v[165:166]
	v_add_f64_e32 v[177:178], v[171:172], v[177:178]
	v_mul_f64_e32 v[12:13], v[4:5], v[12:13]
	ds_load_b128 v[171:174], v1 offset:1248
	v_fma_f64 v[169:170], v[169:170], v[6:7], v[179:180]
	v_fma_f64 v[167:168], v[167:168], v[6:7], -v[8:9]
	scratch_load_b128 v[6:9], off, off offset:480
	v_fma_f64 v[179:180], v[4:5], v[10:11], v[183:184]
	v_add_f64_e32 v[165:166], v[165:166], v[181:182]
	v_add_f64_e32 v[175:176], v[177:178], v[175:176]
	v_fma_f64 v[181:182], v[2:3], v[10:11], -v[12:13]
	ds_load_b128 v[2:5], v1 offset:1264
	s_wait_loadcnt_dscnt 0x801
	v_mul_f64_e32 v[177:178], v[171:172], v[16:17]
	v_mul_f64_e32 v[16:17], v[173:174], v[16:17]
	scratch_load_b128 v[10:13], off, off offset:496
	v_add_f64_e32 v[183:184], v[165:166], v[167:168]
	v_add_f64_e32 v[169:170], v[175:176], v[169:170]
	s_wait_loadcnt_dscnt 0x800
	v_mul_f64_e32 v[175:176], v[2:3], v[20:21]
	v_mul_f64_e32 v[20:21], v[4:5], v[20:21]
	v_fma_f64 v[173:174], v[173:174], v[14:15], v[177:178]
	v_fma_f64 v[171:172], v[171:172], v[14:15], -v[16:17]
	ds_load_b128 v[165:168], v1 offset:1280
	scratch_load_b128 v[14:17], off, off offset:512
	v_add_f64_e32 v[177:178], v[183:184], v[181:182]
	v_add_f64_e32 v[169:170], v[169:170], v[179:180]
	v_fma_f64 v[175:176], v[4:5], v[18:19], v[175:176]
	v_fma_f64 v[181:182], v[2:3], v[18:19], -v[20:21]
	ds_load_b128 v[2:5], v1 offset:1296
	s_wait_loadcnt_dscnt 0x801
	v_mul_f64_e32 v[179:180], v[165:166], v[24:25]
	v_mul_f64_e32 v[24:25], v[167:168], v[24:25]
	scratch_load_b128 v[18:21], off, off offset:528
	s_wait_loadcnt_dscnt 0x800
	v_mul_f64_e32 v[183:184], v[2:3], v[28:29]
	v_mul_f64_e32 v[28:29], v[4:5], v[28:29]
	v_add_f64_e32 v[177:178], v[177:178], v[171:172]
	v_add_f64_e32 v[173:174], v[169:170], v[173:174]
	ds_load_b128 v[169:172], v1 offset:1312
	v_fma_f64 v[167:168], v[167:168], v[22:23], v[179:180]
	v_fma_f64 v[165:166], v[165:166], v[22:23], -v[24:25]
	scratch_load_b128 v[22:25], off, off offset:544
	v_fma_f64 v[179:180], v[4:5], v[26:27], v[183:184]
	v_add_f64_e32 v[177:178], v[177:178], v[181:182]
	v_add_f64_e32 v[173:174], v[173:174], v[175:176]
	v_fma_f64 v[181:182], v[2:3], v[26:27], -v[28:29]
	ds_load_b128 v[2:5], v1 offset:1328
	s_wait_loadcnt_dscnt 0x801
	v_mul_f64_e32 v[175:176], v[169:170], v[32:33]
	v_mul_f64_e32 v[32:33], v[171:172], v[32:33]
	scratch_load_b128 v[26:29], off, off offset:560
	s_wait_loadcnt_dscnt 0x800
	v_mul_f64_e32 v[183:184], v[2:3], v[36:37]
	v_mul_f64_e32 v[36:37], v[4:5], v[36:37]
	v_add_f64_e32 v[177:178], v[177:178], v[165:166]
	v_add_f64_e32 v[173:174], v[173:174], v[167:168]
	ds_load_b128 v[165:168], v1 offset:1344
	v_fma_f64 v[171:172], v[171:172], v[30:31], v[175:176]
	v_fma_f64 v[169:170], v[169:170], v[30:31], -v[32:33]
	scratch_load_b128 v[30:33], off, off offset:576
	v_add_f64_e32 v[175:176], v[177:178], v[181:182]
	v_add_f64_e32 v[173:174], v[173:174], v[179:180]
	v_fma_f64 v[179:180], v[4:5], v[34:35], v[183:184]
	v_fma_f64 v[181:182], v[2:3], v[34:35], -v[36:37]
	ds_load_b128 v[2:5], v1 offset:1360
	s_wait_loadcnt_dscnt 0x801
	v_mul_f64_e32 v[177:178], v[165:166], v[163:164]
	v_mul_f64_e32 v[163:164], v[167:168], v[163:164]
	scratch_load_b128 v[34:37], off, off offset:592
	s_wait_loadcnt_dscnt 0x800
	v_mul_f64_e32 v[183:184], v[2:3], v[40:41]
	v_mul_f64_e32 v[40:41], v[4:5], v[40:41]
	v_add_f64_e32 v[175:176], v[175:176], v[169:170]
	v_add_f64_e32 v[173:174], v[173:174], v[171:172]
	ds_load_b128 v[169:172], v1 offset:1376
	v_fma_f64 v[167:168], v[167:168], v[161:162], v[177:178]
	v_fma_f64 v[165:166], v[165:166], v[161:162], -v[163:164]
	scratch_load_b128 v[161:164], off, off offset:608
	v_add_f64_e32 v[175:176], v[175:176], v[181:182]
	v_add_f64_e32 v[173:174], v[173:174], v[179:180]
	v_fma_f64 v[179:180], v[4:5], v[38:39], v[183:184]
	;; [unrolled: 18-line block ×6, first 2 shown]
	v_fma_f64 v[183:184], v[2:3], v[34:35], -v[36:37]
	ds_load_b128 v[2:5], v1 offset:1520
	s_wait_loadcnt_dscnt 0x801
	v_mul_f64_e32 v[177:178], v[169:170], v[163:164]
	v_mul_f64_e32 v[179:180], v[171:172], v[163:164]
	scratch_load_b128 v[34:37], off, off offset:752
	v_add_f64_e32 v[175:176], v[175:176], v[165:166]
	v_add_f64_e32 v[167:168], v[173:174], v[167:168]
	s_wait_loadcnt_dscnt 0x800
	v_mul_f64_e32 v[173:174], v[2:3], v[40:41]
	v_mul_f64_e32 v[40:41], v[4:5], v[40:41]
	ds_load_b128 v[163:166], v1 offset:1536
	v_fma_f64 v[171:172], v[171:172], v[161:162], v[177:178]
	v_fma_f64 v[161:162], v[169:170], v[161:162], -v[179:180]
	v_add_f64_e32 v[175:176], v[175:176], v[183:184]
	v_add_f64_e32 v[177:178], v[167:168], v[181:182]
	scratch_load_b128 v[167:170], off, off offset:768
	v_fma_f64 v[181:182], v[4:5], v[38:39], v[173:174]
	v_fma_f64 v[183:184], v[2:3], v[38:39], -v[40:41]
	ds_load_b128 v[2:5], v1 offset:1552
	s_wait_loadcnt_dscnt 0x801
	v_mul_f64_e32 v[179:180], v[163:164], v[8:9]
	v_mul_f64_e32 v[8:9], v[165:166], v[8:9]
	scratch_load_b128 v[38:41], off, off offset:784
	v_add_f64_e32 v[161:162], v[175:176], v[161:162]
	v_add_f64_e32 v[175:176], v[177:178], v[171:172]
	s_wait_loadcnt_dscnt 0x800
	v_mul_f64_e32 v[177:178], v[2:3], v[12:13]
	v_mul_f64_e32 v[12:13], v[4:5], v[12:13]
	ds_load_b128 v[171:174], v1 offset:1568
	v_fma_f64 v[165:166], v[165:166], v[6:7], v[179:180]
	v_fma_f64 v[163:164], v[163:164], v[6:7], -v[8:9]
	scratch_load_b128 v[6:9], off, off offset:800
	v_add_f64_e32 v[161:162], v[161:162], v[183:184]
	v_add_f64_e32 v[175:176], v[175:176], v[181:182]
	v_fma_f64 v[177:178], v[4:5], v[10:11], v[177:178]
	v_fma_f64 v[181:182], v[2:3], v[10:11], -v[12:13]
	ds_load_b128 v[2:5], v1 offset:1584
	s_wait_loadcnt_dscnt 0x801
	v_mul_f64_e32 v[179:180], v[171:172], v[16:17]
	v_mul_f64_e32 v[16:17], v[173:174], v[16:17]
	scratch_load_b128 v[10:13], off, off offset:816
	v_add_f64_e32 v[183:184], v[161:162], v[163:164]
	v_add_f64_e32 v[165:166], v[175:176], v[165:166]
	s_wait_loadcnt_dscnt 0x800
	v_mul_f64_e32 v[175:176], v[2:3], v[20:21]
	v_mul_f64_e32 v[20:21], v[4:5], v[20:21]
	ds_load_b128 v[161:164], v1 offset:1600
	v_fma_f64 v[173:174], v[173:174], v[14:15], v[179:180]
	v_fma_f64 v[171:172], v[171:172], v[14:15], -v[16:17]
	scratch_load_b128 v[14:17], off, off offset:832
	v_add_f64_e32 v[179:180], v[183:184], v[181:182]
	v_add_f64_e32 v[165:166], v[165:166], v[177:178]
	v_fma_f64 v[175:176], v[4:5], v[18:19], v[175:176]
	v_fma_f64 v[181:182], v[2:3], v[18:19], -v[20:21]
	ds_load_b128 v[2:5], v1 offset:1616
	s_wait_loadcnt_dscnt 0x801
	v_mul_f64_e32 v[177:178], v[161:162], v[24:25]
	v_mul_f64_e32 v[24:25], v[163:164], v[24:25]
	scratch_load_b128 v[18:21], off, off offset:848
	s_wait_loadcnt_dscnt 0x800
	v_mul_f64_e32 v[183:184], v[2:3], v[28:29]
	v_mul_f64_e32 v[28:29], v[4:5], v[28:29]
	v_add_f64_e32 v[179:180], v[179:180], v[171:172]
	v_add_f64_e32 v[165:166], v[165:166], v[173:174]
	ds_load_b128 v[171:174], v1 offset:1632
	v_fma_f64 v[163:164], v[163:164], v[22:23], v[177:178]
	v_fma_f64 v[161:162], v[161:162], v[22:23], -v[24:25]
	scratch_load_b128 v[22:25], off, off offset:864
	v_add_f64_e32 v[177:178], v[179:180], v[181:182]
	v_add_f64_e32 v[165:166], v[165:166], v[175:176]
	v_fma_f64 v[179:180], v[4:5], v[26:27], v[183:184]
	v_fma_f64 v[181:182], v[2:3], v[26:27], -v[28:29]
	ds_load_b128 v[2:5], v1 offset:1648
	s_wait_loadcnt_dscnt 0x801
	v_mul_f64_e32 v[175:176], v[171:172], v[32:33]
	v_mul_f64_e32 v[32:33], v[173:174], v[32:33]
	scratch_load_b128 v[26:29], off, off offset:880
	s_wait_loadcnt_dscnt 0x800
	v_mul_f64_e32 v[183:184], v[2:3], v[36:37]
	v_mul_f64_e32 v[36:37], v[4:5], v[36:37]
	v_add_f64_e32 v[177:178], v[177:178], v[161:162]
	v_add_f64_e32 v[165:166], v[165:166], v[163:164]
	ds_load_b128 v[161:164], v1 offset:1664
	v_fma_f64 v[173:174], v[173:174], v[30:31], v[175:176]
	v_fma_f64 v[171:172], v[171:172], v[30:31], -v[32:33]
	scratch_load_b128 v[30:33], off, off offset:896
	v_add_f64_e32 v[175:176], v[177:178], v[181:182]
	v_add_f64_e32 v[165:166], v[165:166], v[179:180]
	v_fma_f64 v[181:182], v[4:5], v[34:35], v[183:184]
	v_fma_f64 v[183:184], v[2:3], v[34:35], -v[36:37]
	ds_load_b128 v[2:5], v1 offset:1680
	scratch_load_b128 v[34:37], off, off offset:912
	s_wait_loadcnt_dscnt 0x901
	v_mul_f64_e32 v[177:178], v[161:162], v[169:170]
	v_mul_f64_e32 v[179:180], v[163:164], v[169:170]
	v_add_f64_e32 v[175:176], v[175:176], v[171:172]
	v_add_f64_e32 v[165:166], v[165:166], v[173:174]
	s_wait_loadcnt_dscnt 0x800
	v_mul_f64_e32 v[173:174], v[2:3], v[40:41]
	v_mul_f64_e32 v[40:41], v[4:5], v[40:41]
	ds_load_b128 v[169:172], v1 offset:1696
	v_fma_f64 v[163:164], v[163:164], v[167:168], v[177:178]
	v_fma_f64 v[161:162], v[161:162], v[167:168], -v[179:180]
	v_add_f64_e32 v[167:168], v[175:176], v[183:184]
	v_add_f64_e32 v[165:166], v[165:166], v[181:182]
	s_wait_loadcnt_dscnt 0x700
	v_mul_f64_e32 v[175:176], v[169:170], v[8:9]
	v_mul_f64_e32 v[8:9], v[171:172], v[8:9]
	v_fma_f64 v[173:174], v[4:5], v[38:39], v[173:174]
	v_fma_f64 v[177:178], v[2:3], v[38:39], -v[40:41]
	ds_load_b128 v[2:5], v1 offset:1712
	ds_load_b128 v[38:41], v1 offset:1728
	v_add_f64_e32 v[161:162], v[167:168], v[161:162]
	v_add_f64_e32 v[163:164], v[165:166], v[163:164]
	s_wait_loadcnt_dscnt 0x601
	v_mul_f64_e32 v[165:166], v[2:3], v[12:13]
	v_mul_f64_e32 v[12:13], v[4:5], v[12:13]
	v_fma_f64 v[167:168], v[171:172], v[6:7], v[175:176]
	v_fma_f64 v[6:7], v[169:170], v[6:7], -v[8:9]
	v_add_f64_e32 v[8:9], v[161:162], v[177:178]
	v_add_f64_e32 v[161:162], v[163:164], v[173:174]
	s_wait_loadcnt_dscnt 0x500
	v_mul_f64_e32 v[163:164], v[38:39], v[16:17]
	v_mul_f64_e32 v[16:17], v[40:41], v[16:17]
	v_fma_f64 v[165:166], v[4:5], v[10:11], v[165:166]
	v_fma_f64 v[10:11], v[2:3], v[10:11], -v[12:13]
	v_add_f64_e32 v[12:13], v[8:9], v[6:7]
	v_add_f64_e32 v[161:162], v[161:162], v[167:168]
	ds_load_b128 v[2:5], v1 offset:1744
	ds_load_b128 v[6:9], v1 offset:1760
	v_fma_f64 v[40:41], v[40:41], v[14:15], v[163:164]
	v_fma_f64 v[14:15], v[38:39], v[14:15], -v[16:17]
	s_wait_loadcnt_dscnt 0x401
	v_mul_f64_e32 v[167:168], v[2:3], v[20:21]
	v_mul_f64_e32 v[20:21], v[4:5], v[20:21]
	s_wait_loadcnt_dscnt 0x300
	v_mul_f64_e32 v[16:17], v[6:7], v[24:25]
	v_mul_f64_e32 v[24:25], v[8:9], v[24:25]
	v_add_f64_e32 v[10:11], v[12:13], v[10:11]
	v_add_f64_e32 v[12:13], v[161:162], v[165:166]
	v_fma_f64 v[38:39], v[4:5], v[18:19], v[167:168]
	v_fma_f64 v[18:19], v[2:3], v[18:19], -v[20:21]
	v_fma_f64 v[8:9], v[8:9], v[22:23], v[16:17]
	v_fma_f64 v[6:7], v[6:7], v[22:23], -v[24:25]
	v_add_f64_e32 v[14:15], v[10:11], v[14:15]
	v_add_f64_e32 v[20:21], v[12:13], v[40:41]
	ds_load_b128 v[2:5], v1 offset:1776
	ds_load_b128 v[10:13], v1 offset:1792
	s_wait_loadcnt_dscnt 0x201
	v_mul_f64_e32 v[40:41], v[2:3], v[28:29]
	v_mul_f64_e32 v[28:29], v[4:5], v[28:29]
	v_add_f64_e32 v[14:15], v[14:15], v[18:19]
	v_add_f64_e32 v[16:17], v[20:21], v[38:39]
	s_wait_loadcnt_dscnt 0x100
	v_mul_f64_e32 v[18:19], v[10:11], v[32:33]
	v_mul_f64_e32 v[20:21], v[12:13], v[32:33]
	v_fma_f64 v[22:23], v[4:5], v[26:27], v[40:41]
	v_fma_f64 v[24:25], v[2:3], v[26:27], -v[28:29]
	ds_load_b128 v[2:5], v1 offset:1808
	v_add_f64_e32 v[6:7], v[14:15], v[6:7]
	v_add_f64_e32 v[8:9], v[16:17], v[8:9]
	v_fma_f64 v[12:13], v[12:13], v[30:31], v[18:19]
	v_fma_f64 v[10:11], v[10:11], v[30:31], -v[20:21]
	s_wait_loadcnt_dscnt 0x0
	v_mul_f64_e32 v[14:15], v[2:3], v[36:37]
	v_mul_f64_e32 v[16:17], v[4:5], v[36:37]
	v_add_f64_e32 v[6:7], v[6:7], v[24:25]
	v_add_f64_e32 v[8:9], v[8:9], v[22:23]
	s_delay_alu instid0(VALU_DEP_4) | instskip(NEXT) | instid1(VALU_DEP_4)
	v_fma_f64 v[4:5], v[4:5], v[34:35], v[14:15]
	v_fma_f64 v[2:3], v[2:3], v[34:35], -v[16:17]
	s_delay_alu instid0(VALU_DEP_4) | instskip(NEXT) | instid1(VALU_DEP_4)
	v_add_f64_e32 v[6:7], v[6:7], v[10:11]
	v_add_f64_e32 v[8:9], v[8:9], v[12:13]
	s_delay_alu instid0(VALU_DEP_2) | instskip(NEXT) | instid1(VALU_DEP_2)
	v_add_f64_e32 v[2:3], v[6:7], v[2:3]
	v_add_f64_e32 v[4:5], v[8:9], v[4:5]
	s_delay_alu instid0(VALU_DEP_2) | instskip(NEXT) | instid1(VALU_DEP_2)
	v_add_f64_e64 v[2:3], v[42:43], -v[2:3]
	v_add_f64_e64 v[4:5], v[44:45], -v[4:5]
	scratch_store_b128 off, v[2:5], off offset:128
	v_cmpx_lt_u32_e32 6, v0
	s_cbranch_execz .LBB120_343
; %bb.342:
	scratch_load_b128 v[5:8], off, s64
	v_dual_mov_b32 v2, v1 :: v_dual_mov_b32 v3, v1
	v_mov_b32_e32 v4, v1
	scratch_store_b128 off, v[1:4], off offset:112
	s_wait_loadcnt 0x0
	ds_store_b128 v160, v[5:8]
.LBB120_343:
	s_wait_alu 0xfffe
	s_or_b32 exec_lo, exec_lo, s0
	s_wait_storecnt_dscnt 0x0
	s_barrier_signal -1
	s_barrier_wait -1
	global_inv scope:SCOPE_SE
	s_clause 0x8
	scratch_load_b128 v[2:5], off, off offset:128
	scratch_load_b128 v[6:9], off, off offset:144
	;; [unrolled: 1-line block ×9, first 2 shown]
	ds_load_b128 v[42:45], v1 offset:1024
	ds_load_b128 v[38:41], v1 offset:1040
	s_clause 0x1
	scratch_load_b128 v[161:164], off, off offset:112
	scratch_load_b128 v[165:168], off, off offset:272
	s_mov_b32 s0, exec_lo
	s_wait_loadcnt_dscnt 0xa01
	v_mul_f64_e32 v[169:170], v[44:45], v[4:5]
	v_mul_f64_e32 v[4:5], v[42:43], v[4:5]
	s_wait_loadcnt_dscnt 0x900
	v_mul_f64_e32 v[173:174], v[38:39], v[8:9]
	v_mul_f64_e32 v[8:9], v[40:41], v[8:9]
	s_delay_alu instid0(VALU_DEP_4) | instskip(NEXT) | instid1(VALU_DEP_4)
	v_fma_f64 v[175:176], v[42:43], v[2:3], -v[169:170]
	v_fma_f64 v[177:178], v[44:45], v[2:3], v[4:5]
	ds_load_b128 v[2:5], v1 offset:1056
	ds_load_b128 v[169:172], v1 offset:1072
	scratch_load_b128 v[42:45], off, off offset:288
	v_fma_f64 v[40:41], v[40:41], v[6:7], v[173:174]
	v_fma_f64 v[38:39], v[38:39], v[6:7], -v[8:9]
	scratch_load_b128 v[6:9], off, off offset:304
	s_wait_loadcnt_dscnt 0xa01
	v_mul_f64_e32 v[179:180], v[2:3], v[12:13]
	v_mul_f64_e32 v[12:13], v[4:5], v[12:13]
	v_add_f64_e32 v[173:174], 0, v[175:176]
	v_add_f64_e32 v[175:176], 0, v[177:178]
	s_wait_loadcnt_dscnt 0x900
	v_mul_f64_e32 v[177:178], v[169:170], v[16:17]
	v_mul_f64_e32 v[16:17], v[171:172], v[16:17]
	v_fma_f64 v[179:180], v[4:5], v[10:11], v[179:180]
	v_fma_f64 v[181:182], v[2:3], v[10:11], -v[12:13]
	ds_load_b128 v[2:5], v1 offset:1088
	scratch_load_b128 v[10:13], off, off offset:320
	v_add_f64_e32 v[173:174], v[173:174], v[38:39]
	v_add_f64_e32 v[175:176], v[175:176], v[40:41]
	ds_load_b128 v[38:41], v1 offset:1104
	v_fma_f64 v[171:172], v[171:172], v[14:15], v[177:178]
	v_fma_f64 v[169:170], v[169:170], v[14:15], -v[16:17]
	scratch_load_b128 v[14:17], off, off offset:336
	s_wait_loadcnt_dscnt 0xa01
	v_mul_f64_e32 v[183:184], v[2:3], v[20:21]
	v_mul_f64_e32 v[20:21], v[4:5], v[20:21]
	s_wait_loadcnt_dscnt 0x900
	v_mul_f64_e32 v[177:178], v[38:39], v[24:25]
	v_mul_f64_e32 v[24:25], v[40:41], v[24:25]
	v_add_f64_e32 v[173:174], v[173:174], v[181:182]
	v_add_f64_e32 v[175:176], v[175:176], v[179:180]
	v_fma_f64 v[179:180], v[4:5], v[18:19], v[183:184]
	v_fma_f64 v[181:182], v[2:3], v[18:19], -v[20:21]
	ds_load_b128 v[2:5], v1 offset:1120
	scratch_load_b128 v[18:21], off, off offset:352
	v_fma_f64 v[40:41], v[40:41], v[22:23], v[177:178]
	v_fma_f64 v[38:39], v[38:39], v[22:23], -v[24:25]
	scratch_load_b128 v[22:25], off, off offset:368
	v_add_f64_e32 v[173:174], v[173:174], v[169:170]
	v_add_f64_e32 v[175:176], v[175:176], v[171:172]
	ds_load_b128 v[169:172], v1 offset:1136
	s_wait_loadcnt_dscnt 0xa01
	v_mul_f64_e32 v[183:184], v[2:3], v[28:29]
	v_mul_f64_e32 v[28:29], v[4:5], v[28:29]
	s_wait_loadcnt_dscnt 0x900
	v_mul_f64_e32 v[177:178], v[169:170], v[32:33]
	v_mul_f64_e32 v[32:33], v[171:172], v[32:33]
	v_add_f64_e32 v[173:174], v[173:174], v[181:182]
	v_add_f64_e32 v[175:176], v[175:176], v[179:180]
	v_fma_f64 v[179:180], v[4:5], v[26:27], v[183:184]
	v_fma_f64 v[181:182], v[2:3], v[26:27], -v[28:29]
	ds_load_b128 v[2:5], v1 offset:1152
	scratch_load_b128 v[26:29], off, off offset:384
	v_fma_f64 v[171:172], v[171:172], v[30:31], v[177:178]
	v_fma_f64 v[169:170], v[169:170], v[30:31], -v[32:33]
	scratch_load_b128 v[30:33], off, off offset:400
	v_add_f64_e32 v[173:174], v[173:174], v[38:39]
	v_add_f64_e32 v[175:176], v[175:176], v[40:41]
	ds_load_b128 v[38:41], v1 offset:1168
	s_wait_loadcnt_dscnt 0xa01
	v_mul_f64_e32 v[183:184], v[2:3], v[36:37]
	v_mul_f64_e32 v[36:37], v[4:5], v[36:37]
	s_wait_loadcnt_dscnt 0x800
	v_mul_f64_e32 v[177:178], v[38:39], v[167:168]
	v_add_f64_e32 v[173:174], v[173:174], v[181:182]
	v_add_f64_e32 v[175:176], v[175:176], v[179:180]
	v_mul_f64_e32 v[179:180], v[40:41], v[167:168]
	v_fma_f64 v[181:182], v[4:5], v[34:35], v[183:184]
	v_fma_f64 v[183:184], v[2:3], v[34:35], -v[36:37]
	ds_load_b128 v[2:5], v1 offset:1184
	scratch_load_b128 v[34:37], off, off offset:416
	v_fma_f64 v[177:178], v[40:41], v[165:166], v[177:178]
	v_add_f64_e32 v[173:174], v[173:174], v[169:170]
	v_add_f64_e32 v[171:172], v[175:176], v[171:172]
	ds_load_b128 v[167:170], v1 offset:1200
	v_fma_f64 v[165:166], v[38:39], v[165:166], -v[179:180]
	scratch_load_b128 v[38:41], off, off offset:432
	s_wait_loadcnt_dscnt 0x901
	v_mul_f64_e32 v[175:176], v[2:3], v[44:45]
	v_mul_f64_e32 v[44:45], v[4:5], v[44:45]
	s_wait_loadcnt_dscnt 0x800
	v_mul_f64_e32 v[179:180], v[167:168], v[8:9]
	v_mul_f64_e32 v[8:9], v[169:170], v[8:9]
	v_add_f64_e32 v[173:174], v[173:174], v[183:184]
	v_add_f64_e32 v[171:172], v[171:172], v[181:182]
	v_fma_f64 v[175:176], v[4:5], v[42:43], v[175:176]
	v_fma_f64 v[181:182], v[2:3], v[42:43], -v[44:45]
	ds_load_b128 v[2:5], v1 offset:1216
	scratch_load_b128 v[42:45], off, off offset:448
	v_fma_f64 v[169:170], v[169:170], v[6:7], v[179:180]
	v_fma_f64 v[167:168], v[167:168], v[6:7], -v[8:9]
	scratch_load_b128 v[6:9], off, off offset:464
	v_add_f64_e32 v[165:166], v[173:174], v[165:166]
	v_add_f64_e32 v[177:178], v[171:172], v[177:178]
	ds_load_b128 v[171:174], v1 offset:1232
	s_wait_loadcnt_dscnt 0x901
	v_mul_f64_e32 v[183:184], v[2:3], v[12:13]
	v_mul_f64_e32 v[12:13], v[4:5], v[12:13]
	v_add_f64_e32 v[165:166], v[165:166], v[181:182]
	v_add_f64_e32 v[175:176], v[177:178], v[175:176]
	s_wait_loadcnt_dscnt 0x800
	v_mul_f64_e32 v[177:178], v[171:172], v[16:17]
	v_mul_f64_e32 v[16:17], v[173:174], v[16:17]
	v_fma_f64 v[179:180], v[4:5], v[10:11], v[183:184]
	v_fma_f64 v[181:182], v[2:3], v[10:11], -v[12:13]
	ds_load_b128 v[2:5], v1 offset:1248
	scratch_load_b128 v[10:13], off, off offset:480
	v_add_f64_e32 v[183:184], v[165:166], v[167:168]
	v_add_f64_e32 v[169:170], v[175:176], v[169:170]
	ds_load_b128 v[165:168], v1 offset:1264
	s_wait_loadcnt_dscnt 0x801
	v_mul_f64_e32 v[175:176], v[2:3], v[20:21]
	v_mul_f64_e32 v[20:21], v[4:5], v[20:21]
	v_fma_f64 v[173:174], v[173:174], v[14:15], v[177:178]
	v_fma_f64 v[171:172], v[171:172], v[14:15], -v[16:17]
	scratch_load_b128 v[14:17], off, off offset:496
	v_add_f64_e32 v[177:178], v[183:184], v[181:182]
	v_add_f64_e32 v[169:170], v[169:170], v[179:180]
	s_wait_loadcnt_dscnt 0x800
	v_mul_f64_e32 v[179:180], v[165:166], v[24:25]
	v_mul_f64_e32 v[24:25], v[167:168], v[24:25]
	v_fma_f64 v[175:176], v[4:5], v[18:19], v[175:176]
	v_fma_f64 v[181:182], v[2:3], v[18:19], -v[20:21]
	ds_load_b128 v[2:5], v1 offset:1280
	scratch_load_b128 v[18:21], off, off offset:512
	v_add_f64_e32 v[177:178], v[177:178], v[171:172]
	v_add_f64_e32 v[173:174], v[169:170], v[173:174]
	ds_load_b128 v[169:172], v1 offset:1296
	s_wait_loadcnt_dscnt 0x801
	v_mul_f64_e32 v[183:184], v[2:3], v[28:29]
	v_mul_f64_e32 v[28:29], v[4:5], v[28:29]
	v_fma_f64 v[167:168], v[167:168], v[22:23], v[179:180]
	v_fma_f64 v[165:166], v[165:166], v[22:23], -v[24:25]
	scratch_load_b128 v[22:25], off, off offset:528
	;; [unrolled: 18-line block ×4, first 2 shown]
	s_wait_loadcnt_dscnt 0x800
	v_mul_f64_e32 v[177:178], v[169:170], v[8:9]
	v_mul_f64_e32 v[8:9], v[171:172], v[8:9]
	v_add_f64_e32 v[175:176], v[175:176], v[181:182]
	v_add_f64_e32 v[173:174], v[173:174], v[179:180]
	v_fma_f64 v[179:180], v[4:5], v[42:43], v[183:184]
	v_fma_f64 v[181:182], v[2:3], v[42:43], -v[44:45]
	ds_load_b128 v[2:5], v1 offset:1376
	scratch_load_b128 v[42:45], off, off offset:608
	v_fma_f64 v[171:172], v[171:172], v[6:7], v[177:178]
	v_fma_f64 v[169:170], v[169:170], v[6:7], -v[8:9]
	scratch_load_b128 v[6:9], off, off offset:624
	v_add_f64_e32 v[175:176], v[175:176], v[165:166]
	v_add_f64_e32 v[173:174], v[173:174], v[167:168]
	ds_load_b128 v[165:168], v1 offset:1392
	s_wait_loadcnt_dscnt 0x901
	v_mul_f64_e32 v[183:184], v[2:3], v[12:13]
	v_mul_f64_e32 v[12:13], v[4:5], v[12:13]
	s_wait_loadcnt_dscnt 0x800
	v_mul_f64_e32 v[177:178], v[165:166], v[16:17]
	v_mul_f64_e32 v[16:17], v[167:168], v[16:17]
	v_add_f64_e32 v[175:176], v[175:176], v[181:182]
	v_add_f64_e32 v[173:174], v[173:174], v[179:180]
	v_fma_f64 v[179:180], v[4:5], v[10:11], v[183:184]
	v_fma_f64 v[181:182], v[2:3], v[10:11], -v[12:13]
	ds_load_b128 v[2:5], v1 offset:1408
	scratch_load_b128 v[10:13], off, off offset:640
	v_fma_f64 v[167:168], v[167:168], v[14:15], v[177:178]
	v_fma_f64 v[165:166], v[165:166], v[14:15], -v[16:17]
	scratch_load_b128 v[14:17], off, off offset:656
	v_add_f64_e32 v[175:176], v[175:176], v[169:170]
	v_add_f64_e32 v[173:174], v[173:174], v[171:172]
	ds_load_b128 v[169:172], v1 offset:1424
	s_wait_loadcnt_dscnt 0x901
	v_mul_f64_e32 v[183:184], v[2:3], v[20:21]
	v_mul_f64_e32 v[20:21], v[4:5], v[20:21]
	;; [unrolled: 18-line block ×10, first 2 shown]
	s_wait_loadcnt_dscnt 0x800
	v_mul_f64_e32 v[177:178], v[169:170], v[8:9]
	v_mul_f64_e32 v[8:9], v[171:172], v[8:9]
	v_add_f64_e32 v[175:176], v[175:176], v[181:182]
	v_add_f64_e32 v[173:174], v[173:174], v[179:180]
	v_fma_f64 v[179:180], v[4:5], v[42:43], v[183:184]
	v_fma_f64 v[181:182], v[2:3], v[42:43], -v[44:45]
	ds_load_b128 v[2:5], v1 offset:1696
	ds_load_b128 v[42:45], v1 offset:1712
	v_fma_f64 v[171:172], v[171:172], v[6:7], v[177:178]
	v_fma_f64 v[6:7], v[169:170], v[6:7], -v[8:9]
	v_add_f64_e32 v[165:166], v[175:176], v[165:166]
	v_add_f64_e32 v[167:168], v[173:174], v[167:168]
	s_wait_loadcnt_dscnt 0x701
	v_mul_f64_e32 v[173:174], v[2:3], v[12:13]
	v_mul_f64_e32 v[12:13], v[4:5], v[12:13]
	s_delay_alu instid0(VALU_DEP_4) | instskip(NEXT) | instid1(VALU_DEP_4)
	v_add_f64_e32 v[8:9], v[165:166], v[181:182]
	v_add_f64_e32 v[165:166], v[167:168], v[179:180]
	s_wait_loadcnt_dscnt 0x600
	v_mul_f64_e32 v[167:168], v[42:43], v[16:17]
	v_mul_f64_e32 v[16:17], v[44:45], v[16:17]
	v_fma_f64 v[169:170], v[4:5], v[10:11], v[173:174]
	v_fma_f64 v[10:11], v[2:3], v[10:11], -v[12:13]
	v_add_f64_e32 v[12:13], v[8:9], v[6:7]
	v_add_f64_e32 v[165:166], v[165:166], v[171:172]
	ds_load_b128 v[2:5], v1 offset:1728
	ds_load_b128 v[6:9], v1 offset:1744
	v_fma_f64 v[44:45], v[44:45], v[14:15], v[167:168]
	v_fma_f64 v[14:15], v[42:43], v[14:15], -v[16:17]
	s_wait_loadcnt_dscnt 0x501
	v_mul_f64_e32 v[171:172], v[2:3], v[20:21]
	v_mul_f64_e32 v[20:21], v[4:5], v[20:21]
	s_wait_loadcnt_dscnt 0x400
	v_mul_f64_e32 v[16:17], v[6:7], v[24:25]
	v_mul_f64_e32 v[24:25], v[8:9], v[24:25]
	v_add_f64_e32 v[10:11], v[12:13], v[10:11]
	v_add_f64_e32 v[12:13], v[165:166], v[169:170]
	v_fma_f64 v[42:43], v[4:5], v[18:19], v[171:172]
	v_fma_f64 v[18:19], v[2:3], v[18:19], -v[20:21]
	v_fma_f64 v[8:9], v[8:9], v[22:23], v[16:17]
	v_fma_f64 v[6:7], v[6:7], v[22:23], -v[24:25]
	v_add_f64_e32 v[14:15], v[10:11], v[14:15]
	v_add_f64_e32 v[20:21], v[12:13], v[44:45]
	ds_load_b128 v[2:5], v1 offset:1760
	ds_load_b128 v[10:13], v1 offset:1776
	s_wait_loadcnt_dscnt 0x301
	v_mul_f64_e32 v[44:45], v[2:3], v[28:29]
	v_mul_f64_e32 v[28:29], v[4:5], v[28:29]
	v_add_f64_e32 v[14:15], v[14:15], v[18:19]
	v_add_f64_e32 v[16:17], v[20:21], v[42:43]
	s_wait_loadcnt_dscnt 0x200
	v_mul_f64_e32 v[18:19], v[10:11], v[32:33]
	v_mul_f64_e32 v[20:21], v[12:13], v[32:33]
	v_fma_f64 v[22:23], v[4:5], v[26:27], v[44:45]
	v_fma_f64 v[24:25], v[2:3], v[26:27], -v[28:29]
	v_add_f64_e32 v[14:15], v[14:15], v[6:7]
	v_add_f64_e32 v[16:17], v[16:17], v[8:9]
	ds_load_b128 v[2:5], v1 offset:1792
	ds_load_b128 v[6:9], v1 offset:1808
	v_fma_f64 v[12:13], v[12:13], v[30:31], v[18:19]
	v_fma_f64 v[10:11], v[10:11], v[30:31], -v[20:21]
	s_wait_loadcnt_dscnt 0x101
	v_mul_f64_e32 v[26:27], v[2:3], v[36:37]
	v_mul_f64_e32 v[28:29], v[4:5], v[36:37]
	s_wait_loadcnt_dscnt 0x0
	v_mul_f64_e32 v[18:19], v[6:7], v[40:41]
	v_mul_f64_e32 v[20:21], v[8:9], v[40:41]
	v_add_f64_e32 v[14:15], v[14:15], v[24:25]
	v_add_f64_e32 v[16:17], v[16:17], v[22:23]
	v_fma_f64 v[4:5], v[4:5], v[34:35], v[26:27]
	v_fma_f64 v[1:2], v[2:3], v[34:35], -v[28:29]
	v_fma_f64 v[8:9], v[8:9], v[38:39], v[18:19]
	v_fma_f64 v[6:7], v[6:7], v[38:39], -v[20:21]
	v_add_f64_e32 v[10:11], v[14:15], v[10:11]
	v_add_f64_e32 v[12:13], v[16:17], v[12:13]
	s_delay_alu instid0(VALU_DEP_2) | instskip(NEXT) | instid1(VALU_DEP_2)
	v_add_f64_e32 v[1:2], v[10:11], v[1:2]
	v_add_f64_e32 v[3:4], v[12:13], v[4:5]
	s_delay_alu instid0(VALU_DEP_2) | instskip(NEXT) | instid1(VALU_DEP_2)
	;; [unrolled: 3-line block ×3, first 2 shown]
	v_add_f64_e64 v[1:2], v[161:162], -v[1:2]
	v_add_f64_e64 v[3:4], v[163:164], -v[3:4]
	scratch_store_b128 off, v[1:4], off offset:112
	v_cmpx_lt_u32_e32 5, v0
	s_cbranch_execz .LBB120_345
; %bb.344:
	scratch_load_b128 v[1:4], off, s65
	v_mov_b32_e32 v5, 0
	s_delay_alu instid0(VALU_DEP_1)
	v_dual_mov_b32 v6, v5 :: v_dual_mov_b32 v7, v5
	v_mov_b32_e32 v8, v5
	scratch_store_b128 off, v[5:8], off offset:96
	s_wait_loadcnt 0x0
	ds_store_b128 v160, v[1:4]
.LBB120_345:
	s_wait_alu 0xfffe
	s_or_b32 exec_lo, exec_lo, s0
	s_wait_storecnt_dscnt 0x0
	s_barrier_signal -1
	s_barrier_wait -1
	global_inv scope:SCOPE_SE
	s_clause 0x7
	scratch_load_b128 v[2:5], off, off offset:112
	scratch_load_b128 v[6:9], off, off offset:128
	;; [unrolled: 1-line block ×8, first 2 shown]
	v_mov_b32_e32 v1, 0
	s_mov_b32 s0, exec_lo
	ds_load_b128 v[38:41], v1 offset:1008
	s_clause 0x1
	scratch_load_b128 v[34:37], off, off offset:240
	scratch_load_b128 v[42:45], off, off offset:96
	ds_load_b128 v[161:164], v1 offset:1024
	scratch_load_b128 v[165:168], off, off offset:256
	s_wait_loadcnt_dscnt 0xa01
	v_mul_f64_e32 v[169:170], v[40:41], v[4:5]
	v_mul_f64_e32 v[4:5], v[38:39], v[4:5]
	s_delay_alu instid0(VALU_DEP_2) | instskip(NEXT) | instid1(VALU_DEP_2)
	v_fma_f64 v[175:176], v[38:39], v[2:3], -v[169:170]
	v_fma_f64 v[177:178], v[40:41], v[2:3], v[4:5]
	ds_load_b128 v[2:5], v1 offset:1040
	s_wait_loadcnt_dscnt 0x901
	v_mul_f64_e32 v[173:174], v[161:162], v[8:9]
	v_mul_f64_e32 v[8:9], v[163:164], v[8:9]
	scratch_load_b128 v[38:41], off, off offset:272
	ds_load_b128 v[169:172], v1 offset:1056
	s_wait_loadcnt_dscnt 0x901
	v_mul_f64_e32 v[179:180], v[2:3], v[12:13]
	v_mul_f64_e32 v[12:13], v[4:5], v[12:13]
	v_fma_f64 v[163:164], v[163:164], v[6:7], v[173:174]
	v_fma_f64 v[161:162], v[161:162], v[6:7], -v[8:9]
	v_add_f64_e32 v[173:174], 0, v[175:176]
	v_add_f64_e32 v[175:176], 0, v[177:178]
	scratch_load_b128 v[6:9], off, off offset:288
	v_fma_f64 v[179:180], v[4:5], v[10:11], v[179:180]
	v_fma_f64 v[181:182], v[2:3], v[10:11], -v[12:13]
	ds_load_b128 v[2:5], v1 offset:1072
	s_wait_loadcnt_dscnt 0x901
	v_mul_f64_e32 v[177:178], v[169:170], v[16:17]
	v_mul_f64_e32 v[16:17], v[171:172], v[16:17]
	scratch_load_b128 v[10:13], off, off offset:304
	v_add_f64_e32 v[173:174], v[173:174], v[161:162]
	v_add_f64_e32 v[175:176], v[175:176], v[163:164]
	s_wait_loadcnt_dscnt 0x900
	v_mul_f64_e32 v[183:184], v[2:3], v[20:21]
	v_mul_f64_e32 v[20:21], v[4:5], v[20:21]
	ds_load_b128 v[161:164], v1 offset:1088
	v_fma_f64 v[171:172], v[171:172], v[14:15], v[177:178]
	v_fma_f64 v[169:170], v[169:170], v[14:15], -v[16:17]
	scratch_load_b128 v[14:17], off, off offset:320
	v_add_f64_e32 v[173:174], v[173:174], v[181:182]
	v_add_f64_e32 v[175:176], v[175:176], v[179:180]
	v_fma_f64 v[179:180], v[4:5], v[18:19], v[183:184]
	v_fma_f64 v[181:182], v[2:3], v[18:19], -v[20:21]
	ds_load_b128 v[2:5], v1 offset:1104
	s_wait_loadcnt_dscnt 0x901
	v_mul_f64_e32 v[177:178], v[161:162], v[24:25]
	v_mul_f64_e32 v[24:25], v[163:164], v[24:25]
	scratch_load_b128 v[18:21], off, off offset:336
	s_wait_loadcnt_dscnt 0x900
	v_mul_f64_e32 v[183:184], v[2:3], v[28:29]
	v_mul_f64_e32 v[28:29], v[4:5], v[28:29]
	v_add_f64_e32 v[173:174], v[173:174], v[169:170]
	v_add_f64_e32 v[175:176], v[175:176], v[171:172]
	ds_load_b128 v[169:172], v1 offset:1120
	v_fma_f64 v[163:164], v[163:164], v[22:23], v[177:178]
	v_fma_f64 v[161:162], v[161:162], v[22:23], -v[24:25]
	scratch_load_b128 v[22:25], off, off offset:352
	v_add_f64_e32 v[173:174], v[173:174], v[181:182]
	v_add_f64_e32 v[175:176], v[175:176], v[179:180]
	v_fma_f64 v[179:180], v[4:5], v[26:27], v[183:184]
	v_fma_f64 v[181:182], v[2:3], v[26:27], -v[28:29]
	ds_load_b128 v[2:5], v1 offset:1136
	s_wait_loadcnt_dscnt 0x901
	v_mul_f64_e32 v[177:178], v[169:170], v[32:33]
	v_mul_f64_e32 v[32:33], v[171:172], v[32:33]
	scratch_load_b128 v[26:29], off, off offset:368
	s_wait_loadcnt_dscnt 0x900
	v_mul_f64_e32 v[183:184], v[2:3], v[36:37]
	v_mul_f64_e32 v[36:37], v[4:5], v[36:37]
	v_add_f64_e32 v[173:174], v[173:174], v[161:162]
	v_add_f64_e32 v[175:176], v[175:176], v[163:164]
	ds_load_b128 v[161:164], v1 offset:1152
	v_fma_f64 v[171:172], v[171:172], v[30:31], v[177:178]
	v_fma_f64 v[169:170], v[169:170], v[30:31], -v[32:33]
	scratch_load_b128 v[30:33], off, off offset:384
	v_add_f64_e32 v[173:174], v[173:174], v[181:182]
	v_add_f64_e32 v[175:176], v[175:176], v[179:180]
	v_fma_f64 v[181:182], v[4:5], v[34:35], v[183:184]
	v_fma_f64 v[183:184], v[2:3], v[34:35], -v[36:37]
	ds_load_b128 v[2:5], v1 offset:1168
	s_wait_loadcnt_dscnt 0x801
	v_mul_f64_e32 v[177:178], v[161:162], v[167:168]
	v_mul_f64_e32 v[179:180], v[163:164], v[167:168]
	scratch_load_b128 v[34:37], off, off offset:400
	v_add_f64_e32 v[173:174], v[173:174], v[169:170]
	v_add_f64_e32 v[171:172], v[175:176], v[171:172]
	ds_load_b128 v[167:170], v1 offset:1184
	v_fma_f64 v[177:178], v[163:164], v[165:166], v[177:178]
	v_fma_f64 v[165:166], v[161:162], v[165:166], -v[179:180]
	scratch_load_b128 v[161:164], off, off offset:416
	s_wait_loadcnt_dscnt 0x901
	v_mul_f64_e32 v[175:176], v[2:3], v[40:41]
	v_mul_f64_e32 v[40:41], v[4:5], v[40:41]
	v_add_f64_e32 v[173:174], v[173:174], v[183:184]
	v_add_f64_e32 v[171:172], v[171:172], v[181:182]
	s_delay_alu instid0(VALU_DEP_4) | instskip(NEXT) | instid1(VALU_DEP_4)
	v_fma_f64 v[175:176], v[4:5], v[38:39], v[175:176]
	v_fma_f64 v[181:182], v[2:3], v[38:39], -v[40:41]
	ds_load_b128 v[2:5], v1 offset:1200
	s_wait_loadcnt_dscnt 0x801
	v_mul_f64_e32 v[179:180], v[167:168], v[8:9]
	v_mul_f64_e32 v[8:9], v[169:170], v[8:9]
	scratch_load_b128 v[38:41], off, off offset:432
	s_wait_loadcnt_dscnt 0x800
	v_mul_f64_e32 v[183:184], v[2:3], v[12:13]
	v_add_f64_e32 v[165:166], v[173:174], v[165:166]
	v_add_f64_e32 v[177:178], v[171:172], v[177:178]
	v_mul_f64_e32 v[12:13], v[4:5], v[12:13]
	ds_load_b128 v[171:174], v1 offset:1216
	v_fma_f64 v[169:170], v[169:170], v[6:7], v[179:180]
	v_fma_f64 v[167:168], v[167:168], v[6:7], -v[8:9]
	scratch_load_b128 v[6:9], off, off offset:448
	v_fma_f64 v[179:180], v[4:5], v[10:11], v[183:184]
	v_add_f64_e32 v[165:166], v[165:166], v[181:182]
	v_add_f64_e32 v[175:176], v[177:178], v[175:176]
	v_fma_f64 v[181:182], v[2:3], v[10:11], -v[12:13]
	ds_load_b128 v[2:5], v1 offset:1232
	s_wait_loadcnt_dscnt 0x801
	v_mul_f64_e32 v[177:178], v[171:172], v[16:17]
	v_mul_f64_e32 v[16:17], v[173:174], v[16:17]
	scratch_load_b128 v[10:13], off, off offset:464
	v_add_f64_e32 v[183:184], v[165:166], v[167:168]
	v_add_f64_e32 v[169:170], v[175:176], v[169:170]
	s_wait_loadcnt_dscnt 0x800
	v_mul_f64_e32 v[175:176], v[2:3], v[20:21]
	v_mul_f64_e32 v[20:21], v[4:5], v[20:21]
	v_fma_f64 v[173:174], v[173:174], v[14:15], v[177:178]
	v_fma_f64 v[171:172], v[171:172], v[14:15], -v[16:17]
	ds_load_b128 v[165:168], v1 offset:1248
	scratch_load_b128 v[14:17], off, off offset:480
	v_add_f64_e32 v[177:178], v[183:184], v[181:182]
	v_add_f64_e32 v[169:170], v[169:170], v[179:180]
	v_fma_f64 v[175:176], v[4:5], v[18:19], v[175:176]
	v_fma_f64 v[181:182], v[2:3], v[18:19], -v[20:21]
	ds_load_b128 v[2:5], v1 offset:1264
	s_wait_loadcnt_dscnt 0x801
	v_mul_f64_e32 v[179:180], v[165:166], v[24:25]
	v_mul_f64_e32 v[24:25], v[167:168], v[24:25]
	scratch_load_b128 v[18:21], off, off offset:496
	s_wait_loadcnt_dscnt 0x800
	v_mul_f64_e32 v[183:184], v[2:3], v[28:29]
	v_mul_f64_e32 v[28:29], v[4:5], v[28:29]
	v_add_f64_e32 v[177:178], v[177:178], v[171:172]
	v_add_f64_e32 v[173:174], v[169:170], v[173:174]
	ds_load_b128 v[169:172], v1 offset:1280
	v_fma_f64 v[167:168], v[167:168], v[22:23], v[179:180]
	v_fma_f64 v[165:166], v[165:166], v[22:23], -v[24:25]
	scratch_load_b128 v[22:25], off, off offset:512
	v_fma_f64 v[179:180], v[4:5], v[26:27], v[183:184]
	v_add_f64_e32 v[177:178], v[177:178], v[181:182]
	v_add_f64_e32 v[173:174], v[173:174], v[175:176]
	v_fma_f64 v[181:182], v[2:3], v[26:27], -v[28:29]
	ds_load_b128 v[2:5], v1 offset:1296
	s_wait_loadcnt_dscnt 0x801
	v_mul_f64_e32 v[175:176], v[169:170], v[32:33]
	v_mul_f64_e32 v[32:33], v[171:172], v[32:33]
	scratch_load_b128 v[26:29], off, off offset:528
	s_wait_loadcnt_dscnt 0x800
	v_mul_f64_e32 v[183:184], v[2:3], v[36:37]
	v_mul_f64_e32 v[36:37], v[4:5], v[36:37]
	v_add_f64_e32 v[177:178], v[177:178], v[165:166]
	v_add_f64_e32 v[173:174], v[173:174], v[167:168]
	ds_load_b128 v[165:168], v1 offset:1312
	v_fma_f64 v[171:172], v[171:172], v[30:31], v[175:176]
	v_fma_f64 v[169:170], v[169:170], v[30:31], -v[32:33]
	scratch_load_b128 v[30:33], off, off offset:544
	v_add_f64_e32 v[175:176], v[177:178], v[181:182]
	v_add_f64_e32 v[173:174], v[173:174], v[179:180]
	v_fma_f64 v[179:180], v[4:5], v[34:35], v[183:184]
	v_fma_f64 v[181:182], v[2:3], v[34:35], -v[36:37]
	ds_load_b128 v[2:5], v1 offset:1328
	s_wait_loadcnt_dscnt 0x801
	v_mul_f64_e32 v[177:178], v[165:166], v[163:164]
	v_mul_f64_e32 v[163:164], v[167:168], v[163:164]
	scratch_load_b128 v[34:37], off, off offset:560
	s_wait_loadcnt_dscnt 0x800
	v_mul_f64_e32 v[183:184], v[2:3], v[40:41]
	v_mul_f64_e32 v[40:41], v[4:5], v[40:41]
	v_add_f64_e32 v[175:176], v[175:176], v[169:170]
	v_add_f64_e32 v[173:174], v[173:174], v[171:172]
	ds_load_b128 v[169:172], v1 offset:1344
	v_fma_f64 v[167:168], v[167:168], v[161:162], v[177:178]
	v_fma_f64 v[165:166], v[165:166], v[161:162], -v[163:164]
	scratch_load_b128 v[161:164], off, off offset:576
	v_add_f64_e32 v[175:176], v[175:176], v[181:182]
	v_add_f64_e32 v[173:174], v[173:174], v[179:180]
	v_fma_f64 v[179:180], v[4:5], v[38:39], v[183:184]
	;; [unrolled: 18-line block ×6, first 2 shown]
	v_fma_f64 v[183:184], v[2:3], v[34:35], -v[36:37]
	ds_load_b128 v[2:5], v1 offset:1488
	s_wait_loadcnt_dscnt 0x801
	v_mul_f64_e32 v[177:178], v[169:170], v[163:164]
	v_mul_f64_e32 v[179:180], v[171:172], v[163:164]
	scratch_load_b128 v[34:37], off, off offset:720
	v_add_f64_e32 v[175:176], v[175:176], v[165:166]
	v_add_f64_e32 v[167:168], v[173:174], v[167:168]
	s_wait_loadcnt_dscnt 0x800
	v_mul_f64_e32 v[173:174], v[2:3], v[40:41]
	v_mul_f64_e32 v[40:41], v[4:5], v[40:41]
	ds_load_b128 v[163:166], v1 offset:1504
	v_fma_f64 v[171:172], v[171:172], v[161:162], v[177:178]
	v_fma_f64 v[161:162], v[169:170], v[161:162], -v[179:180]
	v_add_f64_e32 v[175:176], v[175:176], v[183:184]
	v_add_f64_e32 v[177:178], v[167:168], v[181:182]
	scratch_load_b128 v[167:170], off, off offset:736
	v_fma_f64 v[181:182], v[4:5], v[38:39], v[173:174]
	v_fma_f64 v[183:184], v[2:3], v[38:39], -v[40:41]
	ds_load_b128 v[2:5], v1 offset:1520
	s_wait_loadcnt_dscnt 0x801
	v_mul_f64_e32 v[179:180], v[163:164], v[8:9]
	v_mul_f64_e32 v[8:9], v[165:166], v[8:9]
	scratch_load_b128 v[38:41], off, off offset:752
	v_add_f64_e32 v[161:162], v[175:176], v[161:162]
	v_add_f64_e32 v[175:176], v[177:178], v[171:172]
	s_wait_loadcnt_dscnt 0x800
	v_mul_f64_e32 v[177:178], v[2:3], v[12:13]
	v_mul_f64_e32 v[12:13], v[4:5], v[12:13]
	ds_load_b128 v[171:174], v1 offset:1536
	v_fma_f64 v[165:166], v[165:166], v[6:7], v[179:180]
	v_fma_f64 v[163:164], v[163:164], v[6:7], -v[8:9]
	scratch_load_b128 v[6:9], off, off offset:768
	v_add_f64_e32 v[161:162], v[161:162], v[183:184]
	v_add_f64_e32 v[175:176], v[175:176], v[181:182]
	v_fma_f64 v[177:178], v[4:5], v[10:11], v[177:178]
	v_fma_f64 v[181:182], v[2:3], v[10:11], -v[12:13]
	ds_load_b128 v[2:5], v1 offset:1552
	s_wait_loadcnt_dscnt 0x801
	v_mul_f64_e32 v[179:180], v[171:172], v[16:17]
	v_mul_f64_e32 v[16:17], v[173:174], v[16:17]
	scratch_load_b128 v[10:13], off, off offset:784
	v_add_f64_e32 v[183:184], v[161:162], v[163:164]
	v_add_f64_e32 v[165:166], v[175:176], v[165:166]
	s_wait_loadcnt_dscnt 0x800
	v_mul_f64_e32 v[175:176], v[2:3], v[20:21]
	v_mul_f64_e32 v[20:21], v[4:5], v[20:21]
	ds_load_b128 v[161:164], v1 offset:1568
	v_fma_f64 v[173:174], v[173:174], v[14:15], v[179:180]
	v_fma_f64 v[171:172], v[171:172], v[14:15], -v[16:17]
	scratch_load_b128 v[14:17], off, off offset:800
	v_add_f64_e32 v[179:180], v[183:184], v[181:182]
	v_add_f64_e32 v[165:166], v[165:166], v[177:178]
	v_fma_f64 v[175:176], v[4:5], v[18:19], v[175:176]
	v_fma_f64 v[181:182], v[2:3], v[18:19], -v[20:21]
	ds_load_b128 v[2:5], v1 offset:1584
	s_wait_loadcnt_dscnt 0x801
	v_mul_f64_e32 v[177:178], v[161:162], v[24:25]
	v_mul_f64_e32 v[24:25], v[163:164], v[24:25]
	scratch_load_b128 v[18:21], off, off offset:816
	s_wait_loadcnt_dscnt 0x800
	v_mul_f64_e32 v[183:184], v[2:3], v[28:29]
	v_mul_f64_e32 v[28:29], v[4:5], v[28:29]
	v_add_f64_e32 v[179:180], v[179:180], v[171:172]
	v_add_f64_e32 v[165:166], v[165:166], v[173:174]
	ds_load_b128 v[171:174], v1 offset:1600
	v_fma_f64 v[163:164], v[163:164], v[22:23], v[177:178]
	v_fma_f64 v[161:162], v[161:162], v[22:23], -v[24:25]
	scratch_load_b128 v[22:25], off, off offset:832
	v_add_f64_e32 v[177:178], v[179:180], v[181:182]
	v_add_f64_e32 v[165:166], v[165:166], v[175:176]
	v_fma_f64 v[179:180], v[4:5], v[26:27], v[183:184]
	v_fma_f64 v[181:182], v[2:3], v[26:27], -v[28:29]
	ds_load_b128 v[2:5], v1 offset:1616
	s_wait_loadcnt_dscnt 0x801
	v_mul_f64_e32 v[175:176], v[171:172], v[32:33]
	v_mul_f64_e32 v[32:33], v[173:174], v[32:33]
	scratch_load_b128 v[26:29], off, off offset:848
	s_wait_loadcnt_dscnt 0x800
	v_mul_f64_e32 v[183:184], v[2:3], v[36:37]
	v_mul_f64_e32 v[36:37], v[4:5], v[36:37]
	v_add_f64_e32 v[177:178], v[177:178], v[161:162]
	v_add_f64_e32 v[165:166], v[165:166], v[163:164]
	ds_load_b128 v[161:164], v1 offset:1632
	v_fma_f64 v[173:174], v[173:174], v[30:31], v[175:176]
	v_fma_f64 v[171:172], v[171:172], v[30:31], -v[32:33]
	scratch_load_b128 v[30:33], off, off offset:864
	v_add_f64_e32 v[175:176], v[177:178], v[181:182]
	v_add_f64_e32 v[165:166], v[165:166], v[179:180]
	v_fma_f64 v[181:182], v[4:5], v[34:35], v[183:184]
	v_fma_f64 v[183:184], v[2:3], v[34:35], -v[36:37]
	ds_load_b128 v[2:5], v1 offset:1648
	scratch_load_b128 v[34:37], off, off offset:880
	s_wait_loadcnt_dscnt 0x901
	v_mul_f64_e32 v[177:178], v[161:162], v[169:170]
	v_mul_f64_e32 v[179:180], v[163:164], v[169:170]
	v_add_f64_e32 v[175:176], v[175:176], v[171:172]
	v_add_f64_e32 v[165:166], v[165:166], v[173:174]
	s_wait_loadcnt_dscnt 0x800
	v_mul_f64_e32 v[173:174], v[2:3], v[40:41]
	v_mul_f64_e32 v[40:41], v[4:5], v[40:41]
	ds_load_b128 v[169:172], v1 offset:1664
	v_fma_f64 v[177:178], v[163:164], v[167:168], v[177:178]
	v_fma_f64 v[167:168], v[161:162], v[167:168], -v[179:180]
	scratch_load_b128 v[161:164], off, off offset:896
	v_add_f64_e32 v[175:176], v[175:176], v[183:184]
	v_add_f64_e32 v[165:166], v[165:166], v[181:182]
	v_fma_f64 v[173:174], v[4:5], v[38:39], v[173:174]
	v_fma_f64 v[181:182], v[2:3], v[38:39], -v[40:41]
	ds_load_b128 v[2:5], v1 offset:1680
	s_wait_loadcnt_dscnt 0x801
	v_mul_f64_e32 v[179:180], v[169:170], v[8:9]
	v_mul_f64_e32 v[8:9], v[171:172], v[8:9]
	scratch_load_b128 v[38:41], off, off offset:912
	s_wait_loadcnt_dscnt 0x800
	v_mul_f64_e32 v[183:184], v[2:3], v[12:13]
	v_mul_f64_e32 v[12:13], v[4:5], v[12:13]
	v_add_f64_e32 v[175:176], v[175:176], v[167:168]
	v_add_f64_e32 v[177:178], v[165:166], v[177:178]
	ds_load_b128 v[165:168], v1 offset:1696
	v_fma_f64 v[171:172], v[171:172], v[6:7], v[179:180]
	v_fma_f64 v[6:7], v[169:170], v[6:7], -v[8:9]
	v_add_f64_e32 v[8:9], v[175:176], v[181:182]
	v_add_f64_e32 v[169:170], v[177:178], v[173:174]
	s_wait_loadcnt_dscnt 0x700
	v_mul_f64_e32 v[173:174], v[165:166], v[16:17]
	v_mul_f64_e32 v[16:17], v[167:168], v[16:17]
	v_fma_f64 v[175:176], v[4:5], v[10:11], v[183:184]
	v_fma_f64 v[10:11], v[2:3], v[10:11], -v[12:13]
	v_add_f64_e32 v[12:13], v[8:9], v[6:7]
	v_add_f64_e32 v[169:170], v[169:170], v[171:172]
	ds_load_b128 v[2:5], v1 offset:1712
	ds_load_b128 v[6:9], v1 offset:1728
	v_fma_f64 v[167:168], v[167:168], v[14:15], v[173:174]
	v_fma_f64 v[14:15], v[165:166], v[14:15], -v[16:17]
	s_wait_loadcnt_dscnt 0x601
	v_mul_f64_e32 v[171:172], v[2:3], v[20:21]
	v_mul_f64_e32 v[20:21], v[4:5], v[20:21]
	s_wait_loadcnt_dscnt 0x500
	v_mul_f64_e32 v[16:17], v[6:7], v[24:25]
	v_mul_f64_e32 v[24:25], v[8:9], v[24:25]
	v_add_f64_e32 v[10:11], v[12:13], v[10:11]
	v_add_f64_e32 v[12:13], v[169:170], v[175:176]
	v_fma_f64 v[165:166], v[4:5], v[18:19], v[171:172]
	v_fma_f64 v[18:19], v[2:3], v[18:19], -v[20:21]
	v_fma_f64 v[8:9], v[8:9], v[22:23], v[16:17]
	v_fma_f64 v[6:7], v[6:7], v[22:23], -v[24:25]
	v_add_f64_e32 v[14:15], v[10:11], v[14:15]
	v_add_f64_e32 v[20:21], v[12:13], v[167:168]
	ds_load_b128 v[2:5], v1 offset:1744
	ds_load_b128 v[10:13], v1 offset:1760
	s_wait_loadcnt_dscnt 0x401
	v_mul_f64_e32 v[167:168], v[2:3], v[28:29]
	v_mul_f64_e32 v[28:29], v[4:5], v[28:29]
	v_add_f64_e32 v[14:15], v[14:15], v[18:19]
	v_add_f64_e32 v[16:17], v[20:21], v[165:166]
	s_wait_loadcnt_dscnt 0x300
	v_mul_f64_e32 v[18:19], v[10:11], v[32:33]
	v_mul_f64_e32 v[20:21], v[12:13], v[32:33]
	v_fma_f64 v[22:23], v[4:5], v[26:27], v[167:168]
	v_fma_f64 v[24:25], v[2:3], v[26:27], -v[28:29]
	v_add_f64_e32 v[14:15], v[14:15], v[6:7]
	v_add_f64_e32 v[16:17], v[16:17], v[8:9]
	ds_load_b128 v[2:5], v1 offset:1776
	ds_load_b128 v[6:9], v1 offset:1792
	v_fma_f64 v[12:13], v[12:13], v[30:31], v[18:19]
	v_fma_f64 v[10:11], v[10:11], v[30:31], -v[20:21]
	s_wait_loadcnt_dscnt 0x201
	v_mul_f64_e32 v[26:27], v[2:3], v[36:37]
	v_mul_f64_e32 v[28:29], v[4:5], v[36:37]
	s_wait_loadcnt_dscnt 0x100
	v_mul_f64_e32 v[18:19], v[6:7], v[163:164]
	v_mul_f64_e32 v[20:21], v[8:9], v[163:164]
	v_add_f64_e32 v[14:15], v[14:15], v[24:25]
	v_add_f64_e32 v[16:17], v[16:17], v[22:23]
	v_fma_f64 v[22:23], v[4:5], v[34:35], v[26:27]
	v_fma_f64 v[24:25], v[2:3], v[34:35], -v[28:29]
	ds_load_b128 v[2:5], v1 offset:1808
	v_fma_f64 v[8:9], v[8:9], v[161:162], v[18:19]
	v_fma_f64 v[6:7], v[6:7], v[161:162], -v[20:21]
	v_add_f64_e32 v[10:11], v[14:15], v[10:11]
	v_add_f64_e32 v[12:13], v[16:17], v[12:13]
	s_wait_loadcnt_dscnt 0x0
	v_mul_f64_e32 v[14:15], v[2:3], v[40:41]
	v_mul_f64_e32 v[16:17], v[4:5], v[40:41]
	s_delay_alu instid0(VALU_DEP_4) | instskip(NEXT) | instid1(VALU_DEP_4)
	v_add_f64_e32 v[10:11], v[10:11], v[24:25]
	v_add_f64_e32 v[12:13], v[12:13], v[22:23]
	s_delay_alu instid0(VALU_DEP_4) | instskip(NEXT) | instid1(VALU_DEP_4)
	v_fma_f64 v[4:5], v[4:5], v[38:39], v[14:15]
	v_fma_f64 v[2:3], v[2:3], v[38:39], -v[16:17]
	s_delay_alu instid0(VALU_DEP_4) | instskip(NEXT) | instid1(VALU_DEP_4)
	v_add_f64_e32 v[6:7], v[10:11], v[6:7]
	v_add_f64_e32 v[8:9], v[12:13], v[8:9]
	s_delay_alu instid0(VALU_DEP_2) | instskip(NEXT) | instid1(VALU_DEP_2)
	v_add_f64_e32 v[2:3], v[6:7], v[2:3]
	v_add_f64_e32 v[4:5], v[8:9], v[4:5]
	s_delay_alu instid0(VALU_DEP_2) | instskip(NEXT) | instid1(VALU_DEP_2)
	v_add_f64_e64 v[2:3], v[42:43], -v[2:3]
	v_add_f64_e64 v[4:5], v[44:45], -v[4:5]
	scratch_store_b128 off, v[2:5], off offset:96
	v_cmpx_lt_u32_e32 4, v0
	s_cbranch_execz .LBB120_347
; %bb.346:
	scratch_load_b128 v[5:8], off, s4
	v_dual_mov_b32 v2, v1 :: v_dual_mov_b32 v3, v1
	v_mov_b32_e32 v4, v1
	scratch_store_b128 off, v[1:4], off offset:80
	s_wait_loadcnt 0x0
	ds_store_b128 v160, v[5:8]
.LBB120_347:
	s_wait_alu 0xfffe
	s_or_b32 exec_lo, exec_lo, s0
	s_wait_storecnt_dscnt 0x0
	s_barrier_signal -1
	s_barrier_wait -1
	global_inv scope:SCOPE_SE
	s_clause 0x8
	scratch_load_b128 v[2:5], off, off offset:96
	scratch_load_b128 v[6:9], off, off offset:112
	;; [unrolled: 1-line block ×9, first 2 shown]
	ds_load_b128 v[42:45], v1 offset:992
	ds_load_b128 v[38:41], v1 offset:1008
	s_clause 0x1
	scratch_load_b128 v[161:164], off, off offset:80
	scratch_load_b128 v[165:168], off, off offset:240
	s_mov_b32 s0, exec_lo
	s_wait_loadcnt_dscnt 0xa01
	v_mul_f64_e32 v[169:170], v[44:45], v[4:5]
	v_mul_f64_e32 v[4:5], v[42:43], v[4:5]
	s_wait_loadcnt_dscnt 0x900
	v_mul_f64_e32 v[173:174], v[38:39], v[8:9]
	v_mul_f64_e32 v[8:9], v[40:41], v[8:9]
	s_delay_alu instid0(VALU_DEP_4) | instskip(NEXT) | instid1(VALU_DEP_4)
	v_fma_f64 v[175:176], v[42:43], v[2:3], -v[169:170]
	v_fma_f64 v[177:178], v[44:45], v[2:3], v[4:5]
	ds_load_b128 v[2:5], v1 offset:1024
	ds_load_b128 v[169:172], v1 offset:1040
	scratch_load_b128 v[42:45], off, off offset:256
	v_fma_f64 v[40:41], v[40:41], v[6:7], v[173:174]
	v_fma_f64 v[38:39], v[38:39], v[6:7], -v[8:9]
	scratch_load_b128 v[6:9], off, off offset:272
	s_wait_loadcnt_dscnt 0xa01
	v_mul_f64_e32 v[179:180], v[2:3], v[12:13]
	v_mul_f64_e32 v[12:13], v[4:5], v[12:13]
	v_add_f64_e32 v[173:174], 0, v[175:176]
	v_add_f64_e32 v[175:176], 0, v[177:178]
	s_wait_loadcnt_dscnt 0x900
	v_mul_f64_e32 v[177:178], v[169:170], v[16:17]
	v_mul_f64_e32 v[16:17], v[171:172], v[16:17]
	v_fma_f64 v[179:180], v[4:5], v[10:11], v[179:180]
	v_fma_f64 v[181:182], v[2:3], v[10:11], -v[12:13]
	ds_load_b128 v[2:5], v1 offset:1056
	scratch_load_b128 v[10:13], off, off offset:288
	v_add_f64_e32 v[173:174], v[173:174], v[38:39]
	v_add_f64_e32 v[175:176], v[175:176], v[40:41]
	ds_load_b128 v[38:41], v1 offset:1072
	v_fma_f64 v[171:172], v[171:172], v[14:15], v[177:178]
	v_fma_f64 v[169:170], v[169:170], v[14:15], -v[16:17]
	scratch_load_b128 v[14:17], off, off offset:304
	s_wait_loadcnt_dscnt 0xa01
	v_mul_f64_e32 v[183:184], v[2:3], v[20:21]
	v_mul_f64_e32 v[20:21], v[4:5], v[20:21]
	s_wait_loadcnt_dscnt 0x900
	v_mul_f64_e32 v[177:178], v[38:39], v[24:25]
	v_mul_f64_e32 v[24:25], v[40:41], v[24:25]
	v_add_f64_e32 v[173:174], v[173:174], v[181:182]
	v_add_f64_e32 v[175:176], v[175:176], v[179:180]
	v_fma_f64 v[179:180], v[4:5], v[18:19], v[183:184]
	v_fma_f64 v[181:182], v[2:3], v[18:19], -v[20:21]
	ds_load_b128 v[2:5], v1 offset:1088
	scratch_load_b128 v[18:21], off, off offset:320
	v_fma_f64 v[40:41], v[40:41], v[22:23], v[177:178]
	v_fma_f64 v[38:39], v[38:39], v[22:23], -v[24:25]
	scratch_load_b128 v[22:25], off, off offset:336
	v_add_f64_e32 v[173:174], v[173:174], v[169:170]
	v_add_f64_e32 v[175:176], v[175:176], v[171:172]
	ds_load_b128 v[169:172], v1 offset:1104
	s_wait_loadcnt_dscnt 0xa01
	v_mul_f64_e32 v[183:184], v[2:3], v[28:29]
	v_mul_f64_e32 v[28:29], v[4:5], v[28:29]
	s_wait_loadcnt_dscnt 0x900
	v_mul_f64_e32 v[177:178], v[169:170], v[32:33]
	v_mul_f64_e32 v[32:33], v[171:172], v[32:33]
	v_add_f64_e32 v[173:174], v[173:174], v[181:182]
	v_add_f64_e32 v[175:176], v[175:176], v[179:180]
	v_fma_f64 v[179:180], v[4:5], v[26:27], v[183:184]
	v_fma_f64 v[181:182], v[2:3], v[26:27], -v[28:29]
	ds_load_b128 v[2:5], v1 offset:1120
	scratch_load_b128 v[26:29], off, off offset:352
	v_fma_f64 v[171:172], v[171:172], v[30:31], v[177:178]
	v_fma_f64 v[169:170], v[169:170], v[30:31], -v[32:33]
	scratch_load_b128 v[30:33], off, off offset:368
	v_add_f64_e32 v[173:174], v[173:174], v[38:39]
	v_add_f64_e32 v[175:176], v[175:176], v[40:41]
	ds_load_b128 v[38:41], v1 offset:1136
	s_wait_loadcnt_dscnt 0xa01
	v_mul_f64_e32 v[183:184], v[2:3], v[36:37]
	v_mul_f64_e32 v[36:37], v[4:5], v[36:37]
	s_wait_loadcnt_dscnt 0x800
	v_mul_f64_e32 v[177:178], v[38:39], v[167:168]
	v_add_f64_e32 v[173:174], v[173:174], v[181:182]
	v_add_f64_e32 v[175:176], v[175:176], v[179:180]
	v_mul_f64_e32 v[179:180], v[40:41], v[167:168]
	v_fma_f64 v[181:182], v[4:5], v[34:35], v[183:184]
	v_fma_f64 v[183:184], v[2:3], v[34:35], -v[36:37]
	ds_load_b128 v[2:5], v1 offset:1152
	scratch_load_b128 v[34:37], off, off offset:384
	v_fma_f64 v[177:178], v[40:41], v[165:166], v[177:178]
	v_add_f64_e32 v[173:174], v[173:174], v[169:170]
	v_add_f64_e32 v[171:172], v[175:176], v[171:172]
	ds_load_b128 v[167:170], v1 offset:1168
	v_fma_f64 v[165:166], v[38:39], v[165:166], -v[179:180]
	scratch_load_b128 v[38:41], off, off offset:400
	s_wait_loadcnt_dscnt 0x901
	v_mul_f64_e32 v[175:176], v[2:3], v[44:45]
	v_mul_f64_e32 v[44:45], v[4:5], v[44:45]
	s_wait_loadcnt_dscnt 0x800
	v_mul_f64_e32 v[179:180], v[167:168], v[8:9]
	v_mul_f64_e32 v[8:9], v[169:170], v[8:9]
	v_add_f64_e32 v[173:174], v[173:174], v[183:184]
	v_add_f64_e32 v[171:172], v[171:172], v[181:182]
	v_fma_f64 v[175:176], v[4:5], v[42:43], v[175:176]
	v_fma_f64 v[181:182], v[2:3], v[42:43], -v[44:45]
	ds_load_b128 v[2:5], v1 offset:1184
	scratch_load_b128 v[42:45], off, off offset:416
	v_fma_f64 v[169:170], v[169:170], v[6:7], v[179:180]
	v_fma_f64 v[167:168], v[167:168], v[6:7], -v[8:9]
	scratch_load_b128 v[6:9], off, off offset:432
	v_add_f64_e32 v[165:166], v[173:174], v[165:166]
	v_add_f64_e32 v[177:178], v[171:172], v[177:178]
	ds_load_b128 v[171:174], v1 offset:1200
	s_wait_loadcnt_dscnt 0x901
	v_mul_f64_e32 v[183:184], v[2:3], v[12:13]
	v_mul_f64_e32 v[12:13], v[4:5], v[12:13]
	v_add_f64_e32 v[165:166], v[165:166], v[181:182]
	v_add_f64_e32 v[175:176], v[177:178], v[175:176]
	s_wait_loadcnt_dscnt 0x800
	v_mul_f64_e32 v[177:178], v[171:172], v[16:17]
	v_mul_f64_e32 v[16:17], v[173:174], v[16:17]
	v_fma_f64 v[179:180], v[4:5], v[10:11], v[183:184]
	v_fma_f64 v[181:182], v[2:3], v[10:11], -v[12:13]
	ds_load_b128 v[2:5], v1 offset:1216
	scratch_load_b128 v[10:13], off, off offset:448
	v_add_f64_e32 v[183:184], v[165:166], v[167:168]
	v_add_f64_e32 v[169:170], v[175:176], v[169:170]
	ds_load_b128 v[165:168], v1 offset:1232
	s_wait_loadcnt_dscnt 0x801
	v_mul_f64_e32 v[175:176], v[2:3], v[20:21]
	v_mul_f64_e32 v[20:21], v[4:5], v[20:21]
	v_fma_f64 v[173:174], v[173:174], v[14:15], v[177:178]
	v_fma_f64 v[171:172], v[171:172], v[14:15], -v[16:17]
	scratch_load_b128 v[14:17], off, off offset:464
	v_add_f64_e32 v[177:178], v[183:184], v[181:182]
	v_add_f64_e32 v[169:170], v[169:170], v[179:180]
	s_wait_loadcnt_dscnt 0x800
	v_mul_f64_e32 v[179:180], v[165:166], v[24:25]
	v_mul_f64_e32 v[24:25], v[167:168], v[24:25]
	v_fma_f64 v[175:176], v[4:5], v[18:19], v[175:176]
	v_fma_f64 v[181:182], v[2:3], v[18:19], -v[20:21]
	ds_load_b128 v[2:5], v1 offset:1248
	scratch_load_b128 v[18:21], off, off offset:480
	v_add_f64_e32 v[177:178], v[177:178], v[171:172]
	v_add_f64_e32 v[173:174], v[169:170], v[173:174]
	ds_load_b128 v[169:172], v1 offset:1264
	s_wait_loadcnt_dscnt 0x801
	v_mul_f64_e32 v[183:184], v[2:3], v[28:29]
	v_mul_f64_e32 v[28:29], v[4:5], v[28:29]
	v_fma_f64 v[167:168], v[167:168], v[22:23], v[179:180]
	v_fma_f64 v[165:166], v[165:166], v[22:23], -v[24:25]
	scratch_load_b128 v[22:25], off, off offset:496
	;; [unrolled: 18-line block ×4, first 2 shown]
	s_wait_loadcnt_dscnt 0x800
	v_mul_f64_e32 v[177:178], v[169:170], v[8:9]
	v_mul_f64_e32 v[8:9], v[171:172], v[8:9]
	v_add_f64_e32 v[175:176], v[175:176], v[181:182]
	v_add_f64_e32 v[173:174], v[173:174], v[179:180]
	v_fma_f64 v[179:180], v[4:5], v[42:43], v[183:184]
	v_fma_f64 v[181:182], v[2:3], v[42:43], -v[44:45]
	ds_load_b128 v[2:5], v1 offset:1344
	scratch_load_b128 v[42:45], off, off offset:576
	v_fma_f64 v[171:172], v[171:172], v[6:7], v[177:178]
	v_fma_f64 v[169:170], v[169:170], v[6:7], -v[8:9]
	scratch_load_b128 v[6:9], off, off offset:592
	v_add_f64_e32 v[175:176], v[175:176], v[165:166]
	v_add_f64_e32 v[173:174], v[173:174], v[167:168]
	ds_load_b128 v[165:168], v1 offset:1360
	s_wait_loadcnt_dscnt 0x901
	v_mul_f64_e32 v[183:184], v[2:3], v[12:13]
	v_mul_f64_e32 v[12:13], v[4:5], v[12:13]
	s_wait_loadcnt_dscnt 0x800
	v_mul_f64_e32 v[177:178], v[165:166], v[16:17]
	v_mul_f64_e32 v[16:17], v[167:168], v[16:17]
	v_add_f64_e32 v[175:176], v[175:176], v[181:182]
	v_add_f64_e32 v[173:174], v[173:174], v[179:180]
	v_fma_f64 v[179:180], v[4:5], v[10:11], v[183:184]
	v_fma_f64 v[181:182], v[2:3], v[10:11], -v[12:13]
	ds_load_b128 v[2:5], v1 offset:1376
	scratch_load_b128 v[10:13], off, off offset:608
	v_fma_f64 v[167:168], v[167:168], v[14:15], v[177:178]
	v_fma_f64 v[165:166], v[165:166], v[14:15], -v[16:17]
	scratch_load_b128 v[14:17], off, off offset:624
	v_add_f64_e32 v[175:176], v[175:176], v[169:170]
	v_add_f64_e32 v[173:174], v[173:174], v[171:172]
	ds_load_b128 v[169:172], v1 offset:1392
	s_wait_loadcnt_dscnt 0x901
	v_mul_f64_e32 v[183:184], v[2:3], v[20:21]
	v_mul_f64_e32 v[20:21], v[4:5], v[20:21]
	;; [unrolled: 18-line block ×11, first 2 shown]
	s_wait_loadcnt_dscnt 0x800
	v_mul_f64_e32 v[177:178], v[165:166], v[16:17]
	v_mul_f64_e32 v[16:17], v[167:168], v[16:17]
	v_add_f64_e32 v[175:176], v[175:176], v[181:182]
	v_add_f64_e32 v[173:174], v[173:174], v[179:180]
	v_fma_f64 v[179:180], v[4:5], v[10:11], v[183:184]
	v_fma_f64 v[181:182], v[2:3], v[10:11], -v[12:13]
	ds_load_b128 v[2:5], v1 offset:1696
	ds_load_b128 v[10:13], v1 offset:1712
	v_fma_f64 v[167:168], v[167:168], v[14:15], v[177:178]
	v_fma_f64 v[14:15], v[165:166], v[14:15], -v[16:17]
	v_add_f64_e32 v[169:170], v[175:176], v[169:170]
	v_add_f64_e32 v[171:172], v[173:174], v[171:172]
	s_wait_loadcnt_dscnt 0x701
	v_mul_f64_e32 v[173:174], v[2:3], v[20:21]
	v_mul_f64_e32 v[20:21], v[4:5], v[20:21]
	s_delay_alu instid0(VALU_DEP_4) | instskip(NEXT) | instid1(VALU_DEP_4)
	v_add_f64_e32 v[16:17], v[169:170], v[181:182]
	v_add_f64_e32 v[165:166], v[171:172], v[179:180]
	s_wait_loadcnt_dscnt 0x600
	v_mul_f64_e32 v[169:170], v[10:11], v[24:25]
	v_mul_f64_e32 v[24:25], v[12:13], v[24:25]
	v_fma_f64 v[171:172], v[4:5], v[18:19], v[173:174]
	v_fma_f64 v[18:19], v[2:3], v[18:19], -v[20:21]
	v_add_f64_e32 v[20:21], v[16:17], v[14:15]
	v_add_f64_e32 v[165:166], v[165:166], v[167:168]
	ds_load_b128 v[2:5], v1 offset:1728
	ds_load_b128 v[14:17], v1 offset:1744
	v_fma_f64 v[12:13], v[12:13], v[22:23], v[169:170]
	v_fma_f64 v[10:11], v[10:11], v[22:23], -v[24:25]
	s_wait_loadcnt_dscnt 0x501
	v_mul_f64_e32 v[167:168], v[2:3], v[28:29]
	v_mul_f64_e32 v[28:29], v[4:5], v[28:29]
	s_wait_loadcnt_dscnt 0x400
	v_mul_f64_e32 v[22:23], v[14:15], v[32:33]
	v_mul_f64_e32 v[24:25], v[16:17], v[32:33]
	v_add_f64_e32 v[18:19], v[20:21], v[18:19]
	v_add_f64_e32 v[20:21], v[165:166], v[171:172]
	v_fma_f64 v[32:33], v[4:5], v[26:27], v[167:168]
	v_fma_f64 v[26:27], v[2:3], v[26:27], -v[28:29]
	v_fma_f64 v[16:17], v[16:17], v[30:31], v[22:23]
	v_fma_f64 v[14:15], v[14:15], v[30:31], -v[24:25]
	v_add_f64_e32 v[18:19], v[18:19], v[10:11]
	v_add_f64_e32 v[20:21], v[20:21], v[12:13]
	ds_load_b128 v[2:5], v1 offset:1760
	ds_load_b128 v[10:13], v1 offset:1776
	s_wait_loadcnt_dscnt 0x301
	v_mul_f64_e32 v[28:29], v[2:3], v[36:37]
	v_mul_f64_e32 v[36:37], v[4:5], v[36:37]
	s_wait_loadcnt_dscnt 0x200
	v_mul_f64_e32 v[22:23], v[10:11], v[40:41]
	v_mul_f64_e32 v[24:25], v[12:13], v[40:41]
	v_add_f64_e32 v[18:19], v[18:19], v[26:27]
	v_add_f64_e32 v[20:21], v[20:21], v[32:33]
	v_fma_f64 v[26:27], v[4:5], v[34:35], v[28:29]
	v_fma_f64 v[28:29], v[2:3], v[34:35], -v[36:37]
	v_fma_f64 v[12:13], v[12:13], v[38:39], v[22:23]
	v_fma_f64 v[10:11], v[10:11], v[38:39], -v[24:25]
	v_add_f64_e32 v[18:19], v[18:19], v[14:15]
	v_add_f64_e32 v[20:21], v[20:21], v[16:17]
	ds_load_b128 v[2:5], v1 offset:1792
	ds_load_b128 v[14:17], v1 offset:1808
	s_wait_loadcnt_dscnt 0x101
	v_mul_f64_e32 v[30:31], v[2:3], v[44:45]
	v_mul_f64_e32 v[32:33], v[4:5], v[44:45]
	s_wait_loadcnt_dscnt 0x0
	v_mul_f64_e32 v[22:23], v[14:15], v[8:9]
	v_mul_f64_e32 v[8:9], v[16:17], v[8:9]
	v_add_f64_e32 v[18:19], v[18:19], v[28:29]
	v_add_f64_e32 v[20:21], v[20:21], v[26:27]
	v_fma_f64 v[4:5], v[4:5], v[42:43], v[30:31]
	v_fma_f64 v[1:2], v[2:3], v[42:43], -v[32:33]
	v_fma_f64 v[16:17], v[16:17], v[6:7], v[22:23]
	v_fma_f64 v[6:7], v[14:15], v[6:7], -v[8:9]
	v_add_f64_e32 v[10:11], v[18:19], v[10:11]
	v_add_f64_e32 v[12:13], v[20:21], v[12:13]
	s_delay_alu instid0(VALU_DEP_2) | instskip(NEXT) | instid1(VALU_DEP_2)
	v_add_f64_e32 v[1:2], v[10:11], v[1:2]
	v_add_f64_e32 v[3:4], v[12:13], v[4:5]
	s_delay_alu instid0(VALU_DEP_2) | instskip(NEXT) | instid1(VALU_DEP_2)
	;; [unrolled: 3-line block ×3, first 2 shown]
	v_add_f64_e64 v[1:2], v[161:162], -v[1:2]
	v_add_f64_e64 v[3:4], v[163:164], -v[3:4]
	scratch_store_b128 off, v[1:4], off offset:80
	v_cmpx_lt_u32_e32 3, v0
	s_cbranch_execz .LBB120_349
; %bb.348:
	scratch_load_b128 v[1:4], off, s10
	v_mov_b32_e32 v5, 0
	s_delay_alu instid0(VALU_DEP_1)
	v_dual_mov_b32 v6, v5 :: v_dual_mov_b32 v7, v5
	v_mov_b32_e32 v8, v5
	scratch_store_b128 off, v[5:8], off offset:64
	s_wait_loadcnt 0x0
	ds_store_b128 v160, v[1:4]
.LBB120_349:
	s_wait_alu 0xfffe
	s_or_b32 exec_lo, exec_lo, s0
	s_wait_storecnt_dscnt 0x0
	s_barrier_signal -1
	s_barrier_wait -1
	global_inv scope:SCOPE_SE
	s_clause 0x7
	scratch_load_b128 v[2:5], off, off offset:80
	scratch_load_b128 v[6:9], off, off offset:96
	;; [unrolled: 1-line block ×8, first 2 shown]
	v_mov_b32_e32 v1, 0
	s_mov_b32 s0, exec_lo
	ds_load_b128 v[38:41], v1 offset:976
	s_clause 0x1
	scratch_load_b128 v[34:37], off, off offset:208
	scratch_load_b128 v[42:45], off, off offset:64
	ds_load_b128 v[161:164], v1 offset:992
	scratch_load_b128 v[165:168], off, off offset:224
	s_wait_loadcnt_dscnt 0xa01
	v_mul_f64_e32 v[169:170], v[40:41], v[4:5]
	v_mul_f64_e32 v[4:5], v[38:39], v[4:5]
	s_delay_alu instid0(VALU_DEP_2) | instskip(NEXT) | instid1(VALU_DEP_2)
	v_fma_f64 v[175:176], v[38:39], v[2:3], -v[169:170]
	v_fma_f64 v[177:178], v[40:41], v[2:3], v[4:5]
	ds_load_b128 v[2:5], v1 offset:1008
	s_wait_loadcnt_dscnt 0x901
	v_mul_f64_e32 v[173:174], v[161:162], v[8:9]
	v_mul_f64_e32 v[8:9], v[163:164], v[8:9]
	scratch_load_b128 v[38:41], off, off offset:240
	ds_load_b128 v[169:172], v1 offset:1024
	s_wait_loadcnt_dscnt 0x901
	v_mul_f64_e32 v[179:180], v[2:3], v[12:13]
	v_mul_f64_e32 v[12:13], v[4:5], v[12:13]
	v_fma_f64 v[163:164], v[163:164], v[6:7], v[173:174]
	v_fma_f64 v[161:162], v[161:162], v[6:7], -v[8:9]
	v_add_f64_e32 v[173:174], 0, v[175:176]
	v_add_f64_e32 v[175:176], 0, v[177:178]
	scratch_load_b128 v[6:9], off, off offset:256
	v_fma_f64 v[179:180], v[4:5], v[10:11], v[179:180]
	v_fma_f64 v[181:182], v[2:3], v[10:11], -v[12:13]
	ds_load_b128 v[2:5], v1 offset:1040
	s_wait_loadcnt_dscnt 0x901
	v_mul_f64_e32 v[177:178], v[169:170], v[16:17]
	v_mul_f64_e32 v[16:17], v[171:172], v[16:17]
	scratch_load_b128 v[10:13], off, off offset:272
	v_add_f64_e32 v[173:174], v[173:174], v[161:162]
	v_add_f64_e32 v[175:176], v[175:176], v[163:164]
	s_wait_loadcnt_dscnt 0x900
	v_mul_f64_e32 v[183:184], v[2:3], v[20:21]
	v_mul_f64_e32 v[20:21], v[4:5], v[20:21]
	ds_load_b128 v[161:164], v1 offset:1056
	v_fma_f64 v[171:172], v[171:172], v[14:15], v[177:178]
	v_fma_f64 v[169:170], v[169:170], v[14:15], -v[16:17]
	scratch_load_b128 v[14:17], off, off offset:288
	v_add_f64_e32 v[173:174], v[173:174], v[181:182]
	v_add_f64_e32 v[175:176], v[175:176], v[179:180]
	v_fma_f64 v[179:180], v[4:5], v[18:19], v[183:184]
	v_fma_f64 v[181:182], v[2:3], v[18:19], -v[20:21]
	ds_load_b128 v[2:5], v1 offset:1072
	s_wait_loadcnt_dscnt 0x901
	v_mul_f64_e32 v[177:178], v[161:162], v[24:25]
	v_mul_f64_e32 v[24:25], v[163:164], v[24:25]
	scratch_load_b128 v[18:21], off, off offset:304
	s_wait_loadcnt_dscnt 0x900
	v_mul_f64_e32 v[183:184], v[2:3], v[28:29]
	v_mul_f64_e32 v[28:29], v[4:5], v[28:29]
	v_add_f64_e32 v[173:174], v[173:174], v[169:170]
	v_add_f64_e32 v[175:176], v[175:176], v[171:172]
	ds_load_b128 v[169:172], v1 offset:1088
	v_fma_f64 v[163:164], v[163:164], v[22:23], v[177:178]
	v_fma_f64 v[161:162], v[161:162], v[22:23], -v[24:25]
	scratch_load_b128 v[22:25], off, off offset:320
	v_add_f64_e32 v[173:174], v[173:174], v[181:182]
	v_add_f64_e32 v[175:176], v[175:176], v[179:180]
	v_fma_f64 v[179:180], v[4:5], v[26:27], v[183:184]
	v_fma_f64 v[181:182], v[2:3], v[26:27], -v[28:29]
	ds_load_b128 v[2:5], v1 offset:1104
	s_wait_loadcnt_dscnt 0x901
	v_mul_f64_e32 v[177:178], v[169:170], v[32:33]
	v_mul_f64_e32 v[32:33], v[171:172], v[32:33]
	scratch_load_b128 v[26:29], off, off offset:336
	s_wait_loadcnt_dscnt 0x900
	v_mul_f64_e32 v[183:184], v[2:3], v[36:37]
	v_mul_f64_e32 v[36:37], v[4:5], v[36:37]
	v_add_f64_e32 v[173:174], v[173:174], v[161:162]
	v_add_f64_e32 v[175:176], v[175:176], v[163:164]
	ds_load_b128 v[161:164], v1 offset:1120
	v_fma_f64 v[171:172], v[171:172], v[30:31], v[177:178]
	v_fma_f64 v[169:170], v[169:170], v[30:31], -v[32:33]
	scratch_load_b128 v[30:33], off, off offset:352
	v_add_f64_e32 v[173:174], v[173:174], v[181:182]
	v_add_f64_e32 v[175:176], v[175:176], v[179:180]
	v_fma_f64 v[181:182], v[4:5], v[34:35], v[183:184]
	v_fma_f64 v[183:184], v[2:3], v[34:35], -v[36:37]
	ds_load_b128 v[2:5], v1 offset:1136
	s_wait_loadcnt_dscnt 0x801
	v_mul_f64_e32 v[177:178], v[161:162], v[167:168]
	v_mul_f64_e32 v[179:180], v[163:164], v[167:168]
	scratch_load_b128 v[34:37], off, off offset:368
	v_add_f64_e32 v[173:174], v[173:174], v[169:170]
	v_add_f64_e32 v[171:172], v[175:176], v[171:172]
	ds_load_b128 v[167:170], v1 offset:1152
	v_fma_f64 v[177:178], v[163:164], v[165:166], v[177:178]
	v_fma_f64 v[165:166], v[161:162], v[165:166], -v[179:180]
	scratch_load_b128 v[161:164], off, off offset:384
	s_wait_loadcnt_dscnt 0x901
	v_mul_f64_e32 v[175:176], v[2:3], v[40:41]
	v_mul_f64_e32 v[40:41], v[4:5], v[40:41]
	v_add_f64_e32 v[173:174], v[173:174], v[183:184]
	v_add_f64_e32 v[171:172], v[171:172], v[181:182]
	s_delay_alu instid0(VALU_DEP_4) | instskip(NEXT) | instid1(VALU_DEP_4)
	v_fma_f64 v[175:176], v[4:5], v[38:39], v[175:176]
	v_fma_f64 v[181:182], v[2:3], v[38:39], -v[40:41]
	ds_load_b128 v[2:5], v1 offset:1168
	s_wait_loadcnt_dscnt 0x801
	v_mul_f64_e32 v[179:180], v[167:168], v[8:9]
	v_mul_f64_e32 v[8:9], v[169:170], v[8:9]
	scratch_load_b128 v[38:41], off, off offset:400
	s_wait_loadcnt_dscnt 0x800
	v_mul_f64_e32 v[183:184], v[2:3], v[12:13]
	v_add_f64_e32 v[165:166], v[173:174], v[165:166]
	v_add_f64_e32 v[177:178], v[171:172], v[177:178]
	v_mul_f64_e32 v[12:13], v[4:5], v[12:13]
	ds_load_b128 v[171:174], v1 offset:1184
	v_fma_f64 v[169:170], v[169:170], v[6:7], v[179:180]
	v_fma_f64 v[167:168], v[167:168], v[6:7], -v[8:9]
	scratch_load_b128 v[6:9], off, off offset:416
	v_fma_f64 v[179:180], v[4:5], v[10:11], v[183:184]
	v_add_f64_e32 v[165:166], v[165:166], v[181:182]
	v_add_f64_e32 v[175:176], v[177:178], v[175:176]
	v_fma_f64 v[181:182], v[2:3], v[10:11], -v[12:13]
	ds_load_b128 v[2:5], v1 offset:1200
	s_wait_loadcnt_dscnt 0x801
	v_mul_f64_e32 v[177:178], v[171:172], v[16:17]
	v_mul_f64_e32 v[16:17], v[173:174], v[16:17]
	scratch_load_b128 v[10:13], off, off offset:432
	v_add_f64_e32 v[183:184], v[165:166], v[167:168]
	v_add_f64_e32 v[169:170], v[175:176], v[169:170]
	s_wait_loadcnt_dscnt 0x800
	v_mul_f64_e32 v[175:176], v[2:3], v[20:21]
	v_mul_f64_e32 v[20:21], v[4:5], v[20:21]
	v_fma_f64 v[173:174], v[173:174], v[14:15], v[177:178]
	v_fma_f64 v[171:172], v[171:172], v[14:15], -v[16:17]
	ds_load_b128 v[165:168], v1 offset:1216
	scratch_load_b128 v[14:17], off, off offset:448
	v_add_f64_e32 v[177:178], v[183:184], v[181:182]
	v_add_f64_e32 v[169:170], v[169:170], v[179:180]
	v_fma_f64 v[175:176], v[4:5], v[18:19], v[175:176]
	v_fma_f64 v[181:182], v[2:3], v[18:19], -v[20:21]
	ds_load_b128 v[2:5], v1 offset:1232
	s_wait_loadcnt_dscnt 0x801
	v_mul_f64_e32 v[179:180], v[165:166], v[24:25]
	v_mul_f64_e32 v[24:25], v[167:168], v[24:25]
	scratch_load_b128 v[18:21], off, off offset:464
	s_wait_loadcnt_dscnt 0x800
	v_mul_f64_e32 v[183:184], v[2:3], v[28:29]
	v_mul_f64_e32 v[28:29], v[4:5], v[28:29]
	v_add_f64_e32 v[177:178], v[177:178], v[171:172]
	v_add_f64_e32 v[173:174], v[169:170], v[173:174]
	ds_load_b128 v[169:172], v1 offset:1248
	v_fma_f64 v[167:168], v[167:168], v[22:23], v[179:180]
	v_fma_f64 v[165:166], v[165:166], v[22:23], -v[24:25]
	scratch_load_b128 v[22:25], off, off offset:480
	v_fma_f64 v[179:180], v[4:5], v[26:27], v[183:184]
	v_add_f64_e32 v[177:178], v[177:178], v[181:182]
	v_add_f64_e32 v[173:174], v[173:174], v[175:176]
	v_fma_f64 v[181:182], v[2:3], v[26:27], -v[28:29]
	ds_load_b128 v[2:5], v1 offset:1264
	s_wait_loadcnt_dscnt 0x801
	v_mul_f64_e32 v[175:176], v[169:170], v[32:33]
	v_mul_f64_e32 v[32:33], v[171:172], v[32:33]
	scratch_load_b128 v[26:29], off, off offset:496
	s_wait_loadcnt_dscnt 0x800
	v_mul_f64_e32 v[183:184], v[2:3], v[36:37]
	v_mul_f64_e32 v[36:37], v[4:5], v[36:37]
	v_add_f64_e32 v[177:178], v[177:178], v[165:166]
	v_add_f64_e32 v[173:174], v[173:174], v[167:168]
	ds_load_b128 v[165:168], v1 offset:1280
	v_fma_f64 v[171:172], v[171:172], v[30:31], v[175:176]
	v_fma_f64 v[169:170], v[169:170], v[30:31], -v[32:33]
	scratch_load_b128 v[30:33], off, off offset:512
	v_add_f64_e32 v[175:176], v[177:178], v[181:182]
	v_add_f64_e32 v[173:174], v[173:174], v[179:180]
	v_fma_f64 v[179:180], v[4:5], v[34:35], v[183:184]
	v_fma_f64 v[181:182], v[2:3], v[34:35], -v[36:37]
	ds_load_b128 v[2:5], v1 offset:1296
	s_wait_loadcnt_dscnt 0x801
	v_mul_f64_e32 v[177:178], v[165:166], v[163:164]
	v_mul_f64_e32 v[163:164], v[167:168], v[163:164]
	scratch_load_b128 v[34:37], off, off offset:528
	s_wait_loadcnt_dscnt 0x800
	v_mul_f64_e32 v[183:184], v[2:3], v[40:41]
	v_mul_f64_e32 v[40:41], v[4:5], v[40:41]
	v_add_f64_e32 v[175:176], v[175:176], v[169:170]
	v_add_f64_e32 v[173:174], v[173:174], v[171:172]
	ds_load_b128 v[169:172], v1 offset:1312
	v_fma_f64 v[167:168], v[167:168], v[161:162], v[177:178]
	v_fma_f64 v[165:166], v[165:166], v[161:162], -v[163:164]
	scratch_load_b128 v[161:164], off, off offset:544
	v_add_f64_e32 v[175:176], v[175:176], v[181:182]
	v_add_f64_e32 v[173:174], v[173:174], v[179:180]
	v_fma_f64 v[179:180], v[4:5], v[38:39], v[183:184]
	;; [unrolled: 18-line block ×6, first 2 shown]
	v_fma_f64 v[183:184], v[2:3], v[34:35], -v[36:37]
	ds_load_b128 v[2:5], v1 offset:1456
	s_wait_loadcnt_dscnt 0x801
	v_mul_f64_e32 v[177:178], v[169:170], v[163:164]
	v_mul_f64_e32 v[179:180], v[171:172], v[163:164]
	scratch_load_b128 v[34:37], off, off offset:688
	v_add_f64_e32 v[175:176], v[175:176], v[165:166]
	v_add_f64_e32 v[167:168], v[173:174], v[167:168]
	s_wait_loadcnt_dscnt 0x800
	v_mul_f64_e32 v[173:174], v[2:3], v[40:41]
	v_mul_f64_e32 v[40:41], v[4:5], v[40:41]
	ds_load_b128 v[163:166], v1 offset:1472
	v_fma_f64 v[171:172], v[171:172], v[161:162], v[177:178]
	v_fma_f64 v[161:162], v[169:170], v[161:162], -v[179:180]
	v_add_f64_e32 v[175:176], v[175:176], v[183:184]
	v_add_f64_e32 v[177:178], v[167:168], v[181:182]
	scratch_load_b128 v[167:170], off, off offset:704
	v_fma_f64 v[181:182], v[4:5], v[38:39], v[173:174]
	v_fma_f64 v[183:184], v[2:3], v[38:39], -v[40:41]
	ds_load_b128 v[2:5], v1 offset:1488
	s_wait_loadcnt_dscnt 0x801
	v_mul_f64_e32 v[179:180], v[163:164], v[8:9]
	v_mul_f64_e32 v[8:9], v[165:166], v[8:9]
	scratch_load_b128 v[38:41], off, off offset:720
	v_add_f64_e32 v[161:162], v[175:176], v[161:162]
	v_add_f64_e32 v[175:176], v[177:178], v[171:172]
	s_wait_loadcnt_dscnt 0x800
	v_mul_f64_e32 v[177:178], v[2:3], v[12:13]
	v_mul_f64_e32 v[12:13], v[4:5], v[12:13]
	ds_load_b128 v[171:174], v1 offset:1504
	v_fma_f64 v[165:166], v[165:166], v[6:7], v[179:180]
	v_fma_f64 v[163:164], v[163:164], v[6:7], -v[8:9]
	scratch_load_b128 v[6:9], off, off offset:736
	v_add_f64_e32 v[161:162], v[161:162], v[183:184]
	v_add_f64_e32 v[175:176], v[175:176], v[181:182]
	v_fma_f64 v[177:178], v[4:5], v[10:11], v[177:178]
	v_fma_f64 v[181:182], v[2:3], v[10:11], -v[12:13]
	ds_load_b128 v[2:5], v1 offset:1520
	s_wait_loadcnt_dscnt 0x801
	v_mul_f64_e32 v[179:180], v[171:172], v[16:17]
	v_mul_f64_e32 v[16:17], v[173:174], v[16:17]
	scratch_load_b128 v[10:13], off, off offset:752
	v_add_f64_e32 v[183:184], v[161:162], v[163:164]
	v_add_f64_e32 v[165:166], v[175:176], v[165:166]
	s_wait_loadcnt_dscnt 0x800
	v_mul_f64_e32 v[175:176], v[2:3], v[20:21]
	v_mul_f64_e32 v[20:21], v[4:5], v[20:21]
	ds_load_b128 v[161:164], v1 offset:1536
	v_fma_f64 v[173:174], v[173:174], v[14:15], v[179:180]
	v_fma_f64 v[171:172], v[171:172], v[14:15], -v[16:17]
	scratch_load_b128 v[14:17], off, off offset:768
	v_add_f64_e32 v[179:180], v[183:184], v[181:182]
	v_add_f64_e32 v[165:166], v[165:166], v[177:178]
	v_fma_f64 v[175:176], v[4:5], v[18:19], v[175:176]
	v_fma_f64 v[181:182], v[2:3], v[18:19], -v[20:21]
	ds_load_b128 v[2:5], v1 offset:1552
	s_wait_loadcnt_dscnt 0x801
	v_mul_f64_e32 v[177:178], v[161:162], v[24:25]
	v_mul_f64_e32 v[24:25], v[163:164], v[24:25]
	scratch_load_b128 v[18:21], off, off offset:784
	s_wait_loadcnt_dscnt 0x800
	v_mul_f64_e32 v[183:184], v[2:3], v[28:29]
	v_mul_f64_e32 v[28:29], v[4:5], v[28:29]
	v_add_f64_e32 v[179:180], v[179:180], v[171:172]
	v_add_f64_e32 v[165:166], v[165:166], v[173:174]
	ds_load_b128 v[171:174], v1 offset:1568
	v_fma_f64 v[163:164], v[163:164], v[22:23], v[177:178]
	v_fma_f64 v[161:162], v[161:162], v[22:23], -v[24:25]
	scratch_load_b128 v[22:25], off, off offset:800
	v_add_f64_e32 v[177:178], v[179:180], v[181:182]
	v_add_f64_e32 v[165:166], v[165:166], v[175:176]
	v_fma_f64 v[179:180], v[4:5], v[26:27], v[183:184]
	v_fma_f64 v[181:182], v[2:3], v[26:27], -v[28:29]
	ds_load_b128 v[2:5], v1 offset:1584
	s_wait_loadcnt_dscnt 0x801
	v_mul_f64_e32 v[175:176], v[171:172], v[32:33]
	v_mul_f64_e32 v[32:33], v[173:174], v[32:33]
	scratch_load_b128 v[26:29], off, off offset:816
	s_wait_loadcnt_dscnt 0x800
	v_mul_f64_e32 v[183:184], v[2:3], v[36:37]
	v_mul_f64_e32 v[36:37], v[4:5], v[36:37]
	v_add_f64_e32 v[177:178], v[177:178], v[161:162]
	v_add_f64_e32 v[165:166], v[165:166], v[163:164]
	ds_load_b128 v[161:164], v1 offset:1600
	v_fma_f64 v[173:174], v[173:174], v[30:31], v[175:176]
	v_fma_f64 v[171:172], v[171:172], v[30:31], -v[32:33]
	scratch_load_b128 v[30:33], off, off offset:832
	v_add_f64_e32 v[175:176], v[177:178], v[181:182]
	v_add_f64_e32 v[165:166], v[165:166], v[179:180]
	v_fma_f64 v[181:182], v[4:5], v[34:35], v[183:184]
	v_fma_f64 v[183:184], v[2:3], v[34:35], -v[36:37]
	ds_load_b128 v[2:5], v1 offset:1616
	scratch_load_b128 v[34:37], off, off offset:848
	s_wait_loadcnt_dscnt 0x901
	v_mul_f64_e32 v[177:178], v[161:162], v[169:170]
	v_mul_f64_e32 v[179:180], v[163:164], v[169:170]
	v_add_f64_e32 v[175:176], v[175:176], v[171:172]
	v_add_f64_e32 v[165:166], v[165:166], v[173:174]
	s_wait_loadcnt_dscnt 0x800
	v_mul_f64_e32 v[173:174], v[2:3], v[40:41]
	v_mul_f64_e32 v[40:41], v[4:5], v[40:41]
	ds_load_b128 v[169:172], v1 offset:1632
	v_fma_f64 v[177:178], v[163:164], v[167:168], v[177:178]
	v_fma_f64 v[167:168], v[161:162], v[167:168], -v[179:180]
	scratch_load_b128 v[161:164], off, off offset:864
	v_add_f64_e32 v[175:176], v[175:176], v[183:184]
	v_add_f64_e32 v[165:166], v[165:166], v[181:182]
	v_fma_f64 v[173:174], v[4:5], v[38:39], v[173:174]
	v_fma_f64 v[181:182], v[2:3], v[38:39], -v[40:41]
	ds_load_b128 v[2:5], v1 offset:1648
	s_wait_loadcnt_dscnt 0x801
	v_mul_f64_e32 v[179:180], v[169:170], v[8:9]
	v_mul_f64_e32 v[8:9], v[171:172], v[8:9]
	scratch_load_b128 v[38:41], off, off offset:880
	s_wait_loadcnt_dscnt 0x800
	v_mul_f64_e32 v[183:184], v[2:3], v[12:13]
	v_mul_f64_e32 v[12:13], v[4:5], v[12:13]
	v_add_f64_e32 v[175:176], v[175:176], v[167:168]
	v_add_f64_e32 v[177:178], v[165:166], v[177:178]
	ds_load_b128 v[165:168], v1 offset:1664
	v_fma_f64 v[171:172], v[171:172], v[6:7], v[179:180]
	v_fma_f64 v[169:170], v[169:170], v[6:7], -v[8:9]
	scratch_load_b128 v[6:9], off, off offset:896
	v_fma_f64 v[179:180], v[4:5], v[10:11], v[183:184]
	v_add_f64_e32 v[175:176], v[175:176], v[181:182]
	v_add_f64_e32 v[173:174], v[177:178], v[173:174]
	v_fma_f64 v[181:182], v[2:3], v[10:11], -v[12:13]
	ds_load_b128 v[2:5], v1 offset:1680
	s_wait_loadcnt_dscnt 0x801
	v_mul_f64_e32 v[177:178], v[165:166], v[16:17]
	v_mul_f64_e32 v[16:17], v[167:168], v[16:17]
	scratch_load_b128 v[10:13], off, off offset:912
	s_wait_loadcnt_dscnt 0x800
	v_mul_f64_e32 v[183:184], v[2:3], v[20:21]
	v_mul_f64_e32 v[20:21], v[4:5], v[20:21]
	v_add_f64_e32 v[175:176], v[175:176], v[169:170]
	v_add_f64_e32 v[173:174], v[173:174], v[171:172]
	ds_load_b128 v[169:172], v1 offset:1696
	v_fma_f64 v[167:168], v[167:168], v[14:15], v[177:178]
	v_fma_f64 v[14:15], v[165:166], v[14:15], -v[16:17]
	v_add_f64_e32 v[16:17], v[175:176], v[181:182]
	v_add_f64_e32 v[165:166], v[173:174], v[179:180]
	s_wait_loadcnt_dscnt 0x700
	v_mul_f64_e32 v[173:174], v[169:170], v[24:25]
	v_mul_f64_e32 v[24:25], v[171:172], v[24:25]
	v_fma_f64 v[175:176], v[4:5], v[18:19], v[183:184]
	v_fma_f64 v[18:19], v[2:3], v[18:19], -v[20:21]
	v_add_f64_e32 v[20:21], v[16:17], v[14:15]
	v_add_f64_e32 v[165:166], v[165:166], v[167:168]
	ds_load_b128 v[2:5], v1 offset:1712
	ds_load_b128 v[14:17], v1 offset:1728
	v_fma_f64 v[171:172], v[171:172], v[22:23], v[173:174]
	v_fma_f64 v[22:23], v[169:170], v[22:23], -v[24:25]
	s_wait_loadcnt_dscnt 0x601
	v_mul_f64_e32 v[167:168], v[2:3], v[28:29]
	v_mul_f64_e32 v[28:29], v[4:5], v[28:29]
	s_wait_loadcnt_dscnt 0x500
	v_mul_f64_e32 v[24:25], v[14:15], v[32:33]
	v_mul_f64_e32 v[32:33], v[16:17], v[32:33]
	v_add_f64_e32 v[18:19], v[20:21], v[18:19]
	v_add_f64_e32 v[20:21], v[165:166], v[175:176]
	v_fma_f64 v[165:166], v[4:5], v[26:27], v[167:168]
	v_fma_f64 v[26:27], v[2:3], v[26:27], -v[28:29]
	v_fma_f64 v[16:17], v[16:17], v[30:31], v[24:25]
	v_fma_f64 v[14:15], v[14:15], v[30:31], -v[32:33]
	v_add_f64_e32 v[22:23], v[18:19], v[22:23]
	v_add_f64_e32 v[28:29], v[20:21], v[171:172]
	ds_load_b128 v[2:5], v1 offset:1744
	ds_load_b128 v[18:21], v1 offset:1760
	s_wait_loadcnt_dscnt 0x401
	v_mul_f64_e32 v[167:168], v[2:3], v[36:37]
	v_mul_f64_e32 v[36:37], v[4:5], v[36:37]
	v_add_f64_e32 v[22:23], v[22:23], v[26:27]
	v_add_f64_e32 v[24:25], v[28:29], v[165:166]
	s_wait_loadcnt_dscnt 0x300
	v_mul_f64_e32 v[26:27], v[18:19], v[163:164]
	v_mul_f64_e32 v[28:29], v[20:21], v[163:164]
	v_fma_f64 v[30:31], v[4:5], v[34:35], v[167:168]
	v_fma_f64 v[32:33], v[2:3], v[34:35], -v[36:37]
	v_add_f64_e32 v[22:23], v[22:23], v[14:15]
	v_add_f64_e32 v[24:25], v[24:25], v[16:17]
	ds_load_b128 v[2:5], v1 offset:1776
	ds_load_b128 v[14:17], v1 offset:1792
	v_fma_f64 v[20:21], v[20:21], v[161:162], v[26:27]
	v_fma_f64 v[18:19], v[18:19], v[161:162], -v[28:29]
	s_wait_loadcnt_dscnt 0x201
	v_mul_f64_e32 v[34:35], v[2:3], v[40:41]
	v_mul_f64_e32 v[36:37], v[4:5], v[40:41]
	s_wait_loadcnt_dscnt 0x100
	v_mul_f64_e32 v[26:27], v[14:15], v[8:9]
	v_mul_f64_e32 v[8:9], v[16:17], v[8:9]
	v_add_f64_e32 v[22:23], v[22:23], v[32:33]
	v_add_f64_e32 v[24:25], v[24:25], v[30:31]
	v_fma_f64 v[28:29], v[4:5], v[38:39], v[34:35]
	v_fma_f64 v[30:31], v[2:3], v[38:39], -v[36:37]
	ds_load_b128 v[2:5], v1 offset:1808
	v_fma_f64 v[16:17], v[16:17], v[6:7], v[26:27]
	v_fma_f64 v[6:7], v[14:15], v[6:7], -v[8:9]
	v_add_f64_e32 v[18:19], v[22:23], v[18:19]
	v_add_f64_e32 v[20:21], v[24:25], v[20:21]
	s_wait_loadcnt_dscnt 0x0
	v_mul_f64_e32 v[22:23], v[2:3], v[12:13]
	v_mul_f64_e32 v[12:13], v[4:5], v[12:13]
	s_delay_alu instid0(VALU_DEP_4) | instskip(NEXT) | instid1(VALU_DEP_4)
	v_add_f64_e32 v[8:9], v[18:19], v[30:31]
	v_add_f64_e32 v[14:15], v[20:21], v[28:29]
	s_delay_alu instid0(VALU_DEP_4) | instskip(NEXT) | instid1(VALU_DEP_4)
	v_fma_f64 v[4:5], v[4:5], v[10:11], v[22:23]
	v_fma_f64 v[2:3], v[2:3], v[10:11], -v[12:13]
	s_delay_alu instid0(VALU_DEP_4) | instskip(NEXT) | instid1(VALU_DEP_4)
	v_add_f64_e32 v[6:7], v[8:9], v[6:7]
	v_add_f64_e32 v[8:9], v[14:15], v[16:17]
	s_delay_alu instid0(VALU_DEP_2) | instskip(NEXT) | instid1(VALU_DEP_2)
	v_add_f64_e32 v[2:3], v[6:7], v[2:3]
	v_add_f64_e32 v[4:5], v[8:9], v[4:5]
	s_delay_alu instid0(VALU_DEP_2) | instskip(NEXT) | instid1(VALU_DEP_2)
	v_add_f64_e64 v[2:3], v[42:43], -v[2:3]
	v_add_f64_e64 v[4:5], v[44:45], -v[4:5]
	scratch_store_b128 off, v[2:5], off offset:64
	v_cmpx_lt_u32_e32 2, v0
	s_cbranch_execz .LBB120_351
; %bb.350:
	scratch_load_b128 v[5:8], off, s13
	v_dual_mov_b32 v2, v1 :: v_dual_mov_b32 v3, v1
	v_mov_b32_e32 v4, v1
	scratch_store_b128 off, v[1:4], off offset:48
	s_wait_loadcnt 0x0
	ds_store_b128 v160, v[5:8]
.LBB120_351:
	s_wait_alu 0xfffe
	s_or_b32 exec_lo, exec_lo, s0
	s_wait_storecnt_dscnt 0x0
	s_barrier_signal -1
	s_barrier_wait -1
	global_inv scope:SCOPE_SE
	s_clause 0x8
	scratch_load_b128 v[2:5], off, off offset:64
	scratch_load_b128 v[6:9], off, off offset:80
	;; [unrolled: 1-line block ×9, first 2 shown]
	ds_load_b128 v[42:45], v1 offset:960
	ds_load_b128 v[38:41], v1 offset:976
	s_clause 0x1
	scratch_load_b128 v[161:164], off, off offset:48
	scratch_load_b128 v[165:168], off, off offset:208
	s_mov_b32 s0, exec_lo
	s_wait_loadcnt_dscnt 0xa01
	v_mul_f64_e32 v[169:170], v[44:45], v[4:5]
	v_mul_f64_e32 v[4:5], v[42:43], v[4:5]
	s_wait_loadcnt_dscnt 0x900
	v_mul_f64_e32 v[173:174], v[38:39], v[8:9]
	v_mul_f64_e32 v[8:9], v[40:41], v[8:9]
	s_delay_alu instid0(VALU_DEP_4) | instskip(NEXT) | instid1(VALU_DEP_4)
	v_fma_f64 v[175:176], v[42:43], v[2:3], -v[169:170]
	v_fma_f64 v[177:178], v[44:45], v[2:3], v[4:5]
	ds_load_b128 v[2:5], v1 offset:992
	ds_load_b128 v[169:172], v1 offset:1008
	scratch_load_b128 v[42:45], off, off offset:224
	v_fma_f64 v[40:41], v[40:41], v[6:7], v[173:174]
	v_fma_f64 v[38:39], v[38:39], v[6:7], -v[8:9]
	scratch_load_b128 v[6:9], off, off offset:240
	s_wait_loadcnt_dscnt 0xa01
	v_mul_f64_e32 v[179:180], v[2:3], v[12:13]
	v_mul_f64_e32 v[12:13], v[4:5], v[12:13]
	v_add_f64_e32 v[173:174], 0, v[175:176]
	v_add_f64_e32 v[175:176], 0, v[177:178]
	s_wait_loadcnt_dscnt 0x900
	v_mul_f64_e32 v[177:178], v[169:170], v[16:17]
	v_mul_f64_e32 v[16:17], v[171:172], v[16:17]
	v_fma_f64 v[179:180], v[4:5], v[10:11], v[179:180]
	v_fma_f64 v[181:182], v[2:3], v[10:11], -v[12:13]
	ds_load_b128 v[2:5], v1 offset:1024
	scratch_load_b128 v[10:13], off, off offset:256
	v_add_f64_e32 v[173:174], v[173:174], v[38:39]
	v_add_f64_e32 v[175:176], v[175:176], v[40:41]
	ds_load_b128 v[38:41], v1 offset:1040
	v_fma_f64 v[171:172], v[171:172], v[14:15], v[177:178]
	v_fma_f64 v[169:170], v[169:170], v[14:15], -v[16:17]
	scratch_load_b128 v[14:17], off, off offset:272
	s_wait_loadcnt_dscnt 0xa01
	v_mul_f64_e32 v[183:184], v[2:3], v[20:21]
	v_mul_f64_e32 v[20:21], v[4:5], v[20:21]
	s_wait_loadcnt_dscnt 0x900
	v_mul_f64_e32 v[177:178], v[38:39], v[24:25]
	v_mul_f64_e32 v[24:25], v[40:41], v[24:25]
	v_add_f64_e32 v[173:174], v[173:174], v[181:182]
	v_add_f64_e32 v[175:176], v[175:176], v[179:180]
	v_fma_f64 v[179:180], v[4:5], v[18:19], v[183:184]
	v_fma_f64 v[181:182], v[2:3], v[18:19], -v[20:21]
	ds_load_b128 v[2:5], v1 offset:1056
	scratch_load_b128 v[18:21], off, off offset:288
	v_fma_f64 v[40:41], v[40:41], v[22:23], v[177:178]
	v_fma_f64 v[38:39], v[38:39], v[22:23], -v[24:25]
	scratch_load_b128 v[22:25], off, off offset:304
	v_add_f64_e32 v[173:174], v[173:174], v[169:170]
	v_add_f64_e32 v[175:176], v[175:176], v[171:172]
	ds_load_b128 v[169:172], v1 offset:1072
	s_wait_loadcnt_dscnt 0xa01
	v_mul_f64_e32 v[183:184], v[2:3], v[28:29]
	v_mul_f64_e32 v[28:29], v[4:5], v[28:29]
	s_wait_loadcnt_dscnt 0x900
	v_mul_f64_e32 v[177:178], v[169:170], v[32:33]
	v_mul_f64_e32 v[32:33], v[171:172], v[32:33]
	v_add_f64_e32 v[173:174], v[173:174], v[181:182]
	v_add_f64_e32 v[175:176], v[175:176], v[179:180]
	v_fma_f64 v[179:180], v[4:5], v[26:27], v[183:184]
	v_fma_f64 v[181:182], v[2:3], v[26:27], -v[28:29]
	ds_load_b128 v[2:5], v1 offset:1088
	scratch_load_b128 v[26:29], off, off offset:320
	v_fma_f64 v[171:172], v[171:172], v[30:31], v[177:178]
	v_fma_f64 v[169:170], v[169:170], v[30:31], -v[32:33]
	scratch_load_b128 v[30:33], off, off offset:336
	v_add_f64_e32 v[173:174], v[173:174], v[38:39]
	v_add_f64_e32 v[175:176], v[175:176], v[40:41]
	ds_load_b128 v[38:41], v1 offset:1104
	s_wait_loadcnt_dscnt 0xa01
	v_mul_f64_e32 v[183:184], v[2:3], v[36:37]
	v_mul_f64_e32 v[36:37], v[4:5], v[36:37]
	s_wait_loadcnt_dscnt 0x800
	v_mul_f64_e32 v[177:178], v[38:39], v[167:168]
	v_add_f64_e32 v[173:174], v[173:174], v[181:182]
	v_add_f64_e32 v[175:176], v[175:176], v[179:180]
	v_mul_f64_e32 v[179:180], v[40:41], v[167:168]
	v_fma_f64 v[181:182], v[4:5], v[34:35], v[183:184]
	v_fma_f64 v[183:184], v[2:3], v[34:35], -v[36:37]
	ds_load_b128 v[2:5], v1 offset:1120
	scratch_load_b128 v[34:37], off, off offset:352
	v_fma_f64 v[177:178], v[40:41], v[165:166], v[177:178]
	v_add_f64_e32 v[173:174], v[173:174], v[169:170]
	v_add_f64_e32 v[171:172], v[175:176], v[171:172]
	ds_load_b128 v[167:170], v1 offset:1136
	v_fma_f64 v[165:166], v[38:39], v[165:166], -v[179:180]
	scratch_load_b128 v[38:41], off, off offset:368
	s_wait_loadcnt_dscnt 0x901
	v_mul_f64_e32 v[175:176], v[2:3], v[44:45]
	v_mul_f64_e32 v[44:45], v[4:5], v[44:45]
	s_wait_loadcnt_dscnt 0x800
	v_mul_f64_e32 v[179:180], v[167:168], v[8:9]
	v_mul_f64_e32 v[8:9], v[169:170], v[8:9]
	v_add_f64_e32 v[173:174], v[173:174], v[183:184]
	v_add_f64_e32 v[171:172], v[171:172], v[181:182]
	v_fma_f64 v[175:176], v[4:5], v[42:43], v[175:176]
	v_fma_f64 v[181:182], v[2:3], v[42:43], -v[44:45]
	ds_load_b128 v[2:5], v1 offset:1152
	scratch_load_b128 v[42:45], off, off offset:384
	v_fma_f64 v[169:170], v[169:170], v[6:7], v[179:180]
	v_fma_f64 v[167:168], v[167:168], v[6:7], -v[8:9]
	scratch_load_b128 v[6:9], off, off offset:400
	v_add_f64_e32 v[165:166], v[173:174], v[165:166]
	v_add_f64_e32 v[177:178], v[171:172], v[177:178]
	ds_load_b128 v[171:174], v1 offset:1168
	s_wait_loadcnt_dscnt 0x901
	v_mul_f64_e32 v[183:184], v[2:3], v[12:13]
	v_mul_f64_e32 v[12:13], v[4:5], v[12:13]
	v_add_f64_e32 v[165:166], v[165:166], v[181:182]
	v_add_f64_e32 v[175:176], v[177:178], v[175:176]
	s_wait_loadcnt_dscnt 0x800
	v_mul_f64_e32 v[177:178], v[171:172], v[16:17]
	v_mul_f64_e32 v[16:17], v[173:174], v[16:17]
	v_fma_f64 v[179:180], v[4:5], v[10:11], v[183:184]
	v_fma_f64 v[181:182], v[2:3], v[10:11], -v[12:13]
	ds_load_b128 v[2:5], v1 offset:1184
	scratch_load_b128 v[10:13], off, off offset:416
	v_add_f64_e32 v[183:184], v[165:166], v[167:168]
	v_add_f64_e32 v[169:170], v[175:176], v[169:170]
	ds_load_b128 v[165:168], v1 offset:1200
	s_wait_loadcnt_dscnt 0x801
	v_mul_f64_e32 v[175:176], v[2:3], v[20:21]
	v_mul_f64_e32 v[20:21], v[4:5], v[20:21]
	v_fma_f64 v[173:174], v[173:174], v[14:15], v[177:178]
	v_fma_f64 v[171:172], v[171:172], v[14:15], -v[16:17]
	scratch_load_b128 v[14:17], off, off offset:432
	v_add_f64_e32 v[177:178], v[183:184], v[181:182]
	v_add_f64_e32 v[169:170], v[169:170], v[179:180]
	s_wait_loadcnt_dscnt 0x800
	v_mul_f64_e32 v[179:180], v[165:166], v[24:25]
	v_mul_f64_e32 v[24:25], v[167:168], v[24:25]
	v_fma_f64 v[175:176], v[4:5], v[18:19], v[175:176]
	v_fma_f64 v[181:182], v[2:3], v[18:19], -v[20:21]
	ds_load_b128 v[2:5], v1 offset:1216
	scratch_load_b128 v[18:21], off, off offset:448
	v_add_f64_e32 v[177:178], v[177:178], v[171:172]
	v_add_f64_e32 v[173:174], v[169:170], v[173:174]
	ds_load_b128 v[169:172], v1 offset:1232
	s_wait_loadcnt_dscnt 0x801
	v_mul_f64_e32 v[183:184], v[2:3], v[28:29]
	v_mul_f64_e32 v[28:29], v[4:5], v[28:29]
	v_fma_f64 v[167:168], v[167:168], v[22:23], v[179:180]
	v_fma_f64 v[165:166], v[165:166], v[22:23], -v[24:25]
	scratch_load_b128 v[22:25], off, off offset:464
	;; [unrolled: 18-line block ×4, first 2 shown]
	s_wait_loadcnt_dscnt 0x800
	v_mul_f64_e32 v[177:178], v[169:170], v[8:9]
	v_mul_f64_e32 v[8:9], v[171:172], v[8:9]
	v_add_f64_e32 v[175:176], v[175:176], v[181:182]
	v_add_f64_e32 v[173:174], v[173:174], v[179:180]
	v_fma_f64 v[179:180], v[4:5], v[42:43], v[183:184]
	v_fma_f64 v[181:182], v[2:3], v[42:43], -v[44:45]
	ds_load_b128 v[2:5], v1 offset:1312
	scratch_load_b128 v[42:45], off, off offset:544
	v_fma_f64 v[171:172], v[171:172], v[6:7], v[177:178]
	v_fma_f64 v[169:170], v[169:170], v[6:7], -v[8:9]
	scratch_load_b128 v[6:9], off, off offset:560
	v_add_f64_e32 v[175:176], v[175:176], v[165:166]
	v_add_f64_e32 v[173:174], v[173:174], v[167:168]
	ds_load_b128 v[165:168], v1 offset:1328
	s_wait_loadcnt_dscnt 0x901
	v_mul_f64_e32 v[183:184], v[2:3], v[12:13]
	v_mul_f64_e32 v[12:13], v[4:5], v[12:13]
	s_wait_loadcnt_dscnt 0x800
	v_mul_f64_e32 v[177:178], v[165:166], v[16:17]
	v_mul_f64_e32 v[16:17], v[167:168], v[16:17]
	v_add_f64_e32 v[175:176], v[175:176], v[181:182]
	v_add_f64_e32 v[173:174], v[173:174], v[179:180]
	v_fma_f64 v[179:180], v[4:5], v[10:11], v[183:184]
	v_fma_f64 v[181:182], v[2:3], v[10:11], -v[12:13]
	ds_load_b128 v[2:5], v1 offset:1344
	scratch_load_b128 v[10:13], off, off offset:576
	v_fma_f64 v[167:168], v[167:168], v[14:15], v[177:178]
	v_fma_f64 v[165:166], v[165:166], v[14:15], -v[16:17]
	scratch_load_b128 v[14:17], off, off offset:592
	v_add_f64_e32 v[175:176], v[175:176], v[169:170]
	v_add_f64_e32 v[173:174], v[173:174], v[171:172]
	ds_load_b128 v[169:172], v1 offset:1360
	s_wait_loadcnt_dscnt 0x901
	v_mul_f64_e32 v[183:184], v[2:3], v[20:21]
	v_mul_f64_e32 v[20:21], v[4:5], v[20:21]
	;; [unrolled: 18-line block ×12, first 2 shown]
	s_wait_loadcnt_dscnt 0x800
	v_mul_f64_e32 v[177:178], v[169:170], v[24:25]
	v_mul_f64_e32 v[24:25], v[171:172], v[24:25]
	v_add_f64_e32 v[175:176], v[175:176], v[181:182]
	v_add_f64_e32 v[173:174], v[173:174], v[179:180]
	v_fma_f64 v[179:180], v[4:5], v[18:19], v[183:184]
	v_fma_f64 v[181:182], v[2:3], v[18:19], -v[20:21]
	ds_load_b128 v[2:5], v1 offset:1696
	ds_load_b128 v[18:21], v1 offset:1712
	v_fma_f64 v[171:172], v[171:172], v[22:23], v[177:178]
	v_fma_f64 v[22:23], v[169:170], v[22:23], -v[24:25]
	v_add_f64_e32 v[165:166], v[175:176], v[165:166]
	v_add_f64_e32 v[167:168], v[173:174], v[167:168]
	s_wait_loadcnt_dscnt 0x701
	v_mul_f64_e32 v[173:174], v[2:3], v[28:29]
	v_mul_f64_e32 v[28:29], v[4:5], v[28:29]
	s_delay_alu instid0(VALU_DEP_4) | instskip(NEXT) | instid1(VALU_DEP_4)
	v_add_f64_e32 v[24:25], v[165:166], v[181:182]
	v_add_f64_e32 v[165:166], v[167:168], v[179:180]
	s_wait_loadcnt_dscnt 0x600
	v_mul_f64_e32 v[167:168], v[18:19], v[32:33]
	v_mul_f64_e32 v[32:33], v[20:21], v[32:33]
	v_fma_f64 v[169:170], v[4:5], v[26:27], v[173:174]
	v_fma_f64 v[26:27], v[2:3], v[26:27], -v[28:29]
	v_add_f64_e32 v[28:29], v[24:25], v[22:23]
	v_add_f64_e32 v[165:166], v[165:166], v[171:172]
	ds_load_b128 v[2:5], v1 offset:1728
	ds_load_b128 v[22:25], v1 offset:1744
	v_fma_f64 v[20:21], v[20:21], v[30:31], v[167:168]
	v_fma_f64 v[18:19], v[18:19], v[30:31], -v[32:33]
	s_wait_loadcnt_dscnt 0x501
	v_mul_f64_e32 v[171:172], v[2:3], v[36:37]
	v_mul_f64_e32 v[36:37], v[4:5], v[36:37]
	s_wait_loadcnt_dscnt 0x400
	v_mul_f64_e32 v[30:31], v[22:23], v[40:41]
	v_mul_f64_e32 v[32:33], v[24:25], v[40:41]
	v_add_f64_e32 v[26:27], v[28:29], v[26:27]
	v_add_f64_e32 v[28:29], v[165:166], v[169:170]
	v_fma_f64 v[40:41], v[4:5], v[34:35], v[171:172]
	v_fma_f64 v[34:35], v[2:3], v[34:35], -v[36:37]
	v_fma_f64 v[24:25], v[24:25], v[38:39], v[30:31]
	v_fma_f64 v[22:23], v[22:23], v[38:39], -v[32:33]
	v_add_f64_e32 v[26:27], v[26:27], v[18:19]
	v_add_f64_e32 v[28:29], v[28:29], v[20:21]
	ds_load_b128 v[2:5], v1 offset:1760
	ds_load_b128 v[18:21], v1 offset:1776
	s_wait_loadcnt_dscnt 0x301
	v_mul_f64_e32 v[36:37], v[2:3], v[44:45]
	v_mul_f64_e32 v[44:45], v[4:5], v[44:45]
	s_wait_loadcnt_dscnt 0x200
	v_mul_f64_e32 v[30:31], v[18:19], v[8:9]
	v_mul_f64_e32 v[8:9], v[20:21], v[8:9]
	v_add_f64_e32 v[26:27], v[26:27], v[34:35]
	v_add_f64_e32 v[28:29], v[28:29], v[40:41]
	v_fma_f64 v[32:33], v[4:5], v[42:43], v[36:37]
	v_fma_f64 v[34:35], v[2:3], v[42:43], -v[44:45]
	v_fma_f64 v[20:21], v[20:21], v[6:7], v[30:31]
	v_fma_f64 v[6:7], v[18:19], v[6:7], -v[8:9]
	v_add_f64_e32 v[26:27], v[26:27], v[22:23]
	v_add_f64_e32 v[28:29], v[28:29], v[24:25]
	ds_load_b128 v[2:5], v1 offset:1792
	ds_load_b128 v[22:25], v1 offset:1808
	s_wait_loadcnt_dscnt 0x101
	v_mul_f64_e32 v[36:37], v[2:3], v[12:13]
	v_mul_f64_e32 v[12:13], v[4:5], v[12:13]
	v_add_f64_e32 v[8:9], v[26:27], v[34:35]
	v_add_f64_e32 v[18:19], v[28:29], v[32:33]
	s_wait_loadcnt_dscnt 0x0
	v_mul_f64_e32 v[26:27], v[22:23], v[16:17]
	v_mul_f64_e32 v[16:17], v[24:25], v[16:17]
	v_fma_f64 v[4:5], v[4:5], v[10:11], v[36:37]
	v_fma_f64 v[1:2], v[2:3], v[10:11], -v[12:13]
	v_add_f64_e32 v[6:7], v[8:9], v[6:7]
	v_add_f64_e32 v[8:9], v[18:19], v[20:21]
	v_fma_f64 v[10:11], v[24:25], v[14:15], v[26:27]
	v_fma_f64 v[12:13], v[22:23], v[14:15], -v[16:17]
	s_delay_alu instid0(VALU_DEP_4) | instskip(NEXT) | instid1(VALU_DEP_4)
	v_add_f64_e32 v[1:2], v[6:7], v[1:2]
	v_add_f64_e32 v[3:4], v[8:9], v[4:5]
	s_delay_alu instid0(VALU_DEP_2) | instskip(NEXT) | instid1(VALU_DEP_2)
	v_add_f64_e32 v[1:2], v[1:2], v[12:13]
	v_add_f64_e32 v[3:4], v[3:4], v[10:11]
	s_delay_alu instid0(VALU_DEP_2) | instskip(NEXT) | instid1(VALU_DEP_2)
	v_add_f64_e64 v[1:2], v[161:162], -v[1:2]
	v_add_f64_e64 v[3:4], v[163:164], -v[3:4]
	scratch_store_b128 off, v[1:4], off offset:48
	v_cmpx_lt_u32_e32 1, v0
	s_cbranch_execz .LBB120_353
; %bb.352:
	scratch_load_b128 v[1:4], off, s15
	v_mov_b32_e32 v5, 0
	s_delay_alu instid0(VALU_DEP_1)
	v_dual_mov_b32 v6, v5 :: v_dual_mov_b32 v7, v5
	v_mov_b32_e32 v8, v5
	scratch_store_b128 off, v[5:8], off offset:32
	s_wait_loadcnt 0x0
	ds_store_b128 v160, v[1:4]
.LBB120_353:
	s_wait_alu 0xfffe
	s_or_b32 exec_lo, exec_lo, s0
	s_wait_storecnt_dscnt 0x0
	s_barrier_signal -1
	s_barrier_wait -1
	global_inv scope:SCOPE_SE
	s_clause 0x7
	scratch_load_b128 v[2:5], off, off offset:48
	scratch_load_b128 v[6:9], off, off offset:64
	;; [unrolled: 1-line block ×8, first 2 shown]
	v_mov_b32_e32 v1, 0
	s_mov_b32 s0, exec_lo
	ds_load_b128 v[38:41], v1 offset:944
	s_clause 0x1
	scratch_load_b128 v[34:37], off, off offset:176
	scratch_load_b128 v[42:45], off, off offset:32
	ds_load_b128 v[161:164], v1 offset:960
	scratch_load_b128 v[165:168], off, off offset:192
	s_wait_loadcnt_dscnt 0xa01
	v_mul_f64_e32 v[169:170], v[40:41], v[4:5]
	v_mul_f64_e32 v[4:5], v[38:39], v[4:5]
	s_delay_alu instid0(VALU_DEP_2) | instskip(NEXT) | instid1(VALU_DEP_2)
	v_fma_f64 v[175:176], v[38:39], v[2:3], -v[169:170]
	v_fma_f64 v[177:178], v[40:41], v[2:3], v[4:5]
	ds_load_b128 v[2:5], v1 offset:976
	s_wait_loadcnt_dscnt 0x901
	v_mul_f64_e32 v[173:174], v[161:162], v[8:9]
	v_mul_f64_e32 v[8:9], v[163:164], v[8:9]
	scratch_load_b128 v[38:41], off, off offset:208
	ds_load_b128 v[169:172], v1 offset:992
	s_wait_loadcnt_dscnt 0x901
	v_mul_f64_e32 v[179:180], v[2:3], v[12:13]
	v_mul_f64_e32 v[12:13], v[4:5], v[12:13]
	v_fma_f64 v[163:164], v[163:164], v[6:7], v[173:174]
	v_fma_f64 v[161:162], v[161:162], v[6:7], -v[8:9]
	v_add_f64_e32 v[173:174], 0, v[175:176]
	v_add_f64_e32 v[175:176], 0, v[177:178]
	scratch_load_b128 v[6:9], off, off offset:224
	v_fma_f64 v[179:180], v[4:5], v[10:11], v[179:180]
	v_fma_f64 v[181:182], v[2:3], v[10:11], -v[12:13]
	ds_load_b128 v[2:5], v1 offset:1008
	s_wait_loadcnt_dscnt 0x901
	v_mul_f64_e32 v[177:178], v[169:170], v[16:17]
	v_mul_f64_e32 v[16:17], v[171:172], v[16:17]
	scratch_load_b128 v[10:13], off, off offset:240
	v_add_f64_e32 v[173:174], v[173:174], v[161:162]
	v_add_f64_e32 v[175:176], v[175:176], v[163:164]
	s_wait_loadcnt_dscnt 0x900
	v_mul_f64_e32 v[183:184], v[2:3], v[20:21]
	v_mul_f64_e32 v[20:21], v[4:5], v[20:21]
	ds_load_b128 v[161:164], v1 offset:1024
	v_fma_f64 v[171:172], v[171:172], v[14:15], v[177:178]
	v_fma_f64 v[169:170], v[169:170], v[14:15], -v[16:17]
	scratch_load_b128 v[14:17], off, off offset:256
	v_add_f64_e32 v[173:174], v[173:174], v[181:182]
	v_add_f64_e32 v[175:176], v[175:176], v[179:180]
	v_fma_f64 v[179:180], v[4:5], v[18:19], v[183:184]
	v_fma_f64 v[181:182], v[2:3], v[18:19], -v[20:21]
	ds_load_b128 v[2:5], v1 offset:1040
	s_wait_loadcnt_dscnt 0x901
	v_mul_f64_e32 v[177:178], v[161:162], v[24:25]
	v_mul_f64_e32 v[24:25], v[163:164], v[24:25]
	scratch_load_b128 v[18:21], off, off offset:272
	s_wait_loadcnt_dscnt 0x900
	v_mul_f64_e32 v[183:184], v[2:3], v[28:29]
	v_mul_f64_e32 v[28:29], v[4:5], v[28:29]
	v_add_f64_e32 v[173:174], v[173:174], v[169:170]
	v_add_f64_e32 v[175:176], v[175:176], v[171:172]
	ds_load_b128 v[169:172], v1 offset:1056
	v_fma_f64 v[163:164], v[163:164], v[22:23], v[177:178]
	v_fma_f64 v[161:162], v[161:162], v[22:23], -v[24:25]
	scratch_load_b128 v[22:25], off, off offset:288
	v_add_f64_e32 v[173:174], v[173:174], v[181:182]
	v_add_f64_e32 v[175:176], v[175:176], v[179:180]
	v_fma_f64 v[179:180], v[4:5], v[26:27], v[183:184]
	v_fma_f64 v[181:182], v[2:3], v[26:27], -v[28:29]
	ds_load_b128 v[2:5], v1 offset:1072
	s_wait_loadcnt_dscnt 0x901
	v_mul_f64_e32 v[177:178], v[169:170], v[32:33]
	v_mul_f64_e32 v[32:33], v[171:172], v[32:33]
	scratch_load_b128 v[26:29], off, off offset:304
	s_wait_loadcnt_dscnt 0x900
	v_mul_f64_e32 v[183:184], v[2:3], v[36:37]
	v_mul_f64_e32 v[36:37], v[4:5], v[36:37]
	v_add_f64_e32 v[173:174], v[173:174], v[161:162]
	v_add_f64_e32 v[175:176], v[175:176], v[163:164]
	ds_load_b128 v[161:164], v1 offset:1088
	v_fma_f64 v[171:172], v[171:172], v[30:31], v[177:178]
	v_fma_f64 v[169:170], v[169:170], v[30:31], -v[32:33]
	scratch_load_b128 v[30:33], off, off offset:320
	v_add_f64_e32 v[173:174], v[173:174], v[181:182]
	v_add_f64_e32 v[175:176], v[175:176], v[179:180]
	v_fma_f64 v[181:182], v[4:5], v[34:35], v[183:184]
	v_fma_f64 v[183:184], v[2:3], v[34:35], -v[36:37]
	ds_load_b128 v[2:5], v1 offset:1104
	s_wait_loadcnt_dscnt 0x801
	v_mul_f64_e32 v[177:178], v[161:162], v[167:168]
	v_mul_f64_e32 v[179:180], v[163:164], v[167:168]
	scratch_load_b128 v[34:37], off, off offset:336
	v_add_f64_e32 v[173:174], v[173:174], v[169:170]
	v_add_f64_e32 v[171:172], v[175:176], v[171:172]
	ds_load_b128 v[167:170], v1 offset:1120
	v_fma_f64 v[177:178], v[163:164], v[165:166], v[177:178]
	v_fma_f64 v[165:166], v[161:162], v[165:166], -v[179:180]
	scratch_load_b128 v[161:164], off, off offset:352
	s_wait_loadcnt_dscnt 0x901
	v_mul_f64_e32 v[175:176], v[2:3], v[40:41]
	v_mul_f64_e32 v[40:41], v[4:5], v[40:41]
	v_add_f64_e32 v[173:174], v[173:174], v[183:184]
	v_add_f64_e32 v[171:172], v[171:172], v[181:182]
	s_delay_alu instid0(VALU_DEP_4) | instskip(NEXT) | instid1(VALU_DEP_4)
	v_fma_f64 v[175:176], v[4:5], v[38:39], v[175:176]
	v_fma_f64 v[181:182], v[2:3], v[38:39], -v[40:41]
	ds_load_b128 v[2:5], v1 offset:1136
	s_wait_loadcnt_dscnt 0x801
	v_mul_f64_e32 v[179:180], v[167:168], v[8:9]
	v_mul_f64_e32 v[8:9], v[169:170], v[8:9]
	scratch_load_b128 v[38:41], off, off offset:368
	s_wait_loadcnt_dscnt 0x800
	v_mul_f64_e32 v[183:184], v[2:3], v[12:13]
	v_add_f64_e32 v[165:166], v[173:174], v[165:166]
	v_add_f64_e32 v[177:178], v[171:172], v[177:178]
	v_mul_f64_e32 v[12:13], v[4:5], v[12:13]
	ds_load_b128 v[171:174], v1 offset:1152
	v_fma_f64 v[169:170], v[169:170], v[6:7], v[179:180]
	v_fma_f64 v[167:168], v[167:168], v[6:7], -v[8:9]
	scratch_load_b128 v[6:9], off, off offset:384
	v_fma_f64 v[179:180], v[4:5], v[10:11], v[183:184]
	v_add_f64_e32 v[165:166], v[165:166], v[181:182]
	v_add_f64_e32 v[175:176], v[177:178], v[175:176]
	v_fma_f64 v[181:182], v[2:3], v[10:11], -v[12:13]
	ds_load_b128 v[2:5], v1 offset:1168
	s_wait_loadcnt_dscnt 0x801
	v_mul_f64_e32 v[177:178], v[171:172], v[16:17]
	v_mul_f64_e32 v[16:17], v[173:174], v[16:17]
	scratch_load_b128 v[10:13], off, off offset:400
	v_add_f64_e32 v[183:184], v[165:166], v[167:168]
	v_add_f64_e32 v[169:170], v[175:176], v[169:170]
	s_wait_loadcnt_dscnt 0x800
	v_mul_f64_e32 v[175:176], v[2:3], v[20:21]
	v_mul_f64_e32 v[20:21], v[4:5], v[20:21]
	v_fma_f64 v[173:174], v[173:174], v[14:15], v[177:178]
	v_fma_f64 v[171:172], v[171:172], v[14:15], -v[16:17]
	ds_load_b128 v[165:168], v1 offset:1184
	scratch_load_b128 v[14:17], off, off offset:416
	v_add_f64_e32 v[177:178], v[183:184], v[181:182]
	v_add_f64_e32 v[169:170], v[169:170], v[179:180]
	v_fma_f64 v[175:176], v[4:5], v[18:19], v[175:176]
	v_fma_f64 v[181:182], v[2:3], v[18:19], -v[20:21]
	ds_load_b128 v[2:5], v1 offset:1200
	s_wait_loadcnt_dscnt 0x801
	v_mul_f64_e32 v[179:180], v[165:166], v[24:25]
	v_mul_f64_e32 v[24:25], v[167:168], v[24:25]
	scratch_load_b128 v[18:21], off, off offset:432
	s_wait_loadcnt_dscnt 0x800
	v_mul_f64_e32 v[183:184], v[2:3], v[28:29]
	v_mul_f64_e32 v[28:29], v[4:5], v[28:29]
	v_add_f64_e32 v[177:178], v[177:178], v[171:172]
	v_add_f64_e32 v[173:174], v[169:170], v[173:174]
	ds_load_b128 v[169:172], v1 offset:1216
	v_fma_f64 v[167:168], v[167:168], v[22:23], v[179:180]
	v_fma_f64 v[165:166], v[165:166], v[22:23], -v[24:25]
	scratch_load_b128 v[22:25], off, off offset:448
	v_fma_f64 v[179:180], v[4:5], v[26:27], v[183:184]
	v_add_f64_e32 v[177:178], v[177:178], v[181:182]
	v_add_f64_e32 v[173:174], v[173:174], v[175:176]
	v_fma_f64 v[181:182], v[2:3], v[26:27], -v[28:29]
	ds_load_b128 v[2:5], v1 offset:1232
	s_wait_loadcnt_dscnt 0x801
	v_mul_f64_e32 v[175:176], v[169:170], v[32:33]
	v_mul_f64_e32 v[32:33], v[171:172], v[32:33]
	scratch_load_b128 v[26:29], off, off offset:464
	s_wait_loadcnt_dscnt 0x800
	v_mul_f64_e32 v[183:184], v[2:3], v[36:37]
	v_mul_f64_e32 v[36:37], v[4:5], v[36:37]
	v_add_f64_e32 v[177:178], v[177:178], v[165:166]
	v_add_f64_e32 v[173:174], v[173:174], v[167:168]
	ds_load_b128 v[165:168], v1 offset:1248
	v_fma_f64 v[171:172], v[171:172], v[30:31], v[175:176]
	v_fma_f64 v[169:170], v[169:170], v[30:31], -v[32:33]
	scratch_load_b128 v[30:33], off, off offset:480
	v_add_f64_e32 v[175:176], v[177:178], v[181:182]
	v_add_f64_e32 v[173:174], v[173:174], v[179:180]
	v_fma_f64 v[179:180], v[4:5], v[34:35], v[183:184]
	v_fma_f64 v[181:182], v[2:3], v[34:35], -v[36:37]
	ds_load_b128 v[2:5], v1 offset:1264
	s_wait_loadcnt_dscnt 0x801
	v_mul_f64_e32 v[177:178], v[165:166], v[163:164]
	v_mul_f64_e32 v[163:164], v[167:168], v[163:164]
	scratch_load_b128 v[34:37], off, off offset:496
	s_wait_loadcnt_dscnt 0x800
	v_mul_f64_e32 v[183:184], v[2:3], v[40:41]
	v_mul_f64_e32 v[40:41], v[4:5], v[40:41]
	v_add_f64_e32 v[175:176], v[175:176], v[169:170]
	v_add_f64_e32 v[173:174], v[173:174], v[171:172]
	ds_load_b128 v[169:172], v1 offset:1280
	v_fma_f64 v[167:168], v[167:168], v[161:162], v[177:178]
	v_fma_f64 v[165:166], v[165:166], v[161:162], -v[163:164]
	scratch_load_b128 v[161:164], off, off offset:512
	v_add_f64_e32 v[175:176], v[175:176], v[181:182]
	v_add_f64_e32 v[173:174], v[173:174], v[179:180]
	v_fma_f64 v[179:180], v[4:5], v[38:39], v[183:184]
	;; [unrolled: 18-line block ×6, first 2 shown]
	v_fma_f64 v[183:184], v[2:3], v[34:35], -v[36:37]
	ds_load_b128 v[2:5], v1 offset:1424
	s_wait_loadcnt_dscnt 0x801
	v_mul_f64_e32 v[177:178], v[169:170], v[163:164]
	v_mul_f64_e32 v[179:180], v[171:172], v[163:164]
	scratch_load_b128 v[34:37], off, off offset:656
	v_add_f64_e32 v[175:176], v[175:176], v[165:166]
	v_add_f64_e32 v[167:168], v[173:174], v[167:168]
	s_wait_loadcnt_dscnt 0x800
	v_mul_f64_e32 v[173:174], v[2:3], v[40:41]
	v_mul_f64_e32 v[40:41], v[4:5], v[40:41]
	ds_load_b128 v[163:166], v1 offset:1440
	v_fma_f64 v[171:172], v[171:172], v[161:162], v[177:178]
	v_fma_f64 v[161:162], v[169:170], v[161:162], -v[179:180]
	v_add_f64_e32 v[175:176], v[175:176], v[183:184]
	v_add_f64_e32 v[177:178], v[167:168], v[181:182]
	scratch_load_b128 v[167:170], off, off offset:672
	v_fma_f64 v[181:182], v[4:5], v[38:39], v[173:174]
	v_fma_f64 v[183:184], v[2:3], v[38:39], -v[40:41]
	ds_load_b128 v[2:5], v1 offset:1456
	s_wait_loadcnt_dscnt 0x801
	v_mul_f64_e32 v[179:180], v[163:164], v[8:9]
	v_mul_f64_e32 v[8:9], v[165:166], v[8:9]
	scratch_load_b128 v[38:41], off, off offset:688
	v_add_f64_e32 v[161:162], v[175:176], v[161:162]
	v_add_f64_e32 v[175:176], v[177:178], v[171:172]
	s_wait_loadcnt_dscnt 0x800
	v_mul_f64_e32 v[177:178], v[2:3], v[12:13]
	v_mul_f64_e32 v[12:13], v[4:5], v[12:13]
	ds_load_b128 v[171:174], v1 offset:1472
	v_fma_f64 v[165:166], v[165:166], v[6:7], v[179:180]
	v_fma_f64 v[163:164], v[163:164], v[6:7], -v[8:9]
	scratch_load_b128 v[6:9], off, off offset:704
	v_add_f64_e32 v[161:162], v[161:162], v[183:184]
	v_add_f64_e32 v[175:176], v[175:176], v[181:182]
	v_fma_f64 v[177:178], v[4:5], v[10:11], v[177:178]
	v_fma_f64 v[181:182], v[2:3], v[10:11], -v[12:13]
	ds_load_b128 v[2:5], v1 offset:1488
	s_wait_loadcnt_dscnt 0x801
	v_mul_f64_e32 v[179:180], v[171:172], v[16:17]
	v_mul_f64_e32 v[16:17], v[173:174], v[16:17]
	scratch_load_b128 v[10:13], off, off offset:720
	v_add_f64_e32 v[183:184], v[161:162], v[163:164]
	v_add_f64_e32 v[165:166], v[175:176], v[165:166]
	s_wait_loadcnt_dscnt 0x800
	v_mul_f64_e32 v[175:176], v[2:3], v[20:21]
	v_mul_f64_e32 v[20:21], v[4:5], v[20:21]
	ds_load_b128 v[161:164], v1 offset:1504
	v_fma_f64 v[173:174], v[173:174], v[14:15], v[179:180]
	v_fma_f64 v[171:172], v[171:172], v[14:15], -v[16:17]
	scratch_load_b128 v[14:17], off, off offset:736
	v_add_f64_e32 v[179:180], v[183:184], v[181:182]
	v_add_f64_e32 v[165:166], v[165:166], v[177:178]
	v_fma_f64 v[175:176], v[4:5], v[18:19], v[175:176]
	v_fma_f64 v[181:182], v[2:3], v[18:19], -v[20:21]
	ds_load_b128 v[2:5], v1 offset:1520
	s_wait_loadcnt_dscnt 0x801
	v_mul_f64_e32 v[177:178], v[161:162], v[24:25]
	v_mul_f64_e32 v[24:25], v[163:164], v[24:25]
	scratch_load_b128 v[18:21], off, off offset:752
	s_wait_loadcnt_dscnt 0x800
	v_mul_f64_e32 v[183:184], v[2:3], v[28:29]
	v_mul_f64_e32 v[28:29], v[4:5], v[28:29]
	v_add_f64_e32 v[179:180], v[179:180], v[171:172]
	v_add_f64_e32 v[165:166], v[165:166], v[173:174]
	ds_load_b128 v[171:174], v1 offset:1536
	v_fma_f64 v[163:164], v[163:164], v[22:23], v[177:178]
	v_fma_f64 v[161:162], v[161:162], v[22:23], -v[24:25]
	scratch_load_b128 v[22:25], off, off offset:768
	v_add_f64_e32 v[177:178], v[179:180], v[181:182]
	v_add_f64_e32 v[165:166], v[165:166], v[175:176]
	v_fma_f64 v[179:180], v[4:5], v[26:27], v[183:184]
	v_fma_f64 v[181:182], v[2:3], v[26:27], -v[28:29]
	ds_load_b128 v[2:5], v1 offset:1552
	s_wait_loadcnt_dscnt 0x801
	v_mul_f64_e32 v[175:176], v[171:172], v[32:33]
	v_mul_f64_e32 v[32:33], v[173:174], v[32:33]
	scratch_load_b128 v[26:29], off, off offset:784
	s_wait_loadcnt_dscnt 0x800
	v_mul_f64_e32 v[183:184], v[2:3], v[36:37]
	v_mul_f64_e32 v[36:37], v[4:5], v[36:37]
	v_add_f64_e32 v[177:178], v[177:178], v[161:162]
	v_add_f64_e32 v[165:166], v[165:166], v[163:164]
	ds_load_b128 v[161:164], v1 offset:1568
	v_fma_f64 v[173:174], v[173:174], v[30:31], v[175:176]
	v_fma_f64 v[171:172], v[171:172], v[30:31], -v[32:33]
	scratch_load_b128 v[30:33], off, off offset:800
	v_add_f64_e32 v[175:176], v[177:178], v[181:182]
	v_add_f64_e32 v[165:166], v[165:166], v[179:180]
	v_fma_f64 v[181:182], v[4:5], v[34:35], v[183:184]
	v_fma_f64 v[183:184], v[2:3], v[34:35], -v[36:37]
	ds_load_b128 v[2:5], v1 offset:1584
	scratch_load_b128 v[34:37], off, off offset:816
	s_wait_loadcnt_dscnt 0x901
	v_mul_f64_e32 v[177:178], v[161:162], v[169:170]
	v_mul_f64_e32 v[179:180], v[163:164], v[169:170]
	v_add_f64_e32 v[175:176], v[175:176], v[171:172]
	v_add_f64_e32 v[165:166], v[165:166], v[173:174]
	s_wait_loadcnt_dscnt 0x800
	v_mul_f64_e32 v[173:174], v[2:3], v[40:41]
	v_mul_f64_e32 v[40:41], v[4:5], v[40:41]
	ds_load_b128 v[169:172], v1 offset:1600
	v_fma_f64 v[177:178], v[163:164], v[167:168], v[177:178]
	v_fma_f64 v[167:168], v[161:162], v[167:168], -v[179:180]
	scratch_load_b128 v[161:164], off, off offset:832
	v_add_f64_e32 v[175:176], v[175:176], v[183:184]
	v_add_f64_e32 v[165:166], v[165:166], v[181:182]
	v_fma_f64 v[173:174], v[4:5], v[38:39], v[173:174]
	v_fma_f64 v[181:182], v[2:3], v[38:39], -v[40:41]
	ds_load_b128 v[2:5], v1 offset:1616
	s_wait_loadcnt_dscnt 0x801
	v_mul_f64_e32 v[179:180], v[169:170], v[8:9]
	v_mul_f64_e32 v[8:9], v[171:172], v[8:9]
	scratch_load_b128 v[38:41], off, off offset:848
	s_wait_loadcnt_dscnt 0x800
	v_mul_f64_e32 v[183:184], v[2:3], v[12:13]
	v_mul_f64_e32 v[12:13], v[4:5], v[12:13]
	v_add_f64_e32 v[175:176], v[175:176], v[167:168]
	v_add_f64_e32 v[177:178], v[165:166], v[177:178]
	ds_load_b128 v[165:168], v1 offset:1632
	v_fma_f64 v[171:172], v[171:172], v[6:7], v[179:180]
	v_fma_f64 v[169:170], v[169:170], v[6:7], -v[8:9]
	scratch_load_b128 v[6:9], off, off offset:864
	v_fma_f64 v[179:180], v[4:5], v[10:11], v[183:184]
	v_add_f64_e32 v[175:176], v[175:176], v[181:182]
	v_add_f64_e32 v[173:174], v[177:178], v[173:174]
	v_fma_f64 v[181:182], v[2:3], v[10:11], -v[12:13]
	ds_load_b128 v[2:5], v1 offset:1648
	s_wait_loadcnt_dscnt 0x801
	v_mul_f64_e32 v[177:178], v[165:166], v[16:17]
	v_mul_f64_e32 v[16:17], v[167:168], v[16:17]
	scratch_load_b128 v[10:13], off, off offset:880
	s_wait_loadcnt_dscnt 0x800
	v_mul_f64_e32 v[183:184], v[2:3], v[20:21]
	v_mul_f64_e32 v[20:21], v[4:5], v[20:21]
	v_add_f64_e32 v[175:176], v[175:176], v[169:170]
	v_add_f64_e32 v[173:174], v[173:174], v[171:172]
	ds_load_b128 v[169:172], v1 offset:1664
	v_fma_f64 v[167:168], v[167:168], v[14:15], v[177:178]
	v_fma_f64 v[165:166], v[165:166], v[14:15], -v[16:17]
	scratch_load_b128 v[14:17], off, off offset:896
	v_add_f64_e32 v[175:176], v[175:176], v[181:182]
	v_add_f64_e32 v[173:174], v[173:174], v[179:180]
	v_fma_f64 v[179:180], v[4:5], v[18:19], v[183:184]
	v_fma_f64 v[181:182], v[2:3], v[18:19], -v[20:21]
	ds_load_b128 v[2:5], v1 offset:1680
	s_wait_loadcnt_dscnt 0x801
	v_mul_f64_e32 v[177:178], v[169:170], v[24:25]
	v_mul_f64_e32 v[24:25], v[171:172], v[24:25]
	scratch_load_b128 v[18:21], off, off offset:912
	s_wait_loadcnt_dscnt 0x800
	v_mul_f64_e32 v[183:184], v[2:3], v[28:29]
	v_mul_f64_e32 v[28:29], v[4:5], v[28:29]
	v_add_f64_e32 v[175:176], v[175:176], v[165:166]
	v_add_f64_e32 v[173:174], v[173:174], v[167:168]
	ds_load_b128 v[165:168], v1 offset:1696
	v_fma_f64 v[171:172], v[171:172], v[22:23], v[177:178]
	v_fma_f64 v[22:23], v[169:170], v[22:23], -v[24:25]
	v_add_f64_e32 v[24:25], v[175:176], v[181:182]
	v_add_f64_e32 v[169:170], v[173:174], v[179:180]
	s_wait_loadcnt_dscnt 0x700
	v_mul_f64_e32 v[173:174], v[165:166], v[32:33]
	v_mul_f64_e32 v[32:33], v[167:168], v[32:33]
	v_fma_f64 v[175:176], v[4:5], v[26:27], v[183:184]
	v_fma_f64 v[26:27], v[2:3], v[26:27], -v[28:29]
	v_add_f64_e32 v[28:29], v[24:25], v[22:23]
	v_add_f64_e32 v[169:170], v[169:170], v[171:172]
	ds_load_b128 v[2:5], v1 offset:1712
	ds_load_b128 v[22:25], v1 offset:1728
	v_fma_f64 v[167:168], v[167:168], v[30:31], v[173:174]
	v_fma_f64 v[30:31], v[165:166], v[30:31], -v[32:33]
	s_wait_loadcnt_dscnt 0x601
	v_mul_f64_e32 v[171:172], v[2:3], v[36:37]
	v_mul_f64_e32 v[36:37], v[4:5], v[36:37]
	s_wait_loadcnt_dscnt 0x500
	v_mul_f64_e32 v[32:33], v[22:23], v[163:164]
	v_mul_f64_e32 v[163:164], v[24:25], v[163:164]
	v_add_f64_e32 v[26:27], v[28:29], v[26:27]
	v_add_f64_e32 v[28:29], v[169:170], v[175:176]
	v_fma_f64 v[165:166], v[4:5], v[34:35], v[171:172]
	v_fma_f64 v[34:35], v[2:3], v[34:35], -v[36:37]
	v_fma_f64 v[24:25], v[24:25], v[161:162], v[32:33]
	v_fma_f64 v[22:23], v[22:23], v[161:162], -v[163:164]
	v_add_f64_e32 v[30:31], v[26:27], v[30:31]
	v_add_f64_e32 v[36:37], v[28:29], v[167:168]
	ds_load_b128 v[2:5], v1 offset:1744
	ds_load_b128 v[26:29], v1 offset:1760
	s_wait_loadcnt_dscnt 0x401
	v_mul_f64_e32 v[167:168], v[2:3], v[40:41]
	v_mul_f64_e32 v[40:41], v[4:5], v[40:41]
	v_add_f64_e32 v[30:31], v[30:31], v[34:35]
	v_add_f64_e32 v[32:33], v[36:37], v[165:166]
	s_wait_loadcnt_dscnt 0x300
	v_mul_f64_e32 v[34:35], v[26:27], v[8:9]
	v_mul_f64_e32 v[8:9], v[28:29], v[8:9]
	v_fma_f64 v[36:37], v[4:5], v[38:39], v[167:168]
	v_fma_f64 v[38:39], v[2:3], v[38:39], -v[40:41]
	v_add_f64_e32 v[30:31], v[30:31], v[22:23]
	v_add_f64_e32 v[32:33], v[32:33], v[24:25]
	ds_load_b128 v[2:5], v1 offset:1776
	ds_load_b128 v[22:25], v1 offset:1792
	v_fma_f64 v[28:29], v[28:29], v[6:7], v[34:35]
	v_fma_f64 v[6:7], v[26:27], v[6:7], -v[8:9]
	s_wait_loadcnt_dscnt 0x201
	v_mul_f64_e32 v[40:41], v[2:3], v[12:13]
	v_mul_f64_e32 v[12:13], v[4:5], v[12:13]
	v_add_f64_e32 v[8:9], v[30:31], v[38:39]
	v_add_f64_e32 v[26:27], v[32:33], v[36:37]
	s_wait_loadcnt_dscnt 0x100
	v_mul_f64_e32 v[30:31], v[22:23], v[16:17]
	v_mul_f64_e32 v[16:17], v[24:25], v[16:17]
	v_fma_f64 v[32:33], v[4:5], v[10:11], v[40:41]
	v_fma_f64 v[10:11], v[2:3], v[10:11], -v[12:13]
	ds_load_b128 v[2:5], v1 offset:1808
	v_add_f64_e32 v[6:7], v[8:9], v[6:7]
	v_add_f64_e32 v[8:9], v[26:27], v[28:29]
	v_fma_f64 v[24:25], v[24:25], v[14:15], v[30:31]
	v_fma_f64 v[14:15], v[22:23], v[14:15], -v[16:17]
	s_wait_loadcnt_dscnt 0x0
	v_mul_f64_e32 v[12:13], v[2:3], v[20:21]
	v_mul_f64_e32 v[20:21], v[4:5], v[20:21]
	v_add_f64_e32 v[6:7], v[6:7], v[10:11]
	v_add_f64_e32 v[8:9], v[8:9], v[32:33]
	s_delay_alu instid0(VALU_DEP_4) | instskip(NEXT) | instid1(VALU_DEP_4)
	v_fma_f64 v[4:5], v[4:5], v[18:19], v[12:13]
	v_fma_f64 v[2:3], v[2:3], v[18:19], -v[20:21]
	s_delay_alu instid0(VALU_DEP_4) | instskip(NEXT) | instid1(VALU_DEP_4)
	v_add_f64_e32 v[6:7], v[6:7], v[14:15]
	v_add_f64_e32 v[8:9], v[8:9], v[24:25]
	s_delay_alu instid0(VALU_DEP_2) | instskip(NEXT) | instid1(VALU_DEP_2)
	v_add_f64_e32 v[2:3], v[6:7], v[2:3]
	v_add_f64_e32 v[4:5], v[8:9], v[4:5]
	s_delay_alu instid0(VALU_DEP_2) | instskip(NEXT) | instid1(VALU_DEP_2)
	v_add_f64_e64 v[2:3], v[42:43], -v[2:3]
	v_add_f64_e64 v[4:5], v[44:45], -v[4:5]
	scratch_store_b128 off, v[2:5], off offset:32
	v_cmpx_ne_u32_e32 0, v0
	s_cbranch_execz .LBB120_355
; %bb.354:
	scratch_load_b128 v[5:8], off, off offset:16
	v_dual_mov_b32 v2, v1 :: v_dual_mov_b32 v3, v1
	v_mov_b32_e32 v4, v1
	scratch_store_b128 off, v[1:4], off offset:16
	s_wait_loadcnt 0x0
	ds_store_b128 v160, v[5:8]
.LBB120_355:
	s_wait_alu 0xfffe
	s_or_b32 exec_lo, exec_lo, s0
	s_wait_storecnt_dscnt 0x0
	s_barrier_signal -1
	s_barrier_wait -1
	global_inv scope:SCOPE_SE
	s_clause 0x8
	scratch_load_b128 v[2:5], off, off offset:32
	scratch_load_b128 v[6:9], off, off offset:48
	scratch_load_b128 v[10:13], off, off offset:64
	scratch_load_b128 v[14:17], off, off offset:80
	scratch_load_b128 v[18:21], off, off offset:96
	scratch_load_b128 v[22:25], off, off offset:112
	scratch_load_b128 v[26:29], off, off offset:128
	scratch_load_b128 v[30:33], off, off offset:144
	scratch_load_b128 v[34:37], off, off offset:160
	ds_load_b128 v[42:45], v1 offset:928
	ds_load_b128 v[38:41], v1 offset:944
	s_clause 0x1
	scratch_load_b128 v[160:163], off, off offset:16
	scratch_load_b128 v[164:167], off, off offset:176
	s_and_b32 vcc_lo, exec_lo, s12
	s_wait_loadcnt_dscnt 0xa01
	v_mul_f64_e32 v[168:169], v[44:45], v[4:5]
	v_mul_f64_e32 v[4:5], v[42:43], v[4:5]
	s_wait_loadcnt_dscnt 0x900
	v_mul_f64_e32 v[172:173], v[38:39], v[8:9]
	v_mul_f64_e32 v[8:9], v[40:41], v[8:9]
	s_delay_alu instid0(VALU_DEP_4) | instskip(NEXT) | instid1(VALU_DEP_4)
	v_fma_f64 v[174:175], v[42:43], v[2:3], -v[168:169]
	v_fma_f64 v[176:177], v[44:45], v[2:3], v[4:5]
	ds_load_b128 v[2:5], v1 offset:960
	ds_load_b128 v[168:171], v1 offset:976
	scratch_load_b128 v[42:45], off, off offset:192
	v_fma_f64 v[40:41], v[40:41], v[6:7], v[172:173]
	v_fma_f64 v[38:39], v[38:39], v[6:7], -v[8:9]
	scratch_load_b128 v[6:9], off, off offset:208
	s_wait_loadcnt_dscnt 0xa01
	v_mul_f64_e32 v[178:179], v[2:3], v[12:13]
	v_mul_f64_e32 v[12:13], v[4:5], v[12:13]
	v_add_f64_e32 v[172:173], 0, v[174:175]
	v_add_f64_e32 v[174:175], 0, v[176:177]
	s_wait_loadcnt_dscnt 0x900
	v_mul_f64_e32 v[176:177], v[168:169], v[16:17]
	v_mul_f64_e32 v[16:17], v[170:171], v[16:17]
	v_fma_f64 v[178:179], v[4:5], v[10:11], v[178:179]
	v_fma_f64 v[180:181], v[2:3], v[10:11], -v[12:13]
	ds_load_b128 v[2:5], v1 offset:992
	scratch_load_b128 v[10:13], off, off offset:224
	v_add_f64_e32 v[172:173], v[172:173], v[38:39]
	v_add_f64_e32 v[174:175], v[174:175], v[40:41]
	ds_load_b128 v[38:41], v1 offset:1008
	v_fma_f64 v[170:171], v[170:171], v[14:15], v[176:177]
	v_fma_f64 v[168:169], v[168:169], v[14:15], -v[16:17]
	scratch_load_b128 v[14:17], off, off offset:240
	s_wait_loadcnt_dscnt 0xa01
	v_mul_f64_e32 v[182:183], v[2:3], v[20:21]
	v_mul_f64_e32 v[20:21], v[4:5], v[20:21]
	s_wait_loadcnt_dscnt 0x900
	v_mul_f64_e32 v[176:177], v[38:39], v[24:25]
	v_mul_f64_e32 v[24:25], v[40:41], v[24:25]
	v_add_f64_e32 v[172:173], v[172:173], v[180:181]
	v_add_f64_e32 v[174:175], v[174:175], v[178:179]
	v_fma_f64 v[178:179], v[4:5], v[18:19], v[182:183]
	v_fma_f64 v[180:181], v[2:3], v[18:19], -v[20:21]
	ds_load_b128 v[2:5], v1 offset:1024
	scratch_load_b128 v[18:21], off, off offset:256
	v_fma_f64 v[40:41], v[40:41], v[22:23], v[176:177]
	v_fma_f64 v[38:39], v[38:39], v[22:23], -v[24:25]
	scratch_load_b128 v[22:25], off, off offset:272
	v_add_f64_e32 v[172:173], v[172:173], v[168:169]
	v_add_f64_e32 v[174:175], v[174:175], v[170:171]
	ds_load_b128 v[168:171], v1 offset:1040
	s_wait_loadcnt_dscnt 0xa01
	v_mul_f64_e32 v[182:183], v[2:3], v[28:29]
	v_mul_f64_e32 v[28:29], v[4:5], v[28:29]
	s_wait_loadcnt_dscnt 0x900
	v_mul_f64_e32 v[176:177], v[168:169], v[32:33]
	v_mul_f64_e32 v[32:33], v[170:171], v[32:33]
	v_add_f64_e32 v[172:173], v[172:173], v[180:181]
	v_add_f64_e32 v[174:175], v[174:175], v[178:179]
	v_fma_f64 v[178:179], v[4:5], v[26:27], v[182:183]
	v_fma_f64 v[180:181], v[2:3], v[26:27], -v[28:29]
	ds_load_b128 v[2:5], v1 offset:1056
	scratch_load_b128 v[26:29], off, off offset:288
	v_fma_f64 v[170:171], v[170:171], v[30:31], v[176:177]
	v_fma_f64 v[168:169], v[168:169], v[30:31], -v[32:33]
	scratch_load_b128 v[30:33], off, off offset:304
	v_add_f64_e32 v[172:173], v[172:173], v[38:39]
	v_add_f64_e32 v[174:175], v[174:175], v[40:41]
	ds_load_b128 v[38:41], v1 offset:1072
	s_wait_loadcnt_dscnt 0xa01
	v_mul_f64_e32 v[182:183], v[2:3], v[36:37]
	v_mul_f64_e32 v[36:37], v[4:5], v[36:37]
	s_wait_loadcnt_dscnt 0x800
	v_mul_f64_e32 v[176:177], v[38:39], v[166:167]
	v_add_f64_e32 v[172:173], v[172:173], v[180:181]
	v_add_f64_e32 v[174:175], v[174:175], v[178:179]
	v_mul_f64_e32 v[178:179], v[40:41], v[166:167]
	v_fma_f64 v[180:181], v[4:5], v[34:35], v[182:183]
	v_fma_f64 v[182:183], v[2:3], v[34:35], -v[36:37]
	ds_load_b128 v[2:5], v1 offset:1088
	scratch_load_b128 v[34:37], off, off offset:320
	v_fma_f64 v[176:177], v[40:41], v[164:165], v[176:177]
	v_add_f64_e32 v[172:173], v[172:173], v[168:169]
	v_add_f64_e32 v[170:171], v[174:175], v[170:171]
	ds_load_b128 v[166:169], v1 offset:1104
	v_fma_f64 v[164:165], v[38:39], v[164:165], -v[178:179]
	scratch_load_b128 v[38:41], off, off offset:336
	s_wait_loadcnt_dscnt 0x901
	v_mul_f64_e32 v[174:175], v[2:3], v[44:45]
	v_mul_f64_e32 v[44:45], v[4:5], v[44:45]
	s_wait_loadcnt_dscnt 0x800
	v_mul_f64_e32 v[178:179], v[166:167], v[8:9]
	v_mul_f64_e32 v[8:9], v[168:169], v[8:9]
	v_add_f64_e32 v[172:173], v[172:173], v[182:183]
	v_add_f64_e32 v[170:171], v[170:171], v[180:181]
	v_fma_f64 v[174:175], v[4:5], v[42:43], v[174:175]
	v_fma_f64 v[180:181], v[2:3], v[42:43], -v[44:45]
	ds_load_b128 v[2:5], v1 offset:1120
	scratch_load_b128 v[42:45], off, off offset:352
	v_fma_f64 v[168:169], v[168:169], v[6:7], v[178:179]
	v_fma_f64 v[166:167], v[166:167], v[6:7], -v[8:9]
	scratch_load_b128 v[6:9], off, off offset:368
	v_add_f64_e32 v[164:165], v[172:173], v[164:165]
	v_add_f64_e32 v[176:177], v[170:171], v[176:177]
	ds_load_b128 v[170:173], v1 offset:1136
	s_wait_loadcnt_dscnt 0x901
	v_mul_f64_e32 v[182:183], v[2:3], v[12:13]
	v_mul_f64_e32 v[12:13], v[4:5], v[12:13]
	v_add_f64_e32 v[164:165], v[164:165], v[180:181]
	v_add_f64_e32 v[174:175], v[176:177], v[174:175]
	s_wait_loadcnt_dscnt 0x800
	v_mul_f64_e32 v[176:177], v[170:171], v[16:17]
	v_mul_f64_e32 v[16:17], v[172:173], v[16:17]
	v_fma_f64 v[178:179], v[4:5], v[10:11], v[182:183]
	v_fma_f64 v[180:181], v[2:3], v[10:11], -v[12:13]
	ds_load_b128 v[2:5], v1 offset:1152
	scratch_load_b128 v[10:13], off, off offset:384
	v_add_f64_e32 v[182:183], v[164:165], v[166:167]
	v_add_f64_e32 v[168:169], v[174:175], v[168:169]
	ds_load_b128 v[164:167], v1 offset:1168
	s_wait_loadcnt_dscnt 0x801
	v_mul_f64_e32 v[174:175], v[2:3], v[20:21]
	v_mul_f64_e32 v[20:21], v[4:5], v[20:21]
	v_fma_f64 v[172:173], v[172:173], v[14:15], v[176:177]
	v_fma_f64 v[170:171], v[170:171], v[14:15], -v[16:17]
	scratch_load_b128 v[14:17], off, off offset:400
	v_add_f64_e32 v[176:177], v[182:183], v[180:181]
	v_add_f64_e32 v[168:169], v[168:169], v[178:179]
	s_wait_loadcnt_dscnt 0x800
	v_mul_f64_e32 v[178:179], v[164:165], v[24:25]
	v_mul_f64_e32 v[24:25], v[166:167], v[24:25]
	v_fma_f64 v[174:175], v[4:5], v[18:19], v[174:175]
	v_fma_f64 v[180:181], v[2:3], v[18:19], -v[20:21]
	ds_load_b128 v[2:5], v1 offset:1184
	scratch_load_b128 v[18:21], off, off offset:416
	v_add_f64_e32 v[176:177], v[176:177], v[170:171]
	v_add_f64_e32 v[172:173], v[168:169], v[172:173]
	ds_load_b128 v[168:171], v1 offset:1200
	s_wait_loadcnt_dscnt 0x801
	v_mul_f64_e32 v[182:183], v[2:3], v[28:29]
	v_mul_f64_e32 v[28:29], v[4:5], v[28:29]
	v_fma_f64 v[166:167], v[166:167], v[22:23], v[178:179]
	v_fma_f64 v[164:165], v[164:165], v[22:23], -v[24:25]
	scratch_load_b128 v[22:25], off, off offset:432
	;; [unrolled: 18-line block ×4, first 2 shown]
	s_wait_loadcnt_dscnt 0x800
	v_mul_f64_e32 v[176:177], v[168:169], v[8:9]
	v_mul_f64_e32 v[8:9], v[170:171], v[8:9]
	v_add_f64_e32 v[174:175], v[174:175], v[180:181]
	v_add_f64_e32 v[172:173], v[172:173], v[178:179]
	v_fma_f64 v[178:179], v[4:5], v[42:43], v[182:183]
	v_fma_f64 v[180:181], v[2:3], v[42:43], -v[44:45]
	ds_load_b128 v[2:5], v1 offset:1280
	scratch_load_b128 v[42:45], off, off offset:512
	v_fma_f64 v[170:171], v[170:171], v[6:7], v[176:177]
	v_fma_f64 v[168:169], v[168:169], v[6:7], -v[8:9]
	scratch_load_b128 v[6:9], off, off offset:528
	v_add_f64_e32 v[174:175], v[174:175], v[164:165]
	v_add_f64_e32 v[172:173], v[172:173], v[166:167]
	ds_load_b128 v[164:167], v1 offset:1296
	s_wait_loadcnt_dscnt 0x901
	v_mul_f64_e32 v[182:183], v[2:3], v[12:13]
	v_mul_f64_e32 v[12:13], v[4:5], v[12:13]
	s_wait_loadcnt_dscnt 0x800
	v_mul_f64_e32 v[176:177], v[164:165], v[16:17]
	v_mul_f64_e32 v[16:17], v[166:167], v[16:17]
	v_add_f64_e32 v[174:175], v[174:175], v[180:181]
	v_add_f64_e32 v[172:173], v[172:173], v[178:179]
	v_fma_f64 v[178:179], v[4:5], v[10:11], v[182:183]
	v_fma_f64 v[180:181], v[2:3], v[10:11], -v[12:13]
	ds_load_b128 v[2:5], v1 offset:1312
	scratch_load_b128 v[10:13], off, off offset:544
	v_fma_f64 v[166:167], v[166:167], v[14:15], v[176:177]
	v_fma_f64 v[164:165], v[164:165], v[14:15], -v[16:17]
	scratch_load_b128 v[14:17], off, off offset:560
	v_add_f64_e32 v[174:175], v[174:175], v[168:169]
	v_add_f64_e32 v[172:173], v[172:173], v[170:171]
	ds_load_b128 v[168:171], v1 offset:1328
	s_wait_loadcnt_dscnt 0x901
	v_mul_f64_e32 v[182:183], v[2:3], v[20:21]
	v_mul_f64_e32 v[20:21], v[4:5], v[20:21]
	;; [unrolled: 18-line block ×13, first 2 shown]
	s_wait_loadcnt_dscnt 0x800
	v_mul_f64_e32 v[176:177], v[164:165], v[32:33]
	v_mul_f64_e32 v[32:33], v[166:167], v[32:33]
	v_add_f64_e32 v[174:175], v[174:175], v[180:181]
	v_add_f64_e32 v[172:173], v[172:173], v[178:179]
	v_fma_f64 v[178:179], v[4:5], v[26:27], v[182:183]
	v_fma_f64 v[180:181], v[2:3], v[26:27], -v[28:29]
	ds_load_b128 v[2:5], v1 offset:1696
	ds_load_b128 v[26:29], v1 offset:1712
	v_fma_f64 v[166:167], v[166:167], v[30:31], v[176:177]
	v_fma_f64 v[30:31], v[164:165], v[30:31], -v[32:33]
	v_add_f64_e32 v[168:169], v[174:175], v[168:169]
	v_add_f64_e32 v[170:171], v[172:173], v[170:171]
	s_wait_loadcnt_dscnt 0x701
	v_mul_f64_e32 v[172:173], v[2:3], v[36:37]
	v_mul_f64_e32 v[36:37], v[4:5], v[36:37]
	s_delay_alu instid0(VALU_DEP_4) | instskip(NEXT) | instid1(VALU_DEP_4)
	v_add_f64_e32 v[32:33], v[168:169], v[180:181]
	v_add_f64_e32 v[164:165], v[170:171], v[178:179]
	s_wait_loadcnt_dscnt 0x600
	v_mul_f64_e32 v[168:169], v[26:27], v[40:41]
	v_mul_f64_e32 v[40:41], v[28:29], v[40:41]
	v_fma_f64 v[170:171], v[4:5], v[34:35], v[172:173]
	v_fma_f64 v[34:35], v[2:3], v[34:35], -v[36:37]
	v_add_f64_e32 v[36:37], v[32:33], v[30:31]
	v_add_f64_e32 v[164:165], v[164:165], v[166:167]
	ds_load_b128 v[2:5], v1 offset:1728
	ds_load_b128 v[30:33], v1 offset:1744
	v_fma_f64 v[28:29], v[28:29], v[38:39], v[168:169]
	v_fma_f64 v[26:27], v[26:27], v[38:39], -v[40:41]
	s_wait_loadcnt_dscnt 0x501
	v_mul_f64_e32 v[166:167], v[2:3], v[44:45]
	v_mul_f64_e32 v[44:45], v[4:5], v[44:45]
	s_wait_loadcnt_dscnt 0x400
	v_mul_f64_e32 v[38:39], v[30:31], v[8:9]
	v_mul_f64_e32 v[8:9], v[32:33], v[8:9]
	v_add_f64_e32 v[34:35], v[36:37], v[34:35]
	v_add_f64_e32 v[36:37], v[164:165], v[170:171]
	v_fma_f64 v[40:41], v[4:5], v[42:43], v[166:167]
	v_fma_f64 v[42:43], v[2:3], v[42:43], -v[44:45]
	v_fma_f64 v[32:33], v[32:33], v[6:7], v[38:39]
	v_fma_f64 v[6:7], v[30:31], v[6:7], -v[8:9]
	v_add_f64_e32 v[34:35], v[34:35], v[26:27]
	v_add_f64_e32 v[36:37], v[36:37], v[28:29]
	ds_load_b128 v[2:5], v1 offset:1760
	ds_load_b128 v[26:29], v1 offset:1776
	s_wait_loadcnt_dscnt 0x301
	v_mul_f64_e32 v[44:45], v[2:3], v[12:13]
	v_mul_f64_e32 v[12:13], v[4:5], v[12:13]
	v_add_f64_e32 v[8:9], v[34:35], v[42:43]
	v_add_f64_e32 v[30:31], v[36:37], v[40:41]
	s_wait_loadcnt_dscnt 0x200
	v_mul_f64_e32 v[34:35], v[26:27], v[16:17]
	v_mul_f64_e32 v[16:17], v[28:29], v[16:17]
	v_fma_f64 v[36:37], v[4:5], v[10:11], v[44:45]
	v_fma_f64 v[10:11], v[2:3], v[10:11], -v[12:13]
	v_add_f64_e32 v[12:13], v[8:9], v[6:7]
	v_add_f64_e32 v[30:31], v[30:31], v[32:33]
	ds_load_b128 v[2:5], v1 offset:1792
	ds_load_b128 v[6:9], v1 offset:1808
	v_fma_f64 v[28:29], v[28:29], v[14:15], v[34:35]
	v_fma_f64 v[14:15], v[26:27], v[14:15], -v[16:17]
	s_wait_loadcnt_dscnt 0x101
	v_mul_f64_e32 v[0:1], v[2:3], v[20:21]
	v_mul_f64_e32 v[20:21], v[4:5], v[20:21]
	s_wait_loadcnt_dscnt 0x0
	v_mul_f64_e32 v[16:17], v[6:7], v[24:25]
	v_mul_f64_e32 v[24:25], v[8:9], v[24:25]
	v_add_f64_e32 v[10:11], v[12:13], v[10:11]
	v_add_f64_e32 v[12:13], v[30:31], v[36:37]
	v_fma_f64 v[0:1], v[4:5], v[18:19], v[0:1]
	v_fma_f64 v[2:3], v[2:3], v[18:19], -v[20:21]
	v_fma_f64 v[8:9], v[8:9], v[22:23], v[16:17]
	v_fma_f64 v[6:7], v[6:7], v[22:23], -v[24:25]
	v_add_f64_e32 v[4:5], v[10:11], v[14:15]
	v_add_f64_e32 v[10:11], v[12:13], v[28:29]
	s_delay_alu instid0(VALU_DEP_2) | instskip(NEXT) | instid1(VALU_DEP_2)
	v_add_f64_e32 v[2:3], v[4:5], v[2:3]
	v_add_f64_e32 v[0:1], v[10:11], v[0:1]
	s_delay_alu instid0(VALU_DEP_2) | instskip(NEXT) | instid1(VALU_DEP_2)
	v_add_f64_e32 v[2:3], v[2:3], v[6:7]
	v_add_f64_e32 v[4:5], v[0:1], v[8:9]
	s_delay_alu instid0(VALU_DEP_2) | instskip(NEXT) | instid1(VALU_DEP_2)
	v_add_f64_e64 v[0:1], v[160:161], -v[2:3]
	v_add_f64_e64 v[2:3], v[162:163], -v[4:5]
	scratch_store_b128 off, v[0:3], off offset:16
	s_wait_alu 0xfffe
	s_cbranch_vccz .LBB120_468
; %bb.356:
	v_mov_b32_e32 v0, 0
	global_load_b32 v1, v0, s[2:3] offset:220
	s_wait_loadcnt 0x0
	v_cmp_ne_u32_e32 vcc_lo, 56, v1
	s_cbranch_vccz .LBB120_358
; %bb.357:
	v_lshlrev_b32_e32 v1, 4, v1
	s_delay_alu instid0(VALU_DEP_1)
	v_add_nc_u32_e32 v9, 16, v1
	s_clause 0x1
	scratch_load_b128 v[1:4], v9, off offset:-16
	scratch_load_b128 v[5:8], off, s11
	s_wait_loadcnt 0x1
	scratch_store_b128 off, v[1:4], s11
	s_wait_loadcnt 0x0
	scratch_store_b128 v9, v[5:8], off offset:-16
.LBB120_358:
	global_load_b32 v0, v0, s[2:3] offset:216
	s_wait_loadcnt 0x0
	v_cmp_eq_u32_e32 vcc_lo, 55, v0
	s_cbranch_vccnz .LBB120_360
; %bb.359:
	v_lshlrev_b32_e32 v0, 4, v0
	s_delay_alu instid0(VALU_DEP_1)
	v_add_nc_u32_e32 v8, 16, v0
	s_clause 0x1
	scratch_load_b128 v[0:3], v8, off offset:-16
	scratch_load_b128 v[4:7], off, s14
	s_wait_loadcnt 0x1
	scratch_store_b128 off, v[0:3], s14
	s_wait_loadcnt 0x0
	scratch_store_b128 v8, v[4:7], off offset:-16
.LBB120_360:
	v_mov_b32_e32 v0, 0
	global_load_b32 v1, v0, s[2:3] offset:212
	s_wait_loadcnt 0x0
	v_cmp_eq_u32_e32 vcc_lo, 54, v1
	s_cbranch_vccnz .LBB120_362
; %bb.361:
	v_lshlrev_b32_e32 v1, 4, v1
	s_delay_alu instid0(VALU_DEP_1)
	v_add_nc_u32_e32 v9, 16, v1
	s_clause 0x1
	scratch_load_b128 v[1:4], v9, off offset:-16
	scratch_load_b128 v[5:8], off, s16
	s_wait_loadcnt 0x1
	scratch_store_b128 off, v[1:4], s16
	s_wait_loadcnt 0x0
	scratch_store_b128 v9, v[5:8], off offset:-16
.LBB120_362:
	global_load_b32 v0, v0, s[2:3] offset:208
	s_wait_loadcnt 0x0
	v_cmp_eq_u32_e32 vcc_lo, 53, v0
	s_cbranch_vccnz .LBB120_364
; %bb.363:
	v_lshlrev_b32_e32 v0, 4, v0
	s_delay_alu instid0(VALU_DEP_1)
	v_add_nc_u32_e32 v8, 16, v0
	s_clause 0x1
	scratch_load_b128 v[0:3], v8, off offset:-16
	scratch_load_b128 v[4:7], off, s17
	s_wait_loadcnt 0x1
	scratch_store_b128 off, v[0:3], s17
	s_wait_loadcnt 0x0
	scratch_store_b128 v8, v[4:7], off offset:-16
.LBB120_364:
	v_mov_b32_e32 v0, 0
	global_load_b32 v1, v0, s[2:3] offset:204
	s_wait_loadcnt 0x0
	v_cmp_eq_u32_e32 vcc_lo, 52, v1
	s_cbranch_vccnz .LBB120_366
; %bb.365:
	v_lshlrev_b32_e32 v1, 4, v1
	s_delay_alu instid0(VALU_DEP_1)
	v_add_nc_u32_e32 v9, 16, v1
	s_clause 0x1
	scratch_load_b128 v[1:4], v9, off offset:-16
	scratch_load_b128 v[5:8], off, s18
	s_wait_loadcnt 0x1
	scratch_store_b128 off, v[1:4], s18
	s_wait_loadcnt 0x0
	scratch_store_b128 v9, v[5:8], off offset:-16
.LBB120_366:
	;; [unrolled: 33-line block ×27, first 2 shown]
	global_load_b32 v0, v0, s[2:3]
	s_wait_loadcnt 0x0
	v_cmp_eq_u32_e32 vcc_lo, 1, v0
	s_cbranch_vccnz .LBB120_468
; %bb.467:
	v_lshlrev_b32_e32 v0, 4, v0
	s_delay_alu instid0(VALU_DEP_1)
	v_add_nc_u32_e32 v8, 16, v0
	scratch_load_b128 v[0:3], v8, off offset:-16
	scratch_load_b128 v[4:7], off, off offset:16
	s_wait_loadcnt 0x1
	scratch_store_b128 off, v[0:3], off offset:16
	s_wait_loadcnt 0x0
	scratch_store_b128 v8, v[4:7], off offset:-16
.LBB120_468:
	scratch_load_b128 v[0:3], off, off offset:16
	s_wait_loadcnt 0x0
	flat_store_b128 v[46:47], v[0:3]
	scratch_load_b128 v[0:3], off, s15
	s_wait_loadcnt 0x0
	flat_store_b128 v[48:49], v[0:3]
	scratch_load_b128 v[0:3], off, s13
	;; [unrolled: 3-line block ×56, first 2 shown]
	s_wait_loadcnt 0x0
	flat_store_b128 v[158:159], v[0:3]
	s_nop 0
	s_sendmsg sendmsg(MSG_DEALLOC_VGPRS)
	s_endpgm
	.section	.rodata,"a",@progbits
	.p2align	6, 0x0
	.amdhsa_kernel _ZN9rocsolver6v33100L18getri_kernel_smallILi57E19rocblas_complex_numIdEPKPS3_EEvT1_iilPiilS8_bb
		.amdhsa_group_segment_fixed_size 1832
		.amdhsa_private_segment_fixed_size 944
		.amdhsa_kernarg_size 60
		.amdhsa_user_sgpr_count 2
		.amdhsa_user_sgpr_dispatch_ptr 0
		.amdhsa_user_sgpr_queue_ptr 0
		.amdhsa_user_sgpr_kernarg_segment_ptr 1
		.amdhsa_user_sgpr_dispatch_id 0
		.amdhsa_user_sgpr_private_segment_size 0
		.amdhsa_wavefront_size32 1
		.amdhsa_uses_dynamic_stack 0
		.amdhsa_enable_private_segment 1
		.amdhsa_system_sgpr_workgroup_id_x 1
		.amdhsa_system_sgpr_workgroup_id_y 0
		.amdhsa_system_sgpr_workgroup_id_z 0
		.amdhsa_system_sgpr_workgroup_info 0
		.amdhsa_system_vgpr_workitem_id 0
		.amdhsa_next_free_vgpr 187
		.amdhsa_next_free_sgpr 92
		.amdhsa_reserve_vcc 1
		.amdhsa_float_round_mode_32 0
		.amdhsa_float_round_mode_16_64 0
		.amdhsa_float_denorm_mode_32 3
		.amdhsa_float_denorm_mode_16_64 3
		.amdhsa_fp16_overflow 0
		.amdhsa_workgroup_processor_mode 1
		.amdhsa_memory_ordered 1
		.amdhsa_forward_progress 1
		.amdhsa_inst_pref_size 255
		.amdhsa_round_robin_scheduling 0
		.amdhsa_exception_fp_ieee_invalid_op 0
		.amdhsa_exception_fp_denorm_src 0
		.amdhsa_exception_fp_ieee_div_zero 0
		.amdhsa_exception_fp_ieee_overflow 0
		.amdhsa_exception_fp_ieee_underflow 0
		.amdhsa_exception_fp_ieee_inexact 0
		.amdhsa_exception_int_div_zero 0
	.end_amdhsa_kernel
	.section	.text._ZN9rocsolver6v33100L18getri_kernel_smallILi57E19rocblas_complex_numIdEPKPS3_EEvT1_iilPiilS8_bb,"axG",@progbits,_ZN9rocsolver6v33100L18getri_kernel_smallILi57E19rocblas_complex_numIdEPKPS3_EEvT1_iilPiilS8_bb,comdat
.Lfunc_end120:
	.size	_ZN9rocsolver6v33100L18getri_kernel_smallILi57E19rocblas_complex_numIdEPKPS3_EEvT1_iilPiilS8_bb, .Lfunc_end120-_ZN9rocsolver6v33100L18getri_kernel_smallILi57E19rocblas_complex_numIdEPKPS3_EEvT1_iilPiilS8_bb
                                        ; -- End function
	.set _ZN9rocsolver6v33100L18getri_kernel_smallILi57E19rocblas_complex_numIdEPKPS3_EEvT1_iilPiilS8_bb.num_vgpr, 187
	.set _ZN9rocsolver6v33100L18getri_kernel_smallILi57E19rocblas_complex_numIdEPKPS3_EEvT1_iilPiilS8_bb.num_agpr, 0
	.set _ZN9rocsolver6v33100L18getri_kernel_smallILi57E19rocblas_complex_numIdEPKPS3_EEvT1_iilPiilS8_bb.numbered_sgpr, 92
	.set _ZN9rocsolver6v33100L18getri_kernel_smallILi57E19rocblas_complex_numIdEPKPS3_EEvT1_iilPiilS8_bb.num_named_barrier, 0
	.set _ZN9rocsolver6v33100L18getri_kernel_smallILi57E19rocblas_complex_numIdEPKPS3_EEvT1_iilPiilS8_bb.private_seg_size, 944
	.set _ZN9rocsolver6v33100L18getri_kernel_smallILi57E19rocblas_complex_numIdEPKPS3_EEvT1_iilPiilS8_bb.uses_vcc, 1
	.set _ZN9rocsolver6v33100L18getri_kernel_smallILi57E19rocblas_complex_numIdEPKPS3_EEvT1_iilPiilS8_bb.uses_flat_scratch, 1
	.set _ZN9rocsolver6v33100L18getri_kernel_smallILi57E19rocblas_complex_numIdEPKPS3_EEvT1_iilPiilS8_bb.has_dyn_sized_stack, 0
	.set _ZN9rocsolver6v33100L18getri_kernel_smallILi57E19rocblas_complex_numIdEPKPS3_EEvT1_iilPiilS8_bb.has_recursion, 0
	.set _ZN9rocsolver6v33100L18getri_kernel_smallILi57E19rocblas_complex_numIdEPKPS3_EEvT1_iilPiilS8_bb.has_indirect_call, 0
	.section	.AMDGPU.csdata,"",@progbits
; Kernel info:
; codeLenInByte = 127744
; TotalNumSgprs: 94
; NumVgprs: 187
; ScratchSize: 944
; MemoryBound: 0
; FloatMode: 240
; IeeeMode: 1
; LDSByteSize: 1832 bytes/workgroup (compile time only)
; SGPRBlocks: 0
; VGPRBlocks: 23
; NumSGPRsForWavesPerEU: 94
; NumVGPRsForWavesPerEU: 187
; Occupancy: 8
; WaveLimiterHint : 1
; COMPUTE_PGM_RSRC2:SCRATCH_EN: 1
; COMPUTE_PGM_RSRC2:USER_SGPR: 2
; COMPUTE_PGM_RSRC2:TRAP_HANDLER: 0
; COMPUTE_PGM_RSRC2:TGID_X_EN: 1
; COMPUTE_PGM_RSRC2:TGID_Y_EN: 0
; COMPUTE_PGM_RSRC2:TGID_Z_EN: 0
; COMPUTE_PGM_RSRC2:TIDIG_COMP_CNT: 0
	.section	.text._ZN9rocsolver6v33100L18getri_kernel_smallILi58E19rocblas_complex_numIdEPKPS3_EEvT1_iilPiilS8_bb,"axG",@progbits,_ZN9rocsolver6v33100L18getri_kernel_smallILi58E19rocblas_complex_numIdEPKPS3_EEvT1_iilPiilS8_bb,comdat
	.globl	_ZN9rocsolver6v33100L18getri_kernel_smallILi58E19rocblas_complex_numIdEPKPS3_EEvT1_iilPiilS8_bb ; -- Begin function _ZN9rocsolver6v33100L18getri_kernel_smallILi58E19rocblas_complex_numIdEPKPS3_EEvT1_iilPiilS8_bb
	.p2align	8
	.type	_ZN9rocsolver6v33100L18getri_kernel_smallILi58E19rocblas_complex_numIdEPKPS3_EEvT1_iilPiilS8_bb,@function
_ZN9rocsolver6v33100L18getri_kernel_smallILi58E19rocblas_complex_numIdEPKPS3_EEvT1_iilPiilS8_bb: ; @_ZN9rocsolver6v33100L18getri_kernel_smallILi58E19rocblas_complex_numIdEPKPS3_EEvT1_iilPiilS8_bb
; %bb.0:
	s_mov_b32 s2, exec_lo
	v_cmpx_gt_u32_e32 58, v0
	s_cbranch_execz .LBB121_246
; %bb.1:
	s_clause 0x1
	s_load_b32 s13, s[0:1], 0x38
	s_load_b64 s[2:3], s[0:1], 0x0
	s_mov_b32 s8, ttmp9
	s_load_b128 s[4:7], s[0:1], 0x28
	s_wait_kmcnt 0x0
	s_bitcmp1_b32 s13, 8
	s_cselect_b32 s12, -1, 0
	s_ashr_i32 s9, ttmp9, 31
	s_delay_alu instid0(SALU_CYCLE_1) | instskip(NEXT) | instid1(SALU_CYCLE_1)
	s_lshl_b64 s[10:11], s[8:9], 3
	s_add_nc_u64 s[2:3], s[2:3], s[10:11]
	s_load_b64 s[10:11], s[2:3], 0x0
	s_bfe_u32 s2, s13, 0x10008
	s_delay_alu instid0(SALU_CYCLE_1)
	s_cmp_eq_u32 s2, 0
                                        ; implicit-def: $sgpr2_sgpr3
	s_cbranch_scc1 .LBB121_3
; %bb.2:
	s_load_b96 s[16:18], s[0:1], 0x18
	s_mul_u64 s[2:3], s[4:5], s[8:9]
	s_delay_alu instid0(SALU_CYCLE_1)
	s_lshl_b64 s[2:3], s[2:3], 2
	s_wait_kmcnt 0x0
	s_ashr_i32 s5, s18, 31
	s_mov_b32 s4, s18
	s_add_nc_u64 s[2:3], s[16:17], s[2:3]
	s_lshl_b64 s[4:5], s[4:5], 2
	s_delay_alu instid0(SALU_CYCLE_1)
	s_add_nc_u64 s[2:3], s[2:3], s[4:5]
.LBB121_3:
	s_clause 0x1
	s_load_b64 s[4:5], s[0:1], 0x8
	s_load_b32 s67, s[0:1], 0x38
	v_lshlrev_b32_e32 v13, 4, v0
	s_movk_i32 s14, 0x90
	s_movk_i32 s16, 0xa0
	;; [unrolled: 1-line block ×17, first 2 shown]
	s_wait_kmcnt 0x0
	s_ashr_i32 s1, s4, 31
	s_mov_b32 s0, s4
	v_add3_u32 v5, s5, s5, v0
	s_lshl_b64 s[0:1], s[0:1], 4
	s_movk_i32 s33, 0x1a0
	s_add_nc_u64 s[0:1], s[10:11], s[0:1]
	s_ashr_i32 s11, s5, 31
	v_add_co_u32 v46, s4, s0, v13
	s_wait_alu 0xf1ff
	v_add_co_ci_u32_e64 v47, null, s1, 0, s4
	s_mov_b32 s10, s5
	v_ashrrev_i32_e32 v6, 31, v5
	s_lshl_b64 s[10:11], s[10:11], 4
	flat_load_b128 v[1:4], v[46:47]
	v_add_co_u32 v48, vcc_lo, v46, s10
	s_delay_alu instid0(VALU_DEP_1)
	v_add_co_ci_u32_e64 v49, null, s11, v47, vcc_lo
	v_lshlrev_b64_e32 v[6:7], 4, v[5:6]
	v_add_nc_u32_e32 v5, s5, v5
	s_movk_i32 s11, 0x80
	s_movk_i32 s34, 0x1b0
	s_movk_i32 s35, 0x1c0
	s_movk_i32 s36, 0x1d0
	v_add_co_u32 v50, vcc_lo, s0, v6
	s_wait_alu 0xfffd
	v_add_co_ci_u32_e64 v51, null, s1, v7, vcc_lo
	v_ashrrev_i32_e32 v6, 31, v5
	s_movk_i32 s37, 0x1e0
	s_movk_i32 s38, 0x1f0
	s_movk_i32 s39, 0x200
	s_movk_i32 s68, 0x210
	v_lshlrev_b64_e32 v[6:7], 4, v[5:6]
	v_add_nc_u32_e32 v5, s5, v5
	s_movk_i32 s69, 0x220
	s_movk_i32 s70, 0x230
	s_movk_i32 s71, 0x240
	s_movk_i32 s72, 0x250
	v_add_co_u32 v52, vcc_lo, s0, v6
	s_wait_alu 0xfffd
	v_add_co_ci_u32_e64 v53, null, s1, v7, vcc_lo
	v_ashrrev_i32_e32 v6, 31, v5
	s_movk_i32 s73, 0x260
	s_movk_i32 s74, 0x270
	s_movk_i32 s75, 0x280
	s_movk_i32 s76, 0x290
	;; [unrolled: 14-line block ×4, first 2 shown]
	v_lshlrev_b64_e32 v[6:7], 4, v[5:6]
	v_add_nc_u32_e32 v5, s5, v5
	s_wait_alu 0xfffe
	s_add_co_i32 s63, s11, 16
	s_add_co_i32 s62, s14, 16
	s_add_co_i32 s61, s16, 16
	s_add_co_i32 s60, s17, 16
	v_add_co_u32 v58, vcc_lo, s0, v6
	s_wait_alu 0xfffd
	v_add_co_ci_u32_e64 v59, null, s1, v7, vcc_lo
	v_ashrrev_i32_e32 v6, 31, v5
	s_add_co_i32 s59, s18, 16
	s_add_co_i32 s58, s19, 16
	s_add_co_i32 s57, s20, 16
	s_add_co_i32 s56, s21, 16
	v_lshlrev_b64_e32 v[6:7], 4, v[5:6]
	v_add_nc_u32_e32 v5, s5, v5
	s_add_co_i32 s55, s22, 16
	s_add_co_i32 s54, s23, 16
	s_add_co_i32 s53, s24, 16
	s_add_co_i32 s52, s25, 16
	v_add_co_u32 v60, vcc_lo, s0, v6
	s_wait_alu 0xfffd
	v_add_co_ci_u32_e64 v61, null, s1, v7, vcc_lo
	v_ashrrev_i32_e32 v6, 31, v5
	s_add_co_i32 s51, s26, 16
	s_add_co_i32 s50, s27, 16
	s_add_co_i32 s49, s28, 16
	s_add_co_i32 s48, s29, 16
	v_lshlrev_b64_e32 v[6:7], 4, v[5:6]
	v_add_nc_u32_e32 v5, s5, v5
	;; [unrolled: 14-line block ×6, first 2 shown]
	s_add_co_i32 s11, s91, 16
	s_mov_b32 s15, 32
	s_mov_b32 s13, 48
	s_mov_b32 s10, 64
	v_add_co_u32 v70, vcc_lo, s0, v6
	s_wait_alu 0xfffd
	v_add_co_ci_u32_e64 v71, null, s1, v7, vcc_lo
	v_ashrrev_i32_e32 v6, 31, v5
	s_movk_i32 s4, 0x50
	s_delay_alu instid0(VALU_DEP_1) | instskip(SKIP_1) | instid1(VALU_DEP_2)
	v_lshlrev_b64_e32 v[6:7], 4, v[5:6]
	v_add_nc_u32_e32 v5, s5, v5
	v_add_co_u32 v72, vcc_lo, s0, v6
	s_wait_alu 0xfffd
	s_delay_alu instid0(VALU_DEP_3) | instskip(NEXT) | instid1(VALU_DEP_3)
	v_add_co_ci_u32_e64 v73, null, s1, v7, vcc_lo
	v_ashrrev_i32_e32 v6, 31, v5
	s_delay_alu instid0(VALU_DEP_1) | instskip(SKIP_1) | instid1(VALU_DEP_2)
	v_lshlrev_b64_e32 v[6:7], 4, v[5:6]
	v_add_nc_u32_e32 v5, s5, v5
	v_add_co_u32 v74, vcc_lo, s0, v6
	s_wait_alu 0xfffd
	s_delay_alu instid0(VALU_DEP_3) | instskip(NEXT) | instid1(VALU_DEP_3)
	v_add_co_ci_u32_e64 v75, null, s1, v7, vcc_lo
	v_ashrrev_i32_e32 v6, 31, v5
	;; [unrolled: 8-line block ×10, first 2 shown]
	s_delay_alu instid0(VALU_DEP_1)
	v_lshlrev_b64_e32 v[6:7], 4, v[5:6]
	s_wait_loadcnt_dscnt 0x0
	scratch_store_b128 off, v[1:4], off offset:16
	flat_load_b128 v[1:4], v[48:49]
	v_add_nc_u32_e32 v5, s5, v5
	v_add_co_u32 v92, vcc_lo, s0, v6
	s_wait_alu 0xfffd
	v_add_co_ci_u32_e64 v93, null, s1, v7, vcc_lo
	s_delay_alu instid0(VALU_DEP_3) | instskip(NEXT) | instid1(VALU_DEP_1)
	v_ashrrev_i32_e32 v6, 31, v5
	v_lshlrev_b64_e32 v[6:7], 4, v[5:6]
	v_add_nc_u32_e32 v5, s5, v5
	s_delay_alu instid0(VALU_DEP_2) | instskip(SKIP_1) | instid1(VALU_DEP_3)
	v_add_co_u32 v94, vcc_lo, s0, v6
	s_wait_alu 0xfffd
	v_add_co_ci_u32_e64 v95, null, s1, v7, vcc_lo
	s_delay_alu instid0(VALU_DEP_3) | instskip(NEXT) | instid1(VALU_DEP_1)
	v_ashrrev_i32_e32 v6, 31, v5
	v_lshlrev_b64_e32 v[6:7], 4, v[5:6]
	v_add_nc_u32_e32 v5, s5, v5
	s_delay_alu instid0(VALU_DEP_2) | instskip(SKIP_1) | instid1(VALU_DEP_3)
	;; [unrolled: 8-line block ×20, first 2 shown]
	v_add_co_u32 v132, vcc_lo, s0, v6
	s_wait_alu 0xfffd
	v_add_co_ci_u32_e64 v133, null, s1, v7, vcc_lo
	s_delay_alu instid0(VALU_DEP_3) | instskip(NEXT) | instid1(VALU_DEP_1)
	v_ashrrev_i32_e32 v6, 31, v5
	v_lshlrev_b64_e32 v[6:7], 4, v[5:6]
	v_add_nc_u32_e32 v5, s5, v5
	s_delay_alu instid0(VALU_DEP_2)
	v_add_co_u32 v134, vcc_lo, s0, v6
	s_wait_loadcnt_dscnt 0x0
	scratch_store_b128 off, v[1:4], off offset:32
	flat_load_b128 v[1:4], v[50:51]
	s_wait_alu 0xfffd
	v_add_co_ci_u32_e64 v135, null, s1, v7, vcc_lo
	v_ashrrev_i32_e32 v6, 31, v5
	s_delay_alu instid0(VALU_DEP_1) | instskip(SKIP_1) | instid1(VALU_DEP_2)
	v_lshlrev_b64_e32 v[6:7], 4, v[5:6]
	v_add_nc_u32_e32 v5, s5, v5
	v_add_co_u32 v136, vcc_lo, s0, v6
	s_wait_alu 0xfffd
	s_delay_alu instid0(VALU_DEP_3) | instskip(NEXT) | instid1(VALU_DEP_3)
	v_add_co_ci_u32_e64 v137, null, s1, v7, vcc_lo
	v_ashrrev_i32_e32 v6, 31, v5
	s_delay_alu instid0(VALU_DEP_1) | instskip(SKIP_1) | instid1(VALU_DEP_2)
	v_lshlrev_b64_e32 v[6:7], 4, v[5:6]
	v_add_nc_u32_e32 v5, s5, v5
	v_add_co_u32 v138, vcc_lo, s0, v6
	s_wait_alu 0xfffd
	s_delay_alu instid0(VALU_DEP_3) | instskip(NEXT) | instid1(VALU_DEP_3)
	;; [unrolled: 8-line block ×11, first 2 shown]
	v_add_co_ci_u32_e64 v157, null, s1, v7, vcc_lo
	v_ashrrev_i32_e32 v6, 31, v5
	s_delay_alu instid0(VALU_DEP_1)
	v_lshlrev_b64_e32 v[6:7], 4, v[5:6]
	v_add_nc_u32_e32 v5, s5, v5
	s_movk_i32 s5, 0x70
	s_wait_alu 0xfffe
	s_add_co_i32 s64, s5, 16
	s_add_co_i32 s5, s92, 16
	v_add_co_u32 v158, vcc_lo, s0, v6
	s_wait_alu 0xfffd
	v_add_co_ci_u32_e64 v159, null, s1, v7, vcc_lo
	v_ashrrev_i32_e32 v6, 31, v5
	s_delay_alu instid0(VALU_DEP_1) | instskip(NEXT) | instid1(VALU_DEP_1)
	v_lshlrev_b64_e32 v[5:6], 4, v[5:6]
	v_add_co_u32 v160, vcc_lo, s0, v5
	s_wait_alu 0xfffd
	s_delay_alu instid0(VALU_DEP_2)
	v_add_co_ci_u32_e64 v161, null, s1, v6, vcc_lo
	s_movk_i32 s0, 0x50
	s_movk_i32 s1, 0x60
	s_wait_alu 0xfffe
	s_add_co_i32 s66, s0, 16
	s_add_co_i32 s65, s1, 16
	s_bitcmp0_b32 s67, 0
	s_mov_b32 s1, -1
	s_wait_loadcnt_dscnt 0x0
	scratch_store_b128 off, v[1:4], off offset:48
	flat_load_b128 v[1:4], v[52:53]
	s_wait_loadcnt_dscnt 0x0
	scratch_store_b128 off, v[1:4], off offset:64
	flat_load_b128 v[1:4], v[54:55]
	;; [unrolled: 3-line block ×55, first 2 shown]
	s_wait_loadcnt_dscnt 0x0
	scratch_store_b128 off, v[1:4], off offset:928
	s_cbranch_scc1 .LBB121_244
; %bb.4:
	v_cmp_eq_u32_e64 s0, 0, v0
	s_and_saveexec_b32 s1, s0
; %bb.5:
	v_mov_b32_e32 v1, 0
	ds_store_b32 v1, v1 offset:1856
; %bb.6:
	s_wait_alu 0xfffe
	s_or_b32 exec_lo, exec_lo, s1
	s_wait_storecnt_dscnt 0x0
	s_barrier_signal -1
	s_barrier_wait -1
	global_inv scope:SCOPE_SE
	scratch_load_b128 v[1:4], v13, off offset:16
	s_wait_loadcnt 0x0
	v_cmp_eq_f64_e32 vcc_lo, 0, v[1:2]
	v_cmp_eq_f64_e64 s1, 0, v[3:4]
	s_and_b32 s1, vcc_lo, s1
	s_wait_alu 0xfffe
	s_and_saveexec_b32 s67, s1
	s_cbranch_execz .LBB121_10
; %bb.7:
	v_mov_b32_e32 v1, 0
	s_mov_b32 s68, 0
	ds_load_b32 v2, v1 offset:1856
	s_wait_dscnt 0x0
	v_readfirstlane_b32 s1, v2
	v_add_nc_u32_e32 v2, 1, v0
	s_cmp_eq_u32 s1, 0
	s_delay_alu instid0(VALU_DEP_1) | instskip(SKIP_1) | instid1(SALU_CYCLE_1)
	v_cmp_gt_i32_e32 vcc_lo, s1, v2
	s_cselect_b32 s69, -1, 0
	s_or_b32 s69, s69, vcc_lo
	s_delay_alu instid0(SALU_CYCLE_1)
	s_and_b32 exec_lo, exec_lo, s69
	s_cbranch_execz .LBB121_10
; %bb.8:
	v_mov_b32_e32 v3, s1
.LBB121_9:                              ; =>This Inner Loop Header: Depth=1
	ds_cmpstore_rtn_b32 v3, v1, v2, v3 offset:1856
	s_wait_dscnt 0x0
	v_cmp_ne_u32_e32 vcc_lo, 0, v3
	v_cmp_le_i32_e64 s1, v3, v2
	s_and_b32 s1, vcc_lo, s1
	s_wait_alu 0xfffe
	s_and_b32 s1, exec_lo, s1
	s_wait_alu 0xfffe
	s_or_b32 s68, s1, s68
	s_delay_alu instid0(SALU_CYCLE_1)
	s_and_not1_b32 exec_lo, exec_lo, s68
	s_cbranch_execnz .LBB121_9
.LBB121_10:
	s_or_b32 exec_lo, exec_lo, s67
	v_mov_b32_e32 v1, 0
	s_barrier_signal -1
	s_barrier_wait -1
	global_inv scope:SCOPE_SE
	ds_load_b32 v2, v1 offset:1856
	s_and_saveexec_b32 s1, s0
	s_cbranch_execz .LBB121_12
; %bb.11:
	s_lshl_b64 s[68:69], s[8:9], 2
	s_delay_alu instid0(SALU_CYCLE_1)
	s_add_nc_u64 s[68:69], s[6:7], s[68:69]
	s_wait_dscnt 0x0
	global_store_b32 v1, v2, s[68:69]
.LBB121_12:
	s_wait_alu 0xfffe
	s_or_b32 exec_lo, exec_lo, s1
	s_wait_dscnt 0x0
	v_cmp_ne_u32_e32 vcc_lo, 0, v2
	s_mov_b32 s1, 0
	s_cbranch_vccnz .LBB121_244
; %bb.13:
	v_add_nc_u32_e32 v14, 16, v13
                                        ; implicit-def: $vgpr1_vgpr2
                                        ; implicit-def: $vgpr9_vgpr10
	scratch_load_b128 v[5:8], v14, off
	s_wait_loadcnt 0x0
	v_cmp_ngt_f64_e64 s1, |v[5:6]|, |v[7:8]|
	s_wait_alu 0xfffe
	s_and_saveexec_b32 s67, s1
	s_delay_alu instid0(SALU_CYCLE_1)
	s_xor_b32 s1, exec_lo, s67
	s_cbranch_execz .LBB121_15
; %bb.14:
	v_div_scale_f64 v[1:2], null, v[7:8], v[7:8], v[5:6]
	v_div_scale_f64 v[11:12], vcc_lo, v[5:6], v[7:8], v[5:6]
	s_delay_alu instid0(VALU_DEP_2) | instskip(NEXT) | instid1(TRANS32_DEP_1)
	v_rcp_f64_e32 v[3:4], v[1:2]
	v_fma_f64 v[9:10], -v[1:2], v[3:4], 1.0
	s_delay_alu instid0(VALU_DEP_1) | instskip(NEXT) | instid1(VALU_DEP_1)
	v_fma_f64 v[3:4], v[3:4], v[9:10], v[3:4]
	v_fma_f64 v[9:10], -v[1:2], v[3:4], 1.0
	s_delay_alu instid0(VALU_DEP_1) | instskip(NEXT) | instid1(VALU_DEP_1)
	v_fma_f64 v[3:4], v[3:4], v[9:10], v[3:4]
	v_mul_f64_e32 v[9:10], v[11:12], v[3:4]
	s_delay_alu instid0(VALU_DEP_1) | instskip(SKIP_1) | instid1(VALU_DEP_1)
	v_fma_f64 v[1:2], -v[1:2], v[9:10], v[11:12]
	s_wait_alu 0xfffd
	v_div_fmas_f64 v[1:2], v[1:2], v[3:4], v[9:10]
	s_delay_alu instid0(VALU_DEP_1) | instskip(NEXT) | instid1(VALU_DEP_1)
	v_div_fixup_f64 v[1:2], v[1:2], v[7:8], v[5:6]
	v_fma_f64 v[3:4], v[5:6], v[1:2], v[7:8]
	s_delay_alu instid0(VALU_DEP_1) | instskip(SKIP_1) | instid1(VALU_DEP_2)
	v_div_scale_f64 v[5:6], null, v[3:4], v[3:4], 1.0
	v_div_scale_f64 v[11:12], vcc_lo, 1.0, v[3:4], 1.0
	v_rcp_f64_e32 v[7:8], v[5:6]
	s_delay_alu instid0(TRANS32_DEP_1) | instskip(NEXT) | instid1(VALU_DEP_1)
	v_fma_f64 v[9:10], -v[5:6], v[7:8], 1.0
	v_fma_f64 v[7:8], v[7:8], v[9:10], v[7:8]
	s_delay_alu instid0(VALU_DEP_1) | instskip(NEXT) | instid1(VALU_DEP_1)
	v_fma_f64 v[9:10], -v[5:6], v[7:8], 1.0
	v_fma_f64 v[7:8], v[7:8], v[9:10], v[7:8]
	s_delay_alu instid0(VALU_DEP_1) | instskip(NEXT) | instid1(VALU_DEP_1)
	v_mul_f64_e32 v[9:10], v[11:12], v[7:8]
	v_fma_f64 v[5:6], -v[5:6], v[9:10], v[11:12]
	s_wait_alu 0xfffd
	s_delay_alu instid0(VALU_DEP_1) | instskip(NEXT) | instid1(VALU_DEP_1)
	v_div_fmas_f64 v[5:6], v[5:6], v[7:8], v[9:10]
	v_div_fixup_f64 v[3:4], v[5:6], v[3:4], 1.0
                                        ; implicit-def: $vgpr5_vgpr6
	s_delay_alu instid0(VALU_DEP_1) | instskip(SKIP_1) | instid1(VALU_DEP_2)
	v_mul_f64_e32 v[1:2], v[1:2], v[3:4]
	v_xor_b32_e32 v4, 0x80000000, v4
	v_xor_b32_e32 v10, 0x80000000, v2
	s_delay_alu instid0(VALU_DEP_3)
	v_mov_b32_e32 v9, v1
.LBB121_15:
	s_wait_alu 0xfffe
	s_and_not1_saveexec_b32 s1, s1
	s_cbranch_execz .LBB121_17
; %bb.16:
	v_div_scale_f64 v[1:2], null, v[5:6], v[5:6], v[7:8]
	v_div_scale_f64 v[11:12], vcc_lo, v[7:8], v[5:6], v[7:8]
	s_delay_alu instid0(VALU_DEP_2) | instskip(NEXT) | instid1(TRANS32_DEP_1)
	v_rcp_f64_e32 v[3:4], v[1:2]
	v_fma_f64 v[9:10], -v[1:2], v[3:4], 1.0
	s_delay_alu instid0(VALU_DEP_1) | instskip(NEXT) | instid1(VALU_DEP_1)
	v_fma_f64 v[3:4], v[3:4], v[9:10], v[3:4]
	v_fma_f64 v[9:10], -v[1:2], v[3:4], 1.0
	s_delay_alu instid0(VALU_DEP_1) | instskip(NEXT) | instid1(VALU_DEP_1)
	v_fma_f64 v[3:4], v[3:4], v[9:10], v[3:4]
	v_mul_f64_e32 v[9:10], v[11:12], v[3:4]
	s_delay_alu instid0(VALU_DEP_1) | instskip(SKIP_1) | instid1(VALU_DEP_1)
	v_fma_f64 v[1:2], -v[1:2], v[9:10], v[11:12]
	s_wait_alu 0xfffd
	v_div_fmas_f64 v[1:2], v[1:2], v[3:4], v[9:10]
	s_delay_alu instid0(VALU_DEP_1) | instskip(NEXT) | instid1(VALU_DEP_1)
	v_div_fixup_f64 v[3:4], v[1:2], v[5:6], v[7:8]
	v_fma_f64 v[1:2], v[7:8], v[3:4], v[5:6]
	s_delay_alu instid0(VALU_DEP_1) | instskip(NEXT) | instid1(VALU_DEP_1)
	v_div_scale_f64 v[5:6], null, v[1:2], v[1:2], 1.0
	v_rcp_f64_e32 v[7:8], v[5:6]
	s_delay_alu instid0(TRANS32_DEP_1) | instskip(NEXT) | instid1(VALU_DEP_1)
	v_fma_f64 v[9:10], -v[5:6], v[7:8], 1.0
	v_fma_f64 v[7:8], v[7:8], v[9:10], v[7:8]
	s_delay_alu instid0(VALU_DEP_1) | instskip(NEXT) | instid1(VALU_DEP_1)
	v_fma_f64 v[9:10], -v[5:6], v[7:8], 1.0
	v_fma_f64 v[7:8], v[7:8], v[9:10], v[7:8]
	v_div_scale_f64 v[9:10], vcc_lo, 1.0, v[1:2], 1.0
	s_delay_alu instid0(VALU_DEP_1) | instskip(NEXT) | instid1(VALU_DEP_1)
	v_mul_f64_e32 v[11:12], v[9:10], v[7:8]
	v_fma_f64 v[5:6], -v[5:6], v[11:12], v[9:10]
	s_wait_alu 0xfffd
	s_delay_alu instid0(VALU_DEP_1) | instskip(NEXT) | instid1(VALU_DEP_1)
	v_div_fmas_f64 v[5:6], v[5:6], v[7:8], v[11:12]
	v_div_fixup_f64 v[1:2], v[5:6], v[1:2], 1.0
	s_delay_alu instid0(VALU_DEP_1)
	v_mul_f64_e64 v[3:4], v[3:4], -v[1:2]
	v_xor_b32_e32 v10, 0x80000000, v2
	v_mov_b32_e32 v9, v1
.LBB121_17:
	s_wait_alu 0xfffe
	s_or_b32 exec_lo, exec_lo, s1
	scratch_store_b128 v14, v[1:4], off
	scratch_load_b128 v[15:18], off, s15
	v_xor_b32_e32 v12, 0x80000000, v4
	v_mov_b32_e32 v11, v3
	v_add_nc_u32_e32 v5, 0x3a0, v13
	ds_store_b128 v13, v[9:12]
	s_wait_loadcnt 0x0
	ds_store_b128 v13, v[15:18] offset:928
	s_wait_storecnt_dscnt 0x0
	s_barrier_signal -1
	s_barrier_wait -1
	global_inv scope:SCOPE_SE
	s_and_saveexec_b32 s1, s0
	s_cbranch_execz .LBB121_19
; %bb.18:
	scratch_load_b128 v[1:4], v14, off
	ds_load_b128 v[6:9], v5
	v_mov_b32_e32 v10, 0
	ds_load_b128 v[15:18], v10 offset:16
	s_wait_loadcnt_dscnt 0x1
	v_mul_f64_e32 v[10:11], v[6:7], v[3:4]
	v_mul_f64_e32 v[3:4], v[8:9], v[3:4]
	s_delay_alu instid0(VALU_DEP_2) | instskip(NEXT) | instid1(VALU_DEP_2)
	v_fma_f64 v[8:9], v[8:9], v[1:2], v[10:11]
	v_fma_f64 v[1:2], v[6:7], v[1:2], -v[3:4]
	s_delay_alu instid0(VALU_DEP_2) | instskip(NEXT) | instid1(VALU_DEP_2)
	v_add_f64_e32 v[3:4], 0, v[8:9]
	v_add_f64_e32 v[1:2], 0, v[1:2]
	s_wait_dscnt 0x0
	s_delay_alu instid0(VALU_DEP_2) | instskip(NEXT) | instid1(VALU_DEP_2)
	v_mul_f64_e32 v[6:7], v[3:4], v[17:18]
	v_mul_f64_e32 v[8:9], v[1:2], v[17:18]
	s_delay_alu instid0(VALU_DEP_2) | instskip(NEXT) | instid1(VALU_DEP_2)
	v_fma_f64 v[1:2], v[1:2], v[15:16], -v[6:7]
	v_fma_f64 v[3:4], v[3:4], v[15:16], v[8:9]
	scratch_store_b128 off, v[1:4], off offset:32
.LBB121_19:
	s_wait_alu 0xfffe
	s_or_b32 exec_lo, exec_lo, s1
	s_wait_loadcnt 0x0
	s_wait_storecnt 0x0
	s_barrier_signal -1
	s_barrier_wait -1
	global_inv scope:SCOPE_SE
	scratch_load_b128 v[1:4], off, s13
	s_mov_b32 s1, exec_lo
	s_wait_loadcnt 0x0
	ds_store_b128 v5, v[1:4]
	s_wait_dscnt 0x0
	s_barrier_signal -1
	s_barrier_wait -1
	global_inv scope:SCOPE_SE
	v_cmpx_gt_u32_e32 2, v0
	s_cbranch_execz .LBB121_23
; %bb.20:
	scratch_load_b128 v[1:4], v14, off
	ds_load_b128 v[6:9], v5
	s_wait_loadcnt_dscnt 0x0
	v_mul_f64_e32 v[10:11], v[8:9], v[3:4]
	v_mul_f64_e32 v[3:4], v[6:7], v[3:4]
	s_delay_alu instid0(VALU_DEP_2) | instskip(NEXT) | instid1(VALU_DEP_2)
	v_fma_f64 v[6:7], v[6:7], v[1:2], -v[10:11]
	v_fma_f64 v[3:4], v[8:9], v[1:2], v[3:4]
	s_delay_alu instid0(VALU_DEP_2) | instskip(NEXT) | instid1(VALU_DEP_2)
	v_add_f64_e32 v[1:2], 0, v[6:7]
	v_add_f64_e32 v[3:4], 0, v[3:4]
	s_and_saveexec_b32 s67, s0
	s_cbranch_execz .LBB121_22
; %bb.21:
	scratch_load_b128 v[6:9], off, off offset:32
	v_mov_b32_e32 v10, 0
	ds_load_b128 v[15:18], v10 offset:944
	s_wait_loadcnt_dscnt 0x0
	v_mul_f64_e32 v[10:11], v[15:16], v[8:9]
	v_mul_f64_e32 v[8:9], v[17:18], v[8:9]
	s_delay_alu instid0(VALU_DEP_2) | instskip(NEXT) | instid1(VALU_DEP_2)
	v_fma_f64 v[10:11], v[17:18], v[6:7], v[10:11]
	v_fma_f64 v[6:7], v[15:16], v[6:7], -v[8:9]
	s_delay_alu instid0(VALU_DEP_2) | instskip(NEXT) | instid1(VALU_DEP_2)
	v_add_f64_e32 v[3:4], v[3:4], v[10:11]
	v_add_f64_e32 v[1:2], v[1:2], v[6:7]
.LBB121_22:
	s_or_b32 exec_lo, exec_lo, s67
	v_mov_b32_e32 v6, 0
	ds_load_b128 v[6:9], v6 offset:32
	s_wait_dscnt 0x0
	v_mul_f64_e32 v[10:11], v[3:4], v[8:9]
	v_mul_f64_e32 v[8:9], v[1:2], v[8:9]
	s_delay_alu instid0(VALU_DEP_2) | instskip(NEXT) | instid1(VALU_DEP_2)
	v_fma_f64 v[1:2], v[1:2], v[6:7], -v[10:11]
	v_fma_f64 v[3:4], v[3:4], v[6:7], v[8:9]
	scratch_store_b128 off, v[1:4], off offset:48
.LBB121_23:
	s_wait_alu 0xfffe
	s_or_b32 exec_lo, exec_lo, s1
	s_wait_loadcnt 0x0
	s_wait_storecnt 0x0
	s_barrier_signal -1
	s_barrier_wait -1
	global_inv scope:SCOPE_SE
	scratch_load_b128 v[1:4], off, s10
	v_add_nc_u32_e32 v6, -1, v0
	s_mov_b32 s0, exec_lo
	s_wait_loadcnt 0x0
	ds_store_b128 v5, v[1:4]
	s_wait_dscnt 0x0
	s_barrier_signal -1
	s_barrier_wait -1
	global_inv scope:SCOPE_SE
	v_cmpx_gt_u32_e32 3, v0
	s_cbranch_execz .LBB121_27
; %bb.24:
	v_dual_mov_b32 v1, 0 :: v_dual_add_nc_u32 v8, 0x3a0, v13
	v_mov_b32_e32 v3, 0
	v_dual_mov_b32 v2, 0 :: v_dual_add_nc_u32 v7, -1, v0
	v_mov_b32_e32 v4, 0
	v_or_b32_e32 v9, 8, v14
	s_mov_b32 s1, 0
.LBB121_25:                             ; =>This Inner Loop Header: Depth=1
	scratch_load_b128 v[15:18], v9, off offset:-8
	ds_load_b128 v[19:22], v8
	v_add_nc_u32_e32 v7, 1, v7
	v_add_nc_u32_e32 v8, 16, v8
	v_add_nc_u32_e32 v9, 16, v9
	s_delay_alu instid0(VALU_DEP_3)
	v_cmp_lt_u32_e32 vcc_lo, 1, v7
	s_wait_alu 0xfffe
	s_or_b32 s1, vcc_lo, s1
	s_wait_loadcnt_dscnt 0x0
	v_mul_f64_e32 v[10:11], v[21:22], v[17:18]
	v_mul_f64_e32 v[17:18], v[19:20], v[17:18]
	s_delay_alu instid0(VALU_DEP_2) | instskip(NEXT) | instid1(VALU_DEP_2)
	v_fma_f64 v[10:11], v[19:20], v[15:16], -v[10:11]
	v_fma_f64 v[15:16], v[21:22], v[15:16], v[17:18]
	s_delay_alu instid0(VALU_DEP_2) | instskip(NEXT) | instid1(VALU_DEP_2)
	v_add_f64_e32 v[3:4], v[3:4], v[10:11]
	v_add_f64_e32 v[1:2], v[1:2], v[15:16]
	s_wait_alu 0xfffe
	s_and_not1_b32 exec_lo, exec_lo, s1
	s_cbranch_execnz .LBB121_25
; %bb.26:
	s_or_b32 exec_lo, exec_lo, s1
	v_mov_b32_e32 v7, 0
	ds_load_b128 v[7:10], v7 offset:48
	s_wait_dscnt 0x0
	v_mul_f64_e32 v[11:12], v[1:2], v[9:10]
	v_mul_f64_e32 v[15:16], v[3:4], v[9:10]
	s_delay_alu instid0(VALU_DEP_2) | instskip(NEXT) | instid1(VALU_DEP_2)
	v_fma_f64 v[9:10], v[3:4], v[7:8], -v[11:12]
	v_fma_f64 v[11:12], v[1:2], v[7:8], v[15:16]
	scratch_store_b128 off, v[9:12], off offset:64
.LBB121_27:
	s_wait_alu 0xfffe
	s_or_b32 exec_lo, exec_lo, s0
	s_wait_loadcnt 0x0
	s_wait_storecnt 0x0
	s_barrier_signal -1
	s_barrier_wait -1
	global_inv scope:SCOPE_SE
	scratch_load_b128 v[1:4], off, s4
	s_mov_b32 s0, exec_lo
	s_wait_loadcnt 0x0
	ds_store_b128 v5, v[1:4]
	s_wait_dscnt 0x0
	s_barrier_signal -1
	s_barrier_wait -1
	global_inv scope:SCOPE_SE
	v_cmpx_gt_u32_e32 4, v0
	s_cbranch_execz .LBB121_31
; %bb.28:
	v_dual_mov_b32 v1, 0 :: v_dual_add_nc_u32 v8, 0x3a0, v13
	v_mov_b32_e32 v3, 0
	v_dual_mov_b32 v2, 0 :: v_dual_add_nc_u32 v7, -1, v0
	v_mov_b32_e32 v4, 0
	v_or_b32_e32 v9, 8, v14
	s_mov_b32 s1, 0
.LBB121_29:                             ; =>This Inner Loop Header: Depth=1
	scratch_load_b128 v[15:18], v9, off offset:-8
	ds_load_b128 v[19:22], v8
	v_add_nc_u32_e32 v7, 1, v7
	v_add_nc_u32_e32 v8, 16, v8
	v_add_nc_u32_e32 v9, 16, v9
	s_delay_alu instid0(VALU_DEP_3)
	v_cmp_lt_u32_e32 vcc_lo, 2, v7
	s_wait_alu 0xfffe
	s_or_b32 s1, vcc_lo, s1
	s_wait_loadcnt_dscnt 0x0
	v_mul_f64_e32 v[10:11], v[21:22], v[17:18]
	v_mul_f64_e32 v[17:18], v[19:20], v[17:18]
	s_delay_alu instid0(VALU_DEP_2) | instskip(NEXT) | instid1(VALU_DEP_2)
	v_fma_f64 v[10:11], v[19:20], v[15:16], -v[10:11]
	v_fma_f64 v[15:16], v[21:22], v[15:16], v[17:18]
	s_delay_alu instid0(VALU_DEP_2) | instskip(NEXT) | instid1(VALU_DEP_2)
	v_add_f64_e32 v[3:4], v[3:4], v[10:11]
	v_add_f64_e32 v[1:2], v[1:2], v[15:16]
	s_wait_alu 0xfffe
	s_and_not1_b32 exec_lo, exec_lo, s1
	s_cbranch_execnz .LBB121_29
; %bb.30:
	s_or_b32 exec_lo, exec_lo, s1
	v_mov_b32_e32 v7, 0
	ds_load_b128 v[7:10], v7 offset:64
	s_wait_dscnt 0x0
	v_mul_f64_e32 v[11:12], v[1:2], v[9:10]
	v_mul_f64_e32 v[15:16], v[3:4], v[9:10]
	s_delay_alu instid0(VALU_DEP_2) | instskip(NEXT) | instid1(VALU_DEP_2)
	v_fma_f64 v[9:10], v[3:4], v[7:8], -v[11:12]
	v_fma_f64 v[11:12], v[1:2], v[7:8], v[15:16]
	scratch_store_b128 off, v[9:12], off offset:80
.LBB121_31:
	s_wait_alu 0xfffe
	s_or_b32 exec_lo, exec_lo, s0
	s_wait_loadcnt 0x0
	s_wait_storecnt 0x0
	s_barrier_signal -1
	s_barrier_wait -1
	global_inv scope:SCOPE_SE
	scratch_load_b128 v[1:4], off, s66
	;; [unrolled: 58-line block ×19, first 2 shown]
	s_mov_b32 s0, exec_lo
	s_wait_loadcnt 0x0
	ds_store_b128 v5, v[1:4]
	s_wait_dscnt 0x0
	s_barrier_signal -1
	s_barrier_wait -1
	global_inv scope:SCOPE_SE
	v_cmpx_gt_u32_e32 22, v0
	s_cbranch_execz .LBB121_103
; %bb.100:
	v_dual_mov_b32 v1, 0 :: v_dual_add_nc_u32 v8, 0x3a0, v13
	v_mov_b32_e32 v3, 0
	v_dual_mov_b32 v2, 0 :: v_dual_add_nc_u32 v7, -1, v0
	v_mov_b32_e32 v4, 0
	v_or_b32_e32 v9, 8, v14
	s_mov_b32 s1, 0
.LBB121_101:                            ; =>This Inner Loop Header: Depth=1
	scratch_load_b128 v[15:18], v9, off offset:-8
	ds_load_b128 v[19:22], v8
	v_add_nc_u32_e32 v7, 1, v7
	v_add_nc_u32_e32 v8, 16, v8
	v_add_nc_u32_e32 v9, 16, v9
	s_delay_alu instid0(VALU_DEP_3)
	v_cmp_lt_u32_e32 vcc_lo, 20, v7
	s_wait_alu 0xfffe
	s_or_b32 s1, vcc_lo, s1
	s_wait_loadcnt_dscnt 0x0
	v_mul_f64_e32 v[10:11], v[21:22], v[17:18]
	v_mul_f64_e32 v[17:18], v[19:20], v[17:18]
	s_delay_alu instid0(VALU_DEP_2) | instskip(NEXT) | instid1(VALU_DEP_2)
	v_fma_f64 v[10:11], v[19:20], v[15:16], -v[10:11]
	v_fma_f64 v[15:16], v[21:22], v[15:16], v[17:18]
	s_delay_alu instid0(VALU_DEP_2) | instskip(NEXT) | instid1(VALU_DEP_2)
	v_add_f64_e32 v[3:4], v[3:4], v[10:11]
	v_add_f64_e32 v[1:2], v[1:2], v[15:16]
	s_wait_alu 0xfffe
	s_and_not1_b32 exec_lo, exec_lo, s1
	s_cbranch_execnz .LBB121_101
; %bb.102:
	s_or_b32 exec_lo, exec_lo, s1
	v_mov_b32_e32 v7, 0
	ds_load_b128 v[7:10], v7 offset:352
	s_wait_dscnt 0x0
	v_mul_f64_e32 v[11:12], v[1:2], v[9:10]
	v_mul_f64_e32 v[15:16], v[3:4], v[9:10]
	s_delay_alu instid0(VALU_DEP_2) | instskip(NEXT) | instid1(VALU_DEP_2)
	v_fma_f64 v[9:10], v[3:4], v[7:8], -v[11:12]
	v_fma_f64 v[11:12], v[1:2], v[7:8], v[15:16]
	scratch_store_b128 off, v[9:12], off offset:368
.LBB121_103:
	s_wait_alu 0xfffe
	s_or_b32 exec_lo, exec_lo, s0
	s_wait_loadcnt 0x0
	s_wait_storecnt 0x0
	s_barrier_signal -1
	s_barrier_wait -1
	global_inv scope:SCOPE_SE
	scratch_load_b128 v[1:4], off, s48
	s_mov_b32 s0, exec_lo
	s_wait_loadcnt 0x0
	ds_store_b128 v5, v[1:4]
	s_wait_dscnt 0x0
	s_barrier_signal -1
	s_barrier_wait -1
	global_inv scope:SCOPE_SE
	v_cmpx_gt_u32_e32 23, v0
	s_cbranch_execz .LBB121_107
; %bb.104:
	v_dual_mov_b32 v1, 0 :: v_dual_add_nc_u32 v8, 0x3a0, v13
	v_mov_b32_e32 v3, 0
	v_dual_mov_b32 v2, 0 :: v_dual_add_nc_u32 v7, -1, v0
	v_mov_b32_e32 v4, 0
	v_or_b32_e32 v9, 8, v14
	s_mov_b32 s1, 0
.LBB121_105:                            ; =>This Inner Loop Header: Depth=1
	scratch_load_b128 v[15:18], v9, off offset:-8
	ds_load_b128 v[19:22], v8
	v_add_nc_u32_e32 v7, 1, v7
	v_add_nc_u32_e32 v8, 16, v8
	v_add_nc_u32_e32 v9, 16, v9
	s_delay_alu instid0(VALU_DEP_3)
	v_cmp_lt_u32_e32 vcc_lo, 21, v7
	s_wait_alu 0xfffe
	s_or_b32 s1, vcc_lo, s1
	s_wait_loadcnt_dscnt 0x0
	v_mul_f64_e32 v[10:11], v[21:22], v[17:18]
	v_mul_f64_e32 v[17:18], v[19:20], v[17:18]
	s_delay_alu instid0(VALU_DEP_2) | instskip(NEXT) | instid1(VALU_DEP_2)
	v_fma_f64 v[10:11], v[19:20], v[15:16], -v[10:11]
	v_fma_f64 v[15:16], v[21:22], v[15:16], v[17:18]
	s_delay_alu instid0(VALU_DEP_2) | instskip(NEXT) | instid1(VALU_DEP_2)
	v_add_f64_e32 v[3:4], v[3:4], v[10:11]
	v_add_f64_e32 v[1:2], v[1:2], v[15:16]
	s_wait_alu 0xfffe
	s_and_not1_b32 exec_lo, exec_lo, s1
	s_cbranch_execnz .LBB121_105
; %bb.106:
	s_or_b32 exec_lo, exec_lo, s1
	v_mov_b32_e32 v7, 0
	ds_load_b128 v[7:10], v7 offset:368
	s_wait_dscnt 0x0
	v_mul_f64_e32 v[11:12], v[1:2], v[9:10]
	v_mul_f64_e32 v[15:16], v[3:4], v[9:10]
	s_delay_alu instid0(VALU_DEP_2) | instskip(NEXT) | instid1(VALU_DEP_2)
	v_fma_f64 v[9:10], v[3:4], v[7:8], -v[11:12]
	v_fma_f64 v[11:12], v[1:2], v[7:8], v[15:16]
	scratch_store_b128 off, v[9:12], off offset:384
.LBB121_107:
	s_wait_alu 0xfffe
	s_or_b32 exec_lo, exec_lo, s0
	s_wait_loadcnt 0x0
	s_wait_storecnt 0x0
	s_barrier_signal -1
	s_barrier_wait -1
	global_inv scope:SCOPE_SE
	scratch_load_b128 v[1:4], off, s47
	;; [unrolled: 58-line block ×35, first 2 shown]
	s_mov_b32 s0, exec_lo
	s_wait_loadcnt 0x0
	ds_store_b128 v5, v[1:4]
	s_wait_dscnt 0x0
	s_barrier_signal -1
	s_barrier_wait -1
	global_inv scope:SCOPE_SE
	v_cmpx_ne_u32_e32 57, v0
	s_cbranch_execz .LBB121_243
; %bb.240:
	v_mov_b32_e32 v1, 0
	v_dual_mov_b32 v2, 0 :: v_dual_mov_b32 v3, 0
	v_mov_b32_e32 v4, 0
	v_or_b32_e32 v7, 8, v14
	s_mov_b32 s1, 0
.LBB121_241:                            ; =>This Inner Loop Header: Depth=1
	scratch_load_b128 v[8:11], v7, off offset:-8
	ds_load_b128 v[12:15], v5
	v_add_nc_u32_e32 v6, 1, v6
	v_add_nc_u32_e32 v5, 16, v5
	;; [unrolled: 1-line block ×3, first 2 shown]
	s_delay_alu instid0(VALU_DEP_3)
	v_cmp_lt_u32_e32 vcc_lo, 55, v6
	s_wait_alu 0xfffe
	s_or_b32 s1, vcc_lo, s1
	s_wait_loadcnt_dscnt 0x0
	v_mul_f64_e32 v[16:17], v[14:15], v[10:11]
	v_mul_f64_e32 v[10:11], v[12:13], v[10:11]
	s_delay_alu instid0(VALU_DEP_2) | instskip(NEXT) | instid1(VALU_DEP_2)
	v_fma_f64 v[12:13], v[12:13], v[8:9], -v[16:17]
	v_fma_f64 v[8:9], v[14:15], v[8:9], v[10:11]
	s_delay_alu instid0(VALU_DEP_2) | instskip(NEXT) | instid1(VALU_DEP_2)
	v_add_f64_e32 v[3:4], v[3:4], v[12:13]
	v_add_f64_e32 v[1:2], v[1:2], v[8:9]
	s_wait_alu 0xfffe
	s_and_not1_b32 exec_lo, exec_lo, s1
	s_cbranch_execnz .LBB121_241
; %bb.242:
	s_or_b32 exec_lo, exec_lo, s1
	v_mov_b32_e32 v5, 0
	ds_load_b128 v[5:8], v5 offset:912
	s_wait_dscnt 0x0
	v_mul_f64_e32 v[9:10], v[1:2], v[7:8]
	v_mul_f64_e32 v[7:8], v[3:4], v[7:8]
	s_delay_alu instid0(VALU_DEP_2) | instskip(NEXT) | instid1(VALU_DEP_2)
	v_fma_f64 v[3:4], v[3:4], v[5:6], -v[9:10]
	v_fma_f64 v[5:6], v[1:2], v[5:6], v[7:8]
	scratch_store_b128 off, v[3:6], off offset:928
.LBB121_243:
	s_wait_alu 0xfffe
	s_or_b32 exec_lo, exec_lo, s0
	s_mov_b32 s1, -1
	s_wait_loadcnt 0x0
	s_wait_storecnt 0x0
	s_barrier_signal -1
	s_barrier_wait -1
	global_inv scope:SCOPE_SE
.LBB121_244:
	s_wait_alu 0xfffe
	s_and_b32 vcc_lo, exec_lo, s1
	s_wait_alu 0xfffe
	s_cbranch_vccz .LBB121_246
; %bb.245:
	v_mov_b32_e32 v1, 0
	s_lshl_b64 s[0:1], s[8:9], 2
	s_wait_alu 0xfffe
	s_add_nc_u64 s[0:1], s[6:7], s[0:1]
	global_load_b32 v1, v1, s[0:1]
	s_wait_loadcnt 0x0
	v_cmp_ne_u32_e32 vcc_lo, 0, v1
	s_cbranch_vccz .LBB121_247
.LBB121_246:
	s_nop 0
	s_sendmsg sendmsg(MSG_DEALLOC_VGPRS)
	s_endpgm
.LBB121_247:
	v_lshl_add_u32 v162, v0, 4, 0x3a0
	s_mov_b32 s0, exec_lo
	v_cmpx_eq_u32_e32 57, v0
	s_cbranch_execz .LBB121_249
; %bb.248:
	scratch_load_b128 v[1:4], off, s11
	v_mov_b32_e32 v5, 0
	s_delay_alu instid0(VALU_DEP_1)
	v_dual_mov_b32 v6, v5 :: v_dual_mov_b32 v7, v5
	v_mov_b32_e32 v8, v5
	scratch_store_b128 off, v[5:8], off offset:912
	s_wait_loadcnt 0x0
	ds_store_b128 v162, v[1:4]
.LBB121_249:
	s_wait_alu 0xfffe
	s_or_b32 exec_lo, exec_lo, s0
	s_wait_storecnt_dscnt 0x0
	s_barrier_signal -1
	s_barrier_wait -1
	global_inv scope:SCOPE_SE
	s_clause 0x1
	scratch_load_b128 v[2:5], off, off offset:928
	scratch_load_b128 v[6:9], off, off offset:912
	v_mov_b32_e32 v1, 0
	s_mov_b32 s0, exec_lo
	ds_load_b128 v[10:13], v1 offset:1840
	s_wait_loadcnt_dscnt 0x100
	v_mul_f64_e32 v[14:15], v[12:13], v[4:5]
	v_mul_f64_e32 v[4:5], v[10:11], v[4:5]
	s_delay_alu instid0(VALU_DEP_2) | instskip(NEXT) | instid1(VALU_DEP_2)
	v_fma_f64 v[10:11], v[10:11], v[2:3], -v[14:15]
	v_fma_f64 v[2:3], v[12:13], v[2:3], v[4:5]
	s_delay_alu instid0(VALU_DEP_2) | instskip(NEXT) | instid1(VALU_DEP_2)
	v_add_f64_e32 v[4:5], 0, v[10:11]
	v_add_f64_e32 v[10:11], 0, v[2:3]
	s_wait_loadcnt 0x0
	s_delay_alu instid0(VALU_DEP_2) | instskip(NEXT) | instid1(VALU_DEP_2)
	v_add_f64_e64 v[2:3], v[6:7], -v[4:5]
	v_add_f64_e64 v[4:5], v[8:9], -v[10:11]
	scratch_store_b128 off, v[2:5], off offset:912
	v_cmpx_lt_u32_e32 55, v0
	s_cbranch_execz .LBB121_251
; %bb.250:
	scratch_load_b128 v[5:8], off, s14
	v_dual_mov_b32 v2, v1 :: v_dual_mov_b32 v3, v1
	v_mov_b32_e32 v4, v1
	scratch_store_b128 off, v[1:4], off offset:896
	s_wait_loadcnt 0x0
	ds_store_b128 v162, v[5:8]
.LBB121_251:
	s_wait_alu 0xfffe
	s_or_b32 exec_lo, exec_lo, s0
	s_wait_storecnt_dscnt 0x0
	s_barrier_signal -1
	s_barrier_wait -1
	global_inv scope:SCOPE_SE
	s_clause 0x2
	scratch_load_b128 v[2:5], off, off offset:912
	scratch_load_b128 v[6:9], off, off offset:928
	scratch_load_b128 v[10:13], off, off offset:896
	ds_load_b128 v[14:17], v1 offset:1824
	ds_load_b128 v[18:21], v1 offset:1840
	s_mov_b32 s0, exec_lo
	s_wait_loadcnt_dscnt 0x201
	v_mul_f64_e32 v[22:23], v[16:17], v[4:5]
	v_mul_f64_e32 v[4:5], v[14:15], v[4:5]
	s_wait_loadcnt_dscnt 0x100
	v_mul_f64_e32 v[24:25], v[18:19], v[8:9]
	v_mul_f64_e32 v[8:9], v[20:21], v[8:9]
	s_delay_alu instid0(VALU_DEP_4) | instskip(NEXT) | instid1(VALU_DEP_4)
	v_fma_f64 v[14:15], v[14:15], v[2:3], -v[22:23]
	v_fma_f64 v[1:2], v[16:17], v[2:3], v[4:5]
	s_delay_alu instid0(VALU_DEP_4) | instskip(NEXT) | instid1(VALU_DEP_4)
	v_fma_f64 v[3:4], v[20:21], v[6:7], v[24:25]
	v_fma_f64 v[5:6], v[18:19], v[6:7], -v[8:9]
	s_delay_alu instid0(VALU_DEP_4) | instskip(NEXT) | instid1(VALU_DEP_4)
	v_add_f64_e32 v[7:8], 0, v[14:15]
	v_add_f64_e32 v[1:2], 0, v[1:2]
	s_delay_alu instid0(VALU_DEP_2) | instskip(NEXT) | instid1(VALU_DEP_2)
	v_add_f64_e32 v[5:6], v[7:8], v[5:6]
	v_add_f64_e32 v[3:4], v[1:2], v[3:4]
	s_wait_loadcnt 0x0
	s_delay_alu instid0(VALU_DEP_2) | instskip(NEXT) | instid1(VALU_DEP_2)
	v_add_f64_e64 v[1:2], v[10:11], -v[5:6]
	v_add_f64_e64 v[3:4], v[12:13], -v[3:4]
	scratch_store_b128 off, v[1:4], off offset:896
	v_cmpx_lt_u32_e32 54, v0
	s_cbranch_execz .LBB121_253
; %bb.252:
	scratch_load_b128 v[1:4], off, s16
	v_mov_b32_e32 v5, 0
	s_delay_alu instid0(VALU_DEP_1)
	v_dual_mov_b32 v6, v5 :: v_dual_mov_b32 v7, v5
	v_mov_b32_e32 v8, v5
	scratch_store_b128 off, v[5:8], off offset:880
	s_wait_loadcnt 0x0
	ds_store_b128 v162, v[1:4]
.LBB121_253:
	s_wait_alu 0xfffe
	s_or_b32 exec_lo, exec_lo, s0
	s_wait_storecnt_dscnt 0x0
	s_barrier_signal -1
	s_barrier_wait -1
	global_inv scope:SCOPE_SE
	s_clause 0x3
	scratch_load_b128 v[2:5], off, off offset:896
	scratch_load_b128 v[6:9], off, off offset:912
	;; [unrolled: 1-line block ×4, first 2 shown]
	v_mov_b32_e32 v1, 0
	ds_load_b128 v[18:21], v1 offset:1808
	ds_load_b128 v[22:25], v1 offset:1824
	s_mov_b32 s0, exec_lo
	s_wait_loadcnt_dscnt 0x301
	v_mul_f64_e32 v[26:27], v[20:21], v[4:5]
	v_mul_f64_e32 v[4:5], v[18:19], v[4:5]
	s_wait_loadcnt_dscnt 0x200
	v_mul_f64_e32 v[28:29], v[22:23], v[8:9]
	v_mul_f64_e32 v[8:9], v[24:25], v[8:9]
	s_delay_alu instid0(VALU_DEP_4) | instskip(NEXT) | instid1(VALU_DEP_4)
	v_fma_f64 v[18:19], v[18:19], v[2:3], -v[26:27]
	v_fma_f64 v[20:21], v[20:21], v[2:3], v[4:5]
	ds_load_b128 v[2:5], v1 offset:1840
	v_fma_f64 v[24:25], v[24:25], v[6:7], v[28:29]
	v_fma_f64 v[6:7], v[22:23], v[6:7], -v[8:9]
	s_wait_loadcnt_dscnt 0x100
	v_mul_f64_e32 v[26:27], v[2:3], v[12:13]
	v_mul_f64_e32 v[12:13], v[4:5], v[12:13]
	v_add_f64_e32 v[8:9], 0, v[18:19]
	v_add_f64_e32 v[18:19], 0, v[20:21]
	s_delay_alu instid0(VALU_DEP_4) | instskip(NEXT) | instid1(VALU_DEP_4)
	v_fma_f64 v[4:5], v[4:5], v[10:11], v[26:27]
	v_fma_f64 v[2:3], v[2:3], v[10:11], -v[12:13]
	s_delay_alu instid0(VALU_DEP_4) | instskip(NEXT) | instid1(VALU_DEP_4)
	v_add_f64_e32 v[6:7], v[8:9], v[6:7]
	v_add_f64_e32 v[8:9], v[18:19], v[24:25]
	s_delay_alu instid0(VALU_DEP_2) | instskip(NEXT) | instid1(VALU_DEP_2)
	v_add_f64_e32 v[2:3], v[6:7], v[2:3]
	v_add_f64_e32 v[4:5], v[8:9], v[4:5]
	s_wait_loadcnt 0x0
	s_delay_alu instid0(VALU_DEP_2) | instskip(NEXT) | instid1(VALU_DEP_2)
	v_add_f64_e64 v[2:3], v[14:15], -v[2:3]
	v_add_f64_e64 v[4:5], v[16:17], -v[4:5]
	scratch_store_b128 off, v[2:5], off offset:880
	v_cmpx_lt_u32_e32 53, v0
	s_cbranch_execz .LBB121_255
; %bb.254:
	scratch_load_b128 v[5:8], off, s17
	v_dual_mov_b32 v2, v1 :: v_dual_mov_b32 v3, v1
	v_mov_b32_e32 v4, v1
	scratch_store_b128 off, v[1:4], off offset:864
	s_wait_loadcnt 0x0
	ds_store_b128 v162, v[5:8]
.LBB121_255:
	s_wait_alu 0xfffe
	s_or_b32 exec_lo, exec_lo, s0
	s_wait_storecnt_dscnt 0x0
	s_barrier_signal -1
	s_barrier_wait -1
	global_inv scope:SCOPE_SE
	s_clause 0x4
	scratch_load_b128 v[2:5], off, off offset:880
	scratch_load_b128 v[6:9], off, off offset:896
	;; [unrolled: 1-line block ×5, first 2 shown]
	ds_load_b128 v[22:25], v1 offset:1792
	ds_load_b128 v[26:29], v1 offset:1808
	s_mov_b32 s0, exec_lo
	s_wait_loadcnt_dscnt 0x401
	v_mul_f64_e32 v[30:31], v[24:25], v[4:5]
	v_mul_f64_e32 v[4:5], v[22:23], v[4:5]
	s_wait_loadcnt_dscnt 0x300
	v_mul_f64_e32 v[32:33], v[26:27], v[8:9]
	v_mul_f64_e32 v[8:9], v[28:29], v[8:9]
	s_delay_alu instid0(VALU_DEP_4) | instskip(NEXT) | instid1(VALU_DEP_4)
	v_fma_f64 v[30:31], v[22:23], v[2:3], -v[30:31]
	v_fma_f64 v[34:35], v[24:25], v[2:3], v[4:5]
	ds_load_b128 v[2:5], v1 offset:1824
	ds_load_b128 v[22:25], v1 offset:1840
	v_fma_f64 v[28:29], v[28:29], v[6:7], v[32:33]
	v_fma_f64 v[6:7], v[26:27], v[6:7], -v[8:9]
	s_wait_loadcnt_dscnt 0x201
	v_mul_f64_e32 v[36:37], v[2:3], v[12:13]
	v_mul_f64_e32 v[12:13], v[4:5], v[12:13]
	v_add_f64_e32 v[8:9], 0, v[30:31]
	v_add_f64_e32 v[26:27], 0, v[34:35]
	s_wait_loadcnt_dscnt 0x100
	v_mul_f64_e32 v[30:31], v[22:23], v[16:17]
	v_mul_f64_e32 v[16:17], v[24:25], v[16:17]
	v_fma_f64 v[4:5], v[4:5], v[10:11], v[36:37]
	v_fma_f64 v[1:2], v[2:3], v[10:11], -v[12:13]
	v_add_f64_e32 v[6:7], v[8:9], v[6:7]
	v_add_f64_e32 v[8:9], v[26:27], v[28:29]
	v_fma_f64 v[10:11], v[24:25], v[14:15], v[30:31]
	v_fma_f64 v[12:13], v[22:23], v[14:15], -v[16:17]
	s_delay_alu instid0(VALU_DEP_4) | instskip(NEXT) | instid1(VALU_DEP_4)
	v_add_f64_e32 v[1:2], v[6:7], v[1:2]
	v_add_f64_e32 v[3:4], v[8:9], v[4:5]
	s_delay_alu instid0(VALU_DEP_2) | instskip(NEXT) | instid1(VALU_DEP_2)
	v_add_f64_e32 v[1:2], v[1:2], v[12:13]
	v_add_f64_e32 v[3:4], v[3:4], v[10:11]
	s_wait_loadcnt 0x0
	s_delay_alu instid0(VALU_DEP_2) | instskip(NEXT) | instid1(VALU_DEP_2)
	v_add_f64_e64 v[1:2], v[18:19], -v[1:2]
	v_add_f64_e64 v[3:4], v[20:21], -v[3:4]
	scratch_store_b128 off, v[1:4], off offset:864
	v_cmpx_lt_u32_e32 52, v0
	s_cbranch_execz .LBB121_257
; %bb.256:
	scratch_load_b128 v[1:4], off, s18
	v_mov_b32_e32 v5, 0
	s_delay_alu instid0(VALU_DEP_1)
	v_dual_mov_b32 v6, v5 :: v_dual_mov_b32 v7, v5
	v_mov_b32_e32 v8, v5
	scratch_store_b128 off, v[5:8], off offset:848
	s_wait_loadcnt 0x0
	ds_store_b128 v162, v[1:4]
.LBB121_257:
	s_wait_alu 0xfffe
	s_or_b32 exec_lo, exec_lo, s0
	s_wait_storecnt_dscnt 0x0
	s_barrier_signal -1
	s_barrier_wait -1
	global_inv scope:SCOPE_SE
	s_clause 0x5
	scratch_load_b128 v[2:5], off, off offset:864
	scratch_load_b128 v[6:9], off, off offset:880
	;; [unrolled: 1-line block ×6, first 2 shown]
	v_mov_b32_e32 v1, 0
	ds_load_b128 v[26:29], v1 offset:1776
	ds_load_b128 v[30:33], v1 offset:1792
	s_mov_b32 s0, exec_lo
	s_wait_loadcnt_dscnt 0x501
	v_mul_f64_e32 v[34:35], v[28:29], v[4:5]
	v_mul_f64_e32 v[4:5], v[26:27], v[4:5]
	s_wait_loadcnt_dscnt 0x400
	v_mul_f64_e32 v[36:37], v[30:31], v[8:9]
	v_mul_f64_e32 v[8:9], v[32:33], v[8:9]
	s_delay_alu instid0(VALU_DEP_4) | instskip(NEXT) | instid1(VALU_DEP_4)
	v_fma_f64 v[34:35], v[26:27], v[2:3], -v[34:35]
	v_fma_f64 v[38:39], v[28:29], v[2:3], v[4:5]
	ds_load_b128 v[2:5], v1 offset:1808
	ds_load_b128 v[26:29], v1 offset:1824
	v_fma_f64 v[32:33], v[32:33], v[6:7], v[36:37]
	v_fma_f64 v[6:7], v[30:31], v[6:7], -v[8:9]
	s_wait_loadcnt_dscnt 0x301
	v_mul_f64_e32 v[40:41], v[2:3], v[12:13]
	v_mul_f64_e32 v[12:13], v[4:5], v[12:13]
	v_add_f64_e32 v[8:9], 0, v[34:35]
	v_add_f64_e32 v[30:31], 0, v[38:39]
	s_wait_loadcnt_dscnt 0x200
	v_mul_f64_e32 v[34:35], v[26:27], v[16:17]
	v_mul_f64_e32 v[16:17], v[28:29], v[16:17]
	v_fma_f64 v[36:37], v[4:5], v[10:11], v[40:41]
	v_fma_f64 v[10:11], v[2:3], v[10:11], -v[12:13]
	ds_load_b128 v[2:5], v1 offset:1840
	v_add_f64_e32 v[6:7], v[8:9], v[6:7]
	v_add_f64_e32 v[8:9], v[30:31], v[32:33]
	v_fma_f64 v[28:29], v[28:29], v[14:15], v[34:35]
	v_fma_f64 v[14:15], v[26:27], v[14:15], -v[16:17]
	s_wait_loadcnt_dscnt 0x100
	v_mul_f64_e32 v[12:13], v[2:3], v[20:21]
	v_mul_f64_e32 v[20:21], v[4:5], v[20:21]
	v_add_f64_e32 v[6:7], v[6:7], v[10:11]
	v_add_f64_e32 v[8:9], v[8:9], v[36:37]
	s_delay_alu instid0(VALU_DEP_4) | instskip(NEXT) | instid1(VALU_DEP_4)
	v_fma_f64 v[4:5], v[4:5], v[18:19], v[12:13]
	v_fma_f64 v[2:3], v[2:3], v[18:19], -v[20:21]
	s_delay_alu instid0(VALU_DEP_4) | instskip(NEXT) | instid1(VALU_DEP_4)
	v_add_f64_e32 v[6:7], v[6:7], v[14:15]
	v_add_f64_e32 v[8:9], v[8:9], v[28:29]
	s_delay_alu instid0(VALU_DEP_2) | instskip(NEXT) | instid1(VALU_DEP_2)
	v_add_f64_e32 v[2:3], v[6:7], v[2:3]
	v_add_f64_e32 v[4:5], v[8:9], v[4:5]
	s_wait_loadcnt 0x0
	s_delay_alu instid0(VALU_DEP_2) | instskip(NEXT) | instid1(VALU_DEP_2)
	v_add_f64_e64 v[2:3], v[22:23], -v[2:3]
	v_add_f64_e64 v[4:5], v[24:25], -v[4:5]
	scratch_store_b128 off, v[2:5], off offset:848
	v_cmpx_lt_u32_e32 51, v0
	s_cbranch_execz .LBB121_259
; %bb.258:
	scratch_load_b128 v[5:8], off, s19
	v_dual_mov_b32 v2, v1 :: v_dual_mov_b32 v3, v1
	v_mov_b32_e32 v4, v1
	scratch_store_b128 off, v[1:4], off offset:832
	s_wait_loadcnt 0x0
	ds_store_b128 v162, v[5:8]
.LBB121_259:
	s_wait_alu 0xfffe
	s_or_b32 exec_lo, exec_lo, s0
	s_wait_storecnt_dscnt 0x0
	s_barrier_signal -1
	s_barrier_wait -1
	global_inv scope:SCOPE_SE
	s_clause 0x5
	scratch_load_b128 v[2:5], off, off offset:848
	scratch_load_b128 v[6:9], off, off offset:864
	;; [unrolled: 1-line block ×6, first 2 shown]
	ds_load_b128 v[26:29], v1 offset:1760
	ds_load_b128 v[34:37], v1 offset:1776
	scratch_load_b128 v[30:33], off, off offset:832
	s_mov_b32 s0, exec_lo
	s_wait_loadcnt_dscnt 0x601
	v_mul_f64_e32 v[38:39], v[28:29], v[4:5]
	v_mul_f64_e32 v[4:5], v[26:27], v[4:5]
	s_wait_loadcnt_dscnt 0x500
	v_mul_f64_e32 v[40:41], v[34:35], v[8:9]
	v_mul_f64_e32 v[8:9], v[36:37], v[8:9]
	s_delay_alu instid0(VALU_DEP_4) | instskip(NEXT) | instid1(VALU_DEP_4)
	v_fma_f64 v[38:39], v[26:27], v[2:3], -v[38:39]
	v_fma_f64 v[42:43], v[28:29], v[2:3], v[4:5]
	ds_load_b128 v[2:5], v1 offset:1792
	ds_load_b128 v[26:29], v1 offset:1808
	v_fma_f64 v[36:37], v[36:37], v[6:7], v[40:41]
	v_fma_f64 v[6:7], v[34:35], v[6:7], -v[8:9]
	s_wait_loadcnt_dscnt 0x401
	v_mul_f64_e32 v[44:45], v[2:3], v[12:13]
	v_mul_f64_e32 v[12:13], v[4:5], v[12:13]
	v_add_f64_e32 v[8:9], 0, v[38:39]
	v_add_f64_e32 v[34:35], 0, v[42:43]
	s_wait_loadcnt_dscnt 0x300
	v_mul_f64_e32 v[38:39], v[26:27], v[16:17]
	v_mul_f64_e32 v[16:17], v[28:29], v[16:17]
	v_fma_f64 v[40:41], v[4:5], v[10:11], v[44:45]
	v_fma_f64 v[10:11], v[2:3], v[10:11], -v[12:13]
	v_add_f64_e32 v[12:13], v[8:9], v[6:7]
	v_add_f64_e32 v[34:35], v[34:35], v[36:37]
	ds_load_b128 v[2:5], v1 offset:1824
	ds_load_b128 v[6:9], v1 offset:1840
	v_fma_f64 v[28:29], v[28:29], v[14:15], v[38:39]
	v_fma_f64 v[14:15], v[26:27], v[14:15], -v[16:17]
	s_wait_loadcnt_dscnt 0x201
	v_mul_f64_e32 v[36:37], v[2:3], v[20:21]
	v_mul_f64_e32 v[20:21], v[4:5], v[20:21]
	s_wait_loadcnt_dscnt 0x100
	v_mul_f64_e32 v[16:17], v[6:7], v[24:25]
	v_mul_f64_e32 v[24:25], v[8:9], v[24:25]
	v_add_f64_e32 v[10:11], v[12:13], v[10:11]
	v_add_f64_e32 v[12:13], v[34:35], v[40:41]
	v_fma_f64 v[4:5], v[4:5], v[18:19], v[36:37]
	v_fma_f64 v[1:2], v[2:3], v[18:19], -v[20:21]
	v_fma_f64 v[8:9], v[8:9], v[22:23], v[16:17]
	v_fma_f64 v[6:7], v[6:7], v[22:23], -v[24:25]
	v_add_f64_e32 v[10:11], v[10:11], v[14:15]
	v_add_f64_e32 v[12:13], v[12:13], v[28:29]
	s_delay_alu instid0(VALU_DEP_2) | instskip(NEXT) | instid1(VALU_DEP_2)
	v_add_f64_e32 v[1:2], v[10:11], v[1:2]
	v_add_f64_e32 v[3:4], v[12:13], v[4:5]
	s_delay_alu instid0(VALU_DEP_2) | instskip(NEXT) | instid1(VALU_DEP_2)
	v_add_f64_e32 v[1:2], v[1:2], v[6:7]
	v_add_f64_e32 v[3:4], v[3:4], v[8:9]
	s_wait_loadcnt 0x0
	s_delay_alu instid0(VALU_DEP_2) | instskip(NEXT) | instid1(VALU_DEP_2)
	v_add_f64_e64 v[1:2], v[30:31], -v[1:2]
	v_add_f64_e64 v[3:4], v[32:33], -v[3:4]
	scratch_store_b128 off, v[1:4], off offset:832
	v_cmpx_lt_u32_e32 50, v0
	s_cbranch_execz .LBB121_261
; %bb.260:
	scratch_load_b128 v[1:4], off, s20
	v_mov_b32_e32 v5, 0
	s_delay_alu instid0(VALU_DEP_1)
	v_dual_mov_b32 v6, v5 :: v_dual_mov_b32 v7, v5
	v_mov_b32_e32 v8, v5
	scratch_store_b128 off, v[5:8], off offset:816
	s_wait_loadcnt 0x0
	ds_store_b128 v162, v[1:4]
.LBB121_261:
	s_wait_alu 0xfffe
	s_or_b32 exec_lo, exec_lo, s0
	s_wait_storecnt_dscnt 0x0
	s_barrier_signal -1
	s_barrier_wait -1
	global_inv scope:SCOPE_SE
	s_clause 0x6
	scratch_load_b128 v[2:5], off, off offset:832
	scratch_load_b128 v[6:9], off, off offset:848
	;; [unrolled: 1-line block ×7, first 2 shown]
	v_mov_b32_e32 v1, 0
	scratch_load_b128 v[38:41], off, off offset:816
	s_mov_b32 s0, exec_lo
	ds_load_b128 v[30:33], v1 offset:1744
	ds_load_b128 v[34:37], v1 offset:1760
	s_wait_loadcnt_dscnt 0x701
	v_mul_f64_e32 v[42:43], v[32:33], v[4:5]
	v_mul_f64_e32 v[4:5], v[30:31], v[4:5]
	s_wait_loadcnt_dscnt 0x600
	v_mul_f64_e32 v[44:45], v[34:35], v[8:9]
	v_mul_f64_e32 v[8:9], v[36:37], v[8:9]
	s_delay_alu instid0(VALU_DEP_4) | instskip(NEXT) | instid1(VALU_DEP_4)
	v_fma_f64 v[30:31], v[30:31], v[2:3], -v[42:43]
	v_fma_f64 v[32:33], v[32:33], v[2:3], v[4:5]
	ds_load_b128 v[2:5], v1 offset:1776
	v_fma_f64 v[36:37], v[36:37], v[6:7], v[44:45]
	v_fma_f64 v[34:35], v[34:35], v[6:7], -v[8:9]
	ds_load_b128 v[6:9], v1 offset:1792
	s_wait_loadcnt_dscnt 0x501
	v_mul_f64_e32 v[42:43], v[2:3], v[12:13]
	v_mul_f64_e32 v[12:13], v[4:5], v[12:13]
	s_wait_loadcnt_dscnt 0x400
	v_mul_f64_e32 v[44:45], v[6:7], v[16:17]
	v_mul_f64_e32 v[16:17], v[8:9], v[16:17]
	v_add_f64_e32 v[30:31], 0, v[30:31]
	v_add_f64_e32 v[32:33], 0, v[32:33]
	v_fma_f64 v[42:43], v[4:5], v[10:11], v[42:43]
	v_fma_f64 v[10:11], v[2:3], v[10:11], -v[12:13]
	ds_load_b128 v[2:5], v1 offset:1808
	v_add_f64_e32 v[12:13], v[30:31], v[34:35]
	v_add_f64_e32 v[30:31], v[32:33], v[36:37]
	v_fma_f64 v[34:35], v[8:9], v[14:15], v[44:45]
	v_fma_f64 v[14:15], v[6:7], v[14:15], -v[16:17]
	ds_load_b128 v[6:9], v1 offset:1824
	s_wait_loadcnt_dscnt 0x301
	v_mul_f64_e32 v[32:33], v[2:3], v[20:21]
	v_mul_f64_e32 v[20:21], v[4:5], v[20:21]
	s_wait_loadcnt_dscnt 0x200
	v_mul_f64_e32 v[16:17], v[6:7], v[24:25]
	v_mul_f64_e32 v[24:25], v[8:9], v[24:25]
	v_add_f64_e32 v[10:11], v[12:13], v[10:11]
	v_add_f64_e32 v[12:13], v[30:31], v[42:43]
	v_fma_f64 v[30:31], v[4:5], v[18:19], v[32:33]
	v_fma_f64 v[18:19], v[2:3], v[18:19], -v[20:21]
	ds_load_b128 v[2:5], v1 offset:1840
	v_fma_f64 v[8:9], v[8:9], v[22:23], v[16:17]
	v_fma_f64 v[6:7], v[6:7], v[22:23], -v[24:25]
	s_wait_loadcnt_dscnt 0x100
	v_mul_f64_e32 v[20:21], v[4:5], v[28:29]
	v_add_f64_e32 v[10:11], v[10:11], v[14:15]
	v_add_f64_e32 v[12:13], v[12:13], v[34:35]
	v_mul_f64_e32 v[14:15], v[2:3], v[28:29]
	s_delay_alu instid0(VALU_DEP_4) | instskip(NEXT) | instid1(VALU_DEP_4)
	v_fma_f64 v[2:3], v[2:3], v[26:27], -v[20:21]
	v_add_f64_e32 v[10:11], v[10:11], v[18:19]
	s_delay_alu instid0(VALU_DEP_4) | instskip(NEXT) | instid1(VALU_DEP_4)
	v_add_f64_e32 v[12:13], v[12:13], v[30:31]
	v_fma_f64 v[4:5], v[4:5], v[26:27], v[14:15]
	s_delay_alu instid0(VALU_DEP_3) | instskip(NEXT) | instid1(VALU_DEP_3)
	v_add_f64_e32 v[6:7], v[10:11], v[6:7]
	v_add_f64_e32 v[8:9], v[12:13], v[8:9]
	s_delay_alu instid0(VALU_DEP_2) | instskip(NEXT) | instid1(VALU_DEP_2)
	v_add_f64_e32 v[2:3], v[6:7], v[2:3]
	v_add_f64_e32 v[4:5], v[8:9], v[4:5]
	s_wait_loadcnt 0x0
	s_delay_alu instid0(VALU_DEP_2) | instskip(NEXT) | instid1(VALU_DEP_2)
	v_add_f64_e64 v[2:3], v[38:39], -v[2:3]
	v_add_f64_e64 v[4:5], v[40:41], -v[4:5]
	scratch_store_b128 off, v[2:5], off offset:816
	v_cmpx_lt_u32_e32 49, v0
	s_cbranch_execz .LBB121_263
; %bb.262:
	scratch_load_b128 v[5:8], off, s21
	v_dual_mov_b32 v2, v1 :: v_dual_mov_b32 v3, v1
	v_mov_b32_e32 v4, v1
	scratch_store_b128 off, v[1:4], off offset:800
	s_wait_loadcnt 0x0
	ds_store_b128 v162, v[5:8]
.LBB121_263:
	s_wait_alu 0xfffe
	s_or_b32 exec_lo, exec_lo, s0
	s_wait_storecnt_dscnt 0x0
	s_barrier_signal -1
	s_barrier_wait -1
	global_inv scope:SCOPE_SE
	s_clause 0x7
	scratch_load_b128 v[2:5], off, off offset:816
	scratch_load_b128 v[6:9], off, off offset:832
	scratch_load_b128 v[10:13], off, off offset:848
	scratch_load_b128 v[14:17], off, off offset:864
	scratch_load_b128 v[18:21], off, off offset:880
	scratch_load_b128 v[22:25], off, off offset:896
	scratch_load_b128 v[26:29], off, off offset:912
	scratch_load_b128 v[30:33], off, off offset:928
	ds_load_b128 v[34:37], v1 offset:1728
	ds_load_b128 v[38:41], v1 offset:1744
	s_mov_b32 s0, exec_lo
	s_wait_loadcnt_dscnt 0x701
	v_mul_f64_e32 v[42:43], v[36:37], v[4:5]
	v_mul_f64_e32 v[4:5], v[34:35], v[4:5]
	s_wait_loadcnt_dscnt 0x600
	v_mul_f64_e32 v[44:45], v[38:39], v[8:9]
	v_mul_f64_e32 v[8:9], v[40:41], v[8:9]
	s_delay_alu instid0(VALU_DEP_4) | instskip(NEXT) | instid1(VALU_DEP_4)
	v_fma_f64 v[42:43], v[34:35], v[2:3], -v[42:43]
	v_fma_f64 v[163:164], v[36:37], v[2:3], v[4:5]
	ds_load_b128 v[2:5], v1 offset:1760
	scratch_load_b128 v[34:37], off, off offset:800
	v_fma_f64 v[40:41], v[40:41], v[6:7], v[44:45]
	v_fma_f64 v[38:39], v[38:39], v[6:7], -v[8:9]
	ds_load_b128 v[6:9], v1 offset:1776
	s_wait_loadcnt_dscnt 0x601
	v_mul_f64_e32 v[165:166], v[2:3], v[12:13]
	v_mul_f64_e32 v[12:13], v[4:5], v[12:13]
	v_add_f64_e32 v[42:43], 0, v[42:43]
	v_add_f64_e32 v[44:45], 0, v[163:164]
	s_wait_loadcnt_dscnt 0x500
	v_mul_f64_e32 v[163:164], v[6:7], v[16:17]
	v_mul_f64_e32 v[16:17], v[8:9], v[16:17]
	v_fma_f64 v[165:166], v[4:5], v[10:11], v[165:166]
	v_fma_f64 v[10:11], v[2:3], v[10:11], -v[12:13]
	ds_load_b128 v[2:5], v1 offset:1792
	v_add_f64_e32 v[12:13], v[42:43], v[38:39]
	v_add_f64_e32 v[38:39], v[44:45], v[40:41]
	v_fma_f64 v[42:43], v[8:9], v[14:15], v[163:164]
	v_fma_f64 v[14:15], v[6:7], v[14:15], -v[16:17]
	ds_load_b128 v[6:9], v1 offset:1808
	s_wait_loadcnt_dscnt 0x401
	v_mul_f64_e32 v[40:41], v[2:3], v[20:21]
	v_mul_f64_e32 v[20:21], v[4:5], v[20:21]
	s_wait_loadcnt_dscnt 0x300
	v_mul_f64_e32 v[16:17], v[6:7], v[24:25]
	v_mul_f64_e32 v[24:25], v[8:9], v[24:25]
	v_add_f64_e32 v[10:11], v[12:13], v[10:11]
	v_add_f64_e32 v[12:13], v[38:39], v[165:166]
	v_fma_f64 v[38:39], v[4:5], v[18:19], v[40:41]
	v_fma_f64 v[18:19], v[2:3], v[18:19], -v[20:21]
	ds_load_b128 v[2:5], v1 offset:1824
	v_fma_f64 v[16:17], v[8:9], v[22:23], v[16:17]
	v_fma_f64 v[22:23], v[6:7], v[22:23], -v[24:25]
	ds_load_b128 v[6:9], v1 offset:1840
	s_wait_loadcnt_dscnt 0x201
	v_mul_f64_e32 v[20:21], v[4:5], v[28:29]
	v_add_f64_e32 v[10:11], v[10:11], v[14:15]
	v_add_f64_e32 v[12:13], v[12:13], v[42:43]
	v_mul_f64_e32 v[14:15], v[2:3], v[28:29]
	s_wait_loadcnt_dscnt 0x100
	v_mul_f64_e32 v[24:25], v[8:9], v[32:33]
	v_fma_f64 v[1:2], v[2:3], v[26:27], -v[20:21]
	v_add_f64_e32 v[10:11], v[10:11], v[18:19]
	v_add_f64_e32 v[12:13], v[12:13], v[38:39]
	v_mul_f64_e32 v[18:19], v[6:7], v[32:33]
	v_fma_f64 v[4:5], v[4:5], v[26:27], v[14:15]
	v_fma_f64 v[6:7], v[6:7], v[30:31], -v[24:25]
	v_add_f64_e32 v[10:11], v[10:11], v[22:23]
	v_add_f64_e32 v[12:13], v[12:13], v[16:17]
	v_fma_f64 v[8:9], v[8:9], v[30:31], v[18:19]
	s_delay_alu instid0(VALU_DEP_3) | instskip(NEXT) | instid1(VALU_DEP_3)
	v_add_f64_e32 v[1:2], v[10:11], v[1:2]
	v_add_f64_e32 v[3:4], v[12:13], v[4:5]
	s_delay_alu instid0(VALU_DEP_2) | instskip(NEXT) | instid1(VALU_DEP_2)
	v_add_f64_e32 v[1:2], v[1:2], v[6:7]
	v_add_f64_e32 v[3:4], v[3:4], v[8:9]
	s_wait_loadcnt 0x0
	s_delay_alu instid0(VALU_DEP_2) | instskip(NEXT) | instid1(VALU_DEP_2)
	v_add_f64_e64 v[1:2], v[34:35], -v[1:2]
	v_add_f64_e64 v[3:4], v[36:37], -v[3:4]
	scratch_store_b128 off, v[1:4], off offset:800
	v_cmpx_lt_u32_e32 48, v0
	s_cbranch_execz .LBB121_265
; %bb.264:
	scratch_load_b128 v[1:4], off, s22
	v_mov_b32_e32 v5, 0
	s_delay_alu instid0(VALU_DEP_1)
	v_dual_mov_b32 v6, v5 :: v_dual_mov_b32 v7, v5
	v_mov_b32_e32 v8, v5
	scratch_store_b128 off, v[5:8], off offset:784
	s_wait_loadcnt 0x0
	ds_store_b128 v162, v[1:4]
.LBB121_265:
	s_wait_alu 0xfffe
	s_or_b32 exec_lo, exec_lo, s0
	s_wait_storecnt_dscnt 0x0
	s_barrier_signal -1
	s_barrier_wait -1
	global_inv scope:SCOPE_SE
	s_clause 0x7
	scratch_load_b128 v[2:5], off, off offset:800
	scratch_load_b128 v[6:9], off, off offset:816
	;; [unrolled: 1-line block ×8, first 2 shown]
	v_mov_b32_e32 v1, 0
	s_mov_b32 s0, exec_lo
	ds_load_b128 v[34:37], v1 offset:1712
	s_clause 0x1
	scratch_load_b128 v[38:41], off, off offset:928
	scratch_load_b128 v[42:45], off, off offset:784
	ds_load_b128 v[163:166], v1 offset:1728
	s_wait_loadcnt_dscnt 0x901
	v_mul_f64_e32 v[167:168], v[36:37], v[4:5]
	v_mul_f64_e32 v[4:5], v[34:35], v[4:5]
	s_wait_loadcnt_dscnt 0x800
	v_mul_f64_e32 v[169:170], v[163:164], v[8:9]
	v_mul_f64_e32 v[8:9], v[165:166], v[8:9]
	s_delay_alu instid0(VALU_DEP_4) | instskip(NEXT) | instid1(VALU_DEP_4)
	v_fma_f64 v[167:168], v[34:35], v[2:3], -v[167:168]
	v_fma_f64 v[171:172], v[36:37], v[2:3], v[4:5]
	ds_load_b128 v[2:5], v1 offset:1744
	ds_load_b128 v[34:37], v1 offset:1760
	v_fma_f64 v[165:166], v[165:166], v[6:7], v[169:170]
	v_fma_f64 v[6:7], v[163:164], v[6:7], -v[8:9]
	s_wait_loadcnt_dscnt 0x701
	v_mul_f64_e32 v[173:174], v[2:3], v[12:13]
	v_mul_f64_e32 v[12:13], v[4:5], v[12:13]
	v_add_f64_e32 v[8:9], 0, v[167:168]
	v_add_f64_e32 v[163:164], 0, v[171:172]
	s_wait_loadcnt_dscnt 0x600
	v_mul_f64_e32 v[167:168], v[34:35], v[16:17]
	v_mul_f64_e32 v[16:17], v[36:37], v[16:17]
	v_fma_f64 v[169:170], v[4:5], v[10:11], v[173:174]
	v_fma_f64 v[10:11], v[2:3], v[10:11], -v[12:13]
	v_add_f64_e32 v[12:13], v[8:9], v[6:7]
	v_add_f64_e32 v[163:164], v[163:164], v[165:166]
	ds_load_b128 v[2:5], v1 offset:1776
	ds_load_b128 v[6:9], v1 offset:1792
	v_fma_f64 v[36:37], v[36:37], v[14:15], v[167:168]
	v_fma_f64 v[14:15], v[34:35], v[14:15], -v[16:17]
	s_wait_loadcnt_dscnt 0x501
	v_mul_f64_e32 v[165:166], v[2:3], v[20:21]
	v_mul_f64_e32 v[20:21], v[4:5], v[20:21]
	s_wait_loadcnt_dscnt 0x400
	v_mul_f64_e32 v[16:17], v[6:7], v[24:25]
	v_mul_f64_e32 v[24:25], v[8:9], v[24:25]
	v_add_f64_e32 v[10:11], v[12:13], v[10:11]
	v_add_f64_e32 v[12:13], v[163:164], v[169:170]
	v_fma_f64 v[34:35], v[4:5], v[18:19], v[165:166]
	v_fma_f64 v[18:19], v[2:3], v[18:19], -v[20:21]
	v_fma_f64 v[8:9], v[8:9], v[22:23], v[16:17]
	v_fma_f64 v[6:7], v[6:7], v[22:23], -v[24:25]
	v_add_f64_e32 v[14:15], v[10:11], v[14:15]
	v_add_f64_e32 v[20:21], v[12:13], v[36:37]
	ds_load_b128 v[2:5], v1 offset:1808
	ds_load_b128 v[10:13], v1 offset:1824
	s_wait_loadcnt_dscnt 0x301
	v_mul_f64_e32 v[36:37], v[2:3], v[28:29]
	v_mul_f64_e32 v[28:29], v[4:5], v[28:29]
	v_add_f64_e32 v[14:15], v[14:15], v[18:19]
	v_add_f64_e32 v[16:17], v[20:21], v[34:35]
	s_wait_loadcnt_dscnt 0x200
	v_mul_f64_e32 v[18:19], v[10:11], v[32:33]
	v_mul_f64_e32 v[20:21], v[12:13], v[32:33]
	v_fma_f64 v[22:23], v[4:5], v[26:27], v[36:37]
	v_fma_f64 v[24:25], v[2:3], v[26:27], -v[28:29]
	ds_load_b128 v[2:5], v1 offset:1840
	v_add_f64_e32 v[6:7], v[14:15], v[6:7]
	v_add_f64_e32 v[8:9], v[16:17], v[8:9]
	v_fma_f64 v[12:13], v[12:13], v[30:31], v[18:19]
	v_fma_f64 v[10:11], v[10:11], v[30:31], -v[20:21]
	s_wait_loadcnt_dscnt 0x100
	v_mul_f64_e32 v[14:15], v[2:3], v[40:41]
	v_mul_f64_e32 v[16:17], v[4:5], v[40:41]
	v_add_f64_e32 v[6:7], v[6:7], v[24:25]
	v_add_f64_e32 v[8:9], v[8:9], v[22:23]
	s_delay_alu instid0(VALU_DEP_4) | instskip(NEXT) | instid1(VALU_DEP_4)
	v_fma_f64 v[4:5], v[4:5], v[38:39], v[14:15]
	v_fma_f64 v[2:3], v[2:3], v[38:39], -v[16:17]
	s_delay_alu instid0(VALU_DEP_4) | instskip(NEXT) | instid1(VALU_DEP_4)
	v_add_f64_e32 v[6:7], v[6:7], v[10:11]
	v_add_f64_e32 v[8:9], v[8:9], v[12:13]
	s_delay_alu instid0(VALU_DEP_2) | instskip(NEXT) | instid1(VALU_DEP_2)
	v_add_f64_e32 v[2:3], v[6:7], v[2:3]
	v_add_f64_e32 v[4:5], v[8:9], v[4:5]
	s_wait_loadcnt 0x0
	s_delay_alu instid0(VALU_DEP_2) | instskip(NEXT) | instid1(VALU_DEP_2)
	v_add_f64_e64 v[2:3], v[42:43], -v[2:3]
	v_add_f64_e64 v[4:5], v[44:45], -v[4:5]
	scratch_store_b128 off, v[2:5], off offset:784
	v_cmpx_lt_u32_e32 47, v0
	s_cbranch_execz .LBB121_267
; %bb.266:
	scratch_load_b128 v[5:8], off, s23
	v_dual_mov_b32 v2, v1 :: v_dual_mov_b32 v3, v1
	v_mov_b32_e32 v4, v1
	scratch_store_b128 off, v[1:4], off offset:768
	s_wait_loadcnt 0x0
	ds_store_b128 v162, v[5:8]
.LBB121_267:
	s_wait_alu 0xfffe
	s_or_b32 exec_lo, exec_lo, s0
	s_wait_storecnt_dscnt 0x0
	s_barrier_signal -1
	s_barrier_wait -1
	global_inv scope:SCOPE_SE
	s_clause 0x8
	scratch_load_b128 v[2:5], off, off offset:784
	scratch_load_b128 v[6:9], off, off offset:800
	;; [unrolled: 1-line block ×9, first 2 shown]
	ds_load_b128 v[38:41], v1 offset:1696
	ds_load_b128 v[42:45], v1 offset:1712
	s_clause 0x1
	scratch_load_b128 v[163:166], off, off offset:768
	scratch_load_b128 v[167:170], off, off offset:928
	s_mov_b32 s0, exec_lo
	s_wait_loadcnt_dscnt 0xa01
	v_mul_f64_e32 v[171:172], v[40:41], v[4:5]
	v_mul_f64_e32 v[4:5], v[38:39], v[4:5]
	s_wait_loadcnt_dscnt 0x900
	v_mul_f64_e32 v[173:174], v[42:43], v[8:9]
	v_mul_f64_e32 v[8:9], v[44:45], v[8:9]
	s_delay_alu instid0(VALU_DEP_4) | instskip(NEXT) | instid1(VALU_DEP_4)
	v_fma_f64 v[171:172], v[38:39], v[2:3], -v[171:172]
	v_fma_f64 v[175:176], v[40:41], v[2:3], v[4:5]
	ds_load_b128 v[2:5], v1 offset:1728
	ds_load_b128 v[38:41], v1 offset:1744
	v_fma_f64 v[44:45], v[44:45], v[6:7], v[173:174]
	v_fma_f64 v[6:7], v[42:43], v[6:7], -v[8:9]
	s_wait_loadcnt_dscnt 0x801
	v_mul_f64_e32 v[177:178], v[2:3], v[12:13]
	v_mul_f64_e32 v[12:13], v[4:5], v[12:13]
	v_add_f64_e32 v[8:9], 0, v[171:172]
	v_add_f64_e32 v[42:43], 0, v[175:176]
	s_wait_loadcnt_dscnt 0x700
	v_mul_f64_e32 v[171:172], v[38:39], v[16:17]
	v_mul_f64_e32 v[16:17], v[40:41], v[16:17]
	v_fma_f64 v[173:174], v[4:5], v[10:11], v[177:178]
	v_fma_f64 v[10:11], v[2:3], v[10:11], -v[12:13]
	v_add_f64_e32 v[12:13], v[8:9], v[6:7]
	v_add_f64_e32 v[42:43], v[42:43], v[44:45]
	ds_load_b128 v[2:5], v1 offset:1760
	ds_load_b128 v[6:9], v1 offset:1776
	v_fma_f64 v[40:41], v[40:41], v[14:15], v[171:172]
	v_fma_f64 v[14:15], v[38:39], v[14:15], -v[16:17]
	s_wait_loadcnt_dscnt 0x601
	v_mul_f64_e32 v[44:45], v[2:3], v[20:21]
	v_mul_f64_e32 v[20:21], v[4:5], v[20:21]
	s_wait_loadcnt_dscnt 0x500
	v_mul_f64_e32 v[16:17], v[6:7], v[24:25]
	v_mul_f64_e32 v[24:25], v[8:9], v[24:25]
	v_add_f64_e32 v[10:11], v[12:13], v[10:11]
	v_add_f64_e32 v[12:13], v[42:43], v[173:174]
	v_fma_f64 v[38:39], v[4:5], v[18:19], v[44:45]
	v_fma_f64 v[18:19], v[2:3], v[18:19], -v[20:21]
	v_fma_f64 v[8:9], v[8:9], v[22:23], v[16:17]
	v_fma_f64 v[6:7], v[6:7], v[22:23], -v[24:25]
	v_add_f64_e32 v[14:15], v[10:11], v[14:15]
	v_add_f64_e32 v[20:21], v[12:13], v[40:41]
	ds_load_b128 v[2:5], v1 offset:1792
	ds_load_b128 v[10:13], v1 offset:1808
	s_wait_loadcnt_dscnt 0x401
	v_mul_f64_e32 v[40:41], v[2:3], v[28:29]
	v_mul_f64_e32 v[28:29], v[4:5], v[28:29]
	v_add_f64_e32 v[14:15], v[14:15], v[18:19]
	v_add_f64_e32 v[16:17], v[20:21], v[38:39]
	s_wait_loadcnt_dscnt 0x300
	v_mul_f64_e32 v[18:19], v[10:11], v[32:33]
	v_mul_f64_e32 v[20:21], v[12:13], v[32:33]
	v_fma_f64 v[22:23], v[4:5], v[26:27], v[40:41]
	v_fma_f64 v[24:25], v[2:3], v[26:27], -v[28:29]
	v_add_f64_e32 v[14:15], v[14:15], v[6:7]
	v_add_f64_e32 v[16:17], v[16:17], v[8:9]
	ds_load_b128 v[2:5], v1 offset:1824
	ds_load_b128 v[6:9], v1 offset:1840
	v_fma_f64 v[12:13], v[12:13], v[30:31], v[18:19]
	v_fma_f64 v[10:11], v[10:11], v[30:31], -v[20:21]
	s_wait_loadcnt_dscnt 0x201
	v_mul_f64_e32 v[26:27], v[2:3], v[36:37]
	v_mul_f64_e32 v[28:29], v[4:5], v[36:37]
	s_wait_loadcnt_dscnt 0x0
	v_mul_f64_e32 v[18:19], v[6:7], v[169:170]
	v_mul_f64_e32 v[20:21], v[8:9], v[169:170]
	v_add_f64_e32 v[14:15], v[14:15], v[24:25]
	v_add_f64_e32 v[16:17], v[16:17], v[22:23]
	v_fma_f64 v[4:5], v[4:5], v[34:35], v[26:27]
	v_fma_f64 v[1:2], v[2:3], v[34:35], -v[28:29]
	v_fma_f64 v[8:9], v[8:9], v[167:168], v[18:19]
	v_fma_f64 v[6:7], v[6:7], v[167:168], -v[20:21]
	v_add_f64_e32 v[10:11], v[14:15], v[10:11]
	v_add_f64_e32 v[12:13], v[16:17], v[12:13]
	s_delay_alu instid0(VALU_DEP_2) | instskip(NEXT) | instid1(VALU_DEP_2)
	v_add_f64_e32 v[1:2], v[10:11], v[1:2]
	v_add_f64_e32 v[3:4], v[12:13], v[4:5]
	s_delay_alu instid0(VALU_DEP_2) | instskip(NEXT) | instid1(VALU_DEP_2)
	;; [unrolled: 3-line block ×3, first 2 shown]
	v_add_f64_e64 v[1:2], v[163:164], -v[1:2]
	v_add_f64_e64 v[3:4], v[165:166], -v[3:4]
	scratch_store_b128 off, v[1:4], off offset:768
	v_cmpx_lt_u32_e32 46, v0
	s_cbranch_execz .LBB121_269
; %bb.268:
	scratch_load_b128 v[1:4], off, s24
	v_mov_b32_e32 v5, 0
	s_delay_alu instid0(VALU_DEP_1)
	v_dual_mov_b32 v6, v5 :: v_dual_mov_b32 v7, v5
	v_mov_b32_e32 v8, v5
	scratch_store_b128 off, v[5:8], off offset:752
	s_wait_loadcnt 0x0
	ds_store_b128 v162, v[1:4]
.LBB121_269:
	s_wait_alu 0xfffe
	s_or_b32 exec_lo, exec_lo, s0
	s_wait_storecnt_dscnt 0x0
	s_barrier_signal -1
	s_barrier_wait -1
	global_inv scope:SCOPE_SE
	s_clause 0x7
	scratch_load_b128 v[2:5], off, off offset:768
	scratch_load_b128 v[6:9], off, off offset:784
	;; [unrolled: 1-line block ×8, first 2 shown]
	v_mov_b32_e32 v1, 0
	s_mov_b32 s0, exec_lo
	ds_load_b128 v[34:37], v1 offset:1680
	s_clause 0x1
	scratch_load_b128 v[38:41], off, off offset:896
	scratch_load_b128 v[42:45], off, off offset:752
	ds_load_b128 v[163:166], v1 offset:1696
	scratch_load_b128 v[167:170], off, off offset:912
	s_wait_loadcnt_dscnt 0xa01
	v_mul_f64_e32 v[171:172], v[36:37], v[4:5]
	v_mul_f64_e32 v[4:5], v[34:35], v[4:5]
	s_delay_alu instid0(VALU_DEP_2) | instskip(NEXT) | instid1(VALU_DEP_2)
	v_fma_f64 v[177:178], v[34:35], v[2:3], -v[171:172]
	v_fma_f64 v[179:180], v[36:37], v[2:3], v[4:5]
	ds_load_b128 v[2:5], v1 offset:1712
	s_wait_loadcnt_dscnt 0x901
	v_mul_f64_e32 v[175:176], v[163:164], v[8:9]
	v_mul_f64_e32 v[8:9], v[165:166], v[8:9]
	scratch_load_b128 v[34:37], off, off offset:928
	ds_load_b128 v[171:174], v1 offset:1728
	s_wait_loadcnt_dscnt 0x901
	v_mul_f64_e32 v[181:182], v[2:3], v[12:13]
	v_mul_f64_e32 v[12:13], v[4:5], v[12:13]
	v_fma_f64 v[165:166], v[165:166], v[6:7], v[175:176]
	v_fma_f64 v[6:7], v[163:164], v[6:7], -v[8:9]
	v_add_f64_e32 v[8:9], 0, v[177:178]
	v_add_f64_e32 v[163:164], 0, v[179:180]
	s_wait_loadcnt_dscnt 0x800
	v_mul_f64_e32 v[175:176], v[171:172], v[16:17]
	v_mul_f64_e32 v[16:17], v[173:174], v[16:17]
	v_fma_f64 v[177:178], v[4:5], v[10:11], v[181:182]
	v_fma_f64 v[10:11], v[2:3], v[10:11], -v[12:13]
	v_add_f64_e32 v[12:13], v[8:9], v[6:7]
	v_add_f64_e32 v[163:164], v[163:164], v[165:166]
	ds_load_b128 v[2:5], v1 offset:1744
	ds_load_b128 v[6:9], v1 offset:1760
	v_fma_f64 v[173:174], v[173:174], v[14:15], v[175:176]
	v_fma_f64 v[14:15], v[171:172], v[14:15], -v[16:17]
	s_wait_loadcnt_dscnt 0x701
	v_mul_f64_e32 v[165:166], v[2:3], v[20:21]
	v_mul_f64_e32 v[20:21], v[4:5], v[20:21]
	s_wait_loadcnt_dscnt 0x600
	v_mul_f64_e32 v[16:17], v[6:7], v[24:25]
	v_mul_f64_e32 v[24:25], v[8:9], v[24:25]
	v_add_f64_e32 v[10:11], v[12:13], v[10:11]
	v_add_f64_e32 v[12:13], v[163:164], v[177:178]
	v_fma_f64 v[163:164], v[4:5], v[18:19], v[165:166]
	v_fma_f64 v[18:19], v[2:3], v[18:19], -v[20:21]
	v_fma_f64 v[8:9], v[8:9], v[22:23], v[16:17]
	v_fma_f64 v[6:7], v[6:7], v[22:23], -v[24:25]
	v_add_f64_e32 v[14:15], v[10:11], v[14:15]
	v_add_f64_e32 v[20:21], v[12:13], v[173:174]
	ds_load_b128 v[2:5], v1 offset:1776
	ds_load_b128 v[10:13], v1 offset:1792
	s_wait_loadcnt_dscnt 0x501
	v_mul_f64_e32 v[165:166], v[2:3], v[28:29]
	v_mul_f64_e32 v[28:29], v[4:5], v[28:29]
	v_add_f64_e32 v[14:15], v[14:15], v[18:19]
	v_add_f64_e32 v[16:17], v[20:21], v[163:164]
	s_wait_loadcnt_dscnt 0x400
	v_mul_f64_e32 v[18:19], v[10:11], v[32:33]
	v_mul_f64_e32 v[20:21], v[12:13], v[32:33]
	v_fma_f64 v[22:23], v[4:5], v[26:27], v[165:166]
	v_fma_f64 v[24:25], v[2:3], v[26:27], -v[28:29]
	v_add_f64_e32 v[14:15], v[14:15], v[6:7]
	v_add_f64_e32 v[16:17], v[16:17], v[8:9]
	ds_load_b128 v[2:5], v1 offset:1808
	ds_load_b128 v[6:9], v1 offset:1824
	v_fma_f64 v[12:13], v[12:13], v[30:31], v[18:19]
	v_fma_f64 v[10:11], v[10:11], v[30:31], -v[20:21]
	s_wait_loadcnt_dscnt 0x301
	v_mul_f64_e32 v[26:27], v[2:3], v[40:41]
	v_mul_f64_e32 v[28:29], v[4:5], v[40:41]
	s_wait_loadcnt_dscnt 0x100
	v_mul_f64_e32 v[18:19], v[6:7], v[169:170]
	v_mul_f64_e32 v[20:21], v[8:9], v[169:170]
	v_add_f64_e32 v[14:15], v[14:15], v[24:25]
	v_add_f64_e32 v[16:17], v[16:17], v[22:23]
	v_fma_f64 v[22:23], v[4:5], v[38:39], v[26:27]
	v_fma_f64 v[24:25], v[2:3], v[38:39], -v[28:29]
	ds_load_b128 v[2:5], v1 offset:1840
	v_fma_f64 v[8:9], v[8:9], v[167:168], v[18:19]
	v_fma_f64 v[6:7], v[6:7], v[167:168], -v[20:21]
	v_add_f64_e32 v[10:11], v[14:15], v[10:11]
	v_add_f64_e32 v[12:13], v[16:17], v[12:13]
	s_wait_loadcnt_dscnt 0x0
	v_mul_f64_e32 v[14:15], v[2:3], v[36:37]
	v_mul_f64_e32 v[16:17], v[4:5], v[36:37]
	s_delay_alu instid0(VALU_DEP_4) | instskip(NEXT) | instid1(VALU_DEP_4)
	v_add_f64_e32 v[10:11], v[10:11], v[24:25]
	v_add_f64_e32 v[12:13], v[12:13], v[22:23]
	s_delay_alu instid0(VALU_DEP_4) | instskip(NEXT) | instid1(VALU_DEP_4)
	v_fma_f64 v[4:5], v[4:5], v[34:35], v[14:15]
	v_fma_f64 v[2:3], v[2:3], v[34:35], -v[16:17]
	s_delay_alu instid0(VALU_DEP_4) | instskip(NEXT) | instid1(VALU_DEP_4)
	v_add_f64_e32 v[6:7], v[10:11], v[6:7]
	v_add_f64_e32 v[8:9], v[12:13], v[8:9]
	s_delay_alu instid0(VALU_DEP_2) | instskip(NEXT) | instid1(VALU_DEP_2)
	v_add_f64_e32 v[2:3], v[6:7], v[2:3]
	v_add_f64_e32 v[4:5], v[8:9], v[4:5]
	s_delay_alu instid0(VALU_DEP_2) | instskip(NEXT) | instid1(VALU_DEP_2)
	v_add_f64_e64 v[2:3], v[42:43], -v[2:3]
	v_add_f64_e64 v[4:5], v[44:45], -v[4:5]
	scratch_store_b128 off, v[2:5], off offset:752
	v_cmpx_lt_u32_e32 45, v0
	s_cbranch_execz .LBB121_271
; %bb.270:
	scratch_load_b128 v[5:8], off, s25
	v_dual_mov_b32 v2, v1 :: v_dual_mov_b32 v3, v1
	v_mov_b32_e32 v4, v1
	scratch_store_b128 off, v[1:4], off offset:736
	s_wait_loadcnt 0x0
	ds_store_b128 v162, v[5:8]
.LBB121_271:
	s_wait_alu 0xfffe
	s_or_b32 exec_lo, exec_lo, s0
	s_wait_storecnt_dscnt 0x0
	s_barrier_signal -1
	s_barrier_wait -1
	global_inv scope:SCOPE_SE
	s_clause 0x8
	scratch_load_b128 v[2:5], off, off offset:752
	scratch_load_b128 v[6:9], off, off offset:768
	scratch_load_b128 v[10:13], off, off offset:784
	scratch_load_b128 v[14:17], off, off offset:800
	scratch_load_b128 v[18:21], off, off offset:816
	scratch_load_b128 v[22:25], off, off offset:832
	scratch_load_b128 v[26:29], off, off offset:848
	scratch_load_b128 v[30:33], off, off offset:864
	scratch_load_b128 v[34:37], off, off offset:880
	ds_load_b128 v[38:41], v1 offset:1664
	ds_load_b128 v[42:45], v1 offset:1680
	s_clause 0x1
	scratch_load_b128 v[163:166], off, off offset:736
	scratch_load_b128 v[167:170], off, off offset:896
	s_mov_b32 s0, exec_lo
	s_wait_loadcnt_dscnt 0xa01
	v_mul_f64_e32 v[171:172], v[40:41], v[4:5]
	v_mul_f64_e32 v[4:5], v[38:39], v[4:5]
	s_wait_loadcnt_dscnt 0x900
	v_mul_f64_e32 v[175:176], v[42:43], v[8:9]
	v_mul_f64_e32 v[8:9], v[44:45], v[8:9]
	s_delay_alu instid0(VALU_DEP_4) | instskip(NEXT) | instid1(VALU_DEP_4)
	v_fma_f64 v[177:178], v[38:39], v[2:3], -v[171:172]
	v_fma_f64 v[179:180], v[40:41], v[2:3], v[4:5]
	ds_load_b128 v[2:5], v1 offset:1696
	ds_load_b128 v[171:174], v1 offset:1712
	scratch_load_b128 v[38:41], off, off offset:912
	v_fma_f64 v[44:45], v[44:45], v[6:7], v[175:176]
	v_fma_f64 v[42:43], v[42:43], v[6:7], -v[8:9]
	scratch_load_b128 v[6:9], off, off offset:928
	s_wait_loadcnt_dscnt 0xa01
	v_mul_f64_e32 v[181:182], v[2:3], v[12:13]
	v_mul_f64_e32 v[12:13], v[4:5], v[12:13]
	v_add_f64_e32 v[175:176], 0, v[177:178]
	v_add_f64_e32 v[177:178], 0, v[179:180]
	s_wait_loadcnt_dscnt 0x900
	v_mul_f64_e32 v[179:180], v[171:172], v[16:17]
	v_mul_f64_e32 v[16:17], v[173:174], v[16:17]
	v_fma_f64 v[181:182], v[4:5], v[10:11], v[181:182]
	v_fma_f64 v[183:184], v[2:3], v[10:11], -v[12:13]
	ds_load_b128 v[2:5], v1 offset:1728
	ds_load_b128 v[10:13], v1 offset:1744
	v_add_f64_e32 v[42:43], v[175:176], v[42:43]
	v_add_f64_e32 v[44:45], v[177:178], v[44:45]
	v_fma_f64 v[173:174], v[173:174], v[14:15], v[179:180]
	v_fma_f64 v[14:15], v[171:172], v[14:15], -v[16:17]
	s_wait_loadcnt_dscnt 0x801
	v_mul_f64_e32 v[175:176], v[2:3], v[20:21]
	v_mul_f64_e32 v[20:21], v[4:5], v[20:21]
	v_add_f64_e32 v[16:17], v[42:43], v[183:184]
	v_add_f64_e32 v[42:43], v[44:45], v[181:182]
	s_wait_loadcnt_dscnt 0x700
	v_mul_f64_e32 v[44:45], v[10:11], v[24:25]
	v_mul_f64_e32 v[24:25], v[12:13], v[24:25]
	v_fma_f64 v[171:172], v[4:5], v[18:19], v[175:176]
	v_fma_f64 v[18:19], v[2:3], v[18:19], -v[20:21]
	v_add_f64_e32 v[20:21], v[16:17], v[14:15]
	v_add_f64_e32 v[42:43], v[42:43], v[173:174]
	ds_load_b128 v[2:5], v1 offset:1760
	ds_load_b128 v[14:17], v1 offset:1776
	v_fma_f64 v[12:13], v[12:13], v[22:23], v[44:45]
	v_fma_f64 v[10:11], v[10:11], v[22:23], -v[24:25]
	s_wait_loadcnt_dscnt 0x601
	v_mul_f64_e32 v[173:174], v[2:3], v[28:29]
	v_mul_f64_e32 v[28:29], v[4:5], v[28:29]
	s_wait_loadcnt_dscnt 0x500
	v_mul_f64_e32 v[22:23], v[14:15], v[32:33]
	v_mul_f64_e32 v[24:25], v[16:17], v[32:33]
	v_add_f64_e32 v[18:19], v[20:21], v[18:19]
	v_add_f64_e32 v[20:21], v[42:43], v[171:172]
	v_fma_f64 v[32:33], v[4:5], v[26:27], v[173:174]
	v_fma_f64 v[26:27], v[2:3], v[26:27], -v[28:29]
	v_fma_f64 v[16:17], v[16:17], v[30:31], v[22:23]
	v_fma_f64 v[14:15], v[14:15], v[30:31], -v[24:25]
	v_add_f64_e32 v[18:19], v[18:19], v[10:11]
	v_add_f64_e32 v[20:21], v[20:21], v[12:13]
	ds_load_b128 v[2:5], v1 offset:1792
	ds_load_b128 v[10:13], v1 offset:1808
	s_wait_loadcnt_dscnt 0x401
	v_mul_f64_e32 v[28:29], v[2:3], v[36:37]
	v_mul_f64_e32 v[36:37], v[4:5], v[36:37]
	s_wait_loadcnt_dscnt 0x200
	v_mul_f64_e32 v[22:23], v[10:11], v[169:170]
	v_mul_f64_e32 v[24:25], v[12:13], v[169:170]
	v_add_f64_e32 v[18:19], v[18:19], v[26:27]
	v_add_f64_e32 v[20:21], v[20:21], v[32:33]
	v_fma_f64 v[26:27], v[4:5], v[34:35], v[28:29]
	v_fma_f64 v[28:29], v[2:3], v[34:35], -v[36:37]
	v_fma_f64 v[12:13], v[12:13], v[167:168], v[22:23]
	v_fma_f64 v[10:11], v[10:11], v[167:168], -v[24:25]
	v_add_f64_e32 v[18:19], v[18:19], v[14:15]
	v_add_f64_e32 v[20:21], v[20:21], v[16:17]
	ds_load_b128 v[2:5], v1 offset:1824
	ds_load_b128 v[14:17], v1 offset:1840
	s_wait_loadcnt_dscnt 0x101
	v_mul_f64_e32 v[30:31], v[2:3], v[40:41]
	v_mul_f64_e32 v[32:33], v[4:5], v[40:41]
	s_wait_loadcnt_dscnt 0x0
	v_mul_f64_e32 v[22:23], v[14:15], v[8:9]
	v_mul_f64_e32 v[8:9], v[16:17], v[8:9]
	v_add_f64_e32 v[18:19], v[18:19], v[28:29]
	v_add_f64_e32 v[20:21], v[20:21], v[26:27]
	v_fma_f64 v[4:5], v[4:5], v[38:39], v[30:31]
	v_fma_f64 v[1:2], v[2:3], v[38:39], -v[32:33]
	v_fma_f64 v[16:17], v[16:17], v[6:7], v[22:23]
	v_fma_f64 v[6:7], v[14:15], v[6:7], -v[8:9]
	v_add_f64_e32 v[10:11], v[18:19], v[10:11]
	v_add_f64_e32 v[12:13], v[20:21], v[12:13]
	s_delay_alu instid0(VALU_DEP_2) | instskip(NEXT) | instid1(VALU_DEP_2)
	v_add_f64_e32 v[1:2], v[10:11], v[1:2]
	v_add_f64_e32 v[3:4], v[12:13], v[4:5]
	s_delay_alu instid0(VALU_DEP_2) | instskip(NEXT) | instid1(VALU_DEP_2)
	;; [unrolled: 3-line block ×3, first 2 shown]
	v_add_f64_e64 v[1:2], v[163:164], -v[1:2]
	v_add_f64_e64 v[3:4], v[165:166], -v[3:4]
	scratch_store_b128 off, v[1:4], off offset:736
	v_cmpx_lt_u32_e32 44, v0
	s_cbranch_execz .LBB121_273
; %bb.272:
	scratch_load_b128 v[1:4], off, s26
	v_mov_b32_e32 v5, 0
	s_delay_alu instid0(VALU_DEP_1)
	v_dual_mov_b32 v6, v5 :: v_dual_mov_b32 v7, v5
	v_mov_b32_e32 v8, v5
	scratch_store_b128 off, v[5:8], off offset:720
	s_wait_loadcnt 0x0
	ds_store_b128 v162, v[1:4]
.LBB121_273:
	s_wait_alu 0xfffe
	s_or_b32 exec_lo, exec_lo, s0
	s_wait_storecnt_dscnt 0x0
	s_barrier_signal -1
	s_barrier_wait -1
	global_inv scope:SCOPE_SE
	s_clause 0x7
	scratch_load_b128 v[2:5], off, off offset:736
	scratch_load_b128 v[6:9], off, off offset:752
	;; [unrolled: 1-line block ×8, first 2 shown]
	v_mov_b32_e32 v1, 0
	s_mov_b32 s0, exec_lo
	ds_load_b128 v[34:37], v1 offset:1648
	s_clause 0x1
	scratch_load_b128 v[38:41], off, off offset:864
	scratch_load_b128 v[42:45], off, off offset:720
	ds_load_b128 v[163:166], v1 offset:1664
	scratch_load_b128 v[167:170], off, off offset:880
	s_wait_loadcnt_dscnt 0xa01
	v_mul_f64_e32 v[171:172], v[36:37], v[4:5]
	v_mul_f64_e32 v[4:5], v[34:35], v[4:5]
	s_delay_alu instid0(VALU_DEP_2) | instskip(NEXT) | instid1(VALU_DEP_2)
	v_fma_f64 v[177:178], v[34:35], v[2:3], -v[171:172]
	v_fma_f64 v[179:180], v[36:37], v[2:3], v[4:5]
	ds_load_b128 v[2:5], v1 offset:1680
	s_wait_loadcnt_dscnt 0x901
	v_mul_f64_e32 v[175:176], v[163:164], v[8:9]
	v_mul_f64_e32 v[8:9], v[165:166], v[8:9]
	scratch_load_b128 v[34:37], off, off offset:896
	ds_load_b128 v[171:174], v1 offset:1696
	s_wait_loadcnt_dscnt 0x901
	v_mul_f64_e32 v[181:182], v[2:3], v[12:13]
	v_mul_f64_e32 v[12:13], v[4:5], v[12:13]
	v_fma_f64 v[165:166], v[165:166], v[6:7], v[175:176]
	v_fma_f64 v[163:164], v[163:164], v[6:7], -v[8:9]
	v_add_f64_e32 v[175:176], 0, v[177:178]
	v_add_f64_e32 v[177:178], 0, v[179:180]
	scratch_load_b128 v[6:9], off, off offset:912
	v_fma_f64 v[181:182], v[4:5], v[10:11], v[181:182]
	v_fma_f64 v[183:184], v[2:3], v[10:11], -v[12:13]
	ds_load_b128 v[2:5], v1 offset:1712
	s_wait_loadcnt_dscnt 0x901
	v_mul_f64_e32 v[179:180], v[171:172], v[16:17]
	v_mul_f64_e32 v[16:17], v[173:174], v[16:17]
	scratch_load_b128 v[10:13], off, off offset:928
	v_add_f64_e32 v[175:176], v[175:176], v[163:164]
	v_add_f64_e32 v[177:178], v[177:178], v[165:166]
	s_wait_loadcnt_dscnt 0x900
	v_mul_f64_e32 v[185:186], v[2:3], v[20:21]
	v_mul_f64_e32 v[20:21], v[4:5], v[20:21]
	ds_load_b128 v[163:166], v1 offset:1728
	v_fma_f64 v[173:174], v[173:174], v[14:15], v[179:180]
	v_fma_f64 v[14:15], v[171:172], v[14:15], -v[16:17]
	v_add_f64_e32 v[16:17], v[175:176], v[183:184]
	v_add_f64_e32 v[171:172], v[177:178], v[181:182]
	s_wait_loadcnt_dscnt 0x800
	v_mul_f64_e32 v[175:176], v[163:164], v[24:25]
	v_mul_f64_e32 v[24:25], v[165:166], v[24:25]
	v_fma_f64 v[177:178], v[4:5], v[18:19], v[185:186]
	v_fma_f64 v[18:19], v[2:3], v[18:19], -v[20:21]
	v_add_f64_e32 v[20:21], v[16:17], v[14:15]
	v_add_f64_e32 v[171:172], v[171:172], v[173:174]
	ds_load_b128 v[2:5], v1 offset:1744
	ds_load_b128 v[14:17], v1 offset:1760
	v_fma_f64 v[165:166], v[165:166], v[22:23], v[175:176]
	v_fma_f64 v[22:23], v[163:164], v[22:23], -v[24:25]
	s_wait_loadcnt_dscnt 0x701
	v_mul_f64_e32 v[173:174], v[2:3], v[28:29]
	v_mul_f64_e32 v[28:29], v[4:5], v[28:29]
	s_wait_loadcnt_dscnt 0x600
	v_mul_f64_e32 v[24:25], v[14:15], v[32:33]
	v_mul_f64_e32 v[32:33], v[16:17], v[32:33]
	v_add_f64_e32 v[18:19], v[20:21], v[18:19]
	v_add_f64_e32 v[20:21], v[171:172], v[177:178]
	v_fma_f64 v[163:164], v[4:5], v[26:27], v[173:174]
	v_fma_f64 v[26:27], v[2:3], v[26:27], -v[28:29]
	v_fma_f64 v[16:17], v[16:17], v[30:31], v[24:25]
	v_fma_f64 v[14:15], v[14:15], v[30:31], -v[32:33]
	v_add_f64_e32 v[22:23], v[18:19], v[22:23]
	v_add_f64_e32 v[28:29], v[20:21], v[165:166]
	ds_load_b128 v[2:5], v1 offset:1776
	ds_load_b128 v[18:21], v1 offset:1792
	s_wait_loadcnt_dscnt 0x501
	v_mul_f64_e32 v[165:166], v[2:3], v[40:41]
	v_mul_f64_e32 v[40:41], v[4:5], v[40:41]
	v_add_f64_e32 v[22:23], v[22:23], v[26:27]
	v_add_f64_e32 v[24:25], v[28:29], v[163:164]
	s_wait_loadcnt_dscnt 0x300
	v_mul_f64_e32 v[26:27], v[18:19], v[169:170]
	v_mul_f64_e32 v[28:29], v[20:21], v[169:170]
	v_fma_f64 v[30:31], v[4:5], v[38:39], v[165:166]
	v_fma_f64 v[32:33], v[2:3], v[38:39], -v[40:41]
	v_add_f64_e32 v[22:23], v[22:23], v[14:15]
	v_add_f64_e32 v[24:25], v[24:25], v[16:17]
	ds_load_b128 v[2:5], v1 offset:1808
	ds_load_b128 v[14:17], v1 offset:1824
	v_fma_f64 v[20:21], v[20:21], v[167:168], v[26:27]
	v_fma_f64 v[18:19], v[18:19], v[167:168], -v[28:29]
	s_wait_loadcnt_dscnt 0x201
	v_mul_f64_e32 v[38:39], v[2:3], v[36:37]
	v_mul_f64_e32 v[36:37], v[4:5], v[36:37]
	v_add_f64_e32 v[22:23], v[22:23], v[32:33]
	v_add_f64_e32 v[24:25], v[24:25], v[30:31]
	s_wait_loadcnt_dscnt 0x100
	v_mul_f64_e32 v[26:27], v[14:15], v[8:9]
	v_mul_f64_e32 v[8:9], v[16:17], v[8:9]
	v_fma_f64 v[28:29], v[4:5], v[34:35], v[38:39]
	v_fma_f64 v[30:31], v[2:3], v[34:35], -v[36:37]
	ds_load_b128 v[2:5], v1 offset:1840
	v_add_f64_e32 v[18:19], v[22:23], v[18:19]
	v_add_f64_e32 v[20:21], v[24:25], v[20:21]
	s_wait_loadcnt_dscnt 0x0
	v_mul_f64_e32 v[22:23], v[2:3], v[12:13]
	v_mul_f64_e32 v[12:13], v[4:5], v[12:13]
	v_fma_f64 v[16:17], v[16:17], v[6:7], v[26:27]
	v_fma_f64 v[6:7], v[14:15], v[6:7], -v[8:9]
	v_add_f64_e32 v[8:9], v[18:19], v[30:31]
	v_add_f64_e32 v[14:15], v[20:21], v[28:29]
	v_fma_f64 v[4:5], v[4:5], v[10:11], v[22:23]
	v_fma_f64 v[2:3], v[2:3], v[10:11], -v[12:13]
	s_delay_alu instid0(VALU_DEP_4) | instskip(NEXT) | instid1(VALU_DEP_4)
	v_add_f64_e32 v[6:7], v[8:9], v[6:7]
	v_add_f64_e32 v[8:9], v[14:15], v[16:17]
	s_delay_alu instid0(VALU_DEP_2) | instskip(NEXT) | instid1(VALU_DEP_2)
	v_add_f64_e32 v[2:3], v[6:7], v[2:3]
	v_add_f64_e32 v[4:5], v[8:9], v[4:5]
	s_delay_alu instid0(VALU_DEP_2) | instskip(NEXT) | instid1(VALU_DEP_2)
	v_add_f64_e64 v[2:3], v[42:43], -v[2:3]
	v_add_f64_e64 v[4:5], v[44:45], -v[4:5]
	scratch_store_b128 off, v[2:5], off offset:720
	v_cmpx_lt_u32_e32 43, v0
	s_cbranch_execz .LBB121_275
; %bb.274:
	scratch_load_b128 v[5:8], off, s27
	v_dual_mov_b32 v2, v1 :: v_dual_mov_b32 v3, v1
	v_mov_b32_e32 v4, v1
	scratch_store_b128 off, v[1:4], off offset:704
	s_wait_loadcnt 0x0
	ds_store_b128 v162, v[5:8]
.LBB121_275:
	s_wait_alu 0xfffe
	s_or_b32 exec_lo, exec_lo, s0
	s_wait_storecnt_dscnt 0x0
	s_barrier_signal -1
	s_barrier_wait -1
	global_inv scope:SCOPE_SE
	s_clause 0x8
	scratch_load_b128 v[2:5], off, off offset:720
	scratch_load_b128 v[6:9], off, off offset:736
	scratch_load_b128 v[10:13], off, off offset:752
	scratch_load_b128 v[14:17], off, off offset:768
	scratch_load_b128 v[18:21], off, off offset:784
	scratch_load_b128 v[22:25], off, off offset:800
	scratch_load_b128 v[26:29], off, off offset:816
	scratch_load_b128 v[30:33], off, off offset:832
	scratch_load_b128 v[34:37], off, off offset:848
	ds_load_b128 v[38:41], v1 offset:1632
	ds_load_b128 v[42:45], v1 offset:1648
	s_clause 0x1
	scratch_load_b128 v[163:166], off, off offset:704
	scratch_load_b128 v[167:170], off, off offset:864
	s_mov_b32 s0, exec_lo
	s_wait_loadcnt_dscnt 0xa01
	v_mul_f64_e32 v[171:172], v[40:41], v[4:5]
	v_mul_f64_e32 v[4:5], v[38:39], v[4:5]
	s_wait_loadcnt_dscnt 0x900
	v_mul_f64_e32 v[175:176], v[42:43], v[8:9]
	v_mul_f64_e32 v[8:9], v[44:45], v[8:9]
	s_delay_alu instid0(VALU_DEP_4) | instskip(NEXT) | instid1(VALU_DEP_4)
	v_fma_f64 v[177:178], v[38:39], v[2:3], -v[171:172]
	v_fma_f64 v[179:180], v[40:41], v[2:3], v[4:5]
	ds_load_b128 v[2:5], v1 offset:1664
	ds_load_b128 v[171:174], v1 offset:1680
	scratch_load_b128 v[38:41], off, off offset:880
	v_fma_f64 v[44:45], v[44:45], v[6:7], v[175:176]
	v_fma_f64 v[42:43], v[42:43], v[6:7], -v[8:9]
	scratch_load_b128 v[6:9], off, off offset:896
	s_wait_loadcnt_dscnt 0xa01
	v_mul_f64_e32 v[181:182], v[2:3], v[12:13]
	v_mul_f64_e32 v[12:13], v[4:5], v[12:13]
	v_add_f64_e32 v[175:176], 0, v[177:178]
	v_add_f64_e32 v[177:178], 0, v[179:180]
	s_wait_loadcnt_dscnt 0x900
	v_mul_f64_e32 v[179:180], v[171:172], v[16:17]
	v_mul_f64_e32 v[16:17], v[173:174], v[16:17]
	v_fma_f64 v[181:182], v[4:5], v[10:11], v[181:182]
	v_fma_f64 v[183:184], v[2:3], v[10:11], -v[12:13]
	ds_load_b128 v[2:5], v1 offset:1696
	scratch_load_b128 v[10:13], off, off offset:912
	v_add_f64_e32 v[175:176], v[175:176], v[42:43]
	v_add_f64_e32 v[177:178], v[177:178], v[44:45]
	ds_load_b128 v[42:45], v1 offset:1712
	v_fma_f64 v[173:174], v[173:174], v[14:15], v[179:180]
	v_fma_f64 v[171:172], v[171:172], v[14:15], -v[16:17]
	scratch_load_b128 v[14:17], off, off offset:928
	s_wait_loadcnt_dscnt 0xa01
	v_mul_f64_e32 v[185:186], v[2:3], v[20:21]
	v_mul_f64_e32 v[20:21], v[4:5], v[20:21]
	s_wait_loadcnt_dscnt 0x900
	v_mul_f64_e32 v[179:180], v[42:43], v[24:25]
	v_mul_f64_e32 v[24:25], v[44:45], v[24:25]
	v_add_f64_e32 v[175:176], v[175:176], v[183:184]
	v_add_f64_e32 v[177:178], v[177:178], v[181:182]
	v_fma_f64 v[181:182], v[4:5], v[18:19], v[185:186]
	v_fma_f64 v[183:184], v[2:3], v[18:19], -v[20:21]
	ds_load_b128 v[2:5], v1 offset:1728
	ds_load_b128 v[18:21], v1 offset:1744
	v_fma_f64 v[44:45], v[44:45], v[22:23], v[179:180]
	v_fma_f64 v[22:23], v[42:43], v[22:23], -v[24:25]
	v_add_f64_e32 v[171:172], v[175:176], v[171:172]
	v_add_f64_e32 v[173:174], v[177:178], v[173:174]
	s_wait_loadcnt_dscnt 0x801
	v_mul_f64_e32 v[175:176], v[2:3], v[28:29]
	v_mul_f64_e32 v[28:29], v[4:5], v[28:29]
	s_delay_alu instid0(VALU_DEP_4) | instskip(NEXT) | instid1(VALU_DEP_4)
	v_add_f64_e32 v[24:25], v[171:172], v[183:184]
	v_add_f64_e32 v[42:43], v[173:174], v[181:182]
	s_wait_loadcnt_dscnt 0x700
	v_mul_f64_e32 v[171:172], v[18:19], v[32:33]
	v_mul_f64_e32 v[32:33], v[20:21], v[32:33]
	v_fma_f64 v[173:174], v[4:5], v[26:27], v[175:176]
	v_fma_f64 v[26:27], v[2:3], v[26:27], -v[28:29]
	v_add_f64_e32 v[28:29], v[24:25], v[22:23]
	v_add_f64_e32 v[42:43], v[42:43], v[44:45]
	ds_load_b128 v[2:5], v1 offset:1760
	ds_load_b128 v[22:25], v1 offset:1776
	v_fma_f64 v[20:21], v[20:21], v[30:31], v[171:172]
	v_fma_f64 v[18:19], v[18:19], v[30:31], -v[32:33]
	s_wait_loadcnt_dscnt 0x601
	v_mul_f64_e32 v[44:45], v[2:3], v[36:37]
	v_mul_f64_e32 v[36:37], v[4:5], v[36:37]
	s_wait_loadcnt_dscnt 0x400
	v_mul_f64_e32 v[30:31], v[22:23], v[169:170]
	v_mul_f64_e32 v[32:33], v[24:25], v[169:170]
	v_add_f64_e32 v[26:27], v[28:29], v[26:27]
	v_add_f64_e32 v[28:29], v[42:43], v[173:174]
	v_fma_f64 v[42:43], v[4:5], v[34:35], v[44:45]
	v_fma_f64 v[34:35], v[2:3], v[34:35], -v[36:37]
	v_fma_f64 v[24:25], v[24:25], v[167:168], v[30:31]
	v_fma_f64 v[22:23], v[22:23], v[167:168], -v[32:33]
	v_add_f64_e32 v[26:27], v[26:27], v[18:19]
	v_add_f64_e32 v[28:29], v[28:29], v[20:21]
	ds_load_b128 v[2:5], v1 offset:1792
	ds_load_b128 v[18:21], v1 offset:1808
	s_wait_loadcnt_dscnt 0x301
	v_mul_f64_e32 v[36:37], v[2:3], v[40:41]
	v_mul_f64_e32 v[40:41], v[4:5], v[40:41]
	s_wait_loadcnt_dscnt 0x200
	v_mul_f64_e32 v[30:31], v[18:19], v[8:9]
	v_mul_f64_e32 v[8:9], v[20:21], v[8:9]
	v_add_f64_e32 v[26:27], v[26:27], v[34:35]
	v_add_f64_e32 v[28:29], v[28:29], v[42:43]
	v_fma_f64 v[32:33], v[4:5], v[38:39], v[36:37]
	v_fma_f64 v[34:35], v[2:3], v[38:39], -v[40:41]
	v_fma_f64 v[20:21], v[20:21], v[6:7], v[30:31]
	v_fma_f64 v[6:7], v[18:19], v[6:7], -v[8:9]
	v_add_f64_e32 v[26:27], v[26:27], v[22:23]
	v_add_f64_e32 v[28:29], v[28:29], v[24:25]
	ds_load_b128 v[2:5], v1 offset:1824
	ds_load_b128 v[22:25], v1 offset:1840
	s_wait_loadcnt_dscnt 0x101
	v_mul_f64_e32 v[36:37], v[2:3], v[12:13]
	v_mul_f64_e32 v[12:13], v[4:5], v[12:13]
	v_add_f64_e32 v[8:9], v[26:27], v[34:35]
	v_add_f64_e32 v[18:19], v[28:29], v[32:33]
	s_wait_loadcnt_dscnt 0x0
	v_mul_f64_e32 v[26:27], v[22:23], v[16:17]
	v_mul_f64_e32 v[16:17], v[24:25], v[16:17]
	v_fma_f64 v[4:5], v[4:5], v[10:11], v[36:37]
	v_fma_f64 v[1:2], v[2:3], v[10:11], -v[12:13]
	v_add_f64_e32 v[6:7], v[8:9], v[6:7]
	v_add_f64_e32 v[8:9], v[18:19], v[20:21]
	v_fma_f64 v[10:11], v[24:25], v[14:15], v[26:27]
	v_fma_f64 v[12:13], v[22:23], v[14:15], -v[16:17]
	s_delay_alu instid0(VALU_DEP_4) | instskip(NEXT) | instid1(VALU_DEP_4)
	v_add_f64_e32 v[1:2], v[6:7], v[1:2]
	v_add_f64_e32 v[3:4], v[8:9], v[4:5]
	s_delay_alu instid0(VALU_DEP_2) | instskip(NEXT) | instid1(VALU_DEP_2)
	v_add_f64_e32 v[1:2], v[1:2], v[12:13]
	v_add_f64_e32 v[3:4], v[3:4], v[10:11]
	s_delay_alu instid0(VALU_DEP_2) | instskip(NEXT) | instid1(VALU_DEP_2)
	v_add_f64_e64 v[1:2], v[163:164], -v[1:2]
	v_add_f64_e64 v[3:4], v[165:166], -v[3:4]
	scratch_store_b128 off, v[1:4], off offset:704
	v_cmpx_lt_u32_e32 42, v0
	s_cbranch_execz .LBB121_277
; %bb.276:
	scratch_load_b128 v[1:4], off, s28
	v_mov_b32_e32 v5, 0
	s_delay_alu instid0(VALU_DEP_1)
	v_dual_mov_b32 v6, v5 :: v_dual_mov_b32 v7, v5
	v_mov_b32_e32 v8, v5
	scratch_store_b128 off, v[5:8], off offset:688
	s_wait_loadcnt 0x0
	ds_store_b128 v162, v[1:4]
.LBB121_277:
	s_wait_alu 0xfffe
	s_or_b32 exec_lo, exec_lo, s0
	s_wait_storecnt_dscnt 0x0
	s_barrier_signal -1
	s_barrier_wait -1
	global_inv scope:SCOPE_SE
	s_clause 0x7
	scratch_load_b128 v[2:5], off, off offset:704
	scratch_load_b128 v[6:9], off, off offset:720
	;; [unrolled: 1-line block ×8, first 2 shown]
	v_mov_b32_e32 v1, 0
	s_mov_b32 s0, exec_lo
	ds_load_b128 v[34:37], v1 offset:1616
	s_clause 0x1
	scratch_load_b128 v[38:41], off, off offset:832
	scratch_load_b128 v[42:45], off, off offset:688
	ds_load_b128 v[163:166], v1 offset:1632
	scratch_load_b128 v[167:170], off, off offset:848
	s_wait_loadcnt_dscnt 0xa01
	v_mul_f64_e32 v[171:172], v[36:37], v[4:5]
	v_mul_f64_e32 v[4:5], v[34:35], v[4:5]
	s_delay_alu instid0(VALU_DEP_2) | instskip(NEXT) | instid1(VALU_DEP_2)
	v_fma_f64 v[177:178], v[34:35], v[2:3], -v[171:172]
	v_fma_f64 v[179:180], v[36:37], v[2:3], v[4:5]
	ds_load_b128 v[2:5], v1 offset:1648
	s_wait_loadcnt_dscnt 0x901
	v_mul_f64_e32 v[175:176], v[163:164], v[8:9]
	v_mul_f64_e32 v[8:9], v[165:166], v[8:9]
	scratch_load_b128 v[34:37], off, off offset:864
	ds_load_b128 v[171:174], v1 offset:1664
	s_wait_loadcnt_dscnt 0x901
	v_mul_f64_e32 v[181:182], v[2:3], v[12:13]
	v_mul_f64_e32 v[12:13], v[4:5], v[12:13]
	v_fma_f64 v[165:166], v[165:166], v[6:7], v[175:176]
	v_fma_f64 v[163:164], v[163:164], v[6:7], -v[8:9]
	v_add_f64_e32 v[175:176], 0, v[177:178]
	v_add_f64_e32 v[177:178], 0, v[179:180]
	scratch_load_b128 v[6:9], off, off offset:880
	v_fma_f64 v[181:182], v[4:5], v[10:11], v[181:182]
	v_fma_f64 v[183:184], v[2:3], v[10:11], -v[12:13]
	ds_load_b128 v[2:5], v1 offset:1680
	s_wait_loadcnt_dscnt 0x901
	v_mul_f64_e32 v[179:180], v[171:172], v[16:17]
	v_mul_f64_e32 v[16:17], v[173:174], v[16:17]
	scratch_load_b128 v[10:13], off, off offset:896
	v_add_f64_e32 v[175:176], v[175:176], v[163:164]
	v_add_f64_e32 v[177:178], v[177:178], v[165:166]
	s_wait_loadcnt_dscnt 0x900
	v_mul_f64_e32 v[185:186], v[2:3], v[20:21]
	v_mul_f64_e32 v[20:21], v[4:5], v[20:21]
	ds_load_b128 v[163:166], v1 offset:1696
	v_fma_f64 v[173:174], v[173:174], v[14:15], v[179:180]
	v_fma_f64 v[171:172], v[171:172], v[14:15], -v[16:17]
	scratch_load_b128 v[14:17], off, off offset:912
	v_add_f64_e32 v[175:176], v[175:176], v[183:184]
	v_add_f64_e32 v[177:178], v[177:178], v[181:182]
	v_fma_f64 v[181:182], v[4:5], v[18:19], v[185:186]
	v_fma_f64 v[183:184], v[2:3], v[18:19], -v[20:21]
	ds_load_b128 v[2:5], v1 offset:1712
	s_wait_loadcnt_dscnt 0x901
	v_mul_f64_e32 v[179:180], v[163:164], v[24:25]
	v_mul_f64_e32 v[24:25], v[165:166], v[24:25]
	scratch_load_b128 v[18:21], off, off offset:928
	s_wait_loadcnt_dscnt 0x900
	v_mul_f64_e32 v[185:186], v[2:3], v[28:29]
	v_mul_f64_e32 v[28:29], v[4:5], v[28:29]
	v_add_f64_e32 v[175:176], v[175:176], v[171:172]
	v_add_f64_e32 v[177:178], v[177:178], v[173:174]
	ds_load_b128 v[171:174], v1 offset:1728
	v_fma_f64 v[165:166], v[165:166], v[22:23], v[179:180]
	v_fma_f64 v[22:23], v[163:164], v[22:23], -v[24:25]
	v_add_f64_e32 v[24:25], v[175:176], v[183:184]
	v_add_f64_e32 v[163:164], v[177:178], v[181:182]
	s_wait_loadcnt_dscnt 0x800
	v_mul_f64_e32 v[175:176], v[171:172], v[32:33]
	v_mul_f64_e32 v[32:33], v[173:174], v[32:33]
	v_fma_f64 v[177:178], v[4:5], v[26:27], v[185:186]
	v_fma_f64 v[26:27], v[2:3], v[26:27], -v[28:29]
	v_add_f64_e32 v[28:29], v[24:25], v[22:23]
	v_add_f64_e32 v[163:164], v[163:164], v[165:166]
	ds_load_b128 v[2:5], v1 offset:1744
	ds_load_b128 v[22:25], v1 offset:1760
	v_fma_f64 v[173:174], v[173:174], v[30:31], v[175:176]
	v_fma_f64 v[30:31], v[171:172], v[30:31], -v[32:33]
	s_wait_loadcnt_dscnt 0x701
	v_mul_f64_e32 v[165:166], v[2:3], v[40:41]
	v_mul_f64_e32 v[40:41], v[4:5], v[40:41]
	s_wait_loadcnt_dscnt 0x500
	v_mul_f64_e32 v[32:33], v[22:23], v[169:170]
	v_add_f64_e32 v[26:27], v[28:29], v[26:27]
	v_add_f64_e32 v[28:29], v[163:164], v[177:178]
	v_mul_f64_e32 v[163:164], v[24:25], v[169:170]
	v_fma_f64 v[165:166], v[4:5], v[38:39], v[165:166]
	v_fma_f64 v[38:39], v[2:3], v[38:39], -v[40:41]
	v_fma_f64 v[24:25], v[24:25], v[167:168], v[32:33]
	v_add_f64_e32 v[30:31], v[26:27], v[30:31]
	v_add_f64_e32 v[40:41], v[28:29], v[173:174]
	ds_load_b128 v[2:5], v1 offset:1776
	ds_load_b128 v[26:29], v1 offset:1792
	v_fma_f64 v[22:23], v[22:23], v[167:168], -v[163:164]
	s_wait_loadcnt_dscnt 0x401
	v_mul_f64_e32 v[169:170], v[2:3], v[36:37]
	v_mul_f64_e32 v[36:37], v[4:5], v[36:37]
	v_add_f64_e32 v[30:31], v[30:31], v[38:39]
	v_add_f64_e32 v[32:33], v[40:41], v[165:166]
	s_wait_loadcnt_dscnt 0x300
	v_mul_f64_e32 v[38:39], v[26:27], v[8:9]
	v_mul_f64_e32 v[8:9], v[28:29], v[8:9]
	v_fma_f64 v[40:41], v[4:5], v[34:35], v[169:170]
	v_fma_f64 v[34:35], v[2:3], v[34:35], -v[36:37]
	v_add_f64_e32 v[30:31], v[30:31], v[22:23]
	v_add_f64_e32 v[32:33], v[32:33], v[24:25]
	ds_load_b128 v[2:5], v1 offset:1808
	ds_load_b128 v[22:25], v1 offset:1824
	v_fma_f64 v[28:29], v[28:29], v[6:7], v[38:39]
	v_fma_f64 v[6:7], v[26:27], v[6:7], -v[8:9]
	s_wait_loadcnt_dscnt 0x201
	v_mul_f64_e32 v[36:37], v[2:3], v[12:13]
	v_mul_f64_e32 v[12:13], v[4:5], v[12:13]
	v_add_f64_e32 v[8:9], v[30:31], v[34:35]
	v_add_f64_e32 v[26:27], v[32:33], v[40:41]
	s_wait_loadcnt_dscnt 0x100
	v_mul_f64_e32 v[30:31], v[22:23], v[16:17]
	v_mul_f64_e32 v[16:17], v[24:25], v[16:17]
	v_fma_f64 v[32:33], v[4:5], v[10:11], v[36:37]
	v_fma_f64 v[10:11], v[2:3], v[10:11], -v[12:13]
	ds_load_b128 v[2:5], v1 offset:1840
	v_add_f64_e32 v[6:7], v[8:9], v[6:7]
	v_add_f64_e32 v[8:9], v[26:27], v[28:29]
	v_fma_f64 v[24:25], v[24:25], v[14:15], v[30:31]
	v_fma_f64 v[14:15], v[22:23], v[14:15], -v[16:17]
	s_wait_loadcnt_dscnt 0x0
	v_mul_f64_e32 v[12:13], v[2:3], v[20:21]
	v_mul_f64_e32 v[20:21], v[4:5], v[20:21]
	v_add_f64_e32 v[6:7], v[6:7], v[10:11]
	v_add_f64_e32 v[8:9], v[8:9], v[32:33]
	s_delay_alu instid0(VALU_DEP_4) | instskip(NEXT) | instid1(VALU_DEP_4)
	v_fma_f64 v[4:5], v[4:5], v[18:19], v[12:13]
	v_fma_f64 v[2:3], v[2:3], v[18:19], -v[20:21]
	s_delay_alu instid0(VALU_DEP_4) | instskip(NEXT) | instid1(VALU_DEP_4)
	v_add_f64_e32 v[6:7], v[6:7], v[14:15]
	v_add_f64_e32 v[8:9], v[8:9], v[24:25]
	s_delay_alu instid0(VALU_DEP_2) | instskip(NEXT) | instid1(VALU_DEP_2)
	v_add_f64_e32 v[2:3], v[6:7], v[2:3]
	v_add_f64_e32 v[4:5], v[8:9], v[4:5]
	s_delay_alu instid0(VALU_DEP_2) | instskip(NEXT) | instid1(VALU_DEP_2)
	v_add_f64_e64 v[2:3], v[42:43], -v[2:3]
	v_add_f64_e64 v[4:5], v[44:45], -v[4:5]
	scratch_store_b128 off, v[2:5], off offset:688
	v_cmpx_lt_u32_e32 41, v0
	s_cbranch_execz .LBB121_279
; %bb.278:
	scratch_load_b128 v[5:8], off, s29
	v_dual_mov_b32 v2, v1 :: v_dual_mov_b32 v3, v1
	v_mov_b32_e32 v4, v1
	scratch_store_b128 off, v[1:4], off offset:672
	s_wait_loadcnt 0x0
	ds_store_b128 v162, v[5:8]
.LBB121_279:
	s_wait_alu 0xfffe
	s_or_b32 exec_lo, exec_lo, s0
	s_wait_storecnt_dscnt 0x0
	s_barrier_signal -1
	s_barrier_wait -1
	global_inv scope:SCOPE_SE
	s_clause 0x8
	scratch_load_b128 v[2:5], off, off offset:688
	scratch_load_b128 v[6:9], off, off offset:704
	;; [unrolled: 1-line block ×9, first 2 shown]
	ds_load_b128 v[38:41], v1 offset:1600
	ds_load_b128 v[42:45], v1 offset:1616
	s_clause 0x1
	scratch_load_b128 v[163:166], off, off offset:672
	scratch_load_b128 v[167:170], off, off offset:832
	s_mov_b32 s0, exec_lo
	s_wait_loadcnt_dscnt 0xa01
	v_mul_f64_e32 v[171:172], v[40:41], v[4:5]
	v_mul_f64_e32 v[4:5], v[38:39], v[4:5]
	s_wait_loadcnt_dscnt 0x900
	v_mul_f64_e32 v[175:176], v[42:43], v[8:9]
	v_mul_f64_e32 v[8:9], v[44:45], v[8:9]
	s_delay_alu instid0(VALU_DEP_4) | instskip(NEXT) | instid1(VALU_DEP_4)
	v_fma_f64 v[177:178], v[38:39], v[2:3], -v[171:172]
	v_fma_f64 v[179:180], v[40:41], v[2:3], v[4:5]
	ds_load_b128 v[2:5], v1 offset:1632
	ds_load_b128 v[171:174], v1 offset:1648
	scratch_load_b128 v[38:41], off, off offset:848
	v_fma_f64 v[44:45], v[44:45], v[6:7], v[175:176]
	v_fma_f64 v[42:43], v[42:43], v[6:7], -v[8:9]
	scratch_load_b128 v[6:9], off, off offset:864
	s_wait_loadcnt_dscnt 0xa01
	v_mul_f64_e32 v[181:182], v[2:3], v[12:13]
	v_mul_f64_e32 v[12:13], v[4:5], v[12:13]
	v_add_f64_e32 v[175:176], 0, v[177:178]
	v_add_f64_e32 v[177:178], 0, v[179:180]
	s_wait_loadcnt_dscnt 0x900
	v_mul_f64_e32 v[179:180], v[171:172], v[16:17]
	v_mul_f64_e32 v[16:17], v[173:174], v[16:17]
	v_fma_f64 v[181:182], v[4:5], v[10:11], v[181:182]
	v_fma_f64 v[183:184], v[2:3], v[10:11], -v[12:13]
	ds_load_b128 v[2:5], v1 offset:1664
	scratch_load_b128 v[10:13], off, off offset:880
	v_add_f64_e32 v[175:176], v[175:176], v[42:43]
	v_add_f64_e32 v[177:178], v[177:178], v[44:45]
	ds_load_b128 v[42:45], v1 offset:1680
	v_fma_f64 v[173:174], v[173:174], v[14:15], v[179:180]
	v_fma_f64 v[171:172], v[171:172], v[14:15], -v[16:17]
	scratch_load_b128 v[14:17], off, off offset:896
	s_wait_loadcnt_dscnt 0xa01
	v_mul_f64_e32 v[185:186], v[2:3], v[20:21]
	v_mul_f64_e32 v[20:21], v[4:5], v[20:21]
	s_wait_loadcnt_dscnt 0x900
	v_mul_f64_e32 v[179:180], v[42:43], v[24:25]
	v_mul_f64_e32 v[24:25], v[44:45], v[24:25]
	v_add_f64_e32 v[175:176], v[175:176], v[183:184]
	v_add_f64_e32 v[177:178], v[177:178], v[181:182]
	v_fma_f64 v[181:182], v[4:5], v[18:19], v[185:186]
	v_fma_f64 v[183:184], v[2:3], v[18:19], -v[20:21]
	ds_load_b128 v[2:5], v1 offset:1696
	scratch_load_b128 v[18:21], off, off offset:912
	v_fma_f64 v[44:45], v[44:45], v[22:23], v[179:180]
	v_fma_f64 v[42:43], v[42:43], v[22:23], -v[24:25]
	scratch_load_b128 v[22:25], off, off offset:928
	v_add_f64_e32 v[175:176], v[175:176], v[171:172]
	v_add_f64_e32 v[177:178], v[177:178], v[173:174]
	ds_load_b128 v[171:174], v1 offset:1712
	s_wait_loadcnt_dscnt 0xa01
	v_mul_f64_e32 v[185:186], v[2:3], v[28:29]
	v_mul_f64_e32 v[28:29], v[4:5], v[28:29]
	s_wait_loadcnt_dscnt 0x900
	v_mul_f64_e32 v[179:180], v[171:172], v[32:33]
	v_mul_f64_e32 v[32:33], v[173:174], v[32:33]
	v_add_f64_e32 v[175:176], v[175:176], v[183:184]
	v_add_f64_e32 v[177:178], v[177:178], v[181:182]
	v_fma_f64 v[181:182], v[4:5], v[26:27], v[185:186]
	v_fma_f64 v[183:184], v[2:3], v[26:27], -v[28:29]
	ds_load_b128 v[2:5], v1 offset:1728
	ds_load_b128 v[26:29], v1 offset:1744
	v_fma_f64 v[173:174], v[173:174], v[30:31], v[179:180]
	v_fma_f64 v[30:31], v[171:172], v[30:31], -v[32:33]
	v_add_f64_e32 v[42:43], v[175:176], v[42:43]
	v_add_f64_e32 v[44:45], v[177:178], v[44:45]
	s_wait_loadcnt_dscnt 0x801
	v_mul_f64_e32 v[175:176], v[2:3], v[36:37]
	v_mul_f64_e32 v[36:37], v[4:5], v[36:37]
	s_delay_alu instid0(VALU_DEP_4) | instskip(NEXT) | instid1(VALU_DEP_4)
	v_add_f64_e32 v[32:33], v[42:43], v[183:184]
	v_add_f64_e32 v[42:43], v[44:45], v[181:182]
	s_wait_loadcnt_dscnt 0x600
	v_mul_f64_e32 v[44:45], v[26:27], v[169:170]
	v_mul_f64_e32 v[169:170], v[28:29], v[169:170]
	v_fma_f64 v[171:172], v[4:5], v[34:35], v[175:176]
	v_fma_f64 v[34:35], v[2:3], v[34:35], -v[36:37]
	v_add_f64_e32 v[36:37], v[32:33], v[30:31]
	v_add_f64_e32 v[42:43], v[42:43], v[173:174]
	ds_load_b128 v[2:5], v1 offset:1760
	ds_load_b128 v[30:33], v1 offset:1776
	v_fma_f64 v[28:29], v[28:29], v[167:168], v[44:45]
	v_fma_f64 v[26:27], v[26:27], v[167:168], -v[169:170]
	s_wait_loadcnt_dscnt 0x501
	v_mul_f64_e32 v[173:174], v[2:3], v[40:41]
	v_mul_f64_e32 v[40:41], v[4:5], v[40:41]
	v_add_f64_e32 v[34:35], v[36:37], v[34:35]
	v_add_f64_e32 v[36:37], v[42:43], v[171:172]
	s_wait_loadcnt_dscnt 0x400
	v_mul_f64_e32 v[42:43], v[30:31], v[8:9]
	v_mul_f64_e32 v[8:9], v[32:33], v[8:9]
	v_fma_f64 v[44:45], v[4:5], v[38:39], v[173:174]
	v_fma_f64 v[38:39], v[2:3], v[38:39], -v[40:41]
	v_add_f64_e32 v[34:35], v[34:35], v[26:27]
	v_add_f64_e32 v[36:37], v[36:37], v[28:29]
	ds_load_b128 v[2:5], v1 offset:1792
	ds_load_b128 v[26:29], v1 offset:1808
	v_fma_f64 v[32:33], v[32:33], v[6:7], v[42:43]
	v_fma_f64 v[6:7], v[30:31], v[6:7], -v[8:9]
	s_wait_loadcnt_dscnt 0x301
	v_mul_f64_e32 v[40:41], v[2:3], v[12:13]
	v_mul_f64_e32 v[12:13], v[4:5], v[12:13]
	;; [unrolled: 16-line block ×3, first 2 shown]
	s_wait_loadcnt_dscnt 0x0
	v_mul_f64_e32 v[16:17], v[6:7], v[24:25]
	v_mul_f64_e32 v[24:25], v[8:9], v[24:25]
	v_add_f64_e32 v[10:11], v[12:13], v[10:11]
	v_add_f64_e32 v[12:13], v[30:31], v[36:37]
	v_fma_f64 v[4:5], v[4:5], v[18:19], v[32:33]
	v_fma_f64 v[1:2], v[2:3], v[18:19], -v[20:21]
	v_fma_f64 v[8:9], v[8:9], v[22:23], v[16:17]
	v_fma_f64 v[6:7], v[6:7], v[22:23], -v[24:25]
	v_add_f64_e32 v[10:11], v[10:11], v[14:15]
	v_add_f64_e32 v[12:13], v[12:13], v[28:29]
	s_delay_alu instid0(VALU_DEP_2) | instskip(NEXT) | instid1(VALU_DEP_2)
	v_add_f64_e32 v[1:2], v[10:11], v[1:2]
	v_add_f64_e32 v[3:4], v[12:13], v[4:5]
	s_delay_alu instid0(VALU_DEP_2) | instskip(NEXT) | instid1(VALU_DEP_2)
	;; [unrolled: 3-line block ×3, first 2 shown]
	v_add_f64_e64 v[1:2], v[163:164], -v[1:2]
	v_add_f64_e64 v[3:4], v[165:166], -v[3:4]
	scratch_store_b128 off, v[1:4], off offset:672
	v_cmpx_lt_u32_e32 40, v0
	s_cbranch_execz .LBB121_281
; %bb.280:
	scratch_load_b128 v[1:4], off, s30
	v_mov_b32_e32 v5, 0
	s_delay_alu instid0(VALU_DEP_1)
	v_dual_mov_b32 v6, v5 :: v_dual_mov_b32 v7, v5
	v_mov_b32_e32 v8, v5
	scratch_store_b128 off, v[5:8], off offset:656
	s_wait_loadcnt 0x0
	ds_store_b128 v162, v[1:4]
.LBB121_281:
	s_wait_alu 0xfffe
	s_or_b32 exec_lo, exec_lo, s0
	s_wait_storecnt_dscnt 0x0
	s_barrier_signal -1
	s_barrier_wait -1
	global_inv scope:SCOPE_SE
	s_clause 0x7
	scratch_load_b128 v[2:5], off, off offset:672
	scratch_load_b128 v[6:9], off, off offset:688
	;; [unrolled: 1-line block ×8, first 2 shown]
	v_mov_b32_e32 v1, 0
	s_mov_b32 s0, exec_lo
	ds_load_b128 v[34:37], v1 offset:1584
	s_clause 0x1
	scratch_load_b128 v[38:41], off, off offset:800
	scratch_load_b128 v[42:45], off, off offset:656
	ds_load_b128 v[163:166], v1 offset:1600
	scratch_load_b128 v[167:170], off, off offset:816
	s_wait_loadcnt_dscnt 0xa01
	v_mul_f64_e32 v[171:172], v[36:37], v[4:5]
	v_mul_f64_e32 v[4:5], v[34:35], v[4:5]
	s_delay_alu instid0(VALU_DEP_2) | instskip(NEXT) | instid1(VALU_DEP_2)
	v_fma_f64 v[177:178], v[34:35], v[2:3], -v[171:172]
	v_fma_f64 v[179:180], v[36:37], v[2:3], v[4:5]
	ds_load_b128 v[2:5], v1 offset:1616
	s_wait_loadcnt_dscnt 0x901
	v_mul_f64_e32 v[175:176], v[163:164], v[8:9]
	v_mul_f64_e32 v[8:9], v[165:166], v[8:9]
	scratch_load_b128 v[34:37], off, off offset:832
	ds_load_b128 v[171:174], v1 offset:1632
	s_wait_loadcnt_dscnt 0x901
	v_mul_f64_e32 v[181:182], v[2:3], v[12:13]
	v_mul_f64_e32 v[12:13], v[4:5], v[12:13]
	v_fma_f64 v[165:166], v[165:166], v[6:7], v[175:176]
	v_fma_f64 v[163:164], v[163:164], v[6:7], -v[8:9]
	v_add_f64_e32 v[175:176], 0, v[177:178]
	v_add_f64_e32 v[177:178], 0, v[179:180]
	scratch_load_b128 v[6:9], off, off offset:848
	v_fma_f64 v[181:182], v[4:5], v[10:11], v[181:182]
	v_fma_f64 v[183:184], v[2:3], v[10:11], -v[12:13]
	ds_load_b128 v[2:5], v1 offset:1648
	s_wait_loadcnt_dscnt 0x901
	v_mul_f64_e32 v[179:180], v[171:172], v[16:17]
	v_mul_f64_e32 v[16:17], v[173:174], v[16:17]
	scratch_load_b128 v[10:13], off, off offset:864
	v_add_f64_e32 v[175:176], v[175:176], v[163:164]
	v_add_f64_e32 v[177:178], v[177:178], v[165:166]
	s_wait_loadcnt_dscnt 0x900
	v_mul_f64_e32 v[185:186], v[2:3], v[20:21]
	v_mul_f64_e32 v[20:21], v[4:5], v[20:21]
	ds_load_b128 v[163:166], v1 offset:1664
	v_fma_f64 v[173:174], v[173:174], v[14:15], v[179:180]
	v_fma_f64 v[171:172], v[171:172], v[14:15], -v[16:17]
	scratch_load_b128 v[14:17], off, off offset:880
	v_add_f64_e32 v[175:176], v[175:176], v[183:184]
	v_add_f64_e32 v[177:178], v[177:178], v[181:182]
	v_fma_f64 v[181:182], v[4:5], v[18:19], v[185:186]
	v_fma_f64 v[183:184], v[2:3], v[18:19], -v[20:21]
	ds_load_b128 v[2:5], v1 offset:1680
	s_wait_loadcnt_dscnt 0x901
	v_mul_f64_e32 v[179:180], v[163:164], v[24:25]
	v_mul_f64_e32 v[24:25], v[165:166], v[24:25]
	scratch_load_b128 v[18:21], off, off offset:896
	s_wait_loadcnt_dscnt 0x900
	v_mul_f64_e32 v[185:186], v[2:3], v[28:29]
	v_mul_f64_e32 v[28:29], v[4:5], v[28:29]
	v_add_f64_e32 v[175:176], v[175:176], v[171:172]
	v_add_f64_e32 v[177:178], v[177:178], v[173:174]
	ds_load_b128 v[171:174], v1 offset:1696
	v_fma_f64 v[165:166], v[165:166], v[22:23], v[179:180]
	v_fma_f64 v[163:164], v[163:164], v[22:23], -v[24:25]
	scratch_load_b128 v[22:25], off, off offset:912
	v_add_f64_e32 v[175:176], v[175:176], v[183:184]
	v_add_f64_e32 v[177:178], v[177:178], v[181:182]
	v_fma_f64 v[181:182], v[4:5], v[26:27], v[185:186]
	v_fma_f64 v[183:184], v[2:3], v[26:27], -v[28:29]
	ds_load_b128 v[2:5], v1 offset:1712
	s_wait_loadcnt_dscnt 0x901
	v_mul_f64_e32 v[179:180], v[171:172], v[32:33]
	v_mul_f64_e32 v[32:33], v[173:174], v[32:33]
	scratch_load_b128 v[26:29], off, off offset:928
	s_wait_loadcnt_dscnt 0x900
	v_mul_f64_e32 v[185:186], v[2:3], v[40:41]
	v_mul_f64_e32 v[40:41], v[4:5], v[40:41]
	v_add_f64_e32 v[175:176], v[175:176], v[163:164]
	v_add_f64_e32 v[177:178], v[177:178], v[165:166]
	ds_load_b128 v[163:166], v1 offset:1728
	v_fma_f64 v[173:174], v[173:174], v[30:31], v[179:180]
	v_fma_f64 v[30:31], v[171:172], v[30:31], -v[32:33]
	v_add_f64_e32 v[32:33], v[175:176], v[183:184]
	v_add_f64_e32 v[171:172], v[177:178], v[181:182]
	s_wait_loadcnt_dscnt 0x700
	v_mul_f64_e32 v[175:176], v[163:164], v[169:170]
	v_mul_f64_e32 v[169:170], v[165:166], v[169:170]
	v_fma_f64 v[177:178], v[4:5], v[38:39], v[185:186]
	v_fma_f64 v[38:39], v[2:3], v[38:39], -v[40:41]
	v_add_f64_e32 v[40:41], v[32:33], v[30:31]
	v_add_f64_e32 v[171:172], v[171:172], v[173:174]
	ds_load_b128 v[2:5], v1 offset:1744
	ds_load_b128 v[30:33], v1 offset:1760
	v_fma_f64 v[165:166], v[165:166], v[167:168], v[175:176]
	v_fma_f64 v[163:164], v[163:164], v[167:168], -v[169:170]
	s_wait_loadcnt_dscnt 0x601
	v_mul_f64_e32 v[173:174], v[2:3], v[36:37]
	v_mul_f64_e32 v[36:37], v[4:5], v[36:37]
	v_add_f64_e32 v[38:39], v[40:41], v[38:39]
	v_add_f64_e32 v[40:41], v[171:172], v[177:178]
	s_wait_loadcnt_dscnt 0x500
	v_mul_f64_e32 v[167:168], v[30:31], v[8:9]
	v_mul_f64_e32 v[8:9], v[32:33], v[8:9]
	v_fma_f64 v[169:170], v[4:5], v[34:35], v[173:174]
	v_fma_f64 v[171:172], v[2:3], v[34:35], -v[36:37]
	ds_load_b128 v[2:5], v1 offset:1776
	ds_load_b128 v[34:37], v1 offset:1792
	v_add_f64_e32 v[38:39], v[38:39], v[163:164]
	v_add_f64_e32 v[40:41], v[40:41], v[165:166]
	s_wait_loadcnt_dscnt 0x401
	v_mul_f64_e32 v[163:164], v[2:3], v[12:13]
	v_mul_f64_e32 v[12:13], v[4:5], v[12:13]
	v_fma_f64 v[32:33], v[32:33], v[6:7], v[167:168]
	v_fma_f64 v[6:7], v[30:31], v[6:7], -v[8:9]
	v_add_f64_e32 v[8:9], v[38:39], v[171:172]
	v_add_f64_e32 v[30:31], v[40:41], v[169:170]
	s_wait_loadcnt_dscnt 0x300
	v_mul_f64_e32 v[38:39], v[34:35], v[16:17]
	v_mul_f64_e32 v[16:17], v[36:37], v[16:17]
	v_fma_f64 v[40:41], v[4:5], v[10:11], v[163:164]
	v_fma_f64 v[10:11], v[2:3], v[10:11], -v[12:13]
	v_add_f64_e32 v[12:13], v[8:9], v[6:7]
	v_add_f64_e32 v[30:31], v[30:31], v[32:33]
	ds_load_b128 v[2:5], v1 offset:1808
	ds_load_b128 v[6:9], v1 offset:1824
	v_fma_f64 v[36:37], v[36:37], v[14:15], v[38:39]
	v_fma_f64 v[14:15], v[34:35], v[14:15], -v[16:17]
	s_wait_loadcnt_dscnt 0x201
	v_mul_f64_e32 v[32:33], v[2:3], v[20:21]
	v_mul_f64_e32 v[20:21], v[4:5], v[20:21]
	s_wait_loadcnt_dscnt 0x100
	v_mul_f64_e32 v[16:17], v[6:7], v[24:25]
	v_mul_f64_e32 v[24:25], v[8:9], v[24:25]
	v_add_f64_e32 v[10:11], v[12:13], v[10:11]
	v_add_f64_e32 v[12:13], v[30:31], v[40:41]
	v_fma_f64 v[30:31], v[4:5], v[18:19], v[32:33]
	v_fma_f64 v[18:19], v[2:3], v[18:19], -v[20:21]
	ds_load_b128 v[2:5], v1 offset:1840
	v_fma_f64 v[8:9], v[8:9], v[22:23], v[16:17]
	v_fma_f64 v[6:7], v[6:7], v[22:23], -v[24:25]
	v_add_f64_e32 v[10:11], v[10:11], v[14:15]
	v_add_f64_e32 v[12:13], v[12:13], v[36:37]
	s_wait_loadcnt_dscnt 0x0
	v_mul_f64_e32 v[14:15], v[2:3], v[28:29]
	v_mul_f64_e32 v[20:21], v[4:5], v[28:29]
	s_delay_alu instid0(VALU_DEP_4) | instskip(NEXT) | instid1(VALU_DEP_4)
	v_add_f64_e32 v[10:11], v[10:11], v[18:19]
	v_add_f64_e32 v[12:13], v[12:13], v[30:31]
	s_delay_alu instid0(VALU_DEP_4) | instskip(NEXT) | instid1(VALU_DEP_4)
	v_fma_f64 v[4:5], v[4:5], v[26:27], v[14:15]
	v_fma_f64 v[2:3], v[2:3], v[26:27], -v[20:21]
	s_delay_alu instid0(VALU_DEP_4) | instskip(NEXT) | instid1(VALU_DEP_4)
	v_add_f64_e32 v[6:7], v[10:11], v[6:7]
	v_add_f64_e32 v[8:9], v[12:13], v[8:9]
	s_delay_alu instid0(VALU_DEP_2) | instskip(NEXT) | instid1(VALU_DEP_2)
	v_add_f64_e32 v[2:3], v[6:7], v[2:3]
	v_add_f64_e32 v[4:5], v[8:9], v[4:5]
	s_delay_alu instid0(VALU_DEP_2) | instskip(NEXT) | instid1(VALU_DEP_2)
	v_add_f64_e64 v[2:3], v[42:43], -v[2:3]
	v_add_f64_e64 v[4:5], v[44:45], -v[4:5]
	scratch_store_b128 off, v[2:5], off offset:656
	v_cmpx_lt_u32_e32 39, v0
	s_cbranch_execz .LBB121_283
; %bb.282:
	scratch_load_b128 v[5:8], off, s31
	v_dual_mov_b32 v2, v1 :: v_dual_mov_b32 v3, v1
	v_mov_b32_e32 v4, v1
	scratch_store_b128 off, v[1:4], off offset:640
	s_wait_loadcnt 0x0
	ds_store_b128 v162, v[5:8]
.LBB121_283:
	s_wait_alu 0xfffe
	s_or_b32 exec_lo, exec_lo, s0
	s_wait_storecnt_dscnt 0x0
	s_barrier_signal -1
	s_barrier_wait -1
	global_inv scope:SCOPE_SE
	s_clause 0x8
	scratch_load_b128 v[2:5], off, off offset:656
	scratch_load_b128 v[6:9], off, off offset:672
	;; [unrolled: 1-line block ×9, first 2 shown]
	ds_load_b128 v[38:41], v1 offset:1568
	ds_load_b128 v[42:45], v1 offset:1584
	s_clause 0x1
	scratch_load_b128 v[163:166], off, off offset:640
	scratch_load_b128 v[167:170], off, off offset:800
	s_mov_b32 s0, exec_lo
	s_wait_loadcnt_dscnt 0xa01
	v_mul_f64_e32 v[171:172], v[40:41], v[4:5]
	v_mul_f64_e32 v[4:5], v[38:39], v[4:5]
	s_wait_loadcnt_dscnt 0x900
	v_mul_f64_e32 v[175:176], v[42:43], v[8:9]
	v_mul_f64_e32 v[8:9], v[44:45], v[8:9]
	s_delay_alu instid0(VALU_DEP_4) | instskip(NEXT) | instid1(VALU_DEP_4)
	v_fma_f64 v[177:178], v[38:39], v[2:3], -v[171:172]
	v_fma_f64 v[179:180], v[40:41], v[2:3], v[4:5]
	ds_load_b128 v[2:5], v1 offset:1600
	ds_load_b128 v[171:174], v1 offset:1616
	scratch_load_b128 v[38:41], off, off offset:816
	v_fma_f64 v[44:45], v[44:45], v[6:7], v[175:176]
	v_fma_f64 v[42:43], v[42:43], v[6:7], -v[8:9]
	scratch_load_b128 v[6:9], off, off offset:832
	s_wait_loadcnt_dscnt 0xa01
	v_mul_f64_e32 v[181:182], v[2:3], v[12:13]
	v_mul_f64_e32 v[12:13], v[4:5], v[12:13]
	v_add_f64_e32 v[175:176], 0, v[177:178]
	v_add_f64_e32 v[177:178], 0, v[179:180]
	s_wait_loadcnt_dscnt 0x900
	v_mul_f64_e32 v[179:180], v[171:172], v[16:17]
	v_mul_f64_e32 v[16:17], v[173:174], v[16:17]
	v_fma_f64 v[181:182], v[4:5], v[10:11], v[181:182]
	v_fma_f64 v[183:184], v[2:3], v[10:11], -v[12:13]
	ds_load_b128 v[2:5], v1 offset:1632
	scratch_load_b128 v[10:13], off, off offset:848
	v_add_f64_e32 v[175:176], v[175:176], v[42:43]
	v_add_f64_e32 v[177:178], v[177:178], v[44:45]
	ds_load_b128 v[42:45], v1 offset:1648
	v_fma_f64 v[173:174], v[173:174], v[14:15], v[179:180]
	v_fma_f64 v[171:172], v[171:172], v[14:15], -v[16:17]
	scratch_load_b128 v[14:17], off, off offset:864
	s_wait_loadcnt_dscnt 0xa01
	v_mul_f64_e32 v[185:186], v[2:3], v[20:21]
	v_mul_f64_e32 v[20:21], v[4:5], v[20:21]
	s_wait_loadcnt_dscnt 0x900
	v_mul_f64_e32 v[179:180], v[42:43], v[24:25]
	v_mul_f64_e32 v[24:25], v[44:45], v[24:25]
	v_add_f64_e32 v[175:176], v[175:176], v[183:184]
	v_add_f64_e32 v[177:178], v[177:178], v[181:182]
	v_fma_f64 v[181:182], v[4:5], v[18:19], v[185:186]
	v_fma_f64 v[183:184], v[2:3], v[18:19], -v[20:21]
	ds_load_b128 v[2:5], v1 offset:1664
	scratch_load_b128 v[18:21], off, off offset:880
	v_fma_f64 v[44:45], v[44:45], v[22:23], v[179:180]
	v_fma_f64 v[42:43], v[42:43], v[22:23], -v[24:25]
	scratch_load_b128 v[22:25], off, off offset:896
	v_add_f64_e32 v[175:176], v[175:176], v[171:172]
	v_add_f64_e32 v[177:178], v[177:178], v[173:174]
	ds_load_b128 v[171:174], v1 offset:1680
	s_wait_loadcnt_dscnt 0xa01
	v_mul_f64_e32 v[185:186], v[2:3], v[28:29]
	v_mul_f64_e32 v[28:29], v[4:5], v[28:29]
	s_wait_loadcnt_dscnt 0x900
	v_mul_f64_e32 v[179:180], v[171:172], v[32:33]
	v_mul_f64_e32 v[32:33], v[173:174], v[32:33]
	v_add_f64_e32 v[175:176], v[175:176], v[183:184]
	v_add_f64_e32 v[177:178], v[177:178], v[181:182]
	v_fma_f64 v[181:182], v[4:5], v[26:27], v[185:186]
	v_fma_f64 v[183:184], v[2:3], v[26:27], -v[28:29]
	ds_load_b128 v[2:5], v1 offset:1696
	scratch_load_b128 v[26:29], off, off offset:912
	v_fma_f64 v[173:174], v[173:174], v[30:31], v[179:180]
	v_fma_f64 v[171:172], v[171:172], v[30:31], -v[32:33]
	scratch_load_b128 v[30:33], off, off offset:928
	v_add_f64_e32 v[175:176], v[175:176], v[42:43]
	v_add_f64_e32 v[177:178], v[177:178], v[44:45]
	ds_load_b128 v[42:45], v1 offset:1712
	s_wait_loadcnt_dscnt 0xa01
	v_mul_f64_e32 v[185:186], v[2:3], v[36:37]
	v_mul_f64_e32 v[36:37], v[4:5], v[36:37]
	s_wait_loadcnt_dscnt 0x800
	v_mul_f64_e32 v[179:180], v[42:43], v[169:170]
	v_mul_f64_e32 v[169:170], v[44:45], v[169:170]
	v_add_f64_e32 v[175:176], v[175:176], v[183:184]
	v_add_f64_e32 v[177:178], v[177:178], v[181:182]
	v_fma_f64 v[181:182], v[4:5], v[34:35], v[185:186]
	v_fma_f64 v[183:184], v[2:3], v[34:35], -v[36:37]
	ds_load_b128 v[2:5], v1 offset:1728
	ds_load_b128 v[34:37], v1 offset:1744
	v_fma_f64 v[44:45], v[44:45], v[167:168], v[179:180]
	v_fma_f64 v[42:43], v[42:43], v[167:168], -v[169:170]
	v_add_f64_e32 v[171:172], v[175:176], v[171:172]
	v_add_f64_e32 v[173:174], v[177:178], v[173:174]
	s_wait_loadcnt_dscnt 0x701
	v_mul_f64_e32 v[175:176], v[2:3], v[40:41]
	v_mul_f64_e32 v[40:41], v[4:5], v[40:41]
	s_delay_alu instid0(VALU_DEP_4) | instskip(NEXT) | instid1(VALU_DEP_4)
	v_add_f64_e32 v[167:168], v[171:172], v[183:184]
	v_add_f64_e32 v[169:170], v[173:174], v[181:182]
	s_wait_loadcnt_dscnt 0x600
	v_mul_f64_e32 v[171:172], v[34:35], v[8:9]
	v_mul_f64_e32 v[8:9], v[36:37], v[8:9]
	v_fma_f64 v[173:174], v[4:5], v[38:39], v[175:176]
	v_fma_f64 v[175:176], v[2:3], v[38:39], -v[40:41]
	ds_load_b128 v[2:5], v1 offset:1760
	ds_load_b128 v[38:41], v1 offset:1776
	v_add_f64_e32 v[42:43], v[167:168], v[42:43]
	v_add_f64_e32 v[44:45], v[169:170], v[44:45]
	v_fma_f64 v[36:37], v[36:37], v[6:7], v[171:172]
	s_wait_loadcnt_dscnt 0x501
	v_mul_f64_e32 v[167:168], v[2:3], v[12:13]
	v_mul_f64_e32 v[12:13], v[4:5], v[12:13]
	v_fma_f64 v[6:7], v[34:35], v[6:7], -v[8:9]
	v_add_f64_e32 v[8:9], v[42:43], v[175:176]
	v_add_f64_e32 v[34:35], v[44:45], v[173:174]
	s_wait_loadcnt_dscnt 0x400
	v_mul_f64_e32 v[42:43], v[38:39], v[16:17]
	v_mul_f64_e32 v[16:17], v[40:41], v[16:17]
	v_fma_f64 v[44:45], v[4:5], v[10:11], v[167:168]
	v_fma_f64 v[10:11], v[2:3], v[10:11], -v[12:13]
	v_add_f64_e32 v[12:13], v[8:9], v[6:7]
	v_add_f64_e32 v[34:35], v[34:35], v[36:37]
	ds_load_b128 v[2:5], v1 offset:1792
	ds_load_b128 v[6:9], v1 offset:1808
	v_fma_f64 v[40:41], v[40:41], v[14:15], v[42:43]
	v_fma_f64 v[14:15], v[38:39], v[14:15], -v[16:17]
	s_wait_loadcnt_dscnt 0x301
	v_mul_f64_e32 v[36:37], v[2:3], v[20:21]
	v_mul_f64_e32 v[20:21], v[4:5], v[20:21]
	s_wait_loadcnt_dscnt 0x200
	v_mul_f64_e32 v[16:17], v[6:7], v[24:25]
	v_mul_f64_e32 v[24:25], v[8:9], v[24:25]
	v_add_f64_e32 v[10:11], v[12:13], v[10:11]
	v_add_f64_e32 v[12:13], v[34:35], v[44:45]
	v_fma_f64 v[34:35], v[4:5], v[18:19], v[36:37]
	v_fma_f64 v[18:19], v[2:3], v[18:19], -v[20:21]
	v_fma_f64 v[8:9], v[8:9], v[22:23], v[16:17]
	v_fma_f64 v[6:7], v[6:7], v[22:23], -v[24:25]
	v_add_f64_e32 v[14:15], v[10:11], v[14:15]
	v_add_f64_e32 v[20:21], v[12:13], v[40:41]
	ds_load_b128 v[2:5], v1 offset:1824
	ds_load_b128 v[10:13], v1 offset:1840
	s_wait_loadcnt_dscnt 0x101
	v_mul_f64_e32 v[36:37], v[2:3], v[28:29]
	v_mul_f64_e32 v[28:29], v[4:5], v[28:29]
	v_add_f64_e32 v[14:15], v[14:15], v[18:19]
	v_add_f64_e32 v[16:17], v[20:21], v[34:35]
	s_wait_loadcnt_dscnt 0x0
	v_mul_f64_e32 v[18:19], v[10:11], v[32:33]
	v_mul_f64_e32 v[20:21], v[12:13], v[32:33]
	v_fma_f64 v[4:5], v[4:5], v[26:27], v[36:37]
	v_fma_f64 v[1:2], v[2:3], v[26:27], -v[28:29]
	v_add_f64_e32 v[6:7], v[14:15], v[6:7]
	v_add_f64_e32 v[8:9], v[16:17], v[8:9]
	v_fma_f64 v[12:13], v[12:13], v[30:31], v[18:19]
	v_fma_f64 v[10:11], v[10:11], v[30:31], -v[20:21]
	s_delay_alu instid0(VALU_DEP_4) | instskip(NEXT) | instid1(VALU_DEP_4)
	v_add_f64_e32 v[1:2], v[6:7], v[1:2]
	v_add_f64_e32 v[3:4], v[8:9], v[4:5]
	s_delay_alu instid0(VALU_DEP_2) | instskip(NEXT) | instid1(VALU_DEP_2)
	v_add_f64_e32 v[1:2], v[1:2], v[10:11]
	v_add_f64_e32 v[3:4], v[3:4], v[12:13]
	s_delay_alu instid0(VALU_DEP_2) | instskip(NEXT) | instid1(VALU_DEP_2)
	v_add_f64_e64 v[1:2], v[163:164], -v[1:2]
	v_add_f64_e64 v[3:4], v[165:166], -v[3:4]
	scratch_store_b128 off, v[1:4], off offset:640
	v_cmpx_lt_u32_e32 38, v0
	s_cbranch_execz .LBB121_285
; %bb.284:
	scratch_load_b128 v[1:4], off, s33
	v_mov_b32_e32 v5, 0
	s_delay_alu instid0(VALU_DEP_1)
	v_dual_mov_b32 v6, v5 :: v_dual_mov_b32 v7, v5
	v_mov_b32_e32 v8, v5
	scratch_store_b128 off, v[5:8], off offset:624
	s_wait_loadcnt 0x0
	ds_store_b128 v162, v[1:4]
.LBB121_285:
	s_wait_alu 0xfffe
	s_or_b32 exec_lo, exec_lo, s0
	s_wait_storecnt_dscnt 0x0
	s_barrier_signal -1
	s_barrier_wait -1
	global_inv scope:SCOPE_SE
	s_clause 0x7
	scratch_load_b128 v[2:5], off, off offset:640
	scratch_load_b128 v[6:9], off, off offset:656
	;; [unrolled: 1-line block ×8, first 2 shown]
	v_mov_b32_e32 v1, 0
	s_mov_b32 s0, exec_lo
	ds_load_b128 v[34:37], v1 offset:1552
	s_clause 0x1
	scratch_load_b128 v[38:41], off, off offset:768
	scratch_load_b128 v[42:45], off, off offset:624
	ds_load_b128 v[163:166], v1 offset:1568
	scratch_load_b128 v[167:170], off, off offset:784
	s_wait_loadcnt_dscnt 0xa01
	v_mul_f64_e32 v[171:172], v[36:37], v[4:5]
	v_mul_f64_e32 v[4:5], v[34:35], v[4:5]
	s_delay_alu instid0(VALU_DEP_2) | instskip(NEXT) | instid1(VALU_DEP_2)
	v_fma_f64 v[177:178], v[34:35], v[2:3], -v[171:172]
	v_fma_f64 v[179:180], v[36:37], v[2:3], v[4:5]
	ds_load_b128 v[2:5], v1 offset:1584
	s_wait_loadcnt_dscnt 0x901
	v_mul_f64_e32 v[175:176], v[163:164], v[8:9]
	v_mul_f64_e32 v[8:9], v[165:166], v[8:9]
	scratch_load_b128 v[34:37], off, off offset:800
	ds_load_b128 v[171:174], v1 offset:1600
	s_wait_loadcnt_dscnt 0x901
	v_mul_f64_e32 v[181:182], v[2:3], v[12:13]
	v_mul_f64_e32 v[12:13], v[4:5], v[12:13]
	v_fma_f64 v[165:166], v[165:166], v[6:7], v[175:176]
	v_fma_f64 v[163:164], v[163:164], v[6:7], -v[8:9]
	v_add_f64_e32 v[175:176], 0, v[177:178]
	v_add_f64_e32 v[177:178], 0, v[179:180]
	scratch_load_b128 v[6:9], off, off offset:816
	v_fma_f64 v[181:182], v[4:5], v[10:11], v[181:182]
	v_fma_f64 v[183:184], v[2:3], v[10:11], -v[12:13]
	ds_load_b128 v[2:5], v1 offset:1616
	s_wait_loadcnt_dscnt 0x901
	v_mul_f64_e32 v[179:180], v[171:172], v[16:17]
	v_mul_f64_e32 v[16:17], v[173:174], v[16:17]
	scratch_load_b128 v[10:13], off, off offset:832
	v_add_f64_e32 v[175:176], v[175:176], v[163:164]
	v_add_f64_e32 v[177:178], v[177:178], v[165:166]
	s_wait_loadcnt_dscnt 0x900
	v_mul_f64_e32 v[185:186], v[2:3], v[20:21]
	v_mul_f64_e32 v[20:21], v[4:5], v[20:21]
	ds_load_b128 v[163:166], v1 offset:1632
	v_fma_f64 v[173:174], v[173:174], v[14:15], v[179:180]
	v_fma_f64 v[171:172], v[171:172], v[14:15], -v[16:17]
	scratch_load_b128 v[14:17], off, off offset:848
	v_add_f64_e32 v[175:176], v[175:176], v[183:184]
	v_add_f64_e32 v[177:178], v[177:178], v[181:182]
	v_fma_f64 v[181:182], v[4:5], v[18:19], v[185:186]
	v_fma_f64 v[183:184], v[2:3], v[18:19], -v[20:21]
	ds_load_b128 v[2:5], v1 offset:1648
	s_wait_loadcnt_dscnt 0x901
	v_mul_f64_e32 v[179:180], v[163:164], v[24:25]
	v_mul_f64_e32 v[24:25], v[165:166], v[24:25]
	scratch_load_b128 v[18:21], off, off offset:864
	s_wait_loadcnt_dscnt 0x900
	v_mul_f64_e32 v[185:186], v[2:3], v[28:29]
	v_mul_f64_e32 v[28:29], v[4:5], v[28:29]
	v_add_f64_e32 v[175:176], v[175:176], v[171:172]
	v_add_f64_e32 v[177:178], v[177:178], v[173:174]
	ds_load_b128 v[171:174], v1 offset:1664
	v_fma_f64 v[165:166], v[165:166], v[22:23], v[179:180]
	v_fma_f64 v[163:164], v[163:164], v[22:23], -v[24:25]
	scratch_load_b128 v[22:25], off, off offset:880
	v_add_f64_e32 v[175:176], v[175:176], v[183:184]
	v_add_f64_e32 v[177:178], v[177:178], v[181:182]
	v_fma_f64 v[181:182], v[4:5], v[26:27], v[185:186]
	v_fma_f64 v[183:184], v[2:3], v[26:27], -v[28:29]
	ds_load_b128 v[2:5], v1 offset:1680
	s_wait_loadcnt_dscnt 0x901
	v_mul_f64_e32 v[179:180], v[171:172], v[32:33]
	v_mul_f64_e32 v[32:33], v[173:174], v[32:33]
	scratch_load_b128 v[26:29], off, off offset:896
	s_wait_loadcnt_dscnt 0x900
	v_mul_f64_e32 v[185:186], v[2:3], v[40:41]
	v_mul_f64_e32 v[40:41], v[4:5], v[40:41]
	v_add_f64_e32 v[175:176], v[175:176], v[163:164]
	v_add_f64_e32 v[177:178], v[177:178], v[165:166]
	ds_load_b128 v[163:166], v1 offset:1696
	v_fma_f64 v[173:174], v[173:174], v[30:31], v[179:180]
	v_fma_f64 v[171:172], v[171:172], v[30:31], -v[32:33]
	scratch_load_b128 v[30:33], off, off offset:912
	v_add_f64_e32 v[175:176], v[175:176], v[183:184]
	v_add_f64_e32 v[177:178], v[177:178], v[181:182]
	v_fma_f64 v[183:184], v[4:5], v[38:39], v[185:186]
	v_fma_f64 v[185:186], v[2:3], v[38:39], -v[40:41]
	ds_load_b128 v[2:5], v1 offset:1712
	s_wait_loadcnt_dscnt 0x801
	v_mul_f64_e32 v[179:180], v[163:164], v[169:170]
	v_mul_f64_e32 v[181:182], v[165:166], v[169:170]
	scratch_load_b128 v[38:41], off, off offset:928
	v_add_f64_e32 v[175:176], v[175:176], v[171:172]
	v_add_f64_e32 v[173:174], v[177:178], v[173:174]
	ds_load_b128 v[169:172], v1 offset:1728
	v_fma_f64 v[165:166], v[165:166], v[167:168], v[179:180]
	v_fma_f64 v[163:164], v[163:164], v[167:168], -v[181:182]
	s_wait_loadcnt_dscnt 0x801
	v_mul_f64_e32 v[177:178], v[2:3], v[36:37]
	v_mul_f64_e32 v[36:37], v[4:5], v[36:37]
	v_add_f64_e32 v[167:168], v[175:176], v[185:186]
	v_add_f64_e32 v[173:174], v[173:174], v[183:184]
	s_delay_alu instid0(VALU_DEP_4) | instskip(NEXT) | instid1(VALU_DEP_4)
	v_fma_f64 v[177:178], v[4:5], v[34:35], v[177:178]
	v_fma_f64 v[179:180], v[2:3], v[34:35], -v[36:37]
	s_wait_loadcnt_dscnt 0x700
	v_mul_f64_e32 v[175:176], v[169:170], v[8:9]
	v_mul_f64_e32 v[8:9], v[171:172], v[8:9]
	ds_load_b128 v[2:5], v1 offset:1744
	ds_load_b128 v[34:37], v1 offset:1760
	v_add_f64_e32 v[163:164], v[167:168], v[163:164]
	v_add_f64_e32 v[165:166], v[173:174], v[165:166]
	s_wait_loadcnt_dscnt 0x601
	v_mul_f64_e32 v[167:168], v[2:3], v[12:13]
	v_mul_f64_e32 v[12:13], v[4:5], v[12:13]
	v_fma_f64 v[171:172], v[171:172], v[6:7], v[175:176]
	v_fma_f64 v[6:7], v[169:170], v[6:7], -v[8:9]
	v_add_f64_e32 v[8:9], v[163:164], v[179:180]
	v_add_f64_e32 v[163:164], v[165:166], v[177:178]
	s_wait_loadcnt_dscnt 0x500
	v_mul_f64_e32 v[165:166], v[34:35], v[16:17]
	v_mul_f64_e32 v[16:17], v[36:37], v[16:17]
	v_fma_f64 v[167:168], v[4:5], v[10:11], v[167:168]
	v_fma_f64 v[10:11], v[2:3], v[10:11], -v[12:13]
	v_add_f64_e32 v[12:13], v[8:9], v[6:7]
	v_add_f64_e32 v[163:164], v[163:164], v[171:172]
	ds_load_b128 v[2:5], v1 offset:1776
	ds_load_b128 v[6:9], v1 offset:1792
	v_fma_f64 v[36:37], v[36:37], v[14:15], v[165:166]
	v_fma_f64 v[14:15], v[34:35], v[14:15], -v[16:17]
	s_wait_loadcnt_dscnt 0x401
	v_mul_f64_e32 v[169:170], v[2:3], v[20:21]
	v_mul_f64_e32 v[20:21], v[4:5], v[20:21]
	s_wait_loadcnt_dscnt 0x300
	v_mul_f64_e32 v[16:17], v[6:7], v[24:25]
	v_mul_f64_e32 v[24:25], v[8:9], v[24:25]
	v_add_f64_e32 v[10:11], v[12:13], v[10:11]
	v_add_f64_e32 v[12:13], v[163:164], v[167:168]
	v_fma_f64 v[34:35], v[4:5], v[18:19], v[169:170]
	v_fma_f64 v[18:19], v[2:3], v[18:19], -v[20:21]
	v_fma_f64 v[8:9], v[8:9], v[22:23], v[16:17]
	v_fma_f64 v[6:7], v[6:7], v[22:23], -v[24:25]
	v_add_f64_e32 v[14:15], v[10:11], v[14:15]
	v_add_f64_e32 v[20:21], v[12:13], v[36:37]
	ds_load_b128 v[2:5], v1 offset:1808
	ds_load_b128 v[10:13], v1 offset:1824
	s_wait_loadcnt_dscnt 0x201
	v_mul_f64_e32 v[36:37], v[2:3], v[28:29]
	v_mul_f64_e32 v[28:29], v[4:5], v[28:29]
	v_add_f64_e32 v[14:15], v[14:15], v[18:19]
	v_add_f64_e32 v[16:17], v[20:21], v[34:35]
	s_wait_loadcnt_dscnt 0x100
	v_mul_f64_e32 v[18:19], v[10:11], v[32:33]
	v_mul_f64_e32 v[20:21], v[12:13], v[32:33]
	v_fma_f64 v[22:23], v[4:5], v[26:27], v[36:37]
	v_fma_f64 v[24:25], v[2:3], v[26:27], -v[28:29]
	ds_load_b128 v[2:5], v1 offset:1840
	v_add_f64_e32 v[6:7], v[14:15], v[6:7]
	v_add_f64_e32 v[8:9], v[16:17], v[8:9]
	v_fma_f64 v[12:13], v[12:13], v[30:31], v[18:19]
	v_fma_f64 v[10:11], v[10:11], v[30:31], -v[20:21]
	s_wait_loadcnt_dscnt 0x0
	v_mul_f64_e32 v[14:15], v[2:3], v[40:41]
	v_mul_f64_e32 v[16:17], v[4:5], v[40:41]
	v_add_f64_e32 v[6:7], v[6:7], v[24:25]
	v_add_f64_e32 v[8:9], v[8:9], v[22:23]
	s_delay_alu instid0(VALU_DEP_4) | instskip(NEXT) | instid1(VALU_DEP_4)
	v_fma_f64 v[4:5], v[4:5], v[38:39], v[14:15]
	v_fma_f64 v[2:3], v[2:3], v[38:39], -v[16:17]
	s_delay_alu instid0(VALU_DEP_4) | instskip(NEXT) | instid1(VALU_DEP_4)
	v_add_f64_e32 v[6:7], v[6:7], v[10:11]
	v_add_f64_e32 v[8:9], v[8:9], v[12:13]
	s_delay_alu instid0(VALU_DEP_2) | instskip(NEXT) | instid1(VALU_DEP_2)
	v_add_f64_e32 v[2:3], v[6:7], v[2:3]
	v_add_f64_e32 v[4:5], v[8:9], v[4:5]
	s_delay_alu instid0(VALU_DEP_2) | instskip(NEXT) | instid1(VALU_DEP_2)
	v_add_f64_e64 v[2:3], v[42:43], -v[2:3]
	v_add_f64_e64 v[4:5], v[44:45], -v[4:5]
	scratch_store_b128 off, v[2:5], off offset:624
	v_cmpx_lt_u32_e32 37, v0
	s_cbranch_execz .LBB121_287
; %bb.286:
	scratch_load_b128 v[5:8], off, s34
	v_dual_mov_b32 v2, v1 :: v_dual_mov_b32 v3, v1
	v_mov_b32_e32 v4, v1
	scratch_store_b128 off, v[1:4], off offset:608
	s_wait_loadcnt 0x0
	ds_store_b128 v162, v[5:8]
.LBB121_287:
	s_wait_alu 0xfffe
	s_or_b32 exec_lo, exec_lo, s0
	s_wait_storecnt_dscnt 0x0
	s_barrier_signal -1
	s_barrier_wait -1
	global_inv scope:SCOPE_SE
	s_clause 0x8
	scratch_load_b128 v[2:5], off, off offset:624
	scratch_load_b128 v[6:9], off, off offset:640
	;; [unrolled: 1-line block ×9, first 2 shown]
	ds_load_b128 v[38:41], v1 offset:1536
	ds_load_b128 v[42:45], v1 offset:1552
	s_clause 0x1
	scratch_load_b128 v[163:166], off, off offset:608
	scratch_load_b128 v[167:170], off, off offset:768
	s_mov_b32 s0, exec_lo
	s_wait_loadcnt_dscnt 0xa01
	v_mul_f64_e32 v[171:172], v[40:41], v[4:5]
	v_mul_f64_e32 v[4:5], v[38:39], v[4:5]
	s_wait_loadcnt_dscnt 0x900
	v_mul_f64_e32 v[175:176], v[42:43], v[8:9]
	v_mul_f64_e32 v[8:9], v[44:45], v[8:9]
	s_delay_alu instid0(VALU_DEP_4) | instskip(NEXT) | instid1(VALU_DEP_4)
	v_fma_f64 v[177:178], v[38:39], v[2:3], -v[171:172]
	v_fma_f64 v[179:180], v[40:41], v[2:3], v[4:5]
	ds_load_b128 v[2:5], v1 offset:1568
	ds_load_b128 v[171:174], v1 offset:1584
	scratch_load_b128 v[38:41], off, off offset:784
	v_fma_f64 v[44:45], v[44:45], v[6:7], v[175:176]
	v_fma_f64 v[42:43], v[42:43], v[6:7], -v[8:9]
	scratch_load_b128 v[6:9], off, off offset:800
	s_wait_loadcnt_dscnt 0xa01
	v_mul_f64_e32 v[181:182], v[2:3], v[12:13]
	v_mul_f64_e32 v[12:13], v[4:5], v[12:13]
	v_add_f64_e32 v[175:176], 0, v[177:178]
	v_add_f64_e32 v[177:178], 0, v[179:180]
	s_wait_loadcnt_dscnt 0x900
	v_mul_f64_e32 v[179:180], v[171:172], v[16:17]
	v_mul_f64_e32 v[16:17], v[173:174], v[16:17]
	v_fma_f64 v[181:182], v[4:5], v[10:11], v[181:182]
	v_fma_f64 v[183:184], v[2:3], v[10:11], -v[12:13]
	ds_load_b128 v[2:5], v1 offset:1600
	scratch_load_b128 v[10:13], off, off offset:816
	v_add_f64_e32 v[175:176], v[175:176], v[42:43]
	v_add_f64_e32 v[177:178], v[177:178], v[44:45]
	ds_load_b128 v[42:45], v1 offset:1616
	v_fma_f64 v[173:174], v[173:174], v[14:15], v[179:180]
	v_fma_f64 v[171:172], v[171:172], v[14:15], -v[16:17]
	scratch_load_b128 v[14:17], off, off offset:832
	s_wait_loadcnt_dscnt 0xa01
	v_mul_f64_e32 v[185:186], v[2:3], v[20:21]
	v_mul_f64_e32 v[20:21], v[4:5], v[20:21]
	s_wait_loadcnt_dscnt 0x900
	v_mul_f64_e32 v[179:180], v[42:43], v[24:25]
	v_mul_f64_e32 v[24:25], v[44:45], v[24:25]
	v_add_f64_e32 v[175:176], v[175:176], v[183:184]
	v_add_f64_e32 v[177:178], v[177:178], v[181:182]
	v_fma_f64 v[181:182], v[4:5], v[18:19], v[185:186]
	v_fma_f64 v[183:184], v[2:3], v[18:19], -v[20:21]
	ds_load_b128 v[2:5], v1 offset:1632
	scratch_load_b128 v[18:21], off, off offset:848
	v_fma_f64 v[44:45], v[44:45], v[22:23], v[179:180]
	v_fma_f64 v[42:43], v[42:43], v[22:23], -v[24:25]
	scratch_load_b128 v[22:25], off, off offset:864
	v_add_f64_e32 v[175:176], v[175:176], v[171:172]
	v_add_f64_e32 v[177:178], v[177:178], v[173:174]
	ds_load_b128 v[171:174], v1 offset:1648
	s_wait_loadcnt_dscnt 0xa01
	v_mul_f64_e32 v[185:186], v[2:3], v[28:29]
	v_mul_f64_e32 v[28:29], v[4:5], v[28:29]
	s_wait_loadcnt_dscnt 0x900
	v_mul_f64_e32 v[179:180], v[171:172], v[32:33]
	v_mul_f64_e32 v[32:33], v[173:174], v[32:33]
	v_add_f64_e32 v[175:176], v[175:176], v[183:184]
	v_add_f64_e32 v[177:178], v[177:178], v[181:182]
	v_fma_f64 v[181:182], v[4:5], v[26:27], v[185:186]
	v_fma_f64 v[183:184], v[2:3], v[26:27], -v[28:29]
	ds_load_b128 v[2:5], v1 offset:1664
	scratch_load_b128 v[26:29], off, off offset:880
	v_fma_f64 v[173:174], v[173:174], v[30:31], v[179:180]
	v_fma_f64 v[171:172], v[171:172], v[30:31], -v[32:33]
	scratch_load_b128 v[30:33], off, off offset:896
	v_add_f64_e32 v[175:176], v[175:176], v[42:43]
	v_add_f64_e32 v[177:178], v[177:178], v[44:45]
	ds_load_b128 v[42:45], v1 offset:1680
	s_wait_loadcnt_dscnt 0xa01
	v_mul_f64_e32 v[185:186], v[2:3], v[36:37]
	v_mul_f64_e32 v[36:37], v[4:5], v[36:37]
	s_wait_loadcnt_dscnt 0x800
	v_mul_f64_e32 v[179:180], v[42:43], v[169:170]
	v_add_f64_e32 v[175:176], v[175:176], v[183:184]
	v_add_f64_e32 v[177:178], v[177:178], v[181:182]
	v_mul_f64_e32 v[181:182], v[44:45], v[169:170]
	v_fma_f64 v[183:184], v[4:5], v[34:35], v[185:186]
	v_fma_f64 v[185:186], v[2:3], v[34:35], -v[36:37]
	ds_load_b128 v[2:5], v1 offset:1696
	scratch_load_b128 v[34:37], off, off offset:912
	v_fma_f64 v[44:45], v[44:45], v[167:168], v[179:180]
	v_add_f64_e32 v[175:176], v[175:176], v[171:172]
	v_add_f64_e32 v[173:174], v[177:178], v[173:174]
	ds_load_b128 v[169:172], v1 offset:1712
	v_fma_f64 v[167:168], v[42:43], v[167:168], -v[181:182]
	s_wait_loadcnt_dscnt 0x801
	v_mul_f64_e32 v[177:178], v[2:3], v[40:41]
	v_mul_f64_e32 v[187:188], v[4:5], v[40:41]
	scratch_load_b128 v[40:43], off, off offset:928
	s_wait_loadcnt_dscnt 0x800
	v_mul_f64_e32 v[179:180], v[169:170], v[8:9]
	v_mul_f64_e32 v[8:9], v[171:172], v[8:9]
	v_add_f64_e32 v[175:176], v[175:176], v[185:186]
	v_add_f64_e32 v[173:174], v[173:174], v[183:184]
	v_fma_f64 v[177:178], v[4:5], v[38:39], v[177:178]
	v_fma_f64 v[38:39], v[2:3], v[38:39], -v[187:188]
	v_fma_f64 v[171:172], v[171:172], v[6:7], v[179:180]
	v_fma_f64 v[6:7], v[169:170], v[6:7], -v[8:9]
	v_add_f64_e32 v[167:168], v[175:176], v[167:168]
	v_add_f64_e32 v[44:45], v[173:174], v[44:45]
	ds_load_b128 v[2:5], v1 offset:1728
	ds_load_b128 v[173:176], v1 offset:1744
	s_wait_loadcnt_dscnt 0x701
	v_mul_f64_e32 v[181:182], v[2:3], v[12:13]
	v_mul_f64_e32 v[12:13], v[4:5], v[12:13]
	v_add_f64_e32 v[8:9], v[167:168], v[38:39]
	v_add_f64_e32 v[38:39], v[44:45], v[177:178]
	s_wait_loadcnt_dscnt 0x600
	v_mul_f64_e32 v[44:45], v[173:174], v[16:17]
	v_mul_f64_e32 v[16:17], v[175:176], v[16:17]
	v_fma_f64 v[167:168], v[4:5], v[10:11], v[181:182]
	v_fma_f64 v[10:11], v[2:3], v[10:11], -v[12:13]
	v_add_f64_e32 v[12:13], v[8:9], v[6:7]
	v_add_f64_e32 v[38:39], v[38:39], v[171:172]
	ds_load_b128 v[2:5], v1 offset:1760
	ds_load_b128 v[6:9], v1 offset:1776
	v_fma_f64 v[44:45], v[175:176], v[14:15], v[44:45]
	v_fma_f64 v[14:15], v[173:174], v[14:15], -v[16:17]
	s_wait_loadcnt_dscnt 0x501
	v_mul_f64_e32 v[169:170], v[2:3], v[20:21]
	v_mul_f64_e32 v[20:21], v[4:5], v[20:21]
	s_wait_loadcnt_dscnt 0x400
	v_mul_f64_e32 v[16:17], v[6:7], v[24:25]
	v_mul_f64_e32 v[24:25], v[8:9], v[24:25]
	v_add_f64_e32 v[10:11], v[12:13], v[10:11]
	v_add_f64_e32 v[12:13], v[38:39], v[167:168]
	v_fma_f64 v[38:39], v[4:5], v[18:19], v[169:170]
	v_fma_f64 v[18:19], v[2:3], v[18:19], -v[20:21]
	v_fma_f64 v[8:9], v[8:9], v[22:23], v[16:17]
	v_fma_f64 v[6:7], v[6:7], v[22:23], -v[24:25]
	v_add_f64_e32 v[14:15], v[10:11], v[14:15]
	v_add_f64_e32 v[20:21], v[12:13], v[44:45]
	ds_load_b128 v[2:5], v1 offset:1792
	ds_load_b128 v[10:13], v1 offset:1808
	s_wait_loadcnt_dscnt 0x301
	v_mul_f64_e32 v[44:45], v[2:3], v[28:29]
	v_mul_f64_e32 v[28:29], v[4:5], v[28:29]
	v_add_f64_e32 v[14:15], v[14:15], v[18:19]
	v_add_f64_e32 v[16:17], v[20:21], v[38:39]
	s_wait_loadcnt_dscnt 0x200
	v_mul_f64_e32 v[18:19], v[10:11], v[32:33]
	v_mul_f64_e32 v[20:21], v[12:13], v[32:33]
	v_fma_f64 v[22:23], v[4:5], v[26:27], v[44:45]
	v_fma_f64 v[24:25], v[2:3], v[26:27], -v[28:29]
	v_add_f64_e32 v[14:15], v[14:15], v[6:7]
	v_add_f64_e32 v[16:17], v[16:17], v[8:9]
	ds_load_b128 v[2:5], v1 offset:1824
	ds_load_b128 v[6:9], v1 offset:1840
	v_fma_f64 v[12:13], v[12:13], v[30:31], v[18:19]
	v_fma_f64 v[10:11], v[10:11], v[30:31], -v[20:21]
	s_wait_loadcnt_dscnt 0x101
	v_mul_f64_e32 v[26:27], v[2:3], v[36:37]
	v_mul_f64_e32 v[28:29], v[4:5], v[36:37]
	s_wait_loadcnt_dscnt 0x0
	v_mul_f64_e32 v[18:19], v[6:7], v[42:43]
	v_add_f64_e32 v[14:15], v[14:15], v[24:25]
	v_add_f64_e32 v[16:17], v[16:17], v[22:23]
	v_mul_f64_e32 v[20:21], v[8:9], v[42:43]
	v_fma_f64 v[4:5], v[4:5], v[34:35], v[26:27]
	v_fma_f64 v[1:2], v[2:3], v[34:35], -v[28:29]
	v_fma_f64 v[8:9], v[8:9], v[40:41], v[18:19]
	v_add_f64_e32 v[10:11], v[14:15], v[10:11]
	v_add_f64_e32 v[12:13], v[16:17], v[12:13]
	v_fma_f64 v[6:7], v[6:7], v[40:41], -v[20:21]
	s_delay_alu instid0(VALU_DEP_3) | instskip(NEXT) | instid1(VALU_DEP_3)
	v_add_f64_e32 v[1:2], v[10:11], v[1:2]
	v_add_f64_e32 v[3:4], v[12:13], v[4:5]
	s_delay_alu instid0(VALU_DEP_2) | instskip(NEXT) | instid1(VALU_DEP_2)
	v_add_f64_e32 v[1:2], v[1:2], v[6:7]
	v_add_f64_e32 v[3:4], v[3:4], v[8:9]
	s_delay_alu instid0(VALU_DEP_2) | instskip(NEXT) | instid1(VALU_DEP_2)
	v_add_f64_e64 v[1:2], v[163:164], -v[1:2]
	v_add_f64_e64 v[3:4], v[165:166], -v[3:4]
	scratch_store_b128 off, v[1:4], off offset:608
	v_cmpx_lt_u32_e32 36, v0
	s_cbranch_execz .LBB121_289
; %bb.288:
	scratch_load_b128 v[1:4], off, s35
	v_mov_b32_e32 v5, 0
	s_delay_alu instid0(VALU_DEP_1)
	v_dual_mov_b32 v6, v5 :: v_dual_mov_b32 v7, v5
	v_mov_b32_e32 v8, v5
	scratch_store_b128 off, v[5:8], off offset:592
	s_wait_loadcnt 0x0
	ds_store_b128 v162, v[1:4]
.LBB121_289:
	s_wait_alu 0xfffe
	s_or_b32 exec_lo, exec_lo, s0
	s_wait_storecnt_dscnt 0x0
	s_barrier_signal -1
	s_barrier_wait -1
	global_inv scope:SCOPE_SE
	s_clause 0x7
	scratch_load_b128 v[2:5], off, off offset:608
	scratch_load_b128 v[6:9], off, off offset:624
	;; [unrolled: 1-line block ×8, first 2 shown]
	v_mov_b32_e32 v1, 0
	s_mov_b32 s0, exec_lo
	ds_load_b128 v[34:37], v1 offset:1520
	s_clause 0x1
	scratch_load_b128 v[38:41], off, off offset:736
	scratch_load_b128 v[42:45], off, off offset:592
	ds_load_b128 v[163:166], v1 offset:1536
	scratch_load_b128 v[167:170], off, off offset:752
	s_wait_loadcnt_dscnt 0xa01
	v_mul_f64_e32 v[171:172], v[36:37], v[4:5]
	v_mul_f64_e32 v[4:5], v[34:35], v[4:5]
	s_delay_alu instid0(VALU_DEP_2) | instskip(NEXT) | instid1(VALU_DEP_2)
	v_fma_f64 v[177:178], v[34:35], v[2:3], -v[171:172]
	v_fma_f64 v[179:180], v[36:37], v[2:3], v[4:5]
	ds_load_b128 v[2:5], v1 offset:1552
	s_wait_loadcnt_dscnt 0x901
	v_mul_f64_e32 v[175:176], v[163:164], v[8:9]
	v_mul_f64_e32 v[8:9], v[165:166], v[8:9]
	scratch_load_b128 v[34:37], off, off offset:768
	ds_load_b128 v[171:174], v1 offset:1568
	s_wait_loadcnt_dscnt 0x901
	v_mul_f64_e32 v[181:182], v[2:3], v[12:13]
	v_mul_f64_e32 v[12:13], v[4:5], v[12:13]
	v_fma_f64 v[165:166], v[165:166], v[6:7], v[175:176]
	v_fma_f64 v[163:164], v[163:164], v[6:7], -v[8:9]
	v_add_f64_e32 v[175:176], 0, v[177:178]
	v_add_f64_e32 v[177:178], 0, v[179:180]
	scratch_load_b128 v[6:9], off, off offset:784
	v_fma_f64 v[181:182], v[4:5], v[10:11], v[181:182]
	v_fma_f64 v[183:184], v[2:3], v[10:11], -v[12:13]
	ds_load_b128 v[2:5], v1 offset:1584
	s_wait_loadcnt_dscnt 0x901
	v_mul_f64_e32 v[179:180], v[171:172], v[16:17]
	v_mul_f64_e32 v[16:17], v[173:174], v[16:17]
	scratch_load_b128 v[10:13], off, off offset:800
	v_add_f64_e32 v[175:176], v[175:176], v[163:164]
	v_add_f64_e32 v[177:178], v[177:178], v[165:166]
	s_wait_loadcnt_dscnt 0x900
	v_mul_f64_e32 v[185:186], v[2:3], v[20:21]
	v_mul_f64_e32 v[20:21], v[4:5], v[20:21]
	ds_load_b128 v[163:166], v1 offset:1600
	v_fma_f64 v[173:174], v[173:174], v[14:15], v[179:180]
	v_fma_f64 v[171:172], v[171:172], v[14:15], -v[16:17]
	scratch_load_b128 v[14:17], off, off offset:816
	v_add_f64_e32 v[175:176], v[175:176], v[183:184]
	v_add_f64_e32 v[177:178], v[177:178], v[181:182]
	v_fma_f64 v[181:182], v[4:5], v[18:19], v[185:186]
	v_fma_f64 v[183:184], v[2:3], v[18:19], -v[20:21]
	ds_load_b128 v[2:5], v1 offset:1616
	s_wait_loadcnt_dscnt 0x901
	v_mul_f64_e32 v[179:180], v[163:164], v[24:25]
	v_mul_f64_e32 v[24:25], v[165:166], v[24:25]
	scratch_load_b128 v[18:21], off, off offset:832
	s_wait_loadcnt_dscnt 0x900
	v_mul_f64_e32 v[185:186], v[2:3], v[28:29]
	v_mul_f64_e32 v[28:29], v[4:5], v[28:29]
	v_add_f64_e32 v[175:176], v[175:176], v[171:172]
	v_add_f64_e32 v[177:178], v[177:178], v[173:174]
	ds_load_b128 v[171:174], v1 offset:1632
	v_fma_f64 v[165:166], v[165:166], v[22:23], v[179:180]
	v_fma_f64 v[163:164], v[163:164], v[22:23], -v[24:25]
	scratch_load_b128 v[22:25], off, off offset:848
	v_add_f64_e32 v[175:176], v[175:176], v[183:184]
	v_add_f64_e32 v[177:178], v[177:178], v[181:182]
	v_fma_f64 v[181:182], v[4:5], v[26:27], v[185:186]
	v_fma_f64 v[183:184], v[2:3], v[26:27], -v[28:29]
	ds_load_b128 v[2:5], v1 offset:1648
	s_wait_loadcnt_dscnt 0x901
	v_mul_f64_e32 v[179:180], v[171:172], v[32:33]
	v_mul_f64_e32 v[32:33], v[173:174], v[32:33]
	scratch_load_b128 v[26:29], off, off offset:864
	s_wait_loadcnt_dscnt 0x900
	v_mul_f64_e32 v[185:186], v[2:3], v[40:41]
	v_mul_f64_e32 v[40:41], v[4:5], v[40:41]
	v_add_f64_e32 v[175:176], v[175:176], v[163:164]
	v_add_f64_e32 v[177:178], v[177:178], v[165:166]
	ds_load_b128 v[163:166], v1 offset:1664
	v_fma_f64 v[173:174], v[173:174], v[30:31], v[179:180]
	v_fma_f64 v[171:172], v[171:172], v[30:31], -v[32:33]
	scratch_load_b128 v[30:33], off, off offset:880
	v_add_f64_e32 v[175:176], v[175:176], v[183:184]
	v_add_f64_e32 v[177:178], v[177:178], v[181:182]
	v_fma_f64 v[183:184], v[4:5], v[38:39], v[185:186]
	v_fma_f64 v[185:186], v[2:3], v[38:39], -v[40:41]
	ds_load_b128 v[2:5], v1 offset:1680
	s_wait_loadcnt_dscnt 0x801
	v_mul_f64_e32 v[179:180], v[163:164], v[169:170]
	v_mul_f64_e32 v[181:182], v[165:166], v[169:170]
	scratch_load_b128 v[38:41], off, off offset:896
	v_add_f64_e32 v[175:176], v[175:176], v[171:172]
	v_add_f64_e32 v[173:174], v[177:178], v[173:174]
	ds_load_b128 v[169:172], v1 offset:1696
	v_fma_f64 v[179:180], v[165:166], v[167:168], v[179:180]
	v_fma_f64 v[167:168], v[163:164], v[167:168], -v[181:182]
	scratch_load_b128 v[163:166], off, off offset:912
	s_wait_loadcnt_dscnt 0x901
	v_mul_f64_e32 v[177:178], v[2:3], v[36:37]
	v_mul_f64_e32 v[36:37], v[4:5], v[36:37]
	v_add_f64_e32 v[175:176], v[175:176], v[185:186]
	v_add_f64_e32 v[173:174], v[173:174], v[183:184]
	s_delay_alu instid0(VALU_DEP_4) | instskip(NEXT) | instid1(VALU_DEP_4)
	v_fma_f64 v[177:178], v[4:5], v[34:35], v[177:178]
	v_fma_f64 v[183:184], v[2:3], v[34:35], -v[36:37]
	ds_load_b128 v[2:5], v1 offset:1712
	s_wait_loadcnt_dscnt 0x801
	v_mul_f64_e32 v[181:182], v[169:170], v[8:9]
	v_mul_f64_e32 v[8:9], v[171:172], v[8:9]
	scratch_load_b128 v[34:37], off, off offset:928
	s_wait_loadcnt_dscnt 0x800
	v_mul_f64_e32 v[185:186], v[2:3], v[12:13]
	v_add_f64_e32 v[167:168], v[175:176], v[167:168]
	v_add_f64_e32 v[179:180], v[173:174], v[179:180]
	v_mul_f64_e32 v[12:13], v[4:5], v[12:13]
	ds_load_b128 v[173:176], v1 offset:1728
	v_fma_f64 v[171:172], v[171:172], v[6:7], v[181:182]
	v_fma_f64 v[6:7], v[169:170], v[6:7], -v[8:9]
	s_wait_loadcnt_dscnt 0x700
	v_mul_f64_e32 v[169:170], v[173:174], v[16:17]
	v_add_f64_e32 v[8:9], v[167:168], v[183:184]
	v_add_f64_e32 v[167:168], v[179:180], v[177:178]
	v_mul_f64_e32 v[16:17], v[175:176], v[16:17]
	v_fma_f64 v[177:178], v[4:5], v[10:11], v[185:186]
	v_fma_f64 v[10:11], v[2:3], v[10:11], -v[12:13]
	v_fma_f64 v[169:170], v[175:176], v[14:15], v[169:170]
	v_add_f64_e32 v[12:13], v[8:9], v[6:7]
	v_add_f64_e32 v[167:168], v[167:168], v[171:172]
	ds_load_b128 v[2:5], v1 offset:1744
	ds_load_b128 v[6:9], v1 offset:1760
	v_fma_f64 v[14:15], v[173:174], v[14:15], -v[16:17]
	s_wait_loadcnt_dscnt 0x601
	v_mul_f64_e32 v[171:172], v[2:3], v[20:21]
	v_mul_f64_e32 v[20:21], v[4:5], v[20:21]
	s_wait_loadcnt_dscnt 0x500
	v_mul_f64_e32 v[16:17], v[6:7], v[24:25]
	v_mul_f64_e32 v[24:25], v[8:9], v[24:25]
	v_add_f64_e32 v[10:11], v[12:13], v[10:11]
	v_add_f64_e32 v[12:13], v[167:168], v[177:178]
	v_fma_f64 v[167:168], v[4:5], v[18:19], v[171:172]
	v_fma_f64 v[18:19], v[2:3], v[18:19], -v[20:21]
	v_fma_f64 v[8:9], v[8:9], v[22:23], v[16:17]
	v_fma_f64 v[6:7], v[6:7], v[22:23], -v[24:25]
	v_add_f64_e32 v[14:15], v[10:11], v[14:15]
	v_add_f64_e32 v[20:21], v[12:13], v[169:170]
	ds_load_b128 v[2:5], v1 offset:1776
	ds_load_b128 v[10:13], v1 offset:1792
	s_wait_loadcnt_dscnt 0x401
	v_mul_f64_e32 v[169:170], v[2:3], v[28:29]
	v_mul_f64_e32 v[28:29], v[4:5], v[28:29]
	v_add_f64_e32 v[14:15], v[14:15], v[18:19]
	v_add_f64_e32 v[16:17], v[20:21], v[167:168]
	s_wait_loadcnt_dscnt 0x300
	v_mul_f64_e32 v[18:19], v[10:11], v[32:33]
	v_mul_f64_e32 v[20:21], v[12:13], v[32:33]
	v_fma_f64 v[22:23], v[4:5], v[26:27], v[169:170]
	v_fma_f64 v[24:25], v[2:3], v[26:27], -v[28:29]
	v_add_f64_e32 v[14:15], v[14:15], v[6:7]
	v_add_f64_e32 v[16:17], v[16:17], v[8:9]
	ds_load_b128 v[2:5], v1 offset:1808
	ds_load_b128 v[6:9], v1 offset:1824
	v_fma_f64 v[12:13], v[12:13], v[30:31], v[18:19]
	v_fma_f64 v[10:11], v[10:11], v[30:31], -v[20:21]
	s_wait_loadcnt_dscnt 0x201
	v_mul_f64_e32 v[26:27], v[2:3], v[40:41]
	v_mul_f64_e32 v[28:29], v[4:5], v[40:41]
	s_wait_loadcnt_dscnt 0x100
	v_mul_f64_e32 v[18:19], v[6:7], v[165:166]
	v_mul_f64_e32 v[20:21], v[8:9], v[165:166]
	v_add_f64_e32 v[14:15], v[14:15], v[24:25]
	v_add_f64_e32 v[16:17], v[16:17], v[22:23]
	v_fma_f64 v[22:23], v[4:5], v[38:39], v[26:27]
	v_fma_f64 v[24:25], v[2:3], v[38:39], -v[28:29]
	ds_load_b128 v[2:5], v1 offset:1840
	v_fma_f64 v[8:9], v[8:9], v[163:164], v[18:19]
	v_fma_f64 v[6:7], v[6:7], v[163:164], -v[20:21]
	v_add_f64_e32 v[10:11], v[14:15], v[10:11]
	v_add_f64_e32 v[12:13], v[16:17], v[12:13]
	s_wait_loadcnt_dscnt 0x0
	v_mul_f64_e32 v[14:15], v[2:3], v[36:37]
	v_mul_f64_e32 v[16:17], v[4:5], v[36:37]
	s_delay_alu instid0(VALU_DEP_4) | instskip(NEXT) | instid1(VALU_DEP_4)
	v_add_f64_e32 v[10:11], v[10:11], v[24:25]
	v_add_f64_e32 v[12:13], v[12:13], v[22:23]
	s_delay_alu instid0(VALU_DEP_4) | instskip(NEXT) | instid1(VALU_DEP_4)
	v_fma_f64 v[4:5], v[4:5], v[34:35], v[14:15]
	v_fma_f64 v[2:3], v[2:3], v[34:35], -v[16:17]
	s_delay_alu instid0(VALU_DEP_4) | instskip(NEXT) | instid1(VALU_DEP_4)
	v_add_f64_e32 v[6:7], v[10:11], v[6:7]
	v_add_f64_e32 v[8:9], v[12:13], v[8:9]
	s_delay_alu instid0(VALU_DEP_2) | instskip(NEXT) | instid1(VALU_DEP_2)
	v_add_f64_e32 v[2:3], v[6:7], v[2:3]
	v_add_f64_e32 v[4:5], v[8:9], v[4:5]
	s_delay_alu instid0(VALU_DEP_2) | instskip(NEXT) | instid1(VALU_DEP_2)
	v_add_f64_e64 v[2:3], v[42:43], -v[2:3]
	v_add_f64_e64 v[4:5], v[44:45], -v[4:5]
	scratch_store_b128 off, v[2:5], off offset:592
	v_cmpx_lt_u32_e32 35, v0
	s_cbranch_execz .LBB121_291
; %bb.290:
	scratch_load_b128 v[5:8], off, s36
	v_dual_mov_b32 v2, v1 :: v_dual_mov_b32 v3, v1
	v_mov_b32_e32 v4, v1
	scratch_store_b128 off, v[1:4], off offset:576
	s_wait_loadcnt 0x0
	ds_store_b128 v162, v[5:8]
.LBB121_291:
	s_wait_alu 0xfffe
	s_or_b32 exec_lo, exec_lo, s0
	s_wait_storecnt_dscnt 0x0
	s_barrier_signal -1
	s_barrier_wait -1
	global_inv scope:SCOPE_SE
	s_clause 0x8
	scratch_load_b128 v[2:5], off, off offset:592
	scratch_load_b128 v[6:9], off, off offset:608
	;; [unrolled: 1-line block ×9, first 2 shown]
	ds_load_b128 v[38:41], v1 offset:1504
	ds_load_b128 v[42:45], v1 offset:1520
	s_clause 0x1
	scratch_load_b128 v[163:166], off, off offset:576
	scratch_load_b128 v[167:170], off, off offset:736
	s_mov_b32 s0, exec_lo
	s_wait_loadcnt_dscnt 0xa01
	v_mul_f64_e32 v[171:172], v[40:41], v[4:5]
	v_mul_f64_e32 v[4:5], v[38:39], v[4:5]
	s_wait_loadcnt_dscnt 0x900
	v_mul_f64_e32 v[175:176], v[42:43], v[8:9]
	v_mul_f64_e32 v[8:9], v[44:45], v[8:9]
	s_delay_alu instid0(VALU_DEP_4) | instskip(NEXT) | instid1(VALU_DEP_4)
	v_fma_f64 v[177:178], v[38:39], v[2:3], -v[171:172]
	v_fma_f64 v[179:180], v[40:41], v[2:3], v[4:5]
	ds_load_b128 v[2:5], v1 offset:1536
	ds_load_b128 v[171:174], v1 offset:1552
	scratch_load_b128 v[38:41], off, off offset:752
	v_fma_f64 v[44:45], v[44:45], v[6:7], v[175:176]
	v_fma_f64 v[42:43], v[42:43], v[6:7], -v[8:9]
	scratch_load_b128 v[6:9], off, off offset:768
	s_wait_loadcnt_dscnt 0xa01
	v_mul_f64_e32 v[181:182], v[2:3], v[12:13]
	v_mul_f64_e32 v[12:13], v[4:5], v[12:13]
	v_add_f64_e32 v[175:176], 0, v[177:178]
	v_add_f64_e32 v[177:178], 0, v[179:180]
	s_wait_loadcnt_dscnt 0x900
	v_mul_f64_e32 v[179:180], v[171:172], v[16:17]
	v_mul_f64_e32 v[16:17], v[173:174], v[16:17]
	v_fma_f64 v[181:182], v[4:5], v[10:11], v[181:182]
	v_fma_f64 v[183:184], v[2:3], v[10:11], -v[12:13]
	ds_load_b128 v[2:5], v1 offset:1568
	scratch_load_b128 v[10:13], off, off offset:784
	v_add_f64_e32 v[175:176], v[175:176], v[42:43]
	v_add_f64_e32 v[177:178], v[177:178], v[44:45]
	ds_load_b128 v[42:45], v1 offset:1584
	v_fma_f64 v[173:174], v[173:174], v[14:15], v[179:180]
	v_fma_f64 v[171:172], v[171:172], v[14:15], -v[16:17]
	scratch_load_b128 v[14:17], off, off offset:800
	s_wait_loadcnt_dscnt 0xa01
	v_mul_f64_e32 v[185:186], v[2:3], v[20:21]
	v_mul_f64_e32 v[20:21], v[4:5], v[20:21]
	s_wait_loadcnt_dscnt 0x900
	v_mul_f64_e32 v[179:180], v[42:43], v[24:25]
	v_mul_f64_e32 v[24:25], v[44:45], v[24:25]
	v_add_f64_e32 v[175:176], v[175:176], v[183:184]
	v_add_f64_e32 v[177:178], v[177:178], v[181:182]
	v_fma_f64 v[181:182], v[4:5], v[18:19], v[185:186]
	v_fma_f64 v[183:184], v[2:3], v[18:19], -v[20:21]
	ds_load_b128 v[2:5], v1 offset:1600
	scratch_load_b128 v[18:21], off, off offset:816
	v_fma_f64 v[44:45], v[44:45], v[22:23], v[179:180]
	v_fma_f64 v[42:43], v[42:43], v[22:23], -v[24:25]
	scratch_load_b128 v[22:25], off, off offset:832
	v_add_f64_e32 v[175:176], v[175:176], v[171:172]
	v_add_f64_e32 v[177:178], v[177:178], v[173:174]
	ds_load_b128 v[171:174], v1 offset:1616
	s_wait_loadcnt_dscnt 0xa01
	v_mul_f64_e32 v[185:186], v[2:3], v[28:29]
	v_mul_f64_e32 v[28:29], v[4:5], v[28:29]
	s_wait_loadcnt_dscnt 0x900
	v_mul_f64_e32 v[179:180], v[171:172], v[32:33]
	v_mul_f64_e32 v[32:33], v[173:174], v[32:33]
	v_add_f64_e32 v[175:176], v[175:176], v[183:184]
	v_add_f64_e32 v[177:178], v[177:178], v[181:182]
	v_fma_f64 v[181:182], v[4:5], v[26:27], v[185:186]
	v_fma_f64 v[183:184], v[2:3], v[26:27], -v[28:29]
	ds_load_b128 v[2:5], v1 offset:1632
	scratch_load_b128 v[26:29], off, off offset:848
	v_fma_f64 v[173:174], v[173:174], v[30:31], v[179:180]
	v_fma_f64 v[171:172], v[171:172], v[30:31], -v[32:33]
	scratch_load_b128 v[30:33], off, off offset:864
	v_add_f64_e32 v[175:176], v[175:176], v[42:43]
	v_add_f64_e32 v[177:178], v[177:178], v[44:45]
	ds_load_b128 v[42:45], v1 offset:1648
	s_wait_loadcnt_dscnt 0xa01
	v_mul_f64_e32 v[185:186], v[2:3], v[36:37]
	v_mul_f64_e32 v[36:37], v[4:5], v[36:37]
	s_wait_loadcnt_dscnt 0x800
	v_mul_f64_e32 v[179:180], v[42:43], v[169:170]
	v_add_f64_e32 v[175:176], v[175:176], v[183:184]
	v_add_f64_e32 v[177:178], v[177:178], v[181:182]
	v_mul_f64_e32 v[181:182], v[44:45], v[169:170]
	v_fma_f64 v[183:184], v[4:5], v[34:35], v[185:186]
	v_fma_f64 v[185:186], v[2:3], v[34:35], -v[36:37]
	ds_load_b128 v[2:5], v1 offset:1664
	scratch_load_b128 v[34:37], off, off offset:880
	v_fma_f64 v[44:45], v[44:45], v[167:168], v[179:180]
	v_add_f64_e32 v[175:176], v[175:176], v[171:172]
	v_add_f64_e32 v[173:174], v[177:178], v[173:174]
	ds_load_b128 v[169:172], v1 offset:1680
	v_fma_f64 v[167:168], v[42:43], v[167:168], -v[181:182]
	s_wait_loadcnt_dscnt 0x801
	v_mul_f64_e32 v[177:178], v[2:3], v[40:41]
	v_mul_f64_e32 v[187:188], v[4:5], v[40:41]
	scratch_load_b128 v[40:43], off, off offset:896
	s_wait_loadcnt_dscnt 0x800
	v_mul_f64_e32 v[181:182], v[169:170], v[8:9]
	v_mul_f64_e32 v[8:9], v[171:172], v[8:9]
	v_add_f64_e32 v[175:176], v[175:176], v[185:186]
	v_add_f64_e32 v[173:174], v[173:174], v[183:184]
	v_fma_f64 v[183:184], v[4:5], v[38:39], v[177:178]
	v_fma_f64 v[38:39], v[2:3], v[38:39], -v[187:188]
	ds_load_b128 v[2:5], v1 offset:1696
	ds_load_b128 v[177:180], v1 offset:1712
	v_fma_f64 v[171:172], v[171:172], v[6:7], v[181:182]
	v_fma_f64 v[169:170], v[169:170], v[6:7], -v[8:9]
	scratch_load_b128 v[6:9], off, off offset:928
	v_add_f64_e32 v[167:168], v[175:176], v[167:168]
	v_add_f64_e32 v[44:45], v[173:174], v[44:45]
	scratch_load_b128 v[173:176], off, off offset:912
	s_wait_loadcnt_dscnt 0x901
	v_mul_f64_e32 v[185:186], v[2:3], v[12:13]
	v_mul_f64_e32 v[12:13], v[4:5], v[12:13]
	v_add_f64_e32 v[38:39], v[167:168], v[38:39]
	v_add_f64_e32 v[44:45], v[44:45], v[183:184]
	s_wait_loadcnt_dscnt 0x800
	v_mul_f64_e32 v[167:168], v[177:178], v[16:17]
	v_mul_f64_e32 v[16:17], v[179:180], v[16:17]
	v_fma_f64 v[181:182], v[4:5], v[10:11], v[185:186]
	v_fma_f64 v[183:184], v[2:3], v[10:11], -v[12:13]
	ds_load_b128 v[2:5], v1 offset:1728
	ds_load_b128 v[10:13], v1 offset:1744
	v_add_f64_e32 v[38:39], v[38:39], v[169:170]
	v_add_f64_e32 v[44:45], v[44:45], v[171:172]
	s_wait_loadcnt_dscnt 0x701
	v_mul_f64_e32 v[169:170], v[2:3], v[20:21]
	v_mul_f64_e32 v[20:21], v[4:5], v[20:21]
	v_fma_f64 v[167:168], v[179:180], v[14:15], v[167:168]
	v_fma_f64 v[14:15], v[177:178], v[14:15], -v[16:17]
	v_add_f64_e32 v[16:17], v[38:39], v[183:184]
	v_add_f64_e32 v[38:39], v[44:45], v[181:182]
	s_wait_loadcnt_dscnt 0x600
	v_mul_f64_e32 v[44:45], v[10:11], v[24:25]
	v_mul_f64_e32 v[24:25], v[12:13], v[24:25]
	v_fma_f64 v[169:170], v[4:5], v[18:19], v[169:170]
	v_fma_f64 v[18:19], v[2:3], v[18:19], -v[20:21]
	v_add_f64_e32 v[20:21], v[16:17], v[14:15]
	v_add_f64_e32 v[38:39], v[38:39], v[167:168]
	ds_load_b128 v[2:5], v1 offset:1760
	ds_load_b128 v[14:17], v1 offset:1776
	v_fma_f64 v[12:13], v[12:13], v[22:23], v[44:45]
	v_fma_f64 v[10:11], v[10:11], v[22:23], -v[24:25]
	s_wait_loadcnt_dscnt 0x501
	v_mul_f64_e32 v[167:168], v[2:3], v[28:29]
	v_mul_f64_e32 v[28:29], v[4:5], v[28:29]
	s_wait_loadcnt_dscnt 0x400
	v_mul_f64_e32 v[22:23], v[14:15], v[32:33]
	v_mul_f64_e32 v[24:25], v[16:17], v[32:33]
	v_add_f64_e32 v[18:19], v[20:21], v[18:19]
	v_add_f64_e32 v[20:21], v[38:39], v[169:170]
	v_fma_f64 v[32:33], v[4:5], v[26:27], v[167:168]
	v_fma_f64 v[26:27], v[2:3], v[26:27], -v[28:29]
	v_fma_f64 v[16:17], v[16:17], v[30:31], v[22:23]
	v_fma_f64 v[14:15], v[14:15], v[30:31], -v[24:25]
	v_add_f64_e32 v[18:19], v[18:19], v[10:11]
	v_add_f64_e32 v[20:21], v[20:21], v[12:13]
	ds_load_b128 v[2:5], v1 offset:1792
	ds_load_b128 v[10:13], v1 offset:1808
	s_wait_loadcnt_dscnt 0x301
	v_mul_f64_e32 v[28:29], v[2:3], v[36:37]
	v_mul_f64_e32 v[36:37], v[4:5], v[36:37]
	s_wait_loadcnt_dscnt 0x200
	v_mul_f64_e32 v[22:23], v[10:11], v[42:43]
	v_add_f64_e32 v[18:19], v[18:19], v[26:27]
	v_add_f64_e32 v[20:21], v[20:21], v[32:33]
	v_mul_f64_e32 v[24:25], v[12:13], v[42:43]
	v_fma_f64 v[26:27], v[4:5], v[34:35], v[28:29]
	v_fma_f64 v[28:29], v[2:3], v[34:35], -v[36:37]
	v_fma_f64 v[12:13], v[12:13], v[40:41], v[22:23]
	v_add_f64_e32 v[18:19], v[18:19], v[14:15]
	v_add_f64_e32 v[20:21], v[20:21], v[16:17]
	ds_load_b128 v[2:5], v1 offset:1824
	ds_load_b128 v[14:17], v1 offset:1840
	v_fma_f64 v[10:11], v[10:11], v[40:41], -v[24:25]
	s_wait_loadcnt_dscnt 0x1
	v_mul_f64_e32 v[30:31], v[2:3], v[175:176]
	v_mul_f64_e32 v[32:33], v[4:5], v[175:176]
	s_wait_dscnt 0x0
	v_mul_f64_e32 v[22:23], v[14:15], v[8:9]
	v_mul_f64_e32 v[8:9], v[16:17], v[8:9]
	v_add_f64_e32 v[18:19], v[18:19], v[28:29]
	v_add_f64_e32 v[20:21], v[20:21], v[26:27]
	v_fma_f64 v[4:5], v[4:5], v[173:174], v[30:31]
	v_fma_f64 v[1:2], v[2:3], v[173:174], -v[32:33]
	v_fma_f64 v[16:17], v[16:17], v[6:7], v[22:23]
	v_fma_f64 v[6:7], v[14:15], v[6:7], -v[8:9]
	v_add_f64_e32 v[10:11], v[18:19], v[10:11]
	v_add_f64_e32 v[12:13], v[20:21], v[12:13]
	s_delay_alu instid0(VALU_DEP_2) | instskip(NEXT) | instid1(VALU_DEP_2)
	v_add_f64_e32 v[1:2], v[10:11], v[1:2]
	v_add_f64_e32 v[3:4], v[12:13], v[4:5]
	s_delay_alu instid0(VALU_DEP_2) | instskip(NEXT) | instid1(VALU_DEP_2)
	;; [unrolled: 3-line block ×3, first 2 shown]
	v_add_f64_e64 v[1:2], v[163:164], -v[1:2]
	v_add_f64_e64 v[3:4], v[165:166], -v[3:4]
	scratch_store_b128 off, v[1:4], off offset:576
	v_cmpx_lt_u32_e32 34, v0
	s_cbranch_execz .LBB121_293
; %bb.292:
	scratch_load_b128 v[1:4], off, s37
	v_mov_b32_e32 v5, 0
	s_delay_alu instid0(VALU_DEP_1)
	v_dual_mov_b32 v6, v5 :: v_dual_mov_b32 v7, v5
	v_mov_b32_e32 v8, v5
	scratch_store_b128 off, v[5:8], off offset:560
	s_wait_loadcnt 0x0
	ds_store_b128 v162, v[1:4]
.LBB121_293:
	s_wait_alu 0xfffe
	s_or_b32 exec_lo, exec_lo, s0
	s_wait_storecnt_dscnt 0x0
	s_barrier_signal -1
	s_barrier_wait -1
	global_inv scope:SCOPE_SE
	s_clause 0x7
	scratch_load_b128 v[2:5], off, off offset:576
	scratch_load_b128 v[6:9], off, off offset:592
	;; [unrolled: 1-line block ×8, first 2 shown]
	v_mov_b32_e32 v1, 0
	s_mov_b32 s0, exec_lo
	ds_load_b128 v[34:37], v1 offset:1488
	s_clause 0x1
	scratch_load_b128 v[38:41], off, off offset:704
	scratch_load_b128 v[42:45], off, off offset:560
	ds_load_b128 v[163:166], v1 offset:1504
	scratch_load_b128 v[167:170], off, off offset:720
	s_wait_loadcnt_dscnt 0xa01
	v_mul_f64_e32 v[171:172], v[36:37], v[4:5]
	v_mul_f64_e32 v[4:5], v[34:35], v[4:5]
	s_delay_alu instid0(VALU_DEP_2) | instskip(NEXT) | instid1(VALU_DEP_2)
	v_fma_f64 v[177:178], v[34:35], v[2:3], -v[171:172]
	v_fma_f64 v[179:180], v[36:37], v[2:3], v[4:5]
	ds_load_b128 v[2:5], v1 offset:1520
	s_wait_loadcnt_dscnt 0x901
	v_mul_f64_e32 v[175:176], v[163:164], v[8:9]
	v_mul_f64_e32 v[8:9], v[165:166], v[8:9]
	scratch_load_b128 v[34:37], off, off offset:736
	ds_load_b128 v[171:174], v1 offset:1536
	s_wait_loadcnt_dscnt 0x901
	v_mul_f64_e32 v[181:182], v[2:3], v[12:13]
	v_mul_f64_e32 v[12:13], v[4:5], v[12:13]
	v_fma_f64 v[165:166], v[165:166], v[6:7], v[175:176]
	v_fma_f64 v[163:164], v[163:164], v[6:7], -v[8:9]
	v_add_f64_e32 v[175:176], 0, v[177:178]
	v_add_f64_e32 v[177:178], 0, v[179:180]
	scratch_load_b128 v[6:9], off, off offset:752
	v_fma_f64 v[181:182], v[4:5], v[10:11], v[181:182]
	v_fma_f64 v[183:184], v[2:3], v[10:11], -v[12:13]
	ds_load_b128 v[2:5], v1 offset:1552
	s_wait_loadcnt_dscnt 0x901
	v_mul_f64_e32 v[179:180], v[171:172], v[16:17]
	v_mul_f64_e32 v[16:17], v[173:174], v[16:17]
	scratch_load_b128 v[10:13], off, off offset:768
	v_add_f64_e32 v[175:176], v[175:176], v[163:164]
	v_add_f64_e32 v[177:178], v[177:178], v[165:166]
	s_wait_loadcnt_dscnt 0x900
	v_mul_f64_e32 v[185:186], v[2:3], v[20:21]
	v_mul_f64_e32 v[20:21], v[4:5], v[20:21]
	ds_load_b128 v[163:166], v1 offset:1568
	v_fma_f64 v[173:174], v[173:174], v[14:15], v[179:180]
	v_fma_f64 v[171:172], v[171:172], v[14:15], -v[16:17]
	scratch_load_b128 v[14:17], off, off offset:784
	v_add_f64_e32 v[175:176], v[175:176], v[183:184]
	v_add_f64_e32 v[177:178], v[177:178], v[181:182]
	v_fma_f64 v[181:182], v[4:5], v[18:19], v[185:186]
	v_fma_f64 v[183:184], v[2:3], v[18:19], -v[20:21]
	ds_load_b128 v[2:5], v1 offset:1584
	s_wait_loadcnt_dscnt 0x901
	v_mul_f64_e32 v[179:180], v[163:164], v[24:25]
	v_mul_f64_e32 v[24:25], v[165:166], v[24:25]
	scratch_load_b128 v[18:21], off, off offset:800
	s_wait_loadcnt_dscnt 0x900
	v_mul_f64_e32 v[185:186], v[2:3], v[28:29]
	v_mul_f64_e32 v[28:29], v[4:5], v[28:29]
	v_add_f64_e32 v[175:176], v[175:176], v[171:172]
	v_add_f64_e32 v[177:178], v[177:178], v[173:174]
	ds_load_b128 v[171:174], v1 offset:1600
	v_fma_f64 v[165:166], v[165:166], v[22:23], v[179:180]
	v_fma_f64 v[163:164], v[163:164], v[22:23], -v[24:25]
	scratch_load_b128 v[22:25], off, off offset:816
	v_add_f64_e32 v[175:176], v[175:176], v[183:184]
	v_add_f64_e32 v[177:178], v[177:178], v[181:182]
	v_fma_f64 v[181:182], v[4:5], v[26:27], v[185:186]
	v_fma_f64 v[183:184], v[2:3], v[26:27], -v[28:29]
	ds_load_b128 v[2:5], v1 offset:1616
	s_wait_loadcnt_dscnt 0x901
	v_mul_f64_e32 v[179:180], v[171:172], v[32:33]
	v_mul_f64_e32 v[32:33], v[173:174], v[32:33]
	scratch_load_b128 v[26:29], off, off offset:832
	s_wait_loadcnt_dscnt 0x900
	v_mul_f64_e32 v[185:186], v[2:3], v[40:41]
	v_mul_f64_e32 v[40:41], v[4:5], v[40:41]
	v_add_f64_e32 v[175:176], v[175:176], v[163:164]
	v_add_f64_e32 v[177:178], v[177:178], v[165:166]
	ds_load_b128 v[163:166], v1 offset:1632
	v_fma_f64 v[173:174], v[173:174], v[30:31], v[179:180]
	v_fma_f64 v[171:172], v[171:172], v[30:31], -v[32:33]
	scratch_load_b128 v[30:33], off, off offset:848
	v_add_f64_e32 v[175:176], v[175:176], v[183:184]
	v_add_f64_e32 v[177:178], v[177:178], v[181:182]
	v_fma_f64 v[183:184], v[4:5], v[38:39], v[185:186]
	v_fma_f64 v[185:186], v[2:3], v[38:39], -v[40:41]
	ds_load_b128 v[2:5], v1 offset:1648
	s_wait_loadcnt_dscnt 0x801
	v_mul_f64_e32 v[179:180], v[163:164], v[169:170]
	v_mul_f64_e32 v[181:182], v[165:166], v[169:170]
	scratch_load_b128 v[38:41], off, off offset:864
	v_add_f64_e32 v[175:176], v[175:176], v[171:172]
	v_add_f64_e32 v[173:174], v[177:178], v[173:174]
	ds_load_b128 v[169:172], v1 offset:1664
	v_fma_f64 v[179:180], v[165:166], v[167:168], v[179:180]
	v_fma_f64 v[167:168], v[163:164], v[167:168], -v[181:182]
	scratch_load_b128 v[163:166], off, off offset:880
	s_wait_loadcnt_dscnt 0x901
	v_mul_f64_e32 v[177:178], v[2:3], v[36:37]
	v_mul_f64_e32 v[36:37], v[4:5], v[36:37]
	v_add_f64_e32 v[175:176], v[175:176], v[185:186]
	v_add_f64_e32 v[173:174], v[173:174], v[183:184]
	s_delay_alu instid0(VALU_DEP_4) | instskip(NEXT) | instid1(VALU_DEP_4)
	v_fma_f64 v[177:178], v[4:5], v[34:35], v[177:178]
	v_fma_f64 v[183:184], v[2:3], v[34:35], -v[36:37]
	ds_load_b128 v[2:5], v1 offset:1680
	s_wait_loadcnt_dscnt 0x801
	v_mul_f64_e32 v[181:182], v[169:170], v[8:9]
	v_mul_f64_e32 v[8:9], v[171:172], v[8:9]
	scratch_load_b128 v[34:37], off, off offset:896
	s_wait_loadcnt_dscnt 0x800
	v_mul_f64_e32 v[185:186], v[2:3], v[12:13]
	v_add_f64_e32 v[167:168], v[175:176], v[167:168]
	v_add_f64_e32 v[179:180], v[173:174], v[179:180]
	v_mul_f64_e32 v[12:13], v[4:5], v[12:13]
	ds_load_b128 v[173:176], v1 offset:1696
	v_fma_f64 v[171:172], v[171:172], v[6:7], v[181:182]
	v_fma_f64 v[169:170], v[169:170], v[6:7], -v[8:9]
	scratch_load_b128 v[6:9], off, off offset:912
	v_fma_f64 v[181:182], v[4:5], v[10:11], v[185:186]
	v_add_f64_e32 v[167:168], v[167:168], v[183:184]
	v_add_f64_e32 v[177:178], v[179:180], v[177:178]
	v_fma_f64 v[183:184], v[2:3], v[10:11], -v[12:13]
	ds_load_b128 v[2:5], v1 offset:1712
	s_wait_loadcnt_dscnt 0x801
	v_mul_f64_e32 v[179:180], v[173:174], v[16:17]
	v_mul_f64_e32 v[16:17], v[175:176], v[16:17]
	scratch_load_b128 v[10:13], off, off offset:928
	v_add_f64_e32 v[185:186], v[167:168], v[169:170]
	v_add_f64_e32 v[171:172], v[177:178], v[171:172]
	s_wait_loadcnt_dscnt 0x800
	v_mul_f64_e32 v[177:178], v[2:3], v[20:21]
	v_mul_f64_e32 v[20:21], v[4:5], v[20:21]
	v_fma_f64 v[175:176], v[175:176], v[14:15], v[179:180]
	v_fma_f64 v[14:15], v[173:174], v[14:15], -v[16:17]
	ds_load_b128 v[167:170], v1 offset:1728
	s_wait_loadcnt_dscnt 0x700
	v_mul_f64_e32 v[173:174], v[167:168], v[24:25]
	v_mul_f64_e32 v[24:25], v[169:170], v[24:25]
	v_add_f64_e32 v[16:17], v[185:186], v[183:184]
	v_add_f64_e32 v[171:172], v[171:172], v[181:182]
	v_fma_f64 v[177:178], v[4:5], v[18:19], v[177:178]
	v_fma_f64 v[18:19], v[2:3], v[18:19], -v[20:21]
	v_fma_f64 v[169:170], v[169:170], v[22:23], v[173:174]
	v_fma_f64 v[22:23], v[167:168], v[22:23], -v[24:25]
	v_add_f64_e32 v[20:21], v[16:17], v[14:15]
	v_add_f64_e32 v[171:172], v[171:172], v[175:176]
	ds_load_b128 v[2:5], v1 offset:1744
	ds_load_b128 v[14:17], v1 offset:1760
	s_wait_loadcnt_dscnt 0x601
	v_mul_f64_e32 v[175:176], v[2:3], v[28:29]
	v_mul_f64_e32 v[28:29], v[4:5], v[28:29]
	s_wait_loadcnt_dscnt 0x500
	v_mul_f64_e32 v[24:25], v[14:15], v[32:33]
	v_mul_f64_e32 v[32:33], v[16:17], v[32:33]
	v_add_f64_e32 v[18:19], v[20:21], v[18:19]
	v_add_f64_e32 v[20:21], v[171:172], v[177:178]
	v_fma_f64 v[167:168], v[4:5], v[26:27], v[175:176]
	v_fma_f64 v[26:27], v[2:3], v[26:27], -v[28:29]
	v_fma_f64 v[16:17], v[16:17], v[30:31], v[24:25]
	v_fma_f64 v[14:15], v[14:15], v[30:31], -v[32:33]
	v_add_f64_e32 v[22:23], v[18:19], v[22:23]
	v_add_f64_e32 v[28:29], v[20:21], v[169:170]
	ds_load_b128 v[2:5], v1 offset:1776
	ds_load_b128 v[18:21], v1 offset:1792
	s_wait_loadcnt_dscnt 0x401
	v_mul_f64_e32 v[169:170], v[2:3], v[40:41]
	v_mul_f64_e32 v[40:41], v[4:5], v[40:41]
	v_add_f64_e32 v[22:23], v[22:23], v[26:27]
	v_add_f64_e32 v[24:25], v[28:29], v[167:168]
	s_wait_loadcnt_dscnt 0x300
	v_mul_f64_e32 v[26:27], v[18:19], v[165:166]
	v_mul_f64_e32 v[28:29], v[20:21], v[165:166]
	v_fma_f64 v[30:31], v[4:5], v[38:39], v[169:170]
	v_fma_f64 v[32:33], v[2:3], v[38:39], -v[40:41]
	v_add_f64_e32 v[22:23], v[22:23], v[14:15]
	v_add_f64_e32 v[24:25], v[24:25], v[16:17]
	ds_load_b128 v[2:5], v1 offset:1808
	ds_load_b128 v[14:17], v1 offset:1824
	v_fma_f64 v[20:21], v[20:21], v[163:164], v[26:27]
	v_fma_f64 v[18:19], v[18:19], v[163:164], -v[28:29]
	s_wait_loadcnt_dscnt 0x201
	v_mul_f64_e32 v[38:39], v[2:3], v[36:37]
	v_mul_f64_e32 v[36:37], v[4:5], v[36:37]
	s_wait_loadcnt_dscnt 0x100
	v_mul_f64_e32 v[26:27], v[14:15], v[8:9]
	v_mul_f64_e32 v[8:9], v[16:17], v[8:9]
	v_add_f64_e32 v[22:23], v[22:23], v[32:33]
	v_add_f64_e32 v[24:25], v[24:25], v[30:31]
	v_fma_f64 v[28:29], v[4:5], v[34:35], v[38:39]
	v_fma_f64 v[30:31], v[2:3], v[34:35], -v[36:37]
	ds_load_b128 v[2:5], v1 offset:1840
	v_fma_f64 v[16:17], v[16:17], v[6:7], v[26:27]
	v_fma_f64 v[6:7], v[14:15], v[6:7], -v[8:9]
	v_add_f64_e32 v[18:19], v[22:23], v[18:19]
	v_add_f64_e32 v[20:21], v[24:25], v[20:21]
	s_wait_loadcnt_dscnt 0x0
	v_mul_f64_e32 v[22:23], v[2:3], v[12:13]
	v_mul_f64_e32 v[12:13], v[4:5], v[12:13]
	s_delay_alu instid0(VALU_DEP_4) | instskip(NEXT) | instid1(VALU_DEP_4)
	v_add_f64_e32 v[8:9], v[18:19], v[30:31]
	v_add_f64_e32 v[14:15], v[20:21], v[28:29]
	s_delay_alu instid0(VALU_DEP_4) | instskip(NEXT) | instid1(VALU_DEP_4)
	v_fma_f64 v[4:5], v[4:5], v[10:11], v[22:23]
	v_fma_f64 v[2:3], v[2:3], v[10:11], -v[12:13]
	s_delay_alu instid0(VALU_DEP_4) | instskip(NEXT) | instid1(VALU_DEP_4)
	v_add_f64_e32 v[6:7], v[8:9], v[6:7]
	v_add_f64_e32 v[8:9], v[14:15], v[16:17]
	s_delay_alu instid0(VALU_DEP_2) | instskip(NEXT) | instid1(VALU_DEP_2)
	v_add_f64_e32 v[2:3], v[6:7], v[2:3]
	v_add_f64_e32 v[4:5], v[8:9], v[4:5]
	s_delay_alu instid0(VALU_DEP_2) | instskip(NEXT) | instid1(VALU_DEP_2)
	v_add_f64_e64 v[2:3], v[42:43], -v[2:3]
	v_add_f64_e64 v[4:5], v[44:45], -v[4:5]
	scratch_store_b128 off, v[2:5], off offset:560
	v_cmpx_lt_u32_e32 33, v0
	s_cbranch_execz .LBB121_295
; %bb.294:
	scratch_load_b128 v[5:8], off, s38
	v_dual_mov_b32 v2, v1 :: v_dual_mov_b32 v3, v1
	v_mov_b32_e32 v4, v1
	scratch_store_b128 off, v[1:4], off offset:544
	s_wait_loadcnt 0x0
	ds_store_b128 v162, v[5:8]
.LBB121_295:
	s_wait_alu 0xfffe
	s_or_b32 exec_lo, exec_lo, s0
	s_wait_storecnt_dscnt 0x0
	s_barrier_signal -1
	s_barrier_wait -1
	global_inv scope:SCOPE_SE
	s_clause 0x8
	scratch_load_b128 v[2:5], off, off offset:560
	scratch_load_b128 v[6:9], off, off offset:576
	;; [unrolled: 1-line block ×9, first 2 shown]
	ds_load_b128 v[38:41], v1 offset:1472
	ds_load_b128 v[42:45], v1 offset:1488
	s_clause 0x1
	scratch_load_b128 v[163:166], off, off offset:544
	scratch_load_b128 v[167:170], off, off offset:704
	s_mov_b32 s0, exec_lo
	s_wait_loadcnt_dscnt 0xa01
	v_mul_f64_e32 v[171:172], v[40:41], v[4:5]
	v_mul_f64_e32 v[4:5], v[38:39], v[4:5]
	s_wait_loadcnt_dscnt 0x900
	v_mul_f64_e32 v[175:176], v[42:43], v[8:9]
	v_mul_f64_e32 v[8:9], v[44:45], v[8:9]
	s_delay_alu instid0(VALU_DEP_4) | instskip(NEXT) | instid1(VALU_DEP_4)
	v_fma_f64 v[177:178], v[38:39], v[2:3], -v[171:172]
	v_fma_f64 v[179:180], v[40:41], v[2:3], v[4:5]
	ds_load_b128 v[2:5], v1 offset:1504
	ds_load_b128 v[171:174], v1 offset:1520
	scratch_load_b128 v[38:41], off, off offset:720
	v_fma_f64 v[44:45], v[44:45], v[6:7], v[175:176]
	v_fma_f64 v[42:43], v[42:43], v[6:7], -v[8:9]
	scratch_load_b128 v[6:9], off, off offset:736
	s_wait_loadcnt_dscnt 0xa01
	v_mul_f64_e32 v[181:182], v[2:3], v[12:13]
	v_mul_f64_e32 v[12:13], v[4:5], v[12:13]
	v_add_f64_e32 v[175:176], 0, v[177:178]
	v_add_f64_e32 v[177:178], 0, v[179:180]
	s_wait_loadcnt_dscnt 0x900
	v_mul_f64_e32 v[179:180], v[171:172], v[16:17]
	v_mul_f64_e32 v[16:17], v[173:174], v[16:17]
	v_fma_f64 v[181:182], v[4:5], v[10:11], v[181:182]
	v_fma_f64 v[183:184], v[2:3], v[10:11], -v[12:13]
	ds_load_b128 v[2:5], v1 offset:1536
	scratch_load_b128 v[10:13], off, off offset:752
	v_add_f64_e32 v[175:176], v[175:176], v[42:43]
	v_add_f64_e32 v[177:178], v[177:178], v[44:45]
	ds_load_b128 v[42:45], v1 offset:1552
	v_fma_f64 v[173:174], v[173:174], v[14:15], v[179:180]
	v_fma_f64 v[171:172], v[171:172], v[14:15], -v[16:17]
	scratch_load_b128 v[14:17], off, off offset:768
	s_wait_loadcnt_dscnt 0xa01
	v_mul_f64_e32 v[185:186], v[2:3], v[20:21]
	v_mul_f64_e32 v[20:21], v[4:5], v[20:21]
	s_wait_loadcnt_dscnt 0x900
	v_mul_f64_e32 v[179:180], v[42:43], v[24:25]
	v_mul_f64_e32 v[24:25], v[44:45], v[24:25]
	v_add_f64_e32 v[175:176], v[175:176], v[183:184]
	v_add_f64_e32 v[177:178], v[177:178], v[181:182]
	v_fma_f64 v[181:182], v[4:5], v[18:19], v[185:186]
	v_fma_f64 v[183:184], v[2:3], v[18:19], -v[20:21]
	ds_load_b128 v[2:5], v1 offset:1568
	scratch_load_b128 v[18:21], off, off offset:784
	v_fma_f64 v[44:45], v[44:45], v[22:23], v[179:180]
	v_fma_f64 v[42:43], v[42:43], v[22:23], -v[24:25]
	scratch_load_b128 v[22:25], off, off offset:800
	v_add_f64_e32 v[175:176], v[175:176], v[171:172]
	v_add_f64_e32 v[177:178], v[177:178], v[173:174]
	ds_load_b128 v[171:174], v1 offset:1584
	s_wait_loadcnt_dscnt 0xa01
	v_mul_f64_e32 v[185:186], v[2:3], v[28:29]
	v_mul_f64_e32 v[28:29], v[4:5], v[28:29]
	s_wait_loadcnt_dscnt 0x900
	v_mul_f64_e32 v[179:180], v[171:172], v[32:33]
	v_mul_f64_e32 v[32:33], v[173:174], v[32:33]
	v_add_f64_e32 v[175:176], v[175:176], v[183:184]
	v_add_f64_e32 v[177:178], v[177:178], v[181:182]
	v_fma_f64 v[181:182], v[4:5], v[26:27], v[185:186]
	v_fma_f64 v[183:184], v[2:3], v[26:27], -v[28:29]
	ds_load_b128 v[2:5], v1 offset:1600
	scratch_load_b128 v[26:29], off, off offset:816
	v_fma_f64 v[173:174], v[173:174], v[30:31], v[179:180]
	v_fma_f64 v[171:172], v[171:172], v[30:31], -v[32:33]
	scratch_load_b128 v[30:33], off, off offset:832
	v_add_f64_e32 v[175:176], v[175:176], v[42:43]
	v_add_f64_e32 v[177:178], v[177:178], v[44:45]
	ds_load_b128 v[42:45], v1 offset:1616
	s_wait_loadcnt_dscnt 0xa01
	v_mul_f64_e32 v[185:186], v[2:3], v[36:37]
	v_mul_f64_e32 v[36:37], v[4:5], v[36:37]
	s_wait_loadcnt_dscnt 0x800
	v_mul_f64_e32 v[179:180], v[42:43], v[169:170]
	v_add_f64_e32 v[175:176], v[175:176], v[183:184]
	v_add_f64_e32 v[177:178], v[177:178], v[181:182]
	v_mul_f64_e32 v[181:182], v[44:45], v[169:170]
	v_fma_f64 v[183:184], v[4:5], v[34:35], v[185:186]
	v_fma_f64 v[185:186], v[2:3], v[34:35], -v[36:37]
	ds_load_b128 v[2:5], v1 offset:1632
	scratch_load_b128 v[34:37], off, off offset:848
	v_fma_f64 v[44:45], v[44:45], v[167:168], v[179:180]
	v_add_f64_e32 v[175:176], v[175:176], v[171:172]
	v_add_f64_e32 v[173:174], v[177:178], v[173:174]
	ds_load_b128 v[169:172], v1 offset:1648
	v_fma_f64 v[167:168], v[42:43], v[167:168], -v[181:182]
	s_wait_loadcnt_dscnt 0x801
	v_mul_f64_e32 v[177:178], v[2:3], v[40:41]
	v_mul_f64_e32 v[187:188], v[4:5], v[40:41]
	scratch_load_b128 v[40:43], off, off offset:864
	s_wait_loadcnt_dscnt 0x800
	v_mul_f64_e32 v[181:182], v[169:170], v[8:9]
	v_mul_f64_e32 v[8:9], v[171:172], v[8:9]
	v_add_f64_e32 v[175:176], v[175:176], v[185:186]
	v_add_f64_e32 v[173:174], v[173:174], v[183:184]
	v_fma_f64 v[183:184], v[4:5], v[38:39], v[177:178]
	v_fma_f64 v[38:39], v[2:3], v[38:39], -v[187:188]
	ds_load_b128 v[2:5], v1 offset:1664
	ds_load_b128 v[177:180], v1 offset:1680
	v_fma_f64 v[171:172], v[171:172], v[6:7], v[181:182]
	v_fma_f64 v[169:170], v[169:170], v[6:7], -v[8:9]
	scratch_load_b128 v[6:9], off, off offset:896
	v_add_f64_e32 v[167:168], v[175:176], v[167:168]
	v_add_f64_e32 v[44:45], v[173:174], v[44:45]
	scratch_load_b128 v[173:176], off, off offset:880
	s_wait_loadcnt_dscnt 0x901
	v_mul_f64_e32 v[185:186], v[2:3], v[12:13]
	v_mul_f64_e32 v[12:13], v[4:5], v[12:13]
	s_wait_loadcnt_dscnt 0x800
	v_mul_f64_e32 v[181:182], v[177:178], v[16:17]
	v_mul_f64_e32 v[16:17], v[179:180], v[16:17]
	v_add_f64_e32 v[38:39], v[167:168], v[38:39]
	v_add_f64_e32 v[44:45], v[44:45], v[183:184]
	v_fma_f64 v[183:184], v[4:5], v[10:11], v[185:186]
	v_fma_f64 v[185:186], v[2:3], v[10:11], -v[12:13]
	ds_load_b128 v[2:5], v1 offset:1696
	scratch_load_b128 v[10:13], off, off offset:912
	v_fma_f64 v[179:180], v[179:180], v[14:15], v[181:182]
	v_fma_f64 v[177:178], v[177:178], v[14:15], -v[16:17]
	scratch_load_b128 v[14:17], off, off offset:928
	v_add_f64_e32 v[38:39], v[38:39], v[169:170]
	v_add_f64_e32 v[44:45], v[44:45], v[171:172]
	ds_load_b128 v[167:170], v1 offset:1712
	s_wait_loadcnt_dscnt 0x901
	v_mul_f64_e32 v[171:172], v[2:3], v[20:21]
	v_mul_f64_e32 v[20:21], v[4:5], v[20:21]
	s_wait_loadcnt_dscnt 0x800
	v_mul_f64_e32 v[181:182], v[167:168], v[24:25]
	v_mul_f64_e32 v[24:25], v[169:170], v[24:25]
	v_add_f64_e32 v[38:39], v[38:39], v[185:186]
	v_add_f64_e32 v[44:45], v[44:45], v[183:184]
	v_fma_f64 v[171:172], v[4:5], v[18:19], v[171:172]
	v_fma_f64 v[183:184], v[2:3], v[18:19], -v[20:21]
	ds_load_b128 v[2:5], v1 offset:1728
	ds_load_b128 v[18:21], v1 offset:1744
	v_fma_f64 v[169:170], v[169:170], v[22:23], v[181:182]
	v_fma_f64 v[22:23], v[167:168], v[22:23], -v[24:25]
	v_add_f64_e32 v[38:39], v[38:39], v[177:178]
	v_add_f64_e32 v[44:45], v[44:45], v[179:180]
	s_wait_loadcnt_dscnt 0x701
	v_mul_f64_e32 v[177:178], v[2:3], v[28:29]
	v_mul_f64_e32 v[28:29], v[4:5], v[28:29]
	s_delay_alu instid0(VALU_DEP_4) | instskip(NEXT) | instid1(VALU_DEP_4)
	v_add_f64_e32 v[24:25], v[38:39], v[183:184]
	v_add_f64_e32 v[38:39], v[44:45], v[171:172]
	s_wait_loadcnt_dscnt 0x600
	v_mul_f64_e32 v[44:45], v[18:19], v[32:33]
	v_mul_f64_e32 v[32:33], v[20:21], v[32:33]
	v_fma_f64 v[167:168], v[4:5], v[26:27], v[177:178]
	v_fma_f64 v[26:27], v[2:3], v[26:27], -v[28:29]
	v_add_f64_e32 v[28:29], v[24:25], v[22:23]
	v_add_f64_e32 v[38:39], v[38:39], v[169:170]
	ds_load_b128 v[2:5], v1 offset:1760
	ds_load_b128 v[22:25], v1 offset:1776
	v_fma_f64 v[20:21], v[20:21], v[30:31], v[44:45]
	v_fma_f64 v[18:19], v[18:19], v[30:31], -v[32:33]
	s_wait_loadcnt_dscnt 0x501
	v_mul_f64_e32 v[169:170], v[2:3], v[36:37]
	v_mul_f64_e32 v[36:37], v[4:5], v[36:37]
	s_wait_loadcnt_dscnt 0x400
	v_mul_f64_e32 v[30:31], v[22:23], v[42:43]
	v_add_f64_e32 v[26:27], v[28:29], v[26:27]
	v_add_f64_e32 v[28:29], v[38:39], v[167:168]
	v_mul_f64_e32 v[32:33], v[24:25], v[42:43]
	v_fma_f64 v[38:39], v[4:5], v[34:35], v[169:170]
	v_fma_f64 v[34:35], v[2:3], v[34:35], -v[36:37]
	v_fma_f64 v[24:25], v[24:25], v[40:41], v[30:31]
	v_add_f64_e32 v[26:27], v[26:27], v[18:19]
	v_add_f64_e32 v[28:29], v[28:29], v[20:21]
	ds_load_b128 v[2:5], v1 offset:1792
	ds_load_b128 v[18:21], v1 offset:1808
	v_fma_f64 v[22:23], v[22:23], v[40:41], -v[32:33]
	s_wait_loadcnt_dscnt 0x201
	v_mul_f64_e32 v[36:37], v[2:3], v[175:176]
	v_mul_f64_e32 v[42:43], v[4:5], v[175:176]
	s_wait_dscnt 0x0
	v_mul_f64_e32 v[30:31], v[18:19], v[8:9]
	v_mul_f64_e32 v[8:9], v[20:21], v[8:9]
	v_add_f64_e32 v[26:27], v[26:27], v[34:35]
	v_add_f64_e32 v[28:29], v[28:29], v[38:39]
	v_fma_f64 v[32:33], v[4:5], v[173:174], v[36:37]
	v_fma_f64 v[34:35], v[2:3], v[173:174], -v[42:43]
	v_fma_f64 v[20:21], v[20:21], v[6:7], v[30:31]
	v_fma_f64 v[6:7], v[18:19], v[6:7], -v[8:9]
	v_add_f64_e32 v[26:27], v[26:27], v[22:23]
	v_add_f64_e32 v[28:29], v[28:29], v[24:25]
	ds_load_b128 v[2:5], v1 offset:1824
	ds_load_b128 v[22:25], v1 offset:1840
	s_wait_loadcnt_dscnt 0x101
	v_mul_f64_e32 v[36:37], v[2:3], v[12:13]
	v_mul_f64_e32 v[12:13], v[4:5], v[12:13]
	v_add_f64_e32 v[8:9], v[26:27], v[34:35]
	v_add_f64_e32 v[18:19], v[28:29], v[32:33]
	s_wait_loadcnt_dscnt 0x0
	v_mul_f64_e32 v[26:27], v[22:23], v[16:17]
	v_mul_f64_e32 v[16:17], v[24:25], v[16:17]
	v_fma_f64 v[4:5], v[4:5], v[10:11], v[36:37]
	v_fma_f64 v[1:2], v[2:3], v[10:11], -v[12:13]
	v_add_f64_e32 v[6:7], v[8:9], v[6:7]
	v_add_f64_e32 v[8:9], v[18:19], v[20:21]
	v_fma_f64 v[10:11], v[24:25], v[14:15], v[26:27]
	v_fma_f64 v[12:13], v[22:23], v[14:15], -v[16:17]
	s_delay_alu instid0(VALU_DEP_4) | instskip(NEXT) | instid1(VALU_DEP_4)
	v_add_f64_e32 v[1:2], v[6:7], v[1:2]
	v_add_f64_e32 v[3:4], v[8:9], v[4:5]
	s_delay_alu instid0(VALU_DEP_2) | instskip(NEXT) | instid1(VALU_DEP_2)
	v_add_f64_e32 v[1:2], v[1:2], v[12:13]
	v_add_f64_e32 v[3:4], v[3:4], v[10:11]
	s_delay_alu instid0(VALU_DEP_2) | instskip(NEXT) | instid1(VALU_DEP_2)
	v_add_f64_e64 v[1:2], v[163:164], -v[1:2]
	v_add_f64_e64 v[3:4], v[165:166], -v[3:4]
	scratch_store_b128 off, v[1:4], off offset:544
	v_cmpx_lt_u32_e32 32, v0
	s_cbranch_execz .LBB121_297
; %bb.296:
	scratch_load_b128 v[1:4], off, s39
	v_mov_b32_e32 v5, 0
	s_delay_alu instid0(VALU_DEP_1)
	v_dual_mov_b32 v6, v5 :: v_dual_mov_b32 v7, v5
	v_mov_b32_e32 v8, v5
	scratch_store_b128 off, v[5:8], off offset:528
	s_wait_loadcnt 0x0
	ds_store_b128 v162, v[1:4]
.LBB121_297:
	s_wait_alu 0xfffe
	s_or_b32 exec_lo, exec_lo, s0
	s_wait_storecnt_dscnt 0x0
	s_barrier_signal -1
	s_barrier_wait -1
	global_inv scope:SCOPE_SE
	s_clause 0x7
	scratch_load_b128 v[2:5], off, off offset:544
	scratch_load_b128 v[6:9], off, off offset:560
	;; [unrolled: 1-line block ×8, first 2 shown]
	v_mov_b32_e32 v1, 0
	s_mov_b32 s0, exec_lo
	ds_load_b128 v[34:37], v1 offset:1456
	s_clause 0x1
	scratch_load_b128 v[38:41], off, off offset:672
	scratch_load_b128 v[42:45], off, off offset:528
	ds_load_b128 v[163:166], v1 offset:1472
	scratch_load_b128 v[167:170], off, off offset:688
	s_wait_loadcnt_dscnt 0xa01
	v_mul_f64_e32 v[171:172], v[36:37], v[4:5]
	v_mul_f64_e32 v[4:5], v[34:35], v[4:5]
	s_delay_alu instid0(VALU_DEP_2) | instskip(NEXT) | instid1(VALU_DEP_2)
	v_fma_f64 v[177:178], v[34:35], v[2:3], -v[171:172]
	v_fma_f64 v[179:180], v[36:37], v[2:3], v[4:5]
	ds_load_b128 v[2:5], v1 offset:1488
	s_wait_loadcnt_dscnt 0x901
	v_mul_f64_e32 v[175:176], v[163:164], v[8:9]
	v_mul_f64_e32 v[8:9], v[165:166], v[8:9]
	scratch_load_b128 v[34:37], off, off offset:704
	ds_load_b128 v[171:174], v1 offset:1504
	s_wait_loadcnt_dscnt 0x901
	v_mul_f64_e32 v[181:182], v[2:3], v[12:13]
	v_mul_f64_e32 v[12:13], v[4:5], v[12:13]
	v_fma_f64 v[165:166], v[165:166], v[6:7], v[175:176]
	v_fma_f64 v[163:164], v[163:164], v[6:7], -v[8:9]
	v_add_f64_e32 v[175:176], 0, v[177:178]
	v_add_f64_e32 v[177:178], 0, v[179:180]
	scratch_load_b128 v[6:9], off, off offset:720
	v_fma_f64 v[181:182], v[4:5], v[10:11], v[181:182]
	v_fma_f64 v[183:184], v[2:3], v[10:11], -v[12:13]
	ds_load_b128 v[2:5], v1 offset:1520
	s_wait_loadcnt_dscnt 0x901
	v_mul_f64_e32 v[179:180], v[171:172], v[16:17]
	v_mul_f64_e32 v[16:17], v[173:174], v[16:17]
	scratch_load_b128 v[10:13], off, off offset:736
	v_add_f64_e32 v[175:176], v[175:176], v[163:164]
	v_add_f64_e32 v[177:178], v[177:178], v[165:166]
	s_wait_loadcnt_dscnt 0x900
	v_mul_f64_e32 v[185:186], v[2:3], v[20:21]
	v_mul_f64_e32 v[20:21], v[4:5], v[20:21]
	ds_load_b128 v[163:166], v1 offset:1536
	v_fma_f64 v[173:174], v[173:174], v[14:15], v[179:180]
	v_fma_f64 v[171:172], v[171:172], v[14:15], -v[16:17]
	scratch_load_b128 v[14:17], off, off offset:752
	v_add_f64_e32 v[175:176], v[175:176], v[183:184]
	v_add_f64_e32 v[177:178], v[177:178], v[181:182]
	v_fma_f64 v[181:182], v[4:5], v[18:19], v[185:186]
	v_fma_f64 v[183:184], v[2:3], v[18:19], -v[20:21]
	ds_load_b128 v[2:5], v1 offset:1552
	s_wait_loadcnt_dscnt 0x901
	v_mul_f64_e32 v[179:180], v[163:164], v[24:25]
	v_mul_f64_e32 v[24:25], v[165:166], v[24:25]
	scratch_load_b128 v[18:21], off, off offset:768
	s_wait_loadcnt_dscnt 0x900
	v_mul_f64_e32 v[185:186], v[2:3], v[28:29]
	v_mul_f64_e32 v[28:29], v[4:5], v[28:29]
	v_add_f64_e32 v[175:176], v[175:176], v[171:172]
	v_add_f64_e32 v[177:178], v[177:178], v[173:174]
	ds_load_b128 v[171:174], v1 offset:1568
	v_fma_f64 v[165:166], v[165:166], v[22:23], v[179:180]
	v_fma_f64 v[163:164], v[163:164], v[22:23], -v[24:25]
	scratch_load_b128 v[22:25], off, off offset:784
	v_add_f64_e32 v[175:176], v[175:176], v[183:184]
	v_add_f64_e32 v[177:178], v[177:178], v[181:182]
	v_fma_f64 v[181:182], v[4:5], v[26:27], v[185:186]
	v_fma_f64 v[183:184], v[2:3], v[26:27], -v[28:29]
	ds_load_b128 v[2:5], v1 offset:1584
	s_wait_loadcnt_dscnt 0x901
	v_mul_f64_e32 v[179:180], v[171:172], v[32:33]
	v_mul_f64_e32 v[32:33], v[173:174], v[32:33]
	scratch_load_b128 v[26:29], off, off offset:800
	s_wait_loadcnt_dscnt 0x900
	v_mul_f64_e32 v[185:186], v[2:3], v[40:41]
	v_mul_f64_e32 v[40:41], v[4:5], v[40:41]
	v_add_f64_e32 v[175:176], v[175:176], v[163:164]
	v_add_f64_e32 v[177:178], v[177:178], v[165:166]
	ds_load_b128 v[163:166], v1 offset:1600
	v_fma_f64 v[173:174], v[173:174], v[30:31], v[179:180]
	v_fma_f64 v[171:172], v[171:172], v[30:31], -v[32:33]
	scratch_load_b128 v[30:33], off, off offset:816
	v_add_f64_e32 v[175:176], v[175:176], v[183:184]
	v_add_f64_e32 v[177:178], v[177:178], v[181:182]
	v_fma_f64 v[183:184], v[4:5], v[38:39], v[185:186]
	v_fma_f64 v[185:186], v[2:3], v[38:39], -v[40:41]
	ds_load_b128 v[2:5], v1 offset:1616
	s_wait_loadcnt_dscnt 0x801
	v_mul_f64_e32 v[179:180], v[163:164], v[169:170]
	v_mul_f64_e32 v[181:182], v[165:166], v[169:170]
	scratch_load_b128 v[38:41], off, off offset:832
	v_add_f64_e32 v[175:176], v[175:176], v[171:172]
	v_add_f64_e32 v[173:174], v[177:178], v[173:174]
	ds_load_b128 v[169:172], v1 offset:1632
	v_fma_f64 v[179:180], v[165:166], v[167:168], v[179:180]
	v_fma_f64 v[167:168], v[163:164], v[167:168], -v[181:182]
	scratch_load_b128 v[163:166], off, off offset:848
	s_wait_loadcnt_dscnt 0x901
	v_mul_f64_e32 v[177:178], v[2:3], v[36:37]
	v_mul_f64_e32 v[36:37], v[4:5], v[36:37]
	v_add_f64_e32 v[175:176], v[175:176], v[185:186]
	v_add_f64_e32 v[173:174], v[173:174], v[183:184]
	s_delay_alu instid0(VALU_DEP_4) | instskip(NEXT) | instid1(VALU_DEP_4)
	v_fma_f64 v[177:178], v[4:5], v[34:35], v[177:178]
	v_fma_f64 v[183:184], v[2:3], v[34:35], -v[36:37]
	ds_load_b128 v[2:5], v1 offset:1648
	s_wait_loadcnt_dscnt 0x801
	v_mul_f64_e32 v[181:182], v[169:170], v[8:9]
	v_mul_f64_e32 v[8:9], v[171:172], v[8:9]
	scratch_load_b128 v[34:37], off, off offset:864
	s_wait_loadcnt_dscnt 0x800
	v_mul_f64_e32 v[185:186], v[2:3], v[12:13]
	v_add_f64_e32 v[167:168], v[175:176], v[167:168]
	v_add_f64_e32 v[179:180], v[173:174], v[179:180]
	v_mul_f64_e32 v[12:13], v[4:5], v[12:13]
	ds_load_b128 v[173:176], v1 offset:1664
	v_fma_f64 v[171:172], v[171:172], v[6:7], v[181:182]
	v_fma_f64 v[169:170], v[169:170], v[6:7], -v[8:9]
	scratch_load_b128 v[6:9], off, off offset:880
	v_fma_f64 v[181:182], v[4:5], v[10:11], v[185:186]
	v_add_f64_e32 v[167:168], v[167:168], v[183:184]
	v_add_f64_e32 v[177:178], v[179:180], v[177:178]
	v_fma_f64 v[183:184], v[2:3], v[10:11], -v[12:13]
	ds_load_b128 v[2:5], v1 offset:1680
	s_wait_loadcnt_dscnt 0x801
	v_mul_f64_e32 v[179:180], v[173:174], v[16:17]
	v_mul_f64_e32 v[16:17], v[175:176], v[16:17]
	scratch_load_b128 v[10:13], off, off offset:896
	v_add_f64_e32 v[185:186], v[167:168], v[169:170]
	v_add_f64_e32 v[171:172], v[177:178], v[171:172]
	s_wait_loadcnt_dscnt 0x800
	v_mul_f64_e32 v[177:178], v[2:3], v[20:21]
	v_mul_f64_e32 v[20:21], v[4:5], v[20:21]
	v_fma_f64 v[175:176], v[175:176], v[14:15], v[179:180]
	v_fma_f64 v[173:174], v[173:174], v[14:15], -v[16:17]
	ds_load_b128 v[167:170], v1 offset:1696
	scratch_load_b128 v[14:17], off, off offset:912
	v_add_f64_e32 v[179:180], v[185:186], v[183:184]
	v_add_f64_e32 v[171:172], v[171:172], v[181:182]
	v_fma_f64 v[177:178], v[4:5], v[18:19], v[177:178]
	v_fma_f64 v[183:184], v[2:3], v[18:19], -v[20:21]
	ds_load_b128 v[2:5], v1 offset:1712
	s_wait_loadcnt_dscnt 0x801
	v_mul_f64_e32 v[181:182], v[167:168], v[24:25]
	v_mul_f64_e32 v[24:25], v[169:170], v[24:25]
	scratch_load_b128 v[18:21], off, off offset:928
	s_wait_loadcnt_dscnt 0x800
	v_mul_f64_e32 v[185:186], v[2:3], v[28:29]
	v_mul_f64_e32 v[28:29], v[4:5], v[28:29]
	v_add_f64_e32 v[179:180], v[179:180], v[173:174]
	v_add_f64_e32 v[175:176], v[171:172], v[175:176]
	ds_load_b128 v[171:174], v1 offset:1728
	v_fma_f64 v[169:170], v[169:170], v[22:23], v[181:182]
	v_fma_f64 v[22:23], v[167:168], v[22:23], -v[24:25]
	v_add_f64_e32 v[24:25], v[179:180], v[183:184]
	v_add_f64_e32 v[167:168], v[175:176], v[177:178]
	s_wait_loadcnt_dscnt 0x700
	v_mul_f64_e32 v[175:176], v[171:172], v[32:33]
	v_mul_f64_e32 v[32:33], v[173:174], v[32:33]
	v_fma_f64 v[177:178], v[4:5], v[26:27], v[185:186]
	v_fma_f64 v[26:27], v[2:3], v[26:27], -v[28:29]
	v_add_f64_e32 v[28:29], v[24:25], v[22:23]
	v_add_f64_e32 v[167:168], v[167:168], v[169:170]
	ds_load_b128 v[2:5], v1 offset:1744
	ds_load_b128 v[22:25], v1 offset:1760
	v_fma_f64 v[173:174], v[173:174], v[30:31], v[175:176]
	v_fma_f64 v[30:31], v[171:172], v[30:31], -v[32:33]
	s_wait_loadcnt_dscnt 0x601
	v_mul_f64_e32 v[169:170], v[2:3], v[40:41]
	v_mul_f64_e32 v[40:41], v[4:5], v[40:41]
	s_wait_loadcnt_dscnt 0x500
	v_mul_f64_e32 v[32:33], v[22:23], v[165:166]
	v_mul_f64_e32 v[165:166], v[24:25], v[165:166]
	v_add_f64_e32 v[26:27], v[28:29], v[26:27]
	v_add_f64_e32 v[28:29], v[167:168], v[177:178]
	v_fma_f64 v[167:168], v[4:5], v[38:39], v[169:170]
	v_fma_f64 v[38:39], v[2:3], v[38:39], -v[40:41]
	v_fma_f64 v[24:25], v[24:25], v[163:164], v[32:33]
	v_fma_f64 v[22:23], v[22:23], v[163:164], -v[165:166]
	v_add_f64_e32 v[30:31], v[26:27], v[30:31]
	v_add_f64_e32 v[40:41], v[28:29], v[173:174]
	ds_load_b128 v[2:5], v1 offset:1776
	ds_load_b128 v[26:29], v1 offset:1792
	s_wait_loadcnt_dscnt 0x401
	v_mul_f64_e32 v[169:170], v[2:3], v[36:37]
	v_mul_f64_e32 v[36:37], v[4:5], v[36:37]
	v_add_f64_e32 v[30:31], v[30:31], v[38:39]
	v_add_f64_e32 v[32:33], v[40:41], v[167:168]
	s_wait_loadcnt_dscnt 0x300
	v_mul_f64_e32 v[38:39], v[26:27], v[8:9]
	v_mul_f64_e32 v[8:9], v[28:29], v[8:9]
	v_fma_f64 v[40:41], v[4:5], v[34:35], v[169:170]
	v_fma_f64 v[34:35], v[2:3], v[34:35], -v[36:37]
	v_add_f64_e32 v[30:31], v[30:31], v[22:23]
	v_add_f64_e32 v[32:33], v[32:33], v[24:25]
	ds_load_b128 v[2:5], v1 offset:1808
	ds_load_b128 v[22:25], v1 offset:1824
	v_fma_f64 v[28:29], v[28:29], v[6:7], v[38:39]
	v_fma_f64 v[6:7], v[26:27], v[6:7], -v[8:9]
	s_wait_loadcnt_dscnt 0x201
	v_mul_f64_e32 v[36:37], v[2:3], v[12:13]
	v_mul_f64_e32 v[12:13], v[4:5], v[12:13]
	v_add_f64_e32 v[8:9], v[30:31], v[34:35]
	v_add_f64_e32 v[26:27], v[32:33], v[40:41]
	s_wait_loadcnt_dscnt 0x100
	v_mul_f64_e32 v[30:31], v[22:23], v[16:17]
	v_mul_f64_e32 v[16:17], v[24:25], v[16:17]
	v_fma_f64 v[32:33], v[4:5], v[10:11], v[36:37]
	v_fma_f64 v[10:11], v[2:3], v[10:11], -v[12:13]
	ds_load_b128 v[2:5], v1 offset:1840
	v_add_f64_e32 v[6:7], v[8:9], v[6:7]
	v_add_f64_e32 v[8:9], v[26:27], v[28:29]
	v_fma_f64 v[24:25], v[24:25], v[14:15], v[30:31]
	v_fma_f64 v[14:15], v[22:23], v[14:15], -v[16:17]
	s_wait_loadcnt_dscnt 0x0
	v_mul_f64_e32 v[12:13], v[2:3], v[20:21]
	v_mul_f64_e32 v[20:21], v[4:5], v[20:21]
	v_add_f64_e32 v[6:7], v[6:7], v[10:11]
	v_add_f64_e32 v[8:9], v[8:9], v[32:33]
	s_delay_alu instid0(VALU_DEP_4) | instskip(NEXT) | instid1(VALU_DEP_4)
	v_fma_f64 v[4:5], v[4:5], v[18:19], v[12:13]
	v_fma_f64 v[2:3], v[2:3], v[18:19], -v[20:21]
	s_delay_alu instid0(VALU_DEP_4) | instskip(NEXT) | instid1(VALU_DEP_4)
	v_add_f64_e32 v[6:7], v[6:7], v[14:15]
	v_add_f64_e32 v[8:9], v[8:9], v[24:25]
	s_delay_alu instid0(VALU_DEP_2) | instskip(NEXT) | instid1(VALU_DEP_2)
	v_add_f64_e32 v[2:3], v[6:7], v[2:3]
	v_add_f64_e32 v[4:5], v[8:9], v[4:5]
	s_delay_alu instid0(VALU_DEP_2) | instskip(NEXT) | instid1(VALU_DEP_2)
	v_add_f64_e64 v[2:3], v[42:43], -v[2:3]
	v_add_f64_e64 v[4:5], v[44:45], -v[4:5]
	scratch_store_b128 off, v[2:5], off offset:528
	v_cmpx_lt_u32_e32 31, v0
	s_cbranch_execz .LBB121_299
; %bb.298:
	scratch_load_b128 v[5:8], off, s40
	v_dual_mov_b32 v2, v1 :: v_dual_mov_b32 v3, v1
	v_mov_b32_e32 v4, v1
	scratch_store_b128 off, v[1:4], off offset:512
	s_wait_loadcnt 0x0
	ds_store_b128 v162, v[5:8]
.LBB121_299:
	s_wait_alu 0xfffe
	s_or_b32 exec_lo, exec_lo, s0
	s_wait_storecnt_dscnt 0x0
	s_barrier_signal -1
	s_barrier_wait -1
	global_inv scope:SCOPE_SE
	s_clause 0x8
	scratch_load_b128 v[2:5], off, off offset:528
	scratch_load_b128 v[6:9], off, off offset:544
	;; [unrolled: 1-line block ×9, first 2 shown]
	ds_load_b128 v[38:41], v1 offset:1440
	ds_load_b128 v[42:45], v1 offset:1456
	s_clause 0x1
	scratch_load_b128 v[163:166], off, off offset:512
	scratch_load_b128 v[167:170], off, off offset:672
	s_mov_b32 s0, exec_lo
	s_wait_loadcnt_dscnt 0xa01
	v_mul_f64_e32 v[171:172], v[40:41], v[4:5]
	v_mul_f64_e32 v[4:5], v[38:39], v[4:5]
	s_wait_loadcnt_dscnt 0x900
	v_mul_f64_e32 v[175:176], v[42:43], v[8:9]
	v_mul_f64_e32 v[8:9], v[44:45], v[8:9]
	s_delay_alu instid0(VALU_DEP_4) | instskip(NEXT) | instid1(VALU_DEP_4)
	v_fma_f64 v[177:178], v[38:39], v[2:3], -v[171:172]
	v_fma_f64 v[179:180], v[40:41], v[2:3], v[4:5]
	ds_load_b128 v[2:5], v1 offset:1472
	ds_load_b128 v[171:174], v1 offset:1488
	scratch_load_b128 v[38:41], off, off offset:688
	v_fma_f64 v[44:45], v[44:45], v[6:7], v[175:176]
	v_fma_f64 v[42:43], v[42:43], v[6:7], -v[8:9]
	scratch_load_b128 v[6:9], off, off offset:704
	s_wait_loadcnt_dscnt 0xa01
	v_mul_f64_e32 v[181:182], v[2:3], v[12:13]
	v_mul_f64_e32 v[12:13], v[4:5], v[12:13]
	v_add_f64_e32 v[175:176], 0, v[177:178]
	v_add_f64_e32 v[177:178], 0, v[179:180]
	s_wait_loadcnt_dscnt 0x900
	v_mul_f64_e32 v[179:180], v[171:172], v[16:17]
	v_mul_f64_e32 v[16:17], v[173:174], v[16:17]
	v_fma_f64 v[181:182], v[4:5], v[10:11], v[181:182]
	v_fma_f64 v[183:184], v[2:3], v[10:11], -v[12:13]
	ds_load_b128 v[2:5], v1 offset:1504
	scratch_load_b128 v[10:13], off, off offset:720
	v_add_f64_e32 v[175:176], v[175:176], v[42:43]
	v_add_f64_e32 v[177:178], v[177:178], v[44:45]
	ds_load_b128 v[42:45], v1 offset:1520
	v_fma_f64 v[173:174], v[173:174], v[14:15], v[179:180]
	v_fma_f64 v[171:172], v[171:172], v[14:15], -v[16:17]
	scratch_load_b128 v[14:17], off, off offset:736
	s_wait_loadcnt_dscnt 0xa01
	v_mul_f64_e32 v[185:186], v[2:3], v[20:21]
	v_mul_f64_e32 v[20:21], v[4:5], v[20:21]
	s_wait_loadcnt_dscnt 0x900
	v_mul_f64_e32 v[179:180], v[42:43], v[24:25]
	v_mul_f64_e32 v[24:25], v[44:45], v[24:25]
	v_add_f64_e32 v[175:176], v[175:176], v[183:184]
	v_add_f64_e32 v[177:178], v[177:178], v[181:182]
	v_fma_f64 v[181:182], v[4:5], v[18:19], v[185:186]
	v_fma_f64 v[183:184], v[2:3], v[18:19], -v[20:21]
	ds_load_b128 v[2:5], v1 offset:1536
	scratch_load_b128 v[18:21], off, off offset:752
	v_fma_f64 v[44:45], v[44:45], v[22:23], v[179:180]
	v_fma_f64 v[42:43], v[42:43], v[22:23], -v[24:25]
	scratch_load_b128 v[22:25], off, off offset:768
	v_add_f64_e32 v[175:176], v[175:176], v[171:172]
	v_add_f64_e32 v[177:178], v[177:178], v[173:174]
	ds_load_b128 v[171:174], v1 offset:1552
	s_wait_loadcnt_dscnt 0xa01
	v_mul_f64_e32 v[185:186], v[2:3], v[28:29]
	v_mul_f64_e32 v[28:29], v[4:5], v[28:29]
	s_wait_loadcnt_dscnt 0x900
	v_mul_f64_e32 v[179:180], v[171:172], v[32:33]
	v_mul_f64_e32 v[32:33], v[173:174], v[32:33]
	v_add_f64_e32 v[175:176], v[175:176], v[183:184]
	v_add_f64_e32 v[177:178], v[177:178], v[181:182]
	v_fma_f64 v[181:182], v[4:5], v[26:27], v[185:186]
	v_fma_f64 v[183:184], v[2:3], v[26:27], -v[28:29]
	ds_load_b128 v[2:5], v1 offset:1568
	scratch_load_b128 v[26:29], off, off offset:784
	v_fma_f64 v[173:174], v[173:174], v[30:31], v[179:180]
	v_fma_f64 v[171:172], v[171:172], v[30:31], -v[32:33]
	scratch_load_b128 v[30:33], off, off offset:800
	v_add_f64_e32 v[175:176], v[175:176], v[42:43]
	v_add_f64_e32 v[177:178], v[177:178], v[44:45]
	ds_load_b128 v[42:45], v1 offset:1584
	s_wait_loadcnt_dscnt 0xa01
	v_mul_f64_e32 v[185:186], v[2:3], v[36:37]
	v_mul_f64_e32 v[36:37], v[4:5], v[36:37]
	s_wait_loadcnt_dscnt 0x800
	v_mul_f64_e32 v[179:180], v[42:43], v[169:170]
	v_add_f64_e32 v[175:176], v[175:176], v[183:184]
	v_add_f64_e32 v[177:178], v[177:178], v[181:182]
	v_mul_f64_e32 v[181:182], v[44:45], v[169:170]
	v_fma_f64 v[183:184], v[4:5], v[34:35], v[185:186]
	v_fma_f64 v[185:186], v[2:3], v[34:35], -v[36:37]
	ds_load_b128 v[2:5], v1 offset:1600
	scratch_load_b128 v[34:37], off, off offset:816
	v_fma_f64 v[44:45], v[44:45], v[167:168], v[179:180]
	v_add_f64_e32 v[175:176], v[175:176], v[171:172]
	v_add_f64_e32 v[173:174], v[177:178], v[173:174]
	ds_load_b128 v[169:172], v1 offset:1616
	v_fma_f64 v[167:168], v[42:43], v[167:168], -v[181:182]
	s_wait_loadcnt_dscnt 0x801
	v_mul_f64_e32 v[177:178], v[2:3], v[40:41]
	v_mul_f64_e32 v[187:188], v[4:5], v[40:41]
	scratch_load_b128 v[40:43], off, off offset:832
	s_wait_loadcnt_dscnt 0x800
	v_mul_f64_e32 v[181:182], v[169:170], v[8:9]
	v_mul_f64_e32 v[8:9], v[171:172], v[8:9]
	v_add_f64_e32 v[175:176], v[175:176], v[185:186]
	v_add_f64_e32 v[173:174], v[173:174], v[183:184]
	v_fma_f64 v[183:184], v[4:5], v[38:39], v[177:178]
	v_fma_f64 v[38:39], v[2:3], v[38:39], -v[187:188]
	ds_load_b128 v[2:5], v1 offset:1632
	ds_load_b128 v[177:180], v1 offset:1648
	v_fma_f64 v[171:172], v[171:172], v[6:7], v[181:182]
	v_fma_f64 v[169:170], v[169:170], v[6:7], -v[8:9]
	scratch_load_b128 v[6:9], off, off offset:864
	v_add_f64_e32 v[167:168], v[175:176], v[167:168]
	v_add_f64_e32 v[44:45], v[173:174], v[44:45]
	scratch_load_b128 v[173:176], off, off offset:848
	s_wait_loadcnt_dscnt 0x901
	v_mul_f64_e32 v[185:186], v[2:3], v[12:13]
	v_mul_f64_e32 v[12:13], v[4:5], v[12:13]
	s_wait_loadcnt_dscnt 0x800
	v_mul_f64_e32 v[181:182], v[177:178], v[16:17]
	v_mul_f64_e32 v[16:17], v[179:180], v[16:17]
	v_add_f64_e32 v[38:39], v[167:168], v[38:39]
	v_add_f64_e32 v[44:45], v[44:45], v[183:184]
	v_fma_f64 v[183:184], v[4:5], v[10:11], v[185:186]
	v_fma_f64 v[185:186], v[2:3], v[10:11], -v[12:13]
	ds_load_b128 v[2:5], v1 offset:1664
	scratch_load_b128 v[10:13], off, off offset:880
	v_fma_f64 v[179:180], v[179:180], v[14:15], v[181:182]
	v_fma_f64 v[177:178], v[177:178], v[14:15], -v[16:17]
	scratch_load_b128 v[14:17], off, off offset:896
	v_add_f64_e32 v[38:39], v[38:39], v[169:170]
	v_add_f64_e32 v[44:45], v[44:45], v[171:172]
	ds_load_b128 v[167:170], v1 offset:1680
	s_wait_loadcnt_dscnt 0x901
	v_mul_f64_e32 v[171:172], v[2:3], v[20:21]
	v_mul_f64_e32 v[20:21], v[4:5], v[20:21]
	s_wait_loadcnt_dscnt 0x800
	v_mul_f64_e32 v[181:182], v[167:168], v[24:25]
	v_mul_f64_e32 v[24:25], v[169:170], v[24:25]
	v_add_f64_e32 v[38:39], v[38:39], v[185:186]
	v_add_f64_e32 v[44:45], v[44:45], v[183:184]
	v_fma_f64 v[171:172], v[4:5], v[18:19], v[171:172]
	v_fma_f64 v[183:184], v[2:3], v[18:19], -v[20:21]
	ds_load_b128 v[2:5], v1 offset:1696
	scratch_load_b128 v[18:21], off, off offset:912
	v_fma_f64 v[169:170], v[169:170], v[22:23], v[181:182]
	v_fma_f64 v[167:168], v[167:168], v[22:23], -v[24:25]
	scratch_load_b128 v[22:25], off, off offset:928
	v_add_f64_e32 v[38:39], v[38:39], v[177:178]
	v_add_f64_e32 v[44:45], v[44:45], v[179:180]
	ds_load_b128 v[177:180], v1 offset:1712
	s_wait_loadcnt_dscnt 0x901
	v_mul_f64_e32 v[185:186], v[2:3], v[28:29]
	v_mul_f64_e32 v[28:29], v[4:5], v[28:29]
	v_add_f64_e32 v[38:39], v[38:39], v[183:184]
	v_add_f64_e32 v[44:45], v[44:45], v[171:172]
	s_wait_loadcnt_dscnt 0x800
	v_mul_f64_e32 v[171:172], v[177:178], v[32:33]
	v_mul_f64_e32 v[32:33], v[179:180], v[32:33]
	v_fma_f64 v[181:182], v[4:5], v[26:27], v[185:186]
	v_fma_f64 v[183:184], v[2:3], v[26:27], -v[28:29]
	ds_load_b128 v[2:5], v1 offset:1728
	ds_load_b128 v[26:29], v1 offset:1744
	v_add_f64_e32 v[38:39], v[38:39], v[167:168]
	v_add_f64_e32 v[44:45], v[44:45], v[169:170]
	s_wait_loadcnt_dscnt 0x701
	v_mul_f64_e32 v[167:168], v[2:3], v[36:37]
	v_mul_f64_e32 v[36:37], v[4:5], v[36:37]
	v_fma_f64 v[169:170], v[179:180], v[30:31], v[171:172]
	v_fma_f64 v[30:31], v[177:178], v[30:31], -v[32:33]
	v_add_f64_e32 v[32:33], v[38:39], v[183:184]
	v_add_f64_e32 v[38:39], v[44:45], v[181:182]
	s_wait_loadcnt_dscnt 0x600
	v_mul_f64_e32 v[44:45], v[26:27], v[42:43]
	v_mul_f64_e32 v[42:43], v[28:29], v[42:43]
	v_fma_f64 v[167:168], v[4:5], v[34:35], v[167:168]
	v_fma_f64 v[34:35], v[2:3], v[34:35], -v[36:37]
	v_add_f64_e32 v[36:37], v[32:33], v[30:31]
	v_add_f64_e32 v[38:39], v[38:39], v[169:170]
	ds_load_b128 v[2:5], v1 offset:1760
	ds_load_b128 v[30:33], v1 offset:1776
	v_fma_f64 v[28:29], v[28:29], v[40:41], v[44:45]
	v_fma_f64 v[26:27], v[26:27], v[40:41], -v[42:43]
	s_wait_loadcnt_dscnt 0x401
	v_mul_f64_e32 v[169:170], v[2:3], v[175:176]
	v_mul_f64_e32 v[171:172], v[4:5], v[175:176]
	v_add_f64_e32 v[34:35], v[36:37], v[34:35]
	v_add_f64_e32 v[36:37], v[38:39], v[167:168]
	s_wait_dscnt 0x0
	v_mul_f64_e32 v[38:39], v[30:31], v[8:9]
	v_mul_f64_e32 v[8:9], v[32:33], v[8:9]
	v_fma_f64 v[40:41], v[4:5], v[173:174], v[169:170]
	v_fma_f64 v[42:43], v[2:3], v[173:174], -v[171:172]
	v_add_f64_e32 v[34:35], v[34:35], v[26:27]
	v_add_f64_e32 v[36:37], v[36:37], v[28:29]
	ds_load_b128 v[2:5], v1 offset:1792
	ds_load_b128 v[26:29], v1 offset:1808
	v_fma_f64 v[32:33], v[32:33], v[6:7], v[38:39]
	v_fma_f64 v[6:7], v[30:31], v[6:7], -v[8:9]
	s_wait_loadcnt_dscnt 0x301
	v_mul_f64_e32 v[44:45], v[2:3], v[12:13]
	v_mul_f64_e32 v[12:13], v[4:5], v[12:13]
	v_add_f64_e32 v[8:9], v[34:35], v[42:43]
	v_add_f64_e32 v[30:31], v[36:37], v[40:41]
	s_wait_loadcnt_dscnt 0x200
	v_mul_f64_e32 v[34:35], v[26:27], v[16:17]
	v_mul_f64_e32 v[16:17], v[28:29], v[16:17]
	v_fma_f64 v[36:37], v[4:5], v[10:11], v[44:45]
	v_fma_f64 v[10:11], v[2:3], v[10:11], -v[12:13]
	v_add_f64_e32 v[12:13], v[8:9], v[6:7]
	v_add_f64_e32 v[30:31], v[30:31], v[32:33]
	ds_load_b128 v[2:5], v1 offset:1824
	ds_load_b128 v[6:9], v1 offset:1840
	v_fma_f64 v[28:29], v[28:29], v[14:15], v[34:35]
	v_fma_f64 v[14:15], v[26:27], v[14:15], -v[16:17]
	s_wait_loadcnt_dscnt 0x101
	v_mul_f64_e32 v[32:33], v[2:3], v[20:21]
	v_mul_f64_e32 v[20:21], v[4:5], v[20:21]
	s_wait_loadcnt_dscnt 0x0
	v_mul_f64_e32 v[16:17], v[6:7], v[24:25]
	v_mul_f64_e32 v[24:25], v[8:9], v[24:25]
	v_add_f64_e32 v[10:11], v[12:13], v[10:11]
	v_add_f64_e32 v[12:13], v[30:31], v[36:37]
	v_fma_f64 v[4:5], v[4:5], v[18:19], v[32:33]
	v_fma_f64 v[1:2], v[2:3], v[18:19], -v[20:21]
	v_fma_f64 v[8:9], v[8:9], v[22:23], v[16:17]
	v_fma_f64 v[6:7], v[6:7], v[22:23], -v[24:25]
	v_add_f64_e32 v[10:11], v[10:11], v[14:15]
	v_add_f64_e32 v[12:13], v[12:13], v[28:29]
	s_delay_alu instid0(VALU_DEP_2) | instskip(NEXT) | instid1(VALU_DEP_2)
	v_add_f64_e32 v[1:2], v[10:11], v[1:2]
	v_add_f64_e32 v[3:4], v[12:13], v[4:5]
	s_delay_alu instid0(VALU_DEP_2) | instskip(NEXT) | instid1(VALU_DEP_2)
	;; [unrolled: 3-line block ×3, first 2 shown]
	v_add_f64_e64 v[1:2], v[163:164], -v[1:2]
	v_add_f64_e64 v[3:4], v[165:166], -v[3:4]
	scratch_store_b128 off, v[1:4], off offset:512
	v_cmpx_lt_u32_e32 30, v0
	s_cbranch_execz .LBB121_301
; %bb.300:
	scratch_load_b128 v[1:4], off, s41
	v_mov_b32_e32 v5, 0
	s_delay_alu instid0(VALU_DEP_1)
	v_dual_mov_b32 v6, v5 :: v_dual_mov_b32 v7, v5
	v_mov_b32_e32 v8, v5
	scratch_store_b128 off, v[5:8], off offset:496
	s_wait_loadcnt 0x0
	ds_store_b128 v162, v[1:4]
.LBB121_301:
	s_wait_alu 0xfffe
	s_or_b32 exec_lo, exec_lo, s0
	s_wait_storecnt_dscnt 0x0
	s_barrier_signal -1
	s_barrier_wait -1
	global_inv scope:SCOPE_SE
	s_clause 0x7
	scratch_load_b128 v[2:5], off, off offset:512
	scratch_load_b128 v[6:9], off, off offset:528
	;; [unrolled: 1-line block ×8, first 2 shown]
	v_mov_b32_e32 v1, 0
	s_mov_b32 s0, exec_lo
	ds_load_b128 v[34:37], v1 offset:1424
	s_clause 0x1
	scratch_load_b128 v[38:41], off, off offset:640
	scratch_load_b128 v[42:45], off, off offset:496
	ds_load_b128 v[163:166], v1 offset:1440
	scratch_load_b128 v[167:170], off, off offset:656
	s_wait_loadcnt_dscnt 0xa01
	v_mul_f64_e32 v[171:172], v[36:37], v[4:5]
	v_mul_f64_e32 v[4:5], v[34:35], v[4:5]
	s_delay_alu instid0(VALU_DEP_2) | instskip(NEXT) | instid1(VALU_DEP_2)
	v_fma_f64 v[177:178], v[34:35], v[2:3], -v[171:172]
	v_fma_f64 v[179:180], v[36:37], v[2:3], v[4:5]
	ds_load_b128 v[2:5], v1 offset:1456
	s_wait_loadcnt_dscnt 0x901
	v_mul_f64_e32 v[175:176], v[163:164], v[8:9]
	v_mul_f64_e32 v[8:9], v[165:166], v[8:9]
	scratch_load_b128 v[34:37], off, off offset:672
	ds_load_b128 v[171:174], v1 offset:1472
	s_wait_loadcnt_dscnt 0x901
	v_mul_f64_e32 v[181:182], v[2:3], v[12:13]
	v_mul_f64_e32 v[12:13], v[4:5], v[12:13]
	v_fma_f64 v[165:166], v[165:166], v[6:7], v[175:176]
	v_fma_f64 v[163:164], v[163:164], v[6:7], -v[8:9]
	v_add_f64_e32 v[175:176], 0, v[177:178]
	v_add_f64_e32 v[177:178], 0, v[179:180]
	scratch_load_b128 v[6:9], off, off offset:688
	v_fma_f64 v[181:182], v[4:5], v[10:11], v[181:182]
	v_fma_f64 v[183:184], v[2:3], v[10:11], -v[12:13]
	ds_load_b128 v[2:5], v1 offset:1488
	s_wait_loadcnt_dscnt 0x901
	v_mul_f64_e32 v[179:180], v[171:172], v[16:17]
	v_mul_f64_e32 v[16:17], v[173:174], v[16:17]
	scratch_load_b128 v[10:13], off, off offset:704
	v_add_f64_e32 v[175:176], v[175:176], v[163:164]
	v_add_f64_e32 v[177:178], v[177:178], v[165:166]
	s_wait_loadcnt_dscnt 0x900
	v_mul_f64_e32 v[185:186], v[2:3], v[20:21]
	v_mul_f64_e32 v[20:21], v[4:5], v[20:21]
	ds_load_b128 v[163:166], v1 offset:1504
	v_fma_f64 v[173:174], v[173:174], v[14:15], v[179:180]
	v_fma_f64 v[171:172], v[171:172], v[14:15], -v[16:17]
	scratch_load_b128 v[14:17], off, off offset:720
	v_add_f64_e32 v[175:176], v[175:176], v[183:184]
	v_add_f64_e32 v[177:178], v[177:178], v[181:182]
	v_fma_f64 v[181:182], v[4:5], v[18:19], v[185:186]
	v_fma_f64 v[183:184], v[2:3], v[18:19], -v[20:21]
	ds_load_b128 v[2:5], v1 offset:1520
	s_wait_loadcnt_dscnt 0x901
	v_mul_f64_e32 v[179:180], v[163:164], v[24:25]
	v_mul_f64_e32 v[24:25], v[165:166], v[24:25]
	scratch_load_b128 v[18:21], off, off offset:736
	s_wait_loadcnt_dscnt 0x900
	v_mul_f64_e32 v[185:186], v[2:3], v[28:29]
	v_mul_f64_e32 v[28:29], v[4:5], v[28:29]
	v_add_f64_e32 v[175:176], v[175:176], v[171:172]
	v_add_f64_e32 v[177:178], v[177:178], v[173:174]
	ds_load_b128 v[171:174], v1 offset:1536
	v_fma_f64 v[165:166], v[165:166], v[22:23], v[179:180]
	v_fma_f64 v[163:164], v[163:164], v[22:23], -v[24:25]
	scratch_load_b128 v[22:25], off, off offset:752
	v_add_f64_e32 v[175:176], v[175:176], v[183:184]
	v_add_f64_e32 v[177:178], v[177:178], v[181:182]
	v_fma_f64 v[181:182], v[4:5], v[26:27], v[185:186]
	v_fma_f64 v[183:184], v[2:3], v[26:27], -v[28:29]
	ds_load_b128 v[2:5], v1 offset:1552
	s_wait_loadcnt_dscnt 0x901
	v_mul_f64_e32 v[179:180], v[171:172], v[32:33]
	v_mul_f64_e32 v[32:33], v[173:174], v[32:33]
	scratch_load_b128 v[26:29], off, off offset:768
	s_wait_loadcnt_dscnt 0x900
	v_mul_f64_e32 v[185:186], v[2:3], v[40:41]
	v_mul_f64_e32 v[40:41], v[4:5], v[40:41]
	v_add_f64_e32 v[175:176], v[175:176], v[163:164]
	v_add_f64_e32 v[177:178], v[177:178], v[165:166]
	ds_load_b128 v[163:166], v1 offset:1568
	v_fma_f64 v[173:174], v[173:174], v[30:31], v[179:180]
	v_fma_f64 v[171:172], v[171:172], v[30:31], -v[32:33]
	scratch_load_b128 v[30:33], off, off offset:784
	v_add_f64_e32 v[175:176], v[175:176], v[183:184]
	v_add_f64_e32 v[177:178], v[177:178], v[181:182]
	v_fma_f64 v[183:184], v[4:5], v[38:39], v[185:186]
	v_fma_f64 v[185:186], v[2:3], v[38:39], -v[40:41]
	ds_load_b128 v[2:5], v1 offset:1584
	s_wait_loadcnt_dscnt 0x801
	v_mul_f64_e32 v[179:180], v[163:164], v[169:170]
	v_mul_f64_e32 v[181:182], v[165:166], v[169:170]
	scratch_load_b128 v[38:41], off, off offset:800
	v_add_f64_e32 v[175:176], v[175:176], v[171:172]
	v_add_f64_e32 v[173:174], v[177:178], v[173:174]
	ds_load_b128 v[169:172], v1 offset:1600
	v_fma_f64 v[179:180], v[165:166], v[167:168], v[179:180]
	v_fma_f64 v[167:168], v[163:164], v[167:168], -v[181:182]
	scratch_load_b128 v[163:166], off, off offset:816
	s_wait_loadcnt_dscnt 0x901
	v_mul_f64_e32 v[177:178], v[2:3], v[36:37]
	v_mul_f64_e32 v[36:37], v[4:5], v[36:37]
	v_add_f64_e32 v[175:176], v[175:176], v[185:186]
	v_add_f64_e32 v[173:174], v[173:174], v[183:184]
	s_delay_alu instid0(VALU_DEP_4) | instskip(NEXT) | instid1(VALU_DEP_4)
	v_fma_f64 v[177:178], v[4:5], v[34:35], v[177:178]
	v_fma_f64 v[183:184], v[2:3], v[34:35], -v[36:37]
	ds_load_b128 v[2:5], v1 offset:1616
	s_wait_loadcnt_dscnt 0x801
	v_mul_f64_e32 v[181:182], v[169:170], v[8:9]
	v_mul_f64_e32 v[8:9], v[171:172], v[8:9]
	scratch_load_b128 v[34:37], off, off offset:832
	s_wait_loadcnt_dscnt 0x800
	v_mul_f64_e32 v[185:186], v[2:3], v[12:13]
	v_add_f64_e32 v[167:168], v[175:176], v[167:168]
	v_add_f64_e32 v[179:180], v[173:174], v[179:180]
	v_mul_f64_e32 v[12:13], v[4:5], v[12:13]
	ds_load_b128 v[173:176], v1 offset:1632
	v_fma_f64 v[171:172], v[171:172], v[6:7], v[181:182]
	v_fma_f64 v[169:170], v[169:170], v[6:7], -v[8:9]
	scratch_load_b128 v[6:9], off, off offset:848
	v_fma_f64 v[181:182], v[4:5], v[10:11], v[185:186]
	v_add_f64_e32 v[167:168], v[167:168], v[183:184]
	v_add_f64_e32 v[177:178], v[179:180], v[177:178]
	v_fma_f64 v[183:184], v[2:3], v[10:11], -v[12:13]
	ds_load_b128 v[2:5], v1 offset:1648
	s_wait_loadcnt_dscnt 0x801
	v_mul_f64_e32 v[179:180], v[173:174], v[16:17]
	v_mul_f64_e32 v[16:17], v[175:176], v[16:17]
	scratch_load_b128 v[10:13], off, off offset:864
	v_add_f64_e32 v[185:186], v[167:168], v[169:170]
	v_add_f64_e32 v[171:172], v[177:178], v[171:172]
	s_wait_loadcnt_dscnt 0x800
	v_mul_f64_e32 v[177:178], v[2:3], v[20:21]
	v_mul_f64_e32 v[20:21], v[4:5], v[20:21]
	v_fma_f64 v[175:176], v[175:176], v[14:15], v[179:180]
	v_fma_f64 v[173:174], v[173:174], v[14:15], -v[16:17]
	ds_load_b128 v[167:170], v1 offset:1664
	scratch_load_b128 v[14:17], off, off offset:880
	v_add_f64_e32 v[179:180], v[185:186], v[183:184]
	v_add_f64_e32 v[171:172], v[171:172], v[181:182]
	v_fma_f64 v[177:178], v[4:5], v[18:19], v[177:178]
	v_fma_f64 v[183:184], v[2:3], v[18:19], -v[20:21]
	ds_load_b128 v[2:5], v1 offset:1680
	s_wait_loadcnt_dscnt 0x801
	v_mul_f64_e32 v[181:182], v[167:168], v[24:25]
	v_mul_f64_e32 v[24:25], v[169:170], v[24:25]
	scratch_load_b128 v[18:21], off, off offset:896
	s_wait_loadcnt_dscnt 0x800
	v_mul_f64_e32 v[185:186], v[2:3], v[28:29]
	v_mul_f64_e32 v[28:29], v[4:5], v[28:29]
	v_add_f64_e32 v[179:180], v[179:180], v[173:174]
	v_add_f64_e32 v[175:176], v[171:172], v[175:176]
	ds_load_b128 v[171:174], v1 offset:1696
	v_fma_f64 v[169:170], v[169:170], v[22:23], v[181:182]
	v_fma_f64 v[167:168], v[167:168], v[22:23], -v[24:25]
	scratch_load_b128 v[22:25], off, off offset:912
	v_fma_f64 v[181:182], v[4:5], v[26:27], v[185:186]
	v_add_f64_e32 v[179:180], v[179:180], v[183:184]
	v_add_f64_e32 v[175:176], v[175:176], v[177:178]
	v_fma_f64 v[183:184], v[2:3], v[26:27], -v[28:29]
	ds_load_b128 v[2:5], v1 offset:1712
	s_wait_loadcnt_dscnt 0x801
	v_mul_f64_e32 v[177:178], v[171:172], v[32:33]
	v_mul_f64_e32 v[32:33], v[173:174], v[32:33]
	scratch_load_b128 v[26:29], off, off offset:928
	s_wait_loadcnt_dscnt 0x800
	v_mul_f64_e32 v[185:186], v[2:3], v[40:41]
	v_mul_f64_e32 v[40:41], v[4:5], v[40:41]
	v_add_f64_e32 v[179:180], v[179:180], v[167:168]
	v_add_f64_e32 v[175:176], v[175:176], v[169:170]
	ds_load_b128 v[167:170], v1 offset:1728
	v_fma_f64 v[173:174], v[173:174], v[30:31], v[177:178]
	v_fma_f64 v[30:31], v[171:172], v[30:31], -v[32:33]
	v_fma_f64 v[177:178], v[4:5], v[38:39], v[185:186]
	v_fma_f64 v[38:39], v[2:3], v[38:39], -v[40:41]
	v_add_f64_e32 v[32:33], v[179:180], v[183:184]
	v_add_f64_e32 v[171:172], v[175:176], v[181:182]
	s_wait_loadcnt_dscnt 0x700
	v_mul_f64_e32 v[175:176], v[167:168], v[165:166]
	v_mul_f64_e32 v[165:166], v[169:170], v[165:166]
	s_delay_alu instid0(VALU_DEP_4) | instskip(NEXT) | instid1(VALU_DEP_4)
	v_add_f64_e32 v[40:41], v[32:33], v[30:31]
	v_add_f64_e32 v[171:172], v[171:172], v[173:174]
	ds_load_b128 v[2:5], v1 offset:1744
	ds_load_b128 v[30:33], v1 offset:1760
	v_fma_f64 v[169:170], v[169:170], v[163:164], v[175:176]
	v_fma_f64 v[163:164], v[167:168], v[163:164], -v[165:166]
	s_wait_loadcnt_dscnt 0x601
	v_mul_f64_e32 v[173:174], v[2:3], v[36:37]
	v_mul_f64_e32 v[36:37], v[4:5], v[36:37]
	s_wait_loadcnt_dscnt 0x500
	v_mul_f64_e32 v[165:166], v[30:31], v[8:9]
	v_mul_f64_e32 v[8:9], v[32:33], v[8:9]
	v_add_f64_e32 v[38:39], v[40:41], v[38:39]
	v_add_f64_e32 v[40:41], v[171:172], v[177:178]
	v_fma_f64 v[167:168], v[4:5], v[34:35], v[173:174]
	v_fma_f64 v[171:172], v[2:3], v[34:35], -v[36:37]
	ds_load_b128 v[2:5], v1 offset:1776
	ds_load_b128 v[34:37], v1 offset:1792
	v_fma_f64 v[32:33], v[32:33], v[6:7], v[165:166]
	v_fma_f64 v[6:7], v[30:31], v[6:7], -v[8:9]
	v_add_f64_e32 v[38:39], v[38:39], v[163:164]
	v_add_f64_e32 v[40:41], v[40:41], v[169:170]
	s_wait_loadcnt_dscnt 0x401
	v_mul_f64_e32 v[163:164], v[2:3], v[12:13]
	v_mul_f64_e32 v[12:13], v[4:5], v[12:13]
	s_delay_alu instid0(VALU_DEP_4) | instskip(NEXT) | instid1(VALU_DEP_4)
	v_add_f64_e32 v[8:9], v[38:39], v[171:172]
	v_add_f64_e32 v[30:31], v[40:41], v[167:168]
	s_wait_loadcnt_dscnt 0x300
	v_mul_f64_e32 v[38:39], v[34:35], v[16:17]
	v_mul_f64_e32 v[16:17], v[36:37], v[16:17]
	v_fma_f64 v[40:41], v[4:5], v[10:11], v[163:164]
	v_fma_f64 v[10:11], v[2:3], v[10:11], -v[12:13]
	v_add_f64_e32 v[12:13], v[8:9], v[6:7]
	v_add_f64_e32 v[30:31], v[30:31], v[32:33]
	ds_load_b128 v[2:5], v1 offset:1808
	ds_load_b128 v[6:9], v1 offset:1824
	v_fma_f64 v[36:37], v[36:37], v[14:15], v[38:39]
	v_fma_f64 v[14:15], v[34:35], v[14:15], -v[16:17]
	s_wait_loadcnt_dscnt 0x201
	v_mul_f64_e32 v[32:33], v[2:3], v[20:21]
	v_mul_f64_e32 v[20:21], v[4:5], v[20:21]
	s_wait_loadcnt_dscnt 0x100
	v_mul_f64_e32 v[16:17], v[6:7], v[24:25]
	v_mul_f64_e32 v[24:25], v[8:9], v[24:25]
	v_add_f64_e32 v[10:11], v[12:13], v[10:11]
	v_add_f64_e32 v[12:13], v[30:31], v[40:41]
	v_fma_f64 v[30:31], v[4:5], v[18:19], v[32:33]
	v_fma_f64 v[18:19], v[2:3], v[18:19], -v[20:21]
	ds_load_b128 v[2:5], v1 offset:1840
	v_fma_f64 v[8:9], v[8:9], v[22:23], v[16:17]
	v_fma_f64 v[6:7], v[6:7], v[22:23], -v[24:25]
	v_add_f64_e32 v[10:11], v[10:11], v[14:15]
	v_add_f64_e32 v[12:13], v[12:13], v[36:37]
	s_wait_loadcnt_dscnt 0x0
	v_mul_f64_e32 v[14:15], v[2:3], v[28:29]
	v_mul_f64_e32 v[20:21], v[4:5], v[28:29]
	s_delay_alu instid0(VALU_DEP_4) | instskip(NEXT) | instid1(VALU_DEP_4)
	v_add_f64_e32 v[10:11], v[10:11], v[18:19]
	v_add_f64_e32 v[12:13], v[12:13], v[30:31]
	s_delay_alu instid0(VALU_DEP_4) | instskip(NEXT) | instid1(VALU_DEP_4)
	v_fma_f64 v[4:5], v[4:5], v[26:27], v[14:15]
	v_fma_f64 v[2:3], v[2:3], v[26:27], -v[20:21]
	s_delay_alu instid0(VALU_DEP_4) | instskip(NEXT) | instid1(VALU_DEP_4)
	v_add_f64_e32 v[6:7], v[10:11], v[6:7]
	v_add_f64_e32 v[8:9], v[12:13], v[8:9]
	s_delay_alu instid0(VALU_DEP_2) | instskip(NEXT) | instid1(VALU_DEP_2)
	v_add_f64_e32 v[2:3], v[6:7], v[2:3]
	v_add_f64_e32 v[4:5], v[8:9], v[4:5]
	s_delay_alu instid0(VALU_DEP_2) | instskip(NEXT) | instid1(VALU_DEP_2)
	v_add_f64_e64 v[2:3], v[42:43], -v[2:3]
	v_add_f64_e64 v[4:5], v[44:45], -v[4:5]
	scratch_store_b128 off, v[2:5], off offset:496
	v_cmpx_lt_u32_e32 29, v0
	s_cbranch_execz .LBB121_303
; %bb.302:
	scratch_load_b128 v[5:8], off, s42
	v_dual_mov_b32 v2, v1 :: v_dual_mov_b32 v3, v1
	v_mov_b32_e32 v4, v1
	scratch_store_b128 off, v[1:4], off offset:480
	s_wait_loadcnt 0x0
	ds_store_b128 v162, v[5:8]
.LBB121_303:
	s_wait_alu 0xfffe
	s_or_b32 exec_lo, exec_lo, s0
	s_wait_storecnt_dscnt 0x0
	s_barrier_signal -1
	s_barrier_wait -1
	global_inv scope:SCOPE_SE
	s_clause 0x8
	scratch_load_b128 v[2:5], off, off offset:496
	scratch_load_b128 v[6:9], off, off offset:512
	;; [unrolled: 1-line block ×9, first 2 shown]
	ds_load_b128 v[38:41], v1 offset:1408
	ds_load_b128 v[42:45], v1 offset:1424
	s_clause 0x1
	scratch_load_b128 v[163:166], off, off offset:480
	scratch_load_b128 v[167:170], off, off offset:640
	s_mov_b32 s0, exec_lo
	s_wait_loadcnt_dscnt 0xa01
	v_mul_f64_e32 v[171:172], v[40:41], v[4:5]
	v_mul_f64_e32 v[4:5], v[38:39], v[4:5]
	s_wait_loadcnt_dscnt 0x900
	v_mul_f64_e32 v[175:176], v[42:43], v[8:9]
	v_mul_f64_e32 v[8:9], v[44:45], v[8:9]
	s_delay_alu instid0(VALU_DEP_4) | instskip(NEXT) | instid1(VALU_DEP_4)
	v_fma_f64 v[177:178], v[38:39], v[2:3], -v[171:172]
	v_fma_f64 v[179:180], v[40:41], v[2:3], v[4:5]
	ds_load_b128 v[2:5], v1 offset:1440
	ds_load_b128 v[171:174], v1 offset:1456
	scratch_load_b128 v[38:41], off, off offset:656
	v_fma_f64 v[44:45], v[44:45], v[6:7], v[175:176]
	v_fma_f64 v[42:43], v[42:43], v[6:7], -v[8:9]
	scratch_load_b128 v[6:9], off, off offset:672
	s_wait_loadcnt_dscnt 0xa01
	v_mul_f64_e32 v[181:182], v[2:3], v[12:13]
	v_mul_f64_e32 v[12:13], v[4:5], v[12:13]
	v_add_f64_e32 v[175:176], 0, v[177:178]
	v_add_f64_e32 v[177:178], 0, v[179:180]
	s_wait_loadcnt_dscnt 0x900
	v_mul_f64_e32 v[179:180], v[171:172], v[16:17]
	v_mul_f64_e32 v[16:17], v[173:174], v[16:17]
	v_fma_f64 v[181:182], v[4:5], v[10:11], v[181:182]
	v_fma_f64 v[183:184], v[2:3], v[10:11], -v[12:13]
	ds_load_b128 v[2:5], v1 offset:1472
	scratch_load_b128 v[10:13], off, off offset:688
	v_add_f64_e32 v[175:176], v[175:176], v[42:43]
	v_add_f64_e32 v[177:178], v[177:178], v[44:45]
	ds_load_b128 v[42:45], v1 offset:1488
	v_fma_f64 v[173:174], v[173:174], v[14:15], v[179:180]
	v_fma_f64 v[171:172], v[171:172], v[14:15], -v[16:17]
	scratch_load_b128 v[14:17], off, off offset:704
	s_wait_loadcnt_dscnt 0xa01
	v_mul_f64_e32 v[185:186], v[2:3], v[20:21]
	v_mul_f64_e32 v[20:21], v[4:5], v[20:21]
	s_wait_loadcnt_dscnt 0x900
	v_mul_f64_e32 v[179:180], v[42:43], v[24:25]
	v_mul_f64_e32 v[24:25], v[44:45], v[24:25]
	v_add_f64_e32 v[175:176], v[175:176], v[183:184]
	v_add_f64_e32 v[177:178], v[177:178], v[181:182]
	v_fma_f64 v[181:182], v[4:5], v[18:19], v[185:186]
	v_fma_f64 v[183:184], v[2:3], v[18:19], -v[20:21]
	ds_load_b128 v[2:5], v1 offset:1504
	scratch_load_b128 v[18:21], off, off offset:720
	v_fma_f64 v[44:45], v[44:45], v[22:23], v[179:180]
	v_fma_f64 v[42:43], v[42:43], v[22:23], -v[24:25]
	scratch_load_b128 v[22:25], off, off offset:736
	v_add_f64_e32 v[175:176], v[175:176], v[171:172]
	v_add_f64_e32 v[177:178], v[177:178], v[173:174]
	ds_load_b128 v[171:174], v1 offset:1520
	s_wait_loadcnt_dscnt 0xa01
	v_mul_f64_e32 v[185:186], v[2:3], v[28:29]
	v_mul_f64_e32 v[28:29], v[4:5], v[28:29]
	s_wait_loadcnt_dscnt 0x900
	v_mul_f64_e32 v[179:180], v[171:172], v[32:33]
	v_mul_f64_e32 v[32:33], v[173:174], v[32:33]
	v_add_f64_e32 v[175:176], v[175:176], v[183:184]
	v_add_f64_e32 v[177:178], v[177:178], v[181:182]
	v_fma_f64 v[181:182], v[4:5], v[26:27], v[185:186]
	v_fma_f64 v[183:184], v[2:3], v[26:27], -v[28:29]
	ds_load_b128 v[2:5], v1 offset:1536
	scratch_load_b128 v[26:29], off, off offset:752
	v_fma_f64 v[173:174], v[173:174], v[30:31], v[179:180]
	v_fma_f64 v[171:172], v[171:172], v[30:31], -v[32:33]
	scratch_load_b128 v[30:33], off, off offset:768
	v_add_f64_e32 v[175:176], v[175:176], v[42:43]
	v_add_f64_e32 v[177:178], v[177:178], v[44:45]
	ds_load_b128 v[42:45], v1 offset:1552
	s_wait_loadcnt_dscnt 0xa01
	v_mul_f64_e32 v[185:186], v[2:3], v[36:37]
	v_mul_f64_e32 v[36:37], v[4:5], v[36:37]
	s_wait_loadcnt_dscnt 0x800
	v_mul_f64_e32 v[179:180], v[42:43], v[169:170]
	v_add_f64_e32 v[175:176], v[175:176], v[183:184]
	v_add_f64_e32 v[177:178], v[177:178], v[181:182]
	v_mul_f64_e32 v[181:182], v[44:45], v[169:170]
	v_fma_f64 v[183:184], v[4:5], v[34:35], v[185:186]
	v_fma_f64 v[185:186], v[2:3], v[34:35], -v[36:37]
	ds_load_b128 v[2:5], v1 offset:1568
	scratch_load_b128 v[34:37], off, off offset:784
	v_fma_f64 v[44:45], v[44:45], v[167:168], v[179:180]
	v_add_f64_e32 v[175:176], v[175:176], v[171:172]
	v_add_f64_e32 v[173:174], v[177:178], v[173:174]
	ds_load_b128 v[169:172], v1 offset:1584
	v_fma_f64 v[167:168], v[42:43], v[167:168], -v[181:182]
	s_wait_loadcnt_dscnt 0x801
	v_mul_f64_e32 v[177:178], v[2:3], v[40:41]
	v_mul_f64_e32 v[187:188], v[4:5], v[40:41]
	scratch_load_b128 v[40:43], off, off offset:800
	s_wait_loadcnt_dscnt 0x800
	v_mul_f64_e32 v[181:182], v[169:170], v[8:9]
	v_mul_f64_e32 v[8:9], v[171:172], v[8:9]
	v_add_f64_e32 v[175:176], v[175:176], v[185:186]
	v_add_f64_e32 v[173:174], v[173:174], v[183:184]
	v_fma_f64 v[183:184], v[4:5], v[38:39], v[177:178]
	v_fma_f64 v[38:39], v[2:3], v[38:39], -v[187:188]
	ds_load_b128 v[2:5], v1 offset:1600
	ds_load_b128 v[177:180], v1 offset:1616
	v_fma_f64 v[171:172], v[171:172], v[6:7], v[181:182]
	v_fma_f64 v[169:170], v[169:170], v[6:7], -v[8:9]
	scratch_load_b128 v[6:9], off, off offset:832
	v_add_f64_e32 v[167:168], v[175:176], v[167:168]
	v_add_f64_e32 v[44:45], v[173:174], v[44:45]
	scratch_load_b128 v[173:176], off, off offset:816
	s_wait_loadcnt_dscnt 0x901
	v_mul_f64_e32 v[185:186], v[2:3], v[12:13]
	v_mul_f64_e32 v[12:13], v[4:5], v[12:13]
	s_wait_loadcnt_dscnt 0x800
	v_mul_f64_e32 v[181:182], v[177:178], v[16:17]
	v_mul_f64_e32 v[16:17], v[179:180], v[16:17]
	v_add_f64_e32 v[38:39], v[167:168], v[38:39]
	v_add_f64_e32 v[44:45], v[44:45], v[183:184]
	v_fma_f64 v[183:184], v[4:5], v[10:11], v[185:186]
	v_fma_f64 v[185:186], v[2:3], v[10:11], -v[12:13]
	ds_load_b128 v[2:5], v1 offset:1632
	scratch_load_b128 v[10:13], off, off offset:848
	v_fma_f64 v[179:180], v[179:180], v[14:15], v[181:182]
	v_fma_f64 v[177:178], v[177:178], v[14:15], -v[16:17]
	scratch_load_b128 v[14:17], off, off offset:864
	v_add_f64_e32 v[38:39], v[38:39], v[169:170]
	v_add_f64_e32 v[44:45], v[44:45], v[171:172]
	ds_load_b128 v[167:170], v1 offset:1648
	s_wait_loadcnt_dscnt 0x901
	v_mul_f64_e32 v[171:172], v[2:3], v[20:21]
	v_mul_f64_e32 v[20:21], v[4:5], v[20:21]
	s_wait_loadcnt_dscnt 0x800
	v_mul_f64_e32 v[181:182], v[167:168], v[24:25]
	v_mul_f64_e32 v[24:25], v[169:170], v[24:25]
	v_add_f64_e32 v[38:39], v[38:39], v[185:186]
	v_add_f64_e32 v[44:45], v[44:45], v[183:184]
	v_fma_f64 v[171:172], v[4:5], v[18:19], v[171:172]
	v_fma_f64 v[183:184], v[2:3], v[18:19], -v[20:21]
	ds_load_b128 v[2:5], v1 offset:1664
	scratch_load_b128 v[18:21], off, off offset:880
	v_fma_f64 v[169:170], v[169:170], v[22:23], v[181:182]
	v_fma_f64 v[167:168], v[167:168], v[22:23], -v[24:25]
	scratch_load_b128 v[22:25], off, off offset:896
	v_add_f64_e32 v[38:39], v[38:39], v[177:178]
	v_add_f64_e32 v[44:45], v[44:45], v[179:180]
	ds_load_b128 v[177:180], v1 offset:1680
	s_wait_loadcnt_dscnt 0x901
	v_mul_f64_e32 v[185:186], v[2:3], v[28:29]
	v_mul_f64_e32 v[28:29], v[4:5], v[28:29]
	v_add_f64_e32 v[38:39], v[38:39], v[183:184]
	v_add_f64_e32 v[44:45], v[44:45], v[171:172]
	s_wait_loadcnt_dscnt 0x800
	v_mul_f64_e32 v[171:172], v[177:178], v[32:33]
	v_mul_f64_e32 v[32:33], v[179:180], v[32:33]
	v_fma_f64 v[181:182], v[4:5], v[26:27], v[185:186]
	v_fma_f64 v[183:184], v[2:3], v[26:27], -v[28:29]
	ds_load_b128 v[2:5], v1 offset:1696
	scratch_load_b128 v[26:29], off, off offset:912
	v_add_f64_e32 v[38:39], v[38:39], v[167:168]
	v_add_f64_e32 v[44:45], v[44:45], v[169:170]
	ds_load_b128 v[167:170], v1 offset:1712
	s_wait_loadcnt_dscnt 0x801
	v_mul_f64_e32 v[185:186], v[2:3], v[36:37]
	v_mul_f64_e32 v[36:37], v[4:5], v[36:37]
	v_fma_f64 v[171:172], v[179:180], v[30:31], v[171:172]
	v_fma_f64 v[177:178], v[177:178], v[30:31], -v[32:33]
	scratch_load_b128 v[30:33], off, off offset:928
	s_wait_loadcnt_dscnt 0x800
	v_mul_f64_e32 v[179:180], v[167:168], v[42:43]
	v_add_f64_e32 v[38:39], v[38:39], v[183:184]
	v_add_f64_e32 v[44:45], v[44:45], v[181:182]
	v_mul_f64_e32 v[42:43], v[169:170], v[42:43]
	v_fma_f64 v[181:182], v[4:5], v[34:35], v[185:186]
	v_fma_f64 v[183:184], v[2:3], v[34:35], -v[36:37]
	ds_load_b128 v[2:5], v1 offset:1728
	ds_load_b128 v[34:37], v1 offset:1744
	v_fma_f64 v[169:170], v[169:170], v[40:41], v[179:180]
	v_add_f64_e32 v[38:39], v[38:39], v[177:178]
	v_add_f64_e32 v[44:45], v[44:45], v[171:172]
	v_fma_f64 v[40:41], v[167:168], v[40:41], -v[42:43]
	s_wait_loadcnt_dscnt 0x601
	v_mul_f64_e32 v[171:172], v[2:3], v[175:176]
	v_mul_f64_e32 v[175:176], v[4:5], v[175:176]
	v_add_f64_e32 v[38:39], v[38:39], v[183:184]
	v_add_f64_e32 v[42:43], v[44:45], v[181:182]
	s_wait_dscnt 0x0
	v_mul_f64_e32 v[44:45], v[34:35], v[8:9]
	v_mul_f64_e32 v[8:9], v[36:37], v[8:9]
	v_fma_f64 v[167:168], v[4:5], v[173:174], v[171:172]
	v_fma_f64 v[171:172], v[2:3], v[173:174], -v[175:176]
	v_add_f64_e32 v[173:174], v[38:39], v[40:41]
	v_add_f64_e32 v[42:43], v[42:43], v[169:170]
	ds_load_b128 v[2:5], v1 offset:1760
	ds_load_b128 v[38:41], v1 offset:1776
	v_fma_f64 v[36:37], v[36:37], v[6:7], v[44:45]
	v_fma_f64 v[6:7], v[34:35], v[6:7], -v[8:9]
	s_wait_loadcnt_dscnt 0x501
	v_mul_f64_e32 v[169:170], v[2:3], v[12:13]
	v_mul_f64_e32 v[12:13], v[4:5], v[12:13]
	v_add_f64_e32 v[8:9], v[173:174], v[171:172]
	v_add_f64_e32 v[34:35], v[42:43], v[167:168]
	s_wait_loadcnt_dscnt 0x400
	v_mul_f64_e32 v[42:43], v[38:39], v[16:17]
	v_mul_f64_e32 v[16:17], v[40:41], v[16:17]
	v_fma_f64 v[44:45], v[4:5], v[10:11], v[169:170]
	v_fma_f64 v[10:11], v[2:3], v[10:11], -v[12:13]
	v_add_f64_e32 v[12:13], v[8:9], v[6:7]
	v_add_f64_e32 v[34:35], v[34:35], v[36:37]
	ds_load_b128 v[2:5], v1 offset:1792
	ds_load_b128 v[6:9], v1 offset:1808
	v_fma_f64 v[40:41], v[40:41], v[14:15], v[42:43]
	v_fma_f64 v[14:15], v[38:39], v[14:15], -v[16:17]
	s_wait_loadcnt_dscnt 0x301
	v_mul_f64_e32 v[36:37], v[2:3], v[20:21]
	v_mul_f64_e32 v[20:21], v[4:5], v[20:21]
	s_wait_loadcnt_dscnt 0x200
	v_mul_f64_e32 v[16:17], v[6:7], v[24:25]
	v_mul_f64_e32 v[24:25], v[8:9], v[24:25]
	v_add_f64_e32 v[10:11], v[12:13], v[10:11]
	v_add_f64_e32 v[12:13], v[34:35], v[44:45]
	v_fma_f64 v[34:35], v[4:5], v[18:19], v[36:37]
	v_fma_f64 v[18:19], v[2:3], v[18:19], -v[20:21]
	v_fma_f64 v[8:9], v[8:9], v[22:23], v[16:17]
	v_fma_f64 v[6:7], v[6:7], v[22:23], -v[24:25]
	v_add_f64_e32 v[14:15], v[10:11], v[14:15]
	v_add_f64_e32 v[20:21], v[12:13], v[40:41]
	ds_load_b128 v[2:5], v1 offset:1824
	ds_load_b128 v[10:13], v1 offset:1840
	s_wait_loadcnt_dscnt 0x101
	v_mul_f64_e32 v[36:37], v[2:3], v[28:29]
	v_mul_f64_e32 v[28:29], v[4:5], v[28:29]
	v_add_f64_e32 v[14:15], v[14:15], v[18:19]
	v_add_f64_e32 v[16:17], v[20:21], v[34:35]
	s_wait_loadcnt_dscnt 0x0
	v_mul_f64_e32 v[18:19], v[10:11], v[32:33]
	v_mul_f64_e32 v[20:21], v[12:13], v[32:33]
	v_fma_f64 v[4:5], v[4:5], v[26:27], v[36:37]
	v_fma_f64 v[1:2], v[2:3], v[26:27], -v[28:29]
	v_add_f64_e32 v[6:7], v[14:15], v[6:7]
	v_add_f64_e32 v[8:9], v[16:17], v[8:9]
	v_fma_f64 v[12:13], v[12:13], v[30:31], v[18:19]
	v_fma_f64 v[10:11], v[10:11], v[30:31], -v[20:21]
	s_delay_alu instid0(VALU_DEP_4) | instskip(NEXT) | instid1(VALU_DEP_4)
	v_add_f64_e32 v[1:2], v[6:7], v[1:2]
	v_add_f64_e32 v[3:4], v[8:9], v[4:5]
	s_delay_alu instid0(VALU_DEP_2) | instskip(NEXT) | instid1(VALU_DEP_2)
	v_add_f64_e32 v[1:2], v[1:2], v[10:11]
	v_add_f64_e32 v[3:4], v[3:4], v[12:13]
	s_delay_alu instid0(VALU_DEP_2) | instskip(NEXT) | instid1(VALU_DEP_2)
	v_add_f64_e64 v[1:2], v[163:164], -v[1:2]
	v_add_f64_e64 v[3:4], v[165:166], -v[3:4]
	scratch_store_b128 off, v[1:4], off offset:480
	v_cmpx_lt_u32_e32 28, v0
	s_cbranch_execz .LBB121_305
; %bb.304:
	scratch_load_b128 v[1:4], off, s43
	v_mov_b32_e32 v5, 0
	s_delay_alu instid0(VALU_DEP_1)
	v_dual_mov_b32 v6, v5 :: v_dual_mov_b32 v7, v5
	v_mov_b32_e32 v8, v5
	scratch_store_b128 off, v[5:8], off offset:464
	s_wait_loadcnt 0x0
	ds_store_b128 v162, v[1:4]
.LBB121_305:
	s_wait_alu 0xfffe
	s_or_b32 exec_lo, exec_lo, s0
	s_wait_storecnt_dscnt 0x0
	s_barrier_signal -1
	s_barrier_wait -1
	global_inv scope:SCOPE_SE
	s_clause 0x7
	scratch_load_b128 v[2:5], off, off offset:480
	scratch_load_b128 v[6:9], off, off offset:496
	;; [unrolled: 1-line block ×8, first 2 shown]
	v_mov_b32_e32 v1, 0
	s_mov_b32 s0, exec_lo
	ds_load_b128 v[34:37], v1 offset:1392
	s_clause 0x1
	scratch_load_b128 v[38:41], off, off offset:608
	scratch_load_b128 v[42:45], off, off offset:464
	ds_load_b128 v[163:166], v1 offset:1408
	scratch_load_b128 v[167:170], off, off offset:624
	s_wait_loadcnt_dscnt 0xa01
	v_mul_f64_e32 v[171:172], v[36:37], v[4:5]
	v_mul_f64_e32 v[4:5], v[34:35], v[4:5]
	s_delay_alu instid0(VALU_DEP_2) | instskip(NEXT) | instid1(VALU_DEP_2)
	v_fma_f64 v[177:178], v[34:35], v[2:3], -v[171:172]
	v_fma_f64 v[179:180], v[36:37], v[2:3], v[4:5]
	ds_load_b128 v[2:5], v1 offset:1424
	s_wait_loadcnt_dscnt 0x901
	v_mul_f64_e32 v[175:176], v[163:164], v[8:9]
	v_mul_f64_e32 v[8:9], v[165:166], v[8:9]
	scratch_load_b128 v[34:37], off, off offset:640
	ds_load_b128 v[171:174], v1 offset:1440
	s_wait_loadcnt_dscnt 0x901
	v_mul_f64_e32 v[181:182], v[2:3], v[12:13]
	v_mul_f64_e32 v[12:13], v[4:5], v[12:13]
	v_fma_f64 v[165:166], v[165:166], v[6:7], v[175:176]
	v_fma_f64 v[163:164], v[163:164], v[6:7], -v[8:9]
	v_add_f64_e32 v[175:176], 0, v[177:178]
	v_add_f64_e32 v[177:178], 0, v[179:180]
	scratch_load_b128 v[6:9], off, off offset:656
	v_fma_f64 v[181:182], v[4:5], v[10:11], v[181:182]
	v_fma_f64 v[183:184], v[2:3], v[10:11], -v[12:13]
	ds_load_b128 v[2:5], v1 offset:1456
	s_wait_loadcnt_dscnt 0x901
	v_mul_f64_e32 v[179:180], v[171:172], v[16:17]
	v_mul_f64_e32 v[16:17], v[173:174], v[16:17]
	scratch_load_b128 v[10:13], off, off offset:672
	v_add_f64_e32 v[175:176], v[175:176], v[163:164]
	v_add_f64_e32 v[177:178], v[177:178], v[165:166]
	s_wait_loadcnt_dscnt 0x900
	v_mul_f64_e32 v[185:186], v[2:3], v[20:21]
	v_mul_f64_e32 v[20:21], v[4:5], v[20:21]
	ds_load_b128 v[163:166], v1 offset:1472
	v_fma_f64 v[173:174], v[173:174], v[14:15], v[179:180]
	v_fma_f64 v[171:172], v[171:172], v[14:15], -v[16:17]
	scratch_load_b128 v[14:17], off, off offset:688
	v_add_f64_e32 v[175:176], v[175:176], v[183:184]
	v_add_f64_e32 v[177:178], v[177:178], v[181:182]
	v_fma_f64 v[181:182], v[4:5], v[18:19], v[185:186]
	v_fma_f64 v[183:184], v[2:3], v[18:19], -v[20:21]
	ds_load_b128 v[2:5], v1 offset:1488
	s_wait_loadcnt_dscnt 0x901
	v_mul_f64_e32 v[179:180], v[163:164], v[24:25]
	v_mul_f64_e32 v[24:25], v[165:166], v[24:25]
	scratch_load_b128 v[18:21], off, off offset:704
	s_wait_loadcnt_dscnt 0x900
	v_mul_f64_e32 v[185:186], v[2:3], v[28:29]
	v_mul_f64_e32 v[28:29], v[4:5], v[28:29]
	v_add_f64_e32 v[175:176], v[175:176], v[171:172]
	v_add_f64_e32 v[177:178], v[177:178], v[173:174]
	ds_load_b128 v[171:174], v1 offset:1504
	v_fma_f64 v[165:166], v[165:166], v[22:23], v[179:180]
	v_fma_f64 v[163:164], v[163:164], v[22:23], -v[24:25]
	scratch_load_b128 v[22:25], off, off offset:720
	v_add_f64_e32 v[175:176], v[175:176], v[183:184]
	v_add_f64_e32 v[177:178], v[177:178], v[181:182]
	v_fma_f64 v[181:182], v[4:5], v[26:27], v[185:186]
	v_fma_f64 v[183:184], v[2:3], v[26:27], -v[28:29]
	ds_load_b128 v[2:5], v1 offset:1520
	s_wait_loadcnt_dscnt 0x901
	v_mul_f64_e32 v[179:180], v[171:172], v[32:33]
	v_mul_f64_e32 v[32:33], v[173:174], v[32:33]
	scratch_load_b128 v[26:29], off, off offset:736
	s_wait_loadcnt_dscnt 0x900
	v_mul_f64_e32 v[185:186], v[2:3], v[40:41]
	v_mul_f64_e32 v[40:41], v[4:5], v[40:41]
	v_add_f64_e32 v[175:176], v[175:176], v[163:164]
	v_add_f64_e32 v[177:178], v[177:178], v[165:166]
	ds_load_b128 v[163:166], v1 offset:1536
	v_fma_f64 v[173:174], v[173:174], v[30:31], v[179:180]
	v_fma_f64 v[171:172], v[171:172], v[30:31], -v[32:33]
	scratch_load_b128 v[30:33], off, off offset:752
	v_add_f64_e32 v[175:176], v[175:176], v[183:184]
	v_add_f64_e32 v[177:178], v[177:178], v[181:182]
	v_fma_f64 v[183:184], v[4:5], v[38:39], v[185:186]
	v_fma_f64 v[185:186], v[2:3], v[38:39], -v[40:41]
	ds_load_b128 v[2:5], v1 offset:1552
	s_wait_loadcnt_dscnt 0x801
	v_mul_f64_e32 v[179:180], v[163:164], v[169:170]
	v_mul_f64_e32 v[181:182], v[165:166], v[169:170]
	scratch_load_b128 v[38:41], off, off offset:768
	v_add_f64_e32 v[175:176], v[175:176], v[171:172]
	v_add_f64_e32 v[173:174], v[177:178], v[173:174]
	ds_load_b128 v[169:172], v1 offset:1568
	v_fma_f64 v[179:180], v[165:166], v[167:168], v[179:180]
	v_fma_f64 v[167:168], v[163:164], v[167:168], -v[181:182]
	scratch_load_b128 v[163:166], off, off offset:784
	s_wait_loadcnt_dscnt 0x901
	v_mul_f64_e32 v[177:178], v[2:3], v[36:37]
	v_mul_f64_e32 v[36:37], v[4:5], v[36:37]
	v_add_f64_e32 v[175:176], v[175:176], v[185:186]
	v_add_f64_e32 v[173:174], v[173:174], v[183:184]
	s_delay_alu instid0(VALU_DEP_4) | instskip(NEXT) | instid1(VALU_DEP_4)
	v_fma_f64 v[177:178], v[4:5], v[34:35], v[177:178]
	v_fma_f64 v[183:184], v[2:3], v[34:35], -v[36:37]
	ds_load_b128 v[2:5], v1 offset:1584
	s_wait_loadcnt_dscnt 0x801
	v_mul_f64_e32 v[181:182], v[169:170], v[8:9]
	v_mul_f64_e32 v[8:9], v[171:172], v[8:9]
	scratch_load_b128 v[34:37], off, off offset:800
	s_wait_loadcnt_dscnt 0x800
	v_mul_f64_e32 v[185:186], v[2:3], v[12:13]
	v_add_f64_e32 v[167:168], v[175:176], v[167:168]
	v_add_f64_e32 v[179:180], v[173:174], v[179:180]
	v_mul_f64_e32 v[12:13], v[4:5], v[12:13]
	ds_load_b128 v[173:176], v1 offset:1600
	v_fma_f64 v[171:172], v[171:172], v[6:7], v[181:182]
	v_fma_f64 v[169:170], v[169:170], v[6:7], -v[8:9]
	scratch_load_b128 v[6:9], off, off offset:816
	v_fma_f64 v[181:182], v[4:5], v[10:11], v[185:186]
	v_add_f64_e32 v[167:168], v[167:168], v[183:184]
	v_add_f64_e32 v[177:178], v[179:180], v[177:178]
	v_fma_f64 v[183:184], v[2:3], v[10:11], -v[12:13]
	ds_load_b128 v[2:5], v1 offset:1616
	s_wait_loadcnt_dscnt 0x801
	v_mul_f64_e32 v[179:180], v[173:174], v[16:17]
	v_mul_f64_e32 v[16:17], v[175:176], v[16:17]
	scratch_load_b128 v[10:13], off, off offset:832
	v_add_f64_e32 v[185:186], v[167:168], v[169:170]
	v_add_f64_e32 v[171:172], v[177:178], v[171:172]
	s_wait_loadcnt_dscnt 0x800
	v_mul_f64_e32 v[177:178], v[2:3], v[20:21]
	v_mul_f64_e32 v[20:21], v[4:5], v[20:21]
	v_fma_f64 v[175:176], v[175:176], v[14:15], v[179:180]
	v_fma_f64 v[173:174], v[173:174], v[14:15], -v[16:17]
	ds_load_b128 v[167:170], v1 offset:1632
	scratch_load_b128 v[14:17], off, off offset:848
	v_add_f64_e32 v[179:180], v[185:186], v[183:184]
	v_add_f64_e32 v[171:172], v[171:172], v[181:182]
	v_fma_f64 v[177:178], v[4:5], v[18:19], v[177:178]
	v_fma_f64 v[183:184], v[2:3], v[18:19], -v[20:21]
	ds_load_b128 v[2:5], v1 offset:1648
	s_wait_loadcnt_dscnt 0x801
	v_mul_f64_e32 v[181:182], v[167:168], v[24:25]
	v_mul_f64_e32 v[24:25], v[169:170], v[24:25]
	scratch_load_b128 v[18:21], off, off offset:864
	s_wait_loadcnt_dscnt 0x800
	v_mul_f64_e32 v[185:186], v[2:3], v[28:29]
	v_mul_f64_e32 v[28:29], v[4:5], v[28:29]
	v_add_f64_e32 v[179:180], v[179:180], v[173:174]
	v_add_f64_e32 v[175:176], v[171:172], v[175:176]
	ds_load_b128 v[171:174], v1 offset:1664
	v_fma_f64 v[169:170], v[169:170], v[22:23], v[181:182]
	v_fma_f64 v[167:168], v[167:168], v[22:23], -v[24:25]
	scratch_load_b128 v[22:25], off, off offset:880
	v_fma_f64 v[181:182], v[4:5], v[26:27], v[185:186]
	v_add_f64_e32 v[179:180], v[179:180], v[183:184]
	v_add_f64_e32 v[175:176], v[175:176], v[177:178]
	v_fma_f64 v[183:184], v[2:3], v[26:27], -v[28:29]
	ds_load_b128 v[2:5], v1 offset:1680
	s_wait_loadcnt_dscnt 0x801
	v_mul_f64_e32 v[177:178], v[171:172], v[32:33]
	v_mul_f64_e32 v[32:33], v[173:174], v[32:33]
	scratch_load_b128 v[26:29], off, off offset:896
	s_wait_loadcnt_dscnt 0x800
	v_mul_f64_e32 v[185:186], v[2:3], v[40:41]
	v_mul_f64_e32 v[40:41], v[4:5], v[40:41]
	v_add_f64_e32 v[179:180], v[179:180], v[167:168]
	v_add_f64_e32 v[175:176], v[175:176], v[169:170]
	ds_load_b128 v[167:170], v1 offset:1696
	v_fma_f64 v[173:174], v[173:174], v[30:31], v[177:178]
	v_fma_f64 v[171:172], v[171:172], v[30:31], -v[32:33]
	scratch_load_b128 v[30:33], off, off offset:912
	v_add_f64_e32 v[177:178], v[179:180], v[183:184]
	v_add_f64_e32 v[175:176], v[175:176], v[181:182]
	v_fma_f64 v[181:182], v[4:5], v[38:39], v[185:186]
	v_fma_f64 v[183:184], v[2:3], v[38:39], -v[40:41]
	ds_load_b128 v[2:5], v1 offset:1712
	s_wait_loadcnt_dscnt 0x801
	v_mul_f64_e32 v[179:180], v[167:168], v[165:166]
	v_mul_f64_e32 v[165:166], v[169:170], v[165:166]
	scratch_load_b128 v[38:41], off, off offset:928
	s_wait_loadcnt_dscnt 0x800
	v_mul_f64_e32 v[185:186], v[2:3], v[36:37]
	v_mul_f64_e32 v[36:37], v[4:5], v[36:37]
	v_add_f64_e32 v[177:178], v[177:178], v[171:172]
	v_add_f64_e32 v[175:176], v[175:176], v[173:174]
	ds_load_b128 v[171:174], v1 offset:1728
	v_fma_f64 v[169:170], v[169:170], v[163:164], v[179:180]
	v_fma_f64 v[163:164], v[167:168], v[163:164], -v[165:166]
	v_fma_f64 v[179:180], v[2:3], v[34:35], -v[36:37]
	v_add_f64_e32 v[165:166], v[177:178], v[183:184]
	v_add_f64_e32 v[167:168], v[175:176], v[181:182]
	s_wait_loadcnt_dscnt 0x700
	v_mul_f64_e32 v[175:176], v[171:172], v[8:9]
	v_mul_f64_e32 v[8:9], v[173:174], v[8:9]
	v_fma_f64 v[177:178], v[4:5], v[34:35], v[185:186]
	ds_load_b128 v[2:5], v1 offset:1744
	ds_load_b128 v[34:37], v1 offset:1760
	v_add_f64_e32 v[163:164], v[165:166], v[163:164]
	v_add_f64_e32 v[165:166], v[167:168], v[169:170]
	s_wait_loadcnt_dscnt 0x601
	v_mul_f64_e32 v[167:168], v[2:3], v[12:13]
	v_mul_f64_e32 v[12:13], v[4:5], v[12:13]
	v_fma_f64 v[169:170], v[173:174], v[6:7], v[175:176]
	v_fma_f64 v[6:7], v[171:172], v[6:7], -v[8:9]
	v_add_f64_e32 v[8:9], v[163:164], v[179:180]
	v_add_f64_e32 v[163:164], v[165:166], v[177:178]
	s_wait_loadcnt_dscnt 0x500
	v_mul_f64_e32 v[165:166], v[34:35], v[16:17]
	v_mul_f64_e32 v[16:17], v[36:37], v[16:17]
	v_fma_f64 v[167:168], v[4:5], v[10:11], v[167:168]
	v_fma_f64 v[10:11], v[2:3], v[10:11], -v[12:13]
	v_add_f64_e32 v[12:13], v[8:9], v[6:7]
	v_add_f64_e32 v[163:164], v[163:164], v[169:170]
	ds_load_b128 v[2:5], v1 offset:1776
	ds_load_b128 v[6:9], v1 offset:1792
	v_fma_f64 v[36:37], v[36:37], v[14:15], v[165:166]
	v_fma_f64 v[14:15], v[34:35], v[14:15], -v[16:17]
	s_wait_loadcnt_dscnt 0x401
	v_mul_f64_e32 v[169:170], v[2:3], v[20:21]
	v_mul_f64_e32 v[20:21], v[4:5], v[20:21]
	s_wait_loadcnt_dscnt 0x300
	v_mul_f64_e32 v[16:17], v[6:7], v[24:25]
	v_mul_f64_e32 v[24:25], v[8:9], v[24:25]
	v_add_f64_e32 v[10:11], v[12:13], v[10:11]
	v_add_f64_e32 v[12:13], v[163:164], v[167:168]
	v_fma_f64 v[34:35], v[4:5], v[18:19], v[169:170]
	v_fma_f64 v[18:19], v[2:3], v[18:19], -v[20:21]
	v_fma_f64 v[8:9], v[8:9], v[22:23], v[16:17]
	v_fma_f64 v[6:7], v[6:7], v[22:23], -v[24:25]
	v_add_f64_e32 v[14:15], v[10:11], v[14:15]
	v_add_f64_e32 v[20:21], v[12:13], v[36:37]
	ds_load_b128 v[2:5], v1 offset:1808
	ds_load_b128 v[10:13], v1 offset:1824
	s_wait_loadcnt_dscnt 0x201
	v_mul_f64_e32 v[36:37], v[2:3], v[28:29]
	v_mul_f64_e32 v[28:29], v[4:5], v[28:29]
	v_add_f64_e32 v[14:15], v[14:15], v[18:19]
	v_add_f64_e32 v[16:17], v[20:21], v[34:35]
	s_wait_loadcnt_dscnt 0x100
	v_mul_f64_e32 v[18:19], v[10:11], v[32:33]
	v_mul_f64_e32 v[20:21], v[12:13], v[32:33]
	v_fma_f64 v[22:23], v[4:5], v[26:27], v[36:37]
	v_fma_f64 v[24:25], v[2:3], v[26:27], -v[28:29]
	ds_load_b128 v[2:5], v1 offset:1840
	v_add_f64_e32 v[6:7], v[14:15], v[6:7]
	v_add_f64_e32 v[8:9], v[16:17], v[8:9]
	v_fma_f64 v[12:13], v[12:13], v[30:31], v[18:19]
	v_fma_f64 v[10:11], v[10:11], v[30:31], -v[20:21]
	s_wait_loadcnt_dscnt 0x0
	v_mul_f64_e32 v[14:15], v[2:3], v[40:41]
	v_mul_f64_e32 v[16:17], v[4:5], v[40:41]
	v_add_f64_e32 v[6:7], v[6:7], v[24:25]
	v_add_f64_e32 v[8:9], v[8:9], v[22:23]
	s_delay_alu instid0(VALU_DEP_4) | instskip(NEXT) | instid1(VALU_DEP_4)
	v_fma_f64 v[4:5], v[4:5], v[38:39], v[14:15]
	v_fma_f64 v[2:3], v[2:3], v[38:39], -v[16:17]
	s_delay_alu instid0(VALU_DEP_4) | instskip(NEXT) | instid1(VALU_DEP_4)
	v_add_f64_e32 v[6:7], v[6:7], v[10:11]
	v_add_f64_e32 v[8:9], v[8:9], v[12:13]
	s_delay_alu instid0(VALU_DEP_2) | instskip(NEXT) | instid1(VALU_DEP_2)
	v_add_f64_e32 v[2:3], v[6:7], v[2:3]
	v_add_f64_e32 v[4:5], v[8:9], v[4:5]
	s_delay_alu instid0(VALU_DEP_2) | instskip(NEXT) | instid1(VALU_DEP_2)
	v_add_f64_e64 v[2:3], v[42:43], -v[2:3]
	v_add_f64_e64 v[4:5], v[44:45], -v[4:5]
	scratch_store_b128 off, v[2:5], off offset:464
	v_cmpx_lt_u32_e32 27, v0
	s_cbranch_execz .LBB121_307
; %bb.306:
	scratch_load_b128 v[5:8], off, s44
	v_dual_mov_b32 v2, v1 :: v_dual_mov_b32 v3, v1
	v_mov_b32_e32 v4, v1
	scratch_store_b128 off, v[1:4], off offset:448
	s_wait_loadcnt 0x0
	ds_store_b128 v162, v[5:8]
.LBB121_307:
	s_wait_alu 0xfffe
	s_or_b32 exec_lo, exec_lo, s0
	s_wait_storecnt_dscnt 0x0
	s_barrier_signal -1
	s_barrier_wait -1
	global_inv scope:SCOPE_SE
	s_clause 0x8
	scratch_load_b128 v[2:5], off, off offset:464
	scratch_load_b128 v[6:9], off, off offset:480
	;; [unrolled: 1-line block ×9, first 2 shown]
	ds_load_b128 v[38:41], v1 offset:1376
	ds_load_b128 v[42:45], v1 offset:1392
	s_clause 0x1
	scratch_load_b128 v[163:166], off, off offset:448
	scratch_load_b128 v[167:170], off, off offset:608
	s_mov_b32 s0, exec_lo
	s_wait_loadcnt_dscnt 0xa01
	v_mul_f64_e32 v[171:172], v[40:41], v[4:5]
	v_mul_f64_e32 v[4:5], v[38:39], v[4:5]
	s_wait_loadcnt_dscnt 0x900
	v_mul_f64_e32 v[175:176], v[42:43], v[8:9]
	v_mul_f64_e32 v[8:9], v[44:45], v[8:9]
	s_delay_alu instid0(VALU_DEP_4) | instskip(NEXT) | instid1(VALU_DEP_4)
	v_fma_f64 v[177:178], v[38:39], v[2:3], -v[171:172]
	v_fma_f64 v[179:180], v[40:41], v[2:3], v[4:5]
	ds_load_b128 v[2:5], v1 offset:1408
	ds_load_b128 v[171:174], v1 offset:1424
	scratch_load_b128 v[38:41], off, off offset:624
	v_fma_f64 v[44:45], v[44:45], v[6:7], v[175:176]
	v_fma_f64 v[42:43], v[42:43], v[6:7], -v[8:9]
	scratch_load_b128 v[6:9], off, off offset:640
	s_wait_loadcnt_dscnt 0xa01
	v_mul_f64_e32 v[181:182], v[2:3], v[12:13]
	v_mul_f64_e32 v[12:13], v[4:5], v[12:13]
	v_add_f64_e32 v[175:176], 0, v[177:178]
	v_add_f64_e32 v[177:178], 0, v[179:180]
	s_wait_loadcnt_dscnt 0x900
	v_mul_f64_e32 v[179:180], v[171:172], v[16:17]
	v_mul_f64_e32 v[16:17], v[173:174], v[16:17]
	v_fma_f64 v[181:182], v[4:5], v[10:11], v[181:182]
	v_fma_f64 v[183:184], v[2:3], v[10:11], -v[12:13]
	ds_load_b128 v[2:5], v1 offset:1440
	scratch_load_b128 v[10:13], off, off offset:656
	v_add_f64_e32 v[175:176], v[175:176], v[42:43]
	v_add_f64_e32 v[177:178], v[177:178], v[44:45]
	ds_load_b128 v[42:45], v1 offset:1456
	v_fma_f64 v[173:174], v[173:174], v[14:15], v[179:180]
	v_fma_f64 v[171:172], v[171:172], v[14:15], -v[16:17]
	scratch_load_b128 v[14:17], off, off offset:672
	s_wait_loadcnt_dscnt 0xa01
	v_mul_f64_e32 v[185:186], v[2:3], v[20:21]
	v_mul_f64_e32 v[20:21], v[4:5], v[20:21]
	s_wait_loadcnt_dscnt 0x900
	v_mul_f64_e32 v[179:180], v[42:43], v[24:25]
	v_mul_f64_e32 v[24:25], v[44:45], v[24:25]
	v_add_f64_e32 v[175:176], v[175:176], v[183:184]
	v_add_f64_e32 v[177:178], v[177:178], v[181:182]
	v_fma_f64 v[181:182], v[4:5], v[18:19], v[185:186]
	v_fma_f64 v[183:184], v[2:3], v[18:19], -v[20:21]
	ds_load_b128 v[2:5], v1 offset:1472
	scratch_load_b128 v[18:21], off, off offset:688
	v_fma_f64 v[44:45], v[44:45], v[22:23], v[179:180]
	v_fma_f64 v[42:43], v[42:43], v[22:23], -v[24:25]
	scratch_load_b128 v[22:25], off, off offset:704
	v_add_f64_e32 v[175:176], v[175:176], v[171:172]
	v_add_f64_e32 v[177:178], v[177:178], v[173:174]
	ds_load_b128 v[171:174], v1 offset:1488
	s_wait_loadcnt_dscnt 0xa01
	v_mul_f64_e32 v[185:186], v[2:3], v[28:29]
	v_mul_f64_e32 v[28:29], v[4:5], v[28:29]
	s_wait_loadcnt_dscnt 0x900
	v_mul_f64_e32 v[179:180], v[171:172], v[32:33]
	v_mul_f64_e32 v[32:33], v[173:174], v[32:33]
	v_add_f64_e32 v[175:176], v[175:176], v[183:184]
	v_add_f64_e32 v[177:178], v[177:178], v[181:182]
	v_fma_f64 v[181:182], v[4:5], v[26:27], v[185:186]
	v_fma_f64 v[183:184], v[2:3], v[26:27], -v[28:29]
	ds_load_b128 v[2:5], v1 offset:1504
	scratch_load_b128 v[26:29], off, off offset:720
	v_fma_f64 v[173:174], v[173:174], v[30:31], v[179:180]
	v_fma_f64 v[171:172], v[171:172], v[30:31], -v[32:33]
	scratch_load_b128 v[30:33], off, off offset:736
	v_add_f64_e32 v[175:176], v[175:176], v[42:43]
	v_add_f64_e32 v[177:178], v[177:178], v[44:45]
	ds_load_b128 v[42:45], v1 offset:1520
	s_wait_loadcnt_dscnt 0xa01
	v_mul_f64_e32 v[185:186], v[2:3], v[36:37]
	v_mul_f64_e32 v[36:37], v[4:5], v[36:37]
	s_wait_loadcnt_dscnt 0x800
	v_mul_f64_e32 v[179:180], v[42:43], v[169:170]
	v_add_f64_e32 v[175:176], v[175:176], v[183:184]
	v_add_f64_e32 v[177:178], v[177:178], v[181:182]
	v_mul_f64_e32 v[181:182], v[44:45], v[169:170]
	v_fma_f64 v[183:184], v[4:5], v[34:35], v[185:186]
	v_fma_f64 v[185:186], v[2:3], v[34:35], -v[36:37]
	ds_load_b128 v[2:5], v1 offset:1536
	scratch_load_b128 v[34:37], off, off offset:752
	v_fma_f64 v[44:45], v[44:45], v[167:168], v[179:180]
	v_add_f64_e32 v[175:176], v[175:176], v[171:172]
	v_add_f64_e32 v[173:174], v[177:178], v[173:174]
	ds_load_b128 v[169:172], v1 offset:1552
	v_fma_f64 v[167:168], v[42:43], v[167:168], -v[181:182]
	s_wait_loadcnt_dscnt 0x801
	v_mul_f64_e32 v[177:178], v[2:3], v[40:41]
	v_mul_f64_e32 v[187:188], v[4:5], v[40:41]
	scratch_load_b128 v[40:43], off, off offset:768
	s_wait_loadcnt_dscnt 0x800
	v_mul_f64_e32 v[181:182], v[169:170], v[8:9]
	v_mul_f64_e32 v[8:9], v[171:172], v[8:9]
	v_add_f64_e32 v[175:176], v[175:176], v[185:186]
	v_add_f64_e32 v[173:174], v[173:174], v[183:184]
	v_fma_f64 v[183:184], v[4:5], v[38:39], v[177:178]
	v_fma_f64 v[38:39], v[2:3], v[38:39], -v[187:188]
	ds_load_b128 v[2:5], v1 offset:1568
	ds_load_b128 v[177:180], v1 offset:1584
	v_fma_f64 v[171:172], v[171:172], v[6:7], v[181:182]
	v_fma_f64 v[169:170], v[169:170], v[6:7], -v[8:9]
	scratch_load_b128 v[6:9], off, off offset:800
	v_add_f64_e32 v[167:168], v[175:176], v[167:168]
	v_add_f64_e32 v[44:45], v[173:174], v[44:45]
	scratch_load_b128 v[173:176], off, off offset:784
	s_wait_loadcnt_dscnt 0x901
	v_mul_f64_e32 v[185:186], v[2:3], v[12:13]
	v_mul_f64_e32 v[12:13], v[4:5], v[12:13]
	s_wait_loadcnt_dscnt 0x800
	v_mul_f64_e32 v[181:182], v[177:178], v[16:17]
	v_mul_f64_e32 v[16:17], v[179:180], v[16:17]
	v_add_f64_e32 v[38:39], v[167:168], v[38:39]
	v_add_f64_e32 v[44:45], v[44:45], v[183:184]
	v_fma_f64 v[183:184], v[4:5], v[10:11], v[185:186]
	v_fma_f64 v[185:186], v[2:3], v[10:11], -v[12:13]
	ds_load_b128 v[2:5], v1 offset:1600
	scratch_load_b128 v[10:13], off, off offset:816
	v_fma_f64 v[179:180], v[179:180], v[14:15], v[181:182]
	v_fma_f64 v[177:178], v[177:178], v[14:15], -v[16:17]
	scratch_load_b128 v[14:17], off, off offset:832
	v_add_f64_e32 v[38:39], v[38:39], v[169:170]
	v_add_f64_e32 v[44:45], v[44:45], v[171:172]
	ds_load_b128 v[167:170], v1 offset:1616
	s_wait_loadcnt_dscnt 0x901
	v_mul_f64_e32 v[171:172], v[2:3], v[20:21]
	v_mul_f64_e32 v[20:21], v[4:5], v[20:21]
	s_wait_loadcnt_dscnt 0x800
	v_mul_f64_e32 v[181:182], v[167:168], v[24:25]
	v_mul_f64_e32 v[24:25], v[169:170], v[24:25]
	v_add_f64_e32 v[38:39], v[38:39], v[185:186]
	v_add_f64_e32 v[44:45], v[44:45], v[183:184]
	v_fma_f64 v[171:172], v[4:5], v[18:19], v[171:172]
	v_fma_f64 v[183:184], v[2:3], v[18:19], -v[20:21]
	ds_load_b128 v[2:5], v1 offset:1632
	scratch_load_b128 v[18:21], off, off offset:848
	v_fma_f64 v[169:170], v[169:170], v[22:23], v[181:182]
	v_fma_f64 v[167:168], v[167:168], v[22:23], -v[24:25]
	scratch_load_b128 v[22:25], off, off offset:864
	v_add_f64_e32 v[38:39], v[38:39], v[177:178]
	v_add_f64_e32 v[44:45], v[44:45], v[179:180]
	ds_load_b128 v[177:180], v1 offset:1648
	s_wait_loadcnt_dscnt 0x901
	v_mul_f64_e32 v[185:186], v[2:3], v[28:29]
	v_mul_f64_e32 v[28:29], v[4:5], v[28:29]
	v_add_f64_e32 v[38:39], v[38:39], v[183:184]
	v_add_f64_e32 v[44:45], v[44:45], v[171:172]
	s_wait_loadcnt_dscnt 0x800
	v_mul_f64_e32 v[171:172], v[177:178], v[32:33]
	v_mul_f64_e32 v[32:33], v[179:180], v[32:33]
	v_fma_f64 v[181:182], v[4:5], v[26:27], v[185:186]
	v_fma_f64 v[183:184], v[2:3], v[26:27], -v[28:29]
	ds_load_b128 v[2:5], v1 offset:1664
	scratch_load_b128 v[26:29], off, off offset:880
	v_add_f64_e32 v[38:39], v[38:39], v[167:168]
	v_add_f64_e32 v[44:45], v[44:45], v[169:170]
	ds_load_b128 v[167:170], v1 offset:1680
	s_wait_loadcnt_dscnt 0x801
	v_mul_f64_e32 v[185:186], v[2:3], v[36:37]
	v_mul_f64_e32 v[36:37], v[4:5], v[36:37]
	v_fma_f64 v[171:172], v[179:180], v[30:31], v[171:172]
	v_fma_f64 v[177:178], v[177:178], v[30:31], -v[32:33]
	scratch_load_b128 v[30:33], off, off offset:896
	s_wait_loadcnt_dscnt 0x800
	v_mul_f64_e32 v[179:180], v[167:168], v[42:43]
	v_add_f64_e32 v[38:39], v[38:39], v[183:184]
	v_add_f64_e32 v[44:45], v[44:45], v[181:182]
	v_mul_f64_e32 v[181:182], v[169:170], v[42:43]
	v_fma_f64 v[183:184], v[4:5], v[34:35], v[185:186]
	v_fma_f64 v[185:186], v[2:3], v[34:35], -v[36:37]
	ds_load_b128 v[2:5], v1 offset:1696
	scratch_load_b128 v[34:37], off, off offset:912
	v_fma_f64 v[169:170], v[169:170], v[40:41], v[179:180]
	v_add_f64_e32 v[38:39], v[38:39], v[177:178]
	v_add_f64_e32 v[171:172], v[44:45], v[171:172]
	ds_load_b128 v[42:45], v1 offset:1712
	v_fma_f64 v[167:168], v[167:168], v[40:41], -v[181:182]
	s_wait_loadcnt_dscnt 0x701
	v_mul_f64_e32 v[177:178], v[2:3], v[175:176]
	v_mul_f64_e32 v[175:176], v[4:5], v[175:176]
	s_wait_dscnt 0x0
	v_mul_f64_e32 v[181:182], v[42:43], v[8:9]
	v_mul_f64_e32 v[8:9], v[44:45], v[8:9]
	v_add_f64_e32 v[179:180], v[38:39], v[185:186]
	v_add_f64_e32 v[171:172], v[171:172], v[183:184]
	scratch_load_b128 v[38:41], off, off offset:928
	v_fma_f64 v[177:178], v[4:5], v[173:174], v[177:178]
	v_fma_f64 v[173:174], v[2:3], v[173:174], -v[175:176]
	v_fma_f64 v[44:45], v[44:45], v[6:7], v[181:182]
	v_fma_f64 v[6:7], v[42:43], v[6:7], -v[8:9]
	v_add_f64_e32 v[175:176], v[179:180], v[167:168]
	v_add_f64_e32 v[171:172], v[171:172], v[169:170]
	ds_load_b128 v[2:5], v1 offset:1728
	ds_load_b128 v[167:170], v1 offset:1744
	s_wait_loadcnt_dscnt 0x701
	v_mul_f64_e32 v[179:180], v[2:3], v[12:13]
	v_mul_f64_e32 v[12:13], v[4:5], v[12:13]
	v_add_f64_e32 v[8:9], v[175:176], v[173:174]
	v_add_f64_e32 v[42:43], v[171:172], v[177:178]
	s_wait_loadcnt_dscnt 0x600
	v_mul_f64_e32 v[171:172], v[167:168], v[16:17]
	v_mul_f64_e32 v[16:17], v[169:170], v[16:17]
	v_fma_f64 v[173:174], v[4:5], v[10:11], v[179:180]
	v_fma_f64 v[10:11], v[2:3], v[10:11], -v[12:13]
	v_add_f64_e32 v[12:13], v[8:9], v[6:7]
	v_add_f64_e32 v[42:43], v[42:43], v[44:45]
	ds_load_b128 v[2:5], v1 offset:1760
	ds_load_b128 v[6:9], v1 offset:1776
	v_fma_f64 v[169:170], v[169:170], v[14:15], v[171:172]
	v_fma_f64 v[14:15], v[167:168], v[14:15], -v[16:17]
	s_wait_loadcnt_dscnt 0x501
	v_mul_f64_e32 v[44:45], v[2:3], v[20:21]
	v_mul_f64_e32 v[20:21], v[4:5], v[20:21]
	s_wait_loadcnt_dscnt 0x400
	v_mul_f64_e32 v[16:17], v[6:7], v[24:25]
	v_mul_f64_e32 v[24:25], v[8:9], v[24:25]
	v_add_f64_e32 v[10:11], v[12:13], v[10:11]
	v_add_f64_e32 v[12:13], v[42:43], v[173:174]
	v_fma_f64 v[42:43], v[4:5], v[18:19], v[44:45]
	v_fma_f64 v[18:19], v[2:3], v[18:19], -v[20:21]
	v_fma_f64 v[8:9], v[8:9], v[22:23], v[16:17]
	v_fma_f64 v[6:7], v[6:7], v[22:23], -v[24:25]
	v_add_f64_e32 v[14:15], v[10:11], v[14:15]
	v_add_f64_e32 v[20:21], v[12:13], v[169:170]
	ds_load_b128 v[2:5], v1 offset:1792
	ds_load_b128 v[10:13], v1 offset:1808
	s_wait_loadcnt_dscnt 0x301
	v_mul_f64_e32 v[44:45], v[2:3], v[28:29]
	v_mul_f64_e32 v[28:29], v[4:5], v[28:29]
	v_add_f64_e32 v[14:15], v[14:15], v[18:19]
	v_add_f64_e32 v[16:17], v[20:21], v[42:43]
	s_wait_loadcnt_dscnt 0x200
	v_mul_f64_e32 v[18:19], v[10:11], v[32:33]
	v_mul_f64_e32 v[20:21], v[12:13], v[32:33]
	v_fma_f64 v[22:23], v[4:5], v[26:27], v[44:45]
	v_fma_f64 v[24:25], v[2:3], v[26:27], -v[28:29]
	v_add_f64_e32 v[14:15], v[14:15], v[6:7]
	v_add_f64_e32 v[16:17], v[16:17], v[8:9]
	ds_load_b128 v[2:5], v1 offset:1824
	ds_load_b128 v[6:9], v1 offset:1840
	v_fma_f64 v[12:13], v[12:13], v[30:31], v[18:19]
	v_fma_f64 v[10:11], v[10:11], v[30:31], -v[20:21]
	s_wait_loadcnt_dscnt 0x101
	v_mul_f64_e32 v[26:27], v[2:3], v[36:37]
	v_mul_f64_e32 v[28:29], v[4:5], v[36:37]
	v_add_f64_e32 v[14:15], v[14:15], v[24:25]
	v_add_f64_e32 v[16:17], v[16:17], v[22:23]
	s_wait_loadcnt_dscnt 0x0
	v_mul_f64_e32 v[18:19], v[6:7], v[40:41]
	v_mul_f64_e32 v[20:21], v[8:9], v[40:41]
	v_fma_f64 v[4:5], v[4:5], v[34:35], v[26:27]
	v_fma_f64 v[1:2], v[2:3], v[34:35], -v[28:29]
	v_add_f64_e32 v[10:11], v[14:15], v[10:11]
	v_add_f64_e32 v[12:13], v[16:17], v[12:13]
	v_fma_f64 v[8:9], v[8:9], v[38:39], v[18:19]
	v_fma_f64 v[6:7], v[6:7], v[38:39], -v[20:21]
	s_delay_alu instid0(VALU_DEP_4) | instskip(NEXT) | instid1(VALU_DEP_4)
	v_add_f64_e32 v[1:2], v[10:11], v[1:2]
	v_add_f64_e32 v[3:4], v[12:13], v[4:5]
	s_delay_alu instid0(VALU_DEP_2) | instskip(NEXT) | instid1(VALU_DEP_2)
	v_add_f64_e32 v[1:2], v[1:2], v[6:7]
	v_add_f64_e32 v[3:4], v[3:4], v[8:9]
	s_delay_alu instid0(VALU_DEP_2) | instskip(NEXT) | instid1(VALU_DEP_2)
	v_add_f64_e64 v[1:2], v[163:164], -v[1:2]
	v_add_f64_e64 v[3:4], v[165:166], -v[3:4]
	scratch_store_b128 off, v[1:4], off offset:448
	v_cmpx_lt_u32_e32 26, v0
	s_cbranch_execz .LBB121_309
; %bb.308:
	scratch_load_b128 v[1:4], off, s45
	v_mov_b32_e32 v5, 0
	s_delay_alu instid0(VALU_DEP_1)
	v_dual_mov_b32 v6, v5 :: v_dual_mov_b32 v7, v5
	v_mov_b32_e32 v8, v5
	scratch_store_b128 off, v[5:8], off offset:432
	s_wait_loadcnt 0x0
	ds_store_b128 v162, v[1:4]
.LBB121_309:
	s_wait_alu 0xfffe
	s_or_b32 exec_lo, exec_lo, s0
	s_wait_storecnt_dscnt 0x0
	s_barrier_signal -1
	s_barrier_wait -1
	global_inv scope:SCOPE_SE
	s_clause 0x7
	scratch_load_b128 v[2:5], off, off offset:448
	scratch_load_b128 v[6:9], off, off offset:464
	;; [unrolled: 1-line block ×8, first 2 shown]
	v_mov_b32_e32 v1, 0
	s_mov_b32 s0, exec_lo
	ds_load_b128 v[34:37], v1 offset:1360
	s_clause 0x1
	scratch_load_b128 v[38:41], off, off offset:576
	scratch_load_b128 v[42:45], off, off offset:432
	ds_load_b128 v[163:166], v1 offset:1376
	scratch_load_b128 v[167:170], off, off offset:592
	s_wait_loadcnt_dscnt 0xa01
	v_mul_f64_e32 v[171:172], v[36:37], v[4:5]
	v_mul_f64_e32 v[4:5], v[34:35], v[4:5]
	s_delay_alu instid0(VALU_DEP_2) | instskip(NEXT) | instid1(VALU_DEP_2)
	v_fma_f64 v[177:178], v[34:35], v[2:3], -v[171:172]
	v_fma_f64 v[179:180], v[36:37], v[2:3], v[4:5]
	ds_load_b128 v[2:5], v1 offset:1392
	s_wait_loadcnt_dscnt 0x901
	v_mul_f64_e32 v[175:176], v[163:164], v[8:9]
	v_mul_f64_e32 v[8:9], v[165:166], v[8:9]
	scratch_load_b128 v[34:37], off, off offset:608
	ds_load_b128 v[171:174], v1 offset:1408
	s_wait_loadcnt_dscnt 0x901
	v_mul_f64_e32 v[181:182], v[2:3], v[12:13]
	v_mul_f64_e32 v[12:13], v[4:5], v[12:13]
	v_fma_f64 v[165:166], v[165:166], v[6:7], v[175:176]
	v_fma_f64 v[163:164], v[163:164], v[6:7], -v[8:9]
	v_add_f64_e32 v[175:176], 0, v[177:178]
	v_add_f64_e32 v[177:178], 0, v[179:180]
	scratch_load_b128 v[6:9], off, off offset:624
	v_fma_f64 v[181:182], v[4:5], v[10:11], v[181:182]
	v_fma_f64 v[183:184], v[2:3], v[10:11], -v[12:13]
	ds_load_b128 v[2:5], v1 offset:1424
	s_wait_loadcnt_dscnt 0x901
	v_mul_f64_e32 v[179:180], v[171:172], v[16:17]
	v_mul_f64_e32 v[16:17], v[173:174], v[16:17]
	scratch_load_b128 v[10:13], off, off offset:640
	v_add_f64_e32 v[175:176], v[175:176], v[163:164]
	v_add_f64_e32 v[177:178], v[177:178], v[165:166]
	s_wait_loadcnt_dscnt 0x900
	v_mul_f64_e32 v[185:186], v[2:3], v[20:21]
	v_mul_f64_e32 v[20:21], v[4:5], v[20:21]
	ds_load_b128 v[163:166], v1 offset:1440
	v_fma_f64 v[173:174], v[173:174], v[14:15], v[179:180]
	v_fma_f64 v[171:172], v[171:172], v[14:15], -v[16:17]
	scratch_load_b128 v[14:17], off, off offset:656
	v_add_f64_e32 v[175:176], v[175:176], v[183:184]
	v_add_f64_e32 v[177:178], v[177:178], v[181:182]
	v_fma_f64 v[181:182], v[4:5], v[18:19], v[185:186]
	v_fma_f64 v[183:184], v[2:3], v[18:19], -v[20:21]
	ds_load_b128 v[2:5], v1 offset:1456
	s_wait_loadcnt_dscnt 0x901
	v_mul_f64_e32 v[179:180], v[163:164], v[24:25]
	v_mul_f64_e32 v[24:25], v[165:166], v[24:25]
	scratch_load_b128 v[18:21], off, off offset:672
	s_wait_loadcnt_dscnt 0x900
	v_mul_f64_e32 v[185:186], v[2:3], v[28:29]
	v_mul_f64_e32 v[28:29], v[4:5], v[28:29]
	v_add_f64_e32 v[175:176], v[175:176], v[171:172]
	v_add_f64_e32 v[177:178], v[177:178], v[173:174]
	ds_load_b128 v[171:174], v1 offset:1472
	v_fma_f64 v[165:166], v[165:166], v[22:23], v[179:180]
	v_fma_f64 v[163:164], v[163:164], v[22:23], -v[24:25]
	scratch_load_b128 v[22:25], off, off offset:688
	v_add_f64_e32 v[175:176], v[175:176], v[183:184]
	v_add_f64_e32 v[177:178], v[177:178], v[181:182]
	v_fma_f64 v[181:182], v[4:5], v[26:27], v[185:186]
	v_fma_f64 v[183:184], v[2:3], v[26:27], -v[28:29]
	ds_load_b128 v[2:5], v1 offset:1488
	s_wait_loadcnt_dscnt 0x901
	v_mul_f64_e32 v[179:180], v[171:172], v[32:33]
	v_mul_f64_e32 v[32:33], v[173:174], v[32:33]
	scratch_load_b128 v[26:29], off, off offset:704
	s_wait_loadcnt_dscnt 0x900
	v_mul_f64_e32 v[185:186], v[2:3], v[40:41]
	v_mul_f64_e32 v[40:41], v[4:5], v[40:41]
	v_add_f64_e32 v[175:176], v[175:176], v[163:164]
	v_add_f64_e32 v[177:178], v[177:178], v[165:166]
	ds_load_b128 v[163:166], v1 offset:1504
	v_fma_f64 v[173:174], v[173:174], v[30:31], v[179:180]
	v_fma_f64 v[171:172], v[171:172], v[30:31], -v[32:33]
	scratch_load_b128 v[30:33], off, off offset:720
	v_add_f64_e32 v[175:176], v[175:176], v[183:184]
	v_add_f64_e32 v[177:178], v[177:178], v[181:182]
	v_fma_f64 v[183:184], v[4:5], v[38:39], v[185:186]
	v_fma_f64 v[185:186], v[2:3], v[38:39], -v[40:41]
	ds_load_b128 v[2:5], v1 offset:1520
	s_wait_loadcnt_dscnt 0x801
	v_mul_f64_e32 v[179:180], v[163:164], v[169:170]
	v_mul_f64_e32 v[181:182], v[165:166], v[169:170]
	scratch_load_b128 v[38:41], off, off offset:736
	v_add_f64_e32 v[175:176], v[175:176], v[171:172]
	v_add_f64_e32 v[173:174], v[177:178], v[173:174]
	ds_load_b128 v[169:172], v1 offset:1536
	v_fma_f64 v[179:180], v[165:166], v[167:168], v[179:180]
	v_fma_f64 v[167:168], v[163:164], v[167:168], -v[181:182]
	scratch_load_b128 v[163:166], off, off offset:752
	s_wait_loadcnt_dscnt 0x901
	v_mul_f64_e32 v[177:178], v[2:3], v[36:37]
	v_mul_f64_e32 v[36:37], v[4:5], v[36:37]
	v_add_f64_e32 v[175:176], v[175:176], v[185:186]
	v_add_f64_e32 v[173:174], v[173:174], v[183:184]
	s_delay_alu instid0(VALU_DEP_4) | instskip(NEXT) | instid1(VALU_DEP_4)
	v_fma_f64 v[177:178], v[4:5], v[34:35], v[177:178]
	v_fma_f64 v[183:184], v[2:3], v[34:35], -v[36:37]
	ds_load_b128 v[2:5], v1 offset:1552
	s_wait_loadcnt_dscnt 0x801
	v_mul_f64_e32 v[181:182], v[169:170], v[8:9]
	v_mul_f64_e32 v[8:9], v[171:172], v[8:9]
	scratch_load_b128 v[34:37], off, off offset:768
	s_wait_loadcnt_dscnt 0x800
	v_mul_f64_e32 v[185:186], v[2:3], v[12:13]
	v_add_f64_e32 v[167:168], v[175:176], v[167:168]
	v_add_f64_e32 v[179:180], v[173:174], v[179:180]
	v_mul_f64_e32 v[12:13], v[4:5], v[12:13]
	ds_load_b128 v[173:176], v1 offset:1568
	v_fma_f64 v[171:172], v[171:172], v[6:7], v[181:182]
	v_fma_f64 v[169:170], v[169:170], v[6:7], -v[8:9]
	scratch_load_b128 v[6:9], off, off offset:784
	v_fma_f64 v[181:182], v[4:5], v[10:11], v[185:186]
	v_add_f64_e32 v[167:168], v[167:168], v[183:184]
	v_add_f64_e32 v[177:178], v[179:180], v[177:178]
	v_fma_f64 v[183:184], v[2:3], v[10:11], -v[12:13]
	ds_load_b128 v[2:5], v1 offset:1584
	s_wait_loadcnt_dscnt 0x801
	v_mul_f64_e32 v[179:180], v[173:174], v[16:17]
	v_mul_f64_e32 v[16:17], v[175:176], v[16:17]
	scratch_load_b128 v[10:13], off, off offset:800
	v_add_f64_e32 v[185:186], v[167:168], v[169:170]
	v_add_f64_e32 v[171:172], v[177:178], v[171:172]
	s_wait_loadcnt_dscnt 0x800
	v_mul_f64_e32 v[177:178], v[2:3], v[20:21]
	v_mul_f64_e32 v[20:21], v[4:5], v[20:21]
	v_fma_f64 v[175:176], v[175:176], v[14:15], v[179:180]
	v_fma_f64 v[173:174], v[173:174], v[14:15], -v[16:17]
	ds_load_b128 v[167:170], v1 offset:1600
	scratch_load_b128 v[14:17], off, off offset:816
	v_add_f64_e32 v[179:180], v[185:186], v[183:184]
	v_add_f64_e32 v[171:172], v[171:172], v[181:182]
	v_fma_f64 v[177:178], v[4:5], v[18:19], v[177:178]
	v_fma_f64 v[183:184], v[2:3], v[18:19], -v[20:21]
	ds_load_b128 v[2:5], v1 offset:1616
	s_wait_loadcnt_dscnt 0x801
	v_mul_f64_e32 v[181:182], v[167:168], v[24:25]
	v_mul_f64_e32 v[24:25], v[169:170], v[24:25]
	scratch_load_b128 v[18:21], off, off offset:832
	s_wait_loadcnt_dscnt 0x800
	v_mul_f64_e32 v[185:186], v[2:3], v[28:29]
	v_mul_f64_e32 v[28:29], v[4:5], v[28:29]
	v_add_f64_e32 v[179:180], v[179:180], v[173:174]
	v_add_f64_e32 v[175:176], v[171:172], v[175:176]
	ds_load_b128 v[171:174], v1 offset:1632
	v_fma_f64 v[169:170], v[169:170], v[22:23], v[181:182]
	v_fma_f64 v[167:168], v[167:168], v[22:23], -v[24:25]
	scratch_load_b128 v[22:25], off, off offset:848
	v_fma_f64 v[181:182], v[4:5], v[26:27], v[185:186]
	v_add_f64_e32 v[179:180], v[179:180], v[183:184]
	v_add_f64_e32 v[175:176], v[175:176], v[177:178]
	v_fma_f64 v[183:184], v[2:3], v[26:27], -v[28:29]
	ds_load_b128 v[2:5], v1 offset:1648
	s_wait_loadcnt_dscnt 0x801
	v_mul_f64_e32 v[177:178], v[171:172], v[32:33]
	v_mul_f64_e32 v[32:33], v[173:174], v[32:33]
	scratch_load_b128 v[26:29], off, off offset:864
	s_wait_loadcnt_dscnt 0x800
	v_mul_f64_e32 v[185:186], v[2:3], v[40:41]
	v_mul_f64_e32 v[40:41], v[4:5], v[40:41]
	v_add_f64_e32 v[179:180], v[179:180], v[167:168]
	v_add_f64_e32 v[175:176], v[175:176], v[169:170]
	ds_load_b128 v[167:170], v1 offset:1664
	v_fma_f64 v[173:174], v[173:174], v[30:31], v[177:178]
	v_fma_f64 v[171:172], v[171:172], v[30:31], -v[32:33]
	scratch_load_b128 v[30:33], off, off offset:880
	v_add_f64_e32 v[177:178], v[179:180], v[183:184]
	v_add_f64_e32 v[175:176], v[175:176], v[181:182]
	v_fma_f64 v[181:182], v[4:5], v[38:39], v[185:186]
	v_fma_f64 v[183:184], v[2:3], v[38:39], -v[40:41]
	ds_load_b128 v[2:5], v1 offset:1680
	s_wait_loadcnt_dscnt 0x801
	v_mul_f64_e32 v[179:180], v[167:168], v[165:166]
	v_mul_f64_e32 v[165:166], v[169:170], v[165:166]
	scratch_load_b128 v[38:41], off, off offset:896
	s_wait_loadcnt_dscnt 0x800
	v_mul_f64_e32 v[185:186], v[2:3], v[36:37]
	v_mul_f64_e32 v[36:37], v[4:5], v[36:37]
	v_add_f64_e32 v[177:178], v[177:178], v[171:172]
	v_add_f64_e32 v[175:176], v[175:176], v[173:174]
	ds_load_b128 v[171:174], v1 offset:1696
	v_fma_f64 v[169:170], v[169:170], v[163:164], v[179:180]
	v_fma_f64 v[167:168], v[167:168], v[163:164], -v[165:166]
	scratch_load_b128 v[163:166], off, off offset:912
	v_add_f64_e32 v[177:178], v[177:178], v[183:184]
	v_add_f64_e32 v[175:176], v[175:176], v[181:182]
	v_fma_f64 v[181:182], v[4:5], v[34:35], v[185:186]
	v_fma_f64 v[183:184], v[2:3], v[34:35], -v[36:37]
	ds_load_b128 v[2:5], v1 offset:1712
	s_wait_loadcnt_dscnt 0x801
	v_mul_f64_e32 v[179:180], v[171:172], v[8:9]
	v_mul_f64_e32 v[8:9], v[173:174], v[8:9]
	scratch_load_b128 v[34:37], off, off offset:928
	s_wait_loadcnt_dscnt 0x800
	v_mul_f64_e32 v[185:186], v[2:3], v[12:13]
	v_mul_f64_e32 v[12:13], v[4:5], v[12:13]
	v_add_f64_e32 v[177:178], v[177:178], v[167:168]
	v_add_f64_e32 v[175:176], v[175:176], v[169:170]
	ds_load_b128 v[167:170], v1 offset:1728
	v_fma_f64 v[173:174], v[173:174], v[6:7], v[179:180]
	v_fma_f64 v[6:7], v[171:172], v[6:7], -v[8:9]
	v_add_f64_e32 v[8:9], v[177:178], v[183:184]
	v_add_f64_e32 v[171:172], v[175:176], v[181:182]
	s_wait_loadcnt_dscnt 0x700
	v_mul_f64_e32 v[175:176], v[167:168], v[16:17]
	v_mul_f64_e32 v[16:17], v[169:170], v[16:17]
	v_fma_f64 v[177:178], v[4:5], v[10:11], v[185:186]
	v_fma_f64 v[10:11], v[2:3], v[10:11], -v[12:13]
	v_add_f64_e32 v[12:13], v[8:9], v[6:7]
	v_add_f64_e32 v[171:172], v[171:172], v[173:174]
	ds_load_b128 v[2:5], v1 offset:1744
	ds_load_b128 v[6:9], v1 offset:1760
	v_fma_f64 v[169:170], v[169:170], v[14:15], v[175:176]
	v_fma_f64 v[14:15], v[167:168], v[14:15], -v[16:17]
	s_wait_loadcnt_dscnt 0x601
	v_mul_f64_e32 v[173:174], v[2:3], v[20:21]
	v_mul_f64_e32 v[20:21], v[4:5], v[20:21]
	s_wait_loadcnt_dscnt 0x500
	v_mul_f64_e32 v[16:17], v[6:7], v[24:25]
	v_mul_f64_e32 v[24:25], v[8:9], v[24:25]
	v_add_f64_e32 v[10:11], v[12:13], v[10:11]
	v_add_f64_e32 v[12:13], v[171:172], v[177:178]
	v_fma_f64 v[167:168], v[4:5], v[18:19], v[173:174]
	v_fma_f64 v[18:19], v[2:3], v[18:19], -v[20:21]
	v_fma_f64 v[8:9], v[8:9], v[22:23], v[16:17]
	v_fma_f64 v[6:7], v[6:7], v[22:23], -v[24:25]
	v_add_f64_e32 v[14:15], v[10:11], v[14:15]
	v_add_f64_e32 v[20:21], v[12:13], v[169:170]
	ds_load_b128 v[2:5], v1 offset:1776
	ds_load_b128 v[10:13], v1 offset:1792
	s_wait_loadcnt_dscnt 0x401
	v_mul_f64_e32 v[169:170], v[2:3], v[28:29]
	v_mul_f64_e32 v[28:29], v[4:5], v[28:29]
	v_add_f64_e32 v[14:15], v[14:15], v[18:19]
	v_add_f64_e32 v[16:17], v[20:21], v[167:168]
	s_wait_loadcnt_dscnt 0x300
	v_mul_f64_e32 v[18:19], v[10:11], v[32:33]
	v_mul_f64_e32 v[20:21], v[12:13], v[32:33]
	v_fma_f64 v[22:23], v[4:5], v[26:27], v[169:170]
	v_fma_f64 v[24:25], v[2:3], v[26:27], -v[28:29]
	v_add_f64_e32 v[14:15], v[14:15], v[6:7]
	v_add_f64_e32 v[16:17], v[16:17], v[8:9]
	ds_load_b128 v[2:5], v1 offset:1808
	ds_load_b128 v[6:9], v1 offset:1824
	v_fma_f64 v[12:13], v[12:13], v[30:31], v[18:19]
	v_fma_f64 v[10:11], v[10:11], v[30:31], -v[20:21]
	s_wait_loadcnt_dscnt 0x201
	v_mul_f64_e32 v[26:27], v[2:3], v[40:41]
	v_mul_f64_e32 v[28:29], v[4:5], v[40:41]
	s_wait_loadcnt_dscnt 0x100
	v_mul_f64_e32 v[18:19], v[6:7], v[165:166]
	v_mul_f64_e32 v[20:21], v[8:9], v[165:166]
	v_add_f64_e32 v[14:15], v[14:15], v[24:25]
	v_add_f64_e32 v[16:17], v[16:17], v[22:23]
	v_fma_f64 v[22:23], v[4:5], v[38:39], v[26:27]
	v_fma_f64 v[24:25], v[2:3], v[38:39], -v[28:29]
	ds_load_b128 v[2:5], v1 offset:1840
	v_fma_f64 v[8:9], v[8:9], v[163:164], v[18:19]
	v_fma_f64 v[6:7], v[6:7], v[163:164], -v[20:21]
	v_add_f64_e32 v[10:11], v[14:15], v[10:11]
	v_add_f64_e32 v[12:13], v[16:17], v[12:13]
	s_wait_loadcnt_dscnt 0x0
	v_mul_f64_e32 v[14:15], v[2:3], v[36:37]
	v_mul_f64_e32 v[16:17], v[4:5], v[36:37]
	s_delay_alu instid0(VALU_DEP_4) | instskip(NEXT) | instid1(VALU_DEP_4)
	v_add_f64_e32 v[10:11], v[10:11], v[24:25]
	v_add_f64_e32 v[12:13], v[12:13], v[22:23]
	s_delay_alu instid0(VALU_DEP_4) | instskip(NEXT) | instid1(VALU_DEP_4)
	v_fma_f64 v[4:5], v[4:5], v[34:35], v[14:15]
	v_fma_f64 v[2:3], v[2:3], v[34:35], -v[16:17]
	s_delay_alu instid0(VALU_DEP_4) | instskip(NEXT) | instid1(VALU_DEP_4)
	v_add_f64_e32 v[6:7], v[10:11], v[6:7]
	v_add_f64_e32 v[8:9], v[12:13], v[8:9]
	s_delay_alu instid0(VALU_DEP_2) | instskip(NEXT) | instid1(VALU_DEP_2)
	v_add_f64_e32 v[2:3], v[6:7], v[2:3]
	v_add_f64_e32 v[4:5], v[8:9], v[4:5]
	s_delay_alu instid0(VALU_DEP_2) | instskip(NEXT) | instid1(VALU_DEP_2)
	v_add_f64_e64 v[2:3], v[42:43], -v[2:3]
	v_add_f64_e64 v[4:5], v[44:45], -v[4:5]
	scratch_store_b128 off, v[2:5], off offset:432
	v_cmpx_lt_u32_e32 25, v0
	s_cbranch_execz .LBB121_311
; %bb.310:
	scratch_load_b128 v[5:8], off, s46
	v_dual_mov_b32 v2, v1 :: v_dual_mov_b32 v3, v1
	v_mov_b32_e32 v4, v1
	scratch_store_b128 off, v[1:4], off offset:416
	s_wait_loadcnt 0x0
	ds_store_b128 v162, v[5:8]
.LBB121_311:
	s_wait_alu 0xfffe
	s_or_b32 exec_lo, exec_lo, s0
	s_wait_storecnt_dscnt 0x0
	s_barrier_signal -1
	s_barrier_wait -1
	global_inv scope:SCOPE_SE
	s_clause 0x8
	scratch_load_b128 v[2:5], off, off offset:432
	scratch_load_b128 v[6:9], off, off offset:448
	;; [unrolled: 1-line block ×9, first 2 shown]
	ds_load_b128 v[38:41], v1 offset:1344
	ds_load_b128 v[42:45], v1 offset:1360
	s_clause 0x1
	scratch_load_b128 v[163:166], off, off offset:416
	scratch_load_b128 v[167:170], off, off offset:576
	s_mov_b32 s0, exec_lo
	s_wait_loadcnt_dscnt 0xa01
	v_mul_f64_e32 v[171:172], v[40:41], v[4:5]
	v_mul_f64_e32 v[4:5], v[38:39], v[4:5]
	s_wait_loadcnt_dscnt 0x900
	v_mul_f64_e32 v[175:176], v[42:43], v[8:9]
	v_mul_f64_e32 v[8:9], v[44:45], v[8:9]
	s_delay_alu instid0(VALU_DEP_4) | instskip(NEXT) | instid1(VALU_DEP_4)
	v_fma_f64 v[177:178], v[38:39], v[2:3], -v[171:172]
	v_fma_f64 v[179:180], v[40:41], v[2:3], v[4:5]
	ds_load_b128 v[2:5], v1 offset:1376
	ds_load_b128 v[171:174], v1 offset:1392
	scratch_load_b128 v[38:41], off, off offset:592
	v_fma_f64 v[44:45], v[44:45], v[6:7], v[175:176]
	v_fma_f64 v[42:43], v[42:43], v[6:7], -v[8:9]
	scratch_load_b128 v[6:9], off, off offset:608
	s_wait_loadcnt_dscnt 0xa01
	v_mul_f64_e32 v[181:182], v[2:3], v[12:13]
	v_mul_f64_e32 v[12:13], v[4:5], v[12:13]
	v_add_f64_e32 v[175:176], 0, v[177:178]
	v_add_f64_e32 v[177:178], 0, v[179:180]
	s_wait_loadcnt_dscnt 0x900
	v_mul_f64_e32 v[179:180], v[171:172], v[16:17]
	v_mul_f64_e32 v[16:17], v[173:174], v[16:17]
	v_fma_f64 v[181:182], v[4:5], v[10:11], v[181:182]
	v_fma_f64 v[183:184], v[2:3], v[10:11], -v[12:13]
	ds_load_b128 v[2:5], v1 offset:1408
	scratch_load_b128 v[10:13], off, off offset:624
	v_add_f64_e32 v[175:176], v[175:176], v[42:43]
	v_add_f64_e32 v[177:178], v[177:178], v[44:45]
	ds_load_b128 v[42:45], v1 offset:1424
	v_fma_f64 v[173:174], v[173:174], v[14:15], v[179:180]
	v_fma_f64 v[171:172], v[171:172], v[14:15], -v[16:17]
	scratch_load_b128 v[14:17], off, off offset:640
	s_wait_loadcnt_dscnt 0xa01
	v_mul_f64_e32 v[185:186], v[2:3], v[20:21]
	v_mul_f64_e32 v[20:21], v[4:5], v[20:21]
	s_wait_loadcnt_dscnt 0x900
	v_mul_f64_e32 v[179:180], v[42:43], v[24:25]
	v_mul_f64_e32 v[24:25], v[44:45], v[24:25]
	v_add_f64_e32 v[175:176], v[175:176], v[183:184]
	v_add_f64_e32 v[177:178], v[177:178], v[181:182]
	v_fma_f64 v[181:182], v[4:5], v[18:19], v[185:186]
	v_fma_f64 v[183:184], v[2:3], v[18:19], -v[20:21]
	ds_load_b128 v[2:5], v1 offset:1440
	scratch_load_b128 v[18:21], off, off offset:656
	v_fma_f64 v[44:45], v[44:45], v[22:23], v[179:180]
	v_fma_f64 v[42:43], v[42:43], v[22:23], -v[24:25]
	scratch_load_b128 v[22:25], off, off offset:672
	v_add_f64_e32 v[175:176], v[175:176], v[171:172]
	v_add_f64_e32 v[177:178], v[177:178], v[173:174]
	ds_load_b128 v[171:174], v1 offset:1456
	s_wait_loadcnt_dscnt 0xa01
	v_mul_f64_e32 v[185:186], v[2:3], v[28:29]
	v_mul_f64_e32 v[28:29], v[4:5], v[28:29]
	s_wait_loadcnt_dscnt 0x900
	v_mul_f64_e32 v[179:180], v[171:172], v[32:33]
	v_mul_f64_e32 v[32:33], v[173:174], v[32:33]
	v_add_f64_e32 v[175:176], v[175:176], v[183:184]
	v_add_f64_e32 v[177:178], v[177:178], v[181:182]
	v_fma_f64 v[181:182], v[4:5], v[26:27], v[185:186]
	v_fma_f64 v[183:184], v[2:3], v[26:27], -v[28:29]
	ds_load_b128 v[2:5], v1 offset:1472
	scratch_load_b128 v[26:29], off, off offset:688
	v_fma_f64 v[173:174], v[173:174], v[30:31], v[179:180]
	v_fma_f64 v[171:172], v[171:172], v[30:31], -v[32:33]
	scratch_load_b128 v[30:33], off, off offset:704
	v_add_f64_e32 v[175:176], v[175:176], v[42:43]
	v_add_f64_e32 v[177:178], v[177:178], v[44:45]
	ds_load_b128 v[42:45], v1 offset:1488
	s_wait_loadcnt_dscnt 0xa01
	v_mul_f64_e32 v[185:186], v[2:3], v[36:37]
	v_mul_f64_e32 v[36:37], v[4:5], v[36:37]
	s_wait_loadcnt_dscnt 0x800
	v_mul_f64_e32 v[179:180], v[42:43], v[169:170]
	v_add_f64_e32 v[175:176], v[175:176], v[183:184]
	v_add_f64_e32 v[177:178], v[177:178], v[181:182]
	v_mul_f64_e32 v[181:182], v[44:45], v[169:170]
	v_fma_f64 v[183:184], v[4:5], v[34:35], v[185:186]
	v_fma_f64 v[185:186], v[2:3], v[34:35], -v[36:37]
	ds_load_b128 v[2:5], v1 offset:1504
	scratch_load_b128 v[34:37], off, off offset:720
	v_fma_f64 v[44:45], v[44:45], v[167:168], v[179:180]
	v_add_f64_e32 v[175:176], v[175:176], v[171:172]
	v_add_f64_e32 v[173:174], v[177:178], v[173:174]
	ds_load_b128 v[169:172], v1 offset:1520
	v_fma_f64 v[167:168], v[42:43], v[167:168], -v[181:182]
	s_wait_loadcnt_dscnt 0x801
	v_mul_f64_e32 v[177:178], v[2:3], v[40:41]
	v_mul_f64_e32 v[187:188], v[4:5], v[40:41]
	scratch_load_b128 v[40:43], off, off offset:736
	s_wait_loadcnt_dscnt 0x800
	v_mul_f64_e32 v[181:182], v[169:170], v[8:9]
	v_mul_f64_e32 v[8:9], v[171:172], v[8:9]
	v_add_f64_e32 v[175:176], v[175:176], v[185:186]
	v_add_f64_e32 v[173:174], v[173:174], v[183:184]
	v_fma_f64 v[183:184], v[4:5], v[38:39], v[177:178]
	v_fma_f64 v[38:39], v[2:3], v[38:39], -v[187:188]
	ds_load_b128 v[2:5], v1 offset:1536
	ds_load_b128 v[177:180], v1 offset:1552
	v_fma_f64 v[171:172], v[171:172], v[6:7], v[181:182]
	v_fma_f64 v[169:170], v[169:170], v[6:7], -v[8:9]
	scratch_load_b128 v[6:9], off, off offset:768
	v_add_f64_e32 v[167:168], v[175:176], v[167:168]
	v_add_f64_e32 v[44:45], v[173:174], v[44:45]
	scratch_load_b128 v[173:176], off, off offset:752
	s_wait_loadcnt_dscnt 0x901
	v_mul_f64_e32 v[185:186], v[2:3], v[12:13]
	v_mul_f64_e32 v[12:13], v[4:5], v[12:13]
	s_wait_loadcnt_dscnt 0x800
	v_mul_f64_e32 v[181:182], v[177:178], v[16:17]
	v_mul_f64_e32 v[16:17], v[179:180], v[16:17]
	v_add_f64_e32 v[38:39], v[167:168], v[38:39]
	v_add_f64_e32 v[44:45], v[44:45], v[183:184]
	v_fma_f64 v[183:184], v[4:5], v[10:11], v[185:186]
	v_fma_f64 v[185:186], v[2:3], v[10:11], -v[12:13]
	ds_load_b128 v[2:5], v1 offset:1568
	scratch_load_b128 v[10:13], off, off offset:784
	v_fma_f64 v[179:180], v[179:180], v[14:15], v[181:182]
	v_fma_f64 v[177:178], v[177:178], v[14:15], -v[16:17]
	scratch_load_b128 v[14:17], off, off offset:800
	v_add_f64_e32 v[38:39], v[38:39], v[169:170]
	v_add_f64_e32 v[44:45], v[44:45], v[171:172]
	ds_load_b128 v[167:170], v1 offset:1584
	s_wait_loadcnt_dscnt 0x901
	v_mul_f64_e32 v[171:172], v[2:3], v[20:21]
	v_mul_f64_e32 v[20:21], v[4:5], v[20:21]
	s_wait_loadcnt_dscnt 0x800
	v_mul_f64_e32 v[181:182], v[167:168], v[24:25]
	v_mul_f64_e32 v[24:25], v[169:170], v[24:25]
	v_add_f64_e32 v[38:39], v[38:39], v[185:186]
	v_add_f64_e32 v[44:45], v[44:45], v[183:184]
	v_fma_f64 v[171:172], v[4:5], v[18:19], v[171:172]
	v_fma_f64 v[183:184], v[2:3], v[18:19], -v[20:21]
	ds_load_b128 v[2:5], v1 offset:1600
	scratch_load_b128 v[18:21], off, off offset:816
	v_fma_f64 v[169:170], v[169:170], v[22:23], v[181:182]
	v_fma_f64 v[167:168], v[167:168], v[22:23], -v[24:25]
	scratch_load_b128 v[22:25], off, off offset:832
	v_add_f64_e32 v[38:39], v[38:39], v[177:178]
	v_add_f64_e32 v[44:45], v[44:45], v[179:180]
	ds_load_b128 v[177:180], v1 offset:1616
	s_wait_loadcnt_dscnt 0x901
	v_mul_f64_e32 v[185:186], v[2:3], v[28:29]
	v_mul_f64_e32 v[28:29], v[4:5], v[28:29]
	v_add_f64_e32 v[38:39], v[38:39], v[183:184]
	v_add_f64_e32 v[44:45], v[44:45], v[171:172]
	s_wait_loadcnt_dscnt 0x800
	v_mul_f64_e32 v[171:172], v[177:178], v[32:33]
	v_mul_f64_e32 v[32:33], v[179:180], v[32:33]
	v_fma_f64 v[181:182], v[4:5], v[26:27], v[185:186]
	v_fma_f64 v[183:184], v[2:3], v[26:27], -v[28:29]
	ds_load_b128 v[2:5], v1 offset:1632
	scratch_load_b128 v[26:29], off, off offset:848
	v_add_f64_e32 v[38:39], v[38:39], v[167:168]
	v_add_f64_e32 v[44:45], v[44:45], v[169:170]
	ds_load_b128 v[167:170], v1 offset:1648
	s_wait_loadcnt_dscnt 0x801
	v_mul_f64_e32 v[185:186], v[2:3], v[36:37]
	v_mul_f64_e32 v[36:37], v[4:5], v[36:37]
	v_fma_f64 v[171:172], v[179:180], v[30:31], v[171:172]
	v_fma_f64 v[177:178], v[177:178], v[30:31], -v[32:33]
	scratch_load_b128 v[30:33], off, off offset:864
	s_wait_loadcnt_dscnt 0x800
	v_mul_f64_e32 v[179:180], v[167:168], v[42:43]
	v_add_f64_e32 v[38:39], v[38:39], v[183:184]
	v_add_f64_e32 v[44:45], v[44:45], v[181:182]
	v_mul_f64_e32 v[181:182], v[169:170], v[42:43]
	v_fma_f64 v[183:184], v[4:5], v[34:35], v[185:186]
	v_fma_f64 v[185:186], v[2:3], v[34:35], -v[36:37]
	ds_load_b128 v[2:5], v1 offset:1664
	scratch_load_b128 v[34:37], off, off offset:880
	v_fma_f64 v[169:170], v[169:170], v[40:41], v[179:180]
	v_add_f64_e32 v[38:39], v[38:39], v[177:178]
	v_add_f64_e32 v[171:172], v[44:45], v[171:172]
	ds_load_b128 v[42:45], v1 offset:1680
	v_fma_f64 v[167:168], v[167:168], v[40:41], -v[181:182]
	s_wait_loadcnt_dscnt 0x701
	v_mul_f64_e32 v[177:178], v[2:3], v[175:176]
	v_mul_f64_e32 v[175:176], v[4:5], v[175:176]
	s_wait_dscnt 0x0
	v_mul_f64_e32 v[181:182], v[42:43], v[8:9]
	v_mul_f64_e32 v[8:9], v[44:45], v[8:9]
	v_add_f64_e32 v[179:180], v[38:39], v[185:186]
	v_add_f64_e32 v[171:172], v[171:172], v[183:184]
	scratch_load_b128 v[38:41], off, off offset:896
	v_fma_f64 v[177:178], v[4:5], v[173:174], v[177:178]
	v_fma_f64 v[175:176], v[2:3], v[173:174], -v[175:176]
	ds_load_b128 v[2:5], v1 offset:1696
	v_fma_f64 v[44:45], v[44:45], v[6:7], v[181:182]
	v_fma_f64 v[42:43], v[42:43], v[6:7], -v[8:9]
	scratch_load_b128 v[6:9], off, off offset:928
	v_add_f64_e32 v[179:180], v[179:180], v[167:168]
	v_add_f64_e32 v[183:184], v[171:172], v[169:170]
	scratch_load_b128 v[167:170], off, off offset:912
	ds_load_b128 v[171:174], v1 offset:1712
	s_wait_loadcnt_dscnt 0x901
	v_mul_f64_e32 v[185:186], v[2:3], v[12:13]
	v_mul_f64_e32 v[12:13], v[4:5], v[12:13]
	v_add_f64_e32 v[175:176], v[179:180], v[175:176]
	v_add_f64_e32 v[177:178], v[183:184], v[177:178]
	s_wait_loadcnt_dscnt 0x800
	v_mul_f64_e32 v[179:180], v[171:172], v[16:17]
	v_mul_f64_e32 v[16:17], v[173:174], v[16:17]
	v_fma_f64 v[181:182], v[4:5], v[10:11], v[185:186]
	v_fma_f64 v[183:184], v[2:3], v[10:11], -v[12:13]
	ds_load_b128 v[2:5], v1 offset:1728
	ds_load_b128 v[10:13], v1 offset:1744
	v_add_f64_e32 v[42:43], v[175:176], v[42:43]
	v_add_f64_e32 v[44:45], v[177:178], v[44:45]
	s_wait_loadcnt_dscnt 0x701
	v_mul_f64_e32 v[175:176], v[2:3], v[20:21]
	v_mul_f64_e32 v[20:21], v[4:5], v[20:21]
	v_fma_f64 v[173:174], v[173:174], v[14:15], v[179:180]
	v_fma_f64 v[14:15], v[171:172], v[14:15], -v[16:17]
	v_add_f64_e32 v[16:17], v[42:43], v[183:184]
	v_add_f64_e32 v[42:43], v[44:45], v[181:182]
	s_wait_loadcnt_dscnt 0x600
	v_mul_f64_e32 v[44:45], v[10:11], v[24:25]
	v_mul_f64_e32 v[24:25], v[12:13], v[24:25]
	v_fma_f64 v[171:172], v[4:5], v[18:19], v[175:176]
	v_fma_f64 v[18:19], v[2:3], v[18:19], -v[20:21]
	v_add_f64_e32 v[20:21], v[16:17], v[14:15]
	v_add_f64_e32 v[42:43], v[42:43], v[173:174]
	ds_load_b128 v[2:5], v1 offset:1760
	ds_load_b128 v[14:17], v1 offset:1776
	v_fma_f64 v[12:13], v[12:13], v[22:23], v[44:45]
	v_fma_f64 v[10:11], v[10:11], v[22:23], -v[24:25]
	s_wait_loadcnt_dscnt 0x501
	v_mul_f64_e32 v[173:174], v[2:3], v[28:29]
	v_mul_f64_e32 v[28:29], v[4:5], v[28:29]
	s_wait_loadcnt_dscnt 0x400
	v_mul_f64_e32 v[22:23], v[14:15], v[32:33]
	v_mul_f64_e32 v[24:25], v[16:17], v[32:33]
	v_add_f64_e32 v[18:19], v[20:21], v[18:19]
	v_add_f64_e32 v[20:21], v[42:43], v[171:172]
	v_fma_f64 v[32:33], v[4:5], v[26:27], v[173:174]
	v_fma_f64 v[26:27], v[2:3], v[26:27], -v[28:29]
	v_fma_f64 v[16:17], v[16:17], v[30:31], v[22:23]
	v_fma_f64 v[14:15], v[14:15], v[30:31], -v[24:25]
	v_add_f64_e32 v[18:19], v[18:19], v[10:11]
	v_add_f64_e32 v[20:21], v[20:21], v[12:13]
	ds_load_b128 v[2:5], v1 offset:1792
	ds_load_b128 v[10:13], v1 offset:1808
	s_wait_loadcnt_dscnt 0x301
	v_mul_f64_e32 v[28:29], v[2:3], v[36:37]
	v_mul_f64_e32 v[36:37], v[4:5], v[36:37]
	v_add_f64_e32 v[18:19], v[18:19], v[26:27]
	v_add_f64_e32 v[20:21], v[20:21], v[32:33]
	s_wait_loadcnt_dscnt 0x200
	v_mul_f64_e32 v[22:23], v[10:11], v[40:41]
	v_mul_f64_e32 v[24:25], v[12:13], v[40:41]
	v_fma_f64 v[26:27], v[4:5], v[34:35], v[28:29]
	v_fma_f64 v[28:29], v[2:3], v[34:35], -v[36:37]
	v_add_f64_e32 v[18:19], v[18:19], v[14:15]
	v_add_f64_e32 v[20:21], v[20:21], v[16:17]
	ds_load_b128 v[2:5], v1 offset:1824
	ds_load_b128 v[14:17], v1 offset:1840
	v_fma_f64 v[12:13], v[12:13], v[38:39], v[22:23]
	v_fma_f64 v[10:11], v[10:11], v[38:39], -v[24:25]
	s_wait_loadcnt_dscnt 0x1
	v_mul_f64_e32 v[30:31], v[2:3], v[169:170]
	v_mul_f64_e32 v[32:33], v[4:5], v[169:170]
	s_wait_dscnt 0x0
	v_mul_f64_e32 v[22:23], v[14:15], v[8:9]
	v_mul_f64_e32 v[8:9], v[16:17], v[8:9]
	v_add_f64_e32 v[18:19], v[18:19], v[28:29]
	v_add_f64_e32 v[20:21], v[20:21], v[26:27]
	v_fma_f64 v[4:5], v[4:5], v[167:168], v[30:31]
	v_fma_f64 v[1:2], v[2:3], v[167:168], -v[32:33]
	v_fma_f64 v[16:17], v[16:17], v[6:7], v[22:23]
	v_fma_f64 v[6:7], v[14:15], v[6:7], -v[8:9]
	v_add_f64_e32 v[10:11], v[18:19], v[10:11]
	v_add_f64_e32 v[12:13], v[20:21], v[12:13]
	s_delay_alu instid0(VALU_DEP_2) | instskip(NEXT) | instid1(VALU_DEP_2)
	v_add_f64_e32 v[1:2], v[10:11], v[1:2]
	v_add_f64_e32 v[3:4], v[12:13], v[4:5]
	s_delay_alu instid0(VALU_DEP_2) | instskip(NEXT) | instid1(VALU_DEP_2)
	;; [unrolled: 3-line block ×3, first 2 shown]
	v_add_f64_e64 v[1:2], v[163:164], -v[1:2]
	v_add_f64_e64 v[3:4], v[165:166], -v[3:4]
	scratch_store_b128 off, v[1:4], off offset:416
	v_cmpx_lt_u32_e32 24, v0
	s_cbranch_execz .LBB121_313
; %bb.312:
	scratch_load_b128 v[1:4], off, s47
	v_mov_b32_e32 v5, 0
	s_delay_alu instid0(VALU_DEP_1)
	v_dual_mov_b32 v6, v5 :: v_dual_mov_b32 v7, v5
	v_mov_b32_e32 v8, v5
	scratch_store_b128 off, v[5:8], off offset:400
	s_wait_loadcnt 0x0
	ds_store_b128 v162, v[1:4]
.LBB121_313:
	s_wait_alu 0xfffe
	s_or_b32 exec_lo, exec_lo, s0
	s_wait_storecnt_dscnt 0x0
	s_barrier_signal -1
	s_barrier_wait -1
	global_inv scope:SCOPE_SE
	s_clause 0x7
	scratch_load_b128 v[2:5], off, off offset:416
	scratch_load_b128 v[6:9], off, off offset:432
	;; [unrolled: 1-line block ×8, first 2 shown]
	v_mov_b32_e32 v1, 0
	s_mov_b32 s0, exec_lo
	ds_load_b128 v[34:37], v1 offset:1328
	s_clause 0x1
	scratch_load_b128 v[38:41], off, off offset:544
	scratch_load_b128 v[42:45], off, off offset:400
	ds_load_b128 v[163:166], v1 offset:1344
	scratch_load_b128 v[167:170], off, off offset:560
	s_wait_loadcnt_dscnt 0xa01
	v_mul_f64_e32 v[171:172], v[36:37], v[4:5]
	v_mul_f64_e32 v[4:5], v[34:35], v[4:5]
	s_delay_alu instid0(VALU_DEP_2) | instskip(NEXT) | instid1(VALU_DEP_2)
	v_fma_f64 v[177:178], v[34:35], v[2:3], -v[171:172]
	v_fma_f64 v[179:180], v[36:37], v[2:3], v[4:5]
	ds_load_b128 v[2:5], v1 offset:1360
	s_wait_loadcnt_dscnt 0x901
	v_mul_f64_e32 v[175:176], v[163:164], v[8:9]
	v_mul_f64_e32 v[8:9], v[165:166], v[8:9]
	scratch_load_b128 v[34:37], off, off offset:576
	ds_load_b128 v[171:174], v1 offset:1376
	s_wait_loadcnt_dscnt 0x901
	v_mul_f64_e32 v[181:182], v[2:3], v[12:13]
	v_mul_f64_e32 v[12:13], v[4:5], v[12:13]
	v_fma_f64 v[165:166], v[165:166], v[6:7], v[175:176]
	v_fma_f64 v[163:164], v[163:164], v[6:7], -v[8:9]
	v_add_f64_e32 v[175:176], 0, v[177:178]
	v_add_f64_e32 v[177:178], 0, v[179:180]
	scratch_load_b128 v[6:9], off, off offset:592
	v_fma_f64 v[181:182], v[4:5], v[10:11], v[181:182]
	v_fma_f64 v[183:184], v[2:3], v[10:11], -v[12:13]
	ds_load_b128 v[2:5], v1 offset:1392
	s_wait_loadcnt_dscnt 0x901
	v_mul_f64_e32 v[179:180], v[171:172], v[16:17]
	v_mul_f64_e32 v[16:17], v[173:174], v[16:17]
	scratch_load_b128 v[10:13], off, off offset:608
	v_add_f64_e32 v[175:176], v[175:176], v[163:164]
	v_add_f64_e32 v[177:178], v[177:178], v[165:166]
	s_wait_loadcnt_dscnt 0x900
	v_mul_f64_e32 v[185:186], v[2:3], v[20:21]
	v_mul_f64_e32 v[20:21], v[4:5], v[20:21]
	ds_load_b128 v[163:166], v1 offset:1408
	v_fma_f64 v[173:174], v[173:174], v[14:15], v[179:180]
	v_fma_f64 v[171:172], v[171:172], v[14:15], -v[16:17]
	scratch_load_b128 v[14:17], off, off offset:624
	v_add_f64_e32 v[175:176], v[175:176], v[183:184]
	v_add_f64_e32 v[177:178], v[177:178], v[181:182]
	v_fma_f64 v[181:182], v[4:5], v[18:19], v[185:186]
	v_fma_f64 v[183:184], v[2:3], v[18:19], -v[20:21]
	ds_load_b128 v[2:5], v1 offset:1424
	s_wait_loadcnt_dscnt 0x901
	v_mul_f64_e32 v[179:180], v[163:164], v[24:25]
	v_mul_f64_e32 v[24:25], v[165:166], v[24:25]
	scratch_load_b128 v[18:21], off, off offset:640
	s_wait_loadcnt_dscnt 0x900
	v_mul_f64_e32 v[185:186], v[2:3], v[28:29]
	v_mul_f64_e32 v[28:29], v[4:5], v[28:29]
	v_add_f64_e32 v[175:176], v[175:176], v[171:172]
	v_add_f64_e32 v[177:178], v[177:178], v[173:174]
	ds_load_b128 v[171:174], v1 offset:1440
	v_fma_f64 v[165:166], v[165:166], v[22:23], v[179:180]
	v_fma_f64 v[163:164], v[163:164], v[22:23], -v[24:25]
	scratch_load_b128 v[22:25], off, off offset:656
	v_add_f64_e32 v[175:176], v[175:176], v[183:184]
	v_add_f64_e32 v[177:178], v[177:178], v[181:182]
	v_fma_f64 v[181:182], v[4:5], v[26:27], v[185:186]
	v_fma_f64 v[183:184], v[2:3], v[26:27], -v[28:29]
	ds_load_b128 v[2:5], v1 offset:1456
	s_wait_loadcnt_dscnt 0x901
	v_mul_f64_e32 v[179:180], v[171:172], v[32:33]
	v_mul_f64_e32 v[32:33], v[173:174], v[32:33]
	scratch_load_b128 v[26:29], off, off offset:672
	s_wait_loadcnt_dscnt 0x900
	v_mul_f64_e32 v[185:186], v[2:3], v[40:41]
	v_mul_f64_e32 v[40:41], v[4:5], v[40:41]
	v_add_f64_e32 v[175:176], v[175:176], v[163:164]
	v_add_f64_e32 v[177:178], v[177:178], v[165:166]
	ds_load_b128 v[163:166], v1 offset:1472
	v_fma_f64 v[173:174], v[173:174], v[30:31], v[179:180]
	v_fma_f64 v[171:172], v[171:172], v[30:31], -v[32:33]
	scratch_load_b128 v[30:33], off, off offset:688
	v_add_f64_e32 v[175:176], v[175:176], v[183:184]
	v_add_f64_e32 v[177:178], v[177:178], v[181:182]
	v_fma_f64 v[183:184], v[4:5], v[38:39], v[185:186]
	v_fma_f64 v[185:186], v[2:3], v[38:39], -v[40:41]
	ds_load_b128 v[2:5], v1 offset:1488
	s_wait_loadcnt_dscnt 0x801
	v_mul_f64_e32 v[179:180], v[163:164], v[169:170]
	v_mul_f64_e32 v[181:182], v[165:166], v[169:170]
	scratch_load_b128 v[38:41], off, off offset:704
	v_add_f64_e32 v[175:176], v[175:176], v[171:172]
	v_add_f64_e32 v[173:174], v[177:178], v[173:174]
	ds_load_b128 v[169:172], v1 offset:1504
	v_fma_f64 v[179:180], v[165:166], v[167:168], v[179:180]
	v_fma_f64 v[167:168], v[163:164], v[167:168], -v[181:182]
	scratch_load_b128 v[163:166], off, off offset:720
	s_wait_loadcnt_dscnt 0x901
	v_mul_f64_e32 v[177:178], v[2:3], v[36:37]
	v_mul_f64_e32 v[36:37], v[4:5], v[36:37]
	v_add_f64_e32 v[175:176], v[175:176], v[185:186]
	v_add_f64_e32 v[173:174], v[173:174], v[183:184]
	s_delay_alu instid0(VALU_DEP_4) | instskip(NEXT) | instid1(VALU_DEP_4)
	v_fma_f64 v[177:178], v[4:5], v[34:35], v[177:178]
	v_fma_f64 v[183:184], v[2:3], v[34:35], -v[36:37]
	ds_load_b128 v[2:5], v1 offset:1520
	s_wait_loadcnt_dscnt 0x801
	v_mul_f64_e32 v[181:182], v[169:170], v[8:9]
	v_mul_f64_e32 v[8:9], v[171:172], v[8:9]
	scratch_load_b128 v[34:37], off, off offset:736
	s_wait_loadcnt_dscnt 0x800
	v_mul_f64_e32 v[185:186], v[2:3], v[12:13]
	v_add_f64_e32 v[167:168], v[175:176], v[167:168]
	v_add_f64_e32 v[179:180], v[173:174], v[179:180]
	v_mul_f64_e32 v[12:13], v[4:5], v[12:13]
	ds_load_b128 v[173:176], v1 offset:1536
	v_fma_f64 v[171:172], v[171:172], v[6:7], v[181:182]
	v_fma_f64 v[169:170], v[169:170], v[6:7], -v[8:9]
	scratch_load_b128 v[6:9], off, off offset:752
	v_fma_f64 v[181:182], v[4:5], v[10:11], v[185:186]
	v_add_f64_e32 v[167:168], v[167:168], v[183:184]
	v_add_f64_e32 v[177:178], v[179:180], v[177:178]
	v_fma_f64 v[183:184], v[2:3], v[10:11], -v[12:13]
	ds_load_b128 v[2:5], v1 offset:1552
	s_wait_loadcnt_dscnt 0x801
	v_mul_f64_e32 v[179:180], v[173:174], v[16:17]
	v_mul_f64_e32 v[16:17], v[175:176], v[16:17]
	scratch_load_b128 v[10:13], off, off offset:768
	v_add_f64_e32 v[185:186], v[167:168], v[169:170]
	v_add_f64_e32 v[171:172], v[177:178], v[171:172]
	s_wait_loadcnt_dscnt 0x800
	v_mul_f64_e32 v[177:178], v[2:3], v[20:21]
	v_mul_f64_e32 v[20:21], v[4:5], v[20:21]
	v_fma_f64 v[175:176], v[175:176], v[14:15], v[179:180]
	v_fma_f64 v[173:174], v[173:174], v[14:15], -v[16:17]
	ds_load_b128 v[167:170], v1 offset:1568
	scratch_load_b128 v[14:17], off, off offset:784
	v_add_f64_e32 v[179:180], v[185:186], v[183:184]
	v_add_f64_e32 v[171:172], v[171:172], v[181:182]
	v_fma_f64 v[177:178], v[4:5], v[18:19], v[177:178]
	v_fma_f64 v[183:184], v[2:3], v[18:19], -v[20:21]
	ds_load_b128 v[2:5], v1 offset:1584
	s_wait_loadcnt_dscnt 0x801
	v_mul_f64_e32 v[181:182], v[167:168], v[24:25]
	v_mul_f64_e32 v[24:25], v[169:170], v[24:25]
	scratch_load_b128 v[18:21], off, off offset:800
	s_wait_loadcnt_dscnt 0x800
	v_mul_f64_e32 v[185:186], v[2:3], v[28:29]
	v_mul_f64_e32 v[28:29], v[4:5], v[28:29]
	v_add_f64_e32 v[179:180], v[179:180], v[173:174]
	v_add_f64_e32 v[175:176], v[171:172], v[175:176]
	ds_load_b128 v[171:174], v1 offset:1600
	v_fma_f64 v[169:170], v[169:170], v[22:23], v[181:182]
	v_fma_f64 v[167:168], v[167:168], v[22:23], -v[24:25]
	scratch_load_b128 v[22:25], off, off offset:816
	v_fma_f64 v[181:182], v[4:5], v[26:27], v[185:186]
	v_add_f64_e32 v[179:180], v[179:180], v[183:184]
	v_add_f64_e32 v[175:176], v[175:176], v[177:178]
	v_fma_f64 v[183:184], v[2:3], v[26:27], -v[28:29]
	ds_load_b128 v[2:5], v1 offset:1616
	s_wait_loadcnt_dscnt 0x801
	v_mul_f64_e32 v[177:178], v[171:172], v[32:33]
	v_mul_f64_e32 v[32:33], v[173:174], v[32:33]
	scratch_load_b128 v[26:29], off, off offset:832
	s_wait_loadcnt_dscnt 0x800
	v_mul_f64_e32 v[185:186], v[2:3], v[40:41]
	v_mul_f64_e32 v[40:41], v[4:5], v[40:41]
	v_add_f64_e32 v[179:180], v[179:180], v[167:168]
	v_add_f64_e32 v[175:176], v[175:176], v[169:170]
	ds_load_b128 v[167:170], v1 offset:1632
	v_fma_f64 v[173:174], v[173:174], v[30:31], v[177:178]
	v_fma_f64 v[171:172], v[171:172], v[30:31], -v[32:33]
	scratch_load_b128 v[30:33], off, off offset:848
	v_add_f64_e32 v[177:178], v[179:180], v[183:184]
	v_add_f64_e32 v[175:176], v[175:176], v[181:182]
	v_fma_f64 v[181:182], v[4:5], v[38:39], v[185:186]
	v_fma_f64 v[183:184], v[2:3], v[38:39], -v[40:41]
	ds_load_b128 v[2:5], v1 offset:1648
	s_wait_loadcnt_dscnt 0x801
	v_mul_f64_e32 v[179:180], v[167:168], v[165:166]
	v_mul_f64_e32 v[165:166], v[169:170], v[165:166]
	scratch_load_b128 v[38:41], off, off offset:864
	s_wait_loadcnt_dscnt 0x800
	v_mul_f64_e32 v[185:186], v[2:3], v[36:37]
	v_mul_f64_e32 v[36:37], v[4:5], v[36:37]
	v_add_f64_e32 v[177:178], v[177:178], v[171:172]
	v_add_f64_e32 v[175:176], v[175:176], v[173:174]
	ds_load_b128 v[171:174], v1 offset:1664
	v_fma_f64 v[169:170], v[169:170], v[163:164], v[179:180]
	v_fma_f64 v[167:168], v[167:168], v[163:164], -v[165:166]
	scratch_load_b128 v[163:166], off, off offset:880
	v_add_f64_e32 v[177:178], v[177:178], v[183:184]
	v_add_f64_e32 v[175:176], v[175:176], v[181:182]
	v_fma_f64 v[181:182], v[4:5], v[34:35], v[185:186]
	;; [unrolled: 18-line block ×3, first 2 shown]
	v_fma_f64 v[183:184], v[2:3], v[10:11], -v[12:13]
	ds_load_b128 v[2:5], v1 offset:1712
	s_wait_loadcnt_dscnt 0x801
	v_mul_f64_e32 v[179:180], v[167:168], v[16:17]
	v_mul_f64_e32 v[16:17], v[169:170], v[16:17]
	scratch_load_b128 v[10:13], off, off offset:928
	s_wait_loadcnt_dscnt 0x800
	v_mul_f64_e32 v[185:186], v[2:3], v[20:21]
	v_mul_f64_e32 v[20:21], v[4:5], v[20:21]
	v_add_f64_e32 v[177:178], v[177:178], v[171:172]
	v_add_f64_e32 v[175:176], v[175:176], v[173:174]
	ds_load_b128 v[171:174], v1 offset:1728
	v_fma_f64 v[169:170], v[169:170], v[14:15], v[179:180]
	v_fma_f64 v[14:15], v[167:168], v[14:15], -v[16:17]
	v_add_f64_e32 v[16:17], v[177:178], v[183:184]
	v_add_f64_e32 v[167:168], v[175:176], v[181:182]
	s_wait_loadcnt_dscnt 0x700
	v_mul_f64_e32 v[175:176], v[171:172], v[24:25]
	v_mul_f64_e32 v[24:25], v[173:174], v[24:25]
	v_fma_f64 v[177:178], v[4:5], v[18:19], v[185:186]
	v_fma_f64 v[18:19], v[2:3], v[18:19], -v[20:21]
	v_add_f64_e32 v[20:21], v[16:17], v[14:15]
	v_add_f64_e32 v[167:168], v[167:168], v[169:170]
	ds_load_b128 v[2:5], v1 offset:1744
	ds_load_b128 v[14:17], v1 offset:1760
	v_fma_f64 v[173:174], v[173:174], v[22:23], v[175:176]
	v_fma_f64 v[22:23], v[171:172], v[22:23], -v[24:25]
	s_wait_loadcnt_dscnt 0x601
	v_mul_f64_e32 v[169:170], v[2:3], v[28:29]
	v_mul_f64_e32 v[28:29], v[4:5], v[28:29]
	s_wait_loadcnt_dscnt 0x500
	v_mul_f64_e32 v[24:25], v[14:15], v[32:33]
	v_mul_f64_e32 v[32:33], v[16:17], v[32:33]
	v_add_f64_e32 v[18:19], v[20:21], v[18:19]
	v_add_f64_e32 v[20:21], v[167:168], v[177:178]
	v_fma_f64 v[167:168], v[4:5], v[26:27], v[169:170]
	v_fma_f64 v[26:27], v[2:3], v[26:27], -v[28:29]
	v_fma_f64 v[16:17], v[16:17], v[30:31], v[24:25]
	v_fma_f64 v[14:15], v[14:15], v[30:31], -v[32:33]
	v_add_f64_e32 v[22:23], v[18:19], v[22:23]
	v_add_f64_e32 v[28:29], v[20:21], v[173:174]
	ds_load_b128 v[2:5], v1 offset:1776
	ds_load_b128 v[18:21], v1 offset:1792
	s_wait_loadcnt_dscnt 0x401
	v_mul_f64_e32 v[169:170], v[2:3], v[40:41]
	v_mul_f64_e32 v[40:41], v[4:5], v[40:41]
	v_add_f64_e32 v[22:23], v[22:23], v[26:27]
	v_add_f64_e32 v[24:25], v[28:29], v[167:168]
	s_wait_loadcnt_dscnt 0x300
	v_mul_f64_e32 v[26:27], v[18:19], v[165:166]
	v_mul_f64_e32 v[28:29], v[20:21], v[165:166]
	v_fma_f64 v[30:31], v[4:5], v[38:39], v[169:170]
	v_fma_f64 v[32:33], v[2:3], v[38:39], -v[40:41]
	v_add_f64_e32 v[22:23], v[22:23], v[14:15]
	v_add_f64_e32 v[24:25], v[24:25], v[16:17]
	ds_load_b128 v[2:5], v1 offset:1808
	ds_load_b128 v[14:17], v1 offset:1824
	v_fma_f64 v[20:21], v[20:21], v[163:164], v[26:27]
	v_fma_f64 v[18:19], v[18:19], v[163:164], -v[28:29]
	s_wait_loadcnt_dscnt 0x201
	v_mul_f64_e32 v[38:39], v[2:3], v[36:37]
	v_mul_f64_e32 v[36:37], v[4:5], v[36:37]
	s_wait_loadcnt_dscnt 0x100
	v_mul_f64_e32 v[26:27], v[14:15], v[8:9]
	v_mul_f64_e32 v[8:9], v[16:17], v[8:9]
	v_add_f64_e32 v[22:23], v[22:23], v[32:33]
	v_add_f64_e32 v[24:25], v[24:25], v[30:31]
	v_fma_f64 v[28:29], v[4:5], v[34:35], v[38:39]
	v_fma_f64 v[30:31], v[2:3], v[34:35], -v[36:37]
	ds_load_b128 v[2:5], v1 offset:1840
	v_fma_f64 v[16:17], v[16:17], v[6:7], v[26:27]
	v_fma_f64 v[6:7], v[14:15], v[6:7], -v[8:9]
	v_add_f64_e32 v[18:19], v[22:23], v[18:19]
	v_add_f64_e32 v[20:21], v[24:25], v[20:21]
	s_wait_loadcnt_dscnt 0x0
	v_mul_f64_e32 v[22:23], v[2:3], v[12:13]
	v_mul_f64_e32 v[12:13], v[4:5], v[12:13]
	s_delay_alu instid0(VALU_DEP_4) | instskip(NEXT) | instid1(VALU_DEP_4)
	v_add_f64_e32 v[8:9], v[18:19], v[30:31]
	v_add_f64_e32 v[14:15], v[20:21], v[28:29]
	s_delay_alu instid0(VALU_DEP_4) | instskip(NEXT) | instid1(VALU_DEP_4)
	v_fma_f64 v[4:5], v[4:5], v[10:11], v[22:23]
	v_fma_f64 v[2:3], v[2:3], v[10:11], -v[12:13]
	s_delay_alu instid0(VALU_DEP_4) | instskip(NEXT) | instid1(VALU_DEP_4)
	v_add_f64_e32 v[6:7], v[8:9], v[6:7]
	v_add_f64_e32 v[8:9], v[14:15], v[16:17]
	s_delay_alu instid0(VALU_DEP_2) | instskip(NEXT) | instid1(VALU_DEP_2)
	v_add_f64_e32 v[2:3], v[6:7], v[2:3]
	v_add_f64_e32 v[4:5], v[8:9], v[4:5]
	s_delay_alu instid0(VALU_DEP_2) | instskip(NEXT) | instid1(VALU_DEP_2)
	v_add_f64_e64 v[2:3], v[42:43], -v[2:3]
	v_add_f64_e64 v[4:5], v[44:45], -v[4:5]
	scratch_store_b128 off, v[2:5], off offset:400
	v_cmpx_lt_u32_e32 23, v0
	s_cbranch_execz .LBB121_315
; %bb.314:
	scratch_load_b128 v[5:8], off, s48
	v_dual_mov_b32 v2, v1 :: v_dual_mov_b32 v3, v1
	v_mov_b32_e32 v4, v1
	scratch_store_b128 off, v[1:4], off offset:384
	s_wait_loadcnt 0x0
	ds_store_b128 v162, v[5:8]
.LBB121_315:
	s_wait_alu 0xfffe
	s_or_b32 exec_lo, exec_lo, s0
	s_wait_storecnt_dscnt 0x0
	s_barrier_signal -1
	s_barrier_wait -1
	global_inv scope:SCOPE_SE
	s_clause 0x8
	scratch_load_b128 v[2:5], off, off offset:400
	scratch_load_b128 v[6:9], off, off offset:416
	;; [unrolled: 1-line block ×9, first 2 shown]
	ds_load_b128 v[38:41], v1 offset:1312
	ds_load_b128 v[42:45], v1 offset:1328
	s_clause 0x1
	scratch_load_b128 v[163:166], off, off offset:384
	scratch_load_b128 v[167:170], off, off offset:544
	s_mov_b32 s0, exec_lo
	s_wait_loadcnt_dscnt 0xa01
	v_mul_f64_e32 v[171:172], v[40:41], v[4:5]
	v_mul_f64_e32 v[4:5], v[38:39], v[4:5]
	s_wait_loadcnt_dscnt 0x900
	v_mul_f64_e32 v[175:176], v[42:43], v[8:9]
	v_mul_f64_e32 v[8:9], v[44:45], v[8:9]
	s_delay_alu instid0(VALU_DEP_4) | instskip(NEXT) | instid1(VALU_DEP_4)
	v_fma_f64 v[177:178], v[38:39], v[2:3], -v[171:172]
	v_fma_f64 v[179:180], v[40:41], v[2:3], v[4:5]
	ds_load_b128 v[2:5], v1 offset:1344
	ds_load_b128 v[171:174], v1 offset:1360
	scratch_load_b128 v[38:41], off, off offset:560
	v_fma_f64 v[44:45], v[44:45], v[6:7], v[175:176]
	v_fma_f64 v[42:43], v[42:43], v[6:7], -v[8:9]
	scratch_load_b128 v[6:9], off, off offset:576
	s_wait_loadcnt_dscnt 0xa01
	v_mul_f64_e32 v[181:182], v[2:3], v[12:13]
	v_mul_f64_e32 v[12:13], v[4:5], v[12:13]
	v_add_f64_e32 v[175:176], 0, v[177:178]
	v_add_f64_e32 v[177:178], 0, v[179:180]
	s_wait_loadcnt_dscnt 0x900
	v_mul_f64_e32 v[179:180], v[171:172], v[16:17]
	v_mul_f64_e32 v[16:17], v[173:174], v[16:17]
	v_fma_f64 v[181:182], v[4:5], v[10:11], v[181:182]
	v_fma_f64 v[183:184], v[2:3], v[10:11], -v[12:13]
	ds_load_b128 v[2:5], v1 offset:1376
	scratch_load_b128 v[10:13], off, off offset:592
	v_add_f64_e32 v[175:176], v[175:176], v[42:43]
	v_add_f64_e32 v[177:178], v[177:178], v[44:45]
	ds_load_b128 v[42:45], v1 offset:1392
	v_fma_f64 v[173:174], v[173:174], v[14:15], v[179:180]
	v_fma_f64 v[171:172], v[171:172], v[14:15], -v[16:17]
	scratch_load_b128 v[14:17], off, off offset:608
	s_wait_loadcnt_dscnt 0xa01
	v_mul_f64_e32 v[185:186], v[2:3], v[20:21]
	v_mul_f64_e32 v[20:21], v[4:5], v[20:21]
	s_wait_loadcnt_dscnt 0x900
	v_mul_f64_e32 v[179:180], v[42:43], v[24:25]
	v_mul_f64_e32 v[24:25], v[44:45], v[24:25]
	v_add_f64_e32 v[175:176], v[175:176], v[183:184]
	v_add_f64_e32 v[177:178], v[177:178], v[181:182]
	v_fma_f64 v[181:182], v[4:5], v[18:19], v[185:186]
	v_fma_f64 v[183:184], v[2:3], v[18:19], -v[20:21]
	ds_load_b128 v[2:5], v1 offset:1408
	scratch_load_b128 v[18:21], off, off offset:624
	v_fma_f64 v[44:45], v[44:45], v[22:23], v[179:180]
	v_fma_f64 v[42:43], v[42:43], v[22:23], -v[24:25]
	scratch_load_b128 v[22:25], off, off offset:640
	v_add_f64_e32 v[175:176], v[175:176], v[171:172]
	v_add_f64_e32 v[177:178], v[177:178], v[173:174]
	ds_load_b128 v[171:174], v1 offset:1424
	s_wait_loadcnt_dscnt 0xa01
	v_mul_f64_e32 v[185:186], v[2:3], v[28:29]
	v_mul_f64_e32 v[28:29], v[4:5], v[28:29]
	s_wait_loadcnt_dscnt 0x900
	v_mul_f64_e32 v[179:180], v[171:172], v[32:33]
	v_mul_f64_e32 v[32:33], v[173:174], v[32:33]
	v_add_f64_e32 v[175:176], v[175:176], v[183:184]
	v_add_f64_e32 v[177:178], v[177:178], v[181:182]
	v_fma_f64 v[181:182], v[4:5], v[26:27], v[185:186]
	v_fma_f64 v[183:184], v[2:3], v[26:27], -v[28:29]
	ds_load_b128 v[2:5], v1 offset:1440
	scratch_load_b128 v[26:29], off, off offset:656
	v_fma_f64 v[173:174], v[173:174], v[30:31], v[179:180]
	v_fma_f64 v[171:172], v[171:172], v[30:31], -v[32:33]
	scratch_load_b128 v[30:33], off, off offset:672
	v_add_f64_e32 v[175:176], v[175:176], v[42:43]
	v_add_f64_e32 v[177:178], v[177:178], v[44:45]
	ds_load_b128 v[42:45], v1 offset:1456
	s_wait_loadcnt_dscnt 0xa01
	v_mul_f64_e32 v[185:186], v[2:3], v[36:37]
	v_mul_f64_e32 v[36:37], v[4:5], v[36:37]
	s_wait_loadcnt_dscnt 0x800
	v_mul_f64_e32 v[179:180], v[42:43], v[169:170]
	v_add_f64_e32 v[175:176], v[175:176], v[183:184]
	v_add_f64_e32 v[177:178], v[177:178], v[181:182]
	v_mul_f64_e32 v[181:182], v[44:45], v[169:170]
	v_fma_f64 v[183:184], v[4:5], v[34:35], v[185:186]
	v_fma_f64 v[185:186], v[2:3], v[34:35], -v[36:37]
	ds_load_b128 v[2:5], v1 offset:1472
	scratch_load_b128 v[34:37], off, off offset:688
	v_fma_f64 v[44:45], v[44:45], v[167:168], v[179:180]
	v_add_f64_e32 v[175:176], v[175:176], v[171:172]
	v_add_f64_e32 v[173:174], v[177:178], v[173:174]
	ds_load_b128 v[169:172], v1 offset:1488
	v_fma_f64 v[167:168], v[42:43], v[167:168], -v[181:182]
	s_wait_loadcnt_dscnt 0x801
	v_mul_f64_e32 v[177:178], v[2:3], v[40:41]
	v_mul_f64_e32 v[187:188], v[4:5], v[40:41]
	scratch_load_b128 v[40:43], off, off offset:704
	s_wait_loadcnt_dscnt 0x800
	v_mul_f64_e32 v[181:182], v[169:170], v[8:9]
	v_mul_f64_e32 v[8:9], v[171:172], v[8:9]
	v_add_f64_e32 v[175:176], v[175:176], v[185:186]
	v_add_f64_e32 v[173:174], v[173:174], v[183:184]
	v_fma_f64 v[183:184], v[4:5], v[38:39], v[177:178]
	v_fma_f64 v[38:39], v[2:3], v[38:39], -v[187:188]
	ds_load_b128 v[2:5], v1 offset:1504
	ds_load_b128 v[177:180], v1 offset:1520
	v_fma_f64 v[171:172], v[171:172], v[6:7], v[181:182]
	v_fma_f64 v[169:170], v[169:170], v[6:7], -v[8:9]
	scratch_load_b128 v[6:9], off, off offset:736
	v_add_f64_e32 v[167:168], v[175:176], v[167:168]
	v_add_f64_e32 v[44:45], v[173:174], v[44:45]
	scratch_load_b128 v[173:176], off, off offset:720
	s_wait_loadcnt_dscnt 0x901
	v_mul_f64_e32 v[185:186], v[2:3], v[12:13]
	v_mul_f64_e32 v[12:13], v[4:5], v[12:13]
	s_wait_loadcnt_dscnt 0x800
	v_mul_f64_e32 v[181:182], v[177:178], v[16:17]
	v_mul_f64_e32 v[16:17], v[179:180], v[16:17]
	v_add_f64_e32 v[38:39], v[167:168], v[38:39]
	v_add_f64_e32 v[44:45], v[44:45], v[183:184]
	v_fma_f64 v[183:184], v[4:5], v[10:11], v[185:186]
	v_fma_f64 v[185:186], v[2:3], v[10:11], -v[12:13]
	ds_load_b128 v[2:5], v1 offset:1536
	scratch_load_b128 v[10:13], off, off offset:752
	v_fma_f64 v[179:180], v[179:180], v[14:15], v[181:182]
	v_fma_f64 v[177:178], v[177:178], v[14:15], -v[16:17]
	scratch_load_b128 v[14:17], off, off offset:768
	v_add_f64_e32 v[38:39], v[38:39], v[169:170]
	v_add_f64_e32 v[44:45], v[44:45], v[171:172]
	ds_load_b128 v[167:170], v1 offset:1552
	s_wait_loadcnt_dscnt 0x901
	v_mul_f64_e32 v[171:172], v[2:3], v[20:21]
	v_mul_f64_e32 v[20:21], v[4:5], v[20:21]
	s_wait_loadcnt_dscnt 0x800
	v_mul_f64_e32 v[181:182], v[167:168], v[24:25]
	v_mul_f64_e32 v[24:25], v[169:170], v[24:25]
	v_add_f64_e32 v[38:39], v[38:39], v[185:186]
	v_add_f64_e32 v[44:45], v[44:45], v[183:184]
	v_fma_f64 v[171:172], v[4:5], v[18:19], v[171:172]
	v_fma_f64 v[183:184], v[2:3], v[18:19], -v[20:21]
	ds_load_b128 v[2:5], v1 offset:1568
	scratch_load_b128 v[18:21], off, off offset:784
	v_fma_f64 v[169:170], v[169:170], v[22:23], v[181:182]
	v_fma_f64 v[167:168], v[167:168], v[22:23], -v[24:25]
	scratch_load_b128 v[22:25], off, off offset:800
	v_add_f64_e32 v[38:39], v[38:39], v[177:178]
	v_add_f64_e32 v[44:45], v[44:45], v[179:180]
	ds_load_b128 v[177:180], v1 offset:1584
	s_wait_loadcnt_dscnt 0x901
	v_mul_f64_e32 v[185:186], v[2:3], v[28:29]
	v_mul_f64_e32 v[28:29], v[4:5], v[28:29]
	v_add_f64_e32 v[38:39], v[38:39], v[183:184]
	v_add_f64_e32 v[44:45], v[44:45], v[171:172]
	s_wait_loadcnt_dscnt 0x800
	v_mul_f64_e32 v[171:172], v[177:178], v[32:33]
	v_mul_f64_e32 v[32:33], v[179:180], v[32:33]
	v_fma_f64 v[181:182], v[4:5], v[26:27], v[185:186]
	v_fma_f64 v[183:184], v[2:3], v[26:27], -v[28:29]
	ds_load_b128 v[2:5], v1 offset:1600
	scratch_load_b128 v[26:29], off, off offset:816
	v_add_f64_e32 v[38:39], v[38:39], v[167:168]
	v_add_f64_e32 v[44:45], v[44:45], v[169:170]
	ds_load_b128 v[167:170], v1 offset:1616
	s_wait_loadcnt_dscnt 0x801
	v_mul_f64_e32 v[185:186], v[2:3], v[36:37]
	v_mul_f64_e32 v[36:37], v[4:5], v[36:37]
	v_fma_f64 v[171:172], v[179:180], v[30:31], v[171:172]
	v_fma_f64 v[177:178], v[177:178], v[30:31], -v[32:33]
	scratch_load_b128 v[30:33], off, off offset:832
	s_wait_loadcnt_dscnt 0x800
	v_mul_f64_e32 v[179:180], v[167:168], v[42:43]
	v_add_f64_e32 v[38:39], v[38:39], v[183:184]
	v_add_f64_e32 v[44:45], v[44:45], v[181:182]
	v_mul_f64_e32 v[181:182], v[169:170], v[42:43]
	v_fma_f64 v[183:184], v[4:5], v[34:35], v[185:186]
	v_fma_f64 v[185:186], v[2:3], v[34:35], -v[36:37]
	ds_load_b128 v[2:5], v1 offset:1632
	scratch_load_b128 v[34:37], off, off offset:848
	v_fma_f64 v[169:170], v[169:170], v[40:41], v[179:180]
	v_add_f64_e32 v[38:39], v[38:39], v[177:178]
	v_add_f64_e32 v[171:172], v[44:45], v[171:172]
	ds_load_b128 v[42:45], v1 offset:1648
	v_fma_f64 v[167:168], v[167:168], v[40:41], -v[181:182]
	s_wait_loadcnt_dscnt 0x701
	v_mul_f64_e32 v[177:178], v[2:3], v[175:176]
	v_mul_f64_e32 v[175:176], v[4:5], v[175:176]
	s_wait_dscnt 0x0
	v_mul_f64_e32 v[181:182], v[42:43], v[8:9]
	v_mul_f64_e32 v[8:9], v[44:45], v[8:9]
	v_add_f64_e32 v[179:180], v[38:39], v[185:186]
	v_add_f64_e32 v[171:172], v[171:172], v[183:184]
	scratch_load_b128 v[38:41], off, off offset:864
	v_fma_f64 v[177:178], v[4:5], v[173:174], v[177:178]
	v_fma_f64 v[175:176], v[2:3], v[173:174], -v[175:176]
	ds_load_b128 v[2:5], v1 offset:1664
	v_fma_f64 v[44:45], v[44:45], v[6:7], v[181:182]
	v_fma_f64 v[42:43], v[42:43], v[6:7], -v[8:9]
	scratch_load_b128 v[6:9], off, off offset:896
	v_add_f64_e32 v[179:180], v[179:180], v[167:168]
	v_add_f64_e32 v[183:184], v[171:172], v[169:170]
	scratch_load_b128 v[167:170], off, off offset:880
	ds_load_b128 v[171:174], v1 offset:1680
	s_wait_loadcnt_dscnt 0x901
	v_mul_f64_e32 v[185:186], v[2:3], v[12:13]
	v_mul_f64_e32 v[12:13], v[4:5], v[12:13]
	v_add_f64_e32 v[175:176], v[179:180], v[175:176]
	v_add_f64_e32 v[177:178], v[183:184], v[177:178]
	s_wait_loadcnt_dscnt 0x800
	v_mul_f64_e32 v[179:180], v[171:172], v[16:17]
	v_mul_f64_e32 v[16:17], v[173:174], v[16:17]
	v_fma_f64 v[181:182], v[4:5], v[10:11], v[185:186]
	v_fma_f64 v[183:184], v[2:3], v[10:11], -v[12:13]
	ds_load_b128 v[2:5], v1 offset:1696
	scratch_load_b128 v[10:13], off, off offset:912
	v_add_f64_e32 v[175:176], v[175:176], v[42:43]
	v_add_f64_e32 v[177:178], v[177:178], v[44:45]
	ds_load_b128 v[42:45], v1 offset:1712
	s_wait_loadcnt_dscnt 0x801
	v_mul_f64_e32 v[185:186], v[2:3], v[20:21]
	v_mul_f64_e32 v[20:21], v[4:5], v[20:21]
	v_fma_f64 v[173:174], v[173:174], v[14:15], v[179:180]
	v_fma_f64 v[171:172], v[171:172], v[14:15], -v[16:17]
	scratch_load_b128 v[14:17], off, off offset:928
	s_wait_loadcnt_dscnt 0x800
	v_mul_f64_e32 v[179:180], v[42:43], v[24:25]
	v_mul_f64_e32 v[24:25], v[44:45], v[24:25]
	v_add_f64_e32 v[175:176], v[175:176], v[183:184]
	v_add_f64_e32 v[177:178], v[177:178], v[181:182]
	v_fma_f64 v[181:182], v[4:5], v[18:19], v[185:186]
	v_fma_f64 v[183:184], v[2:3], v[18:19], -v[20:21]
	ds_load_b128 v[2:5], v1 offset:1728
	ds_load_b128 v[18:21], v1 offset:1744
	v_fma_f64 v[44:45], v[44:45], v[22:23], v[179:180]
	v_fma_f64 v[22:23], v[42:43], v[22:23], -v[24:25]
	v_add_f64_e32 v[171:172], v[175:176], v[171:172]
	v_add_f64_e32 v[173:174], v[177:178], v[173:174]
	s_wait_loadcnt_dscnt 0x701
	v_mul_f64_e32 v[175:176], v[2:3], v[28:29]
	v_mul_f64_e32 v[28:29], v[4:5], v[28:29]
	s_delay_alu instid0(VALU_DEP_4) | instskip(NEXT) | instid1(VALU_DEP_4)
	v_add_f64_e32 v[24:25], v[171:172], v[183:184]
	v_add_f64_e32 v[42:43], v[173:174], v[181:182]
	s_wait_loadcnt_dscnt 0x600
	v_mul_f64_e32 v[171:172], v[18:19], v[32:33]
	v_mul_f64_e32 v[32:33], v[20:21], v[32:33]
	v_fma_f64 v[173:174], v[4:5], v[26:27], v[175:176]
	v_fma_f64 v[26:27], v[2:3], v[26:27], -v[28:29]
	v_add_f64_e32 v[28:29], v[24:25], v[22:23]
	v_add_f64_e32 v[42:43], v[42:43], v[44:45]
	ds_load_b128 v[2:5], v1 offset:1760
	ds_load_b128 v[22:25], v1 offset:1776
	v_fma_f64 v[20:21], v[20:21], v[30:31], v[171:172]
	v_fma_f64 v[18:19], v[18:19], v[30:31], -v[32:33]
	s_wait_loadcnt_dscnt 0x501
	v_mul_f64_e32 v[44:45], v[2:3], v[36:37]
	v_mul_f64_e32 v[36:37], v[4:5], v[36:37]
	v_add_f64_e32 v[26:27], v[28:29], v[26:27]
	v_add_f64_e32 v[28:29], v[42:43], v[173:174]
	s_wait_loadcnt_dscnt 0x400
	v_mul_f64_e32 v[30:31], v[22:23], v[40:41]
	v_mul_f64_e32 v[32:33], v[24:25], v[40:41]
	v_fma_f64 v[40:41], v[4:5], v[34:35], v[44:45]
	v_fma_f64 v[34:35], v[2:3], v[34:35], -v[36:37]
	v_add_f64_e32 v[26:27], v[26:27], v[18:19]
	v_add_f64_e32 v[28:29], v[28:29], v[20:21]
	ds_load_b128 v[2:5], v1 offset:1792
	ds_load_b128 v[18:21], v1 offset:1808
	v_fma_f64 v[24:25], v[24:25], v[38:39], v[30:31]
	v_fma_f64 v[22:23], v[22:23], v[38:39], -v[32:33]
	s_wait_loadcnt_dscnt 0x201
	v_mul_f64_e32 v[36:37], v[2:3], v[169:170]
	v_mul_f64_e32 v[42:43], v[4:5], v[169:170]
	s_wait_dscnt 0x0
	v_mul_f64_e32 v[30:31], v[18:19], v[8:9]
	v_mul_f64_e32 v[8:9], v[20:21], v[8:9]
	v_add_f64_e32 v[26:27], v[26:27], v[34:35]
	v_add_f64_e32 v[28:29], v[28:29], v[40:41]
	v_fma_f64 v[32:33], v[4:5], v[167:168], v[36:37]
	v_fma_f64 v[34:35], v[2:3], v[167:168], -v[42:43]
	v_fma_f64 v[20:21], v[20:21], v[6:7], v[30:31]
	v_fma_f64 v[6:7], v[18:19], v[6:7], -v[8:9]
	v_add_f64_e32 v[26:27], v[26:27], v[22:23]
	v_add_f64_e32 v[28:29], v[28:29], v[24:25]
	ds_load_b128 v[2:5], v1 offset:1824
	ds_load_b128 v[22:25], v1 offset:1840
	s_wait_loadcnt_dscnt 0x101
	v_mul_f64_e32 v[36:37], v[2:3], v[12:13]
	v_mul_f64_e32 v[12:13], v[4:5], v[12:13]
	v_add_f64_e32 v[8:9], v[26:27], v[34:35]
	v_add_f64_e32 v[18:19], v[28:29], v[32:33]
	s_wait_loadcnt_dscnt 0x0
	v_mul_f64_e32 v[26:27], v[22:23], v[16:17]
	v_mul_f64_e32 v[16:17], v[24:25], v[16:17]
	v_fma_f64 v[4:5], v[4:5], v[10:11], v[36:37]
	v_fma_f64 v[1:2], v[2:3], v[10:11], -v[12:13]
	v_add_f64_e32 v[6:7], v[8:9], v[6:7]
	v_add_f64_e32 v[8:9], v[18:19], v[20:21]
	v_fma_f64 v[10:11], v[24:25], v[14:15], v[26:27]
	v_fma_f64 v[12:13], v[22:23], v[14:15], -v[16:17]
	s_delay_alu instid0(VALU_DEP_4) | instskip(NEXT) | instid1(VALU_DEP_4)
	v_add_f64_e32 v[1:2], v[6:7], v[1:2]
	v_add_f64_e32 v[3:4], v[8:9], v[4:5]
	s_delay_alu instid0(VALU_DEP_2) | instskip(NEXT) | instid1(VALU_DEP_2)
	v_add_f64_e32 v[1:2], v[1:2], v[12:13]
	v_add_f64_e32 v[3:4], v[3:4], v[10:11]
	s_delay_alu instid0(VALU_DEP_2) | instskip(NEXT) | instid1(VALU_DEP_2)
	v_add_f64_e64 v[1:2], v[163:164], -v[1:2]
	v_add_f64_e64 v[3:4], v[165:166], -v[3:4]
	scratch_store_b128 off, v[1:4], off offset:384
	v_cmpx_lt_u32_e32 22, v0
	s_cbranch_execz .LBB121_317
; %bb.316:
	scratch_load_b128 v[1:4], off, s49
	v_mov_b32_e32 v5, 0
	s_delay_alu instid0(VALU_DEP_1)
	v_dual_mov_b32 v6, v5 :: v_dual_mov_b32 v7, v5
	v_mov_b32_e32 v8, v5
	scratch_store_b128 off, v[5:8], off offset:368
	s_wait_loadcnt 0x0
	ds_store_b128 v162, v[1:4]
.LBB121_317:
	s_wait_alu 0xfffe
	s_or_b32 exec_lo, exec_lo, s0
	s_wait_storecnt_dscnt 0x0
	s_barrier_signal -1
	s_barrier_wait -1
	global_inv scope:SCOPE_SE
	s_clause 0x7
	scratch_load_b128 v[2:5], off, off offset:384
	scratch_load_b128 v[6:9], off, off offset:400
	;; [unrolled: 1-line block ×8, first 2 shown]
	v_mov_b32_e32 v1, 0
	s_mov_b32 s0, exec_lo
	ds_load_b128 v[38:41], v1 offset:1296
	s_clause 0x1
	scratch_load_b128 v[34:37], off, off offset:512
	scratch_load_b128 v[42:45], off, off offset:368
	ds_load_b128 v[163:166], v1 offset:1312
	scratch_load_b128 v[167:170], off, off offset:528
	s_wait_loadcnt_dscnt 0xa01
	v_mul_f64_e32 v[171:172], v[40:41], v[4:5]
	v_mul_f64_e32 v[4:5], v[38:39], v[4:5]
	s_delay_alu instid0(VALU_DEP_2) | instskip(NEXT) | instid1(VALU_DEP_2)
	v_fma_f64 v[177:178], v[38:39], v[2:3], -v[171:172]
	v_fma_f64 v[179:180], v[40:41], v[2:3], v[4:5]
	ds_load_b128 v[2:5], v1 offset:1328
	s_wait_loadcnt_dscnt 0x901
	v_mul_f64_e32 v[175:176], v[163:164], v[8:9]
	v_mul_f64_e32 v[8:9], v[165:166], v[8:9]
	scratch_load_b128 v[38:41], off, off offset:544
	ds_load_b128 v[171:174], v1 offset:1344
	s_wait_loadcnt_dscnt 0x901
	v_mul_f64_e32 v[181:182], v[2:3], v[12:13]
	v_mul_f64_e32 v[12:13], v[4:5], v[12:13]
	v_fma_f64 v[165:166], v[165:166], v[6:7], v[175:176]
	v_fma_f64 v[163:164], v[163:164], v[6:7], -v[8:9]
	v_add_f64_e32 v[175:176], 0, v[177:178]
	v_add_f64_e32 v[177:178], 0, v[179:180]
	scratch_load_b128 v[6:9], off, off offset:560
	v_fma_f64 v[181:182], v[4:5], v[10:11], v[181:182]
	v_fma_f64 v[183:184], v[2:3], v[10:11], -v[12:13]
	ds_load_b128 v[2:5], v1 offset:1360
	s_wait_loadcnt_dscnt 0x901
	v_mul_f64_e32 v[179:180], v[171:172], v[16:17]
	v_mul_f64_e32 v[16:17], v[173:174], v[16:17]
	scratch_load_b128 v[10:13], off, off offset:576
	v_add_f64_e32 v[175:176], v[175:176], v[163:164]
	v_add_f64_e32 v[177:178], v[177:178], v[165:166]
	s_wait_loadcnt_dscnt 0x900
	v_mul_f64_e32 v[185:186], v[2:3], v[20:21]
	v_mul_f64_e32 v[20:21], v[4:5], v[20:21]
	ds_load_b128 v[163:166], v1 offset:1376
	v_fma_f64 v[173:174], v[173:174], v[14:15], v[179:180]
	v_fma_f64 v[171:172], v[171:172], v[14:15], -v[16:17]
	scratch_load_b128 v[14:17], off, off offset:592
	v_add_f64_e32 v[175:176], v[175:176], v[183:184]
	v_add_f64_e32 v[177:178], v[177:178], v[181:182]
	v_fma_f64 v[181:182], v[4:5], v[18:19], v[185:186]
	v_fma_f64 v[183:184], v[2:3], v[18:19], -v[20:21]
	ds_load_b128 v[2:5], v1 offset:1392
	s_wait_loadcnt_dscnt 0x901
	v_mul_f64_e32 v[179:180], v[163:164], v[24:25]
	v_mul_f64_e32 v[24:25], v[165:166], v[24:25]
	scratch_load_b128 v[18:21], off, off offset:608
	s_wait_loadcnt_dscnt 0x900
	v_mul_f64_e32 v[185:186], v[2:3], v[28:29]
	v_mul_f64_e32 v[28:29], v[4:5], v[28:29]
	v_add_f64_e32 v[175:176], v[175:176], v[171:172]
	v_add_f64_e32 v[177:178], v[177:178], v[173:174]
	ds_load_b128 v[171:174], v1 offset:1408
	v_fma_f64 v[165:166], v[165:166], v[22:23], v[179:180]
	v_fma_f64 v[163:164], v[163:164], v[22:23], -v[24:25]
	scratch_load_b128 v[22:25], off, off offset:624
	v_add_f64_e32 v[175:176], v[175:176], v[183:184]
	v_add_f64_e32 v[177:178], v[177:178], v[181:182]
	v_fma_f64 v[181:182], v[4:5], v[26:27], v[185:186]
	v_fma_f64 v[183:184], v[2:3], v[26:27], -v[28:29]
	ds_load_b128 v[2:5], v1 offset:1424
	s_wait_loadcnt_dscnt 0x901
	v_mul_f64_e32 v[179:180], v[171:172], v[32:33]
	v_mul_f64_e32 v[32:33], v[173:174], v[32:33]
	scratch_load_b128 v[26:29], off, off offset:640
	s_wait_loadcnt_dscnt 0x900
	v_mul_f64_e32 v[185:186], v[2:3], v[36:37]
	v_mul_f64_e32 v[36:37], v[4:5], v[36:37]
	v_add_f64_e32 v[175:176], v[175:176], v[163:164]
	v_add_f64_e32 v[177:178], v[177:178], v[165:166]
	ds_load_b128 v[163:166], v1 offset:1440
	v_fma_f64 v[173:174], v[173:174], v[30:31], v[179:180]
	v_fma_f64 v[171:172], v[171:172], v[30:31], -v[32:33]
	scratch_load_b128 v[30:33], off, off offset:656
	v_add_f64_e32 v[175:176], v[175:176], v[183:184]
	v_add_f64_e32 v[177:178], v[177:178], v[181:182]
	v_fma_f64 v[183:184], v[4:5], v[34:35], v[185:186]
	v_fma_f64 v[185:186], v[2:3], v[34:35], -v[36:37]
	ds_load_b128 v[2:5], v1 offset:1456
	s_wait_loadcnt_dscnt 0x801
	v_mul_f64_e32 v[179:180], v[163:164], v[169:170]
	v_mul_f64_e32 v[181:182], v[165:166], v[169:170]
	scratch_load_b128 v[34:37], off, off offset:672
	v_add_f64_e32 v[175:176], v[175:176], v[171:172]
	v_add_f64_e32 v[173:174], v[177:178], v[173:174]
	ds_load_b128 v[169:172], v1 offset:1472
	v_fma_f64 v[179:180], v[165:166], v[167:168], v[179:180]
	v_fma_f64 v[167:168], v[163:164], v[167:168], -v[181:182]
	scratch_load_b128 v[163:166], off, off offset:688
	s_wait_loadcnt_dscnt 0x901
	v_mul_f64_e32 v[177:178], v[2:3], v[40:41]
	v_mul_f64_e32 v[40:41], v[4:5], v[40:41]
	v_add_f64_e32 v[175:176], v[175:176], v[185:186]
	v_add_f64_e32 v[173:174], v[173:174], v[183:184]
	s_delay_alu instid0(VALU_DEP_4) | instskip(NEXT) | instid1(VALU_DEP_4)
	v_fma_f64 v[177:178], v[4:5], v[38:39], v[177:178]
	v_fma_f64 v[183:184], v[2:3], v[38:39], -v[40:41]
	ds_load_b128 v[2:5], v1 offset:1488
	s_wait_loadcnt_dscnt 0x801
	v_mul_f64_e32 v[181:182], v[169:170], v[8:9]
	v_mul_f64_e32 v[8:9], v[171:172], v[8:9]
	scratch_load_b128 v[38:41], off, off offset:704
	s_wait_loadcnt_dscnt 0x800
	v_mul_f64_e32 v[185:186], v[2:3], v[12:13]
	v_add_f64_e32 v[167:168], v[175:176], v[167:168]
	v_add_f64_e32 v[179:180], v[173:174], v[179:180]
	v_mul_f64_e32 v[12:13], v[4:5], v[12:13]
	ds_load_b128 v[173:176], v1 offset:1504
	v_fma_f64 v[171:172], v[171:172], v[6:7], v[181:182]
	v_fma_f64 v[169:170], v[169:170], v[6:7], -v[8:9]
	scratch_load_b128 v[6:9], off, off offset:720
	v_fma_f64 v[181:182], v[4:5], v[10:11], v[185:186]
	v_add_f64_e32 v[167:168], v[167:168], v[183:184]
	v_add_f64_e32 v[177:178], v[179:180], v[177:178]
	v_fma_f64 v[183:184], v[2:3], v[10:11], -v[12:13]
	ds_load_b128 v[2:5], v1 offset:1520
	s_wait_loadcnt_dscnt 0x801
	v_mul_f64_e32 v[179:180], v[173:174], v[16:17]
	v_mul_f64_e32 v[16:17], v[175:176], v[16:17]
	scratch_load_b128 v[10:13], off, off offset:736
	v_add_f64_e32 v[185:186], v[167:168], v[169:170]
	v_add_f64_e32 v[171:172], v[177:178], v[171:172]
	s_wait_loadcnt_dscnt 0x800
	v_mul_f64_e32 v[177:178], v[2:3], v[20:21]
	v_mul_f64_e32 v[20:21], v[4:5], v[20:21]
	v_fma_f64 v[175:176], v[175:176], v[14:15], v[179:180]
	v_fma_f64 v[173:174], v[173:174], v[14:15], -v[16:17]
	ds_load_b128 v[167:170], v1 offset:1536
	scratch_load_b128 v[14:17], off, off offset:752
	v_add_f64_e32 v[179:180], v[185:186], v[183:184]
	v_add_f64_e32 v[171:172], v[171:172], v[181:182]
	v_fma_f64 v[177:178], v[4:5], v[18:19], v[177:178]
	v_fma_f64 v[183:184], v[2:3], v[18:19], -v[20:21]
	ds_load_b128 v[2:5], v1 offset:1552
	s_wait_loadcnt_dscnt 0x801
	v_mul_f64_e32 v[181:182], v[167:168], v[24:25]
	v_mul_f64_e32 v[24:25], v[169:170], v[24:25]
	scratch_load_b128 v[18:21], off, off offset:768
	s_wait_loadcnt_dscnt 0x800
	v_mul_f64_e32 v[185:186], v[2:3], v[28:29]
	v_mul_f64_e32 v[28:29], v[4:5], v[28:29]
	v_add_f64_e32 v[179:180], v[179:180], v[173:174]
	v_add_f64_e32 v[175:176], v[171:172], v[175:176]
	ds_load_b128 v[171:174], v1 offset:1568
	v_fma_f64 v[169:170], v[169:170], v[22:23], v[181:182]
	v_fma_f64 v[167:168], v[167:168], v[22:23], -v[24:25]
	scratch_load_b128 v[22:25], off, off offset:784
	v_fma_f64 v[181:182], v[4:5], v[26:27], v[185:186]
	v_add_f64_e32 v[179:180], v[179:180], v[183:184]
	v_add_f64_e32 v[175:176], v[175:176], v[177:178]
	v_fma_f64 v[183:184], v[2:3], v[26:27], -v[28:29]
	ds_load_b128 v[2:5], v1 offset:1584
	s_wait_loadcnt_dscnt 0x801
	v_mul_f64_e32 v[177:178], v[171:172], v[32:33]
	v_mul_f64_e32 v[32:33], v[173:174], v[32:33]
	scratch_load_b128 v[26:29], off, off offset:800
	s_wait_loadcnt_dscnt 0x800
	v_mul_f64_e32 v[185:186], v[2:3], v[36:37]
	v_mul_f64_e32 v[36:37], v[4:5], v[36:37]
	v_add_f64_e32 v[179:180], v[179:180], v[167:168]
	v_add_f64_e32 v[175:176], v[175:176], v[169:170]
	ds_load_b128 v[167:170], v1 offset:1600
	v_fma_f64 v[173:174], v[173:174], v[30:31], v[177:178]
	v_fma_f64 v[171:172], v[171:172], v[30:31], -v[32:33]
	scratch_load_b128 v[30:33], off, off offset:816
	v_add_f64_e32 v[177:178], v[179:180], v[183:184]
	v_add_f64_e32 v[175:176], v[175:176], v[181:182]
	v_fma_f64 v[181:182], v[4:5], v[34:35], v[185:186]
	v_fma_f64 v[183:184], v[2:3], v[34:35], -v[36:37]
	ds_load_b128 v[2:5], v1 offset:1616
	s_wait_loadcnt_dscnt 0x801
	v_mul_f64_e32 v[179:180], v[167:168], v[165:166]
	v_mul_f64_e32 v[165:166], v[169:170], v[165:166]
	scratch_load_b128 v[34:37], off, off offset:832
	s_wait_loadcnt_dscnt 0x800
	v_mul_f64_e32 v[185:186], v[2:3], v[40:41]
	v_mul_f64_e32 v[40:41], v[4:5], v[40:41]
	v_add_f64_e32 v[177:178], v[177:178], v[171:172]
	v_add_f64_e32 v[175:176], v[175:176], v[173:174]
	ds_load_b128 v[171:174], v1 offset:1632
	v_fma_f64 v[169:170], v[169:170], v[163:164], v[179:180]
	v_fma_f64 v[167:168], v[167:168], v[163:164], -v[165:166]
	scratch_load_b128 v[163:166], off, off offset:848
	v_add_f64_e32 v[177:178], v[177:178], v[183:184]
	v_add_f64_e32 v[175:176], v[175:176], v[181:182]
	v_fma_f64 v[181:182], v[4:5], v[38:39], v[185:186]
	;; [unrolled: 18-line block ×4, first 2 shown]
	v_fma_f64 v[183:184], v[2:3], v[18:19], -v[20:21]
	ds_load_b128 v[2:5], v1 offset:1712
	s_wait_loadcnt_dscnt 0x801
	v_mul_f64_e32 v[179:180], v[171:172], v[24:25]
	v_mul_f64_e32 v[24:25], v[173:174], v[24:25]
	scratch_load_b128 v[18:21], off, off offset:928
	s_wait_loadcnt_dscnt 0x800
	v_mul_f64_e32 v[185:186], v[2:3], v[28:29]
	v_mul_f64_e32 v[28:29], v[4:5], v[28:29]
	v_add_f64_e32 v[177:178], v[177:178], v[167:168]
	v_add_f64_e32 v[175:176], v[175:176], v[169:170]
	ds_load_b128 v[167:170], v1 offset:1728
	v_fma_f64 v[173:174], v[173:174], v[22:23], v[179:180]
	v_fma_f64 v[22:23], v[171:172], v[22:23], -v[24:25]
	v_add_f64_e32 v[24:25], v[177:178], v[183:184]
	v_add_f64_e32 v[171:172], v[175:176], v[181:182]
	s_wait_loadcnt_dscnt 0x700
	v_mul_f64_e32 v[175:176], v[167:168], v[32:33]
	v_mul_f64_e32 v[32:33], v[169:170], v[32:33]
	v_fma_f64 v[177:178], v[4:5], v[26:27], v[185:186]
	v_fma_f64 v[26:27], v[2:3], v[26:27], -v[28:29]
	v_add_f64_e32 v[28:29], v[24:25], v[22:23]
	v_add_f64_e32 v[171:172], v[171:172], v[173:174]
	ds_load_b128 v[2:5], v1 offset:1744
	ds_load_b128 v[22:25], v1 offset:1760
	v_fma_f64 v[169:170], v[169:170], v[30:31], v[175:176]
	v_fma_f64 v[30:31], v[167:168], v[30:31], -v[32:33]
	s_wait_loadcnt_dscnt 0x601
	v_mul_f64_e32 v[173:174], v[2:3], v[36:37]
	v_mul_f64_e32 v[36:37], v[4:5], v[36:37]
	s_wait_loadcnt_dscnt 0x500
	v_mul_f64_e32 v[32:33], v[22:23], v[165:166]
	v_mul_f64_e32 v[165:166], v[24:25], v[165:166]
	v_add_f64_e32 v[26:27], v[28:29], v[26:27]
	v_add_f64_e32 v[28:29], v[171:172], v[177:178]
	v_fma_f64 v[167:168], v[4:5], v[34:35], v[173:174]
	v_fma_f64 v[34:35], v[2:3], v[34:35], -v[36:37]
	v_fma_f64 v[24:25], v[24:25], v[163:164], v[32:33]
	v_fma_f64 v[22:23], v[22:23], v[163:164], -v[165:166]
	v_add_f64_e32 v[30:31], v[26:27], v[30:31]
	v_add_f64_e32 v[36:37], v[28:29], v[169:170]
	ds_load_b128 v[2:5], v1 offset:1776
	ds_load_b128 v[26:29], v1 offset:1792
	s_wait_loadcnt_dscnt 0x401
	v_mul_f64_e32 v[169:170], v[2:3], v[40:41]
	v_mul_f64_e32 v[40:41], v[4:5], v[40:41]
	v_add_f64_e32 v[30:31], v[30:31], v[34:35]
	v_add_f64_e32 v[32:33], v[36:37], v[167:168]
	s_wait_loadcnt_dscnt 0x300
	v_mul_f64_e32 v[34:35], v[26:27], v[8:9]
	v_mul_f64_e32 v[8:9], v[28:29], v[8:9]
	v_fma_f64 v[36:37], v[4:5], v[38:39], v[169:170]
	v_fma_f64 v[38:39], v[2:3], v[38:39], -v[40:41]
	v_add_f64_e32 v[30:31], v[30:31], v[22:23]
	v_add_f64_e32 v[32:33], v[32:33], v[24:25]
	ds_load_b128 v[2:5], v1 offset:1808
	ds_load_b128 v[22:25], v1 offset:1824
	v_fma_f64 v[28:29], v[28:29], v[6:7], v[34:35]
	v_fma_f64 v[6:7], v[26:27], v[6:7], -v[8:9]
	s_wait_loadcnt_dscnt 0x201
	v_mul_f64_e32 v[40:41], v[2:3], v[12:13]
	v_mul_f64_e32 v[12:13], v[4:5], v[12:13]
	v_add_f64_e32 v[8:9], v[30:31], v[38:39]
	v_add_f64_e32 v[26:27], v[32:33], v[36:37]
	s_wait_loadcnt_dscnt 0x100
	v_mul_f64_e32 v[30:31], v[22:23], v[16:17]
	v_mul_f64_e32 v[16:17], v[24:25], v[16:17]
	v_fma_f64 v[32:33], v[4:5], v[10:11], v[40:41]
	v_fma_f64 v[10:11], v[2:3], v[10:11], -v[12:13]
	ds_load_b128 v[2:5], v1 offset:1840
	v_add_f64_e32 v[6:7], v[8:9], v[6:7]
	v_add_f64_e32 v[8:9], v[26:27], v[28:29]
	v_fma_f64 v[24:25], v[24:25], v[14:15], v[30:31]
	v_fma_f64 v[14:15], v[22:23], v[14:15], -v[16:17]
	s_wait_loadcnt_dscnt 0x0
	v_mul_f64_e32 v[12:13], v[2:3], v[20:21]
	v_mul_f64_e32 v[20:21], v[4:5], v[20:21]
	v_add_f64_e32 v[6:7], v[6:7], v[10:11]
	v_add_f64_e32 v[8:9], v[8:9], v[32:33]
	s_delay_alu instid0(VALU_DEP_4) | instskip(NEXT) | instid1(VALU_DEP_4)
	v_fma_f64 v[4:5], v[4:5], v[18:19], v[12:13]
	v_fma_f64 v[2:3], v[2:3], v[18:19], -v[20:21]
	s_delay_alu instid0(VALU_DEP_4) | instskip(NEXT) | instid1(VALU_DEP_4)
	v_add_f64_e32 v[6:7], v[6:7], v[14:15]
	v_add_f64_e32 v[8:9], v[8:9], v[24:25]
	s_delay_alu instid0(VALU_DEP_2) | instskip(NEXT) | instid1(VALU_DEP_2)
	v_add_f64_e32 v[2:3], v[6:7], v[2:3]
	v_add_f64_e32 v[4:5], v[8:9], v[4:5]
	s_delay_alu instid0(VALU_DEP_2) | instskip(NEXT) | instid1(VALU_DEP_2)
	v_add_f64_e64 v[2:3], v[42:43], -v[2:3]
	v_add_f64_e64 v[4:5], v[44:45], -v[4:5]
	scratch_store_b128 off, v[2:5], off offset:368
	v_cmpx_lt_u32_e32 21, v0
	s_cbranch_execz .LBB121_319
; %bb.318:
	scratch_load_b128 v[5:8], off, s50
	v_dual_mov_b32 v2, v1 :: v_dual_mov_b32 v3, v1
	v_mov_b32_e32 v4, v1
	scratch_store_b128 off, v[1:4], off offset:352
	s_wait_loadcnt 0x0
	ds_store_b128 v162, v[5:8]
.LBB121_319:
	s_wait_alu 0xfffe
	s_or_b32 exec_lo, exec_lo, s0
	s_wait_storecnt_dscnt 0x0
	s_barrier_signal -1
	s_barrier_wait -1
	global_inv scope:SCOPE_SE
	s_clause 0x8
	scratch_load_b128 v[2:5], off, off offset:368
	scratch_load_b128 v[6:9], off, off offset:384
	;; [unrolled: 1-line block ×9, first 2 shown]
	ds_load_b128 v[38:41], v1 offset:1280
	ds_load_b128 v[42:45], v1 offset:1296
	s_clause 0x1
	scratch_load_b128 v[163:166], off, off offset:352
	scratch_load_b128 v[167:170], off, off offset:512
	s_mov_b32 s0, exec_lo
	s_wait_loadcnt_dscnt 0xa01
	v_mul_f64_e32 v[171:172], v[40:41], v[4:5]
	v_mul_f64_e32 v[4:5], v[38:39], v[4:5]
	s_wait_loadcnt_dscnt 0x900
	v_mul_f64_e32 v[175:176], v[42:43], v[8:9]
	v_mul_f64_e32 v[8:9], v[44:45], v[8:9]
	s_delay_alu instid0(VALU_DEP_4) | instskip(NEXT) | instid1(VALU_DEP_4)
	v_fma_f64 v[177:178], v[38:39], v[2:3], -v[171:172]
	v_fma_f64 v[179:180], v[40:41], v[2:3], v[4:5]
	ds_load_b128 v[2:5], v1 offset:1312
	ds_load_b128 v[171:174], v1 offset:1328
	scratch_load_b128 v[38:41], off, off offset:528
	v_fma_f64 v[44:45], v[44:45], v[6:7], v[175:176]
	v_fma_f64 v[42:43], v[42:43], v[6:7], -v[8:9]
	scratch_load_b128 v[6:9], off, off offset:544
	s_wait_loadcnt_dscnt 0xa01
	v_mul_f64_e32 v[181:182], v[2:3], v[12:13]
	v_mul_f64_e32 v[12:13], v[4:5], v[12:13]
	v_add_f64_e32 v[175:176], 0, v[177:178]
	v_add_f64_e32 v[177:178], 0, v[179:180]
	s_wait_loadcnt_dscnt 0x900
	v_mul_f64_e32 v[179:180], v[171:172], v[16:17]
	v_mul_f64_e32 v[16:17], v[173:174], v[16:17]
	v_fma_f64 v[181:182], v[4:5], v[10:11], v[181:182]
	v_fma_f64 v[183:184], v[2:3], v[10:11], -v[12:13]
	ds_load_b128 v[2:5], v1 offset:1344
	scratch_load_b128 v[10:13], off, off offset:560
	v_add_f64_e32 v[175:176], v[175:176], v[42:43]
	v_add_f64_e32 v[177:178], v[177:178], v[44:45]
	ds_load_b128 v[42:45], v1 offset:1360
	v_fma_f64 v[173:174], v[173:174], v[14:15], v[179:180]
	v_fma_f64 v[171:172], v[171:172], v[14:15], -v[16:17]
	scratch_load_b128 v[14:17], off, off offset:576
	s_wait_loadcnt_dscnt 0xa01
	v_mul_f64_e32 v[185:186], v[2:3], v[20:21]
	v_mul_f64_e32 v[20:21], v[4:5], v[20:21]
	s_wait_loadcnt_dscnt 0x900
	v_mul_f64_e32 v[179:180], v[42:43], v[24:25]
	v_mul_f64_e32 v[24:25], v[44:45], v[24:25]
	v_add_f64_e32 v[175:176], v[175:176], v[183:184]
	v_add_f64_e32 v[177:178], v[177:178], v[181:182]
	v_fma_f64 v[181:182], v[4:5], v[18:19], v[185:186]
	v_fma_f64 v[183:184], v[2:3], v[18:19], -v[20:21]
	ds_load_b128 v[2:5], v1 offset:1376
	scratch_load_b128 v[18:21], off, off offset:592
	v_fma_f64 v[44:45], v[44:45], v[22:23], v[179:180]
	v_fma_f64 v[42:43], v[42:43], v[22:23], -v[24:25]
	scratch_load_b128 v[22:25], off, off offset:608
	v_add_f64_e32 v[175:176], v[175:176], v[171:172]
	v_add_f64_e32 v[177:178], v[177:178], v[173:174]
	ds_load_b128 v[171:174], v1 offset:1392
	s_wait_loadcnt_dscnt 0xa01
	v_mul_f64_e32 v[185:186], v[2:3], v[28:29]
	v_mul_f64_e32 v[28:29], v[4:5], v[28:29]
	s_wait_loadcnt_dscnt 0x900
	v_mul_f64_e32 v[179:180], v[171:172], v[32:33]
	v_mul_f64_e32 v[32:33], v[173:174], v[32:33]
	v_add_f64_e32 v[175:176], v[175:176], v[183:184]
	v_add_f64_e32 v[177:178], v[177:178], v[181:182]
	v_fma_f64 v[181:182], v[4:5], v[26:27], v[185:186]
	v_fma_f64 v[183:184], v[2:3], v[26:27], -v[28:29]
	ds_load_b128 v[2:5], v1 offset:1408
	scratch_load_b128 v[26:29], off, off offset:624
	v_fma_f64 v[173:174], v[173:174], v[30:31], v[179:180]
	v_fma_f64 v[171:172], v[171:172], v[30:31], -v[32:33]
	scratch_load_b128 v[30:33], off, off offset:640
	v_add_f64_e32 v[175:176], v[175:176], v[42:43]
	v_add_f64_e32 v[177:178], v[177:178], v[44:45]
	ds_load_b128 v[42:45], v1 offset:1424
	s_wait_loadcnt_dscnt 0xa01
	v_mul_f64_e32 v[185:186], v[2:3], v[36:37]
	v_mul_f64_e32 v[36:37], v[4:5], v[36:37]
	s_wait_loadcnt_dscnt 0x800
	v_mul_f64_e32 v[179:180], v[42:43], v[169:170]
	v_add_f64_e32 v[175:176], v[175:176], v[183:184]
	v_add_f64_e32 v[177:178], v[177:178], v[181:182]
	v_mul_f64_e32 v[181:182], v[44:45], v[169:170]
	v_fma_f64 v[183:184], v[4:5], v[34:35], v[185:186]
	v_fma_f64 v[185:186], v[2:3], v[34:35], -v[36:37]
	ds_load_b128 v[2:5], v1 offset:1440
	scratch_load_b128 v[34:37], off, off offset:656
	v_fma_f64 v[44:45], v[44:45], v[167:168], v[179:180]
	v_add_f64_e32 v[175:176], v[175:176], v[171:172]
	v_add_f64_e32 v[173:174], v[177:178], v[173:174]
	ds_load_b128 v[169:172], v1 offset:1456
	v_fma_f64 v[167:168], v[42:43], v[167:168], -v[181:182]
	s_wait_loadcnt_dscnt 0x801
	v_mul_f64_e32 v[177:178], v[2:3], v[40:41]
	v_mul_f64_e32 v[187:188], v[4:5], v[40:41]
	scratch_load_b128 v[40:43], off, off offset:672
	s_wait_loadcnt_dscnt 0x800
	v_mul_f64_e32 v[181:182], v[169:170], v[8:9]
	v_mul_f64_e32 v[8:9], v[171:172], v[8:9]
	v_add_f64_e32 v[175:176], v[175:176], v[185:186]
	v_add_f64_e32 v[173:174], v[173:174], v[183:184]
	v_fma_f64 v[183:184], v[4:5], v[38:39], v[177:178]
	v_fma_f64 v[38:39], v[2:3], v[38:39], -v[187:188]
	ds_load_b128 v[2:5], v1 offset:1472
	ds_load_b128 v[177:180], v1 offset:1488
	v_fma_f64 v[171:172], v[171:172], v[6:7], v[181:182]
	v_fma_f64 v[169:170], v[169:170], v[6:7], -v[8:9]
	scratch_load_b128 v[6:9], off, off offset:704
	v_add_f64_e32 v[167:168], v[175:176], v[167:168]
	v_add_f64_e32 v[44:45], v[173:174], v[44:45]
	scratch_load_b128 v[173:176], off, off offset:688
	s_wait_loadcnt_dscnt 0x901
	v_mul_f64_e32 v[185:186], v[2:3], v[12:13]
	v_mul_f64_e32 v[12:13], v[4:5], v[12:13]
	s_wait_loadcnt_dscnt 0x800
	v_mul_f64_e32 v[181:182], v[177:178], v[16:17]
	v_mul_f64_e32 v[16:17], v[179:180], v[16:17]
	v_add_f64_e32 v[38:39], v[167:168], v[38:39]
	v_add_f64_e32 v[44:45], v[44:45], v[183:184]
	v_fma_f64 v[183:184], v[4:5], v[10:11], v[185:186]
	v_fma_f64 v[185:186], v[2:3], v[10:11], -v[12:13]
	ds_load_b128 v[2:5], v1 offset:1504
	scratch_load_b128 v[10:13], off, off offset:720
	v_fma_f64 v[179:180], v[179:180], v[14:15], v[181:182]
	v_fma_f64 v[177:178], v[177:178], v[14:15], -v[16:17]
	scratch_load_b128 v[14:17], off, off offset:736
	v_add_f64_e32 v[38:39], v[38:39], v[169:170]
	v_add_f64_e32 v[44:45], v[44:45], v[171:172]
	ds_load_b128 v[167:170], v1 offset:1520
	s_wait_loadcnt_dscnt 0x901
	v_mul_f64_e32 v[171:172], v[2:3], v[20:21]
	v_mul_f64_e32 v[20:21], v[4:5], v[20:21]
	s_wait_loadcnt_dscnt 0x800
	v_mul_f64_e32 v[181:182], v[167:168], v[24:25]
	v_mul_f64_e32 v[24:25], v[169:170], v[24:25]
	v_add_f64_e32 v[38:39], v[38:39], v[185:186]
	v_add_f64_e32 v[44:45], v[44:45], v[183:184]
	v_fma_f64 v[171:172], v[4:5], v[18:19], v[171:172]
	v_fma_f64 v[183:184], v[2:3], v[18:19], -v[20:21]
	ds_load_b128 v[2:5], v1 offset:1536
	scratch_load_b128 v[18:21], off, off offset:752
	v_fma_f64 v[169:170], v[169:170], v[22:23], v[181:182]
	v_fma_f64 v[167:168], v[167:168], v[22:23], -v[24:25]
	scratch_load_b128 v[22:25], off, off offset:768
	v_add_f64_e32 v[38:39], v[38:39], v[177:178]
	v_add_f64_e32 v[44:45], v[44:45], v[179:180]
	ds_load_b128 v[177:180], v1 offset:1552
	s_wait_loadcnt_dscnt 0x901
	v_mul_f64_e32 v[185:186], v[2:3], v[28:29]
	v_mul_f64_e32 v[28:29], v[4:5], v[28:29]
	v_add_f64_e32 v[38:39], v[38:39], v[183:184]
	v_add_f64_e32 v[44:45], v[44:45], v[171:172]
	s_wait_loadcnt_dscnt 0x800
	v_mul_f64_e32 v[171:172], v[177:178], v[32:33]
	v_mul_f64_e32 v[32:33], v[179:180], v[32:33]
	v_fma_f64 v[181:182], v[4:5], v[26:27], v[185:186]
	v_fma_f64 v[183:184], v[2:3], v[26:27], -v[28:29]
	ds_load_b128 v[2:5], v1 offset:1568
	scratch_load_b128 v[26:29], off, off offset:784
	v_add_f64_e32 v[38:39], v[38:39], v[167:168]
	v_add_f64_e32 v[44:45], v[44:45], v[169:170]
	ds_load_b128 v[167:170], v1 offset:1584
	s_wait_loadcnt_dscnt 0x801
	v_mul_f64_e32 v[185:186], v[2:3], v[36:37]
	v_mul_f64_e32 v[36:37], v[4:5], v[36:37]
	v_fma_f64 v[171:172], v[179:180], v[30:31], v[171:172]
	v_fma_f64 v[177:178], v[177:178], v[30:31], -v[32:33]
	scratch_load_b128 v[30:33], off, off offset:800
	s_wait_loadcnt_dscnt 0x800
	v_mul_f64_e32 v[179:180], v[167:168], v[42:43]
	v_add_f64_e32 v[38:39], v[38:39], v[183:184]
	v_add_f64_e32 v[44:45], v[44:45], v[181:182]
	v_mul_f64_e32 v[181:182], v[169:170], v[42:43]
	v_fma_f64 v[183:184], v[4:5], v[34:35], v[185:186]
	v_fma_f64 v[185:186], v[2:3], v[34:35], -v[36:37]
	ds_load_b128 v[2:5], v1 offset:1600
	scratch_load_b128 v[34:37], off, off offset:816
	v_fma_f64 v[169:170], v[169:170], v[40:41], v[179:180]
	v_add_f64_e32 v[38:39], v[38:39], v[177:178]
	v_add_f64_e32 v[171:172], v[44:45], v[171:172]
	ds_load_b128 v[42:45], v1 offset:1616
	v_fma_f64 v[167:168], v[167:168], v[40:41], -v[181:182]
	s_wait_loadcnt_dscnt 0x701
	v_mul_f64_e32 v[177:178], v[2:3], v[175:176]
	v_mul_f64_e32 v[175:176], v[4:5], v[175:176]
	s_wait_dscnt 0x0
	v_mul_f64_e32 v[181:182], v[42:43], v[8:9]
	v_mul_f64_e32 v[8:9], v[44:45], v[8:9]
	v_add_f64_e32 v[179:180], v[38:39], v[185:186]
	v_add_f64_e32 v[171:172], v[171:172], v[183:184]
	scratch_load_b128 v[38:41], off, off offset:832
	v_fma_f64 v[177:178], v[4:5], v[173:174], v[177:178]
	v_fma_f64 v[175:176], v[2:3], v[173:174], -v[175:176]
	ds_load_b128 v[2:5], v1 offset:1632
	v_fma_f64 v[44:45], v[44:45], v[6:7], v[181:182]
	v_fma_f64 v[42:43], v[42:43], v[6:7], -v[8:9]
	scratch_load_b128 v[6:9], off, off offset:864
	v_add_f64_e32 v[179:180], v[179:180], v[167:168]
	v_add_f64_e32 v[183:184], v[171:172], v[169:170]
	scratch_load_b128 v[167:170], off, off offset:848
	ds_load_b128 v[171:174], v1 offset:1648
	s_wait_loadcnt_dscnt 0x901
	v_mul_f64_e32 v[185:186], v[2:3], v[12:13]
	v_mul_f64_e32 v[12:13], v[4:5], v[12:13]
	v_add_f64_e32 v[175:176], v[179:180], v[175:176]
	v_add_f64_e32 v[177:178], v[183:184], v[177:178]
	s_wait_loadcnt_dscnt 0x800
	v_mul_f64_e32 v[179:180], v[171:172], v[16:17]
	v_mul_f64_e32 v[16:17], v[173:174], v[16:17]
	v_fma_f64 v[181:182], v[4:5], v[10:11], v[185:186]
	v_fma_f64 v[183:184], v[2:3], v[10:11], -v[12:13]
	ds_load_b128 v[2:5], v1 offset:1664
	scratch_load_b128 v[10:13], off, off offset:880
	v_add_f64_e32 v[175:176], v[175:176], v[42:43]
	v_add_f64_e32 v[177:178], v[177:178], v[44:45]
	ds_load_b128 v[42:45], v1 offset:1680
	s_wait_loadcnt_dscnt 0x801
	v_mul_f64_e32 v[185:186], v[2:3], v[20:21]
	v_mul_f64_e32 v[20:21], v[4:5], v[20:21]
	v_fma_f64 v[173:174], v[173:174], v[14:15], v[179:180]
	v_fma_f64 v[171:172], v[171:172], v[14:15], -v[16:17]
	scratch_load_b128 v[14:17], off, off offset:896
	s_wait_loadcnt_dscnt 0x800
	v_mul_f64_e32 v[179:180], v[42:43], v[24:25]
	v_mul_f64_e32 v[24:25], v[44:45], v[24:25]
	v_add_f64_e32 v[175:176], v[175:176], v[183:184]
	v_add_f64_e32 v[177:178], v[177:178], v[181:182]
	v_fma_f64 v[181:182], v[4:5], v[18:19], v[185:186]
	v_fma_f64 v[183:184], v[2:3], v[18:19], -v[20:21]
	ds_load_b128 v[2:5], v1 offset:1696
	scratch_load_b128 v[18:21], off, off offset:912
	v_fma_f64 v[44:45], v[44:45], v[22:23], v[179:180]
	v_fma_f64 v[42:43], v[42:43], v[22:23], -v[24:25]
	scratch_load_b128 v[22:25], off, off offset:928
	v_add_f64_e32 v[175:176], v[175:176], v[171:172]
	v_add_f64_e32 v[177:178], v[177:178], v[173:174]
	ds_load_b128 v[171:174], v1 offset:1712
	s_wait_loadcnt_dscnt 0x901
	v_mul_f64_e32 v[185:186], v[2:3], v[28:29]
	v_mul_f64_e32 v[28:29], v[4:5], v[28:29]
	s_wait_loadcnt_dscnt 0x800
	v_mul_f64_e32 v[179:180], v[171:172], v[32:33]
	v_mul_f64_e32 v[32:33], v[173:174], v[32:33]
	v_add_f64_e32 v[175:176], v[175:176], v[183:184]
	v_add_f64_e32 v[177:178], v[177:178], v[181:182]
	v_fma_f64 v[181:182], v[4:5], v[26:27], v[185:186]
	v_fma_f64 v[183:184], v[2:3], v[26:27], -v[28:29]
	ds_load_b128 v[2:5], v1 offset:1728
	ds_load_b128 v[26:29], v1 offset:1744
	v_fma_f64 v[173:174], v[173:174], v[30:31], v[179:180]
	v_fma_f64 v[30:31], v[171:172], v[30:31], -v[32:33]
	v_add_f64_e32 v[42:43], v[175:176], v[42:43]
	v_add_f64_e32 v[44:45], v[177:178], v[44:45]
	s_wait_loadcnt_dscnt 0x701
	v_mul_f64_e32 v[175:176], v[2:3], v[36:37]
	v_mul_f64_e32 v[36:37], v[4:5], v[36:37]
	s_delay_alu instid0(VALU_DEP_4) | instskip(NEXT) | instid1(VALU_DEP_4)
	v_add_f64_e32 v[32:33], v[42:43], v[183:184]
	v_add_f64_e32 v[42:43], v[44:45], v[181:182]
	s_delay_alu instid0(VALU_DEP_4) | instskip(NEXT) | instid1(VALU_DEP_4)
	v_fma_f64 v[171:172], v[4:5], v[34:35], v[175:176]
	v_fma_f64 v[34:35], v[2:3], v[34:35], -v[36:37]
	s_wait_loadcnt_dscnt 0x600
	v_mul_f64_e32 v[44:45], v[26:27], v[40:41]
	v_mul_f64_e32 v[40:41], v[28:29], v[40:41]
	v_add_f64_e32 v[36:37], v[32:33], v[30:31]
	v_add_f64_e32 v[42:43], v[42:43], v[173:174]
	ds_load_b128 v[2:5], v1 offset:1760
	ds_load_b128 v[30:33], v1 offset:1776
	v_fma_f64 v[28:29], v[28:29], v[38:39], v[44:45]
	v_fma_f64 v[26:27], v[26:27], v[38:39], -v[40:41]
	s_wait_loadcnt_dscnt 0x401
	v_mul_f64_e32 v[173:174], v[2:3], v[169:170]
	v_mul_f64_e32 v[169:170], v[4:5], v[169:170]
	s_wait_dscnt 0x0
	v_mul_f64_e32 v[38:39], v[30:31], v[8:9]
	v_mul_f64_e32 v[8:9], v[32:33], v[8:9]
	v_add_f64_e32 v[34:35], v[36:37], v[34:35]
	v_add_f64_e32 v[36:37], v[42:43], v[171:172]
	v_fma_f64 v[40:41], v[4:5], v[167:168], v[173:174]
	v_fma_f64 v[42:43], v[2:3], v[167:168], -v[169:170]
	v_fma_f64 v[32:33], v[32:33], v[6:7], v[38:39]
	v_fma_f64 v[6:7], v[30:31], v[6:7], -v[8:9]
	v_add_f64_e32 v[34:35], v[34:35], v[26:27]
	v_add_f64_e32 v[36:37], v[36:37], v[28:29]
	ds_load_b128 v[2:5], v1 offset:1792
	ds_load_b128 v[26:29], v1 offset:1808
	s_wait_loadcnt_dscnt 0x301
	v_mul_f64_e32 v[44:45], v[2:3], v[12:13]
	v_mul_f64_e32 v[12:13], v[4:5], v[12:13]
	v_add_f64_e32 v[8:9], v[34:35], v[42:43]
	v_add_f64_e32 v[30:31], v[36:37], v[40:41]
	s_wait_loadcnt_dscnt 0x200
	v_mul_f64_e32 v[34:35], v[26:27], v[16:17]
	v_mul_f64_e32 v[16:17], v[28:29], v[16:17]
	v_fma_f64 v[36:37], v[4:5], v[10:11], v[44:45]
	v_fma_f64 v[10:11], v[2:3], v[10:11], -v[12:13]
	v_add_f64_e32 v[12:13], v[8:9], v[6:7]
	v_add_f64_e32 v[30:31], v[30:31], v[32:33]
	ds_load_b128 v[2:5], v1 offset:1824
	ds_load_b128 v[6:9], v1 offset:1840
	v_fma_f64 v[28:29], v[28:29], v[14:15], v[34:35]
	v_fma_f64 v[14:15], v[26:27], v[14:15], -v[16:17]
	s_wait_loadcnt_dscnt 0x101
	v_mul_f64_e32 v[32:33], v[2:3], v[20:21]
	v_mul_f64_e32 v[20:21], v[4:5], v[20:21]
	s_wait_loadcnt_dscnt 0x0
	v_mul_f64_e32 v[16:17], v[6:7], v[24:25]
	v_mul_f64_e32 v[24:25], v[8:9], v[24:25]
	v_add_f64_e32 v[10:11], v[12:13], v[10:11]
	v_add_f64_e32 v[12:13], v[30:31], v[36:37]
	v_fma_f64 v[4:5], v[4:5], v[18:19], v[32:33]
	v_fma_f64 v[1:2], v[2:3], v[18:19], -v[20:21]
	v_fma_f64 v[8:9], v[8:9], v[22:23], v[16:17]
	v_fma_f64 v[6:7], v[6:7], v[22:23], -v[24:25]
	v_add_f64_e32 v[10:11], v[10:11], v[14:15]
	v_add_f64_e32 v[12:13], v[12:13], v[28:29]
	s_delay_alu instid0(VALU_DEP_2) | instskip(NEXT) | instid1(VALU_DEP_2)
	v_add_f64_e32 v[1:2], v[10:11], v[1:2]
	v_add_f64_e32 v[3:4], v[12:13], v[4:5]
	s_delay_alu instid0(VALU_DEP_2) | instskip(NEXT) | instid1(VALU_DEP_2)
	;; [unrolled: 3-line block ×3, first 2 shown]
	v_add_f64_e64 v[1:2], v[163:164], -v[1:2]
	v_add_f64_e64 v[3:4], v[165:166], -v[3:4]
	scratch_store_b128 off, v[1:4], off offset:352
	v_cmpx_lt_u32_e32 20, v0
	s_cbranch_execz .LBB121_321
; %bb.320:
	scratch_load_b128 v[1:4], off, s51
	v_mov_b32_e32 v5, 0
	s_delay_alu instid0(VALU_DEP_1)
	v_dual_mov_b32 v6, v5 :: v_dual_mov_b32 v7, v5
	v_mov_b32_e32 v8, v5
	scratch_store_b128 off, v[5:8], off offset:336
	s_wait_loadcnt 0x0
	ds_store_b128 v162, v[1:4]
.LBB121_321:
	s_wait_alu 0xfffe
	s_or_b32 exec_lo, exec_lo, s0
	s_wait_storecnt_dscnt 0x0
	s_barrier_signal -1
	s_barrier_wait -1
	global_inv scope:SCOPE_SE
	s_clause 0x7
	scratch_load_b128 v[2:5], off, off offset:352
	scratch_load_b128 v[6:9], off, off offset:368
	;; [unrolled: 1-line block ×8, first 2 shown]
	v_mov_b32_e32 v1, 0
	s_mov_b32 s0, exec_lo
	ds_load_b128 v[38:41], v1 offset:1264
	s_clause 0x1
	scratch_load_b128 v[34:37], off, off offset:480
	scratch_load_b128 v[42:45], off, off offset:336
	ds_load_b128 v[163:166], v1 offset:1280
	scratch_load_b128 v[167:170], off, off offset:496
	s_wait_loadcnt_dscnt 0xa01
	v_mul_f64_e32 v[171:172], v[40:41], v[4:5]
	v_mul_f64_e32 v[4:5], v[38:39], v[4:5]
	s_delay_alu instid0(VALU_DEP_2) | instskip(NEXT) | instid1(VALU_DEP_2)
	v_fma_f64 v[177:178], v[38:39], v[2:3], -v[171:172]
	v_fma_f64 v[179:180], v[40:41], v[2:3], v[4:5]
	ds_load_b128 v[2:5], v1 offset:1296
	s_wait_loadcnt_dscnt 0x901
	v_mul_f64_e32 v[175:176], v[163:164], v[8:9]
	v_mul_f64_e32 v[8:9], v[165:166], v[8:9]
	scratch_load_b128 v[38:41], off, off offset:512
	ds_load_b128 v[171:174], v1 offset:1312
	s_wait_loadcnt_dscnt 0x901
	v_mul_f64_e32 v[181:182], v[2:3], v[12:13]
	v_mul_f64_e32 v[12:13], v[4:5], v[12:13]
	v_fma_f64 v[165:166], v[165:166], v[6:7], v[175:176]
	v_fma_f64 v[163:164], v[163:164], v[6:7], -v[8:9]
	v_add_f64_e32 v[175:176], 0, v[177:178]
	v_add_f64_e32 v[177:178], 0, v[179:180]
	scratch_load_b128 v[6:9], off, off offset:528
	v_fma_f64 v[181:182], v[4:5], v[10:11], v[181:182]
	v_fma_f64 v[183:184], v[2:3], v[10:11], -v[12:13]
	ds_load_b128 v[2:5], v1 offset:1328
	s_wait_loadcnt_dscnt 0x901
	v_mul_f64_e32 v[179:180], v[171:172], v[16:17]
	v_mul_f64_e32 v[16:17], v[173:174], v[16:17]
	scratch_load_b128 v[10:13], off, off offset:544
	v_add_f64_e32 v[175:176], v[175:176], v[163:164]
	v_add_f64_e32 v[177:178], v[177:178], v[165:166]
	s_wait_loadcnt_dscnt 0x900
	v_mul_f64_e32 v[185:186], v[2:3], v[20:21]
	v_mul_f64_e32 v[20:21], v[4:5], v[20:21]
	ds_load_b128 v[163:166], v1 offset:1344
	v_fma_f64 v[173:174], v[173:174], v[14:15], v[179:180]
	v_fma_f64 v[171:172], v[171:172], v[14:15], -v[16:17]
	scratch_load_b128 v[14:17], off, off offset:560
	v_add_f64_e32 v[175:176], v[175:176], v[183:184]
	v_add_f64_e32 v[177:178], v[177:178], v[181:182]
	v_fma_f64 v[181:182], v[4:5], v[18:19], v[185:186]
	v_fma_f64 v[183:184], v[2:3], v[18:19], -v[20:21]
	ds_load_b128 v[2:5], v1 offset:1360
	s_wait_loadcnt_dscnt 0x901
	v_mul_f64_e32 v[179:180], v[163:164], v[24:25]
	v_mul_f64_e32 v[24:25], v[165:166], v[24:25]
	scratch_load_b128 v[18:21], off, off offset:576
	s_wait_loadcnt_dscnt 0x900
	v_mul_f64_e32 v[185:186], v[2:3], v[28:29]
	v_mul_f64_e32 v[28:29], v[4:5], v[28:29]
	v_add_f64_e32 v[175:176], v[175:176], v[171:172]
	v_add_f64_e32 v[177:178], v[177:178], v[173:174]
	ds_load_b128 v[171:174], v1 offset:1376
	v_fma_f64 v[165:166], v[165:166], v[22:23], v[179:180]
	v_fma_f64 v[163:164], v[163:164], v[22:23], -v[24:25]
	scratch_load_b128 v[22:25], off, off offset:592
	v_add_f64_e32 v[175:176], v[175:176], v[183:184]
	v_add_f64_e32 v[177:178], v[177:178], v[181:182]
	v_fma_f64 v[181:182], v[4:5], v[26:27], v[185:186]
	v_fma_f64 v[183:184], v[2:3], v[26:27], -v[28:29]
	ds_load_b128 v[2:5], v1 offset:1392
	s_wait_loadcnt_dscnt 0x901
	v_mul_f64_e32 v[179:180], v[171:172], v[32:33]
	v_mul_f64_e32 v[32:33], v[173:174], v[32:33]
	scratch_load_b128 v[26:29], off, off offset:608
	s_wait_loadcnt_dscnt 0x900
	v_mul_f64_e32 v[185:186], v[2:3], v[36:37]
	v_mul_f64_e32 v[36:37], v[4:5], v[36:37]
	v_add_f64_e32 v[175:176], v[175:176], v[163:164]
	v_add_f64_e32 v[177:178], v[177:178], v[165:166]
	ds_load_b128 v[163:166], v1 offset:1408
	v_fma_f64 v[173:174], v[173:174], v[30:31], v[179:180]
	v_fma_f64 v[171:172], v[171:172], v[30:31], -v[32:33]
	scratch_load_b128 v[30:33], off, off offset:624
	v_add_f64_e32 v[175:176], v[175:176], v[183:184]
	v_add_f64_e32 v[177:178], v[177:178], v[181:182]
	v_fma_f64 v[183:184], v[4:5], v[34:35], v[185:186]
	v_fma_f64 v[185:186], v[2:3], v[34:35], -v[36:37]
	ds_load_b128 v[2:5], v1 offset:1424
	s_wait_loadcnt_dscnt 0x801
	v_mul_f64_e32 v[179:180], v[163:164], v[169:170]
	v_mul_f64_e32 v[181:182], v[165:166], v[169:170]
	scratch_load_b128 v[34:37], off, off offset:640
	v_add_f64_e32 v[175:176], v[175:176], v[171:172]
	v_add_f64_e32 v[173:174], v[177:178], v[173:174]
	ds_load_b128 v[169:172], v1 offset:1440
	v_fma_f64 v[179:180], v[165:166], v[167:168], v[179:180]
	v_fma_f64 v[167:168], v[163:164], v[167:168], -v[181:182]
	scratch_load_b128 v[163:166], off, off offset:656
	s_wait_loadcnt_dscnt 0x901
	v_mul_f64_e32 v[177:178], v[2:3], v[40:41]
	v_mul_f64_e32 v[40:41], v[4:5], v[40:41]
	v_add_f64_e32 v[175:176], v[175:176], v[185:186]
	v_add_f64_e32 v[173:174], v[173:174], v[183:184]
	s_delay_alu instid0(VALU_DEP_4) | instskip(NEXT) | instid1(VALU_DEP_4)
	v_fma_f64 v[177:178], v[4:5], v[38:39], v[177:178]
	v_fma_f64 v[183:184], v[2:3], v[38:39], -v[40:41]
	ds_load_b128 v[2:5], v1 offset:1456
	s_wait_loadcnt_dscnt 0x801
	v_mul_f64_e32 v[181:182], v[169:170], v[8:9]
	v_mul_f64_e32 v[8:9], v[171:172], v[8:9]
	scratch_load_b128 v[38:41], off, off offset:672
	s_wait_loadcnt_dscnt 0x800
	v_mul_f64_e32 v[185:186], v[2:3], v[12:13]
	v_add_f64_e32 v[167:168], v[175:176], v[167:168]
	v_add_f64_e32 v[179:180], v[173:174], v[179:180]
	v_mul_f64_e32 v[12:13], v[4:5], v[12:13]
	ds_load_b128 v[173:176], v1 offset:1472
	v_fma_f64 v[171:172], v[171:172], v[6:7], v[181:182]
	v_fma_f64 v[169:170], v[169:170], v[6:7], -v[8:9]
	scratch_load_b128 v[6:9], off, off offset:688
	v_fma_f64 v[181:182], v[4:5], v[10:11], v[185:186]
	v_add_f64_e32 v[167:168], v[167:168], v[183:184]
	v_add_f64_e32 v[177:178], v[179:180], v[177:178]
	v_fma_f64 v[183:184], v[2:3], v[10:11], -v[12:13]
	ds_load_b128 v[2:5], v1 offset:1488
	s_wait_loadcnt_dscnt 0x801
	v_mul_f64_e32 v[179:180], v[173:174], v[16:17]
	v_mul_f64_e32 v[16:17], v[175:176], v[16:17]
	scratch_load_b128 v[10:13], off, off offset:704
	v_add_f64_e32 v[185:186], v[167:168], v[169:170]
	v_add_f64_e32 v[171:172], v[177:178], v[171:172]
	s_wait_loadcnt_dscnt 0x800
	v_mul_f64_e32 v[177:178], v[2:3], v[20:21]
	v_mul_f64_e32 v[20:21], v[4:5], v[20:21]
	v_fma_f64 v[175:176], v[175:176], v[14:15], v[179:180]
	v_fma_f64 v[173:174], v[173:174], v[14:15], -v[16:17]
	ds_load_b128 v[167:170], v1 offset:1504
	scratch_load_b128 v[14:17], off, off offset:720
	v_add_f64_e32 v[179:180], v[185:186], v[183:184]
	v_add_f64_e32 v[171:172], v[171:172], v[181:182]
	v_fma_f64 v[177:178], v[4:5], v[18:19], v[177:178]
	v_fma_f64 v[183:184], v[2:3], v[18:19], -v[20:21]
	ds_load_b128 v[2:5], v1 offset:1520
	s_wait_loadcnt_dscnt 0x801
	v_mul_f64_e32 v[181:182], v[167:168], v[24:25]
	v_mul_f64_e32 v[24:25], v[169:170], v[24:25]
	scratch_load_b128 v[18:21], off, off offset:736
	s_wait_loadcnt_dscnt 0x800
	v_mul_f64_e32 v[185:186], v[2:3], v[28:29]
	v_mul_f64_e32 v[28:29], v[4:5], v[28:29]
	v_add_f64_e32 v[179:180], v[179:180], v[173:174]
	v_add_f64_e32 v[175:176], v[171:172], v[175:176]
	ds_load_b128 v[171:174], v1 offset:1536
	v_fma_f64 v[169:170], v[169:170], v[22:23], v[181:182]
	v_fma_f64 v[167:168], v[167:168], v[22:23], -v[24:25]
	scratch_load_b128 v[22:25], off, off offset:752
	v_fma_f64 v[181:182], v[4:5], v[26:27], v[185:186]
	v_add_f64_e32 v[179:180], v[179:180], v[183:184]
	v_add_f64_e32 v[175:176], v[175:176], v[177:178]
	v_fma_f64 v[183:184], v[2:3], v[26:27], -v[28:29]
	ds_load_b128 v[2:5], v1 offset:1552
	s_wait_loadcnt_dscnt 0x801
	v_mul_f64_e32 v[177:178], v[171:172], v[32:33]
	v_mul_f64_e32 v[32:33], v[173:174], v[32:33]
	scratch_load_b128 v[26:29], off, off offset:768
	s_wait_loadcnt_dscnt 0x800
	v_mul_f64_e32 v[185:186], v[2:3], v[36:37]
	v_mul_f64_e32 v[36:37], v[4:5], v[36:37]
	v_add_f64_e32 v[179:180], v[179:180], v[167:168]
	v_add_f64_e32 v[175:176], v[175:176], v[169:170]
	ds_load_b128 v[167:170], v1 offset:1568
	v_fma_f64 v[173:174], v[173:174], v[30:31], v[177:178]
	v_fma_f64 v[171:172], v[171:172], v[30:31], -v[32:33]
	scratch_load_b128 v[30:33], off, off offset:784
	v_add_f64_e32 v[177:178], v[179:180], v[183:184]
	v_add_f64_e32 v[175:176], v[175:176], v[181:182]
	v_fma_f64 v[181:182], v[4:5], v[34:35], v[185:186]
	v_fma_f64 v[183:184], v[2:3], v[34:35], -v[36:37]
	ds_load_b128 v[2:5], v1 offset:1584
	s_wait_loadcnt_dscnt 0x801
	v_mul_f64_e32 v[179:180], v[167:168], v[165:166]
	v_mul_f64_e32 v[165:166], v[169:170], v[165:166]
	scratch_load_b128 v[34:37], off, off offset:800
	s_wait_loadcnt_dscnt 0x800
	v_mul_f64_e32 v[185:186], v[2:3], v[40:41]
	v_mul_f64_e32 v[40:41], v[4:5], v[40:41]
	v_add_f64_e32 v[177:178], v[177:178], v[171:172]
	v_add_f64_e32 v[175:176], v[175:176], v[173:174]
	ds_load_b128 v[171:174], v1 offset:1600
	v_fma_f64 v[169:170], v[169:170], v[163:164], v[179:180]
	v_fma_f64 v[167:168], v[167:168], v[163:164], -v[165:166]
	scratch_load_b128 v[163:166], off, off offset:816
	v_add_f64_e32 v[177:178], v[177:178], v[183:184]
	v_add_f64_e32 v[175:176], v[175:176], v[181:182]
	v_fma_f64 v[181:182], v[4:5], v[38:39], v[185:186]
	;; [unrolled: 18-line block ×5, first 2 shown]
	v_fma_f64 v[183:184], v[2:3], v[26:27], -v[28:29]
	ds_load_b128 v[2:5], v1 offset:1712
	s_wait_loadcnt_dscnt 0x801
	v_mul_f64_e32 v[179:180], v[167:168], v[32:33]
	v_mul_f64_e32 v[32:33], v[169:170], v[32:33]
	scratch_load_b128 v[26:29], off, off offset:928
	s_wait_loadcnt_dscnt 0x800
	v_mul_f64_e32 v[185:186], v[2:3], v[36:37]
	v_mul_f64_e32 v[36:37], v[4:5], v[36:37]
	v_add_f64_e32 v[177:178], v[177:178], v[171:172]
	v_add_f64_e32 v[175:176], v[175:176], v[173:174]
	ds_load_b128 v[171:174], v1 offset:1728
	v_fma_f64 v[169:170], v[169:170], v[30:31], v[179:180]
	v_fma_f64 v[30:31], v[167:168], v[30:31], -v[32:33]
	v_add_f64_e32 v[32:33], v[177:178], v[183:184]
	v_add_f64_e32 v[167:168], v[175:176], v[181:182]
	s_wait_loadcnt_dscnt 0x700
	v_mul_f64_e32 v[175:176], v[171:172], v[165:166]
	v_mul_f64_e32 v[165:166], v[173:174], v[165:166]
	v_fma_f64 v[177:178], v[4:5], v[34:35], v[185:186]
	v_fma_f64 v[34:35], v[2:3], v[34:35], -v[36:37]
	v_add_f64_e32 v[36:37], v[32:33], v[30:31]
	v_add_f64_e32 v[167:168], v[167:168], v[169:170]
	ds_load_b128 v[2:5], v1 offset:1744
	ds_load_b128 v[30:33], v1 offset:1760
	v_fma_f64 v[173:174], v[173:174], v[163:164], v[175:176]
	v_fma_f64 v[163:164], v[171:172], v[163:164], -v[165:166]
	s_wait_loadcnt_dscnt 0x601
	v_mul_f64_e32 v[169:170], v[2:3], v[40:41]
	v_mul_f64_e32 v[40:41], v[4:5], v[40:41]
	s_wait_loadcnt_dscnt 0x500
	v_mul_f64_e32 v[165:166], v[30:31], v[8:9]
	v_mul_f64_e32 v[8:9], v[32:33], v[8:9]
	v_add_f64_e32 v[34:35], v[36:37], v[34:35]
	v_add_f64_e32 v[36:37], v[167:168], v[177:178]
	v_fma_f64 v[167:168], v[4:5], v[38:39], v[169:170]
	v_fma_f64 v[38:39], v[2:3], v[38:39], -v[40:41]
	v_fma_f64 v[32:33], v[32:33], v[6:7], v[165:166]
	v_fma_f64 v[6:7], v[30:31], v[6:7], -v[8:9]
	v_add_f64_e32 v[40:41], v[34:35], v[163:164]
	v_add_f64_e32 v[163:164], v[36:37], v[173:174]
	ds_load_b128 v[2:5], v1 offset:1776
	ds_load_b128 v[34:37], v1 offset:1792
	s_wait_loadcnt_dscnt 0x401
	v_mul_f64_e32 v[169:170], v[2:3], v[12:13]
	v_mul_f64_e32 v[12:13], v[4:5], v[12:13]
	v_add_f64_e32 v[8:9], v[40:41], v[38:39]
	v_add_f64_e32 v[30:31], v[163:164], v[167:168]
	s_wait_loadcnt_dscnt 0x300
	v_mul_f64_e32 v[38:39], v[34:35], v[16:17]
	v_mul_f64_e32 v[16:17], v[36:37], v[16:17]
	v_fma_f64 v[40:41], v[4:5], v[10:11], v[169:170]
	v_fma_f64 v[10:11], v[2:3], v[10:11], -v[12:13]
	v_add_f64_e32 v[12:13], v[8:9], v[6:7]
	v_add_f64_e32 v[30:31], v[30:31], v[32:33]
	ds_load_b128 v[2:5], v1 offset:1808
	ds_load_b128 v[6:9], v1 offset:1824
	v_fma_f64 v[36:37], v[36:37], v[14:15], v[38:39]
	v_fma_f64 v[14:15], v[34:35], v[14:15], -v[16:17]
	s_wait_loadcnt_dscnt 0x201
	v_mul_f64_e32 v[32:33], v[2:3], v[20:21]
	v_mul_f64_e32 v[20:21], v[4:5], v[20:21]
	s_wait_loadcnt_dscnt 0x100
	v_mul_f64_e32 v[16:17], v[6:7], v[24:25]
	v_mul_f64_e32 v[24:25], v[8:9], v[24:25]
	v_add_f64_e32 v[10:11], v[12:13], v[10:11]
	v_add_f64_e32 v[12:13], v[30:31], v[40:41]
	v_fma_f64 v[30:31], v[4:5], v[18:19], v[32:33]
	v_fma_f64 v[18:19], v[2:3], v[18:19], -v[20:21]
	ds_load_b128 v[2:5], v1 offset:1840
	v_fma_f64 v[8:9], v[8:9], v[22:23], v[16:17]
	v_fma_f64 v[6:7], v[6:7], v[22:23], -v[24:25]
	v_add_f64_e32 v[10:11], v[10:11], v[14:15]
	v_add_f64_e32 v[12:13], v[12:13], v[36:37]
	s_wait_loadcnt_dscnt 0x0
	v_mul_f64_e32 v[14:15], v[2:3], v[28:29]
	v_mul_f64_e32 v[20:21], v[4:5], v[28:29]
	s_delay_alu instid0(VALU_DEP_4) | instskip(NEXT) | instid1(VALU_DEP_4)
	v_add_f64_e32 v[10:11], v[10:11], v[18:19]
	v_add_f64_e32 v[12:13], v[12:13], v[30:31]
	s_delay_alu instid0(VALU_DEP_4) | instskip(NEXT) | instid1(VALU_DEP_4)
	v_fma_f64 v[4:5], v[4:5], v[26:27], v[14:15]
	v_fma_f64 v[2:3], v[2:3], v[26:27], -v[20:21]
	s_delay_alu instid0(VALU_DEP_4) | instskip(NEXT) | instid1(VALU_DEP_4)
	v_add_f64_e32 v[6:7], v[10:11], v[6:7]
	v_add_f64_e32 v[8:9], v[12:13], v[8:9]
	s_delay_alu instid0(VALU_DEP_2) | instskip(NEXT) | instid1(VALU_DEP_2)
	v_add_f64_e32 v[2:3], v[6:7], v[2:3]
	v_add_f64_e32 v[4:5], v[8:9], v[4:5]
	s_delay_alu instid0(VALU_DEP_2) | instskip(NEXT) | instid1(VALU_DEP_2)
	v_add_f64_e64 v[2:3], v[42:43], -v[2:3]
	v_add_f64_e64 v[4:5], v[44:45], -v[4:5]
	scratch_store_b128 off, v[2:5], off offset:336
	v_cmpx_lt_u32_e32 19, v0
	s_cbranch_execz .LBB121_323
; %bb.322:
	scratch_load_b128 v[5:8], off, s52
	v_dual_mov_b32 v2, v1 :: v_dual_mov_b32 v3, v1
	v_mov_b32_e32 v4, v1
	scratch_store_b128 off, v[1:4], off offset:320
	s_wait_loadcnt 0x0
	ds_store_b128 v162, v[5:8]
.LBB121_323:
	s_wait_alu 0xfffe
	s_or_b32 exec_lo, exec_lo, s0
	s_wait_storecnt_dscnt 0x0
	s_barrier_signal -1
	s_barrier_wait -1
	global_inv scope:SCOPE_SE
	s_clause 0x8
	scratch_load_b128 v[2:5], off, off offset:336
	scratch_load_b128 v[6:9], off, off offset:352
	;; [unrolled: 1-line block ×9, first 2 shown]
	ds_load_b128 v[42:45], v1 offset:1248
	ds_load_b128 v[38:41], v1 offset:1264
	s_clause 0x1
	scratch_load_b128 v[163:166], off, off offset:320
	scratch_load_b128 v[167:170], off, off offset:480
	s_mov_b32 s0, exec_lo
	s_wait_loadcnt_dscnt 0xa01
	v_mul_f64_e32 v[171:172], v[44:45], v[4:5]
	v_mul_f64_e32 v[4:5], v[42:43], v[4:5]
	s_wait_loadcnt_dscnt 0x900
	v_mul_f64_e32 v[175:176], v[38:39], v[8:9]
	v_mul_f64_e32 v[8:9], v[40:41], v[8:9]
	s_delay_alu instid0(VALU_DEP_4) | instskip(NEXT) | instid1(VALU_DEP_4)
	v_fma_f64 v[177:178], v[42:43], v[2:3], -v[171:172]
	v_fma_f64 v[179:180], v[44:45], v[2:3], v[4:5]
	ds_load_b128 v[2:5], v1 offset:1280
	ds_load_b128 v[171:174], v1 offset:1296
	scratch_load_b128 v[42:45], off, off offset:496
	v_fma_f64 v[40:41], v[40:41], v[6:7], v[175:176]
	v_fma_f64 v[38:39], v[38:39], v[6:7], -v[8:9]
	scratch_load_b128 v[6:9], off, off offset:512
	s_wait_loadcnt_dscnt 0xa01
	v_mul_f64_e32 v[181:182], v[2:3], v[12:13]
	v_mul_f64_e32 v[12:13], v[4:5], v[12:13]
	v_add_f64_e32 v[175:176], 0, v[177:178]
	v_add_f64_e32 v[177:178], 0, v[179:180]
	s_wait_loadcnt_dscnt 0x900
	v_mul_f64_e32 v[179:180], v[171:172], v[16:17]
	v_mul_f64_e32 v[16:17], v[173:174], v[16:17]
	v_fma_f64 v[181:182], v[4:5], v[10:11], v[181:182]
	v_fma_f64 v[183:184], v[2:3], v[10:11], -v[12:13]
	ds_load_b128 v[2:5], v1 offset:1312
	scratch_load_b128 v[10:13], off, off offset:528
	v_add_f64_e32 v[175:176], v[175:176], v[38:39]
	v_add_f64_e32 v[177:178], v[177:178], v[40:41]
	ds_load_b128 v[38:41], v1 offset:1328
	v_fma_f64 v[173:174], v[173:174], v[14:15], v[179:180]
	v_fma_f64 v[171:172], v[171:172], v[14:15], -v[16:17]
	scratch_load_b128 v[14:17], off, off offset:544
	s_wait_loadcnt_dscnt 0xa01
	v_mul_f64_e32 v[185:186], v[2:3], v[20:21]
	v_mul_f64_e32 v[20:21], v[4:5], v[20:21]
	s_wait_loadcnt_dscnt 0x900
	v_mul_f64_e32 v[179:180], v[38:39], v[24:25]
	v_mul_f64_e32 v[24:25], v[40:41], v[24:25]
	v_add_f64_e32 v[175:176], v[175:176], v[183:184]
	v_add_f64_e32 v[177:178], v[177:178], v[181:182]
	v_fma_f64 v[181:182], v[4:5], v[18:19], v[185:186]
	v_fma_f64 v[183:184], v[2:3], v[18:19], -v[20:21]
	ds_load_b128 v[2:5], v1 offset:1344
	scratch_load_b128 v[18:21], off, off offset:560
	v_fma_f64 v[40:41], v[40:41], v[22:23], v[179:180]
	v_fma_f64 v[38:39], v[38:39], v[22:23], -v[24:25]
	scratch_load_b128 v[22:25], off, off offset:576
	v_add_f64_e32 v[175:176], v[175:176], v[171:172]
	v_add_f64_e32 v[177:178], v[177:178], v[173:174]
	ds_load_b128 v[171:174], v1 offset:1360
	s_wait_loadcnt_dscnt 0xa01
	v_mul_f64_e32 v[185:186], v[2:3], v[28:29]
	v_mul_f64_e32 v[28:29], v[4:5], v[28:29]
	s_wait_loadcnt_dscnt 0x900
	v_mul_f64_e32 v[179:180], v[171:172], v[32:33]
	v_mul_f64_e32 v[32:33], v[173:174], v[32:33]
	v_add_f64_e32 v[175:176], v[175:176], v[183:184]
	v_add_f64_e32 v[177:178], v[177:178], v[181:182]
	v_fma_f64 v[181:182], v[4:5], v[26:27], v[185:186]
	v_fma_f64 v[183:184], v[2:3], v[26:27], -v[28:29]
	ds_load_b128 v[2:5], v1 offset:1376
	scratch_load_b128 v[26:29], off, off offset:592
	v_fma_f64 v[173:174], v[173:174], v[30:31], v[179:180]
	v_fma_f64 v[171:172], v[171:172], v[30:31], -v[32:33]
	scratch_load_b128 v[30:33], off, off offset:608
	v_add_f64_e32 v[175:176], v[175:176], v[38:39]
	v_add_f64_e32 v[177:178], v[177:178], v[40:41]
	ds_load_b128 v[38:41], v1 offset:1392
	s_wait_loadcnt_dscnt 0xa01
	v_mul_f64_e32 v[185:186], v[2:3], v[36:37]
	v_mul_f64_e32 v[36:37], v[4:5], v[36:37]
	s_wait_loadcnt_dscnt 0x800
	v_mul_f64_e32 v[179:180], v[38:39], v[169:170]
	v_add_f64_e32 v[175:176], v[175:176], v[183:184]
	v_add_f64_e32 v[177:178], v[177:178], v[181:182]
	v_mul_f64_e32 v[181:182], v[40:41], v[169:170]
	v_fma_f64 v[183:184], v[4:5], v[34:35], v[185:186]
	v_fma_f64 v[185:186], v[2:3], v[34:35], -v[36:37]
	ds_load_b128 v[2:5], v1 offset:1408
	scratch_load_b128 v[34:37], off, off offset:624
	v_fma_f64 v[179:180], v[40:41], v[167:168], v[179:180]
	v_add_f64_e32 v[175:176], v[175:176], v[171:172]
	v_add_f64_e32 v[173:174], v[177:178], v[173:174]
	ds_load_b128 v[169:172], v1 offset:1424
	v_fma_f64 v[167:168], v[38:39], v[167:168], -v[181:182]
	scratch_load_b128 v[38:41], off, off offset:640
	s_wait_loadcnt_dscnt 0x901
	v_mul_f64_e32 v[177:178], v[2:3], v[44:45]
	v_mul_f64_e32 v[44:45], v[4:5], v[44:45]
	s_wait_loadcnt_dscnt 0x800
	v_mul_f64_e32 v[181:182], v[169:170], v[8:9]
	v_mul_f64_e32 v[8:9], v[171:172], v[8:9]
	v_add_f64_e32 v[175:176], v[175:176], v[185:186]
	v_add_f64_e32 v[173:174], v[173:174], v[183:184]
	v_fma_f64 v[177:178], v[4:5], v[42:43], v[177:178]
	v_fma_f64 v[183:184], v[2:3], v[42:43], -v[44:45]
	ds_load_b128 v[2:5], v1 offset:1440
	scratch_load_b128 v[42:45], off, off offset:656
	v_fma_f64 v[171:172], v[171:172], v[6:7], v[181:182]
	v_fma_f64 v[169:170], v[169:170], v[6:7], -v[8:9]
	scratch_load_b128 v[6:9], off, off offset:672
	v_add_f64_e32 v[167:168], v[175:176], v[167:168]
	v_add_f64_e32 v[179:180], v[173:174], v[179:180]
	ds_load_b128 v[173:176], v1 offset:1456
	s_wait_loadcnt_dscnt 0x901
	v_mul_f64_e32 v[185:186], v[2:3], v[12:13]
	v_mul_f64_e32 v[12:13], v[4:5], v[12:13]
	v_add_f64_e32 v[167:168], v[167:168], v[183:184]
	v_add_f64_e32 v[177:178], v[179:180], v[177:178]
	s_wait_loadcnt_dscnt 0x800
	v_mul_f64_e32 v[179:180], v[173:174], v[16:17]
	v_mul_f64_e32 v[16:17], v[175:176], v[16:17]
	v_fma_f64 v[181:182], v[4:5], v[10:11], v[185:186]
	v_fma_f64 v[183:184], v[2:3], v[10:11], -v[12:13]
	ds_load_b128 v[2:5], v1 offset:1472
	scratch_load_b128 v[10:13], off, off offset:688
	v_add_f64_e32 v[185:186], v[167:168], v[169:170]
	v_add_f64_e32 v[171:172], v[177:178], v[171:172]
	ds_load_b128 v[167:170], v1 offset:1488
	s_wait_loadcnt_dscnt 0x801
	v_mul_f64_e32 v[177:178], v[2:3], v[20:21]
	v_mul_f64_e32 v[20:21], v[4:5], v[20:21]
	v_fma_f64 v[175:176], v[175:176], v[14:15], v[179:180]
	v_fma_f64 v[173:174], v[173:174], v[14:15], -v[16:17]
	scratch_load_b128 v[14:17], off, off offset:704
	v_add_f64_e32 v[179:180], v[185:186], v[183:184]
	v_add_f64_e32 v[171:172], v[171:172], v[181:182]
	s_wait_loadcnt_dscnt 0x800
	v_mul_f64_e32 v[181:182], v[167:168], v[24:25]
	v_mul_f64_e32 v[24:25], v[169:170], v[24:25]
	v_fma_f64 v[177:178], v[4:5], v[18:19], v[177:178]
	v_fma_f64 v[183:184], v[2:3], v[18:19], -v[20:21]
	ds_load_b128 v[2:5], v1 offset:1504
	scratch_load_b128 v[18:21], off, off offset:720
	v_add_f64_e32 v[179:180], v[179:180], v[173:174]
	v_add_f64_e32 v[175:176], v[171:172], v[175:176]
	ds_load_b128 v[171:174], v1 offset:1520
	s_wait_loadcnt_dscnt 0x801
	v_mul_f64_e32 v[185:186], v[2:3], v[28:29]
	v_mul_f64_e32 v[28:29], v[4:5], v[28:29]
	v_fma_f64 v[169:170], v[169:170], v[22:23], v[181:182]
	v_fma_f64 v[167:168], v[167:168], v[22:23], -v[24:25]
	scratch_load_b128 v[22:25], off, off offset:736
	v_add_f64_e32 v[179:180], v[179:180], v[183:184]
	v_add_f64_e32 v[175:176], v[175:176], v[177:178]
	s_wait_loadcnt_dscnt 0x800
	v_mul_f64_e32 v[177:178], v[171:172], v[32:33]
	v_mul_f64_e32 v[32:33], v[173:174], v[32:33]
	v_fma_f64 v[181:182], v[4:5], v[26:27], v[185:186]
	v_fma_f64 v[183:184], v[2:3], v[26:27], -v[28:29]
	ds_load_b128 v[2:5], v1 offset:1536
	scratch_load_b128 v[26:29], off, off offset:752
	v_add_f64_e32 v[179:180], v[179:180], v[167:168]
	v_add_f64_e32 v[175:176], v[175:176], v[169:170]
	ds_load_b128 v[167:170], v1 offset:1552
	s_wait_loadcnt_dscnt 0x801
	v_mul_f64_e32 v[185:186], v[2:3], v[36:37]
	v_mul_f64_e32 v[36:37], v[4:5], v[36:37]
	v_fma_f64 v[173:174], v[173:174], v[30:31], v[177:178]
	v_fma_f64 v[171:172], v[171:172], v[30:31], -v[32:33]
	scratch_load_b128 v[30:33], off, off offset:768
	v_add_f64_e32 v[177:178], v[179:180], v[183:184]
	v_add_f64_e32 v[175:176], v[175:176], v[181:182]
	s_wait_loadcnt_dscnt 0x800
	v_mul_f64_e32 v[179:180], v[167:168], v[40:41]
	v_mul_f64_e32 v[40:41], v[169:170], v[40:41]
	v_fma_f64 v[181:182], v[4:5], v[34:35], v[185:186]
	v_fma_f64 v[183:184], v[2:3], v[34:35], -v[36:37]
	ds_load_b128 v[2:5], v1 offset:1568
	scratch_load_b128 v[34:37], off, off offset:784
	v_add_f64_e32 v[177:178], v[177:178], v[171:172]
	v_add_f64_e32 v[175:176], v[175:176], v[173:174]
	ds_load_b128 v[171:174], v1 offset:1584
	s_wait_loadcnt_dscnt 0x801
	v_mul_f64_e32 v[185:186], v[2:3], v[44:45]
	v_mul_f64_e32 v[44:45], v[4:5], v[44:45]
	v_fma_f64 v[169:170], v[169:170], v[38:39], v[179:180]
	v_fma_f64 v[167:168], v[167:168], v[38:39], -v[40:41]
	scratch_load_b128 v[38:41], off, off offset:800
	s_wait_loadcnt_dscnt 0x800
	v_mul_f64_e32 v[179:180], v[171:172], v[8:9]
	v_mul_f64_e32 v[8:9], v[173:174], v[8:9]
	v_add_f64_e32 v[177:178], v[177:178], v[183:184]
	v_add_f64_e32 v[175:176], v[175:176], v[181:182]
	v_fma_f64 v[181:182], v[4:5], v[42:43], v[185:186]
	v_fma_f64 v[183:184], v[2:3], v[42:43], -v[44:45]
	ds_load_b128 v[2:5], v1 offset:1600
	scratch_load_b128 v[42:45], off, off offset:816
	v_fma_f64 v[173:174], v[173:174], v[6:7], v[179:180]
	v_fma_f64 v[171:172], v[171:172], v[6:7], -v[8:9]
	scratch_load_b128 v[6:9], off, off offset:832
	v_add_f64_e32 v[177:178], v[177:178], v[167:168]
	v_add_f64_e32 v[175:176], v[175:176], v[169:170]
	ds_load_b128 v[167:170], v1 offset:1616
	s_wait_loadcnt_dscnt 0x901
	v_mul_f64_e32 v[185:186], v[2:3], v[12:13]
	v_mul_f64_e32 v[12:13], v[4:5], v[12:13]
	s_wait_loadcnt_dscnt 0x800
	v_mul_f64_e32 v[179:180], v[167:168], v[16:17]
	v_mul_f64_e32 v[16:17], v[169:170], v[16:17]
	v_add_f64_e32 v[177:178], v[177:178], v[183:184]
	v_add_f64_e32 v[175:176], v[175:176], v[181:182]
	v_fma_f64 v[181:182], v[4:5], v[10:11], v[185:186]
	v_fma_f64 v[183:184], v[2:3], v[10:11], -v[12:13]
	ds_load_b128 v[2:5], v1 offset:1632
	scratch_load_b128 v[10:13], off, off offset:848
	v_fma_f64 v[169:170], v[169:170], v[14:15], v[179:180]
	v_fma_f64 v[167:168], v[167:168], v[14:15], -v[16:17]
	scratch_load_b128 v[14:17], off, off offset:864
	v_add_f64_e32 v[177:178], v[177:178], v[171:172]
	v_add_f64_e32 v[175:176], v[175:176], v[173:174]
	ds_load_b128 v[171:174], v1 offset:1648
	s_wait_loadcnt_dscnt 0x901
	v_mul_f64_e32 v[185:186], v[2:3], v[20:21]
	v_mul_f64_e32 v[20:21], v[4:5], v[20:21]
	;; [unrolled: 18-line block ×4, first 2 shown]
	s_wait_loadcnt_dscnt 0x800
	v_mul_f64_e32 v[179:180], v[171:172], v[40:41]
	v_mul_f64_e32 v[40:41], v[173:174], v[40:41]
	v_add_f64_e32 v[177:178], v[177:178], v[183:184]
	v_add_f64_e32 v[175:176], v[175:176], v[181:182]
	v_fma_f64 v[181:182], v[4:5], v[34:35], v[185:186]
	v_fma_f64 v[183:184], v[2:3], v[34:35], -v[36:37]
	ds_load_b128 v[2:5], v1 offset:1728
	ds_load_b128 v[34:37], v1 offset:1744
	v_fma_f64 v[173:174], v[173:174], v[38:39], v[179:180]
	v_fma_f64 v[38:39], v[171:172], v[38:39], -v[40:41]
	v_add_f64_e32 v[167:168], v[177:178], v[167:168]
	v_add_f64_e32 v[169:170], v[175:176], v[169:170]
	s_wait_loadcnt_dscnt 0x701
	v_mul_f64_e32 v[175:176], v[2:3], v[44:45]
	v_mul_f64_e32 v[44:45], v[4:5], v[44:45]
	s_delay_alu instid0(VALU_DEP_4) | instskip(NEXT) | instid1(VALU_DEP_4)
	v_add_f64_e32 v[40:41], v[167:168], v[183:184]
	v_add_f64_e32 v[167:168], v[169:170], v[181:182]
	s_wait_loadcnt_dscnt 0x600
	v_mul_f64_e32 v[169:170], v[34:35], v[8:9]
	v_mul_f64_e32 v[8:9], v[36:37], v[8:9]
	v_fma_f64 v[171:172], v[4:5], v[42:43], v[175:176]
	v_fma_f64 v[42:43], v[2:3], v[42:43], -v[44:45]
	v_add_f64_e32 v[44:45], v[40:41], v[38:39]
	v_add_f64_e32 v[167:168], v[167:168], v[173:174]
	ds_load_b128 v[2:5], v1 offset:1760
	ds_load_b128 v[38:41], v1 offset:1776
	v_fma_f64 v[36:37], v[36:37], v[6:7], v[169:170]
	v_fma_f64 v[6:7], v[34:35], v[6:7], -v[8:9]
	s_wait_loadcnt_dscnt 0x501
	v_mul_f64_e32 v[173:174], v[2:3], v[12:13]
	v_mul_f64_e32 v[12:13], v[4:5], v[12:13]
	v_add_f64_e32 v[8:9], v[44:45], v[42:43]
	v_add_f64_e32 v[34:35], v[167:168], v[171:172]
	s_wait_loadcnt_dscnt 0x400
	v_mul_f64_e32 v[42:43], v[38:39], v[16:17]
	v_mul_f64_e32 v[16:17], v[40:41], v[16:17]
	v_fma_f64 v[44:45], v[4:5], v[10:11], v[173:174]
	v_fma_f64 v[10:11], v[2:3], v[10:11], -v[12:13]
	v_add_f64_e32 v[12:13], v[8:9], v[6:7]
	v_add_f64_e32 v[34:35], v[34:35], v[36:37]
	ds_load_b128 v[2:5], v1 offset:1792
	ds_load_b128 v[6:9], v1 offset:1808
	v_fma_f64 v[40:41], v[40:41], v[14:15], v[42:43]
	v_fma_f64 v[14:15], v[38:39], v[14:15], -v[16:17]
	s_wait_loadcnt_dscnt 0x301
	v_mul_f64_e32 v[36:37], v[2:3], v[20:21]
	v_mul_f64_e32 v[20:21], v[4:5], v[20:21]
	s_wait_loadcnt_dscnt 0x200
	v_mul_f64_e32 v[16:17], v[6:7], v[24:25]
	v_mul_f64_e32 v[24:25], v[8:9], v[24:25]
	v_add_f64_e32 v[10:11], v[12:13], v[10:11]
	v_add_f64_e32 v[12:13], v[34:35], v[44:45]
	v_fma_f64 v[34:35], v[4:5], v[18:19], v[36:37]
	v_fma_f64 v[18:19], v[2:3], v[18:19], -v[20:21]
	v_fma_f64 v[8:9], v[8:9], v[22:23], v[16:17]
	v_fma_f64 v[6:7], v[6:7], v[22:23], -v[24:25]
	v_add_f64_e32 v[14:15], v[10:11], v[14:15]
	v_add_f64_e32 v[20:21], v[12:13], v[40:41]
	ds_load_b128 v[2:5], v1 offset:1824
	ds_load_b128 v[10:13], v1 offset:1840
	s_wait_loadcnt_dscnt 0x101
	v_mul_f64_e32 v[36:37], v[2:3], v[28:29]
	v_mul_f64_e32 v[28:29], v[4:5], v[28:29]
	v_add_f64_e32 v[14:15], v[14:15], v[18:19]
	v_add_f64_e32 v[16:17], v[20:21], v[34:35]
	s_wait_loadcnt_dscnt 0x0
	v_mul_f64_e32 v[18:19], v[10:11], v[32:33]
	v_mul_f64_e32 v[20:21], v[12:13], v[32:33]
	v_fma_f64 v[4:5], v[4:5], v[26:27], v[36:37]
	v_fma_f64 v[1:2], v[2:3], v[26:27], -v[28:29]
	v_add_f64_e32 v[6:7], v[14:15], v[6:7]
	v_add_f64_e32 v[8:9], v[16:17], v[8:9]
	v_fma_f64 v[12:13], v[12:13], v[30:31], v[18:19]
	v_fma_f64 v[10:11], v[10:11], v[30:31], -v[20:21]
	s_delay_alu instid0(VALU_DEP_4) | instskip(NEXT) | instid1(VALU_DEP_4)
	v_add_f64_e32 v[1:2], v[6:7], v[1:2]
	v_add_f64_e32 v[3:4], v[8:9], v[4:5]
	s_delay_alu instid0(VALU_DEP_2) | instskip(NEXT) | instid1(VALU_DEP_2)
	v_add_f64_e32 v[1:2], v[1:2], v[10:11]
	v_add_f64_e32 v[3:4], v[3:4], v[12:13]
	s_delay_alu instid0(VALU_DEP_2) | instskip(NEXT) | instid1(VALU_DEP_2)
	v_add_f64_e64 v[1:2], v[163:164], -v[1:2]
	v_add_f64_e64 v[3:4], v[165:166], -v[3:4]
	scratch_store_b128 off, v[1:4], off offset:320
	v_cmpx_lt_u32_e32 18, v0
	s_cbranch_execz .LBB121_325
; %bb.324:
	scratch_load_b128 v[1:4], off, s53
	v_mov_b32_e32 v5, 0
	s_delay_alu instid0(VALU_DEP_1)
	v_dual_mov_b32 v6, v5 :: v_dual_mov_b32 v7, v5
	v_mov_b32_e32 v8, v5
	scratch_store_b128 off, v[5:8], off offset:304
	s_wait_loadcnt 0x0
	ds_store_b128 v162, v[1:4]
.LBB121_325:
	s_wait_alu 0xfffe
	s_or_b32 exec_lo, exec_lo, s0
	s_wait_storecnt_dscnt 0x0
	s_barrier_signal -1
	s_barrier_wait -1
	global_inv scope:SCOPE_SE
	s_clause 0x7
	scratch_load_b128 v[2:5], off, off offset:320
	scratch_load_b128 v[6:9], off, off offset:336
	;; [unrolled: 1-line block ×8, first 2 shown]
	v_mov_b32_e32 v1, 0
	s_mov_b32 s0, exec_lo
	ds_load_b128 v[38:41], v1 offset:1232
	s_clause 0x1
	scratch_load_b128 v[34:37], off, off offset:448
	scratch_load_b128 v[42:45], off, off offset:304
	ds_load_b128 v[163:166], v1 offset:1248
	scratch_load_b128 v[167:170], off, off offset:464
	s_wait_loadcnt_dscnt 0xa01
	v_mul_f64_e32 v[171:172], v[40:41], v[4:5]
	v_mul_f64_e32 v[4:5], v[38:39], v[4:5]
	s_delay_alu instid0(VALU_DEP_2) | instskip(NEXT) | instid1(VALU_DEP_2)
	v_fma_f64 v[177:178], v[38:39], v[2:3], -v[171:172]
	v_fma_f64 v[179:180], v[40:41], v[2:3], v[4:5]
	ds_load_b128 v[2:5], v1 offset:1264
	s_wait_loadcnt_dscnt 0x901
	v_mul_f64_e32 v[175:176], v[163:164], v[8:9]
	v_mul_f64_e32 v[8:9], v[165:166], v[8:9]
	scratch_load_b128 v[38:41], off, off offset:480
	ds_load_b128 v[171:174], v1 offset:1280
	s_wait_loadcnt_dscnt 0x901
	v_mul_f64_e32 v[181:182], v[2:3], v[12:13]
	v_mul_f64_e32 v[12:13], v[4:5], v[12:13]
	v_fma_f64 v[165:166], v[165:166], v[6:7], v[175:176]
	v_fma_f64 v[163:164], v[163:164], v[6:7], -v[8:9]
	v_add_f64_e32 v[175:176], 0, v[177:178]
	v_add_f64_e32 v[177:178], 0, v[179:180]
	scratch_load_b128 v[6:9], off, off offset:496
	v_fma_f64 v[181:182], v[4:5], v[10:11], v[181:182]
	v_fma_f64 v[183:184], v[2:3], v[10:11], -v[12:13]
	ds_load_b128 v[2:5], v1 offset:1296
	s_wait_loadcnt_dscnt 0x901
	v_mul_f64_e32 v[179:180], v[171:172], v[16:17]
	v_mul_f64_e32 v[16:17], v[173:174], v[16:17]
	scratch_load_b128 v[10:13], off, off offset:512
	v_add_f64_e32 v[175:176], v[175:176], v[163:164]
	v_add_f64_e32 v[177:178], v[177:178], v[165:166]
	s_wait_loadcnt_dscnt 0x900
	v_mul_f64_e32 v[185:186], v[2:3], v[20:21]
	v_mul_f64_e32 v[20:21], v[4:5], v[20:21]
	ds_load_b128 v[163:166], v1 offset:1312
	v_fma_f64 v[173:174], v[173:174], v[14:15], v[179:180]
	v_fma_f64 v[171:172], v[171:172], v[14:15], -v[16:17]
	scratch_load_b128 v[14:17], off, off offset:528
	v_add_f64_e32 v[175:176], v[175:176], v[183:184]
	v_add_f64_e32 v[177:178], v[177:178], v[181:182]
	v_fma_f64 v[181:182], v[4:5], v[18:19], v[185:186]
	v_fma_f64 v[183:184], v[2:3], v[18:19], -v[20:21]
	ds_load_b128 v[2:5], v1 offset:1328
	s_wait_loadcnt_dscnt 0x901
	v_mul_f64_e32 v[179:180], v[163:164], v[24:25]
	v_mul_f64_e32 v[24:25], v[165:166], v[24:25]
	scratch_load_b128 v[18:21], off, off offset:544
	s_wait_loadcnt_dscnt 0x900
	v_mul_f64_e32 v[185:186], v[2:3], v[28:29]
	v_mul_f64_e32 v[28:29], v[4:5], v[28:29]
	v_add_f64_e32 v[175:176], v[175:176], v[171:172]
	v_add_f64_e32 v[177:178], v[177:178], v[173:174]
	ds_load_b128 v[171:174], v1 offset:1344
	v_fma_f64 v[165:166], v[165:166], v[22:23], v[179:180]
	v_fma_f64 v[163:164], v[163:164], v[22:23], -v[24:25]
	scratch_load_b128 v[22:25], off, off offset:560
	v_add_f64_e32 v[175:176], v[175:176], v[183:184]
	v_add_f64_e32 v[177:178], v[177:178], v[181:182]
	v_fma_f64 v[181:182], v[4:5], v[26:27], v[185:186]
	v_fma_f64 v[183:184], v[2:3], v[26:27], -v[28:29]
	ds_load_b128 v[2:5], v1 offset:1360
	s_wait_loadcnt_dscnt 0x901
	v_mul_f64_e32 v[179:180], v[171:172], v[32:33]
	v_mul_f64_e32 v[32:33], v[173:174], v[32:33]
	scratch_load_b128 v[26:29], off, off offset:576
	s_wait_loadcnt_dscnt 0x900
	v_mul_f64_e32 v[185:186], v[2:3], v[36:37]
	v_mul_f64_e32 v[36:37], v[4:5], v[36:37]
	v_add_f64_e32 v[175:176], v[175:176], v[163:164]
	v_add_f64_e32 v[177:178], v[177:178], v[165:166]
	ds_load_b128 v[163:166], v1 offset:1376
	v_fma_f64 v[173:174], v[173:174], v[30:31], v[179:180]
	v_fma_f64 v[171:172], v[171:172], v[30:31], -v[32:33]
	scratch_load_b128 v[30:33], off, off offset:592
	v_add_f64_e32 v[175:176], v[175:176], v[183:184]
	v_add_f64_e32 v[177:178], v[177:178], v[181:182]
	v_fma_f64 v[183:184], v[4:5], v[34:35], v[185:186]
	v_fma_f64 v[185:186], v[2:3], v[34:35], -v[36:37]
	ds_load_b128 v[2:5], v1 offset:1392
	s_wait_loadcnt_dscnt 0x801
	v_mul_f64_e32 v[179:180], v[163:164], v[169:170]
	v_mul_f64_e32 v[181:182], v[165:166], v[169:170]
	scratch_load_b128 v[34:37], off, off offset:608
	v_add_f64_e32 v[175:176], v[175:176], v[171:172]
	v_add_f64_e32 v[173:174], v[177:178], v[173:174]
	ds_load_b128 v[169:172], v1 offset:1408
	v_fma_f64 v[179:180], v[165:166], v[167:168], v[179:180]
	v_fma_f64 v[167:168], v[163:164], v[167:168], -v[181:182]
	scratch_load_b128 v[163:166], off, off offset:624
	s_wait_loadcnt_dscnt 0x901
	v_mul_f64_e32 v[177:178], v[2:3], v[40:41]
	v_mul_f64_e32 v[40:41], v[4:5], v[40:41]
	v_add_f64_e32 v[175:176], v[175:176], v[185:186]
	v_add_f64_e32 v[173:174], v[173:174], v[183:184]
	s_delay_alu instid0(VALU_DEP_4) | instskip(NEXT) | instid1(VALU_DEP_4)
	v_fma_f64 v[177:178], v[4:5], v[38:39], v[177:178]
	v_fma_f64 v[183:184], v[2:3], v[38:39], -v[40:41]
	ds_load_b128 v[2:5], v1 offset:1424
	s_wait_loadcnt_dscnt 0x801
	v_mul_f64_e32 v[181:182], v[169:170], v[8:9]
	v_mul_f64_e32 v[8:9], v[171:172], v[8:9]
	scratch_load_b128 v[38:41], off, off offset:640
	s_wait_loadcnt_dscnt 0x800
	v_mul_f64_e32 v[185:186], v[2:3], v[12:13]
	v_add_f64_e32 v[167:168], v[175:176], v[167:168]
	v_add_f64_e32 v[179:180], v[173:174], v[179:180]
	v_mul_f64_e32 v[12:13], v[4:5], v[12:13]
	ds_load_b128 v[173:176], v1 offset:1440
	v_fma_f64 v[171:172], v[171:172], v[6:7], v[181:182]
	v_fma_f64 v[169:170], v[169:170], v[6:7], -v[8:9]
	scratch_load_b128 v[6:9], off, off offset:656
	v_fma_f64 v[181:182], v[4:5], v[10:11], v[185:186]
	v_add_f64_e32 v[167:168], v[167:168], v[183:184]
	v_add_f64_e32 v[177:178], v[179:180], v[177:178]
	v_fma_f64 v[183:184], v[2:3], v[10:11], -v[12:13]
	ds_load_b128 v[2:5], v1 offset:1456
	s_wait_loadcnt_dscnt 0x801
	v_mul_f64_e32 v[179:180], v[173:174], v[16:17]
	v_mul_f64_e32 v[16:17], v[175:176], v[16:17]
	scratch_load_b128 v[10:13], off, off offset:672
	v_add_f64_e32 v[185:186], v[167:168], v[169:170]
	v_add_f64_e32 v[171:172], v[177:178], v[171:172]
	s_wait_loadcnt_dscnt 0x800
	v_mul_f64_e32 v[177:178], v[2:3], v[20:21]
	v_mul_f64_e32 v[20:21], v[4:5], v[20:21]
	v_fma_f64 v[175:176], v[175:176], v[14:15], v[179:180]
	v_fma_f64 v[173:174], v[173:174], v[14:15], -v[16:17]
	ds_load_b128 v[167:170], v1 offset:1472
	scratch_load_b128 v[14:17], off, off offset:688
	v_add_f64_e32 v[179:180], v[185:186], v[183:184]
	v_add_f64_e32 v[171:172], v[171:172], v[181:182]
	v_fma_f64 v[177:178], v[4:5], v[18:19], v[177:178]
	v_fma_f64 v[183:184], v[2:3], v[18:19], -v[20:21]
	ds_load_b128 v[2:5], v1 offset:1488
	s_wait_loadcnt_dscnt 0x801
	v_mul_f64_e32 v[181:182], v[167:168], v[24:25]
	v_mul_f64_e32 v[24:25], v[169:170], v[24:25]
	scratch_load_b128 v[18:21], off, off offset:704
	s_wait_loadcnt_dscnt 0x800
	v_mul_f64_e32 v[185:186], v[2:3], v[28:29]
	v_mul_f64_e32 v[28:29], v[4:5], v[28:29]
	v_add_f64_e32 v[179:180], v[179:180], v[173:174]
	v_add_f64_e32 v[175:176], v[171:172], v[175:176]
	ds_load_b128 v[171:174], v1 offset:1504
	v_fma_f64 v[169:170], v[169:170], v[22:23], v[181:182]
	v_fma_f64 v[167:168], v[167:168], v[22:23], -v[24:25]
	scratch_load_b128 v[22:25], off, off offset:720
	v_fma_f64 v[181:182], v[4:5], v[26:27], v[185:186]
	v_add_f64_e32 v[179:180], v[179:180], v[183:184]
	v_add_f64_e32 v[175:176], v[175:176], v[177:178]
	v_fma_f64 v[183:184], v[2:3], v[26:27], -v[28:29]
	ds_load_b128 v[2:5], v1 offset:1520
	s_wait_loadcnt_dscnt 0x801
	v_mul_f64_e32 v[177:178], v[171:172], v[32:33]
	v_mul_f64_e32 v[32:33], v[173:174], v[32:33]
	scratch_load_b128 v[26:29], off, off offset:736
	s_wait_loadcnt_dscnt 0x800
	v_mul_f64_e32 v[185:186], v[2:3], v[36:37]
	v_mul_f64_e32 v[36:37], v[4:5], v[36:37]
	v_add_f64_e32 v[179:180], v[179:180], v[167:168]
	v_add_f64_e32 v[175:176], v[175:176], v[169:170]
	ds_load_b128 v[167:170], v1 offset:1536
	v_fma_f64 v[173:174], v[173:174], v[30:31], v[177:178]
	v_fma_f64 v[171:172], v[171:172], v[30:31], -v[32:33]
	scratch_load_b128 v[30:33], off, off offset:752
	v_add_f64_e32 v[177:178], v[179:180], v[183:184]
	v_add_f64_e32 v[175:176], v[175:176], v[181:182]
	v_fma_f64 v[181:182], v[4:5], v[34:35], v[185:186]
	v_fma_f64 v[183:184], v[2:3], v[34:35], -v[36:37]
	ds_load_b128 v[2:5], v1 offset:1552
	s_wait_loadcnt_dscnt 0x801
	v_mul_f64_e32 v[179:180], v[167:168], v[165:166]
	v_mul_f64_e32 v[165:166], v[169:170], v[165:166]
	scratch_load_b128 v[34:37], off, off offset:768
	s_wait_loadcnt_dscnt 0x800
	v_mul_f64_e32 v[185:186], v[2:3], v[40:41]
	v_mul_f64_e32 v[40:41], v[4:5], v[40:41]
	v_add_f64_e32 v[177:178], v[177:178], v[171:172]
	v_add_f64_e32 v[175:176], v[175:176], v[173:174]
	ds_load_b128 v[171:174], v1 offset:1568
	v_fma_f64 v[169:170], v[169:170], v[163:164], v[179:180]
	v_fma_f64 v[167:168], v[167:168], v[163:164], -v[165:166]
	scratch_load_b128 v[163:166], off, off offset:784
	v_add_f64_e32 v[177:178], v[177:178], v[183:184]
	v_add_f64_e32 v[175:176], v[175:176], v[181:182]
	v_fma_f64 v[181:182], v[4:5], v[38:39], v[185:186]
	;; [unrolled: 18-line block ×6, first 2 shown]
	v_fma_f64 v[185:186], v[2:3], v[34:35], -v[36:37]
	ds_load_b128 v[2:5], v1 offset:1712
	s_wait_loadcnt_dscnt 0x801
	v_mul_f64_e32 v[179:180], v[171:172], v[165:166]
	v_mul_f64_e32 v[181:182], v[173:174], v[165:166]
	scratch_load_b128 v[34:37], off, off offset:928
	v_add_f64_e32 v[177:178], v[177:178], v[167:168]
	v_add_f64_e32 v[169:170], v[175:176], v[169:170]
	s_wait_loadcnt_dscnt 0x800
	v_mul_f64_e32 v[175:176], v[2:3], v[40:41]
	v_mul_f64_e32 v[40:41], v[4:5], v[40:41]
	ds_load_b128 v[165:168], v1 offset:1728
	v_fma_f64 v[173:174], v[173:174], v[163:164], v[179:180]
	v_fma_f64 v[163:164], v[171:172], v[163:164], -v[181:182]
	v_add_f64_e32 v[171:172], v[177:178], v[185:186]
	v_add_f64_e32 v[169:170], v[169:170], v[183:184]
	s_wait_loadcnt_dscnt 0x700
	v_mul_f64_e32 v[177:178], v[165:166], v[8:9]
	v_mul_f64_e32 v[8:9], v[167:168], v[8:9]
	v_fma_f64 v[175:176], v[4:5], v[38:39], v[175:176]
	v_fma_f64 v[179:180], v[2:3], v[38:39], -v[40:41]
	ds_load_b128 v[2:5], v1 offset:1744
	ds_load_b128 v[38:41], v1 offset:1760
	v_add_f64_e32 v[163:164], v[171:172], v[163:164]
	v_add_f64_e32 v[169:170], v[169:170], v[173:174]
	s_wait_loadcnt_dscnt 0x601
	v_mul_f64_e32 v[171:172], v[2:3], v[12:13]
	v_mul_f64_e32 v[12:13], v[4:5], v[12:13]
	v_fma_f64 v[167:168], v[167:168], v[6:7], v[177:178]
	v_fma_f64 v[6:7], v[165:166], v[6:7], -v[8:9]
	s_wait_loadcnt_dscnt 0x500
	v_mul_f64_e32 v[165:166], v[38:39], v[16:17]
	v_mul_f64_e32 v[16:17], v[40:41], v[16:17]
	v_add_f64_e32 v[8:9], v[163:164], v[179:180]
	v_add_f64_e32 v[163:164], v[169:170], v[175:176]
	v_fma_f64 v[169:170], v[4:5], v[10:11], v[171:172]
	v_fma_f64 v[10:11], v[2:3], v[10:11], -v[12:13]
	v_fma_f64 v[40:41], v[40:41], v[14:15], v[165:166]
	v_fma_f64 v[14:15], v[38:39], v[14:15], -v[16:17]
	v_add_f64_e32 v[12:13], v[8:9], v[6:7]
	v_add_f64_e32 v[163:164], v[163:164], v[167:168]
	ds_load_b128 v[2:5], v1 offset:1776
	ds_load_b128 v[6:9], v1 offset:1792
	s_wait_loadcnt_dscnt 0x401
	v_mul_f64_e32 v[167:168], v[2:3], v[20:21]
	v_mul_f64_e32 v[20:21], v[4:5], v[20:21]
	s_wait_loadcnt_dscnt 0x300
	v_mul_f64_e32 v[16:17], v[6:7], v[24:25]
	v_mul_f64_e32 v[24:25], v[8:9], v[24:25]
	v_add_f64_e32 v[10:11], v[12:13], v[10:11]
	v_add_f64_e32 v[12:13], v[163:164], v[169:170]
	v_fma_f64 v[38:39], v[4:5], v[18:19], v[167:168]
	v_fma_f64 v[18:19], v[2:3], v[18:19], -v[20:21]
	v_fma_f64 v[8:9], v[8:9], v[22:23], v[16:17]
	v_fma_f64 v[6:7], v[6:7], v[22:23], -v[24:25]
	v_add_f64_e32 v[14:15], v[10:11], v[14:15]
	v_add_f64_e32 v[20:21], v[12:13], v[40:41]
	ds_load_b128 v[2:5], v1 offset:1808
	ds_load_b128 v[10:13], v1 offset:1824
	s_wait_loadcnt_dscnt 0x201
	v_mul_f64_e32 v[40:41], v[2:3], v[28:29]
	v_mul_f64_e32 v[28:29], v[4:5], v[28:29]
	v_add_f64_e32 v[14:15], v[14:15], v[18:19]
	v_add_f64_e32 v[16:17], v[20:21], v[38:39]
	s_wait_loadcnt_dscnt 0x100
	v_mul_f64_e32 v[18:19], v[10:11], v[32:33]
	v_mul_f64_e32 v[20:21], v[12:13], v[32:33]
	v_fma_f64 v[22:23], v[4:5], v[26:27], v[40:41]
	v_fma_f64 v[24:25], v[2:3], v[26:27], -v[28:29]
	ds_load_b128 v[2:5], v1 offset:1840
	v_add_f64_e32 v[6:7], v[14:15], v[6:7]
	v_add_f64_e32 v[8:9], v[16:17], v[8:9]
	v_fma_f64 v[12:13], v[12:13], v[30:31], v[18:19]
	v_fma_f64 v[10:11], v[10:11], v[30:31], -v[20:21]
	s_wait_loadcnt_dscnt 0x0
	v_mul_f64_e32 v[14:15], v[2:3], v[36:37]
	v_mul_f64_e32 v[16:17], v[4:5], v[36:37]
	v_add_f64_e32 v[6:7], v[6:7], v[24:25]
	v_add_f64_e32 v[8:9], v[8:9], v[22:23]
	s_delay_alu instid0(VALU_DEP_4) | instskip(NEXT) | instid1(VALU_DEP_4)
	v_fma_f64 v[4:5], v[4:5], v[34:35], v[14:15]
	v_fma_f64 v[2:3], v[2:3], v[34:35], -v[16:17]
	s_delay_alu instid0(VALU_DEP_4) | instskip(NEXT) | instid1(VALU_DEP_4)
	v_add_f64_e32 v[6:7], v[6:7], v[10:11]
	v_add_f64_e32 v[8:9], v[8:9], v[12:13]
	s_delay_alu instid0(VALU_DEP_2) | instskip(NEXT) | instid1(VALU_DEP_2)
	v_add_f64_e32 v[2:3], v[6:7], v[2:3]
	v_add_f64_e32 v[4:5], v[8:9], v[4:5]
	s_delay_alu instid0(VALU_DEP_2) | instskip(NEXT) | instid1(VALU_DEP_2)
	v_add_f64_e64 v[2:3], v[42:43], -v[2:3]
	v_add_f64_e64 v[4:5], v[44:45], -v[4:5]
	scratch_store_b128 off, v[2:5], off offset:304
	v_cmpx_lt_u32_e32 17, v0
	s_cbranch_execz .LBB121_327
; %bb.326:
	scratch_load_b128 v[5:8], off, s54
	v_dual_mov_b32 v2, v1 :: v_dual_mov_b32 v3, v1
	v_mov_b32_e32 v4, v1
	scratch_store_b128 off, v[1:4], off offset:288
	s_wait_loadcnt 0x0
	ds_store_b128 v162, v[5:8]
.LBB121_327:
	s_wait_alu 0xfffe
	s_or_b32 exec_lo, exec_lo, s0
	s_wait_storecnt_dscnt 0x0
	s_barrier_signal -1
	s_barrier_wait -1
	global_inv scope:SCOPE_SE
	s_clause 0x8
	scratch_load_b128 v[2:5], off, off offset:304
	scratch_load_b128 v[6:9], off, off offset:320
	scratch_load_b128 v[10:13], off, off offset:336
	scratch_load_b128 v[14:17], off, off offset:352
	scratch_load_b128 v[18:21], off, off offset:368
	scratch_load_b128 v[22:25], off, off offset:384
	scratch_load_b128 v[26:29], off, off offset:400
	scratch_load_b128 v[30:33], off, off offset:416
	scratch_load_b128 v[34:37], off, off offset:432
	ds_load_b128 v[42:45], v1 offset:1216
	ds_load_b128 v[38:41], v1 offset:1232
	s_clause 0x1
	scratch_load_b128 v[163:166], off, off offset:288
	scratch_load_b128 v[167:170], off, off offset:448
	s_mov_b32 s0, exec_lo
	s_wait_loadcnt_dscnt 0xa01
	v_mul_f64_e32 v[171:172], v[44:45], v[4:5]
	v_mul_f64_e32 v[4:5], v[42:43], v[4:5]
	s_wait_loadcnt_dscnt 0x900
	v_mul_f64_e32 v[175:176], v[38:39], v[8:9]
	v_mul_f64_e32 v[8:9], v[40:41], v[8:9]
	s_delay_alu instid0(VALU_DEP_4) | instskip(NEXT) | instid1(VALU_DEP_4)
	v_fma_f64 v[177:178], v[42:43], v[2:3], -v[171:172]
	v_fma_f64 v[179:180], v[44:45], v[2:3], v[4:5]
	ds_load_b128 v[2:5], v1 offset:1248
	ds_load_b128 v[171:174], v1 offset:1264
	scratch_load_b128 v[42:45], off, off offset:464
	v_fma_f64 v[40:41], v[40:41], v[6:7], v[175:176]
	v_fma_f64 v[38:39], v[38:39], v[6:7], -v[8:9]
	scratch_load_b128 v[6:9], off, off offset:480
	s_wait_loadcnt_dscnt 0xa01
	v_mul_f64_e32 v[181:182], v[2:3], v[12:13]
	v_mul_f64_e32 v[12:13], v[4:5], v[12:13]
	v_add_f64_e32 v[175:176], 0, v[177:178]
	v_add_f64_e32 v[177:178], 0, v[179:180]
	s_wait_loadcnt_dscnt 0x900
	v_mul_f64_e32 v[179:180], v[171:172], v[16:17]
	v_mul_f64_e32 v[16:17], v[173:174], v[16:17]
	v_fma_f64 v[181:182], v[4:5], v[10:11], v[181:182]
	v_fma_f64 v[183:184], v[2:3], v[10:11], -v[12:13]
	ds_load_b128 v[2:5], v1 offset:1280
	scratch_load_b128 v[10:13], off, off offset:496
	v_add_f64_e32 v[175:176], v[175:176], v[38:39]
	v_add_f64_e32 v[177:178], v[177:178], v[40:41]
	ds_load_b128 v[38:41], v1 offset:1296
	v_fma_f64 v[173:174], v[173:174], v[14:15], v[179:180]
	v_fma_f64 v[171:172], v[171:172], v[14:15], -v[16:17]
	scratch_load_b128 v[14:17], off, off offset:512
	s_wait_loadcnt_dscnt 0xa01
	v_mul_f64_e32 v[185:186], v[2:3], v[20:21]
	v_mul_f64_e32 v[20:21], v[4:5], v[20:21]
	s_wait_loadcnt_dscnt 0x900
	v_mul_f64_e32 v[179:180], v[38:39], v[24:25]
	v_mul_f64_e32 v[24:25], v[40:41], v[24:25]
	v_add_f64_e32 v[175:176], v[175:176], v[183:184]
	v_add_f64_e32 v[177:178], v[177:178], v[181:182]
	v_fma_f64 v[181:182], v[4:5], v[18:19], v[185:186]
	v_fma_f64 v[183:184], v[2:3], v[18:19], -v[20:21]
	ds_load_b128 v[2:5], v1 offset:1312
	scratch_load_b128 v[18:21], off, off offset:528
	v_fma_f64 v[40:41], v[40:41], v[22:23], v[179:180]
	v_fma_f64 v[38:39], v[38:39], v[22:23], -v[24:25]
	scratch_load_b128 v[22:25], off, off offset:544
	v_add_f64_e32 v[175:176], v[175:176], v[171:172]
	v_add_f64_e32 v[177:178], v[177:178], v[173:174]
	ds_load_b128 v[171:174], v1 offset:1328
	s_wait_loadcnt_dscnt 0xa01
	v_mul_f64_e32 v[185:186], v[2:3], v[28:29]
	v_mul_f64_e32 v[28:29], v[4:5], v[28:29]
	s_wait_loadcnt_dscnt 0x900
	v_mul_f64_e32 v[179:180], v[171:172], v[32:33]
	v_mul_f64_e32 v[32:33], v[173:174], v[32:33]
	v_add_f64_e32 v[175:176], v[175:176], v[183:184]
	v_add_f64_e32 v[177:178], v[177:178], v[181:182]
	v_fma_f64 v[181:182], v[4:5], v[26:27], v[185:186]
	v_fma_f64 v[183:184], v[2:3], v[26:27], -v[28:29]
	ds_load_b128 v[2:5], v1 offset:1344
	scratch_load_b128 v[26:29], off, off offset:560
	v_fma_f64 v[173:174], v[173:174], v[30:31], v[179:180]
	v_fma_f64 v[171:172], v[171:172], v[30:31], -v[32:33]
	scratch_load_b128 v[30:33], off, off offset:576
	v_add_f64_e32 v[175:176], v[175:176], v[38:39]
	v_add_f64_e32 v[177:178], v[177:178], v[40:41]
	ds_load_b128 v[38:41], v1 offset:1360
	s_wait_loadcnt_dscnt 0xa01
	v_mul_f64_e32 v[185:186], v[2:3], v[36:37]
	v_mul_f64_e32 v[36:37], v[4:5], v[36:37]
	s_wait_loadcnt_dscnt 0x800
	v_mul_f64_e32 v[179:180], v[38:39], v[169:170]
	v_add_f64_e32 v[175:176], v[175:176], v[183:184]
	v_add_f64_e32 v[177:178], v[177:178], v[181:182]
	v_mul_f64_e32 v[181:182], v[40:41], v[169:170]
	v_fma_f64 v[183:184], v[4:5], v[34:35], v[185:186]
	v_fma_f64 v[185:186], v[2:3], v[34:35], -v[36:37]
	ds_load_b128 v[2:5], v1 offset:1376
	scratch_load_b128 v[34:37], off, off offset:592
	v_fma_f64 v[179:180], v[40:41], v[167:168], v[179:180]
	v_add_f64_e32 v[175:176], v[175:176], v[171:172]
	v_add_f64_e32 v[173:174], v[177:178], v[173:174]
	ds_load_b128 v[169:172], v1 offset:1392
	v_fma_f64 v[167:168], v[38:39], v[167:168], -v[181:182]
	scratch_load_b128 v[38:41], off, off offset:608
	s_wait_loadcnt_dscnt 0x901
	v_mul_f64_e32 v[177:178], v[2:3], v[44:45]
	v_mul_f64_e32 v[44:45], v[4:5], v[44:45]
	s_wait_loadcnt_dscnt 0x800
	v_mul_f64_e32 v[181:182], v[169:170], v[8:9]
	v_mul_f64_e32 v[8:9], v[171:172], v[8:9]
	v_add_f64_e32 v[175:176], v[175:176], v[185:186]
	v_add_f64_e32 v[173:174], v[173:174], v[183:184]
	v_fma_f64 v[177:178], v[4:5], v[42:43], v[177:178]
	v_fma_f64 v[183:184], v[2:3], v[42:43], -v[44:45]
	ds_load_b128 v[2:5], v1 offset:1408
	scratch_load_b128 v[42:45], off, off offset:624
	v_fma_f64 v[171:172], v[171:172], v[6:7], v[181:182]
	v_fma_f64 v[169:170], v[169:170], v[6:7], -v[8:9]
	scratch_load_b128 v[6:9], off, off offset:640
	v_add_f64_e32 v[167:168], v[175:176], v[167:168]
	v_add_f64_e32 v[179:180], v[173:174], v[179:180]
	ds_load_b128 v[173:176], v1 offset:1424
	s_wait_loadcnt_dscnt 0x901
	v_mul_f64_e32 v[185:186], v[2:3], v[12:13]
	v_mul_f64_e32 v[12:13], v[4:5], v[12:13]
	v_add_f64_e32 v[167:168], v[167:168], v[183:184]
	v_add_f64_e32 v[177:178], v[179:180], v[177:178]
	s_wait_loadcnt_dscnt 0x800
	v_mul_f64_e32 v[179:180], v[173:174], v[16:17]
	v_mul_f64_e32 v[16:17], v[175:176], v[16:17]
	v_fma_f64 v[181:182], v[4:5], v[10:11], v[185:186]
	v_fma_f64 v[183:184], v[2:3], v[10:11], -v[12:13]
	ds_load_b128 v[2:5], v1 offset:1440
	scratch_load_b128 v[10:13], off, off offset:656
	v_add_f64_e32 v[185:186], v[167:168], v[169:170]
	v_add_f64_e32 v[171:172], v[177:178], v[171:172]
	ds_load_b128 v[167:170], v1 offset:1456
	s_wait_loadcnt_dscnt 0x801
	v_mul_f64_e32 v[177:178], v[2:3], v[20:21]
	v_mul_f64_e32 v[20:21], v[4:5], v[20:21]
	v_fma_f64 v[175:176], v[175:176], v[14:15], v[179:180]
	v_fma_f64 v[173:174], v[173:174], v[14:15], -v[16:17]
	scratch_load_b128 v[14:17], off, off offset:672
	v_add_f64_e32 v[179:180], v[185:186], v[183:184]
	v_add_f64_e32 v[171:172], v[171:172], v[181:182]
	s_wait_loadcnt_dscnt 0x800
	v_mul_f64_e32 v[181:182], v[167:168], v[24:25]
	v_mul_f64_e32 v[24:25], v[169:170], v[24:25]
	v_fma_f64 v[177:178], v[4:5], v[18:19], v[177:178]
	v_fma_f64 v[183:184], v[2:3], v[18:19], -v[20:21]
	ds_load_b128 v[2:5], v1 offset:1472
	scratch_load_b128 v[18:21], off, off offset:688
	v_add_f64_e32 v[179:180], v[179:180], v[173:174]
	v_add_f64_e32 v[175:176], v[171:172], v[175:176]
	ds_load_b128 v[171:174], v1 offset:1488
	s_wait_loadcnt_dscnt 0x801
	v_mul_f64_e32 v[185:186], v[2:3], v[28:29]
	v_mul_f64_e32 v[28:29], v[4:5], v[28:29]
	v_fma_f64 v[169:170], v[169:170], v[22:23], v[181:182]
	v_fma_f64 v[167:168], v[167:168], v[22:23], -v[24:25]
	scratch_load_b128 v[22:25], off, off offset:704
	;; [unrolled: 18-line block ×4, first 2 shown]
	s_wait_loadcnt_dscnt 0x800
	v_mul_f64_e32 v[179:180], v[171:172], v[8:9]
	v_mul_f64_e32 v[8:9], v[173:174], v[8:9]
	v_add_f64_e32 v[177:178], v[177:178], v[183:184]
	v_add_f64_e32 v[175:176], v[175:176], v[181:182]
	v_fma_f64 v[181:182], v[4:5], v[42:43], v[185:186]
	v_fma_f64 v[183:184], v[2:3], v[42:43], -v[44:45]
	ds_load_b128 v[2:5], v1 offset:1568
	scratch_load_b128 v[42:45], off, off offset:784
	v_fma_f64 v[173:174], v[173:174], v[6:7], v[179:180]
	v_fma_f64 v[171:172], v[171:172], v[6:7], -v[8:9]
	scratch_load_b128 v[6:9], off, off offset:800
	v_add_f64_e32 v[177:178], v[177:178], v[167:168]
	v_add_f64_e32 v[175:176], v[175:176], v[169:170]
	ds_load_b128 v[167:170], v1 offset:1584
	s_wait_loadcnt_dscnt 0x901
	v_mul_f64_e32 v[185:186], v[2:3], v[12:13]
	v_mul_f64_e32 v[12:13], v[4:5], v[12:13]
	s_wait_loadcnt_dscnt 0x800
	v_mul_f64_e32 v[179:180], v[167:168], v[16:17]
	v_mul_f64_e32 v[16:17], v[169:170], v[16:17]
	v_add_f64_e32 v[177:178], v[177:178], v[183:184]
	v_add_f64_e32 v[175:176], v[175:176], v[181:182]
	v_fma_f64 v[181:182], v[4:5], v[10:11], v[185:186]
	v_fma_f64 v[183:184], v[2:3], v[10:11], -v[12:13]
	ds_load_b128 v[2:5], v1 offset:1600
	scratch_load_b128 v[10:13], off, off offset:816
	v_fma_f64 v[169:170], v[169:170], v[14:15], v[179:180]
	v_fma_f64 v[167:168], v[167:168], v[14:15], -v[16:17]
	scratch_load_b128 v[14:17], off, off offset:832
	v_add_f64_e32 v[177:178], v[177:178], v[171:172]
	v_add_f64_e32 v[175:176], v[175:176], v[173:174]
	ds_load_b128 v[171:174], v1 offset:1616
	s_wait_loadcnt_dscnt 0x901
	v_mul_f64_e32 v[185:186], v[2:3], v[20:21]
	v_mul_f64_e32 v[20:21], v[4:5], v[20:21]
	;; [unrolled: 18-line block ×5, first 2 shown]
	s_wait_loadcnt_dscnt 0x800
	v_mul_f64_e32 v[179:180], v[167:168], v[8:9]
	v_mul_f64_e32 v[8:9], v[169:170], v[8:9]
	v_add_f64_e32 v[177:178], v[177:178], v[183:184]
	v_add_f64_e32 v[175:176], v[175:176], v[181:182]
	v_fma_f64 v[181:182], v[4:5], v[42:43], v[185:186]
	v_fma_f64 v[183:184], v[2:3], v[42:43], -v[44:45]
	ds_load_b128 v[2:5], v1 offset:1728
	ds_load_b128 v[42:45], v1 offset:1744
	v_fma_f64 v[169:170], v[169:170], v[6:7], v[179:180]
	v_fma_f64 v[6:7], v[167:168], v[6:7], -v[8:9]
	v_add_f64_e32 v[171:172], v[177:178], v[171:172]
	v_add_f64_e32 v[173:174], v[175:176], v[173:174]
	s_wait_loadcnt_dscnt 0x701
	v_mul_f64_e32 v[175:176], v[2:3], v[12:13]
	v_mul_f64_e32 v[12:13], v[4:5], v[12:13]
	s_delay_alu instid0(VALU_DEP_4) | instskip(NEXT) | instid1(VALU_DEP_4)
	v_add_f64_e32 v[8:9], v[171:172], v[183:184]
	v_add_f64_e32 v[167:168], v[173:174], v[181:182]
	s_wait_loadcnt_dscnt 0x600
	v_mul_f64_e32 v[171:172], v[42:43], v[16:17]
	v_mul_f64_e32 v[16:17], v[44:45], v[16:17]
	v_fma_f64 v[173:174], v[4:5], v[10:11], v[175:176]
	v_fma_f64 v[10:11], v[2:3], v[10:11], -v[12:13]
	v_add_f64_e32 v[12:13], v[8:9], v[6:7]
	v_add_f64_e32 v[167:168], v[167:168], v[169:170]
	ds_load_b128 v[2:5], v1 offset:1760
	ds_load_b128 v[6:9], v1 offset:1776
	v_fma_f64 v[44:45], v[44:45], v[14:15], v[171:172]
	v_fma_f64 v[14:15], v[42:43], v[14:15], -v[16:17]
	s_wait_loadcnt_dscnt 0x501
	v_mul_f64_e32 v[169:170], v[2:3], v[20:21]
	v_mul_f64_e32 v[20:21], v[4:5], v[20:21]
	s_wait_loadcnt_dscnt 0x400
	v_mul_f64_e32 v[16:17], v[6:7], v[24:25]
	v_mul_f64_e32 v[24:25], v[8:9], v[24:25]
	v_add_f64_e32 v[10:11], v[12:13], v[10:11]
	v_add_f64_e32 v[12:13], v[167:168], v[173:174]
	v_fma_f64 v[42:43], v[4:5], v[18:19], v[169:170]
	v_fma_f64 v[18:19], v[2:3], v[18:19], -v[20:21]
	v_fma_f64 v[8:9], v[8:9], v[22:23], v[16:17]
	v_fma_f64 v[6:7], v[6:7], v[22:23], -v[24:25]
	v_add_f64_e32 v[14:15], v[10:11], v[14:15]
	v_add_f64_e32 v[20:21], v[12:13], v[44:45]
	ds_load_b128 v[2:5], v1 offset:1792
	ds_load_b128 v[10:13], v1 offset:1808
	s_wait_loadcnt_dscnt 0x301
	v_mul_f64_e32 v[44:45], v[2:3], v[28:29]
	v_mul_f64_e32 v[28:29], v[4:5], v[28:29]
	v_add_f64_e32 v[14:15], v[14:15], v[18:19]
	v_add_f64_e32 v[16:17], v[20:21], v[42:43]
	s_wait_loadcnt_dscnt 0x200
	v_mul_f64_e32 v[18:19], v[10:11], v[32:33]
	v_mul_f64_e32 v[20:21], v[12:13], v[32:33]
	v_fma_f64 v[22:23], v[4:5], v[26:27], v[44:45]
	v_fma_f64 v[24:25], v[2:3], v[26:27], -v[28:29]
	v_add_f64_e32 v[14:15], v[14:15], v[6:7]
	v_add_f64_e32 v[16:17], v[16:17], v[8:9]
	ds_load_b128 v[2:5], v1 offset:1824
	ds_load_b128 v[6:9], v1 offset:1840
	v_fma_f64 v[12:13], v[12:13], v[30:31], v[18:19]
	v_fma_f64 v[10:11], v[10:11], v[30:31], -v[20:21]
	s_wait_loadcnt_dscnt 0x101
	v_mul_f64_e32 v[26:27], v[2:3], v[36:37]
	v_mul_f64_e32 v[28:29], v[4:5], v[36:37]
	s_wait_loadcnt_dscnt 0x0
	v_mul_f64_e32 v[18:19], v[6:7], v[40:41]
	v_mul_f64_e32 v[20:21], v[8:9], v[40:41]
	v_add_f64_e32 v[14:15], v[14:15], v[24:25]
	v_add_f64_e32 v[16:17], v[16:17], v[22:23]
	v_fma_f64 v[4:5], v[4:5], v[34:35], v[26:27]
	v_fma_f64 v[1:2], v[2:3], v[34:35], -v[28:29]
	v_fma_f64 v[8:9], v[8:9], v[38:39], v[18:19]
	v_fma_f64 v[6:7], v[6:7], v[38:39], -v[20:21]
	v_add_f64_e32 v[10:11], v[14:15], v[10:11]
	v_add_f64_e32 v[12:13], v[16:17], v[12:13]
	s_delay_alu instid0(VALU_DEP_2) | instskip(NEXT) | instid1(VALU_DEP_2)
	v_add_f64_e32 v[1:2], v[10:11], v[1:2]
	v_add_f64_e32 v[3:4], v[12:13], v[4:5]
	s_delay_alu instid0(VALU_DEP_2) | instskip(NEXT) | instid1(VALU_DEP_2)
	;; [unrolled: 3-line block ×3, first 2 shown]
	v_add_f64_e64 v[1:2], v[163:164], -v[1:2]
	v_add_f64_e64 v[3:4], v[165:166], -v[3:4]
	scratch_store_b128 off, v[1:4], off offset:288
	v_cmpx_lt_u32_e32 16, v0
	s_cbranch_execz .LBB121_329
; %bb.328:
	scratch_load_b128 v[1:4], off, s55
	v_mov_b32_e32 v5, 0
	s_delay_alu instid0(VALU_DEP_1)
	v_dual_mov_b32 v6, v5 :: v_dual_mov_b32 v7, v5
	v_mov_b32_e32 v8, v5
	scratch_store_b128 off, v[5:8], off offset:272
	s_wait_loadcnt 0x0
	ds_store_b128 v162, v[1:4]
.LBB121_329:
	s_wait_alu 0xfffe
	s_or_b32 exec_lo, exec_lo, s0
	s_wait_storecnt_dscnt 0x0
	s_barrier_signal -1
	s_barrier_wait -1
	global_inv scope:SCOPE_SE
	s_clause 0x7
	scratch_load_b128 v[2:5], off, off offset:288
	scratch_load_b128 v[6:9], off, off offset:304
	;; [unrolled: 1-line block ×8, first 2 shown]
	v_mov_b32_e32 v1, 0
	s_mov_b32 s0, exec_lo
	ds_load_b128 v[38:41], v1 offset:1200
	s_clause 0x1
	scratch_load_b128 v[34:37], off, off offset:416
	scratch_load_b128 v[42:45], off, off offset:272
	ds_load_b128 v[163:166], v1 offset:1216
	scratch_load_b128 v[167:170], off, off offset:432
	s_wait_loadcnt_dscnt 0xa01
	v_mul_f64_e32 v[171:172], v[40:41], v[4:5]
	v_mul_f64_e32 v[4:5], v[38:39], v[4:5]
	s_delay_alu instid0(VALU_DEP_2) | instskip(NEXT) | instid1(VALU_DEP_2)
	v_fma_f64 v[177:178], v[38:39], v[2:3], -v[171:172]
	v_fma_f64 v[179:180], v[40:41], v[2:3], v[4:5]
	ds_load_b128 v[2:5], v1 offset:1232
	s_wait_loadcnt_dscnt 0x901
	v_mul_f64_e32 v[175:176], v[163:164], v[8:9]
	v_mul_f64_e32 v[8:9], v[165:166], v[8:9]
	scratch_load_b128 v[38:41], off, off offset:448
	ds_load_b128 v[171:174], v1 offset:1248
	s_wait_loadcnt_dscnt 0x901
	v_mul_f64_e32 v[181:182], v[2:3], v[12:13]
	v_mul_f64_e32 v[12:13], v[4:5], v[12:13]
	v_fma_f64 v[165:166], v[165:166], v[6:7], v[175:176]
	v_fma_f64 v[163:164], v[163:164], v[6:7], -v[8:9]
	v_add_f64_e32 v[175:176], 0, v[177:178]
	v_add_f64_e32 v[177:178], 0, v[179:180]
	scratch_load_b128 v[6:9], off, off offset:464
	v_fma_f64 v[181:182], v[4:5], v[10:11], v[181:182]
	v_fma_f64 v[183:184], v[2:3], v[10:11], -v[12:13]
	ds_load_b128 v[2:5], v1 offset:1264
	s_wait_loadcnt_dscnt 0x901
	v_mul_f64_e32 v[179:180], v[171:172], v[16:17]
	v_mul_f64_e32 v[16:17], v[173:174], v[16:17]
	scratch_load_b128 v[10:13], off, off offset:480
	v_add_f64_e32 v[175:176], v[175:176], v[163:164]
	v_add_f64_e32 v[177:178], v[177:178], v[165:166]
	s_wait_loadcnt_dscnt 0x900
	v_mul_f64_e32 v[185:186], v[2:3], v[20:21]
	v_mul_f64_e32 v[20:21], v[4:5], v[20:21]
	ds_load_b128 v[163:166], v1 offset:1280
	v_fma_f64 v[173:174], v[173:174], v[14:15], v[179:180]
	v_fma_f64 v[171:172], v[171:172], v[14:15], -v[16:17]
	scratch_load_b128 v[14:17], off, off offset:496
	v_add_f64_e32 v[175:176], v[175:176], v[183:184]
	v_add_f64_e32 v[177:178], v[177:178], v[181:182]
	v_fma_f64 v[181:182], v[4:5], v[18:19], v[185:186]
	v_fma_f64 v[183:184], v[2:3], v[18:19], -v[20:21]
	ds_load_b128 v[2:5], v1 offset:1296
	s_wait_loadcnt_dscnt 0x901
	v_mul_f64_e32 v[179:180], v[163:164], v[24:25]
	v_mul_f64_e32 v[24:25], v[165:166], v[24:25]
	scratch_load_b128 v[18:21], off, off offset:512
	s_wait_loadcnt_dscnt 0x900
	v_mul_f64_e32 v[185:186], v[2:3], v[28:29]
	v_mul_f64_e32 v[28:29], v[4:5], v[28:29]
	v_add_f64_e32 v[175:176], v[175:176], v[171:172]
	v_add_f64_e32 v[177:178], v[177:178], v[173:174]
	ds_load_b128 v[171:174], v1 offset:1312
	v_fma_f64 v[165:166], v[165:166], v[22:23], v[179:180]
	v_fma_f64 v[163:164], v[163:164], v[22:23], -v[24:25]
	scratch_load_b128 v[22:25], off, off offset:528
	v_add_f64_e32 v[175:176], v[175:176], v[183:184]
	v_add_f64_e32 v[177:178], v[177:178], v[181:182]
	v_fma_f64 v[181:182], v[4:5], v[26:27], v[185:186]
	v_fma_f64 v[183:184], v[2:3], v[26:27], -v[28:29]
	ds_load_b128 v[2:5], v1 offset:1328
	s_wait_loadcnt_dscnt 0x901
	v_mul_f64_e32 v[179:180], v[171:172], v[32:33]
	v_mul_f64_e32 v[32:33], v[173:174], v[32:33]
	scratch_load_b128 v[26:29], off, off offset:544
	s_wait_loadcnt_dscnt 0x900
	v_mul_f64_e32 v[185:186], v[2:3], v[36:37]
	v_mul_f64_e32 v[36:37], v[4:5], v[36:37]
	v_add_f64_e32 v[175:176], v[175:176], v[163:164]
	v_add_f64_e32 v[177:178], v[177:178], v[165:166]
	ds_load_b128 v[163:166], v1 offset:1344
	v_fma_f64 v[173:174], v[173:174], v[30:31], v[179:180]
	v_fma_f64 v[171:172], v[171:172], v[30:31], -v[32:33]
	scratch_load_b128 v[30:33], off, off offset:560
	v_add_f64_e32 v[175:176], v[175:176], v[183:184]
	v_add_f64_e32 v[177:178], v[177:178], v[181:182]
	v_fma_f64 v[183:184], v[4:5], v[34:35], v[185:186]
	v_fma_f64 v[185:186], v[2:3], v[34:35], -v[36:37]
	ds_load_b128 v[2:5], v1 offset:1360
	s_wait_loadcnt_dscnt 0x801
	v_mul_f64_e32 v[179:180], v[163:164], v[169:170]
	v_mul_f64_e32 v[181:182], v[165:166], v[169:170]
	scratch_load_b128 v[34:37], off, off offset:576
	v_add_f64_e32 v[175:176], v[175:176], v[171:172]
	v_add_f64_e32 v[173:174], v[177:178], v[173:174]
	ds_load_b128 v[169:172], v1 offset:1376
	v_fma_f64 v[179:180], v[165:166], v[167:168], v[179:180]
	v_fma_f64 v[167:168], v[163:164], v[167:168], -v[181:182]
	scratch_load_b128 v[163:166], off, off offset:592
	s_wait_loadcnt_dscnt 0x901
	v_mul_f64_e32 v[177:178], v[2:3], v[40:41]
	v_mul_f64_e32 v[40:41], v[4:5], v[40:41]
	v_add_f64_e32 v[175:176], v[175:176], v[185:186]
	v_add_f64_e32 v[173:174], v[173:174], v[183:184]
	s_delay_alu instid0(VALU_DEP_4) | instskip(NEXT) | instid1(VALU_DEP_4)
	v_fma_f64 v[177:178], v[4:5], v[38:39], v[177:178]
	v_fma_f64 v[183:184], v[2:3], v[38:39], -v[40:41]
	ds_load_b128 v[2:5], v1 offset:1392
	s_wait_loadcnt_dscnt 0x801
	v_mul_f64_e32 v[181:182], v[169:170], v[8:9]
	v_mul_f64_e32 v[8:9], v[171:172], v[8:9]
	scratch_load_b128 v[38:41], off, off offset:608
	s_wait_loadcnt_dscnt 0x800
	v_mul_f64_e32 v[185:186], v[2:3], v[12:13]
	v_add_f64_e32 v[167:168], v[175:176], v[167:168]
	v_add_f64_e32 v[179:180], v[173:174], v[179:180]
	v_mul_f64_e32 v[12:13], v[4:5], v[12:13]
	ds_load_b128 v[173:176], v1 offset:1408
	v_fma_f64 v[171:172], v[171:172], v[6:7], v[181:182]
	v_fma_f64 v[169:170], v[169:170], v[6:7], -v[8:9]
	scratch_load_b128 v[6:9], off, off offset:624
	v_fma_f64 v[181:182], v[4:5], v[10:11], v[185:186]
	v_add_f64_e32 v[167:168], v[167:168], v[183:184]
	v_add_f64_e32 v[177:178], v[179:180], v[177:178]
	v_fma_f64 v[183:184], v[2:3], v[10:11], -v[12:13]
	ds_load_b128 v[2:5], v1 offset:1424
	s_wait_loadcnt_dscnt 0x801
	v_mul_f64_e32 v[179:180], v[173:174], v[16:17]
	v_mul_f64_e32 v[16:17], v[175:176], v[16:17]
	scratch_load_b128 v[10:13], off, off offset:640
	v_add_f64_e32 v[185:186], v[167:168], v[169:170]
	v_add_f64_e32 v[171:172], v[177:178], v[171:172]
	s_wait_loadcnt_dscnt 0x800
	v_mul_f64_e32 v[177:178], v[2:3], v[20:21]
	v_mul_f64_e32 v[20:21], v[4:5], v[20:21]
	v_fma_f64 v[175:176], v[175:176], v[14:15], v[179:180]
	v_fma_f64 v[173:174], v[173:174], v[14:15], -v[16:17]
	ds_load_b128 v[167:170], v1 offset:1440
	scratch_load_b128 v[14:17], off, off offset:656
	v_add_f64_e32 v[179:180], v[185:186], v[183:184]
	v_add_f64_e32 v[171:172], v[171:172], v[181:182]
	v_fma_f64 v[177:178], v[4:5], v[18:19], v[177:178]
	v_fma_f64 v[183:184], v[2:3], v[18:19], -v[20:21]
	ds_load_b128 v[2:5], v1 offset:1456
	s_wait_loadcnt_dscnt 0x801
	v_mul_f64_e32 v[181:182], v[167:168], v[24:25]
	v_mul_f64_e32 v[24:25], v[169:170], v[24:25]
	scratch_load_b128 v[18:21], off, off offset:672
	s_wait_loadcnt_dscnt 0x800
	v_mul_f64_e32 v[185:186], v[2:3], v[28:29]
	v_mul_f64_e32 v[28:29], v[4:5], v[28:29]
	v_add_f64_e32 v[179:180], v[179:180], v[173:174]
	v_add_f64_e32 v[175:176], v[171:172], v[175:176]
	ds_load_b128 v[171:174], v1 offset:1472
	v_fma_f64 v[169:170], v[169:170], v[22:23], v[181:182]
	v_fma_f64 v[167:168], v[167:168], v[22:23], -v[24:25]
	scratch_load_b128 v[22:25], off, off offset:688
	v_fma_f64 v[181:182], v[4:5], v[26:27], v[185:186]
	v_add_f64_e32 v[179:180], v[179:180], v[183:184]
	v_add_f64_e32 v[175:176], v[175:176], v[177:178]
	v_fma_f64 v[183:184], v[2:3], v[26:27], -v[28:29]
	ds_load_b128 v[2:5], v1 offset:1488
	s_wait_loadcnt_dscnt 0x801
	v_mul_f64_e32 v[177:178], v[171:172], v[32:33]
	v_mul_f64_e32 v[32:33], v[173:174], v[32:33]
	scratch_load_b128 v[26:29], off, off offset:704
	s_wait_loadcnt_dscnt 0x800
	v_mul_f64_e32 v[185:186], v[2:3], v[36:37]
	v_mul_f64_e32 v[36:37], v[4:5], v[36:37]
	v_add_f64_e32 v[179:180], v[179:180], v[167:168]
	v_add_f64_e32 v[175:176], v[175:176], v[169:170]
	ds_load_b128 v[167:170], v1 offset:1504
	v_fma_f64 v[173:174], v[173:174], v[30:31], v[177:178]
	v_fma_f64 v[171:172], v[171:172], v[30:31], -v[32:33]
	scratch_load_b128 v[30:33], off, off offset:720
	v_add_f64_e32 v[177:178], v[179:180], v[183:184]
	v_add_f64_e32 v[175:176], v[175:176], v[181:182]
	v_fma_f64 v[181:182], v[4:5], v[34:35], v[185:186]
	v_fma_f64 v[183:184], v[2:3], v[34:35], -v[36:37]
	ds_load_b128 v[2:5], v1 offset:1520
	s_wait_loadcnt_dscnt 0x801
	v_mul_f64_e32 v[179:180], v[167:168], v[165:166]
	v_mul_f64_e32 v[165:166], v[169:170], v[165:166]
	scratch_load_b128 v[34:37], off, off offset:736
	s_wait_loadcnt_dscnt 0x800
	v_mul_f64_e32 v[185:186], v[2:3], v[40:41]
	v_mul_f64_e32 v[40:41], v[4:5], v[40:41]
	v_add_f64_e32 v[177:178], v[177:178], v[171:172]
	v_add_f64_e32 v[175:176], v[175:176], v[173:174]
	ds_load_b128 v[171:174], v1 offset:1536
	v_fma_f64 v[169:170], v[169:170], v[163:164], v[179:180]
	v_fma_f64 v[167:168], v[167:168], v[163:164], -v[165:166]
	scratch_load_b128 v[163:166], off, off offset:752
	v_add_f64_e32 v[177:178], v[177:178], v[183:184]
	v_add_f64_e32 v[175:176], v[175:176], v[181:182]
	v_fma_f64 v[181:182], v[4:5], v[38:39], v[185:186]
	;; [unrolled: 18-line block ×6, first 2 shown]
	v_fma_f64 v[185:186], v[2:3], v[34:35], -v[36:37]
	ds_load_b128 v[2:5], v1 offset:1680
	s_wait_loadcnt_dscnt 0x801
	v_mul_f64_e32 v[179:180], v[171:172], v[165:166]
	v_mul_f64_e32 v[181:182], v[173:174], v[165:166]
	scratch_load_b128 v[34:37], off, off offset:896
	v_add_f64_e32 v[177:178], v[177:178], v[167:168]
	v_add_f64_e32 v[169:170], v[175:176], v[169:170]
	s_wait_loadcnt_dscnt 0x800
	v_mul_f64_e32 v[175:176], v[2:3], v[40:41]
	v_mul_f64_e32 v[40:41], v[4:5], v[40:41]
	ds_load_b128 v[165:168], v1 offset:1696
	v_fma_f64 v[173:174], v[173:174], v[163:164], v[179:180]
	v_fma_f64 v[163:164], v[171:172], v[163:164], -v[181:182]
	v_add_f64_e32 v[177:178], v[177:178], v[185:186]
	v_add_f64_e32 v[179:180], v[169:170], v[183:184]
	scratch_load_b128 v[169:172], off, off offset:912
	v_fma_f64 v[183:184], v[4:5], v[38:39], v[175:176]
	v_fma_f64 v[185:186], v[2:3], v[38:39], -v[40:41]
	ds_load_b128 v[2:5], v1 offset:1712
	s_wait_loadcnt_dscnt 0x801
	v_mul_f64_e32 v[181:182], v[165:166], v[8:9]
	v_mul_f64_e32 v[8:9], v[167:168], v[8:9]
	scratch_load_b128 v[38:41], off, off offset:928
	v_add_f64_e32 v[163:164], v[177:178], v[163:164]
	v_add_f64_e32 v[177:178], v[179:180], v[173:174]
	s_wait_loadcnt_dscnt 0x800
	v_mul_f64_e32 v[179:180], v[2:3], v[12:13]
	v_mul_f64_e32 v[12:13], v[4:5], v[12:13]
	ds_load_b128 v[173:176], v1 offset:1728
	v_fma_f64 v[167:168], v[167:168], v[6:7], v[181:182]
	v_fma_f64 v[6:7], v[165:166], v[6:7], -v[8:9]
	s_wait_loadcnt_dscnt 0x700
	v_mul_f64_e32 v[165:166], v[173:174], v[16:17]
	v_mul_f64_e32 v[16:17], v[175:176], v[16:17]
	v_add_f64_e32 v[8:9], v[163:164], v[185:186]
	v_add_f64_e32 v[163:164], v[177:178], v[183:184]
	v_fma_f64 v[177:178], v[4:5], v[10:11], v[179:180]
	v_fma_f64 v[10:11], v[2:3], v[10:11], -v[12:13]
	v_fma_f64 v[165:166], v[175:176], v[14:15], v[165:166]
	v_fma_f64 v[14:15], v[173:174], v[14:15], -v[16:17]
	v_add_f64_e32 v[12:13], v[8:9], v[6:7]
	v_add_f64_e32 v[163:164], v[163:164], v[167:168]
	ds_load_b128 v[2:5], v1 offset:1744
	ds_load_b128 v[6:9], v1 offset:1760
	s_wait_loadcnt_dscnt 0x601
	v_mul_f64_e32 v[167:168], v[2:3], v[20:21]
	v_mul_f64_e32 v[20:21], v[4:5], v[20:21]
	s_wait_loadcnt_dscnt 0x500
	v_mul_f64_e32 v[16:17], v[6:7], v[24:25]
	v_mul_f64_e32 v[24:25], v[8:9], v[24:25]
	v_add_f64_e32 v[10:11], v[12:13], v[10:11]
	v_add_f64_e32 v[12:13], v[163:164], v[177:178]
	v_fma_f64 v[163:164], v[4:5], v[18:19], v[167:168]
	v_fma_f64 v[18:19], v[2:3], v[18:19], -v[20:21]
	v_fma_f64 v[8:9], v[8:9], v[22:23], v[16:17]
	v_fma_f64 v[6:7], v[6:7], v[22:23], -v[24:25]
	v_add_f64_e32 v[14:15], v[10:11], v[14:15]
	v_add_f64_e32 v[20:21], v[12:13], v[165:166]
	ds_load_b128 v[2:5], v1 offset:1776
	ds_load_b128 v[10:13], v1 offset:1792
	s_wait_loadcnt_dscnt 0x401
	v_mul_f64_e32 v[165:166], v[2:3], v[28:29]
	v_mul_f64_e32 v[28:29], v[4:5], v[28:29]
	v_add_f64_e32 v[14:15], v[14:15], v[18:19]
	v_add_f64_e32 v[16:17], v[20:21], v[163:164]
	s_wait_loadcnt_dscnt 0x300
	v_mul_f64_e32 v[18:19], v[10:11], v[32:33]
	v_mul_f64_e32 v[20:21], v[12:13], v[32:33]
	v_fma_f64 v[22:23], v[4:5], v[26:27], v[165:166]
	v_fma_f64 v[24:25], v[2:3], v[26:27], -v[28:29]
	v_add_f64_e32 v[14:15], v[14:15], v[6:7]
	v_add_f64_e32 v[16:17], v[16:17], v[8:9]
	ds_load_b128 v[2:5], v1 offset:1808
	ds_load_b128 v[6:9], v1 offset:1824
	v_fma_f64 v[12:13], v[12:13], v[30:31], v[18:19]
	v_fma_f64 v[10:11], v[10:11], v[30:31], -v[20:21]
	s_wait_loadcnt_dscnt 0x201
	v_mul_f64_e32 v[26:27], v[2:3], v[36:37]
	v_mul_f64_e32 v[28:29], v[4:5], v[36:37]
	v_add_f64_e32 v[14:15], v[14:15], v[24:25]
	v_add_f64_e32 v[16:17], v[16:17], v[22:23]
	s_wait_loadcnt_dscnt 0x100
	v_mul_f64_e32 v[18:19], v[6:7], v[171:172]
	v_mul_f64_e32 v[20:21], v[8:9], v[171:172]
	v_fma_f64 v[22:23], v[4:5], v[34:35], v[26:27]
	v_fma_f64 v[24:25], v[2:3], v[34:35], -v[28:29]
	ds_load_b128 v[2:5], v1 offset:1840
	v_add_f64_e32 v[10:11], v[14:15], v[10:11]
	v_add_f64_e32 v[12:13], v[16:17], v[12:13]
	s_wait_loadcnt_dscnt 0x0
	v_mul_f64_e32 v[14:15], v[2:3], v[40:41]
	v_mul_f64_e32 v[16:17], v[4:5], v[40:41]
	v_fma_f64 v[8:9], v[8:9], v[169:170], v[18:19]
	v_fma_f64 v[6:7], v[6:7], v[169:170], -v[20:21]
	v_add_f64_e32 v[10:11], v[10:11], v[24:25]
	v_add_f64_e32 v[12:13], v[12:13], v[22:23]
	v_fma_f64 v[4:5], v[4:5], v[38:39], v[14:15]
	v_fma_f64 v[2:3], v[2:3], v[38:39], -v[16:17]
	s_delay_alu instid0(VALU_DEP_4) | instskip(NEXT) | instid1(VALU_DEP_4)
	v_add_f64_e32 v[6:7], v[10:11], v[6:7]
	v_add_f64_e32 v[8:9], v[12:13], v[8:9]
	s_delay_alu instid0(VALU_DEP_2) | instskip(NEXT) | instid1(VALU_DEP_2)
	v_add_f64_e32 v[2:3], v[6:7], v[2:3]
	v_add_f64_e32 v[4:5], v[8:9], v[4:5]
	s_delay_alu instid0(VALU_DEP_2) | instskip(NEXT) | instid1(VALU_DEP_2)
	v_add_f64_e64 v[2:3], v[42:43], -v[2:3]
	v_add_f64_e64 v[4:5], v[44:45], -v[4:5]
	scratch_store_b128 off, v[2:5], off offset:272
	v_cmpx_lt_u32_e32 15, v0
	s_cbranch_execz .LBB121_331
; %bb.330:
	scratch_load_b128 v[5:8], off, s56
	v_dual_mov_b32 v2, v1 :: v_dual_mov_b32 v3, v1
	v_mov_b32_e32 v4, v1
	scratch_store_b128 off, v[1:4], off offset:256
	s_wait_loadcnt 0x0
	ds_store_b128 v162, v[5:8]
.LBB121_331:
	s_wait_alu 0xfffe
	s_or_b32 exec_lo, exec_lo, s0
	s_wait_storecnt_dscnt 0x0
	s_barrier_signal -1
	s_barrier_wait -1
	global_inv scope:SCOPE_SE
	s_clause 0x8
	scratch_load_b128 v[2:5], off, off offset:272
	scratch_load_b128 v[6:9], off, off offset:288
	;; [unrolled: 1-line block ×9, first 2 shown]
	ds_load_b128 v[42:45], v1 offset:1184
	ds_load_b128 v[38:41], v1 offset:1200
	s_clause 0x1
	scratch_load_b128 v[163:166], off, off offset:256
	scratch_load_b128 v[167:170], off, off offset:416
	s_mov_b32 s0, exec_lo
	s_wait_loadcnt_dscnt 0xa01
	v_mul_f64_e32 v[171:172], v[44:45], v[4:5]
	v_mul_f64_e32 v[4:5], v[42:43], v[4:5]
	s_wait_loadcnt_dscnt 0x900
	v_mul_f64_e32 v[175:176], v[38:39], v[8:9]
	v_mul_f64_e32 v[8:9], v[40:41], v[8:9]
	s_delay_alu instid0(VALU_DEP_4) | instskip(NEXT) | instid1(VALU_DEP_4)
	v_fma_f64 v[177:178], v[42:43], v[2:3], -v[171:172]
	v_fma_f64 v[179:180], v[44:45], v[2:3], v[4:5]
	ds_load_b128 v[2:5], v1 offset:1216
	ds_load_b128 v[171:174], v1 offset:1232
	scratch_load_b128 v[42:45], off, off offset:432
	v_fma_f64 v[40:41], v[40:41], v[6:7], v[175:176]
	v_fma_f64 v[38:39], v[38:39], v[6:7], -v[8:9]
	scratch_load_b128 v[6:9], off, off offset:448
	s_wait_loadcnt_dscnt 0xa01
	v_mul_f64_e32 v[181:182], v[2:3], v[12:13]
	v_mul_f64_e32 v[12:13], v[4:5], v[12:13]
	v_add_f64_e32 v[175:176], 0, v[177:178]
	v_add_f64_e32 v[177:178], 0, v[179:180]
	s_wait_loadcnt_dscnt 0x900
	v_mul_f64_e32 v[179:180], v[171:172], v[16:17]
	v_mul_f64_e32 v[16:17], v[173:174], v[16:17]
	v_fma_f64 v[181:182], v[4:5], v[10:11], v[181:182]
	v_fma_f64 v[183:184], v[2:3], v[10:11], -v[12:13]
	ds_load_b128 v[2:5], v1 offset:1248
	scratch_load_b128 v[10:13], off, off offset:464
	v_add_f64_e32 v[175:176], v[175:176], v[38:39]
	v_add_f64_e32 v[177:178], v[177:178], v[40:41]
	ds_load_b128 v[38:41], v1 offset:1264
	v_fma_f64 v[173:174], v[173:174], v[14:15], v[179:180]
	v_fma_f64 v[171:172], v[171:172], v[14:15], -v[16:17]
	scratch_load_b128 v[14:17], off, off offset:480
	s_wait_loadcnt_dscnt 0xa01
	v_mul_f64_e32 v[185:186], v[2:3], v[20:21]
	v_mul_f64_e32 v[20:21], v[4:5], v[20:21]
	s_wait_loadcnt_dscnt 0x900
	v_mul_f64_e32 v[179:180], v[38:39], v[24:25]
	v_mul_f64_e32 v[24:25], v[40:41], v[24:25]
	v_add_f64_e32 v[175:176], v[175:176], v[183:184]
	v_add_f64_e32 v[177:178], v[177:178], v[181:182]
	v_fma_f64 v[181:182], v[4:5], v[18:19], v[185:186]
	v_fma_f64 v[183:184], v[2:3], v[18:19], -v[20:21]
	ds_load_b128 v[2:5], v1 offset:1280
	scratch_load_b128 v[18:21], off, off offset:496
	v_fma_f64 v[40:41], v[40:41], v[22:23], v[179:180]
	v_fma_f64 v[38:39], v[38:39], v[22:23], -v[24:25]
	scratch_load_b128 v[22:25], off, off offset:512
	v_add_f64_e32 v[175:176], v[175:176], v[171:172]
	v_add_f64_e32 v[177:178], v[177:178], v[173:174]
	ds_load_b128 v[171:174], v1 offset:1296
	s_wait_loadcnt_dscnt 0xa01
	v_mul_f64_e32 v[185:186], v[2:3], v[28:29]
	v_mul_f64_e32 v[28:29], v[4:5], v[28:29]
	s_wait_loadcnt_dscnt 0x900
	v_mul_f64_e32 v[179:180], v[171:172], v[32:33]
	v_mul_f64_e32 v[32:33], v[173:174], v[32:33]
	v_add_f64_e32 v[175:176], v[175:176], v[183:184]
	v_add_f64_e32 v[177:178], v[177:178], v[181:182]
	v_fma_f64 v[181:182], v[4:5], v[26:27], v[185:186]
	v_fma_f64 v[183:184], v[2:3], v[26:27], -v[28:29]
	ds_load_b128 v[2:5], v1 offset:1312
	scratch_load_b128 v[26:29], off, off offset:528
	v_fma_f64 v[173:174], v[173:174], v[30:31], v[179:180]
	v_fma_f64 v[171:172], v[171:172], v[30:31], -v[32:33]
	scratch_load_b128 v[30:33], off, off offset:544
	v_add_f64_e32 v[175:176], v[175:176], v[38:39]
	v_add_f64_e32 v[177:178], v[177:178], v[40:41]
	ds_load_b128 v[38:41], v1 offset:1328
	s_wait_loadcnt_dscnt 0xa01
	v_mul_f64_e32 v[185:186], v[2:3], v[36:37]
	v_mul_f64_e32 v[36:37], v[4:5], v[36:37]
	s_wait_loadcnt_dscnt 0x800
	v_mul_f64_e32 v[179:180], v[38:39], v[169:170]
	v_add_f64_e32 v[175:176], v[175:176], v[183:184]
	v_add_f64_e32 v[177:178], v[177:178], v[181:182]
	v_mul_f64_e32 v[181:182], v[40:41], v[169:170]
	v_fma_f64 v[183:184], v[4:5], v[34:35], v[185:186]
	v_fma_f64 v[185:186], v[2:3], v[34:35], -v[36:37]
	ds_load_b128 v[2:5], v1 offset:1344
	scratch_load_b128 v[34:37], off, off offset:560
	v_fma_f64 v[179:180], v[40:41], v[167:168], v[179:180]
	v_add_f64_e32 v[175:176], v[175:176], v[171:172]
	v_add_f64_e32 v[173:174], v[177:178], v[173:174]
	ds_load_b128 v[169:172], v1 offset:1360
	v_fma_f64 v[167:168], v[38:39], v[167:168], -v[181:182]
	scratch_load_b128 v[38:41], off, off offset:576
	s_wait_loadcnt_dscnt 0x901
	v_mul_f64_e32 v[177:178], v[2:3], v[44:45]
	v_mul_f64_e32 v[44:45], v[4:5], v[44:45]
	s_wait_loadcnt_dscnt 0x800
	v_mul_f64_e32 v[181:182], v[169:170], v[8:9]
	v_mul_f64_e32 v[8:9], v[171:172], v[8:9]
	v_add_f64_e32 v[175:176], v[175:176], v[185:186]
	v_add_f64_e32 v[173:174], v[173:174], v[183:184]
	v_fma_f64 v[177:178], v[4:5], v[42:43], v[177:178]
	v_fma_f64 v[183:184], v[2:3], v[42:43], -v[44:45]
	ds_load_b128 v[2:5], v1 offset:1376
	scratch_load_b128 v[42:45], off, off offset:592
	v_fma_f64 v[171:172], v[171:172], v[6:7], v[181:182]
	v_fma_f64 v[169:170], v[169:170], v[6:7], -v[8:9]
	scratch_load_b128 v[6:9], off, off offset:608
	v_add_f64_e32 v[167:168], v[175:176], v[167:168]
	v_add_f64_e32 v[179:180], v[173:174], v[179:180]
	ds_load_b128 v[173:176], v1 offset:1392
	s_wait_loadcnt_dscnt 0x901
	v_mul_f64_e32 v[185:186], v[2:3], v[12:13]
	v_mul_f64_e32 v[12:13], v[4:5], v[12:13]
	v_add_f64_e32 v[167:168], v[167:168], v[183:184]
	v_add_f64_e32 v[177:178], v[179:180], v[177:178]
	s_wait_loadcnt_dscnt 0x800
	v_mul_f64_e32 v[179:180], v[173:174], v[16:17]
	v_mul_f64_e32 v[16:17], v[175:176], v[16:17]
	v_fma_f64 v[181:182], v[4:5], v[10:11], v[185:186]
	v_fma_f64 v[183:184], v[2:3], v[10:11], -v[12:13]
	ds_load_b128 v[2:5], v1 offset:1408
	scratch_load_b128 v[10:13], off, off offset:624
	v_add_f64_e32 v[185:186], v[167:168], v[169:170]
	v_add_f64_e32 v[171:172], v[177:178], v[171:172]
	ds_load_b128 v[167:170], v1 offset:1424
	s_wait_loadcnt_dscnt 0x801
	v_mul_f64_e32 v[177:178], v[2:3], v[20:21]
	v_mul_f64_e32 v[20:21], v[4:5], v[20:21]
	v_fma_f64 v[175:176], v[175:176], v[14:15], v[179:180]
	v_fma_f64 v[173:174], v[173:174], v[14:15], -v[16:17]
	scratch_load_b128 v[14:17], off, off offset:640
	v_add_f64_e32 v[179:180], v[185:186], v[183:184]
	v_add_f64_e32 v[171:172], v[171:172], v[181:182]
	s_wait_loadcnt_dscnt 0x800
	v_mul_f64_e32 v[181:182], v[167:168], v[24:25]
	v_mul_f64_e32 v[24:25], v[169:170], v[24:25]
	v_fma_f64 v[177:178], v[4:5], v[18:19], v[177:178]
	v_fma_f64 v[183:184], v[2:3], v[18:19], -v[20:21]
	ds_load_b128 v[2:5], v1 offset:1440
	scratch_load_b128 v[18:21], off, off offset:656
	v_add_f64_e32 v[179:180], v[179:180], v[173:174]
	v_add_f64_e32 v[175:176], v[171:172], v[175:176]
	ds_load_b128 v[171:174], v1 offset:1456
	s_wait_loadcnt_dscnt 0x801
	v_mul_f64_e32 v[185:186], v[2:3], v[28:29]
	v_mul_f64_e32 v[28:29], v[4:5], v[28:29]
	v_fma_f64 v[169:170], v[169:170], v[22:23], v[181:182]
	v_fma_f64 v[167:168], v[167:168], v[22:23], -v[24:25]
	scratch_load_b128 v[22:25], off, off offset:672
	;; [unrolled: 18-line block ×4, first 2 shown]
	s_wait_loadcnt_dscnt 0x800
	v_mul_f64_e32 v[179:180], v[171:172], v[8:9]
	v_mul_f64_e32 v[8:9], v[173:174], v[8:9]
	v_add_f64_e32 v[177:178], v[177:178], v[183:184]
	v_add_f64_e32 v[175:176], v[175:176], v[181:182]
	v_fma_f64 v[181:182], v[4:5], v[42:43], v[185:186]
	v_fma_f64 v[183:184], v[2:3], v[42:43], -v[44:45]
	ds_load_b128 v[2:5], v1 offset:1536
	scratch_load_b128 v[42:45], off, off offset:752
	v_fma_f64 v[173:174], v[173:174], v[6:7], v[179:180]
	v_fma_f64 v[171:172], v[171:172], v[6:7], -v[8:9]
	scratch_load_b128 v[6:9], off, off offset:768
	v_add_f64_e32 v[177:178], v[177:178], v[167:168]
	v_add_f64_e32 v[175:176], v[175:176], v[169:170]
	ds_load_b128 v[167:170], v1 offset:1552
	s_wait_loadcnt_dscnt 0x901
	v_mul_f64_e32 v[185:186], v[2:3], v[12:13]
	v_mul_f64_e32 v[12:13], v[4:5], v[12:13]
	s_wait_loadcnt_dscnt 0x800
	v_mul_f64_e32 v[179:180], v[167:168], v[16:17]
	v_mul_f64_e32 v[16:17], v[169:170], v[16:17]
	v_add_f64_e32 v[177:178], v[177:178], v[183:184]
	v_add_f64_e32 v[175:176], v[175:176], v[181:182]
	v_fma_f64 v[181:182], v[4:5], v[10:11], v[185:186]
	v_fma_f64 v[183:184], v[2:3], v[10:11], -v[12:13]
	ds_load_b128 v[2:5], v1 offset:1568
	scratch_load_b128 v[10:13], off, off offset:784
	v_fma_f64 v[169:170], v[169:170], v[14:15], v[179:180]
	v_fma_f64 v[167:168], v[167:168], v[14:15], -v[16:17]
	scratch_load_b128 v[14:17], off, off offset:800
	v_add_f64_e32 v[177:178], v[177:178], v[171:172]
	v_add_f64_e32 v[175:176], v[175:176], v[173:174]
	ds_load_b128 v[171:174], v1 offset:1584
	s_wait_loadcnt_dscnt 0x901
	v_mul_f64_e32 v[185:186], v[2:3], v[20:21]
	v_mul_f64_e32 v[20:21], v[4:5], v[20:21]
	;; [unrolled: 18-line block ×6, first 2 shown]
	s_wait_loadcnt_dscnt 0x800
	v_mul_f64_e32 v[179:180], v[171:172], v[16:17]
	v_mul_f64_e32 v[16:17], v[173:174], v[16:17]
	v_add_f64_e32 v[177:178], v[177:178], v[183:184]
	v_add_f64_e32 v[175:176], v[175:176], v[181:182]
	v_fma_f64 v[181:182], v[4:5], v[10:11], v[185:186]
	v_fma_f64 v[183:184], v[2:3], v[10:11], -v[12:13]
	ds_load_b128 v[2:5], v1 offset:1728
	ds_load_b128 v[10:13], v1 offset:1744
	v_fma_f64 v[173:174], v[173:174], v[14:15], v[179:180]
	v_fma_f64 v[14:15], v[171:172], v[14:15], -v[16:17]
	v_add_f64_e32 v[167:168], v[177:178], v[167:168]
	v_add_f64_e32 v[169:170], v[175:176], v[169:170]
	s_wait_loadcnt_dscnt 0x701
	v_mul_f64_e32 v[175:176], v[2:3], v[20:21]
	v_mul_f64_e32 v[20:21], v[4:5], v[20:21]
	s_delay_alu instid0(VALU_DEP_4) | instskip(NEXT) | instid1(VALU_DEP_4)
	v_add_f64_e32 v[16:17], v[167:168], v[183:184]
	v_add_f64_e32 v[167:168], v[169:170], v[181:182]
	s_wait_loadcnt_dscnt 0x600
	v_mul_f64_e32 v[169:170], v[10:11], v[24:25]
	v_mul_f64_e32 v[24:25], v[12:13], v[24:25]
	v_fma_f64 v[171:172], v[4:5], v[18:19], v[175:176]
	v_fma_f64 v[18:19], v[2:3], v[18:19], -v[20:21]
	v_add_f64_e32 v[20:21], v[16:17], v[14:15]
	v_add_f64_e32 v[167:168], v[167:168], v[173:174]
	ds_load_b128 v[2:5], v1 offset:1760
	ds_load_b128 v[14:17], v1 offset:1776
	v_fma_f64 v[12:13], v[12:13], v[22:23], v[169:170]
	v_fma_f64 v[10:11], v[10:11], v[22:23], -v[24:25]
	s_wait_loadcnt_dscnt 0x501
	v_mul_f64_e32 v[173:174], v[2:3], v[28:29]
	v_mul_f64_e32 v[28:29], v[4:5], v[28:29]
	s_wait_loadcnt_dscnt 0x400
	v_mul_f64_e32 v[22:23], v[14:15], v[32:33]
	v_mul_f64_e32 v[24:25], v[16:17], v[32:33]
	v_add_f64_e32 v[18:19], v[20:21], v[18:19]
	v_add_f64_e32 v[20:21], v[167:168], v[171:172]
	v_fma_f64 v[32:33], v[4:5], v[26:27], v[173:174]
	v_fma_f64 v[26:27], v[2:3], v[26:27], -v[28:29]
	v_fma_f64 v[16:17], v[16:17], v[30:31], v[22:23]
	v_fma_f64 v[14:15], v[14:15], v[30:31], -v[24:25]
	v_add_f64_e32 v[18:19], v[18:19], v[10:11]
	v_add_f64_e32 v[20:21], v[20:21], v[12:13]
	ds_load_b128 v[2:5], v1 offset:1792
	ds_load_b128 v[10:13], v1 offset:1808
	s_wait_loadcnt_dscnt 0x301
	v_mul_f64_e32 v[28:29], v[2:3], v[36:37]
	v_mul_f64_e32 v[36:37], v[4:5], v[36:37]
	s_wait_loadcnt_dscnt 0x200
	v_mul_f64_e32 v[22:23], v[10:11], v[40:41]
	v_mul_f64_e32 v[24:25], v[12:13], v[40:41]
	v_add_f64_e32 v[18:19], v[18:19], v[26:27]
	v_add_f64_e32 v[20:21], v[20:21], v[32:33]
	v_fma_f64 v[26:27], v[4:5], v[34:35], v[28:29]
	v_fma_f64 v[28:29], v[2:3], v[34:35], -v[36:37]
	v_fma_f64 v[12:13], v[12:13], v[38:39], v[22:23]
	v_fma_f64 v[10:11], v[10:11], v[38:39], -v[24:25]
	v_add_f64_e32 v[18:19], v[18:19], v[14:15]
	v_add_f64_e32 v[20:21], v[20:21], v[16:17]
	ds_load_b128 v[2:5], v1 offset:1824
	ds_load_b128 v[14:17], v1 offset:1840
	s_wait_loadcnt_dscnt 0x101
	v_mul_f64_e32 v[30:31], v[2:3], v[44:45]
	v_mul_f64_e32 v[32:33], v[4:5], v[44:45]
	s_wait_loadcnt_dscnt 0x0
	v_mul_f64_e32 v[22:23], v[14:15], v[8:9]
	v_mul_f64_e32 v[8:9], v[16:17], v[8:9]
	v_add_f64_e32 v[18:19], v[18:19], v[28:29]
	v_add_f64_e32 v[20:21], v[20:21], v[26:27]
	v_fma_f64 v[4:5], v[4:5], v[42:43], v[30:31]
	v_fma_f64 v[1:2], v[2:3], v[42:43], -v[32:33]
	v_fma_f64 v[16:17], v[16:17], v[6:7], v[22:23]
	v_fma_f64 v[6:7], v[14:15], v[6:7], -v[8:9]
	v_add_f64_e32 v[10:11], v[18:19], v[10:11]
	v_add_f64_e32 v[12:13], v[20:21], v[12:13]
	s_delay_alu instid0(VALU_DEP_2) | instskip(NEXT) | instid1(VALU_DEP_2)
	v_add_f64_e32 v[1:2], v[10:11], v[1:2]
	v_add_f64_e32 v[3:4], v[12:13], v[4:5]
	s_delay_alu instid0(VALU_DEP_2) | instskip(NEXT) | instid1(VALU_DEP_2)
	;; [unrolled: 3-line block ×3, first 2 shown]
	v_add_f64_e64 v[1:2], v[163:164], -v[1:2]
	v_add_f64_e64 v[3:4], v[165:166], -v[3:4]
	scratch_store_b128 off, v[1:4], off offset:256
	v_cmpx_lt_u32_e32 14, v0
	s_cbranch_execz .LBB121_333
; %bb.332:
	scratch_load_b128 v[1:4], off, s57
	v_mov_b32_e32 v5, 0
	s_delay_alu instid0(VALU_DEP_1)
	v_dual_mov_b32 v6, v5 :: v_dual_mov_b32 v7, v5
	v_mov_b32_e32 v8, v5
	scratch_store_b128 off, v[5:8], off offset:240
	s_wait_loadcnt 0x0
	ds_store_b128 v162, v[1:4]
.LBB121_333:
	s_wait_alu 0xfffe
	s_or_b32 exec_lo, exec_lo, s0
	s_wait_storecnt_dscnt 0x0
	s_barrier_signal -1
	s_barrier_wait -1
	global_inv scope:SCOPE_SE
	s_clause 0x7
	scratch_load_b128 v[2:5], off, off offset:256
	scratch_load_b128 v[6:9], off, off offset:272
	;; [unrolled: 1-line block ×8, first 2 shown]
	v_mov_b32_e32 v1, 0
	s_mov_b32 s0, exec_lo
	ds_load_b128 v[38:41], v1 offset:1168
	s_clause 0x1
	scratch_load_b128 v[34:37], off, off offset:384
	scratch_load_b128 v[42:45], off, off offset:240
	ds_load_b128 v[163:166], v1 offset:1184
	scratch_load_b128 v[167:170], off, off offset:400
	s_wait_loadcnt_dscnt 0xa01
	v_mul_f64_e32 v[171:172], v[40:41], v[4:5]
	v_mul_f64_e32 v[4:5], v[38:39], v[4:5]
	s_delay_alu instid0(VALU_DEP_2) | instskip(NEXT) | instid1(VALU_DEP_2)
	v_fma_f64 v[177:178], v[38:39], v[2:3], -v[171:172]
	v_fma_f64 v[179:180], v[40:41], v[2:3], v[4:5]
	ds_load_b128 v[2:5], v1 offset:1200
	s_wait_loadcnt_dscnt 0x901
	v_mul_f64_e32 v[175:176], v[163:164], v[8:9]
	v_mul_f64_e32 v[8:9], v[165:166], v[8:9]
	scratch_load_b128 v[38:41], off, off offset:416
	ds_load_b128 v[171:174], v1 offset:1216
	s_wait_loadcnt_dscnt 0x901
	v_mul_f64_e32 v[181:182], v[2:3], v[12:13]
	v_mul_f64_e32 v[12:13], v[4:5], v[12:13]
	v_fma_f64 v[165:166], v[165:166], v[6:7], v[175:176]
	v_fma_f64 v[163:164], v[163:164], v[6:7], -v[8:9]
	v_add_f64_e32 v[175:176], 0, v[177:178]
	v_add_f64_e32 v[177:178], 0, v[179:180]
	scratch_load_b128 v[6:9], off, off offset:432
	v_fma_f64 v[181:182], v[4:5], v[10:11], v[181:182]
	v_fma_f64 v[183:184], v[2:3], v[10:11], -v[12:13]
	ds_load_b128 v[2:5], v1 offset:1232
	s_wait_loadcnt_dscnt 0x901
	v_mul_f64_e32 v[179:180], v[171:172], v[16:17]
	v_mul_f64_e32 v[16:17], v[173:174], v[16:17]
	scratch_load_b128 v[10:13], off, off offset:448
	v_add_f64_e32 v[175:176], v[175:176], v[163:164]
	v_add_f64_e32 v[177:178], v[177:178], v[165:166]
	s_wait_loadcnt_dscnt 0x900
	v_mul_f64_e32 v[185:186], v[2:3], v[20:21]
	v_mul_f64_e32 v[20:21], v[4:5], v[20:21]
	ds_load_b128 v[163:166], v1 offset:1248
	v_fma_f64 v[173:174], v[173:174], v[14:15], v[179:180]
	v_fma_f64 v[171:172], v[171:172], v[14:15], -v[16:17]
	scratch_load_b128 v[14:17], off, off offset:464
	v_add_f64_e32 v[175:176], v[175:176], v[183:184]
	v_add_f64_e32 v[177:178], v[177:178], v[181:182]
	v_fma_f64 v[181:182], v[4:5], v[18:19], v[185:186]
	v_fma_f64 v[183:184], v[2:3], v[18:19], -v[20:21]
	ds_load_b128 v[2:5], v1 offset:1264
	s_wait_loadcnt_dscnt 0x901
	v_mul_f64_e32 v[179:180], v[163:164], v[24:25]
	v_mul_f64_e32 v[24:25], v[165:166], v[24:25]
	scratch_load_b128 v[18:21], off, off offset:480
	s_wait_loadcnt_dscnt 0x900
	v_mul_f64_e32 v[185:186], v[2:3], v[28:29]
	v_mul_f64_e32 v[28:29], v[4:5], v[28:29]
	v_add_f64_e32 v[175:176], v[175:176], v[171:172]
	v_add_f64_e32 v[177:178], v[177:178], v[173:174]
	ds_load_b128 v[171:174], v1 offset:1280
	v_fma_f64 v[165:166], v[165:166], v[22:23], v[179:180]
	v_fma_f64 v[163:164], v[163:164], v[22:23], -v[24:25]
	scratch_load_b128 v[22:25], off, off offset:496
	v_add_f64_e32 v[175:176], v[175:176], v[183:184]
	v_add_f64_e32 v[177:178], v[177:178], v[181:182]
	v_fma_f64 v[181:182], v[4:5], v[26:27], v[185:186]
	v_fma_f64 v[183:184], v[2:3], v[26:27], -v[28:29]
	ds_load_b128 v[2:5], v1 offset:1296
	s_wait_loadcnt_dscnt 0x901
	v_mul_f64_e32 v[179:180], v[171:172], v[32:33]
	v_mul_f64_e32 v[32:33], v[173:174], v[32:33]
	scratch_load_b128 v[26:29], off, off offset:512
	s_wait_loadcnt_dscnt 0x900
	v_mul_f64_e32 v[185:186], v[2:3], v[36:37]
	v_mul_f64_e32 v[36:37], v[4:5], v[36:37]
	v_add_f64_e32 v[175:176], v[175:176], v[163:164]
	v_add_f64_e32 v[177:178], v[177:178], v[165:166]
	ds_load_b128 v[163:166], v1 offset:1312
	v_fma_f64 v[173:174], v[173:174], v[30:31], v[179:180]
	v_fma_f64 v[171:172], v[171:172], v[30:31], -v[32:33]
	scratch_load_b128 v[30:33], off, off offset:528
	v_add_f64_e32 v[175:176], v[175:176], v[183:184]
	v_add_f64_e32 v[177:178], v[177:178], v[181:182]
	v_fma_f64 v[183:184], v[4:5], v[34:35], v[185:186]
	v_fma_f64 v[185:186], v[2:3], v[34:35], -v[36:37]
	ds_load_b128 v[2:5], v1 offset:1328
	s_wait_loadcnt_dscnt 0x801
	v_mul_f64_e32 v[179:180], v[163:164], v[169:170]
	v_mul_f64_e32 v[181:182], v[165:166], v[169:170]
	scratch_load_b128 v[34:37], off, off offset:544
	v_add_f64_e32 v[175:176], v[175:176], v[171:172]
	v_add_f64_e32 v[173:174], v[177:178], v[173:174]
	ds_load_b128 v[169:172], v1 offset:1344
	v_fma_f64 v[179:180], v[165:166], v[167:168], v[179:180]
	v_fma_f64 v[167:168], v[163:164], v[167:168], -v[181:182]
	scratch_load_b128 v[163:166], off, off offset:560
	s_wait_loadcnt_dscnt 0x901
	v_mul_f64_e32 v[177:178], v[2:3], v[40:41]
	v_mul_f64_e32 v[40:41], v[4:5], v[40:41]
	v_add_f64_e32 v[175:176], v[175:176], v[185:186]
	v_add_f64_e32 v[173:174], v[173:174], v[183:184]
	s_delay_alu instid0(VALU_DEP_4) | instskip(NEXT) | instid1(VALU_DEP_4)
	v_fma_f64 v[177:178], v[4:5], v[38:39], v[177:178]
	v_fma_f64 v[183:184], v[2:3], v[38:39], -v[40:41]
	ds_load_b128 v[2:5], v1 offset:1360
	s_wait_loadcnt_dscnt 0x801
	v_mul_f64_e32 v[181:182], v[169:170], v[8:9]
	v_mul_f64_e32 v[8:9], v[171:172], v[8:9]
	scratch_load_b128 v[38:41], off, off offset:576
	s_wait_loadcnt_dscnt 0x800
	v_mul_f64_e32 v[185:186], v[2:3], v[12:13]
	v_add_f64_e32 v[167:168], v[175:176], v[167:168]
	v_add_f64_e32 v[179:180], v[173:174], v[179:180]
	v_mul_f64_e32 v[12:13], v[4:5], v[12:13]
	ds_load_b128 v[173:176], v1 offset:1376
	v_fma_f64 v[171:172], v[171:172], v[6:7], v[181:182]
	v_fma_f64 v[169:170], v[169:170], v[6:7], -v[8:9]
	scratch_load_b128 v[6:9], off, off offset:592
	v_fma_f64 v[181:182], v[4:5], v[10:11], v[185:186]
	v_add_f64_e32 v[167:168], v[167:168], v[183:184]
	v_add_f64_e32 v[177:178], v[179:180], v[177:178]
	v_fma_f64 v[183:184], v[2:3], v[10:11], -v[12:13]
	ds_load_b128 v[2:5], v1 offset:1392
	s_wait_loadcnt_dscnt 0x801
	v_mul_f64_e32 v[179:180], v[173:174], v[16:17]
	v_mul_f64_e32 v[16:17], v[175:176], v[16:17]
	scratch_load_b128 v[10:13], off, off offset:608
	v_add_f64_e32 v[185:186], v[167:168], v[169:170]
	v_add_f64_e32 v[171:172], v[177:178], v[171:172]
	s_wait_loadcnt_dscnt 0x800
	v_mul_f64_e32 v[177:178], v[2:3], v[20:21]
	v_mul_f64_e32 v[20:21], v[4:5], v[20:21]
	v_fma_f64 v[175:176], v[175:176], v[14:15], v[179:180]
	v_fma_f64 v[173:174], v[173:174], v[14:15], -v[16:17]
	ds_load_b128 v[167:170], v1 offset:1408
	scratch_load_b128 v[14:17], off, off offset:624
	v_add_f64_e32 v[179:180], v[185:186], v[183:184]
	v_add_f64_e32 v[171:172], v[171:172], v[181:182]
	v_fma_f64 v[177:178], v[4:5], v[18:19], v[177:178]
	v_fma_f64 v[183:184], v[2:3], v[18:19], -v[20:21]
	ds_load_b128 v[2:5], v1 offset:1424
	s_wait_loadcnt_dscnt 0x801
	v_mul_f64_e32 v[181:182], v[167:168], v[24:25]
	v_mul_f64_e32 v[24:25], v[169:170], v[24:25]
	scratch_load_b128 v[18:21], off, off offset:640
	s_wait_loadcnt_dscnt 0x800
	v_mul_f64_e32 v[185:186], v[2:3], v[28:29]
	v_mul_f64_e32 v[28:29], v[4:5], v[28:29]
	v_add_f64_e32 v[179:180], v[179:180], v[173:174]
	v_add_f64_e32 v[175:176], v[171:172], v[175:176]
	ds_load_b128 v[171:174], v1 offset:1440
	v_fma_f64 v[169:170], v[169:170], v[22:23], v[181:182]
	v_fma_f64 v[167:168], v[167:168], v[22:23], -v[24:25]
	scratch_load_b128 v[22:25], off, off offset:656
	v_fma_f64 v[181:182], v[4:5], v[26:27], v[185:186]
	v_add_f64_e32 v[179:180], v[179:180], v[183:184]
	v_add_f64_e32 v[175:176], v[175:176], v[177:178]
	v_fma_f64 v[183:184], v[2:3], v[26:27], -v[28:29]
	ds_load_b128 v[2:5], v1 offset:1456
	s_wait_loadcnt_dscnt 0x801
	v_mul_f64_e32 v[177:178], v[171:172], v[32:33]
	v_mul_f64_e32 v[32:33], v[173:174], v[32:33]
	scratch_load_b128 v[26:29], off, off offset:672
	s_wait_loadcnt_dscnt 0x800
	v_mul_f64_e32 v[185:186], v[2:3], v[36:37]
	v_mul_f64_e32 v[36:37], v[4:5], v[36:37]
	v_add_f64_e32 v[179:180], v[179:180], v[167:168]
	v_add_f64_e32 v[175:176], v[175:176], v[169:170]
	ds_load_b128 v[167:170], v1 offset:1472
	v_fma_f64 v[173:174], v[173:174], v[30:31], v[177:178]
	v_fma_f64 v[171:172], v[171:172], v[30:31], -v[32:33]
	scratch_load_b128 v[30:33], off, off offset:688
	v_add_f64_e32 v[177:178], v[179:180], v[183:184]
	v_add_f64_e32 v[175:176], v[175:176], v[181:182]
	v_fma_f64 v[181:182], v[4:5], v[34:35], v[185:186]
	v_fma_f64 v[183:184], v[2:3], v[34:35], -v[36:37]
	ds_load_b128 v[2:5], v1 offset:1488
	s_wait_loadcnt_dscnt 0x801
	v_mul_f64_e32 v[179:180], v[167:168], v[165:166]
	v_mul_f64_e32 v[165:166], v[169:170], v[165:166]
	scratch_load_b128 v[34:37], off, off offset:704
	s_wait_loadcnt_dscnt 0x800
	v_mul_f64_e32 v[185:186], v[2:3], v[40:41]
	v_mul_f64_e32 v[40:41], v[4:5], v[40:41]
	v_add_f64_e32 v[177:178], v[177:178], v[171:172]
	v_add_f64_e32 v[175:176], v[175:176], v[173:174]
	ds_load_b128 v[171:174], v1 offset:1504
	v_fma_f64 v[169:170], v[169:170], v[163:164], v[179:180]
	v_fma_f64 v[167:168], v[167:168], v[163:164], -v[165:166]
	scratch_load_b128 v[163:166], off, off offset:720
	v_add_f64_e32 v[177:178], v[177:178], v[183:184]
	v_add_f64_e32 v[175:176], v[175:176], v[181:182]
	v_fma_f64 v[181:182], v[4:5], v[38:39], v[185:186]
	;; [unrolled: 18-line block ×6, first 2 shown]
	v_fma_f64 v[185:186], v[2:3], v[34:35], -v[36:37]
	ds_load_b128 v[2:5], v1 offset:1648
	s_wait_loadcnt_dscnt 0x801
	v_mul_f64_e32 v[179:180], v[171:172], v[165:166]
	v_mul_f64_e32 v[181:182], v[173:174], v[165:166]
	scratch_load_b128 v[34:37], off, off offset:864
	v_add_f64_e32 v[177:178], v[177:178], v[167:168]
	v_add_f64_e32 v[169:170], v[175:176], v[169:170]
	s_wait_loadcnt_dscnt 0x800
	v_mul_f64_e32 v[175:176], v[2:3], v[40:41]
	v_mul_f64_e32 v[40:41], v[4:5], v[40:41]
	ds_load_b128 v[165:168], v1 offset:1664
	v_fma_f64 v[173:174], v[173:174], v[163:164], v[179:180]
	v_fma_f64 v[163:164], v[171:172], v[163:164], -v[181:182]
	v_add_f64_e32 v[177:178], v[177:178], v[185:186]
	v_add_f64_e32 v[179:180], v[169:170], v[183:184]
	scratch_load_b128 v[169:172], off, off offset:880
	v_fma_f64 v[183:184], v[4:5], v[38:39], v[175:176]
	v_fma_f64 v[185:186], v[2:3], v[38:39], -v[40:41]
	ds_load_b128 v[2:5], v1 offset:1680
	s_wait_loadcnt_dscnt 0x801
	v_mul_f64_e32 v[181:182], v[165:166], v[8:9]
	v_mul_f64_e32 v[8:9], v[167:168], v[8:9]
	scratch_load_b128 v[38:41], off, off offset:896
	v_add_f64_e32 v[163:164], v[177:178], v[163:164]
	v_add_f64_e32 v[177:178], v[179:180], v[173:174]
	s_wait_loadcnt_dscnt 0x800
	v_mul_f64_e32 v[179:180], v[2:3], v[12:13]
	v_mul_f64_e32 v[12:13], v[4:5], v[12:13]
	ds_load_b128 v[173:176], v1 offset:1696
	v_fma_f64 v[167:168], v[167:168], v[6:7], v[181:182]
	v_fma_f64 v[165:166], v[165:166], v[6:7], -v[8:9]
	scratch_load_b128 v[6:9], off, off offset:912
	v_add_f64_e32 v[163:164], v[163:164], v[185:186]
	v_add_f64_e32 v[177:178], v[177:178], v[183:184]
	v_fma_f64 v[179:180], v[4:5], v[10:11], v[179:180]
	v_fma_f64 v[183:184], v[2:3], v[10:11], -v[12:13]
	ds_load_b128 v[2:5], v1 offset:1712
	s_wait_loadcnt_dscnt 0x801
	v_mul_f64_e32 v[181:182], v[173:174], v[16:17]
	v_mul_f64_e32 v[16:17], v[175:176], v[16:17]
	scratch_load_b128 v[10:13], off, off offset:928
	v_add_f64_e32 v[185:186], v[163:164], v[165:166]
	v_add_f64_e32 v[167:168], v[177:178], v[167:168]
	s_wait_loadcnt_dscnt 0x800
	v_mul_f64_e32 v[177:178], v[2:3], v[20:21]
	v_mul_f64_e32 v[20:21], v[4:5], v[20:21]
	ds_load_b128 v[163:166], v1 offset:1728
	v_fma_f64 v[175:176], v[175:176], v[14:15], v[181:182]
	v_fma_f64 v[14:15], v[173:174], v[14:15], -v[16:17]
	s_wait_loadcnt_dscnt 0x700
	v_mul_f64_e32 v[173:174], v[163:164], v[24:25]
	v_mul_f64_e32 v[24:25], v[165:166], v[24:25]
	v_add_f64_e32 v[16:17], v[185:186], v[183:184]
	v_add_f64_e32 v[167:168], v[167:168], v[179:180]
	v_fma_f64 v[177:178], v[4:5], v[18:19], v[177:178]
	v_fma_f64 v[18:19], v[2:3], v[18:19], -v[20:21]
	v_fma_f64 v[165:166], v[165:166], v[22:23], v[173:174]
	v_fma_f64 v[22:23], v[163:164], v[22:23], -v[24:25]
	v_add_f64_e32 v[20:21], v[16:17], v[14:15]
	v_add_f64_e32 v[167:168], v[167:168], v[175:176]
	ds_load_b128 v[2:5], v1 offset:1744
	ds_load_b128 v[14:17], v1 offset:1760
	s_wait_loadcnt_dscnt 0x601
	v_mul_f64_e32 v[175:176], v[2:3], v[28:29]
	v_mul_f64_e32 v[28:29], v[4:5], v[28:29]
	s_wait_loadcnt_dscnt 0x500
	v_mul_f64_e32 v[24:25], v[14:15], v[32:33]
	v_mul_f64_e32 v[32:33], v[16:17], v[32:33]
	v_add_f64_e32 v[18:19], v[20:21], v[18:19]
	v_add_f64_e32 v[20:21], v[167:168], v[177:178]
	v_fma_f64 v[163:164], v[4:5], v[26:27], v[175:176]
	v_fma_f64 v[26:27], v[2:3], v[26:27], -v[28:29]
	v_fma_f64 v[16:17], v[16:17], v[30:31], v[24:25]
	v_fma_f64 v[14:15], v[14:15], v[30:31], -v[32:33]
	v_add_f64_e32 v[22:23], v[18:19], v[22:23]
	v_add_f64_e32 v[28:29], v[20:21], v[165:166]
	ds_load_b128 v[2:5], v1 offset:1776
	ds_load_b128 v[18:21], v1 offset:1792
	s_wait_loadcnt_dscnt 0x401
	v_mul_f64_e32 v[165:166], v[2:3], v[36:37]
	v_mul_f64_e32 v[36:37], v[4:5], v[36:37]
	v_add_f64_e32 v[22:23], v[22:23], v[26:27]
	v_add_f64_e32 v[24:25], v[28:29], v[163:164]
	s_wait_loadcnt_dscnt 0x300
	v_mul_f64_e32 v[26:27], v[18:19], v[171:172]
	v_mul_f64_e32 v[28:29], v[20:21], v[171:172]
	v_fma_f64 v[30:31], v[4:5], v[34:35], v[165:166]
	v_fma_f64 v[32:33], v[2:3], v[34:35], -v[36:37]
	v_add_f64_e32 v[22:23], v[22:23], v[14:15]
	v_add_f64_e32 v[24:25], v[24:25], v[16:17]
	ds_load_b128 v[2:5], v1 offset:1808
	ds_load_b128 v[14:17], v1 offset:1824
	v_fma_f64 v[20:21], v[20:21], v[169:170], v[26:27]
	v_fma_f64 v[18:19], v[18:19], v[169:170], -v[28:29]
	s_wait_loadcnt_dscnt 0x201
	v_mul_f64_e32 v[34:35], v[2:3], v[40:41]
	v_mul_f64_e32 v[36:37], v[4:5], v[40:41]
	s_wait_loadcnt_dscnt 0x100
	v_mul_f64_e32 v[26:27], v[14:15], v[8:9]
	v_mul_f64_e32 v[8:9], v[16:17], v[8:9]
	v_add_f64_e32 v[22:23], v[22:23], v[32:33]
	v_add_f64_e32 v[24:25], v[24:25], v[30:31]
	v_fma_f64 v[28:29], v[4:5], v[38:39], v[34:35]
	v_fma_f64 v[30:31], v[2:3], v[38:39], -v[36:37]
	ds_load_b128 v[2:5], v1 offset:1840
	v_fma_f64 v[16:17], v[16:17], v[6:7], v[26:27]
	v_fma_f64 v[6:7], v[14:15], v[6:7], -v[8:9]
	v_add_f64_e32 v[18:19], v[22:23], v[18:19]
	v_add_f64_e32 v[20:21], v[24:25], v[20:21]
	s_wait_loadcnt_dscnt 0x0
	v_mul_f64_e32 v[22:23], v[2:3], v[12:13]
	v_mul_f64_e32 v[12:13], v[4:5], v[12:13]
	s_delay_alu instid0(VALU_DEP_4) | instskip(NEXT) | instid1(VALU_DEP_4)
	v_add_f64_e32 v[8:9], v[18:19], v[30:31]
	v_add_f64_e32 v[14:15], v[20:21], v[28:29]
	s_delay_alu instid0(VALU_DEP_4) | instskip(NEXT) | instid1(VALU_DEP_4)
	v_fma_f64 v[4:5], v[4:5], v[10:11], v[22:23]
	v_fma_f64 v[2:3], v[2:3], v[10:11], -v[12:13]
	s_delay_alu instid0(VALU_DEP_4) | instskip(NEXT) | instid1(VALU_DEP_4)
	v_add_f64_e32 v[6:7], v[8:9], v[6:7]
	v_add_f64_e32 v[8:9], v[14:15], v[16:17]
	s_delay_alu instid0(VALU_DEP_2) | instskip(NEXT) | instid1(VALU_DEP_2)
	v_add_f64_e32 v[2:3], v[6:7], v[2:3]
	v_add_f64_e32 v[4:5], v[8:9], v[4:5]
	s_delay_alu instid0(VALU_DEP_2) | instskip(NEXT) | instid1(VALU_DEP_2)
	v_add_f64_e64 v[2:3], v[42:43], -v[2:3]
	v_add_f64_e64 v[4:5], v[44:45], -v[4:5]
	scratch_store_b128 off, v[2:5], off offset:240
	v_cmpx_lt_u32_e32 13, v0
	s_cbranch_execz .LBB121_335
; %bb.334:
	scratch_load_b128 v[5:8], off, s58
	v_dual_mov_b32 v2, v1 :: v_dual_mov_b32 v3, v1
	v_mov_b32_e32 v4, v1
	scratch_store_b128 off, v[1:4], off offset:224
	s_wait_loadcnt 0x0
	ds_store_b128 v162, v[5:8]
.LBB121_335:
	s_wait_alu 0xfffe
	s_or_b32 exec_lo, exec_lo, s0
	s_wait_storecnt_dscnt 0x0
	s_barrier_signal -1
	s_barrier_wait -1
	global_inv scope:SCOPE_SE
	s_clause 0x8
	scratch_load_b128 v[2:5], off, off offset:240
	scratch_load_b128 v[6:9], off, off offset:256
	;; [unrolled: 1-line block ×9, first 2 shown]
	ds_load_b128 v[42:45], v1 offset:1152
	ds_load_b128 v[38:41], v1 offset:1168
	s_clause 0x1
	scratch_load_b128 v[163:166], off, off offset:224
	scratch_load_b128 v[167:170], off, off offset:384
	s_mov_b32 s0, exec_lo
	s_wait_loadcnt_dscnt 0xa01
	v_mul_f64_e32 v[171:172], v[44:45], v[4:5]
	v_mul_f64_e32 v[4:5], v[42:43], v[4:5]
	s_wait_loadcnt_dscnt 0x900
	v_mul_f64_e32 v[175:176], v[38:39], v[8:9]
	v_mul_f64_e32 v[8:9], v[40:41], v[8:9]
	s_delay_alu instid0(VALU_DEP_4) | instskip(NEXT) | instid1(VALU_DEP_4)
	v_fma_f64 v[177:178], v[42:43], v[2:3], -v[171:172]
	v_fma_f64 v[179:180], v[44:45], v[2:3], v[4:5]
	ds_load_b128 v[2:5], v1 offset:1184
	ds_load_b128 v[171:174], v1 offset:1200
	scratch_load_b128 v[42:45], off, off offset:400
	v_fma_f64 v[40:41], v[40:41], v[6:7], v[175:176]
	v_fma_f64 v[38:39], v[38:39], v[6:7], -v[8:9]
	scratch_load_b128 v[6:9], off, off offset:416
	s_wait_loadcnt_dscnt 0xa01
	v_mul_f64_e32 v[181:182], v[2:3], v[12:13]
	v_mul_f64_e32 v[12:13], v[4:5], v[12:13]
	v_add_f64_e32 v[175:176], 0, v[177:178]
	v_add_f64_e32 v[177:178], 0, v[179:180]
	s_wait_loadcnt_dscnt 0x900
	v_mul_f64_e32 v[179:180], v[171:172], v[16:17]
	v_mul_f64_e32 v[16:17], v[173:174], v[16:17]
	v_fma_f64 v[181:182], v[4:5], v[10:11], v[181:182]
	v_fma_f64 v[183:184], v[2:3], v[10:11], -v[12:13]
	ds_load_b128 v[2:5], v1 offset:1216
	scratch_load_b128 v[10:13], off, off offset:432
	v_add_f64_e32 v[175:176], v[175:176], v[38:39]
	v_add_f64_e32 v[177:178], v[177:178], v[40:41]
	ds_load_b128 v[38:41], v1 offset:1232
	v_fma_f64 v[173:174], v[173:174], v[14:15], v[179:180]
	v_fma_f64 v[171:172], v[171:172], v[14:15], -v[16:17]
	scratch_load_b128 v[14:17], off, off offset:448
	s_wait_loadcnt_dscnt 0xa01
	v_mul_f64_e32 v[185:186], v[2:3], v[20:21]
	v_mul_f64_e32 v[20:21], v[4:5], v[20:21]
	s_wait_loadcnt_dscnt 0x900
	v_mul_f64_e32 v[179:180], v[38:39], v[24:25]
	v_mul_f64_e32 v[24:25], v[40:41], v[24:25]
	v_add_f64_e32 v[175:176], v[175:176], v[183:184]
	v_add_f64_e32 v[177:178], v[177:178], v[181:182]
	v_fma_f64 v[181:182], v[4:5], v[18:19], v[185:186]
	v_fma_f64 v[183:184], v[2:3], v[18:19], -v[20:21]
	ds_load_b128 v[2:5], v1 offset:1248
	scratch_load_b128 v[18:21], off, off offset:464
	v_fma_f64 v[40:41], v[40:41], v[22:23], v[179:180]
	v_fma_f64 v[38:39], v[38:39], v[22:23], -v[24:25]
	scratch_load_b128 v[22:25], off, off offset:480
	v_add_f64_e32 v[175:176], v[175:176], v[171:172]
	v_add_f64_e32 v[177:178], v[177:178], v[173:174]
	ds_load_b128 v[171:174], v1 offset:1264
	s_wait_loadcnt_dscnt 0xa01
	v_mul_f64_e32 v[185:186], v[2:3], v[28:29]
	v_mul_f64_e32 v[28:29], v[4:5], v[28:29]
	s_wait_loadcnt_dscnt 0x900
	v_mul_f64_e32 v[179:180], v[171:172], v[32:33]
	v_mul_f64_e32 v[32:33], v[173:174], v[32:33]
	v_add_f64_e32 v[175:176], v[175:176], v[183:184]
	v_add_f64_e32 v[177:178], v[177:178], v[181:182]
	v_fma_f64 v[181:182], v[4:5], v[26:27], v[185:186]
	v_fma_f64 v[183:184], v[2:3], v[26:27], -v[28:29]
	ds_load_b128 v[2:5], v1 offset:1280
	scratch_load_b128 v[26:29], off, off offset:496
	v_fma_f64 v[173:174], v[173:174], v[30:31], v[179:180]
	v_fma_f64 v[171:172], v[171:172], v[30:31], -v[32:33]
	scratch_load_b128 v[30:33], off, off offset:512
	v_add_f64_e32 v[175:176], v[175:176], v[38:39]
	v_add_f64_e32 v[177:178], v[177:178], v[40:41]
	ds_load_b128 v[38:41], v1 offset:1296
	s_wait_loadcnt_dscnt 0xa01
	v_mul_f64_e32 v[185:186], v[2:3], v[36:37]
	v_mul_f64_e32 v[36:37], v[4:5], v[36:37]
	s_wait_loadcnt_dscnt 0x800
	v_mul_f64_e32 v[179:180], v[38:39], v[169:170]
	v_add_f64_e32 v[175:176], v[175:176], v[183:184]
	v_add_f64_e32 v[177:178], v[177:178], v[181:182]
	v_mul_f64_e32 v[181:182], v[40:41], v[169:170]
	v_fma_f64 v[183:184], v[4:5], v[34:35], v[185:186]
	v_fma_f64 v[185:186], v[2:3], v[34:35], -v[36:37]
	ds_load_b128 v[2:5], v1 offset:1312
	scratch_load_b128 v[34:37], off, off offset:528
	v_fma_f64 v[179:180], v[40:41], v[167:168], v[179:180]
	v_add_f64_e32 v[175:176], v[175:176], v[171:172]
	v_add_f64_e32 v[173:174], v[177:178], v[173:174]
	ds_load_b128 v[169:172], v1 offset:1328
	v_fma_f64 v[167:168], v[38:39], v[167:168], -v[181:182]
	scratch_load_b128 v[38:41], off, off offset:544
	s_wait_loadcnt_dscnt 0x901
	v_mul_f64_e32 v[177:178], v[2:3], v[44:45]
	v_mul_f64_e32 v[44:45], v[4:5], v[44:45]
	s_wait_loadcnt_dscnt 0x800
	v_mul_f64_e32 v[181:182], v[169:170], v[8:9]
	v_mul_f64_e32 v[8:9], v[171:172], v[8:9]
	v_add_f64_e32 v[175:176], v[175:176], v[185:186]
	v_add_f64_e32 v[173:174], v[173:174], v[183:184]
	v_fma_f64 v[177:178], v[4:5], v[42:43], v[177:178]
	v_fma_f64 v[183:184], v[2:3], v[42:43], -v[44:45]
	ds_load_b128 v[2:5], v1 offset:1344
	scratch_load_b128 v[42:45], off, off offset:560
	v_fma_f64 v[171:172], v[171:172], v[6:7], v[181:182]
	v_fma_f64 v[169:170], v[169:170], v[6:7], -v[8:9]
	scratch_load_b128 v[6:9], off, off offset:576
	v_add_f64_e32 v[167:168], v[175:176], v[167:168]
	v_add_f64_e32 v[179:180], v[173:174], v[179:180]
	ds_load_b128 v[173:176], v1 offset:1360
	s_wait_loadcnt_dscnt 0x901
	v_mul_f64_e32 v[185:186], v[2:3], v[12:13]
	v_mul_f64_e32 v[12:13], v[4:5], v[12:13]
	v_add_f64_e32 v[167:168], v[167:168], v[183:184]
	v_add_f64_e32 v[177:178], v[179:180], v[177:178]
	s_wait_loadcnt_dscnt 0x800
	v_mul_f64_e32 v[179:180], v[173:174], v[16:17]
	v_mul_f64_e32 v[16:17], v[175:176], v[16:17]
	v_fma_f64 v[181:182], v[4:5], v[10:11], v[185:186]
	v_fma_f64 v[183:184], v[2:3], v[10:11], -v[12:13]
	ds_load_b128 v[2:5], v1 offset:1376
	scratch_load_b128 v[10:13], off, off offset:592
	v_add_f64_e32 v[185:186], v[167:168], v[169:170]
	v_add_f64_e32 v[171:172], v[177:178], v[171:172]
	ds_load_b128 v[167:170], v1 offset:1392
	s_wait_loadcnt_dscnt 0x801
	v_mul_f64_e32 v[177:178], v[2:3], v[20:21]
	v_mul_f64_e32 v[20:21], v[4:5], v[20:21]
	v_fma_f64 v[175:176], v[175:176], v[14:15], v[179:180]
	v_fma_f64 v[173:174], v[173:174], v[14:15], -v[16:17]
	scratch_load_b128 v[14:17], off, off offset:608
	v_add_f64_e32 v[179:180], v[185:186], v[183:184]
	v_add_f64_e32 v[171:172], v[171:172], v[181:182]
	s_wait_loadcnt_dscnt 0x800
	v_mul_f64_e32 v[181:182], v[167:168], v[24:25]
	v_mul_f64_e32 v[24:25], v[169:170], v[24:25]
	v_fma_f64 v[177:178], v[4:5], v[18:19], v[177:178]
	v_fma_f64 v[183:184], v[2:3], v[18:19], -v[20:21]
	ds_load_b128 v[2:5], v1 offset:1408
	scratch_load_b128 v[18:21], off, off offset:624
	v_add_f64_e32 v[179:180], v[179:180], v[173:174]
	v_add_f64_e32 v[175:176], v[171:172], v[175:176]
	ds_load_b128 v[171:174], v1 offset:1424
	s_wait_loadcnt_dscnt 0x801
	v_mul_f64_e32 v[185:186], v[2:3], v[28:29]
	v_mul_f64_e32 v[28:29], v[4:5], v[28:29]
	v_fma_f64 v[169:170], v[169:170], v[22:23], v[181:182]
	v_fma_f64 v[167:168], v[167:168], v[22:23], -v[24:25]
	scratch_load_b128 v[22:25], off, off offset:640
	;; [unrolled: 18-line block ×4, first 2 shown]
	s_wait_loadcnt_dscnt 0x800
	v_mul_f64_e32 v[179:180], v[171:172], v[8:9]
	v_mul_f64_e32 v[8:9], v[173:174], v[8:9]
	v_add_f64_e32 v[177:178], v[177:178], v[183:184]
	v_add_f64_e32 v[175:176], v[175:176], v[181:182]
	v_fma_f64 v[181:182], v[4:5], v[42:43], v[185:186]
	v_fma_f64 v[183:184], v[2:3], v[42:43], -v[44:45]
	ds_load_b128 v[2:5], v1 offset:1504
	scratch_load_b128 v[42:45], off, off offset:720
	v_fma_f64 v[173:174], v[173:174], v[6:7], v[179:180]
	v_fma_f64 v[171:172], v[171:172], v[6:7], -v[8:9]
	scratch_load_b128 v[6:9], off, off offset:736
	v_add_f64_e32 v[177:178], v[177:178], v[167:168]
	v_add_f64_e32 v[175:176], v[175:176], v[169:170]
	ds_load_b128 v[167:170], v1 offset:1520
	s_wait_loadcnt_dscnt 0x901
	v_mul_f64_e32 v[185:186], v[2:3], v[12:13]
	v_mul_f64_e32 v[12:13], v[4:5], v[12:13]
	s_wait_loadcnt_dscnt 0x800
	v_mul_f64_e32 v[179:180], v[167:168], v[16:17]
	v_mul_f64_e32 v[16:17], v[169:170], v[16:17]
	v_add_f64_e32 v[177:178], v[177:178], v[183:184]
	v_add_f64_e32 v[175:176], v[175:176], v[181:182]
	v_fma_f64 v[181:182], v[4:5], v[10:11], v[185:186]
	v_fma_f64 v[183:184], v[2:3], v[10:11], -v[12:13]
	ds_load_b128 v[2:5], v1 offset:1536
	scratch_load_b128 v[10:13], off, off offset:752
	v_fma_f64 v[169:170], v[169:170], v[14:15], v[179:180]
	v_fma_f64 v[167:168], v[167:168], v[14:15], -v[16:17]
	scratch_load_b128 v[14:17], off, off offset:768
	v_add_f64_e32 v[177:178], v[177:178], v[171:172]
	v_add_f64_e32 v[175:176], v[175:176], v[173:174]
	ds_load_b128 v[171:174], v1 offset:1552
	s_wait_loadcnt_dscnt 0x901
	v_mul_f64_e32 v[185:186], v[2:3], v[20:21]
	v_mul_f64_e32 v[20:21], v[4:5], v[20:21]
	;; [unrolled: 18-line block ×7, first 2 shown]
	s_wait_loadcnt_dscnt 0x800
	v_mul_f64_e32 v[179:180], v[167:168], v[24:25]
	v_mul_f64_e32 v[24:25], v[169:170], v[24:25]
	v_add_f64_e32 v[177:178], v[177:178], v[183:184]
	v_add_f64_e32 v[175:176], v[175:176], v[181:182]
	v_fma_f64 v[181:182], v[4:5], v[18:19], v[185:186]
	v_fma_f64 v[183:184], v[2:3], v[18:19], -v[20:21]
	ds_load_b128 v[2:5], v1 offset:1728
	ds_load_b128 v[18:21], v1 offset:1744
	v_fma_f64 v[169:170], v[169:170], v[22:23], v[179:180]
	v_fma_f64 v[22:23], v[167:168], v[22:23], -v[24:25]
	v_add_f64_e32 v[171:172], v[177:178], v[171:172]
	v_add_f64_e32 v[173:174], v[175:176], v[173:174]
	s_wait_loadcnt_dscnt 0x701
	v_mul_f64_e32 v[175:176], v[2:3], v[28:29]
	v_mul_f64_e32 v[28:29], v[4:5], v[28:29]
	s_delay_alu instid0(VALU_DEP_4) | instskip(NEXT) | instid1(VALU_DEP_4)
	v_add_f64_e32 v[24:25], v[171:172], v[183:184]
	v_add_f64_e32 v[167:168], v[173:174], v[181:182]
	s_wait_loadcnt_dscnt 0x600
	v_mul_f64_e32 v[171:172], v[18:19], v[32:33]
	v_mul_f64_e32 v[32:33], v[20:21], v[32:33]
	v_fma_f64 v[173:174], v[4:5], v[26:27], v[175:176]
	v_fma_f64 v[26:27], v[2:3], v[26:27], -v[28:29]
	v_add_f64_e32 v[28:29], v[24:25], v[22:23]
	v_add_f64_e32 v[167:168], v[167:168], v[169:170]
	ds_load_b128 v[2:5], v1 offset:1760
	ds_load_b128 v[22:25], v1 offset:1776
	v_fma_f64 v[20:21], v[20:21], v[30:31], v[171:172]
	v_fma_f64 v[18:19], v[18:19], v[30:31], -v[32:33]
	s_wait_loadcnt_dscnt 0x501
	v_mul_f64_e32 v[169:170], v[2:3], v[36:37]
	v_mul_f64_e32 v[36:37], v[4:5], v[36:37]
	s_wait_loadcnt_dscnt 0x400
	v_mul_f64_e32 v[30:31], v[22:23], v[40:41]
	v_mul_f64_e32 v[32:33], v[24:25], v[40:41]
	v_add_f64_e32 v[26:27], v[28:29], v[26:27]
	v_add_f64_e32 v[28:29], v[167:168], v[173:174]
	v_fma_f64 v[40:41], v[4:5], v[34:35], v[169:170]
	v_fma_f64 v[34:35], v[2:3], v[34:35], -v[36:37]
	v_fma_f64 v[24:25], v[24:25], v[38:39], v[30:31]
	v_fma_f64 v[22:23], v[22:23], v[38:39], -v[32:33]
	v_add_f64_e32 v[26:27], v[26:27], v[18:19]
	v_add_f64_e32 v[28:29], v[28:29], v[20:21]
	ds_load_b128 v[2:5], v1 offset:1792
	ds_load_b128 v[18:21], v1 offset:1808
	s_wait_loadcnt_dscnt 0x301
	v_mul_f64_e32 v[36:37], v[2:3], v[44:45]
	v_mul_f64_e32 v[44:45], v[4:5], v[44:45]
	s_wait_loadcnt_dscnt 0x200
	v_mul_f64_e32 v[30:31], v[18:19], v[8:9]
	v_mul_f64_e32 v[8:9], v[20:21], v[8:9]
	v_add_f64_e32 v[26:27], v[26:27], v[34:35]
	v_add_f64_e32 v[28:29], v[28:29], v[40:41]
	v_fma_f64 v[32:33], v[4:5], v[42:43], v[36:37]
	v_fma_f64 v[34:35], v[2:3], v[42:43], -v[44:45]
	v_fma_f64 v[20:21], v[20:21], v[6:7], v[30:31]
	v_fma_f64 v[6:7], v[18:19], v[6:7], -v[8:9]
	v_add_f64_e32 v[26:27], v[26:27], v[22:23]
	v_add_f64_e32 v[28:29], v[28:29], v[24:25]
	ds_load_b128 v[2:5], v1 offset:1824
	ds_load_b128 v[22:25], v1 offset:1840
	s_wait_loadcnt_dscnt 0x101
	v_mul_f64_e32 v[36:37], v[2:3], v[12:13]
	v_mul_f64_e32 v[12:13], v[4:5], v[12:13]
	v_add_f64_e32 v[8:9], v[26:27], v[34:35]
	v_add_f64_e32 v[18:19], v[28:29], v[32:33]
	s_wait_loadcnt_dscnt 0x0
	v_mul_f64_e32 v[26:27], v[22:23], v[16:17]
	v_mul_f64_e32 v[16:17], v[24:25], v[16:17]
	v_fma_f64 v[4:5], v[4:5], v[10:11], v[36:37]
	v_fma_f64 v[1:2], v[2:3], v[10:11], -v[12:13]
	v_add_f64_e32 v[6:7], v[8:9], v[6:7]
	v_add_f64_e32 v[8:9], v[18:19], v[20:21]
	v_fma_f64 v[10:11], v[24:25], v[14:15], v[26:27]
	v_fma_f64 v[12:13], v[22:23], v[14:15], -v[16:17]
	s_delay_alu instid0(VALU_DEP_4) | instskip(NEXT) | instid1(VALU_DEP_4)
	v_add_f64_e32 v[1:2], v[6:7], v[1:2]
	v_add_f64_e32 v[3:4], v[8:9], v[4:5]
	s_delay_alu instid0(VALU_DEP_2) | instskip(NEXT) | instid1(VALU_DEP_2)
	v_add_f64_e32 v[1:2], v[1:2], v[12:13]
	v_add_f64_e32 v[3:4], v[3:4], v[10:11]
	s_delay_alu instid0(VALU_DEP_2) | instskip(NEXT) | instid1(VALU_DEP_2)
	v_add_f64_e64 v[1:2], v[163:164], -v[1:2]
	v_add_f64_e64 v[3:4], v[165:166], -v[3:4]
	scratch_store_b128 off, v[1:4], off offset:224
	v_cmpx_lt_u32_e32 12, v0
	s_cbranch_execz .LBB121_337
; %bb.336:
	scratch_load_b128 v[1:4], off, s59
	v_mov_b32_e32 v5, 0
	s_delay_alu instid0(VALU_DEP_1)
	v_dual_mov_b32 v6, v5 :: v_dual_mov_b32 v7, v5
	v_mov_b32_e32 v8, v5
	scratch_store_b128 off, v[5:8], off offset:208
	s_wait_loadcnt 0x0
	ds_store_b128 v162, v[1:4]
.LBB121_337:
	s_wait_alu 0xfffe
	s_or_b32 exec_lo, exec_lo, s0
	s_wait_storecnt_dscnt 0x0
	s_barrier_signal -1
	s_barrier_wait -1
	global_inv scope:SCOPE_SE
	s_clause 0x7
	scratch_load_b128 v[2:5], off, off offset:224
	scratch_load_b128 v[6:9], off, off offset:240
	;; [unrolled: 1-line block ×8, first 2 shown]
	v_mov_b32_e32 v1, 0
	s_mov_b32 s0, exec_lo
	ds_load_b128 v[38:41], v1 offset:1136
	s_clause 0x1
	scratch_load_b128 v[34:37], off, off offset:352
	scratch_load_b128 v[42:45], off, off offset:208
	ds_load_b128 v[163:166], v1 offset:1152
	scratch_load_b128 v[167:170], off, off offset:368
	s_wait_loadcnt_dscnt 0xa01
	v_mul_f64_e32 v[171:172], v[40:41], v[4:5]
	v_mul_f64_e32 v[4:5], v[38:39], v[4:5]
	s_delay_alu instid0(VALU_DEP_2) | instskip(NEXT) | instid1(VALU_DEP_2)
	v_fma_f64 v[177:178], v[38:39], v[2:3], -v[171:172]
	v_fma_f64 v[179:180], v[40:41], v[2:3], v[4:5]
	ds_load_b128 v[2:5], v1 offset:1168
	s_wait_loadcnt_dscnt 0x901
	v_mul_f64_e32 v[175:176], v[163:164], v[8:9]
	v_mul_f64_e32 v[8:9], v[165:166], v[8:9]
	scratch_load_b128 v[38:41], off, off offset:384
	ds_load_b128 v[171:174], v1 offset:1184
	s_wait_loadcnt_dscnt 0x901
	v_mul_f64_e32 v[181:182], v[2:3], v[12:13]
	v_mul_f64_e32 v[12:13], v[4:5], v[12:13]
	v_fma_f64 v[165:166], v[165:166], v[6:7], v[175:176]
	v_fma_f64 v[163:164], v[163:164], v[6:7], -v[8:9]
	v_add_f64_e32 v[175:176], 0, v[177:178]
	v_add_f64_e32 v[177:178], 0, v[179:180]
	scratch_load_b128 v[6:9], off, off offset:400
	v_fma_f64 v[181:182], v[4:5], v[10:11], v[181:182]
	v_fma_f64 v[183:184], v[2:3], v[10:11], -v[12:13]
	ds_load_b128 v[2:5], v1 offset:1200
	s_wait_loadcnt_dscnt 0x901
	v_mul_f64_e32 v[179:180], v[171:172], v[16:17]
	v_mul_f64_e32 v[16:17], v[173:174], v[16:17]
	scratch_load_b128 v[10:13], off, off offset:416
	v_add_f64_e32 v[175:176], v[175:176], v[163:164]
	v_add_f64_e32 v[177:178], v[177:178], v[165:166]
	s_wait_loadcnt_dscnt 0x900
	v_mul_f64_e32 v[185:186], v[2:3], v[20:21]
	v_mul_f64_e32 v[20:21], v[4:5], v[20:21]
	ds_load_b128 v[163:166], v1 offset:1216
	v_fma_f64 v[173:174], v[173:174], v[14:15], v[179:180]
	v_fma_f64 v[171:172], v[171:172], v[14:15], -v[16:17]
	scratch_load_b128 v[14:17], off, off offset:432
	v_add_f64_e32 v[175:176], v[175:176], v[183:184]
	v_add_f64_e32 v[177:178], v[177:178], v[181:182]
	v_fma_f64 v[181:182], v[4:5], v[18:19], v[185:186]
	v_fma_f64 v[183:184], v[2:3], v[18:19], -v[20:21]
	ds_load_b128 v[2:5], v1 offset:1232
	s_wait_loadcnt_dscnt 0x901
	v_mul_f64_e32 v[179:180], v[163:164], v[24:25]
	v_mul_f64_e32 v[24:25], v[165:166], v[24:25]
	scratch_load_b128 v[18:21], off, off offset:448
	s_wait_loadcnt_dscnt 0x900
	v_mul_f64_e32 v[185:186], v[2:3], v[28:29]
	v_mul_f64_e32 v[28:29], v[4:5], v[28:29]
	v_add_f64_e32 v[175:176], v[175:176], v[171:172]
	v_add_f64_e32 v[177:178], v[177:178], v[173:174]
	ds_load_b128 v[171:174], v1 offset:1248
	v_fma_f64 v[165:166], v[165:166], v[22:23], v[179:180]
	v_fma_f64 v[163:164], v[163:164], v[22:23], -v[24:25]
	scratch_load_b128 v[22:25], off, off offset:464
	v_add_f64_e32 v[175:176], v[175:176], v[183:184]
	v_add_f64_e32 v[177:178], v[177:178], v[181:182]
	v_fma_f64 v[181:182], v[4:5], v[26:27], v[185:186]
	v_fma_f64 v[183:184], v[2:3], v[26:27], -v[28:29]
	ds_load_b128 v[2:5], v1 offset:1264
	s_wait_loadcnt_dscnt 0x901
	v_mul_f64_e32 v[179:180], v[171:172], v[32:33]
	v_mul_f64_e32 v[32:33], v[173:174], v[32:33]
	scratch_load_b128 v[26:29], off, off offset:480
	s_wait_loadcnt_dscnt 0x900
	v_mul_f64_e32 v[185:186], v[2:3], v[36:37]
	v_mul_f64_e32 v[36:37], v[4:5], v[36:37]
	v_add_f64_e32 v[175:176], v[175:176], v[163:164]
	v_add_f64_e32 v[177:178], v[177:178], v[165:166]
	ds_load_b128 v[163:166], v1 offset:1280
	v_fma_f64 v[173:174], v[173:174], v[30:31], v[179:180]
	v_fma_f64 v[171:172], v[171:172], v[30:31], -v[32:33]
	scratch_load_b128 v[30:33], off, off offset:496
	v_add_f64_e32 v[175:176], v[175:176], v[183:184]
	v_add_f64_e32 v[177:178], v[177:178], v[181:182]
	v_fma_f64 v[183:184], v[4:5], v[34:35], v[185:186]
	v_fma_f64 v[185:186], v[2:3], v[34:35], -v[36:37]
	ds_load_b128 v[2:5], v1 offset:1296
	s_wait_loadcnt_dscnt 0x801
	v_mul_f64_e32 v[179:180], v[163:164], v[169:170]
	v_mul_f64_e32 v[181:182], v[165:166], v[169:170]
	scratch_load_b128 v[34:37], off, off offset:512
	v_add_f64_e32 v[175:176], v[175:176], v[171:172]
	v_add_f64_e32 v[173:174], v[177:178], v[173:174]
	ds_load_b128 v[169:172], v1 offset:1312
	v_fma_f64 v[179:180], v[165:166], v[167:168], v[179:180]
	v_fma_f64 v[167:168], v[163:164], v[167:168], -v[181:182]
	scratch_load_b128 v[163:166], off, off offset:528
	s_wait_loadcnt_dscnt 0x901
	v_mul_f64_e32 v[177:178], v[2:3], v[40:41]
	v_mul_f64_e32 v[40:41], v[4:5], v[40:41]
	v_add_f64_e32 v[175:176], v[175:176], v[185:186]
	v_add_f64_e32 v[173:174], v[173:174], v[183:184]
	s_delay_alu instid0(VALU_DEP_4) | instskip(NEXT) | instid1(VALU_DEP_4)
	v_fma_f64 v[177:178], v[4:5], v[38:39], v[177:178]
	v_fma_f64 v[183:184], v[2:3], v[38:39], -v[40:41]
	ds_load_b128 v[2:5], v1 offset:1328
	s_wait_loadcnt_dscnt 0x801
	v_mul_f64_e32 v[181:182], v[169:170], v[8:9]
	v_mul_f64_e32 v[8:9], v[171:172], v[8:9]
	scratch_load_b128 v[38:41], off, off offset:544
	s_wait_loadcnt_dscnt 0x800
	v_mul_f64_e32 v[185:186], v[2:3], v[12:13]
	v_add_f64_e32 v[167:168], v[175:176], v[167:168]
	v_add_f64_e32 v[179:180], v[173:174], v[179:180]
	v_mul_f64_e32 v[12:13], v[4:5], v[12:13]
	ds_load_b128 v[173:176], v1 offset:1344
	v_fma_f64 v[171:172], v[171:172], v[6:7], v[181:182]
	v_fma_f64 v[169:170], v[169:170], v[6:7], -v[8:9]
	scratch_load_b128 v[6:9], off, off offset:560
	v_fma_f64 v[181:182], v[4:5], v[10:11], v[185:186]
	v_add_f64_e32 v[167:168], v[167:168], v[183:184]
	v_add_f64_e32 v[177:178], v[179:180], v[177:178]
	v_fma_f64 v[183:184], v[2:3], v[10:11], -v[12:13]
	ds_load_b128 v[2:5], v1 offset:1360
	s_wait_loadcnt_dscnt 0x801
	v_mul_f64_e32 v[179:180], v[173:174], v[16:17]
	v_mul_f64_e32 v[16:17], v[175:176], v[16:17]
	scratch_load_b128 v[10:13], off, off offset:576
	v_add_f64_e32 v[185:186], v[167:168], v[169:170]
	v_add_f64_e32 v[171:172], v[177:178], v[171:172]
	s_wait_loadcnt_dscnt 0x800
	v_mul_f64_e32 v[177:178], v[2:3], v[20:21]
	v_mul_f64_e32 v[20:21], v[4:5], v[20:21]
	v_fma_f64 v[175:176], v[175:176], v[14:15], v[179:180]
	v_fma_f64 v[173:174], v[173:174], v[14:15], -v[16:17]
	ds_load_b128 v[167:170], v1 offset:1376
	scratch_load_b128 v[14:17], off, off offset:592
	v_add_f64_e32 v[179:180], v[185:186], v[183:184]
	v_add_f64_e32 v[171:172], v[171:172], v[181:182]
	v_fma_f64 v[177:178], v[4:5], v[18:19], v[177:178]
	v_fma_f64 v[183:184], v[2:3], v[18:19], -v[20:21]
	ds_load_b128 v[2:5], v1 offset:1392
	s_wait_loadcnt_dscnt 0x801
	v_mul_f64_e32 v[181:182], v[167:168], v[24:25]
	v_mul_f64_e32 v[24:25], v[169:170], v[24:25]
	scratch_load_b128 v[18:21], off, off offset:608
	s_wait_loadcnt_dscnt 0x800
	v_mul_f64_e32 v[185:186], v[2:3], v[28:29]
	v_mul_f64_e32 v[28:29], v[4:5], v[28:29]
	v_add_f64_e32 v[179:180], v[179:180], v[173:174]
	v_add_f64_e32 v[175:176], v[171:172], v[175:176]
	ds_load_b128 v[171:174], v1 offset:1408
	v_fma_f64 v[169:170], v[169:170], v[22:23], v[181:182]
	v_fma_f64 v[167:168], v[167:168], v[22:23], -v[24:25]
	scratch_load_b128 v[22:25], off, off offset:624
	v_fma_f64 v[181:182], v[4:5], v[26:27], v[185:186]
	v_add_f64_e32 v[179:180], v[179:180], v[183:184]
	v_add_f64_e32 v[175:176], v[175:176], v[177:178]
	v_fma_f64 v[183:184], v[2:3], v[26:27], -v[28:29]
	ds_load_b128 v[2:5], v1 offset:1424
	s_wait_loadcnt_dscnt 0x801
	v_mul_f64_e32 v[177:178], v[171:172], v[32:33]
	v_mul_f64_e32 v[32:33], v[173:174], v[32:33]
	scratch_load_b128 v[26:29], off, off offset:640
	s_wait_loadcnt_dscnt 0x800
	v_mul_f64_e32 v[185:186], v[2:3], v[36:37]
	v_mul_f64_e32 v[36:37], v[4:5], v[36:37]
	v_add_f64_e32 v[179:180], v[179:180], v[167:168]
	v_add_f64_e32 v[175:176], v[175:176], v[169:170]
	ds_load_b128 v[167:170], v1 offset:1440
	v_fma_f64 v[173:174], v[173:174], v[30:31], v[177:178]
	v_fma_f64 v[171:172], v[171:172], v[30:31], -v[32:33]
	scratch_load_b128 v[30:33], off, off offset:656
	v_add_f64_e32 v[177:178], v[179:180], v[183:184]
	v_add_f64_e32 v[175:176], v[175:176], v[181:182]
	v_fma_f64 v[181:182], v[4:5], v[34:35], v[185:186]
	v_fma_f64 v[183:184], v[2:3], v[34:35], -v[36:37]
	ds_load_b128 v[2:5], v1 offset:1456
	s_wait_loadcnt_dscnt 0x801
	v_mul_f64_e32 v[179:180], v[167:168], v[165:166]
	v_mul_f64_e32 v[165:166], v[169:170], v[165:166]
	scratch_load_b128 v[34:37], off, off offset:672
	s_wait_loadcnt_dscnt 0x800
	v_mul_f64_e32 v[185:186], v[2:3], v[40:41]
	v_mul_f64_e32 v[40:41], v[4:5], v[40:41]
	v_add_f64_e32 v[177:178], v[177:178], v[171:172]
	v_add_f64_e32 v[175:176], v[175:176], v[173:174]
	ds_load_b128 v[171:174], v1 offset:1472
	v_fma_f64 v[169:170], v[169:170], v[163:164], v[179:180]
	v_fma_f64 v[167:168], v[167:168], v[163:164], -v[165:166]
	scratch_load_b128 v[163:166], off, off offset:688
	v_add_f64_e32 v[177:178], v[177:178], v[183:184]
	v_add_f64_e32 v[175:176], v[175:176], v[181:182]
	v_fma_f64 v[181:182], v[4:5], v[38:39], v[185:186]
	;; [unrolled: 18-line block ×6, first 2 shown]
	v_fma_f64 v[185:186], v[2:3], v[34:35], -v[36:37]
	ds_load_b128 v[2:5], v1 offset:1616
	s_wait_loadcnt_dscnt 0x801
	v_mul_f64_e32 v[179:180], v[171:172], v[165:166]
	v_mul_f64_e32 v[181:182], v[173:174], v[165:166]
	scratch_load_b128 v[34:37], off, off offset:832
	v_add_f64_e32 v[177:178], v[177:178], v[167:168]
	v_add_f64_e32 v[169:170], v[175:176], v[169:170]
	s_wait_loadcnt_dscnt 0x800
	v_mul_f64_e32 v[175:176], v[2:3], v[40:41]
	v_mul_f64_e32 v[40:41], v[4:5], v[40:41]
	ds_load_b128 v[165:168], v1 offset:1632
	v_fma_f64 v[173:174], v[173:174], v[163:164], v[179:180]
	v_fma_f64 v[163:164], v[171:172], v[163:164], -v[181:182]
	v_add_f64_e32 v[177:178], v[177:178], v[185:186]
	v_add_f64_e32 v[179:180], v[169:170], v[183:184]
	scratch_load_b128 v[169:172], off, off offset:848
	v_fma_f64 v[183:184], v[4:5], v[38:39], v[175:176]
	v_fma_f64 v[185:186], v[2:3], v[38:39], -v[40:41]
	ds_load_b128 v[2:5], v1 offset:1648
	s_wait_loadcnt_dscnt 0x801
	v_mul_f64_e32 v[181:182], v[165:166], v[8:9]
	v_mul_f64_e32 v[8:9], v[167:168], v[8:9]
	scratch_load_b128 v[38:41], off, off offset:864
	v_add_f64_e32 v[163:164], v[177:178], v[163:164]
	v_add_f64_e32 v[177:178], v[179:180], v[173:174]
	s_wait_loadcnt_dscnt 0x800
	v_mul_f64_e32 v[179:180], v[2:3], v[12:13]
	v_mul_f64_e32 v[12:13], v[4:5], v[12:13]
	ds_load_b128 v[173:176], v1 offset:1664
	v_fma_f64 v[167:168], v[167:168], v[6:7], v[181:182]
	v_fma_f64 v[165:166], v[165:166], v[6:7], -v[8:9]
	scratch_load_b128 v[6:9], off, off offset:880
	v_add_f64_e32 v[163:164], v[163:164], v[185:186]
	v_add_f64_e32 v[177:178], v[177:178], v[183:184]
	v_fma_f64 v[179:180], v[4:5], v[10:11], v[179:180]
	v_fma_f64 v[183:184], v[2:3], v[10:11], -v[12:13]
	ds_load_b128 v[2:5], v1 offset:1680
	s_wait_loadcnt_dscnt 0x801
	v_mul_f64_e32 v[181:182], v[173:174], v[16:17]
	v_mul_f64_e32 v[16:17], v[175:176], v[16:17]
	scratch_load_b128 v[10:13], off, off offset:896
	v_add_f64_e32 v[185:186], v[163:164], v[165:166]
	v_add_f64_e32 v[167:168], v[177:178], v[167:168]
	s_wait_loadcnt_dscnt 0x800
	v_mul_f64_e32 v[177:178], v[2:3], v[20:21]
	v_mul_f64_e32 v[20:21], v[4:5], v[20:21]
	ds_load_b128 v[163:166], v1 offset:1696
	v_fma_f64 v[175:176], v[175:176], v[14:15], v[181:182]
	v_fma_f64 v[173:174], v[173:174], v[14:15], -v[16:17]
	scratch_load_b128 v[14:17], off, off offset:912
	v_add_f64_e32 v[181:182], v[185:186], v[183:184]
	v_add_f64_e32 v[167:168], v[167:168], v[179:180]
	v_fma_f64 v[177:178], v[4:5], v[18:19], v[177:178]
	v_fma_f64 v[183:184], v[2:3], v[18:19], -v[20:21]
	ds_load_b128 v[2:5], v1 offset:1712
	s_wait_loadcnt_dscnt 0x801
	v_mul_f64_e32 v[179:180], v[163:164], v[24:25]
	v_mul_f64_e32 v[24:25], v[165:166], v[24:25]
	scratch_load_b128 v[18:21], off, off offset:928
	s_wait_loadcnt_dscnt 0x800
	v_mul_f64_e32 v[185:186], v[2:3], v[28:29]
	v_mul_f64_e32 v[28:29], v[4:5], v[28:29]
	v_add_f64_e32 v[181:182], v[181:182], v[173:174]
	v_add_f64_e32 v[167:168], v[167:168], v[175:176]
	ds_load_b128 v[173:176], v1 offset:1728
	v_fma_f64 v[165:166], v[165:166], v[22:23], v[179:180]
	v_fma_f64 v[22:23], v[163:164], v[22:23], -v[24:25]
	v_add_f64_e32 v[24:25], v[181:182], v[183:184]
	v_add_f64_e32 v[163:164], v[167:168], v[177:178]
	s_wait_loadcnt_dscnt 0x700
	v_mul_f64_e32 v[167:168], v[173:174], v[32:33]
	v_mul_f64_e32 v[32:33], v[175:176], v[32:33]
	v_fma_f64 v[177:178], v[4:5], v[26:27], v[185:186]
	v_fma_f64 v[26:27], v[2:3], v[26:27], -v[28:29]
	v_add_f64_e32 v[28:29], v[24:25], v[22:23]
	v_add_f64_e32 v[163:164], v[163:164], v[165:166]
	ds_load_b128 v[2:5], v1 offset:1744
	ds_load_b128 v[22:25], v1 offset:1760
	v_fma_f64 v[167:168], v[175:176], v[30:31], v[167:168]
	v_fma_f64 v[30:31], v[173:174], v[30:31], -v[32:33]
	s_wait_loadcnt_dscnt 0x601
	v_mul_f64_e32 v[165:166], v[2:3], v[36:37]
	v_mul_f64_e32 v[36:37], v[4:5], v[36:37]
	v_add_f64_e32 v[26:27], v[28:29], v[26:27]
	v_add_f64_e32 v[28:29], v[163:164], v[177:178]
	s_wait_loadcnt_dscnt 0x500
	v_mul_f64_e32 v[32:33], v[22:23], v[171:172]
	v_mul_f64_e32 v[163:164], v[24:25], v[171:172]
	v_fma_f64 v[165:166], v[4:5], v[34:35], v[165:166]
	v_fma_f64 v[34:35], v[2:3], v[34:35], -v[36:37]
	v_add_f64_e32 v[30:31], v[26:27], v[30:31]
	v_add_f64_e32 v[36:37], v[28:29], v[167:168]
	ds_load_b128 v[2:5], v1 offset:1776
	ds_load_b128 v[26:29], v1 offset:1792
	v_fma_f64 v[24:25], v[24:25], v[169:170], v[32:33]
	v_fma_f64 v[22:23], v[22:23], v[169:170], -v[163:164]
	s_wait_loadcnt_dscnt 0x401
	v_mul_f64_e32 v[167:168], v[2:3], v[40:41]
	v_mul_f64_e32 v[40:41], v[4:5], v[40:41]
	;; [unrolled: 16-line block ×3, first 2 shown]
	v_add_f64_e32 v[8:9], v[30:31], v[38:39]
	v_add_f64_e32 v[26:27], v[32:33], v[36:37]
	s_wait_loadcnt_dscnt 0x100
	v_mul_f64_e32 v[30:31], v[22:23], v[16:17]
	v_mul_f64_e32 v[16:17], v[24:25], v[16:17]
	v_fma_f64 v[32:33], v[4:5], v[10:11], v[40:41]
	v_fma_f64 v[10:11], v[2:3], v[10:11], -v[12:13]
	ds_load_b128 v[2:5], v1 offset:1840
	v_add_f64_e32 v[6:7], v[8:9], v[6:7]
	v_add_f64_e32 v[8:9], v[26:27], v[28:29]
	v_fma_f64 v[24:25], v[24:25], v[14:15], v[30:31]
	v_fma_f64 v[14:15], v[22:23], v[14:15], -v[16:17]
	s_wait_loadcnt_dscnt 0x0
	v_mul_f64_e32 v[12:13], v[2:3], v[20:21]
	v_mul_f64_e32 v[20:21], v[4:5], v[20:21]
	v_add_f64_e32 v[6:7], v[6:7], v[10:11]
	v_add_f64_e32 v[8:9], v[8:9], v[32:33]
	s_delay_alu instid0(VALU_DEP_4) | instskip(NEXT) | instid1(VALU_DEP_4)
	v_fma_f64 v[4:5], v[4:5], v[18:19], v[12:13]
	v_fma_f64 v[2:3], v[2:3], v[18:19], -v[20:21]
	s_delay_alu instid0(VALU_DEP_4) | instskip(NEXT) | instid1(VALU_DEP_4)
	v_add_f64_e32 v[6:7], v[6:7], v[14:15]
	v_add_f64_e32 v[8:9], v[8:9], v[24:25]
	s_delay_alu instid0(VALU_DEP_2) | instskip(NEXT) | instid1(VALU_DEP_2)
	v_add_f64_e32 v[2:3], v[6:7], v[2:3]
	v_add_f64_e32 v[4:5], v[8:9], v[4:5]
	s_delay_alu instid0(VALU_DEP_2) | instskip(NEXT) | instid1(VALU_DEP_2)
	v_add_f64_e64 v[2:3], v[42:43], -v[2:3]
	v_add_f64_e64 v[4:5], v[44:45], -v[4:5]
	scratch_store_b128 off, v[2:5], off offset:208
	v_cmpx_lt_u32_e32 11, v0
	s_cbranch_execz .LBB121_339
; %bb.338:
	scratch_load_b128 v[5:8], off, s60
	v_dual_mov_b32 v2, v1 :: v_dual_mov_b32 v3, v1
	v_mov_b32_e32 v4, v1
	scratch_store_b128 off, v[1:4], off offset:192
	s_wait_loadcnt 0x0
	ds_store_b128 v162, v[5:8]
.LBB121_339:
	s_wait_alu 0xfffe
	s_or_b32 exec_lo, exec_lo, s0
	s_wait_storecnt_dscnt 0x0
	s_barrier_signal -1
	s_barrier_wait -1
	global_inv scope:SCOPE_SE
	s_clause 0x8
	scratch_load_b128 v[2:5], off, off offset:208
	scratch_load_b128 v[6:9], off, off offset:224
	;; [unrolled: 1-line block ×9, first 2 shown]
	ds_load_b128 v[42:45], v1 offset:1120
	ds_load_b128 v[38:41], v1 offset:1136
	s_clause 0x1
	scratch_load_b128 v[163:166], off, off offset:192
	scratch_load_b128 v[167:170], off, off offset:352
	s_mov_b32 s0, exec_lo
	s_wait_loadcnt_dscnt 0xa01
	v_mul_f64_e32 v[171:172], v[44:45], v[4:5]
	v_mul_f64_e32 v[4:5], v[42:43], v[4:5]
	s_wait_loadcnt_dscnt 0x900
	v_mul_f64_e32 v[175:176], v[38:39], v[8:9]
	v_mul_f64_e32 v[8:9], v[40:41], v[8:9]
	s_delay_alu instid0(VALU_DEP_4) | instskip(NEXT) | instid1(VALU_DEP_4)
	v_fma_f64 v[177:178], v[42:43], v[2:3], -v[171:172]
	v_fma_f64 v[179:180], v[44:45], v[2:3], v[4:5]
	ds_load_b128 v[2:5], v1 offset:1152
	ds_load_b128 v[171:174], v1 offset:1168
	scratch_load_b128 v[42:45], off, off offset:368
	v_fma_f64 v[40:41], v[40:41], v[6:7], v[175:176]
	v_fma_f64 v[38:39], v[38:39], v[6:7], -v[8:9]
	scratch_load_b128 v[6:9], off, off offset:384
	s_wait_loadcnt_dscnt 0xa01
	v_mul_f64_e32 v[181:182], v[2:3], v[12:13]
	v_mul_f64_e32 v[12:13], v[4:5], v[12:13]
	v_add_f64_e32 v[175:176], 0, v[177:178]
	v_add_f64_e32 v[177:178], 0, v[179:180]
	s_wait_loadcnt_dscnt 0x900
	v_mul_f64_e32 v[179:180], v[171:172], v[16:17]
	v_mul_f64_e32 v[16:17], v[173:174], v[16:17]
	v_fma_f64 v[181:182], v[4:5], v[10:11], v[181:182]
	v_fma_f64 v[183:184], v[2:3], v[10:11], -v[12:13]
	ds_load_b128 v[2:5], v1 offset:1184
	scratch_load_b128 v[10:13], off, off offset:400
	v_add_f64_e32 v[175:176], v[175:176], v[38:39]
	v_add_f64_e32 v[177:178], v[177:178], v[40:41]
	ds_load_b128 v[38:41], v1 offset:1200
	v_fma_f64 v[173:174], v[173:174], v[14:15], v[179:180]
	v_fma_f64 v[171:172], v[171:172], v[14:15], -v[16:17]
	scratch_load_b128 v[14:17], off, off offset:416
	s_wait_loadcnt_dscnt 0xa01
	v_mul_f64_e32 v[185:186], v[2:3], v[20:21]
	v_mul_f64_e32 v[20:21], v[4:5], v[20:21]
	s_wait_loadcnt_dscnt 0x900
	v_mul_f64_e32 v[179:180], v[38:39], v[24:25]
	v_mul_f64_e32 v[24:25], v[40:41], v[24:25]
	v_add_f64_e32 v[175:176], v[175:176], v[183:184]
	v_add_f64_e32 v[177:178], v[177:178], v[181:182]
	v_fma_f64 v[181:182], v[4:5], v[18:19], v[185:186]
	v_fma_f64 v[183:184], v[2:3], v[18:19], -v[20:21]
	ds_load_b128 v[2:5], v1 offset:1216
	scratch_load_b128 v[18:21], off, off offset:432
	v_fma_f64 v[40:41], v[40:41], v[22:23], v[179:180]
	v_fma_f64 v[38:39], v[38:39], v[22:23], -v[24:25]
	scratch_load_b128 v[22:25], off, off offset:448
	v_add_f64_e32 v[175:176], v[175:176], v[171:172]
	v_add_f64_e32 v[177:178], v[177:178], v[173:174]
	ds_load_b128 v[171:174], v1 offset:1232
	s_wait_loadcnt_dscnt 0xa01
	v_mul_f64_e32 v[185:186], v[2:3], v[28:29]
	v_mul_f64_e32 v[28:29], v[4:5], v[28:29]
	s_wait_loadcnt_dscnt 0x900
	v_mul_f64_e32 v[179:180], v[171:172], v[32:33]
	v_mul_f64_e32 v[32:33], v[173:174], v[32:33]
	v_add_f64_e32 v[175:176], v[175:176], v[183:184]
	v_add_f64_e32 v[177:178], v[177:178], v[181:182]
	v_fma_f64 v[181:182], v[4:5], v[26:27], v[185:186]
	v_fma_f64 v[183:184], v[2:3], v[26:27], -v[28:29]
	ds_load_b128 v[2:5], v1 offset:1248
	scratch_load_b128 v[26:29], off, off offset:464
	v_fma_f64 v[173:174], v[173:174], v[30:31], v[179:180]
	v_fma_f64 v[171:172], v[171:172], v[30:31], -v[32:33]
	scratch_load_b128 v[30:33], off, off offset:480
	v_add_f64_e32 v[175:176], v[175:176], v[38:39]
	v_add_f64_e32 v[177:178], v[177:178], v[40:41]
	ds_load_b128 v[38:41], v1 offset:1264
	s_wait_loadcnt_dscnt 0xa01
	v_mul_f64_e32 v[185:186], v[2:3], v[36:37]
	v_mul_f64_e32 v[36:37], v[4:5], v[36:37]
	s_wait_loadcnt_dscnt 0x800
	v_mul_f64_e32 v[179:180], v[38:39], v[169:170]
	v_add_f64_e32 v[175:176], v[175:176], v[183:184]
	v_add_f64_e32 v[177:178], v[177:178], v[181:182]
	v_mul_f64_e32 v[181:182], v[40:41], v[169:170]
	v_fma_f64 v[183:184], v[4:5], v[34:35], v[185:186]
	v_fma_f64 v[185:186], v[2:3], v[34:35], -v[36:37]
	ds_load_b128 v[2:5], v1 offset:1280
	scratch_load_b128 v[34:37], off, off offset:496
	v_fma_f64 v[179:180], v[40:41], v[167:168], v[179:180]
	v_add_f64_e32 v[175:176], v[175:176], v[171:172]
	v_add_f64_e32 v[173:174], v[177:178], v[173:174]
	ds_load_b128 v[169:172], v1 offset:1296
	v_fma_f64 v[167:168], v[38:39], v[167:168], -v[181:182]
	scratch_load_b128 v[38:41], off, off offset:512
	s_wait_loadcnt_dscnt 0x901
	v_mul_f64_e32 v[177:178], v[2:3], v[44:45]
	v_mul_f64_e32 v[44:45], v[4:5], v[44:45]
	s_wait_loadcnt_dscnt 0x800
	v_mul_f64_e32 v[181:182], v[169:170], v[8:9]
	v_mul_f64_e32 v[8:9], v[171:172], v[8:9]
	v_add_f64_e32 v[175:176], v[175:176], v[185:186]
	v_add_f64_e32 v[173:174], v[173:174], v[183:184]
	v_fma_f64 v[177:178], v[4:5], v[42:43], v[177:178]
	v_fma_f64 v[183:184], v[2:3], v[42:43], -v[44:45]
	ds_load_b128 v[2:5], v1 offset:1312
	scratch_load_b128 v[42:45], off, off offset:528
	v_fma_f64 v[171:172], v[171:172], v[6:7], v[181:182]
	v_fma_f64 v[169:170], v[169:170], v[6:7], -v[8:9]
	scratch_load_b128 v[6:9], off, off offset:544
	v_add_f64_e32 v[167:168], v[175:176], v[167:168]
	v_add_f64_e32 v[179:180], v[173:174], v[179:180]
	ds_load_b128 v[173:176], v1 offset:1328
	s_wait_loadcnt_dscnt 0x901
	v_mul_f64_e32 v[185:186], v[2:3], v[12:13]
	v_mul_f64_e32 v[12:13], v[4:5], v[12:13]
	v_add_f64_e32 v[167:168], v[167:168], v[183:184]
	v_add_f64_e32 v[177:178], v[179:180], v[177:178]
	s_wait_loadcnt_dscnt 0x800
	v_mul_f64_e32 v[179:180], v[173:174], v[16:17]
	v_mul_f64_e32 v[16:17], v[175:176], v[16:17]
	v_fma_f64 v[181:182], v[4:5], v[10:11], v[185:186]
	v_fma_f64 v[183:184], v[2:3], v[10:11], -v[12:13]
	ds_load_b128 v[2:5], v1 offset:1344
	scratch_load_b128 v[10:13], off, off offset:560
	v_add_f64_e32 v[185:186], v[167:168], v[169:170]
	v_add_f64_e32 v[171:172], v[177:178], v[171:172]
	ds_load_b128 v[167:170], v1 offset:1360
	s_wait_loadcnt_dscnt 0x801
	v_mul_f64_e32 v[177:178], v[2:3], v[20:21]
	v_mul_f64_e32 v[20:21], v[4:5], v[20:21]
	v_fma_f64 v[175:176], v[175:176], v[14:15], v[179:180]
	v_fma_f64 v[173:174], v[173:174], v[14:15], -v[16:17]
	scratch_load_b128 v[14:17], off, off offset:576
	v_add_f64_e32 v[179:180], v[185:186], v[183:184]
	v_add_f64_e32 v[171:172], v[171:172], v[181:182]
	s_wait_loadcnt_dscnt 0x800
	v_mul_f64_e32 v[181:182], v[167:168], v[24:25]
	v_mul_f64_e32 v[24:25], v[169:170], v[24:25]
	v_fma_f64 v[177:178], v[4:5], v[18:19], v[177:178]
	v_fma_f64 v[183:184], v[2:3], v[18:19], -v[20:21]
	ds_load_b128 v[2:5], v1 offset:1376
	scratch_load_b128 v[18:21], off, off offset:592
	v_add_f64_e32 v[179:180], v[179:180], v[173:174]
	v_add_f64_e32 v[175:176], v[171:172], v[175:176]
	ds_load_b128 v[171:174], v1 offset:1392
	s_wait_loadcnt_dscnt 0x801
	v_mul_f64_e32 v[185:186], v[2:3], v[28:29]
	v_mul_f64_e32 v[28:29], v[4:5], v[28:29]
	v_fma_f64 v[169:170], v[169:170], v[22:23], v[181:182]
	v_fma_f64 v[167:168], v[167:168], v[22:23], -v[24:25]
	scratch_load_b128 v[22:25], off, off offset:608
	;; [unrolled: 18-line block ×4, first 2 shown]
	s_wait_loadcnt_dscnt 0x800
	v_mul_f64_e32 v[179:180], v[171:172], v[8:9]
	v_mul_f64_e32 v[8:9], v[173:174], v[8:9]
	v_add_f64_e32 v[177:178], v[177:178], v[183:184]
	v_add_f64_e32 v[175:176], v[175:176], v[181:182]
	v_fma_f64 v[181:182], v[4:5], v[42:43], v[185:186]
	v_fma_f64 v[183:184], v[2:3], v[42:43], -v[44:45]
	ds_load_b128 v[2:5], v1 offset:1472
	scratch_load_b128 v[42:45], off, off offset:688
	v_fma_f64 v[173:174], v[173:174], v[6:7], v[179:180]
	v_fma_f64 v[171:172], v[171:172], v[6:7], -v[8:9]
	scratch_load_b128 v[6:9], off, off offset:704
	v_add_f64_e32 v[177:178], v[177:178], v[167:168]
	v_add_f64_e32 v[175:176], v[175:176], v[169:170]
	ds_load_b128 v[167:170], v1 offset:1488
	s_wait_loadcnt_dscnt 0x901
	v_mul_f64_e32 v[185:186], v[2:3], v[12:13]
	v_mul_f64_e32 v[12:13], v[4:5], v[12:13]
	s_wait_loadcnt_dscnt 0x800
	v_mul_f64_e32 v[179:180], v[167:168], v[16:17]
	v_mul_f64_e32 v[16:17], v[169:170], v[16:17]
	v_add_f64_e32 v[177:178], v[177:178], v[183:184]
	v_add_f64_e32 v[175:176], v[175:176], v[181:182]
	v_fma_f64 v[181:182], v[4:5], v[10:11], v[185:186]
	v_fma_f64 v[183:184], v[2:3], v[10:11], -v[12:13]
	ds_load_b128 v[2:5], v1 offset:1504
	scratch_load_b128 v[10:13], off, off offset:720
	v_fma_f64 v[169:170], v[169:170], v[14:15], v[179:180]
	v_fma_f64 v[167:168], v[167:168], v[14:15], -v[16:17]
	scratch_load_b128 v[14:17], off, off offset:736
	v_add_f64_e32 v[177:178], v[177:178], v[171:172]
	v_add_f64_e32 v[175:176], v[175:176], v[173:174]
	ds_load_b128 v[171:174], v1 offset:1520
	s_wait_loadcnt_dscnt 0x901
	v_mul_f64_e32 v[185:186], v[2:3], v[20:21]
	v_mul_f64_e32 v[20:21], v[4:5], v[20:21]
	;; [unrolled: 18-line block ×8, first 2 shown]
	s_wait_loadcnt_dscnt 0x800
	v_mul_f64_e32 v[179:180], v[171:172], v[32:33]
	v_mul_f64_e32 v[32:33], v[173:174], v[32:33]
	v_add_f64_e32 v[177:178], v[177:178], v[183:184]
	v_add_f64_e32 v[175:176], v[175:176], v[181:182]
	v_fma_f64 v[181:182], v[4:5], v[26:27], v[185:186]
	v_fma_f64 v[183:184], v[2:3], v[26:27], -v[28:29]
	ds_load_b128 v[2:5], v1 offset:1728
	ds_load_b128 v[26:29], v1 offset:1744
	v_fma_f64 v[173:174], v[173:174], v[30:31], v[179:180]
	v_fma_f64 v[30:31], v[171:172], v[30:31], -v[32:33]
	v_add_f64_e32 v[167:168], v[177:178], v[167:168]
	v_add_f64_e32 v[169:170], v[175:176], v[169:170]
	s_wait_loadcnt_dscnt 0x701
	v_mul_f64_e32 v[175:176], v[2:3], v[36:37]
	v_mul_f64_e32 v[36:37], v[4:5], v[36:37]
	s_delay_alu instid0(VALU_DEP_4) | instskip(NEXT) | instid1(VALU_DEP_4)
	v_add_f64_e32 v[32:33], v[167:168], v[183:184]
	v_add_f64_e32 v[167:168], v[169:170], v[181:182]
	s_wait_loadcnt_dscnt 0x600
	v_mul_f64_e32 v[169:170], v[26:27], v[40:41]
	v_mul_f64_e32 v[40:41], v[28:29], v[40:41]
	v_fma_f64 v[171:172], v[4:5], v[34:35], v[175:176]
	v_fma_f64 v[34:35], v[2:3], v[34:35], -v[36:37]
	v_add_f64_e32 v[36:37], v[32:33], v[30:31]
	v_add_f64_e32 v[167:168], v[167:168], v[173:174]
	ds_load_b128 v[2:5], v1 offset:1760
	ds_load_b128 v[30:33], v1 offset:1776
	v_fma_f64 v[28:29], v[28:29], v[38:39], v[169:170]
	v_fma_f64 v[26:27], v[26:27], v[38:39], -v[40:41]
	s_wait_loadcnt_dscnt 0x501
	v_mul_f64_e32 v[173:174], v[2:3], v[44:45]
	v_mul_f64_e32 v[44:45], v[4:5], v[44:45]
	s_wait_loadcnt_dscnt 0x400
	v_mul_f64_e32 v[38:39], v[30:31], v[8:9]
	v_mul_f64_e32 v[8:9], v[32:33], v[8:9]
	v_add_f64_e32 v[34:35], v[36:37], v[34:35]
	v_add_f64_e32 v[36:37], v[167:168], v[171:172]
	v_fma_f64 v[40:41], v[4:5], v[42:43], v[173:174]
	v_fma_f64 v[42:43], v[2:3], v[42:43], -v[44:45]
	v_fma_f64 v[32:33], v[32:33], v[6:7], v[38:39]
	v_fma_f64 v[6:7], v[30:31], v[6:7], -v[8:9]
	v_add_f64_e32 v[34:35], v[34:35], v[26:27]
	v_add_f64_e32 v[36:37], v[36:37], v[28:29]
	ds_load_b128 v[2:5], v1 offset:1792
	ds_load_b128 v[26:29], v1 offset:1808
	s_wait_loadcnt_dscnt 0x301
	v_mul_f64_e32 v[44:45], v[2:3], v[12:13]
	v_mul_f64_e32 v[12:13], v[4:5], v[12:13]
	v_add_f64_e32 v[8:9], v[34:35], v[42:43]
	v_add_f64_e32 v[30:31], v[36:37], v[40:41]
	s_wait_loadcnt_dscnt 0x200
	v_mul_f64_e32 v[34:35], v[26:27], v[16:17]
	v_mul_f64_e32 v[16:17], v[28:29], v[16:17]
	v_fma_f64 v[36:37], v[4:5], v[10:11], v[44:45]
	v_fma_f64 v[10:11], v[2:3], v[10:11], -v[12:13]
	v_add_f64_e32 v[12:13], v[8:9], v[6:7]
	v_add_f64_e32 v[30:31], v[30:31], v[32:33]
	ds_load_b128 v[2:5], v1 offset:1824
	ds_load_b128 v[6:9], v1 offset:1840
	v_fma_f64 v[28:29], v[28:29], v[14:15], v[34:35]
	v_fma_f64 v[14:15], v[26:27], v[14:15], -v[16:17]
	s_wait_loadcnt_dscnt 0x101
	v_mul_f64_e32 v[32:33], v[2:3], v[20:21]
	v_mul_f64_e32 v[20:21], v[4:5], v[20:21]
	s_wait_loadcnt_dscnt 0x0
	v_mul_f64_e32 v[16:17], v[6:7], v[24:25]
	v_mul_f64_e32 v[24:25], v[8:9], v[24:25]
	v_add_f64_e32 v[10:11], v[12:13], v[10:11]
	v_add_f64_e32 v[12:13], v[30:31], v[36:37]
	v_fma_f64 v[4:5], v[4:5], v[18:19], v[32:33]
	v_fma_f64 v[1:2], v[2:3], v[18:19], -v[20:21]
	v_fma_f64 v[8:9], v[8:9], v[22:23], v[16:17]
	v_fma_f64 v[6:7], v[6:7], v[22:23], -v[24:25]
	v_add_f64_e32 v[10:11], v[10:11], v[14:15]
	v_add_f64_e32 v[12:13], v[12:13], v[28:29]
	s_delay_alu instid0(VALU_DEP_2) | instskip(NEXT) | instid1(VALU_DEP_2)
	v_add_f64_e32 v[1:2], v[10:11], v[1:2]
	v_add_f64_e32 v[3:4], v[12:13], v[4:5]
	s_delay_alu instid0(VALU_DEP_2) | instskip(NEXT) | instid1(VALU_DEP_2)
	;; [unrolled: 3-line block ×3, first 2 shown]
	v_add_f64_e64 v[1:2], v[163:164], -v[1:2]
	v_add_f64_e64 v[3:4], v[165:166], -v[3:4]
	scratch_store_b128 off, v[1:4], off offset:192
	v_cmpx_lt_u32_e32 10, v0
	s_cbranch_execz .LBB121_341
; %bb.340:
	scratch_load_b128 v[1:4], off, s61
	v_mov_b32_e32 v5, 0
	s_delay_alu instid0(VALU_DEP_1)
	v_dual_mov_b32 v6, v5 :: v_dual_mov_b32 v7, v5
	v_mov_b32_e32 v8, v5
	scratch_store_b128 off, v[5:8], off offset:176
	s_wait_loadcnt 0x0
	ds_store_b128 v162, v[1:4]
.LBB121_341:
	s_wait_alu 0xfffe
	s_or_b32 exec_lo, exec_lo, s0
	s_wait_storecnt_dscnt 0x0
	s_barrier_signal -1
	s_barrier_wait -1
	global_inv scope:SCOPE_SE
	s_clause 0x7
	scratch_load_b128 v[2:5], off, off offset:192
	scratch_load_b128 v[6:9], off, off offset:208
	;; [unrolled: 1-line block ×8, first 2 shown]
	v_mov_b32_e32 v1, 0
	s_mov_b32 s0, exec_lo
	ds_load_b128 v[38:41], v1 offset:1104
	s_clause 0x1
	scratch_load_b128 v[34:37], off, off offset:320
	scratch_load_b128 v[42:45], off, off offset:176
	ds_load_b128 v[163:166], v1 offset:1120
	scratch_load_b128 v[167:170], off, off offset:336
	s_wait_loadcnt_dscnt 0xa01
	v_mul_f64_e32 v[171:172], v[40:41], v[4:5]
	v_mul_f64_e32 v[4:5], v[38:39], v[4:5]
	s_delay_alu instid0(VALU_DEP_2) | instskip(NEXT) | instid1(VALU_DEP_2)
	v_fma_f64 v[177:178], v[38:39], v[2:3], -v[171:172]
	v_fma_f64 v[179:180], v[40:41], v[2:3], v[4:5]
	ds_load_b128 v[2:5], v1 offset:1136
	s_wait_loadcnt_dscnt 0x901
	v_mul_f64_e32 v[175:176], v[163:164], v[8:9]
	v_mul_f64_e32 v[8:9], v[165:166], v[8:9]
	scratch_load_b128 v[38:41], off, off offset:352
	ds_load_b128 v[171:174], v1 offset:1152
	s_wait_loadcnt_dscnt 0x901
	v_mul_f64_e32 v[181:182], v[2:3], v[12:13]
	v_mul_f64_e32 v[12:13], v[4:5], v[12:13]
	v_fma_f64 v[165:166], v[165:166], v[6:7], v[175:176]
	v_fma_f64 v[163:164], v[163:164], v[6:7], -v[8:9]
	v_add_f64_e32 v[175:176], 0, v[177:178]
	v_add_f64_e32 v[177:178], 0, v[179:180]
	scratch_load_b128 v[6:9], off, off offset:368
	v_fma_f64 v[181:182], v[4:5], v[10:11], v[181:182]
	v_fma_f64 v[183:184], v[2:3], v[10:11], -v[12:13]
	ds_load_b128 v[2:5], v1 offset:1168
	s_wait_loadcnt_dscnt 0x901
	v_mul_f64_e32 v[179:180], v[171:172], v[16:17]
	v_mul_f64_e32 v[16:17], v[173:174], v[16:17]
	scratch_load_b128 v[10:13], off, off offset:384
	v_add_f64_e32 v[175:176], v[175:176], v[163:164]
	v_add_f64_e32 v[177:178], v[177:178], v[165:166]
	s_wait_loadcnt_dscnt 0x900
	v_mul_f64_e32 v[185:186], v[2:3], v[20:21]
	v_mul_f64_e32 v[20:21], v[4:5], v[20:21]
	ds_load_b128 v[163:166], v1 offset:1184
	v_fma_f64 v[173:174], v[173:174], v[14:15], v[179:180]
	v_fma_f64 v[171:172], v[171:172], v[14:15], -v[16:17]
	scratch_load_b128 v[14:17], off, off offset:400
	v_add_f64_e32 v[175:176], v[175:176], v[183:184]
	v_add_f64_e32 v[177:178], v[177:178], v[181:182]
	v_fma_f64 v[181:182], v[4:5], v[18:19], v[185:186]
	v_fma_f64 v[183:184], v[2:3], v[18:19], -v[20:21]
	ds_load_b128 v[2:5], v1 offset:1200
	s_wait_loadcnt_dscnt 0x901
	v_mul_f64_e32 v[179:180], v[163:164], v[24:25]
	v_mul_f64_e32 v[24:25], v[165:166], v[24:25]
	scratch_load_b128 v[18:21], off, off offset:416
	s_wait_loadcnt_dscnt 0x900
	v_mul_f64_e32 v[185:186], v[2:3], v[28:29]
	v_mul_f64_e32 v[28:29], v[4:5], v[28:29]
	v_add_f64_e32 v[175:176], v[175:176], v[171:172]
	v_add_f64_e32 v[177:178], v[177:178], v[173:174]
	ds_load_b128 v[171:174], v1 offset:1216
	v_fma_f64 v[165:166], v[165:166], v[22:23], v[179:180]
	v_fma_f64 v[163:164], v[163:164], v[22:23], -v[24:25]
	scratch_load_b128 v[22:25], off, off offset:432
	v_add_f64_e32 v[175:176], v[175:176], v[183:184]
	v_add_f64_e32 v[177:178], v[177:178], v[181:182]
	v_fma_f64 v[181:182], v[4:5], v[26:27], v[185:186]
	v_fma_f64 v[183:184], v[2:3], v[26:27], -v[28:29]
	ds_load_b128 v[2:5], v1 offset:1232
	s_wait_loadcnt_dscnt 0x901
	v_mul_f64_e32 v[179:180], v[171:172], v[32:33]
	v_mul_f64_e32 v[32:33], v[173:174], v[32:33]
	scratch_load_b128 v[26:29], off, off offset:448
	s_wait_loadcnt_dscnt 0x900
	v_mul_f64_e32 v[185:186], v[2:3], v[36:37]
	v_mul_f64_e32 v[36:37], v[4:5], v[36:37]
	v_add_f64_e32 v[175:176], v[175:176], v[163:164]
	v_add_f64_e32 v[177:178], v[177:178], v[165:166]
	ds_load_b128 v[163:166], v1 offset:1248
	v_fma_f64 v[173:174], v[173:174], v[30:31], v[179:180]
	v_fma_f64 v[171:172], v[171:172], v[30:31], -v[32:33]
	scratch_load_b128 v[30:33], off, off offset:464
	v_add_f64_e32 v[175:176], v[175:176], v[183:184]
	v_add_f64_e32 v[177:178], v[177:178], v[181:182]
	v_fma_f64 v[183:184], v[4:5], v[34:35], v[185:186]
	v_fma_f64 v[185:186], v[2:3], v[34:35], -v[36:37]
	ds_load_b128 v[2:5], v1 offset:1264
	s_wait_loadcnt_dscnt 0x801
	v_mul_f64_e32 v[179:180], v[163:164], v[169:170]
	v_mul_f64_e32 v[181:182], v[165:166], v[169:170]
	scratch_load_b128 v[34:37], off, off offset:480
	v_add_f64_e32 v[175:176], v[175:176], v[171:172]
	v_add_f64_e32 v[173:174], v[177:178], v[173:174]
	ds_load_b128 v[169:172], v1 offset:1280
	v_fma_f64 v[179:180], v[165:166], v[167:168], v[179:180]
	v_fma_f64 v[167:168], v[163:164], v[167:168], -v[181:182]
	scratch_load_b128 v[163:166], off, off offset:496
	s_wait_loadcnt_dscnt 0x901
	v_mul_f64_e32 v[177:178], v[2:3], v[40:41]
	v_mul_f64_e32 v[40:41], v[4:5], v[40:41]
	v_add_f64_e32 v[175:176], v[175:176], v[185:186]
	v_add_f64_e32 v[173:174], v[173:174], v[183:184]
	s_delay_alu instid0(VALU_DEP_4) | instskip(NEXT) | instid1(VALU_DEP_4)
	v_fma_f64 v[177:178], v[4:5], v[38:39], v[177:178]
	v_fma_f64 v[183:184], v[2:3], v[38:39], -v[40:41]
	ds_load_b128 v[2:5], v1 offset:1296
	s_wait_loadcnt_dscnt 0x801
	v_mul_f64_e32 v[181:182], v[169:170], v[8:9]
	v_mul_f64_e32 v[8:9], v[171:172], v[8:9]
	scratch_load_b128 v[38:41], off, off offset:512
	s_wait_loadcnt_dscnt 0x800
	v_mul_f64_e32 v[185:186], v[2:3], v[12:13]
	v_add_f64_e32 v[167:168], v[175:176], v[167:168]
	v_add_f64_e32 v[179:180], v[173:174], v[179:180]
	v_mul_f64_e32 v[12:13], v[4:5], v[12:13]
	ds_load_b128 v[173:176], v1 offset:1312
	v_fma_f64 v[171:172], v[171:172], v[6:7], v[181:182]
	v_fma_f64 v[169:170], v[169:170], v[6:7], -v[8:9]
	scratch_load_b128 v[6:9], off, off offset:528
	v_fma_f64 v[181:182], v[4:5], v[10:11], v[185:186]
	v_add_f64_e32 v[167:168], v[167:168], v[183:184]
	v_add_f64_e32 v[177:178], v[179:180], v[177:178]
	v_fma_f64 v[183:184], v[2:3], v[10:11], -v[12:13]
	ds_load_b128 v[2:5], v1 offset:1328
	s_wait_loadcnt_dscnt 0x801
	v_mul_f64_e32 v[179:180], v[173:174], v[16:17]
	v_mul_f64_e32 v[16:17], v[175:176], v[16:17]
	scratch_load_b128 v[10:13], off, off offset:544
	v_add_f64_e32 v[185:186], v[167:168], v[169:170]
	v_add_f64_e32 v[171:172], v[177:178], v[171:172]
	s_wait_loadcnt_dscnt 0x800
	v_mul_f64_e32 v[177:178], v[2:3], v[20:21]
	v_mul_f64_e32 v[20:21], v[4:5], v[20:21]
	v_fma_f64 v[175:176], v[175:176], v[14:15], v[179:180]
	v_fma_f64 v[173:174], v[173:174], v[14:15], -v[16:17]
	ds_load_b128 v[167:170], v1 offset:1344
	scratch_load_b128 v[14:17], off, off offset:560
	v_add_f64_e32 v[179:180], v[185:186], v[183:184]
	v_add_f64_e32 v[171:172], v[171:172], v[181:182]
	v_fma_f64 v[177:178], v[4:5], v[18:19], v[177:178]
	v_fma_f64 v[183:184], v[2:3], v[18:19], -v[20:21]
	ds_load_b128 v[2:5], v1 offset:1360
	s_wait_loadcnt_dscnt 0x801
	v_mul_f64_e32 v[181:182], v[167:168], v[24:25]
	v_mul_f64_e32 v[24:25], v[169:170], v[24:25]
	scratch_load_b128 v[18:21], off, off offset:576
	s_wait_loadcnt_dscnt 0x800
	v_mul_f64_e32 v[185:186], v[2:3], v[28:29]
	v_mul_f64_e32 v[28:29], v[4:5], v[28:29]
	v_add_f64_e32 v[179:180], v[179:180], v[173:174]
	v_add_f64_e32 v[175:176], v[171:172], v[175:176]
	ds_load_b128 v[171:174], v1 offset:1376
	v_fma_f64 v[169:170], v[169:170], v[22:23], v[181:182]
	v_fma_f64 v[167:168], v[167:168], v[22:23], -v[24:25]
	scratch_load_b128 v[22:25], off, off offset:592
	v_fma_f64 v[181:182], v[4:5], v[26:27], v[185:186]
	v_add_f64_e32 v[179:180], v[179:180], v[183:184]
	v_add_f64_e32 v[175:176], v[175:176], v[177:178]
	v_fma_f64 v[183:184], v[2:3], v[26:27], -v[28:29]
	ds_load_b128 v[2:5], v1 offset:1392
	s_wait_loadcnt_dscnt 0x801
	v_mul_f64_e32 v[177:178], v[171:172], v[32:33]
	v_mul_f64_e32 v[32:33], v[173:174], v[32:33]
	scratch_load_b128 v[26:29], off, off offset:608
	s_wait_loadcnt_dscnt 0x800
	v_mul_f64_e32 v[185:186], v[2:3], v[36:37]
	v_mul_f64_e32 v[36:37], v[4:5], v[36:37]
	v_add_f64_e32 v[179:180], v[179:180], v[167:168]
	v_add_f64_e32 v[175:176], v[175:176], v[169:170]
	ds_load_b128 v[167:170], v1 offset:1408
	v_fma_f64 v[173:174], v[173:174], v[30:31], v[177:178]
	v_fma_f64 v[171:172], v[171:172], v[30:31], -v[32:33]
	scratch_load_b128 v[30:33], off, off offset:624
	v_add_f64_e32 v[177:178], v[179:180], v[183:184]
	v_add_f64_e32 v[175:176], v[175:176], v[181:182]
	v_fma_f64 v[181:182], v[4:5], v[34:35], v[185:186]
	v_fma_f64 v[183:184], v[2:3], v[34:35], -v[36:37]
	ds_load_b128 v[2:5], v1 offset:1424
	s_wait_loadcnt_dscnt 0x801
	v_mul_f64_e32 v[179:180], v[167:168], v[165:166]
	v_mul_f64_e32 v[165:166], v[169:170], v[165:166]
	scratch_load_b128 v[34:37], off, off offset:640
	s_wait_loadcnt_dscnt 0x800
	v_mul_f64_e32 v[185:186], v[2:3], v[40:41]
	v_mul_f64_e32 v[40:41], v[4:5], v[40:41]
	v_add_f64_e32 v[177:178], v[177:178], v[171:172]
	v_add_f64_e32 v[175:176], v[175:176], v[173:174]
	ds_load_b128 v[171:174], v1 offset:1440
	v_fma_f64 v[169:170], v[169:170], v[163:164], v[179:180]
	v_fma_f64 v[167:168], v[167:168], v[163:164], -v[165:166]
	scratch_load_b128 v[163:166], off, off offset:656
	v_add_f64_e32 v[177:178], v[177:178], v[183:184]
	v_add_f64_e32 v[175:176], v[175:176], v[181:182]
	v_fma_f64 v[181:182], v[4:5], v[38:39], v[185:186]
	;; [unrolled: 18-line block ×6, first 2 shown]
	v_fma_f64 v[185:186], v[2:3], v[34:35], -v[36:37]
	ds_load_b128 v[2:5], v1 offset:1584
	s_wait_loadcnt_dscnt 0x801
	v_mul_f64_e32 v[179:180], v[171:172], v[165:166]
	v_mul_f64_e32 v[181:182], v[173:174], v[165:166]
	scratch_load_b128 v[34:37], off, off offset:800
	v_add_f64_e32 v[177:178], v[177:178], v[167:168]
	v_add_f64_e32 v[169:170], v[175:176], v[169:170]
	s_wait_loadcnt_dscnt 0x800
	v_mul_f64_e32 v[175:176], v[2:3], v[40:41]
	v_mul_f64_e32 v[40:41], v[4:5], v[40:41]
	ds_load_b128 v[165:168], v1 offset:1600
	v_fma_f64 v[173:174], v[173:174], v[163:164], v[179:180]
	v_fma_f64 v[163:164], v[171:172], v[163:164], -v[181:182]
	v_add_f64_e32 v[177:178], v[177:178], v[185:186]
	v_add_f64_e32 v[179:180], v[169:170], v[183:184]
	scratch_load_b128 v[169:172], off, off offset:816
	v_fma_f64 v[183:184], v[4:5], v[38:39], v[175:176]
	v_fma_f64 v[185:186], v[2:3], v[38:39], -v[40:41]
	ds_load_b128 v[2:5], v1 offset:1616
	s_wait_loadcnt_dscnt 0x801
	v_mul_f64_e32 v[181:182], v[165:166], v[8:9]
	v_mul_f64_e32 v[8:9], v[167:168], v[8:9]
	scratch_load_b128 v[38:41], off, off offset:832
	v_add_f64_e32 v[163:164], v[177:178], v[163:164]
	v_add_f64_e32 v[177:178], v[179:180], v[173:174]
	s_wait_loadcnt_dscnt 0x800
	v_mul_f64_e32 v[179:180], v[2:3], v[12:13]
	v_mul_f64_e32 v[12:13], v[4:5], v[12:13]
	ds_load_b128 v[173:176], v1 offset:1632
	v_fma_f64 v[167:168], v[167:168], v[6:7], v[181:182]
	v_fma_f64 v[165:166], v[165:166], v[6:7], -v[8:9]
	scratch_load_b128 v[6:9], off, off offset:848
	v_add_f64_e32 v[163:164], v[163:164], v[185:186]
	v_add_f64_e32 v[177:178], v[177:178], v[183:184]
	v_fma_f64 v[179:180], v[4:5], v[10:11], v[179:180]
	v_fma_f64 v[183:184], v[2:3], v[10:11], -v[12:13]
	ds_load_b128 v[2:5], v1 offset:1648
	s_wait_loadcnt_dscnt 0x801
	v_mul_f64_e32 v[181:182], v[173:174], v[16:17]
	v_mul_f64_e32 v[16:17], v[175:176], v[16:17]
	scratch_load_b128 v[10:13], off, off offset:864
	v_add_f64_e32 v[185:186], v[163:164], v[165:166]
	v_add_f64_e32 v[167:168], v[177:178], v[167:168]
	s_wait_loadcnt_dscnt 0x800
	v_mul_f64_e32 v[177:178], v[2:3], v[20:21]
	v_mul_f64_e32 v[20:21], v[4:5], v[20:21]
	ds_load_b128 v[163:166], v1 offset:1664
	v_fma_f64 v[175:176], v[175:176], v[14:15], v[181:182]
	v_fma_f64 v[173:174], v[173:174], v[14:15], -v[16:17]
	scratch_load_b128 v[14:17], off, off offset:880
	v_add_f64_e32 v[181:182], v[185:186], v[183:184]
	v_add_f64_e32 v[167:168], v[167:168], v[179:180]
	v_fma_f64 v[177:178], v[4:5], v[18:19], v[177:178]
	v_fma_f64 v[183:184], v[2:3], v[18:19], -v[20:21]
	ds_load_b128 v[2:5], v1 offset:1680
	s_wait_loadcnt_dscnt 0x801
	v_mul_f64_e32 v[179:180], v[163:164], v[24:25]
	v_mul_f64_e32 v[24:25], v[165:166], v[24:25]
	scratch_load_b128 v[18:21], off, off offset:896
	s_wait_loadcnt_dscnt 0x800
	v_mul_f64_e32 v[185:186], v[2:3], v[28:29]
	v_mul_f64_e32 v[28:29], v[4:5], v[28:29]
	v_add_f64_e32 v[181:182], v[181:182], v[173:174]
	v_add_f64_e32 v[167:168], v[167:168], v[175:176]
	ds_load_b128 v[173:176], v1 offset:1696
	v_fma_f64 v[165:166], v[165:166], v[22:23], v[179:180]
	v_fma_f64 v[163:164], v[163:164], v[22:23], -v[24:25]
	scratch_load_b128 v[22:25], off, off offset:912
	v_add_f64_e32 v[179:180], v[181:182], v[183:184]
	v_add_f64_e32 v[167:168], v[167:168], v[177:178]
	v_fma_f64 v[181:182], v[4:5], v[26:27], v[185:186]
	v_fma_f64 v[183:184], v[2:3], v[26:27], -v[28:29]
	ds_load_b128 v[2:5], v1 offset:1712
	s_wait_loadcnt_dscnt 0x801
	v_mul_f64_e32 v[177:178], v[173:174], v[32:33]
	v_mul_f64_e32 v[32:33], v[175:176], v[32:33]
	scratch_load_b128 v[26:29], off, off offset:928
	s_wait_loadcnt_dscnt 0x800
	v_mul_f64_e32 v[185:186], v[2:3], v[36:37]
	v_mul_f64_e32 v[36:37], v[4:5], v[36:37]
	v_add_f64_e32 v[179:180], v[179:180], v[163:164]
	v_add_f64_e32 v[167:168], v[167:168], v[165:166]
	ds_load_b128 v[163:166], v1 offset:1728
	v_fma_f64 v[175:176], v[175:176], v[30:31], v[177:178]
	v_fma_f64 v[30:31], v[173:174], v[30:31], -v[32:33]
	v_fma_f64 v[177:178], v[4:5], v[34:35], v[185:186]
	v_fma_f64 v[34:35], v[2:3], v[34:35], -v[36:37]
	v_add_f64_e32 v[32:33], v[179:180], v[183:184]
	v_add_f64_e32 v[167:168], v[167:168], v[181:182]
	s_wait_loadcnt_dscnt 0x700
	v_mul_f64_e32 v[173:174], v[163:164], v[171:172]
	v_mul_f64_e32 v[171:172], v[165:166], v[171:172]
	s_delay_alu instid0(VALU_DEP_4) | instskip(NEXT) | instid1(VALU_DEP_4)
	v_add_f64_e32 v[36:37], v[32:33], v[30:31]
	v_add_f64_e32 v[167:168], v[167:168], v[175:176]
	ds_load_b128 v[2:5], v1 offset:1744
	ds_load_b128 v[30:33], v1 offset:1760
	v_fma_f64 v[165:166], v[165:166], v[169:170], v[173:174]
	v_fma_f64 v[163:164], v[163:164], v[169:170], -v[171:172]
	s_wait_loadcnt_dscnt 0x601
	v_mul_f64_e32 v[175:176], v[2:3], v[40:41]
	v_mul_f64_e32 v[40:41], v[4:5], v[40:41]
	v_add_f64_e32 v[34:35], v[36:37], v[34:35]
	v_add_f64_e32 v[36:37], v[167:168], v[177:178]
	s_wait_loadcnt_dscnt 0x500
	v_mul_f64_e32 v[167:168], v[30:31], v[8:9]
	v_mul_f64_e32 v[8:9], v[32:33], v[8:9]
	v_fma_f64 v[169:170], v[4:5], v[38:39], v[175:176]
	v_fma_f64 v[38:39], v[2:3], v[38:39], -v[40:41]
	v_add_f64_e32 v[40:41], v[34:35], v[163:164]
	v_add_f64_e32 v[163:164], v[36:37], v[165:166]
	ds_load_b128 v[2:5], v1 offset:1776
	ds_load_b128 v[34:37], v1 offset:1792
	v_fma_f64 v[32:33], v[32:33], v[6:7], v[167:168]
	v_fma_f64 v[6:7], v[30:31], v[6:7], -v[8:9]
	s_wait_loadcnt_dscnt 0x401
	v_mul_f64_e32 v[165:166], v[2:3], v[12:13]
	v_mul_f64_e32 v[12:13], v[4:5], v[12:13]
	v_add_f64_e32 v[8:9], v[40:41], v[38:39]
	v_add_f64_e32 v[30:31], v[163:164], v[169:170]
	s_wait_loadcnt_dscnt 0x300
	v_mul_f64_e32 v[38:39], v[34:35], v[16:17]
	v_mul_f64_e32 v[16:17], v[36:37], v[16:17]
	v_fma_f64 v[40:41], v[4:5], v[10:11], v[165:166]
	v_fma_f64 v[10:11], v[2:3], v[10:11], -v[12:13]
	v_add_f64_e32 v[12:13], v[8:9], v[6:7]
	v_add_f64_e32 v[30:31], v[30:31], v[32:33]
	ds_load_b128 v[2:5], v1 offset:1808
	ds_load_b128 v[6:9], v1 offset:1824
	v_fma_f64 v[36:37], v[36:37], v[14:15], v[38:39]
	v_fma_f64 v[14:15], v[34:35], v[14:15], -v[16:17]
	s_wait_loadcnt_dscnt 0x201
	v_mul_f64_e32 v[32:33], v[2:3], v[20:21]
	v_mul_f64_e32 v[20:21], v[4:5], v[20:21]
	s_wait_loadcnt_dscnt 0x100
	v_mul_f64_e32 v[16:17], v[6:7], v[24:25]
	v_mul_f64_e32 v[24:25], v[8:9], v[24:25]
	v_add_f64_e32 v[10:11], v[12:13], v[10:11]
	v_add_f64_e32 v[12:13], v[30:31], v[40:41]
	v_fma_f64 v[30:31], v[4:5], v[18:19], v[32:33]
	v_fma_f64 v[18:19], v[2:3], v[18:19], -v[20:21]
	ds_load_b128 v[2:5], v1 offset:1840
	v_fma_f64 v[8:9], v[8:9], v[22:23], v[16:17]
	v_fma_f64 v[6:7], v[6:7], v[22:23], -v[24:25]
	v_add_f64_e32 v[10:11], v[10:11], v[14:15]
	v_add_f64_e32 v[12:13], v[12:13], v[36:37]
	s_wait_loadcnt_dscnt 0x0
	v_mul_f64_e32 v[14:15], v[2:3], v[28:29]
	v_mul_f64_e32 v[20:21], v[4:5], v[28:29]
	s_delay_alu instid0(VALU_DEP_4) | instskip(NEXT) | instid1(VALU_DEP_4)
	v_add_f64_e32 v[10:11], v[10:11], v[18:19]
	v_add_f64_e32 v[12:13], v[12:13], v[30:31]
	s_delay_alu instid0(VALU_DEP_4) | instskip(NEXT) | instid1(VALU_DEP_4)
	v_fma_f64 v[4:5], v[4:5], v[26:27], v[14:15]
	v_fma_f64 v[2:3], v[2:3], v[26:27], -v[20:21]
	s_delay_alu instid0(VALU_DEP_4) | instskip(NEXT) | instid1(VALU_DEP_4)
	v_add_f64_e32 v[6:7], v[10:11], v[6:7]
	v_add_f64_e32 v[8:9], v[12:13], v[8:9]
	s_delay_alu instid0(VALU_DEP_2) | instskip(NEXT) | instid1(VALU_DEP_2)
	v_add_f64_e32 v[2:3], v[6:7], v[2:3]
	v_add_f64_e32 v[4:5], v[8:9], v[4:5]
	s_delay_alu instid0(VALU_DEP_2) | instskip(NEXT) | instid1(VALU_DEP_2)
	v_add_f64_e64 v[2:3], v[42:43], -v[2:3]
	v_add_f64_e64 v[4:5], v[44:45], -v[4:5]
	scratch_store_b128 off, v[2:5], off offset:176
	v_cmpx_lt_u32_e32 9, v0
	s_cbranch_execz .LBB121_343
; %bb.342:
	scratch_load_b128 v[5:8], off, s62
	v_dual_mov_b32 v2, v1 :: v_dual_mov_b32 v3, v1
	v_mov_b32_e32 v4, v1
	scratch_store_b128 off, v[1:4], off offset:160
	s_wait_loadcnt 0x0
	ds_store_b128 v162, v[5:8]
.LBB121_343:
	s_wait_alu 0xfffe
	s_or_b32 exec_lo, exec_lo, s0
	s_wait_storecnt_dscnt 0x0
	s_barrier_signal -1
	s_barrier_wait -1
	global_inv scope:SCOPE_SE
	s_clause 0x8
	scratch_load_b128 v[2:5], off, off offset:176
	scratch_load_b128 v[6:9], off, off offset:192
	;; [unrolled: 1-line block ×9, first 2 shown]
	ds_load_b128 v[42:45], v1 offset:1088
	ds_load_b128 v[38:41], v1 offset:1104
	s_clause 0x1
	scratch_load_b128 v[163:166], off, off offset:160
	scratch_load_b128 v[167:170], off, off offset:320
	s_mov_b32 s0, exec_lo
	s_wait_loadcnt_dscnt 0xa01
	v_mul_f64_e32 v[171:172], v[44:45], v[4:5]
	v_mul_f64_e32 v[4:5], v[42:43], v[4:5]
	s_wait_loadcnt_dscnt 0x900
	v_mul_f64_e32 v[175:176], v[38:39], v[8:9]
	v_mul_f64_e32 v[8:9], v[40:41], v[8:9]
	s_delay_alu instid0(VALU_DEP_4) | instskip(NEXT) | instid1(VALU_DEP_4)
	v_fma_f64 v[177:178], v[42:43], v[2:3], -v[171:172]
	v_fma_f64 v[179:180], v[44:45], v[2:3], v[4:5]
	ds_load_b128 v[2:5], v1 offset:1120
	ds_load_b128 v[171:174], v1 offset:1136
	scratch_load_b128 v[42:45], off, off offset:336
	v_fma_f64 v[40:41], v[40:41], v[6:7], v[175:176]
	v_fma_f64 v[38:39], v[38:39], v[6:7], -v[8:9]
	scratch_load_b128 v[6:9], off, off offset:352
	s_wait_loadcnt_dscnt 0xa01
	v_mul_f64_e32 v[181:182], v[2:3], v[12:13]
	v_mul_f64_e32 v[12:13], v[4:5], v[12:13]
	v_add_f64_e32 v[175:176], 0, v[177:178]
	v_add_f64_e32 v[177:178], 0, v[179:180]
	s_wait_loadcnt_dscnt 0x900
	v_mul_f64_e32 v[179:180], v[171:172], v[16:17]
	v_mul_f64_e32 v[16:17], v[173:174], v[16:17]
	v_fma_f64 v[181:182], v[4:5], v[10:11], v[181:182]
	v_fma_f64 v[183:184], v[2:3], v[10:11], -v[12:13]
	ds_load_b128 v[2:5], v1 offset:1152
	scratch_load_b128 v[10:13], off, off offset:368
	v_add_f64_e32 v[175:176], v[175:176], v[38:39]
	v_add_f64_e32 v[177:178], v[177:178], v[40:41]
	ds_load_b128 v[38:41], v1 offset:1168
	v_fma_f64 v[173:174], v[173:174], v[14:15], v[179:180]
	v_fma_f64 v[171:172], v[171:172], v[14:15], -v[16:17]
	scratch_load_b128 v[14:17], off, off offset:384
	s_wait_loadcnt_dscnt 0xa01
	v_mul_f64_e32 v[185:186], v[2:3], v[20:21]
	v_mul_f64_e32 v[20:21], v[4:5], v[20:21]
	s_wait_loadcnt_dscnt 0x900
	v_mul_f64_e32 v[179:180], v[38:39], v[24:25]
	v_mul_f64_e32 v[24:25], v[40:41], v[24:25]
	v_add_f64_e32 v[175:176], v[175:176], v[183:184]
	v_add_f64_e32 v[177:178], v[177:178], v[181:182]
	v_fma_f64 v[181:182], v[4:5], v[18:19], v[185:186]
	v_fma_f64 v[183:184], v[2:3], v[18:19], -v[20:21]
	ds_load_b128 v[2:5], v1 offset:1184
	scratch_load_b128 v[18:21], off, off offset:400
	v_fma_f64 v[40:41], v[40:41], v[22:23], v[179:180]
	v_fma_f64 v[38:39], v[38:39], v[22:23], -v[24:25]
	scratch_load_b128 v[22:25], off, off offset:416
	v_add_f64_e32 v[175:176], v[175:176], v[171:172]
	v_add_f64_e32 v[177:178], v[177:178], v[173:174]
	ds_load_b128 v[171:174], v1 offset:1200
	s_wait_loadcnt_dscnt 0xa01
	v_mul_f64_e32 v[185:186], v[2:3], v[28:29]
	v_mul_f64_e32 v[28:29], v[4:5], v[28:29]
	s_wait_loadcnt_dscnt 0x900
	v_mul_f64_e32 v[179:180], v[171:172], v[32:33]
	v_mul_f64_e32 v[32:33], v[173:174], v[32:33]
	v_add_f64_e32 v[175:176], v[175:176], v[183:184]
	v_add_f64_e32 v[177:178], v[177:178], v[181:182]
	v_fma_f64 v[181:182], v[4:5], v[26:27], v[185:186]
	v_fma_f64 v[183:184], v[2:3], v[26:27], -v[28:29]
	ds_load_b128 v[2:5], v1 offset:1216
	scratch_load_b128 v[26:29], off, off offset:432
	v_fma_f64 v[173:174], v[173:174], v[30:31], v[179:180]
	v_fma_f64 v[171:172], v[171:172], v[30:31], -v[32:33]
	scratch_load_b128 v[30:33], off, off offset:448
	v_add_f64_e32 v[175:176], v[175:176], v[38:39]
	v_add_f64_e32 v[177:178], v[177:178], v[40:41]
	ds_load_b128 v[38:41], v1 offset:1232
	s_wait_loadcnt_dscnt 0xa01
	v_mul_f64_e32 v[185:186], v[2:3], v[36:37]
	v_mul_f64_e32 v[36:37], v[4:5], v[36:37]
	s_wait_loadcnt_dscnt 0x800
	v_mul_f64_e32 v[179:180], v[38:39], v[169:170]
	v_add_f64_e32 v[175:176], v[175:176], v[183:184]
	v_add_f64_e32 v[177:178], v[177:178], v[181:182]
	v_mul_f64_e32 v[181:182], v[40:41], v[169:170]
	v_fma_f64 v[183:184], v[4:5], v[34:35], v[185:186]
	v_fma_f64 v[185:186], v[2:3], v[34:35], -v[36:37]
	ds_load_b128 v[2:5], v1 offset:1248
	scratch_load_b128 v[34:37], off, off offset:464
	v_fma_f64 v[179:180], v[40:41], v[167:168], v[179:180]
	v_add_f64_e32 v[175:176], v[175:176], v[171:172]
	v_add_f64_e32 v[173:174], v[177:178], v[173:174]
	ds_load_b128 v[169:172], v1 offset:1264
	v_fma_f64 v[167:168], v[38:39], v[167:168], -v[181:182]
	scratch_load_b128 v[38:41], off, off offset:480
	s_wait_loadcnt_dscnt 0x901
	v_mul_f64_e32 v[177:178], v[2:3], v[44:45]
	v_mul_f64_e32 v[44:45], v[4:5], v[44:45]
	s_wait_loadcnt_dscnt 0x800
	v_mul_f64_e32 v[181:182], v[169:170], v[8:9]
	v_mul_f64_e32 v[8:9], v[171:172], v[8:9]
	v_add_f64_e32 v[175:176], v[175:176], v[185:186]
	v_add_f64_e32 v[173:174], v[173:174], v[183:184]
	v_fma_f64 v[177:178], v[4:5], v[42:43], v[177:178]
	v_fma_f64 v[183:184], v[2:3], v[42:43], -v[44:45]
	ds_load_b128 v[2:5], v1 offset:1280
	scratch_load_b128 v[42:45], off, off offset:496
	v_fma_f64 v[171:172], v[171:172], v[6:7], v[181:182]
	v_fma_f64 v[169:170], v[169:170], v[6:7], -v[8:9]
	scratch_load_b128 v[6:9], off, off offset:512
	v_add_f64_e32 v[167:168], v[175:176], v[167:168]
	v_add_f64_e32 v[179:180], v[173:174], v[179:180]
	ds_load_b128 v[173:176], v1 offset:1296
	s_wait_loadcnt_dscnt 0x901
	v_mul_f64_e32 v[185:186], v[2:3], v[12:13]
	v_mul_f64_e32 v[12:13], v[4:5], v[12:13]
	v_add_f64_e32 v[167:168], v[167:168], v[183:184]
	v_add_f64_e32 v[177:178], v[179:180], v[177:178]
	s_wait_loadcnt_dscnt 0x800
	v_mul_f64_e32 v[179:180], v[173:174], v[16:17]
	v_mul_f64_e32 v[16:17], v[175:176], v[16:17]
	v_fma_f64 v[181:182], v[4:5], v[10:11], v[185:186]
	v_fma_f64 v[183:184], v[2:3], v[10:11], -v[12:13]
	ds_load_b128 v[2:5], v1 offset:1312
	scratch_load_b128 v[10:13], off, off offset:528
	v_add_f64_e32 v[185:186], v[167:168], v[169:170]
	v_add_f64_e32 v[171:172], v[177:178], v[171:172]
	ds_load_b128 v[167:170], v1 offset:1328
	s_wait_loadcnt_dscnt 0x801
	v_mul_f64_e32 v[177:178], v[2:3], v[20:21]
	v_mul_f64_e32 v[20:21], v[4:5], v[20:21]
	v_fma_f64 v[175:176], v[175:176], v[14:15], v[179:180]
	v_fma_f64 v[173:174], v[173:174], v[14:15], -v[16:17]
	scratch_load_b128 v[14:17], off, off offset:544
	v_add_f64_e32 v[179:180], v[185:186], v[183:184]
	v_add_f64_e32 v[171:172], v[171:172], v[181:182]
	s_wait_loadcnt_dscnt 0x800
	v_mul_f64_e32 v[181:182], v[167:168], v[24:25]
	v_mul_f64_e32 v[24:25], v[169:170], v[24:25]
	v_fma_f64 v[177:178], v[4:5], v[18:19], v[177:178]
	v_fma_f64 v[183:184], v[2:3], v[18:19], -v[20:21]
	ds_load_b128 v[2:5], v1 offset:1344
	scratch_load_b128 v[18:21], off, off offset:560
	v_add_f64_e32 v[179:180], v[179:180], v[173:174]
	v_add_f64_e32 v[175:176], v[171:172], v[175:176]
	ds_load_b128 v[171:174], v1 offset:1360
	s_wait_loadcnt_dscnt 0x801
	v_mul_f64_e32 v[185:186], v[2:3], v[28:29]
	v_mul_f64_e32 v[28:29], v[4:5], v[28:29]
	v_fma_f64 v[169:170], v[169:170], v[22:23], v[181:182]
	v_fma_f64 v[167:168], v[167:168], v[22:23], -v[24:25]
	scratch_load_b128 v[22:25], off, off offset:576
	;; [unrolled: 18-line block ×4, first 2 shown]
	s_wait_loadcnt_dscnt 0x800
	v_mul_f64_e32 v[179:180], v[171:172], v[8:9]
	v_mul_f64_e32 v[8:9], v[173:174], v[8:9]
	v_add_f64_e32 v[177:178], v[177:178], v[183:184]
	v_add_f64_e32 v[175:176], v[175:176], v[181:182]
	v_fma_f64 v[181:182], v[4:5], v[42:43], v[185:186]
	v_fma_f64 v[183:184], v[2:3], v[42:43], -v[44:45]
	ds_load_b128 v[2:5], v1 offset:1440
	scratch_load_b128 v[42:45], off, off offset:656
	v_fma_f64 v[173:174], v[173:174], v[6:7], v[179:180]
	v_fma_f64 v[171:172], v[171:172], v[6:7], -v[8:9]
	scratch_load_b128 v[6:9], off, off offset:672
	v_add_f64_e32 v[177:178], v[177:178], v[167:168]
	v_add_f64_e32 v[175:176], v[175:176], v[169:170]
	ds_load_b128 v[167:170], v1 offset:1456
	s_wait_loadcnt_dscnt 0x901
	v_mul_f64_e32 v[185:186], v[2:3], v[12:13]
	v_mul_f64_e32 v[12:13], v[4:5], v[12:13]
	s_wait_loadcnt_dscnt 0x800
	v_mul_f64_e32 v[179:180], v[167:168], v[16:17]
	v_mul_f64_e32 v[16:17], v[169:170], v[16:17]
	v_add_f64_e32 v[177:178], v[177:178], v[183:184]
	v_add_f64_e32 v[175:176], v[175:176], v[181:182]
	v_fma_f64 v[181:182], v[4:5], v[10:11], v[185:186]
	v_fma_f64 v[183:184], v[2:3], v[10:11], -v[12:13]
	ds_load_b128 v[2:5], v1 offset:1472
	scratch_load_b128 v[10:13], off, off offset:688
	v_fma_f64 v[169:170], v[169:170], v[14:15], v[179:180]
	v_fma_f64 v[167:168], v[167:168], v[14:15], -v[16:17]
	scratch_load_b128 v[14:17], off, off offset:704
	v_add_f64_e32 v[177:178], v[177:178], v[171:172]
	v_add_f64_e32 v[175:176], v[175:176], v[173:174]
	ds_load_b128 v[171:174], v1 offset:1488
	s_wait_loadcnt_dscnt 0x901
	v_mul_f64_e32 v[185:186], v[2:3], v[20:21]
	v_mul_f64_e32 v[20:21], v[4:5], v[20:21]
	;; [unrolled: 18-line block ×9, first 2 shown]
	s_wait_loadcnt_dscnt 0x800
	v_mul_f64_e32 v[179:180], v[167:168], v[40:41]
	v_mul_f64_e32 v[40:41], v[169:170], v[40:41]
	v_add_f64_e32 v[177:178], v[177:178], v[183:184]
	v_add_f64_e32 v[175:176], v[175:176], v[181:182]
	v_fma_f64 v[181:182], v[4:5], v[34:35], v[185:186]
	v_fma_f64 v[183:184], v[2:3], v[34:35], -v[36:37]
	ds_load_b128 v[2:5], v1 offset:1728
	ds_load_b128 v[34:37], v1 offset:1744
	v_fma_f64 v[169:170], v[169:170], v[38:39], v[179:180]
	v_fma_f64 v[38:39], v[167:168], v[38:39], -v[40:41]
	v_add_f64_e32 v[171:172], v[177:178], v[171:172]
	v_add_f64_e32 v[173:174], v[175:176], v[173:174]
	s_wait_loadcnt_dscnt 0x701
	v_mul_f64_e32 v[175:176], v[2:3], v[44:45]
	v_mul_f64_e32 v[44:45], v[4:5], v[44:45]
	s_delay_alu instid0(VALU_DEP_4) | instskip(NEXT) | instid1(VALU_DEP_4)
	v_add_f64_e32 v[40:41], v[171:172], v[183:184]
	v_add_f64_e32 v[167:168], v[173:174], v[181:182]
	s_wait_loadcnt_dscnt 0x600
	v_mul_f64_e32 v[171:172], v[34:35], v[8:9]
	v_mul_f64_e32 v[8:9], v[36:37], v[8:9]
	v_fma_f64 v[173:174], v[4:5], v[42:43], v[175:176]
	v_fma_f64 v[42:43], v[2:3], v[42:43], -v[44:45]
	v_add_f64_e32 v[44:45], v[40:41], v[38:39]
	v_add_f64_e32 v[167:168], v[167:168], v[169:170]
	ds_load_b128 v[2:5], v1 offset:1760
	ds_load_b128 v[38:41], v1 offset:1776
	v_fma_f64 v[36:37], v[36:37], v[6:7], v[171:172]
	v_fma_f64 v[6:7], v[34:35], v[6:7], -v[8:9]
	s_wait_loadcnt_dscnt 0x501
	v_mul_f64_e32 v[169:170], v[2:3], v[12:13]
	v_mul_f64_e32 v[12:13], v[4:5], v[12:13]
	v_add_f64_e32 v[8:9], v[44:45], v[42:43]
	v_add_f64_e32 v[34:35], v[167:168], v[173:174]
	s_wait_loadcnt_dscnt 0x400
	v_mul_f64_e32 v[42:43], v[38:39], v[16:17]
	v_mul_f64_e32 v[16:17], v[40:41], v[16:17]
	v_fma_f64 v[44:45], v[4:5], v[10:11], v[169:170]
	v_fma_f64 v[10:11], v[2:3], v[10:11], -v[12:13]
	v_add_f64_e32 v[12:13], v[8:9], v[6:7]
	v_add_f64_e32 v[34:35], v[34:35], v[36:37]
	ds_load_b128 v[2:5], v1 offset:1792
	ds_load_b128 v[6:9], v1 offset:1808
	v_fma_f64 v[40:41], v[40:41], v[14:15], v[42:43]
	v_fma_f64 v[14:15], v[38:39], v[14:15], -v[16:17]
	s_wait_loadcnt_dscnt 0x301
	v_mul_f64_e32 v[36:37], v[2:3], v[20:21]
	v_mul_f64_e32 v[20:21], v[4:5], v[20:21]
	s_wait_loadcnt_dscnt 0x200
	v_mul_f64_e32 v[16:17], v[6:7], v[24:25]
	v_mul_f64_e32 v[24:25], v[8:9], v[24:25]
	v_add_f64_e32 v[10:11], v[12:13], v[10:11]
	v_add_f64_e32 v[12:13], v[34:35], v[44:45]
	v_fma_f64 v[34:35], v[4:5], v[18:19], v[36:37]
	v_fma_f64 v[18:19], v[2:3], v[18:19], -v[20:21]
	v_fma_f64 v[8:9], v[8:9], v[22:23], v[16:17]
	v_fma_f64 v[6:7], v[6:7], v[22:23], -v[24:25]
	v_add_f64_e32 v[14:15], v[10:11], v[14:15]
	v_add_f64_e32 v[20:21], v[12:13], v[40:41]
	ds_load_b128 v[2:5], v1 offset:1824
	ds_load_b128 v[10:13], v1 offset:1840
	s_wait_loadcnt_dscnt 0x101
	v_mul_f64_e32 v[36:37], v[2:3], v[28:29]
	v_mul_f64_e32 v[28:29], v[4:5], v[28:29]
	v_add_f64_e32 v[14:15], v[14:15], v[18:19]
	v_add_f64_e32 v[16:17], v[20:21], v[34:35]
	s_wait_loadcnt_dscnt 0x0
	v_mul_f64_e32 v[18:19], v[10:11], v[32:33]
	v_mul_f64_e32 v[20:21], v[12:13], v[32:33]
	v_fma_f64 v[4:5], v[4:5], v[26:27], v[36:37]
	v_fma_f64 v[1:2], v[2:3], v[26:27], -v[28:29]
	v_add_f64_e32 v[6:7], v[14:15], v[6:7]
	v_add_f64_e32 v[8:9], v[16:17], v[8:9]
	v_fma_f64 v[12:13], v[12:13], v[30:31], v[18:19]
	v_fma_f64 v[10:11], v[10:11], v[30:31], -v[20:21]
	s_delay_alu instid0(VALU_DEP_4) | instskip(NEXT) | instid1(VALU_DEP_4)
	v_add_f64_e32 v[1:2], v[6:7], v[1:2]
	v_add_f64_e32 v[3:4], v[8:9], v[4:5]
	s_delay_alu instid0(VALU_DEP_2) | instskip(NEXT) | instid1(VALU_DEP_2)
	v_add_f64_e32 v[1:2], v[1:2], v[10:11]
	v_add_f64_e32 v[3:4], v[3:4], v[12:13]
	s_delay_alu instid0(VALU_DEP_2) | instskip(NEXT) | instid1(VALU_DEP_2)
	v_add_f64_e64 v[1:2], v[163:164], -v[1:2]
	v_add_f64_e64 v[3:4], v[165:166], -v[3:4]
	scratch_store_b128 off, v[1:4], off offset:160
	v_cmpx_lt_u32_e32 8, v0
	s_cbranch_execz .LBB121_345
; %bb.344:
	scratch_load_b128 v[1:4], off, s63
	v_mov_b32_e32 v5, 0
	s_delay_alu instid0(VALU_DEP_1)
	v_dual_mov_b32 v6, v5 :: v_dual_mov_b32 v7, v5
	v_mov_b32_e32 v8, v5
	scratch_store_b128 off, v[5:8], off offset:144
	s_wait_loadcnt 0x0
	ds_store_b128 v162, v[1:4]
.LBB121_345:
	s_wait_alu 0xfffe
	s_or_b32 exec_lo, exec_lo, s0
	s_wait_storecnt_dscnt 0x0
	s_barrier_signal -1
	s_barrier_wait -1
	global_inv scope:SCOPE_SE
	s_clause 0x7
	scratch_load_b128 v[2:5], off, off offset:160
	scratch_load_b128 v[6:9], off, off offset:176
	;; [unrolled: 1-line block ×8, first 2 shown]
	v_mov_b32_e32 v1, 0
	s_mov_b32 s0, exec_lo
	ds_load_b128 v[38:41], v1 offset:1072
	s_clause 0x1
	scratch_load_b128 v[34:37], off, off offset:288
	scratch_load_b128 v[42:45], off, off offset:144
	ds_load_b128 v[163:166], v1 offset:1088
	scratch_load_b128 v[167:170], off, off offset:304
	s_wait_loadcnt_dscnt 0xa01
	v_mul_f64_e32 v[171:172], v[40:41], v[4:5]
	v_mul_f64_e32 v[4:5], v[38:39], v[4:5]
	s_delay_alu instid0(VALU_DEP_2) | instskip(NEXT) | instid1(VALU_DEP_2)
	v_fma_f64 v[177:178], v[38:39], v[2:3], -v[171:172]
	v_fma_f64 v[179:180], v[40:41], v[2:3], v[4:5]
	ds_load_b128 v[2:5], v1 offset:1104
	s_wait_loadcnt_dscnt 0x901
	v_mul_f64_e32 v[175:176], v[163:164], v[8:9]
	v_mul_f64_e32 v[8:9], v[165:166], v[8:9]
	scratch_load_b128 v[38:41], off, off offset:320
	ds_load_b128 v[171:174], v1 offset:1120
	s_wait_loadcnt_dscnt 0x901
	v_mul_f64_e32 v[181:182], v[2:3], v[12:13]
	v_mul_f64_e32 v[12:13], v[4:5], v[12:13]
	v_fma_f64 v[165:166], v[165:166], v[6:7], v[175:176]
	v_fma_f64 v[163:164], v[163:164], v[6:7], -v[8:9]
	v_add_f64_e32 v[175:176], 0, v[177:178]
	v_add_f64_e32 v[177:178], 0, v[179:180]
	scratch_load_b128 v[6:9], off, off offset:336
	v_fma_f64 v[181:182], v[4:5], v[10:11], v[181:182]
	v_fma_f64 v[183:184], v[2:3], v[10:11], -v[12:13]
	ds_load_b128 v[2:5], v1 offset:1136
	s_wait_loadcnt_dscnt 0x901
	v_mul_f64_e32 v[179:180], v[171:172], v[16:17]
	v_mul_f64_e32 v[16:17], v[173:174], v[16:17]
	scratch_load_b128 v[10:13], off, off offset:352
	v_add_f64_e32 v[175:176], v[175:176], v[163:164]
	v_add_f64_e32 v[177:178], v[177:178], v[165:166]
	s_wait_loadcnt_dscnt 0x900
	v_mul_f64_e32 v[185:186], v[2:3], v[20:21]
	v_mul_f64_e32 v[20:21], v[4:5], v[20:21]
	ds_load_b128 v[163:166], v1 offset:1152
	v_fma_f64 v[173:174], v[173:174], v[14:15], v[179:180]
	v_fma_f64 v[171:172], v[171:172], v[14:15], -v[16:17]
	scratch_load_b128 v[14:17], off, off offset:368
	v_add_f64_e32 v[175:176], v[175:176], v[183:184]
	v_add_f64_e32 v[177:178], v[177:178], v[181:182]
	v_fma_f64 v[181:182], v[4:5], v[18:19], v[185:186]
	v_fma_f64 v[183:184], v[2:3], v[18:19], -v[20:21]
	ds_load_b128 v[2:5], v1 offset:1168
	s_wait_loadcnt_dscnt 0x901
	v_mul_f64_e32 v[179:180], v[163:164], v[24:25]
	v_mul_f64_e32 v[24:25], v[165:166], v[24:25]
	scratch_load_b128 v[18:21], off, off offset:384
	s_wait_loadcnt_dscnt 0x900
	v_mul_f64_e32 v[185:186], v[2:3], v[28:29]
	v_mul_f64_e32 v[28:29], v[4:5], v[28:29]
	v_add_f64_e32 v[175:176], v[175:176], v[171:172]
	v_add_f64_e32 v[177:178], v[177:178], v[173:174]
	ds_load_b128 v[171:174], v1 offset:1184
	v_fma_f64 v[165:166], v[165:166], v[22:23], v[179:180]
	v_fma_f64 v[163:164], v[163:164], v[22:23], -v[24:25]
	scratch_load_b128 v[22:25], off, off offset:400
	v_add_f64_e32 v[175:176], v[175:176], v[183:184]
	v_add_f64_e32 v[177:178], v[177:178], v[181:182]
	v_fma_f64 v[181:182], v[4:5], v[26:27], v[185:186]
	v_fma_f64 v[183:184], v[2:3], v[26:27], -v[28:29]
	ds_load_b128 v[2:5], v1 offset:1200
	s_wait_loadcnt_dscnt 0x901
	v_mul_f64_e32 v[179:180], v[171:172], v[32:33]
	v_mul_f64_e32 v[32:33], v[173:174], v[32:33]
	scratch_load_b128 v[26:29], off, off offset:416
	s_wait_loadcnt_dscnt 0x900
	v_mul_f64_e32 v[185:186], v[2:3], v[36:37]
	v_mul_f64_e32 v[36:37], v[4:5], v[36:37]
	v_add_f64_e32 v[175:176], v[175:176], v[163:164]
	v_add_f64_e32 v[177:178], v[177:178], v[165:166]
	ds_load_b128 v[163:166], v1 offset:1216
	v_fma_f64 v[173:174], v[173:174], v[30:31], v[179:180]
	v_fma_f64 v[171:172], v[171:172], v[30:31], -v[32:33]
	scratch_load_b128 v[30:33], off, off offset:432
	v_add_f64_e32 v[175:176], v[175:176], v[183:184]
	v_add_f64_e32 v[177:178], v[177:178], v[181:182]
	v_fma_f64 v[183:184], v[4:5], v[34:35], v[185:186]
	v_fma_f64 v[185:186], v[2:3], v[34:35], -v[36:37]
	ds_load_b128 v[2:5], v1 offset:1232
	s_wait_loadcnt_dscnt 0x801
	v_mul_f64_e32 v[179:180], v[163:164], v[169:170]
	v_mul_f64_e32 v[181:182], v[165:166], v[169:170]
	scratch_load_b128 v[34:37], off, off offset:448
	v_add_f64_e32 v[175:176], v[175:176], v[171:172]
	v_add_f64_e32 v[173:174], v[177:178], v[173:174]
	ds_load_b128 v[169:172], v1 offset:1248
	v_fma_f64 v[179:180], v[165:166], v[167:168], v[179:180]
	v_fma_f64 v[167:168], v[163:164], v[167:168], -v[181:182]
	scratch_load_b128 v[163:166], off, off offset:464
	s_wait_loadcnt_dscnt 0x901
	v_mul_f64_e32 v[177:178], v[2:3], v[40:41]
	v_mul_f64_e32 v[40:41], v[4:5], v[40:41]
	v_add_f64_e32 v[175:176], v[175:176], v[185:186]
	v_add_f64_e32 v[173:174], v[173:174], v[183:184]
	s_delay_alu instid0(VALU_DEP_4) | instskip(NEXT) | instid1(VALU_DEP_4)
	v_fma_f64 v[177:178], v[4:5], v[38:39], v[177:178]
	v_fma_f64 v[183:184], v[2:3], v[38:39], -v[40:41]
	ds_load_b128 v[2:5], v1 offset:1264
	s_wait_loadcnt_dscnt 0x801
	v_mul_f64_e32 v[181:182], v[169:170], v[8:9]
	v_mul_f64_e32 v[8:9], v[171:172], v[8:9]
	scratch_load_b128 v[38:41], off, off offset:480
	s_wait_loadcnt_dscnt 0x800
	v_mul_f64_e32 v[185:186], v[2:3], v[12:13]
	v_add_f64_e32 v[167:168], v[175:176], v[167:168]
	v_add_f64_e32 v[179:180], v[173:174], v[179:180]
	v_mul_f64_e32 v[12:13], v[4:5], v[12:13]
	ds_load_b128 v[173:176], v1 offset:1280
	v_fma_f64 v[171:172], v[171:172], v[6:7], v[181:182]
	v_fma_f64 v[169:170], v[169:170], v[6:7], -v[8:9]
	scratch_load_b128 v[6:9], off, off offset:496
	v_fma_f64 v[181:182], v[4:5], v[10:11], v[185:186]
	v_add_f64_e32 v[167:168], v[167:168], v[183:184]
	v_add_f64_e32 v[177:178], v[179:180], v[177:178]
	v_fma_f64 v[183:184], v[2:3], v[10:11], -v[12:13]
	ds_load_b128 v[2:5], v1 offset:1296
	s_wait_loadcnt_dscnt 0x801
	v_mul_f64_e32 v[179:180], v[173:174], v[16:17]
	v_mul_f64_e32 v[16:17], v[175:176], v[16:17]
	scratch_load_b128 v[10:13], off, off offset:512
	v_add_f64_e32 v[185:186], v[167:168], v[169:170]
	v_add_f64_e32 v[171:172], v[177:178], v[171:172]
	s_wait_loadcnt_dscnt 0x800
	v_mul_f64_e32 v[177:178], v[2:3], v[20:21]
	v_mul_f64_e32 v[20:21], v[4:5], v[20:21]
	v_fma_f64 v[175:176], v[175:176], v[14:15], v[179:180]
	v_fma_f64 v[173:174], v[173:174], v[14:15], -v[16:17]
	ds_load_b128 v[167:170], v1 offset:1312
	scratch_load_b128 v[14:17], off, off offset:528
	v_add_f64_e32 v[179:180], v[185:186], v[183:184]
	v_add_f64_e32 v[171:172], v[171:172], v[181:182]
	v_fma_f64 v[177:178], v[4:5], v[18:19], v[177:178]
	v_fma_f64 v[183:184], v[2:3], v[18:19], -v[20:21]
	ds_load_b128 v[2:5], v1 offset:1328
	s_wait_loadcnt_dscnt 0x801
	v_mul_f64_e32 v[181:182], v[167:168], v[24:25]
	v_mul_f64_e32 v[24:25], v[169:170], v[24:25]
	scratch_load_b128 v[18:21], off, off offset:544
	s_wait_loadcnt_dscnt 0x800
	v_mul_f64_e32 v[185:186], v[2:3], v[28:29]
	v_mul_f64_e32 v[28:29], v[4:5], v[28:29]
	v_add_f64_e32 v[179:180], v[179:180], v[173:174]
	v_add_f64_e32 v[175:176], v[171:172], v[175:176]
	ds_load_b128 v[171:174], v1 offset:1344
	v_fma_f64 v[169:170], v[169:170], v[22:23], v[181:182]
	v_fma_f64 v[167:168], v[167:168], v[22:23], -v[24:25]
	scratch_load_b128 v[22:25], off, off offset:560
	v_fma_f64 v[181:182], v[4:5], v[26:27], v[185:186]
	v_add_f64_e32 v[179:180], v[179:180], v[183:184]
	v_add_f64_e32 v[175:176], v[175:176], v[177:178]
	v_fma_f64 v[183:184], v[2:3], v[26:27], -v[28:29]
	ds_load_b128 v[2:5], v1 offset:1360
	s_wait_loadcnt_dscnt 0x801
	v_mul_f64_e32 v[177:178], v[171:172], v[32:33]
	v_mul_f64_e32 v[32:33], v[173:174], v[32:33]
	scratch_load_b128 v[26:29], off, off offset:576
	s_wait_loadcnt_dscnt 0x800
	v_mul_f64_e32 v[185:186], v[2:3], v[36:37]
	v_mul_f64_e32 v[36:37], v[4:5], v[36:37]
	v_add_f64_e32 v[179:180], v[179:180], v[167:168]
	v_add_f64_e32 v[175:176], v[175:176], v[169:170]
	ds_load_b128 v[167:170], v1 offset:1376
	v_fma_f64 v[173:174], v[173:174], v[30:31], v[177:178]
	v_fma_f64 v[171:172], v[171:172], v[30:31], -v[32:33]
	scratch_load_b128 v[30:33], off, off offset:592
	v_add_f64_e32 v[177:178], v[179:180], v[183:184]
	v_add_f64_e32 v[175:176], v[175:176], v[181:182]
	v_fma_f64 v[181:182], v[4:5], v[34:35], v[185:186]
	v_fma_f64 v[183:184], v[2:3], v[34:35], -v[36:37]
	ds_load_b128 v[2:5], v1 offset:1392
	s_wait_loadcnt_dscnt 0x801
	v_mul_f64_e32 v[179:180], v[167:168], v[165:166]
	v_mul_f64_e32 v[165:166], v[169:170], v[165:166]
	scratch_load_b128 v[34:37], off, off offset:608
	s_wait_loadcnt_dscnt 0x800
	v_mul_f64_e32 v[185:186], v[2:3], v[40:41]
	v_mul_f64_e32 v[40:41], v[4:5], v[40:41]
	v_add_f64_e32 v[177:178], v[177:178], v[171:172]
	v_add_f64_e32 v[175:176], v[175:176], v[173:174]
	ds_load_b128 v[171:174], v1 offset:1408
	v_fma_f64 v[169:170], v[169:170], v[163:164], v[179:180]
	v_fma_f64 v[167:168], v[167:168], v[163:164], -v[165:166]
	scratch_load_b128 v[163:166], off, off offset:624
	v_add_f64_e32 v[177:178], v[177:178], v[183:184]
	v_add_f64_e32 v[175:176], v[175:176], v[181:182]
	v_fma_f64 v[181:182], v[4:5], v[38:39], v[185:186]
	;; [unrolled: 18-line block ×6, first 2 shown]
	v_fma_f64 v[185:186], v[2:3], v[34:35], -v[36:37]
	ds_load_b128 v[2:5], v1 offset:1552
	s_wait_loadcnt_dscnt 0x801
	v_mul_f64_e32 v[179:180], v[171:172], v[165:166]
	v_mul_f64_e32 v[181:182], v[173:174], v[165:166]
	scratch_load_b128 v[34:37], off, off offset:768
	v_add_f64_e32 v[177:178], v[177:178], v[167:168]
	v_add_f64_e32 v[169:170], v[175:176], v[169:170]
	s_wait_loadcnt_dscnt 0x800
	v_mul_f64_e32 v[175:176], v[2:3], v[40:41]
	v_mul_f64_e32 v[40:41], v[4:5], v[40:41]
	ds_load_b128 v[165:168], v1 offset:1568
	v_fma_f64 v[173:174], v[173:174], v[163:164], v[179:180]
	v_fma_f64 v[163:164], v[171:172], v[163:164], -v[181:182]
	v_add_f64_e32 v[177:178], v[177:178], v[185:186]
	v_add_f64_e32 v[179:180], v[169:170], v[183:184]
	scratch_load_b128 v[169:172], off, off offset:784
	v_fma_f64 v[183:184], v[4:5], v[38:39], v[175:176]
	v_fma_f64 v[185:186], v[2:3], v[38:39], -v[40:41]
	ds_load_b128 v[2:5], v1 offset:1584
	s_wait_loadcnt_dscnt 0x801
	v_mul_f64_e32 v[181:182], v[165:166], v[8:9]
	v_mul_f64_e32 v[8:9], v[167:168], v[8:9]
	scratch_load_b128 v[38:41], off, off offset:800
	v_add_f64_e32 v[163:164], v[177:178], v[163:164]
	v_add_f64_e32 v[177:178], v[179:180], v[173:174]
	s_wait_loadcnt_dscnt 0x800
	v_mul_f64_e32 v[179:180], v[2:3], v[12:13]
	v_mul_f64_e32 v[12:13], v[4:5], v[12:13]
	ds_load_b128 v[173:176], v1 offset:1600
	v_fma_f64 v[167:168], v[167:168], v[6:7], v[181:182]
	v_fma_f64 v[165:166], v[165:166], v[6:7], -v[8:9]
	scratch_load_b128 v[6:9], off, off offset:816
	v_add_f64_e32 v[163:164], v[163:164], v[185:186]
	v_add_f64_e32 v[177:178], v[177:178], v[183:184]
	v_fma_f64 v[179:180], v[4:5], v[10:11], v[179:180]
	v_fma_f64 v[183:184], v[2:3], v[10:11], -v[12:13]
	ds_load_b128 v[2:5], v1 offset:1616
	s_wait_loadcnt_dscnt 0x801
	v_mul_f64_e32 v[181:182], v[173:174], v[16:17]
	v_mul_f64_e32 v[16:17], v[175:176], v[16:17]
	scratch_load_b128 v[10:13], off, off offset:832
	v_add_f64_e32 v[185:186], v[163:164], v[165:166]
	v_add_f64_e32 v[167:168], v[177:178], v[167:168]
	s_wait_loadcnt_dscnt 0x800
	v_mul_f64_e32 v[177:178], v[2:3], v[20:21]
	v_mul_f64_e32 v[20:21], v[4:5], v[20:21]
	ds_load_b128 v[163:166], v1 offset:1632
	v_fma_f64 v[175:176], v[175:176], v[14:15], v[181:182]
	v_fma_f64 v[173:174], v[173:174], v[14:15], -v[16:17]
	scratch_load_b128 v[14:17], off, off offset:848
	v_add_f64_e32 v[181:182], v[185:186], v[183:184]
	v_add_f64_e32 v[167:168], v[167:168], v[179:180]
	v_fma_f64 v[177:178], v[4:5], v[18:19], v[177:178]
	v_fma_f64 v[183:184], v[2:3], v[18:19], -v[20:21]
	ds_load_b128 v[2:5], v1 offset:1648
	s_wait_loadcnt_dscnt 0x801
	v_mul_f64_e32 v[179:180], v[163:164], v[24:25]
	v_mul_f64_e32 v[24:25], v[165:166], v[24:25]
	scratch_load_b128 v[18:21], off, off offset:864
	s_wait_loadcnt_dscnt 0x800
	v_mul_f64_e32 v[185:186], v[2:3], v[28:29]
	v_mul_f64_e32 v[28:29], v[4:5], v[28:29]
	v_add_f64_e32 v[181:182], v[181:182], v[173:174]
	v_add_f64_e32 v[167:168], v[167:168], v[175:176]
	ds_load_b128 v[173:176], v1 offset:1664
	v_fma_f64 v[165:166], v[165:166], v[22:23], v[179:180]
	v_fma_f64 v[163:164], v[163:164], v[22:23], -v[24:25]
	scratch_load_b128 v[22:25], off, off offset:880
	v_add_f64_e32 v[179:180], v[181:182], v[183:184]
	v_add_f64_e32 v[167:168], v[167:168], v[177:178]
	v_fma_f64 v[181:182], v[4:5], v[26:27], v[185:186]
	v_fma_f64 v[183:184], v[2:3], v[26:27], -v[28:29]
	ds_load_b128 v[2:5], v1 offset:1680
	s_wait_loadcnt_dscnt 0x801
	v_mul_f64_e32 v[177:178], v[173:174], v[32:33]
	v_mul_f64_e32 v[32:33], v[175:176], v[32:33]
	scratch_load_b128 v[26:29], off, off offset:896
	s_wait_loadcnt_dscnt 0x800
	v_mul_f64_e32 v[185:186], v[2:3], v[36:37]
	v_mul_f64_e32 v[36:37], v[4:5], v[36:37]
	v_add_f64_e32 v[179:180], v[179:180], v[163:164]
	v_add_f64_e32 v[167:168], v[167:168], v[165:166]
	ds_load_b128 v[163:166], v1 offset:1696
	v_fma_f64 v[175:176], v[175:176], v[30:31], v[177:178]
	v_fma_f64 v[173:174], v[173:174], v[30:31], -v[32:33]
	scratch_load_b128 v[30:33], off, off offset:912
	v_add_f64_e32 v[177:178], v[179:180], v[183:184]
	v_add_f64_e32 v[167:168], v[167:168], v[181:182]
	v_fma_f64 v[183:184], v[4:5], v[34:35], v[185:186]
	v_fma_f64 v[185:186], v[2:3], v[34:35], -v[36:37]
	ds_load_b128 v[2:5], v1 offset:1712
	scratch_load_b128 v[34:37], off, off offset:928
	s_wait_loadcnt_dscnt 0x901
	v_mul_f64_e32 v[179:180], v[163:164], v[171:172]
	v_mul_f64_e32 v[181:182], v[165:166], v[171:172]
	v_add_f64_e32 v[177:178], v[177:178], v[173:174]
	v_add_f64_e32 v[167:168], v[167:168], v[175:176]
	s_wait_loadcnt_dscnt 0x800
	v_mul_f64_e32 v[175:176], v[2:3], v[40:41]
	v_mul_f64_e32 v[40:41], v[4:5], v[40:41]
	ds_load_b128 v[171:174], v1 offset:1728
	v_fma_f64 v[165:166], v[165:166], v[169:170], v[179:180]
	v_fma_f64 v[163:164], v[163:164], v[169:170], -v[181:182]
	v_add_f64_e32 v[169:170], v[177:178], v[185:186]
	v_add_f64_e32 v[167:168], v[167:168], v[183:184]
	s_wait_loadcnt_dscnt 0x700
	v_mul_f64_e32 v[177:178], v[171:172], v[8:9]
	v_mul_f64_e32 v[8:9], v[173:174], v[8:9]
	v_fma_f64 v[175:176], v[4:5], v[38:39], v[175:176]
	v_fma_f64 v[179:180], v[2:3], v[38:39], -v[40:41]
	ds_load_b128 v[2:5], v1 offset:1744
	ds_load_b128 v[38:41], v1 offset:1760
	v_add_f64_e32 v[163:164], v[169:170], v[163:164]
	v_add_f64_e32 v[165:166], v[167:168], v[165:166]
	s_wait_loadcnt_dscnt 0x601
	v_mul_f64_e32 v[167:168], v[2:3], v[12:13]
	v_mul_f64_e32 v[12:13], v[4:5], v[12:13]
	v_fma_f64 v[169:170], v[173:174], v[6:7], v[177:178]
	v_fma_f64 v[6:7], v[171:172], v[6:7], -v[8:9]
	v_add_f64_e32 v[8:9], v[163:164], v[179:180]
	v_add_f64_e32 v[163:164], v[165:166], v[175:176]
	s_wait_loadcnt_dscnt 0x500
	v_mul_f64_e32 v[165:166], v[38:39], v[16:17]
	v_mul_f64_e32 v[16:17], v[40:41], v[16:17]
	v_fma_f64 v[167:168], v[4:5], v[10:11], v[167:168]
	v_fma_f64 v[10:11], v[2:3], v[10:11], -v[12:13]
	v_add_f64_e32 v[12:13], v[8:9], v[6:7]
	v_add_f64_e32 v[163:164], v[163:164], v[169:170]
	ds_load_b128 v[2:5], v1 offset:1776
	ds_load_b128 v[6:9], v1 offset:1792
	v_fma_f64 v[40:41], v[40:41], v[14:15], v[165:166]
	v_fma_f64 v[14:15], v[38:39], v[14:15], -v[16:17]
	s_wait_loadcnt_dscnt 0x401
	v_mul_f64_e32 v[169:170], v[2:3], v[20:21]
	v_mul_f64_e32 v[20:21], v[4:5], v[20:21]
	s_wait_loadcnt_dscnt 0x300
	v_mul_f64_e32 v[16:17], v[6:7], v[24:25]
	v_mul_f64_e32 v[24:25], v[8:9], v[24:25]
	v_add_f64_e32 v[10:11], v[12:13], v[10:11]
	v_add_f64_e32 v[12:13], v[163:164], v[167:168]
	v_fma_f64 v[38:39], v[4:5], v[18:19], v[169:170]
	v_fma_f64 v[18:19], v[2:3], v[18:19], -v[20:21]
	v_fma_f64 v[8:9], v[8:9], v[22:23], v[16:17]
	v_fma_f64 v[6:7], v[6:7], v[22:23], -v[24:25]
	v_add_f64_e32 v[14:15], v[10:11], v[14:15]
	v_add_f64_e32 v[20:21], v[12:13], v[40:41]
	ds_load_b128 v[2:5], v1 offset:1808
	ds_load_b128 v[10:13], v1 offset:1824
	s_wait_loadcnt_dscnt 0x201
	v_mul_f64_e32 v[40:41], v[2:3], v[28:29]
	v_mul_f64_e32 v[28:29], v[4:5], v[28:29]
	v_add_f64_e32 v[14:15], v[14:15], v[18:19]
	v_add_f64_e32 v[16:17], v[20:21], v[38:39]
	s_wait_loadcnt_dscnt 0x100
	v_mul_f64_e32 v[18:19], v[10:11], v[32:33]
	v_mul_f64_e32 v[20:21], v[12:13], v[32:33]
	v_fma_f64 v[22:23], v[4:5], v[26:27], v[40:41]
	v_fma_f64 v[24:25], v[2:3], v[26:27], -v[28:29]
	ds_load_b128 v[2:5], v1 offset:1840
	v_add_f64_e32 v[6:7], v[14:15], v[6:7]
	v_add_f64_e32 v[8:9], v[16:17], v[8:9]
	v_fma_f64 v[12:13], v[12:13], v[30:31], v[18:19]
	v_fma_f64 v[10:11], v[10:11], v[30:31], -v[20:21]
	s_wait_loadcnt_dscnt 0x0
	v_mul_f64_e32 v[14:15], v[2:3], v[36:37]
	v_mul_f64_e32 v[16:17], v[4:5], v[36:37]
	v_add_f64_e32 v[6:7], v[6:7], v[24:25]
	v_add_f64_e32 v[8:9], v[8:9], v[22:23]
	s_delay_alu instid0(VALU_DEP_4) | instskip(NEXT) | instid1(VALU_DEP_4)
	v_fma_f64 v[4:5], v[4:5], v[34:35], v[14:15]
	v_fma_f64 v[2:3], v[2:3], v[34:35], -v[16:17]
	s_delay_alu instid0(VALU_DEP_4) | instskip(NEXT) | instid1(VALU_DEP_4)
	v_add_f64_e32 v[6:7], v[6:7], v[10:11]
	v_add_f64_e32 v[8:9], v[8:9], v[12:13]
	s_delay_alu instid0(VALU_DEP_2) | instskip(NEXT) | instid1(VALU_DEP_2)
	v_add_f64_e32 v[2:3], v[6:7], v[2:3]
	v_add_f64_e32 v[4:5], v[8:9], v[4:5]
	s_delay_alu instid0(VALU_DEP_2) | instskip(NEXT) | instid1(VALU_DEP_2)
	v_add_f64_e64 v[2:3], v[42:43], -v[2:3]
	v_add_f64_e64 v[4:5], v[44:45], -v[4:5]
	scratch_store_b128 off, v[2:5], off offset:144
	v_cmpx_lt_u32_e32 7, v0
	s_cbranch_execz .LBB121_347
; %bb.346:
	scratch_load_b128 v[5:8], off, s64
	v_dual_mov_b32 v2, v1 :: v_dual_mov_b32 v3, v1
	v_mov_b32_e32 v4, v1
	scratch_store_b128 off, v[1:4], off offset:128
	s_wait_loadcnt 0x0
	ds_store_b128 v162, v[5:8]
.LBB121_347:
	s_wait_alu 0xfffe
	s_or_b32 exec_lo, exec_lo, s0
	s_wait_storecnt_dscnt 0x0
	s_barrier_signal -1
	s_barrier_wait -1
	global_inv scope:SCOPE_SE
	s_clause 0x8
	scratch_load_b128 v[2:5], off, off offset:144
	scratch_load_b128 v[6:9], off, off offset:160
	;; [unrolled: 1-line block ×9, first 2 shown]
	ds_load_b128 v[42:45], v1 offset:1056
	ds_load_b128 v[38:41], v1 offset:1072
	s_clause 0x1
	scratch_load_b128 v[163:166], off, off offset:128
	scratch_load_b128 v[167:170], off, off offset:288
	s_mov_b32 s0, exec_lo
	s_wait_loadcnt_dscnt 0xa01
	v_mul_f64_e32 v[171:172], v[44:45], v[4:5]
	v_mul_f64_e32 v[4:5], v[42:43], v[4:5]
	s_wait_loadcnt_dscnt 0x900
	v_mul_f64_e32 v[175:176], v[38:39], v[8:9]
	v_mul_f64_e32 v[8:9], v[40:41], v[8:9]
	s_delay_alu instid0(VALU_DEP_4) | instskip(NEXT) | instid1(VALU_DEP_4)
	v_fma_f64 v[177:178], v[42:43], v[2:3], -v[171:172]
	v_fma_f64 v[179:180], v[44:45], v[2:3], v[4:5]
	ds_load_b128 v[2:5], v1 offset:1088
	ds_load_b128 v[171:174], v1 offset:1104
	scratch_load_b128 v[42:45], off, off offset:304
	v_fma_f64 v[40:41], v[40:41], v[6:7], v[175:176]
	v_fma_f64 v[38:39], v[38:39], v[6:7], -v[8:9]
	scratch_load_b128 v[6:9], off, off offset:320
	s_wait_loadcnt_dscnt 0xa01
	v_mul_f64_e32 v[181:182], v[2:3], v[12:13]
	v_mul_f64_e32 v[12:13], v[4:5], v[12:13]
	v_add_f64_e32 v[175:176], 0, v[177:178]
	v_add_f64_e32 v[177:178], 0, v[179:180]
	s_wait_loadcnt_dscnt 0x900
	v_mul_f64_e32 v[179:180], v[171:172], v[16:17]
	v_mul_f64_e32 v[16:17], v[173:174], v[16:17]
	v_fma_f64 v[181:182], v[4:5], v[10:11], v[181:182]
	v_fma_f64 v[183:184], v[2:3], v[10:11], -v[12:13]
	ds_load_b128 v[2:5], v1 offset:1120
	scratch_load_b128 v[10:13], off, off offset:336
	v_add_f64_e32 v[175:176], v[175:176], v[38:39]
	v_add_f64_e32 v[177:178], v[177:178], v[40:41]
	ds_load_b128 v[38:41], v1 offset:1136
	v_fma_f64 v[173:174], v[173:174], v[14:15], v[179:180]
	v_fma_f64 v[171:172], v[171:172], v[14:15], -v[16:17]
	scratch_load_b128 v[14:17], off, off offset:352
	s_wait_loadcnt_dscnt 0xa01
	v_mul_f64_e32 v[185:186], v[2:3], v[20:21]
	v_mul_f64_e32 v[20:21], v[4:5], v[20:21]
	s_wait_loadcnt_dscnt 0x900
	v_mul_f64_e32 v[179:180], v[38:39], v[24:25]
	v_mul_f64_e32 v[24:25], v[40:41], v[24:25]
	v_add_f64_e32 v[175:176], v[175:176], v[183:184]
	v_add_f64_e32 v[177:178], v[177:178], v[181:182]
	v_fma_f64 v[181:182], v[4:5], v[18:19], v[185:186]
	v_fma_f64 v[183:184], v[2:3], v[18:19], -v[20:21]
	ds_load_b128 v[2:5], v1 offset:1152
	scratch_load_b128 v[18:21], off, off offset:368
	v_fma_f64 v[40:41], v[40:41], v[22:23], v[179:180]
	v_fma_f64 v[38:39], v[38:39], v[22:23], -v[24:25]
	scratch_load_b128 v[22:25], off, off offset:384
	v_add_f64_e32 v[175:176], v[175:176], v[171:172]
	v_add_f64_e32 v[177:178], v[177:178], v[173:174]
	ds_load_b128 v[171:174], v1 offset:1168
	s_wait_loadcnt_dscnt 0xa01
	v_mul_f64_e32 v[185:186], v[2:3], v[28:29]
	v_mul_f64_e32 v[28:29], v[4:5], v[28:29]
	s_wait_loadcnt_dscnt 0x900
	v_mul_f64_e32 v[179:180], v[171:172], v[32:33]
	v_mul_f64_e32 v[32:33], v[173:174], v[32:33]
	v_add_f64_e32 v[175:176], v[175:176], v[183:184]
	v_add_f64_e32 v[177:178], v[177:178], v[181:182]
	v_fma_f64 v[181:182], v[4:5], v[26:27], v[185:186]
	v_fma_f64 v[183:184], v[2:3], v[26:27], -v[28:29]
	ds_load_b128 v[2:5], v1 offset:1184
	scratch_load_b128 v[26:29], off, off offset:400
	v_fma_f64 v[173:174], v[173:174], v[30:31], v[179:180]
	v_fma_f64 v[171:172], v[171:172], v[30:31], -v[32:33]
	scratch_load_b128 v[30:33], off, off offset:416
	v_add_f64_e32 v[175:176], v[175:176], v[38:39]
	v_add_f64_e32 v[177:178], v[177:178], v[40:41]
	ds_load_b128 v[38:41], v1 offset:1200
	s_wait_loadcnt_dscnt 0xa01
	v_mul_f64_e32 v[185:186], v[2:3], v[36:37]
	v_mul_f64_e32 v[36:37], v[4:5], v[36:37]
	s_wait_loadcnt_dscnt 0x800
	v_mul_f64_e32 v[179:180], v[38:39], v[169:170]
	v_add_f64_e32 v[175:176], v[175:176], v[183:184]
	v_add_f64_e32 v[177:178], v[177:178], v[181:182]
	v_mul_f64_e32 v[181:182], v[40:41], v[169:170]
	v_fma_f64 v[183:184], v[4:5], v[34:35], v[185:186]
	v_fma_f64 v[185:186], v[2:3], v[34:35], -v[36:37]
	ds_load_b128 v[2:5], v1 offset:1216
	scratch_load_b128 v[34:37], off, off offset:432
	v_fma_f64 v[179:180], v[40:41], v[167:168], v[179:180]
	v_add_f64_e32 v[175:176], v[175:176], v[171:172]
	v_add_f64_e32 v[173:174], v[177:178], v[173:174]
	ds_load_b128 v[169:172], v1 offset:1232
	v_fma_f64 v[167:168], v[38:39], v[167:168], -v[181:182]
	scratch_load_b128 v[38:41], off, off offset:448
	s_wait_loadcnt_dscnt 0x901
	v_mul_f64_e32 v[177:178], v[2:3], v[44:45]
	v_mul_f64_e32 v[44:45], v[4:5], v[44:45]
	s_wait_loadcnt_dscnt 0x800
	v_mul_f64_e32 v[181:182], v[169:170], v[8:9]
	v_mul_f64_e32 v[8:9], v[171:172], v[8:9]
	v_add_f64_e32 v[175:176], v[175:176], v[185:186]
	v_add_f64_e32 v[173:174], v[173:174], v[183:184]
	v_fma_f64 v[177:178], v[4:5], v[42:43], v[177:178]
	v_fma_f64 v[183:184], v[2:3], v[42:43], -v[44:45]
	ds_load_b128 v[2:5], v1 offset:1248
	scratch_load_b128 v[42:45], off, off offset:464
	v_fma_f64 v[171:172], v[171:172], v[6:7], v[181:182]
	v_fma_f64 v[169:170], v[169:170], v[6:7], -v[8:9]
	scratch_load_b128 v[6:9], off, off offset:480
	v_add_f64_e32 v[167:168], v[175:176], v[167:168]
	v_add_f64_e32 v[179:180], v[173:174], v[179:180]
	ds_load_b128 v[173:176], v1 offset:1264
	s_wait_loadcnt_dscnt 0x901
	v_mul_f64_e32 v[185:186], v[2:3], v[12:13]
	v_mul_f64_e32 v[12:13], v[4:5], v[12:13]
	v_add_f64_e32 v[167:168], v[167:168], v[183:184]
	v_add_f64_e32 v[177:178], v[179:180], v[177:178]
	s_wait_loadcnt_dscnt 0x800
	v_mul_f64_e32 v[179:180], v[173:174], v[16:17]
	v_mul_f64_e32 v[16:17], v[175:176], v[16:17]
	v_fma_f64 v[181:182], v[4:5], v[10:11], v[185:186]
	v_fma_f64 v[183:184], v[2:3], v[10:11], -v[12:13]
	ds_load_b128 v[2:5], v1 offset:1280
	scratch_load_b128 v[10:13], off, off offset:496
	v_add_f64_e32 v[185:186], v[167:168], v[169:170]
	v_add_f64_e32 v[171:172], v[177:178], v[171:172]
	ds_load_b128 v[167:170], v1 offset:1296
	s_wait_loadcnt_dscnt 0x801
	v_mul_f64_e32 v[177:178], v[2:3], v[20:21]
	v_mul_f64_e32 v[20:21], v[4:5], v[20:21]
	v_fma_f64 v[175:176], v[175:176], v[14:15], v[179:180]
	v_fma_f64 v[173:174], v[173:174], v[14:15], -v[16:17]
	scratch_load_b128 v[14:17], off, off offset:512
	v_add_f64_e32 v[179:180], v[185:186], v[183:184]
	v_add_f64_e32 v[171:172], v[171:172], v[181:182]
	s_wait_loadcnt_dscnt 0x800
	v_mul_f64_e32 v[181:182], v[167:168], v[24:25]
	v_mul_f64_e32 v[24:25], v[169:170], v[24:25]
	v_fma_f64 v[177:178], v[4:5], v[18:19], v[177:178]
	v_fma_f64 v[183:184], v[2:3], v[18:19], -v[20:21]
	ds_load_b128 v[2:5], v1 offset:1312
	scratch_load_b128 v[18:21], off, off offset:528
	v_add_f64_e32 v[179:180], v[179:180], v[173:174]
	v_add_f64_e32 v[175:176], v[171:172], v[175:176]
	ds_load_b128 v[171:174], v1 offset:1328
	s_wait_loadcnt_dscnt 0x801
	v_mul_f64_e32 v[185:186], v[2:3], v[28:29]
	v_mul_f64_e32 v[28:29], v[4:5], v[28:29]
	v_fma_f64 v[169:170], v[169:170], v[22:23], v[181:182]
	v_fma_f64 v[167:168], v[167:168], v[22:23], -v[24:25]
	scratch_load_b128 v[22:25], off, off offset:544
	;; [unrolled: 18-line block ×4, first 2 shown]
	s_wait_loadcnt_dscnt 0x800
	v_mul_f64_e32 v[179:180], v[171:172], v[8:9]
	v_mul_f64_e32 v[8:9], v[173:174], v[8:9]
	v_add_f64_e32 v[177:178], v[177:178], v[183:184]
	v_add_f64_e32 v[175:176], v[175:176], v[181:182]
	v_fma_f64 v[181:182], v[4:5], v[42:43], v[185:186]
	v_fma_f64 v[183:184], v[2:3], v[42:43], -v[44:45]
	ds_load_b128 v[2:5], v1 offset:1408
	scratch_load_b128 v[42:45], off, off offset:624
	v_fma_f64 v[173:174], v[173:174], v[6:7], v[179:180]
	v_fma_f64 v[171:172], v[171:172], v[6:7], -v[8:9]
	scratch_load_b128 v[6:9], off, off offset:640
	v_add_f64_e32 v[177:178], v[177:178], v[167:168]
	v_add_f64_e32 v[175:176], v[175:176], v[169:170]
	ds_load_b128 v[167:170], v1 offset:1424
	s_wait_loadcnt_dscnt 0x901
	v_mul_f64_e32 v[185:186], v[2:3], v[12:13]
	v_mul_f64_e32 v[12:13], v[4:5], v[12:13]
	s_wait_loadcnt_dscnt 0x800
	v_mul_f64_e32 v[179:180], v[167:168], v[16:17]
	v_mul_f64_e32 v[16:17], v[169:170], v[16:17]
	v_add_f64_e32 v[177:178], v[177:178], v[183:184]
	v_add_f64_e32 v[175:176], v[175:176], v[181:182]
	v_fma_f64 v[181:182], v[4:5], v[10:11], v[185:186]
	v_fma_f64 v[183:184], v[2:3], v[10:11], -v[12:13]
	ds_load_b128 v[2:5], v1 offset:1440
	scratch_load_b128 v[10:13], off, off offset:656
	v_fma_f64 v[169:170], v[169:170], v[14:15], v[179:180]
	v_fma_f64 v[167:168], v[167:168], v[14:15], -v[16:17]
	scratch_load_b128 v[14:17], off, off offset:672
	v_add_f64_e32 v[177:178], v[177:178], v[171:172]
	v_add_f64_e32 v[175:176], v[175:176], v[173:174]
	ds_load_b128 v[171:174], v1 offset:1456
	s_wait_loadcnt_dscnt 0x901
	v_mul_f64_e32 v[185:186], v[2:3], v[20:21]
	v_mul_f64_e32 v[20:21], v[4:5], v[20:21]
	;; [unrolled: 18-line block ×10, first 2 shown]
	s_wait_loadcnt_dscnt 0x800
	v_mul_f64_e32 v[179:180], v[171:172], v[8:9]
	v_mul_f64_e32 v[8:9], v[173:174], v[8:9]
	v_add_f64_e32 v[177:178], v[177:178], v[183:184]
	v_add_f64_e32 v[175:176], v[175:176], v[181:182]
	v_fma_f64 v[181:182], v[4:5], v[42:43], v[185:186]
	v_fma_f64 v[183:184], v[2:3], v[42:43], -v[44:45]
	ds_load_b128 v[2:5], v1 offset:1728
	ds_load_b128 v[42:45], v1 offset:1744
	v_fma_f64 v[173:174], v[173:174], v[6:7], v[179:180]
	v_fma_f64 v[6:7], v[171:172], v[6:7], -v[8:9]
	v_add_f64_e32 v[167:168], v[177:178], v[167:168]
	v_add_f64_e32 v[169:170], v[175:176], v[169:170]
	s_wait_loadcnt_dscnt 0x701
	v_mul_f64_e32 v[175:176], v[2:3], v[12:13]
	v_mul_f64_e32 v[12:13], v[4:5], v[12:13]
	s_delay_alu instid0(VALU_DEP_4) | instskip(NEXT) | instid1(VALU_DEP_4)
	v_add_f64_e32 v[8:9], v[167:168], v[183:184]
	v_add_f64_e32 v[167:168], v[169:170], v[181:182]
	s_wait_loadcnt_dscnt 0x600
	v_mul_f64_e32 v[169:170], v[42:43], v[16:17]
	v_mul_f64_e32 v[16:17], v[44:45], v[16:17]
	v_fma_f64 v[171:172], v[4:5], v[10:11], v[175:176]
	v_fma_f64 v[10:11], v[2:3], v[10:11], -v[12:13]
	v_add_f64_e32 v[12:13], v[8:9], v[6:7]
	v_add_f64_e32 v[167:168], v[167:168], v[173:174]
	ds_load_b128 v[2:5], v1 offset:1760
	ds_load_b128 v[6:9], v1 offset:1776
	v_fma_f64 v[44:45], v[44:45], v[14:15], v[169:170]
	v_fma_f64 v[14:15], v[42:43], v[14:15], -v[16:17]
	s_wait_loadcnt_dscnt 0x501
	v_mul_f64_e32 v[173:174], v[2:3], v[20:21]
	v_mul_f64_e32 v[20:21], v[4:5], v[20:21]
	s_wait_loadcnt_dscnt 0x400
	v_mul_f64_e32 v[16:17], v[6:7], v[24:25]
	v_mul_f64_e32 v[24:25], v[8:9], v[24:25]
	v_add_f64_e32 v[10:11], v[12:13], v[10:11]
	v_add_f64_e32 v[12:13], v[167:168], v[171:172]
	v_fma_f64 v[42:43], v[4:5], v[18:19], v[173:174]
	v_fma_f64 v[18:19], v[2:3], v[18:19], -v[20:21]
	v_fma_f64 v[8:9], v[8:9], v[22:23], v[16:17]
	v_fma_f64 v[6:7], v[6:7], v[22:23], -v[24:25]
	v_add_f64_e32 v[14:15], v[10:11], v[14:15]
	v_add_f64_e32 v[20:21], v[12:13], v[44:45]
	ds_load_b128 v[2:5], v1 offset:1792
	ds_load_b128 v[10:13], v1 offset:1808
	s_wait_loadcnt_dscnt 0x301
	v_mul_f64_e32 v[44:45], v[2:3], v[28:29]
	v_mul_f64_e32 v[28:29], v[4:5], v[28:29]
	v_add_f64_e32 v[14:15], v[14:15], v[18:19]
	v_add_f64_e32 v[16:17], v[20:21], v[42:43]
	s_wait_loadcnt_dscnt 0x200
	v_mul_f64_e32 v[18:19], v[10:11], v[32:33]
	v_mul_f64_e32 v[20:21], v[12:13], v[32:33]
	v_fma_f64 v[22:23], v[4:5], v[26:27], v[44:45]
	v_fma_f64 v[24:25], v[2:3], v[26:27], -v[28:29]
	v_add_f64_e32 v[14:15], v[14:15], v[6:7]
	v_add_f64_e32 v[16:17], v[16:17], v[8:9]
	ds_load_b128 v[2:5], v1 offset:1824
	ds_load_b128 v[6:9], v1 offset:1840
	v_fma_f64 v[12:13], v[12:13], v[30:31], v[18:19]
	v_fma_f64 v[10:11], v[10:11], v[30:31], -v[20:21]
	s_wait_loadcnt_dscnt 0x101
	v_mul_f64_e32 v[26:27], v[2:3], v[36:37]
	v_mul_f64_e32 v[28:29], v[4:5], v[36:37]
	s_wait_loadcnt_dscnt 0x0
	v_mul_f64_e32 v[18:19], v[6:7], v[40:41]
	v_mul_f64_e32 v[20:21], v[8:9], v[40:41]
	v_add_f64_e32 v[14:15], v[14:15], v[24:25]
	v_add_f64_e32 v[16:17], v[16:17], v[22:23]
	v_fma_f64 v[4:5], v[4:5], v[34:35], v[26:27]
	v_fma_f64 v[1:2], v[2:3], v[34:35], -v[28:29]
	v_fma_f64 v[8:9], v[8:9], v[38:39], v[18:19]
	v_fma_f64 v[6:7], v[6:7], v[38:39], -v[20:21]
	v_add_f64_e32 v[10:11], v[14:15], v[10:11]
	v_add_f64_e32 v[12:13], v[16:17], v[12:13]
	s_delay_alu instid0(VALU_DEP_2) | instskip(NEXT) | instid1(VALU_DEP_2)
	v_add_f64_e32 v[1:2], v[10:11], v[1:2]
	v_add_f64_e32 v[3:4], v[12:13], v[4:5]
	s_delay_alu instid0(VALU_DEP_2) | instskip(NEXT) | instid1(VALU_DEP_2)
	;; [unrolled: 3-line block ×3, first 2 shown]
	v_add_f64_e64 v[1:2], v[163:164], -v[1:2]
	v_add_f64_e64 v[3:4], v[165:166], -v[3:4]
	scratch_store_b128 off, v[1:4], off offset:128
	v_cmpx_lt_u32_e32 6, v0
	s_cbranch_execz .LBB121_349
; %bb.348:
	scratch_load_b128 v[1:4], off, s65
	v_mov_b32_e32 v5, 0
	s_delay_alu instid0(VALU_DEP_1)
	v_dual_mov_b32 v6, v5 :: v_dual_mov_b32 v7, v5
	v_mov_b32_e32 v8, v5
	scratch_store_b128 off, v[5:8], off offset:112
	s_wait_loadcnt 0x0
	ds_store_b128 v162, v[1:4]
.LBB121_349:
	s_wait_alu 0xfffe
	s_or_b32 exec_lo, exec_lo, s0
	s_wait_storecnt_dscnt 0x0
	s_barrier_signal -1
	s_barrier_wait -1
	global_inv scope:SCOPE_SE
	s_clause 0x7
	scratch_load_b128 v[2:5], off, off offset:128
	scratch_load_b128 v[6:9], off, off offset:144
	;; [unrolled: 1-line block ×8, first 2 shown]
	v_mov_b32_e32 v1, 0
	s_mov_b32 s0, exec_lo
	ds_load_b128 v[38:41], v1 offset:1040
	s_clause 0x1
	scratch_load_b128 v[34:37], off, off offset:256
	scratch_load_b128 v[42:45], off, off offset:112
	ds_load_b128 v[163:166], v1 offset:1056
	scratch_load_b128 v[167:170], off, off offset:272
	s_wait_loadcnt_dscnt 0xa01
	v_mul_f64_e32 v[171:172], v[40:41], v[4:5]
	v_mul_f64_e32 v[4:5], v[38:39], v[4:5]
	s_delay_alu instid0(VALU_DEP_2) | instskip(NEXT) | instid1(VALU_DEP_2)
	v_fma_f64 v[177:178], v[38:39], v[2:3], -v[171:172]
	v_fma_f64 v[179:180], v[40:41], v[2:3], v[4:5]
	ds_load_b128 v[2:5], v1 offset:1072
	s_wait_loadcnt_dscnt 0x901
	v_mul_f64_e32 v[175:176], v[163:164], v[8:9]
	v_mul_f64_e32 v[8:9], v[165:166], v[8:9]
	scratch_load_b128 v[38:41], off, off offset:288
	ds_load_b128 v[171:174], v1 offset:1088
	s_wait_loadcnt_dscnt 0x901
	v_mul_f64_e32 v[181:182], v[2:3], v[12:13]
	v_mul_f64_e32 v[12:13], v[4:5], v[12:13]
	v_fma_f64 v[165:166], v[165:166], v[6:7], v[175:176]
	v_fma_f64 v[163:164], v[163:164], v[6:7], -v[8:9]
	v_add_f64_e32 v[175:176], 0, v[177:178]
	v_add_f64_e32 v[177:178], 0, v[179:180]
	scratch_load_b128 v[6:9], off, off offset:304
	v_fma_f64 v[181:182], v[4:5], v[10:11], v[181:182]
	v_fma_f64 v[183:184], v[2:3], v[10:11], -v[12:13]
	ds_load_b128 v[2:5], v1 offset:1104
	s_wait_loadcnt_dscnt 0x901
	v_mul_f64_e32 v[179:180], v[171:172], v[16:17]
	v_mul_f64_e32 v[16:17], v[173:174], v[16:17]
	scratch_load_b128 v[10:13], off, off offset:320
	v_add_f64_e32 v[175:176], v[175:176], v[163:164]
	v_add_f64_e32 v[177:178], v[177:178], v[165:166]
	s_wait_loadcnt_dscnt 0x900
	v_mul_f64_e32 v[185:186], v[2:3], v[20:21]
	v_mul_f64_e32 v[20:21], v[4:5], v[20:21]
	ds_load_b128 v[163:166], v1 offset:1120
	v_fma_f64 v[173:174], v[173:174], v[14:15], v[179:180]
	v_fma_f64 v[171:172], v[171:172], v[14:15], -v[16:17]
	scratch_load_b128 v[14:17], off, off offset:336
	v_add_f64_e32 v[175:176], v[175:176], v[183:184]
	v_add_f64_e32 v[177:178], v[177:178], v[181:182]
	v_fma_f64 v[181:182], v[4:5], v[18:19], v[185:186]
	v_fma_f64 v[183:184], v[2:3], v[18:19], -v[20:21]
	ds_load_b128 v[2:5], v1 offset:1136
	s_wait_loadcnt_dscnt 0x901
	v_mul_f64_e32 v[179:180], v[163:164], v[24:25]
	v_mul_f64_e32 v[24:25], v[165:166], v[24:25]
	scratch_load_b128 v[18:21], off, off offset:352
	s_wait_loadcnt_dscnt 0x900
	v_mul_f64_e32 v[185:186], v[2:3], v[28:29]
	v_mul_f64_e32 v[28:29], v[4:5], v[28:29]
	v_add_f64_e32 v[175:176], v[175:176], v[171:172]
	v_add_f64_e32 v[177:178], v[177:178], v[173:174]
	ds_load_b128 v[171:174], v1 offset:1152
	v_fma_f64 v[165:166], v[165:166], v[22:23], v[179:180]
	v_fma_f64 v[163:164], v[163:164], v[22:23], -v[24:25]
	scratch_load_b128 v[22:25], off, off offset:368
	v_add_f64_e32 v[175:176], v[175:176], v[183:184]
	v_add_f64_e32 v[177:178], v[177:178], v[181:182]
	v_fma_f64 v[181:182], v[4:5], v[26:27], v[185:186]
	v_fma_f64 v[183:184], v[2:3], v[26:27], -v[28:29]
	ds_load_b128 v[2:5], v1 offset:1168
	s_wait_loadcnt_dscnt 0x901
	v_mul_f64_e32 v[179:180], v[171:172], v[32:33]
	v_mul_f64_e32 v[32:33], v[173:174], v[32:33]
	scratch_load_b128 v[26:29], off, off offset:384
	s_wait_loadcnt_dscnt 0x900
	v_mul_f64_e32 v[185:186], v[2:3], v[36:37]
	v_mul_f64_e32 v[36:37], v[4:5], v[36:37]
	v_add_f64_e32 v[175:176], v[175:176], v[163:164]
	v_add_f64_e32 v[177:178], v[177:178], v[165:166]
	ds_load_b128 v[163:166], v1 offset:1184
	v_fma_f64 v[173:174], v[173:174], v[30:31], v[179:180]
	v_fma_f64 v[171:172], v[171:172], v[30:31], -v[32:33]
	scratch_load_b128 v[30:33], off, off offset:400
	v_add_f64_e32 v[175:176], v[175:176], v[183:184]
	v_add_f64_e32 v[177:178], v[177:178], v[181:182]
	v_fma_f64 v[183:184], v[4:5], v[34:35], v[185:186]
	v_fma_f64 v[185:186], v[2:3], v[34:35], -v[36:37]
	ds_load_b128 v[2:5], v1 offset:1200
	s_wait_loadcnt_dscnt 0x801
	v_mul_f64_e32 v[179:180], v[163:164], v[169:170]
	v_mul_f64_e32 v[181:182], v[165:166], v[169:170]
	scratch_load_b128 v[34:37], off, off offset:416
	v_add_f64_e32 v[175:176], v[175:176], v[171:172]
	v_add_f64_e32 v[173:174], v[177:178], v[173:174]
	ds_load_b128 v[169:172], v1 offset:1216
	v_fma_f64 v[179:180], v[165:166], v[167:168], v[179:180]
	v_fma_f64 v[167:168], v[163:164], v[167:168], -v[181:182]
	scratch_load_b128 v[163:166], off, off offset:432
	s_wait_loadcnt_dscnt 0x901
	v_mul_f64_e32 v[177:178], v[2:3], v[40:41]
	v_mul_f64_e32 v[40:41], v[4:5], v[40:41]
	v_add_f64_e32 v[175:176], v[175:176], v[185:186]
	v_add_f64_e32 v[173:174], v[173:174], v[183:184]
	s_delay_alu instid0(VALU_DEP_4) | instskip(NEXT) | instid1(VALU_DEP_4)
	v_fma_f64 v[177:178], v[4:5], v[38:39], v[177:178]
	v_fma_f64 v[183:184], v[2:3], v[38:39], -v[40:41]
	ds_load_b128 v[2:5], v1 offset:1232
	s_wait_loadcnt_dscnt 0x801
	v_mul_f64_e32 v[181:182], v[169:170], v[8:9]
	v_mul_f64_e32 v[8:9], v[171:172], v[8:9]
	scratch_load_b128 v[38:41], off, off offset:448
	s_wait_loadcnt_dscnt 0x800
	v_mul_f64_e32 v[185:186], v[2:3], v[12:13]
	v_add_f64_e32 v[167:168], v[175:176], v[167:168]
	v_add_f64_e32 v[179:180], v[173:174], v[179:180]
	v_mul_f64_e32 v[12:13], v[4:5], v[12:13]
	ds_load_b128 v[173:176], v1 offset:1248
	v_fma_f64 v[171:172], v[171:172], v[6:7], v[181:182]
	v_fma_f64 v[169:170], v[169:170], v[6:7], -v[8:9]
	scratch_load_b128 v[6:9], off, off offset:464
	v_fma_f64 v[181:182], v[4:5], v[10:11], v[185:186]
	v_add_f64_e32 v[167:168], v[167:168], v[183:184]
	v_add_f64_e32 v[177:178], v[179:180], v[177:178]
	v_fma_f64 v[183:184], v[2:3], v[10:11], -v[12:13]
	ds_load_b128 v[2:5], v1 offset:1264
	s_wait_loadcnt_dscnt 0x801
	v_mul_f64_e32 v[179:180], v[173:174], v[16:17]
	v_mul_f64_e32 v[16:17], v[175:176], v[16:17]
	scratch_load_b128 v[10:13], off, off offset:480
	v_add_f64_e32 v[185:186], v[167:168], v[169:170]
	v_add_f64_e32 v[171:172], v[177:178], v[171:172]
	s_wait_loadcnt_dscnt 0x800
	v_mul_f64_e32 v[177:178], v[2:3], v[20:21]
	v_mul_f64_e32 v[20:21], v[4:5], v[20:21]
	v_fma_f64 v[175:176], v[175:176], v[14:15], v[179:180]
	v_fma_f64 v[173:174], v[173:174], v[14:15], -v[16:17]
	ds_load_b128 v[167:170], v1 offset:1280
	scratch_load_b128 v[14:17], off, off offset:496
	v_add_f64_e32 v[179:180], v[185:186], v[183:184]
	v_add_f64_e32 v[171:172], v[171:172], v[181:182]
	v_fma_f64 v[177:178], v[4:5], v[18:19], v[177:178]
	v_fma_f64 v[183:184], v[2:3], v[18:19], -v[20:21]
	ds_load_b128 v[2:5], v1 offset:1296
	s_wait_loadcnt_dscnt 0x801
	v_mul_f64_e32 v[181:182], v[167:168], v[24:25]
	v_mul_f64_e32 v[24:25], v[169:170], v[24:25]
	scratch_load_b128 v[18:21], off, off offset:512
	s_wait_loadcnt_dscnt 0x800
	v_mul_f64_e32 v[185:186], v[2:3], v[28:29]
	v_mul_f64_e32 v[28:29], v[4:5], v[28:29]
	v_add_f64_e32 v[179:180], v[179:180], v[173:174]
	v_add_f64_e32 v[175:176], v[171:172], v[175:176]
	ds_load_b128 v[171:174], v1 offset:1312
	v_fma_f64 v[169:170], v[169:170], v[22:23], v[181:182]
	v_fma_f64 v[167:168], v[167:168], v[22:23], -v[24:25]
	scratch_load_b128 v[22:25], off, off offset:528
	v_fma_f64 v[181:182], v[4:5], v[26:27], v[185:186]
	v_add_f64_e32 v[179:180], v[179:180], v[183:184]
	v_add_f64_e32 v[175:176], v[175:176], v[177:178]
	v_fma_f64 v[183:184], v[2:3], v[26:27], -v[28:29]
	ds_load_b128 v[2:5], v1 offset:1328
	s_wait_loadcnt_dscnt 0x801
	v_mul_f64_e32 v[177:178], v[171:172], v[32:33]
	v_mul_f64_e32 v[32:33], v[173:174], v[32:33]
	scratch_load_b128 v[26:29], off, off offset:544
	s_wait_loadcnt_dscnt 0x800
	v_mul_f64_e32 v[185:186], v[2:3], v[36:37]
	v_mul_f64_e32 v[36:37], v[4:5], v[36:37]
	v_add_f64_e32 v[179:180], v[179:180], v[167:168]
	v_add_f64_e32 v[175:176], v[175:176], v[169:170]
	ds_load_b128 v[167:170], v1 offset:1344
	v_fma_f64 v[173:174], v[173:174], v[30:31], v[177:178]
	v_fma_f64 v[171:172], v[171:172], v[30:31], -v[32:33]
	scratch_load_b128 v[30:33], off, off offset:560
	v_add_f64_e32 v[177:178], v[179:180], v[183:184]
	v_add_f64_e32 v[175:176], v[175:176], v[181:182]
	v_fma_f64 v[181:182], v[4:5], v[34:35], v[185:186]
	v_fma_f64 v[183:184], v[2:3], v[34:35], -v[36:37]
	ds_load_b128 v[2:5], v1 offset:1360
	s_wait_loadcnt_dscnt 0x801
	v_mul_f64_e32 v[179:180], v[167:168], v[165:166]
	v_mul_f64_e32 v[165:166], v[169:170], v[165:166]
	scratch_load_b128 v[34:37], off, off offset:576
	s_wait_loadcnt_dscnt 0x800
	v_mul_f64_e32 v[185:186], v[2:3], v[40:41]
	v_mul_f64_e32 v[40:41], v[4:5], v[40:41]
	v_add_f64_e32 v[177:178], v[177:178], v[171:172]
	v_add_f64_e32 v[175:176], v[175:176], v[173:174]
	ds_load_b128 v[171:174], v1 offset:1376
	v_fma_f64 v[169:170], v[169:170], v[163:164], v[179:180]
	v_fma_f64 v[167:168], v[167:168], v[163:164], -v[165:166]
	scratch_load_b128 v[163:166], off, off offset:592
	v_add_f64_e32 v[177:178], v[177:178], v[183:184]
	v_add_f64_e32 v[175:176], v[175:176], v[181:182]
	v_fma_f64 v[181:182], v[4:5], v[38:39], v[185:186]
	;; [unrolled: 18-line block ×6, first 2 shown]
	v_fma_f64 v[185:186], v[2:3], v[34:35], -v[36:37]
	ds_load_b128 v[2:5], v1 offset:1520
	s_wait_loadcnt_dscnt 0x801
	v_mul_f64_e32 v[179:180], v[171:172], v[165:166]
	v_mul_f64_e32 v[181:182], v[173:174], v[165:166]
	scratch_load_b128 v[34:37], off, off offset:736
	v_add_f64_e32 v[177:178], v[177:178], v[167:168]
	v_add_f64_e32 v[169:170], v[175:176], v[169:170]
	s_wait_loadcnt_dscnt 0x800
	v_mul_f64_e32 v[175:176], v[2:3], v[40:41]
	v_mul_f64_e32 v[40:41], v[4:5], v[40:41]
	ds_load_b128 v[165:168], v1 offset:1536
	v_fma_f64 v[173:174], v[173:174], v[163:164], v[179:180]
	v_fma_f64 v[163:164], v[171:172], v[163:164], -v[181:182]
	v_add_f64_e32 v[177:178], v[177:178], v[185:186]
	v_add_f64_e32 v[179:180], v[169:170], v[183:184]
	scratch_load_b128 v[169:172], off, off offset:752
	v_fma_f64 v[183:184], v[4:5], v[38:39], v[175:176]
	v_fma_f64 v[185:186], v[2:3], v[38:39], -v[40:41]
	ds_load_b128 v[2:5], v1 offset:1552
	s_wait_loadcnt_dscnt 0x801
	v_mul_f64_e32 v[181:182], v[165:166], v[8:9]
	v_mul_f64_e32 v[8:9], v[167:168], v[8:9]
	scratch_load_b128 v[38:41], off, off offset:768
	v_add_f64_e32 v[163:164], v[177:178], v[163:164]
	v_add_f64_e32 v[177:178], v[179:180], v[173:174]
	s_wait_loadcnt_dscnt 0x800
	v_mul_f64_e32 v[179:180], v[2:3], v[12:13]
	v_mul_f64_e32 v[12:13], v[4:5], v[12:13]
	ds_load_b128 v[173:176], v1 offset:1568
	v_fma_f64 v[167:168], v[167:168], v[6:7], v[181:182]
	v_fma_f64 v[165:166], v[165:166], v[6:7], -v[8:9]
	scratch_load_b128 v[6:9], off, off offset:784
	v_add_f64_e32 v[163:164], v[163:164], v[185:186]
	v_add_f64_e32 v[177:178], v[177:178], v[183:184]
	v_fma_f64 v[179:180], v[4:5], v[10:11], v[179:180]
	v_fma_f64 v[183:184], v[2:3], v[10:11], -v[12:13]
	ds_load_b128 v[2:5], v1 offset:1584
	s_wait_loadcnt_dscnt 0x801
	v_mul_f64_e32 v[181:182], v[173:174], v[16:17]
	v_mul_f64_e32 v[16:17], v[175:176], v[16:17]
	scratch_load_b128 v[10:13], off, off offset:800
	v_add_f64_e32 v[185:186], v[163:164], v[165:166]
	v_add_f64_e32 v[167:168], v[177:178], v[167:168]
	s_wait_loadcnt_dscnt 0x800
	v_mul_f64_e32 v[177:178], v[2:3], v[20:21]
	v_mul_f64_e32 v[20:21], v[4:5], v[20:21]
	ds_load_b128 v[163:166], v1 offset:1600
	v_fma_f64 v[175:176], v[175:176], v[14:15], v[181:182]
	v_fma_f64 v[173:174], v[173:174], v[14:15], -v[16:17]
	scratch_load_b128 v[14:17], off, off offset:816
	v_add_f64_e32 v[181:182], v[185:186], v[183:184]
	v_add_f64_e32 v[167:168], v[167:168], v[179:180]
	v_fma_f64 v[177:178], v[4:5], v[18:19], v[177:178]
	v_fma_f64 v[183:184], v[2:3], v[18:19], -v[20:21]
	ds_load_b128 v[2:5], v1 offset:1616
	s_wait_loadcnt_dscnt 0x801
	v_mul_f64_e32 v[179:180], v[163:164], v[24:25]
	v_mul_f64_e32 v[24:25], v[165:166], v[24:25]
	scratch_load_b128 v[18:21], off, off offset:832
	s_wait_loadcnt_dscnt 0x800
	v_mul_f64_e32 v[185:186], v[2:3], v[28:29]
	v_mul_f64_e32 v[28:29], v[4:5], v[28:29]
	v_add_f64_e32 v[181:182], v[181:182], v[173:174]
	v_add_f64_e32 v[167:168], v[167:168], v[175:176]
	ds_load_b128 v[173:176], v1 offset:1632
	v_fma_f64 v[165:166], v[165:166], v[22:23], v[179:180]
	v_fma_f64 v[163:164], v[163:164], v[22:23], -v[24:25]
	scratch_load_b128 v[22:25], off, off offset:848
	v_add_f64_e32 v[179:180], v[181:182], v[183:184]
	v_add_f64_e32 v[167:168], v[167:168], v[177:178]
	v_fma_f64 v[181:182], v[4:5], v[26:27], v[185:186]
	v_fma_f64 v[183:184], v[2:3], v[26:27], -v[28:29]
	ds_load_b128 v[2:5], v1 offset:1648
	s_wait_loadcnt_dscnt 0x801
	v_mul_f64_e32 v[177:178], v[173:174], v[32:33]
	v_mul_f64_e32 v[32:33], v[175:176], v[32:33]
	scratch_load_b128 v[26:29], off, off offset:864
	s_wait_loadcnt_dscnt 0x800
	v_mul_f64_e32 v[185:186], v[2:3], v[36:37]
	v_mul_f64_e32 v[36:37], v[4:5], v[36:37]
	v_add_f64_e32 v[179:180], v[179:180], v[163:164]
	v_add_f64_e32 v[167:168], v[167:168], v[165:166]
	ds_load_b128 v[163:166], v1 offset:1664
	v_fma_f64 v[175:176], v[175:176], v[30:31], v[177:178]
	v_fma_f64 v[173:174], v[173:174], v[30:31], -v[32:33]
	scratch_load_b128 v[30:33], off, off offset:880
	v_add_f64_e32 v[177:178], v[179:180], v[183:184]
	v_add_f64_e32 v[167:168], v[167:168], v[181:182]
	v_fma_f64 v[183:184], v[4:5], v[34:35], v[185:186]
	v_fma_f64 v[185:186], v[2:3], v[34:35], -v[36:37]
	ds_load_b128 v[2:5], v1 offset:1680
	scratch_load_b128 v[34:37], off, off offset:896
	s_wait_loadcnt_dscnt 0x901
	v_mul_f64_e32 v[179:180], v[163:164], v[171:172]
	v_mul_f64_e32 v[181:182], v[165:166], v[171:172]
	v_add_f64_e32 v[177:178], v[177:178], v[173:174]
	v_add_f64_e32 v[167:168], v[167:168], v[175:176]
	s_wait_loadcnt_dscnt 0x800
	v_mul_f64_e32 v[175:176], v[2:3], v[40:41]
	v_mul_f64_e32 v[40:41], v[4:5], v[40:41]
	ds_load_b128 v[171:174], v1 offset:1696
	v_fma_f64 v[179:180], v[165:166], v[169:170], v[179:180]
	v_fma_f64 v[169:170], v[163:164], v[169:170], -v[181:182]
	scratch_load_b128 v[163:166], off, off offset:912
	v_add_f64_e32 v[177:178], v[177:178], v[185:186]
	v_add_f64_e32 v[167:168], v[167:168], v[183:184]
	v_fma_f64 v[175:176], v[4:5], v[38:39], v[175:176]
	v_fma_f64 v[183:184], v[2:3], v[38:39], -v[40:41]
	ds_load_b128 v[2:5], v1 offset:1712
	s_wait_loadcnt_dscnt 0x801
	v_mul_f64_e32 v[181:182], v[171:172], v[8:9]
	v_mul_f64_e32 v[8:9], v[173:174], v[8:9]
	scratch_load_b128 v[38:41], off, off offset:928
	s_wait_loadcnt_dscnt 0x800
	v_mul_f64_e32 v[185:186], v[2:3], v[12:13]
	v_mul_f64_e32 v[12:13], v[4:5], v[12:13]
	v_add_f64_e32 v[177:178], v[177:178], v[169:170]
	v_add_f64_e32 v[179:180], v[167:168], v[179:180]
	ds_load_b128 v[167:170], v1 offset:1728
	v_fma_f64 v[173:174], v[173:174], v[6:7], v[181:182]
	v_fma_f64 v[6:7], v[171:172], v[6:7], -v[8:9]
	v_add_f64_e32 v[8:9], v[177:178], v[183:184]
	v_add_f64_e32 v[171:172], v[179:180], v[175:176]
	s_wait_loadcnt_dscnt 0x700
	v_mul_f64_e32 v[175:176], v[167:168], v[16:17]
	v_mul_f64_e32 v[16:17], v[169:170], v[16:17]
	v_fma_f64 v[177:178], v[4:5], v[10:11], v[185:186]
	v_fma_f64 v[10:11], v[2:3], v[10:11], -v[12:13]
	v_add_f64_e32 v[12:13], v[8:9], v[6:7]
	v_add_f64_e32 v[171:172], v[171:172], v[173:174]
	ds_load_b128 v[2:5], v1 offset:1744
	ds_load_b128 v[6:9], v1 offset:1760
	v_fma_f64 v[169:170], v[169:170], v[14:15], v[175:176]
	v_fma_f64 v[14:15], v[167:168], v[14:15], -v[16:17]
	s_wait_loadcnt_dscnt 0x601
	v_mul_f64_e32 v[173:174], v[2:3], v[20:21]
	v_mul_f64_e32 v[20:21], v[4:5], v[20:21]
	s_wait_loadcnt_dscnt 0x500
	v_mul_f64_e32 v[16:17], v[6:7], v[24:25]
	v_mul_f64_e32 v[24:25], v[8:9], v[24:25]
	v_add_f64_e32 v[10:11], v[12:13], v[10:11]
	v_add_f64_e32 v[12:13], v[171:172], v[177:178]
	v_fma_f64 v[167:168], v[4:5], v[18:19], v[173:174]
	v_fma_f64 v[18:19], v[2:3], v[18:19], -v[20:21]
	v_fma_f64 v[8:9], v[8:9], v[22:23], v[16:17]
	v_fma_f64 v[6:7], v[6:7], v[22:23], -v[24:25]
	v_add_f64_e32 v[14:15], v[10:11], v[14:15]
	v_add_f64_e32 v[20:21], v[12:13], v[169:170]
	ds_load_b128 v[2:5], v1 offset:1776
	ds_load_b128 v[10:13], v1 offset:1792
	s_wait_loadcnt_dscnt 0x401
	v_mul_f64_e32 v[169:170], v[2:3], v[28:29]
	v_mul_f64_e32 v[28:29], v[4:5], v[28:29]
	v_add_f64_e32 v[14:15], v[14:15], v[18:19]
	v_add_f64_e32 v[16:17], v[20:21], v[167:168]
	s_wait_loadcnt_dscnt 0x300
	v_mul_f64_e32 v[18:19], v[10:11], v[32:33]
	v_mul_f64_e32 v[20:21], v[12:13], v[32:33]
	v_fma_f64 v[22:23], v[4:5], v[26:27], v[169:170]
	v_fma_f64 v[24:25], v[2:3], v[26:27], -v[28:29]
	v_add_f64_e32 v[14:15], v[14:15], v[6:7]
	v_add_f64_e32 v[16:17], v[16:17], v[8:9]
	ds_load_b128 v[2:5], v1 offset:1808
	ds_load_b128 v[6:9], v1 offset:1824
	v_fma_f64 v[12:13], v[12:13], v[30:31], v[18:19]
	v_fma_f64 v[10:11], v[10:11], v[30:31], -v[20:21]
	s_wait_loadcnt_dscnt 0x201
	v_mul_f64_e32 v[26:27], v[2:3], v[36:37]
	v_mul_f64_e32 v[28:29], v[4:5], v[36:37]
	s_wait_loadcnt_dscnt 0x100
	v_mul_f64_e32 v[18:19], v[6:7], v[165:166]
	v_mul_f64_e32 v[20:21], v[8:9], v[165:166]
	v_add_f64_e32 v[14:15], v[14:15], v[24:25]
	v_add_f64_e32 v[16:17], v[16:17], v[22:23]
	v_fma_f64 v[22:23], v[4:5], v[34:35], v[26:27]
	v_fma_f64 v[24:25], v[2:3], v[34:35], -v[28:29]
	ds_load_b128 v[2:5], v1 offset:1840
	v_fma_f64 v[8:9], v[8:9], v[163:164], v[18:19]
	v_fma_f64 v[6:7], v[6:7], v[163:164], -v[20:21]
	v_add_f64_e32 v[10:11], v[14:15], v[10:11]
	v_add_f64_e32 v[12:13], v[16:17], v[12:13]
	s_wait_loadcnt_dscnt 0x0
	v_mul_f64_e32 v[14:15], v[2:3], v[40:41]
	v_mul_f64_e32 v[16:17], v[4:5], v[40:41]
	s_delay_alu instid0(VALU_DEP_4) | instskip(NEXT) | instid1(VALU_DEP_4)
	v_add_f64_e32 v[10:11], v[10:11], v[24:25]
	v_add_f64_e32 v[12:13], v[12:13], v[22:23]
	s_delay_alu instid0(VALU_DEP_4) | instskip(NEXT) | instid1(VALU_DEP_4)
	v_fma_f64 v[4:5], v[4:5], v[38:39], v[14:15]
	v_fma_f64 v[2:3], v[2:3], v[38:39], -v[16:17]
	s_delay_alu instid0(VALU_DEP_4) | instskip(NEXT) | instid1(VALU_DEP_4)
	v_add_f64_e32 v[6:7], v[10:11], v[6:7]
	v_add_f64_e32 v[8:9], v[12:13], v[8:9]
	s_delay_alu instid0(VALU_DEP_2) | instskip(NEXT) | instid1(VALU_DEP_2)
	v_add_f64_e32 v[2:3], v[6:7], v[2:3]
	v_add_f64_e32 v[4:5], v[8:9], v[4:5]
	s_delay_alu instid0(VALU_DEP_2) | instskip(NEXT) | instid1(VALU_DEP_2)
	v_add_f64_e64 v[2:3], v[42:43], -v[2:3]
	v_add_f64_e64 v[4:5], v[44:45], -v[4:5]
	scratch_store_b128 off, v[2:5], off offset:112
	v_cmpx_lt_u32_e32 5, v0
	s_cbranch_execz .LBB121_351
; %bb.350:
	scratch_load_b128 v[5:8], off, s66
	v_dual_mov_b32 v2, v1 :: v_dual_mov_b32 v3, v1
	v_mov_b32_e32 v4, v1
	scratch_store_b128 off, v[1:4], off offset:96
	s_wait_loadcnt 0x0
	ds_store_b128 v162, v[5:8]
.LBB121_351:
	s_wait_alu 0xfffe
	s_or_b32 exec_lo, exec_lo, s0
	s_wait_storecnt_dscnt 0x0
	s_barrier_signal -1
	s_barrier_wait -1
	global_inv scope:SCOPE_SE
	s_clause 0x8
	scratch_load_b128 v[2:5], off, off offset:112
	scratch_load_b128 v[6:9], off, off offset:128
	;; [unrolled: 1-line block ×9, first 2 shown]
	ds_load_b128 v[42:45], v1 offset:1024
	ds_load_b128 v[38:41], v1 offset:1040
	s_clause 0x1
	scratch_load_b128 v[163:166], off, off offset:96
	scratch_load_b128 v[167:170], off, off offset:256
	s_mov_b32 s0, exec_lo
	s_wait_loadcnt_dscnt 0xa01
	v_mul_f64_e32 v[171:172], v[44:45], v[4:5]
	v_mul_f64_e32 v[4:5], v[42:43], v[4:5]
	s_wait_loadcnt_dscnt 0x900
	v_mul_f64_e32 v[175:176], v[38:39], v[8:9]
	v_mul_f64_e32 v[8:9], v[40:41], v[8:9]
	s_delay_alu instid0(VALU_DEP_4) | instskip(NEXT) | instid1(VALU_DEP_4)
	v_fma_f64 v[177:178], v[42:43], v[2:3], -v[171:172]
	v_fma_f64 v[179:180], v[44:45], v[2:3], v[4:5]
	ds_load_b128 v[2:5], v1 offset:1056
	ds_load_b128 v[171:174], v1 offset:1072
	scratch_load_b128 v[42:45], off, off offset:272
	v_fma_f64 v[40:41], v[40:41], v[6:7], v[175:176]
	v_fma_f64 v[38:39], v[38:39], v[6:7], -v[8:9]
	scratch_load_b128 v[6:9], off, off offset:288
	s_wait_loadcnt_dscnt 0xa01
	v_mul_f64_e32 v[181:182], v[2:3], v[12:13]
	v_mul_f64_e32 v[12:13], v[4:5], v[12:13]
	v_add_f64_e32 v[175:176], 0, v[177:178]
	v_add_f64_e32 v[177:178], 0, v[179:180]
	s_wait_loadcnt_dscnt 0x900
	v_mul_f64_e32 v[179:180], v[171:172], v[16:17]
	v_mul_f64_e32 v[16:17], v[173:174], v[16:17]
	v_fma_f64 v[181:182], v[4:5], v[10:11], v[181:182]
	v_fma_f64 v[183:184], v[2:3], v[10:11], -v[12:13]
	ds_load_b128 v[2:5], v1 offset:1088
	scratch_load_b128 v[10:13], off, off offset:304
	v_add_f64_e32 v[175:176], v[175:176], v[38:39]
	v_add_f64_e32 v[177:178], v[177:178], v[40:41]
	ds_load_b128 v[38:41], v1 offset:1104
	v_fma_f64 v[173:174], v[173:174], v[14:15], v[179:180]
	v_fma_f64 v[171:172], v[171:172], v[14:15], -v[16:17]
	scratch_load_b128 v[14:17], off, off offset:320
	s_wait_loadcnt_dscnt 0xa01
	v_mul_f64_e32 v[185:186], v[2:3], v[20:21]
	v_mul_f64_e32 v[20:21], v[4:5], v[20:21]
	s_wait_loadcnt_dscnt 0x900
	v_mul_f64_e32 v[179:180], v[38:39], v[24:25]
	v_mul_f64_e32 v[24:25], v[40:41], v[24:25]
	v_add_f64_e32 v[175:176], v[175:176], v[183:184]
	v_add_f64_e32 v[177:178], v[177:178], v[181:182]
	v_fma_f64 v[181:182], v[4:5], v[18:19], v[185:186]
	v_fma_f64 v[183:184], v[2:3], v[18:19], -v[20:21]
	ds_load_b128 v[2:5], v1 offset:1120
	scratch_load_b128 v[18:21], off, off offset:336
	v_fma_f64 v[40:41], v[40:41], v[22:23], v[179:180]
	v_fma_f64 v[38:39], v[38:39], v[22:23], -v[24:25]
	scratch_load_b128 v[22:25], off, off offset:352
	v_add_f64_e32 v[175:176], v[175:176], v[171:172]
	v_add_f64_e32 v[177:178], v[177:178], v[173:174]
	ds_load_b128 v[171:174], v1 offset:1136
	s_wait_loadcnt_dscnt 0xa01
	v_mul_f64_e32 v[185:186], v[2:3], v[28:29]
	v_mul_f64_e32 v[28:29], v[4:5], v[28:29]
	s_wait_loadcnt_dscnt 0x900
	v_mul_f64_e32 v[179:180], v[171:172], v[32:33]
	v_mul_f64_e32 v[32:33], v[173:174], v[32:33]
	v_add_f64_e32 v[175:176], v[175:176], v[183:184]
	v_add_f64_e32 v[177:178], v[177:178], v[181:182]
	v_fma_f64 v[181:182], v[4:5], v[26:27], v[185:186]
	v_fma_f64 v[183:184], v[2:3], v[26:27], -v[28:29]
	ds_load_b128 v[2:5], v1 offset:1152
	scratch_load_b128 v[26:29], off, off offset:368
	v_fma_f64 v[173:174], v[173:174], v[30:31], v[179:180]
	v_fma_f64 v[171:172], v[171:172], v[30:31], -v[32:33]
	scratch_load_b128 v[30:33], off, off offset:384
	v_add_f64_e32 v[175:176], v[175:176], v[38:39]
	v_add_f64_e32 v[177:178], v[177:178], v[40:41]
	ds_load_b128 v[38:41], v1 offset:1168
	s_wait_loadcnt_dscnt 0xa01
	v_mul_f64_e32 v[185:186], v[2:3], v[36:37]
	v_mul_f64_e32 v[36:37], v[4:5], v[36:37]
	s_wait_loadcnt_dscnt 0x800
	v_mul_f64_e32 v[179:180], v[38:39], v[169:170]
	v_add_f64_e32 v[175:176], v[175:176], v[183:184]
	v_add_f64_e32 v[177:178], v[177:178], v[181:182]
	v_mul_f64_e32 v[181:182], v[40:41], v[169:170]
	v_fma_f64 v[183:184], v[4:5], v[34:35], v[185:186]
	v_fma_f64 v[185:186], v[2:3], v[34:35], -v[36:37]
	ds_load_b128 v[2:5], v1 offset:1184
	scratch_load_b128 v[34:37], off, off offset:400
	v_fma_f64 v[179:180], v[40:41], v[167:168], v[179:180]
	v_add_f64_e32 v[175:176], v[175:176], v[171:172]
	v_add_f64_e32 v[173:174], v[177:178], v[173:174]
	ds_load_b128 v[169:172], v1 offset:1200
	v_fma_f64 v[167:168], v[38:39], v[167:168], -v[181:182]
	scratch_load_b128 v[38:41], off, off offset:416
	s_wait_loadcnt_dscnt 0x901
	v_mul_f64_e32 v[177:178], v[2:3], v[44:45]
	v_mul_f64_e32 v[44:45], v[4:5], v[44:45]
	s_wait_loadcnt_dscnt 0x800
	v_mul_f64_e32 v[181:182], v[169:170], v[8:9]
	v_mul_f64_e32 v[8:9], v[171:172], v[8:9]
	v_add_f64_e32 v[175:176], v[175:176], v[185:186]
	v_add_f64_e32 v[173:174], v[173:174], v[183:184]
	v_fma_f64 v[177:178], v[4:5], v[42:43], v[177:178]
	v_fma_f64 v[183:184], v[2:3], v[42:43], -v[44:45]
	ds_load_b128 v[2:5], v1 offset:1216
	scratch_load_b128 v[42:45], off, off offset:432
	v_fma_f64 v[171:172], v[171:172], v[6:7], v[181:182]
	v_fma_f64 v[169:170], v[169:170], v[6:7], -v[8:9]
	scratch_load_b128 v[6:9], off, off offset:448
	v_add_f64_e32 v[167:168], v[175:176], v[167:168]
	v_add_f64_e32 v[179:180], v[173:174], v[179:180]
	ds_load_b128 v[173:176], v1 offset:1232
	s_wait_loadcnt_dscnt 0x901
	v_mul_f64_e32 v[185:186], v[2:3], v[12:13]
	v_mul_f64_e32 v[12:13], v[4:5], v[12:13]
	v_add_f64_e32 v[167:168], v[167:168], v[183:184]
	v_add_f64_e32 v[177:178], v[179:180], v[177:178]
	s_wait_loadcnt_dscnt 0x800
	v_mul_f64_e32 v[179:180], v[173:174], v[16:17]
	v_mul_f64_e32 v[16:17], v[175:176], v[16:17]
	v_fma_f64 v[181:182], v[4:5], v[10:11], v[185:186]
	v_fma_f64 v[183:184], v[2:3], v[10:11], -v[12:13]
	ds_load_b128 v[2:5], v1 offset:1248
	scratch_load_b128 v[10:13], off, off offset:464
	v_add_f64_e32 v[185:186], v[167:168], v[169:170]
	v_add_f64_e32 v[171:172], v[177:178], v[171:172]
	ds_load_b128 v[167:170], v1 offset:1264
	s_wait_loadcnt_dscnt 0x801
	v_mul_f64_e32 v[177:178], v[2:3], v[20:21]
	v_mul_f64_e32 v[20:21], v[4:5], v[20:21]
	v_fma_f64 v[175:176], v[175:176], v[14:15], v[179:180]
	v_fma_f64 v[173:174], v[173:174], v[14:15], -v[16:17]
	scratch_load_b128 v[14:17], off, off offset:480
	v_add_f64_e32 v[179:180], v[185:186], v[183:184]
	v_add_f64_e32 v[171:172], v[171:172], v[181:182]
	s_wait_loadcnt_dscnt 0x800
	v_mul_f64_e32 v[181:182], v[167:168], v[24:25]
	v_mul_f64_e32 v[24:25], v[169:170], v[24:25]
	v_fma_f64 v[177:178], v[4:5], v[18:19], v[177:178]
	v_fma_f64 v[183:184], v[2:3], v[18:19], -v[20:21]
	ds_load_b128 v[2:5], v1 offset:1280
	scratch_load_b128 v[18:21], off, off offset:496
	v_add_f64_e32 v[179:180], v[179:180], v[173:174]
	v_add_f64_e32 v[175:176], v[171:172], v[175:176]
	ds_load_b128 v[171:174], v1 offset:1296
	s_wait_loadcnt_dscnt 0x801
	v_mul_f64_e32 v[185:186], v[2:3], v[28:29]
	v_mul_f64_e32 v[28:29], v[4:5], v[28:29]
	v_fma_f64 v[169:170], v[169:170], v[22:23], v[181:182]
	v_fma_f64 v[167:168], v[167:168], v[22:23], -v[24:25]
	scratch_load_b128 v[22:25], off, off offset:512
	v_add_f64_e32 v[179:180], v[179:180], v[183:184]
	v_add_f64_e32 v[175:176], v[175:176], v[177:178]
	s_wait_loadcnt_dscnt 0x800
	v_mul_f64_e32 v[177:178], v[171:172], v[32:33]
	v_mul_f64_e32 v[32:33], v[173:174], v[32:33]
	v_fma_f64 v[181:182], v[4:5], v[26:27], v[185:186]
	v_fma_f64 v[183:184], v[2:3], v[26:27], -v[28:29]
	ds_load_b128 v[2:5], v1 offset:1312
	scratch_load_b128 v[26:29], off, off offset:528
	v_add_f64_e32 v[179:180], v[179:180], v[167:168]
	v_add_f64_e32 v[175:176], v[175:176], v[169:170]
	ds_load_b128 v[167:170], v1 offset:1328
	s_wait_loadcnt_dscnt 0x801
	v_mul_f64_e32 v[185:186], v[2:3], v[36:37]
	v_mul_f64_e32 v[36:37], v[4:5], v[36:37]
	v_fma_f64 v[173:174], v[173:174], v[30:31], v[177:178]
	v_fma_f64 v[171:172], v[171:172], v[30:31], -v[32:33]
	scratch_load_b128 v[30:33], off, off offset:544
	v_add_f64_e32 v[177:178], v[179:180], v[183:184]
	v_add_f64_e32 v[175:176], v[175:176], v[181:182]
	s_wait_loadcnt_dscnt 0x800
	v_mul_f64_e32 v[179:180], v[167:168], v[40:41]
	v_mul_f64_e32 v[40:41], v[169:170], v[40:41]
	v_fma_f64 v[181:182], v[4:5], v[34:35], v[185:186]
	v_fma_f64 v[183:184], v[2:3], v[34:35], -v[36:37]
	ds_load_b128 v[2:5], v1 offset:1344
	scratch_load_b128 v[34:37], off, off offset:560
	v_add_f64_e32 v[177:178], v[177:178], v[171:172]
	v_add_f64_e32 v[175:176], v[175:176], v[173:174]
	ds_load_b128 v[171:174], v1 offset:1360
	s_wait_loadcnt_dscnt 0x801
	v_mul_f64_e32 v[185:186], v[2:3], v[44:45]
	v_mul_f64_e32 v[44:45], v[4:5], v[44:45]
	v_fma_f64 v[169:170], v[169:170], v[38:39], v[179:180]
	v_fma_f64 v[167:168], v[167:168], v[38:39], -v[40:41]
	scratch_load_b128 v[38:41], off, off offset:576
	s_wait_loadcnt_dscnt 0x800
	v_mul_f64_e32 v[179:180], v[171:172], v[8:9]
	v_mul_f64_e32 v[8:9], v[173:174], v[8:9]
	v_add_f64_e32 v[177:178], v[177:178], v[183:184]
	v_add_f64_e32 v[175:176], v[175:176], v[181:182]
	v_fma_f64 v[181:182], v[4:5], v[42:43], v[185:186]
	v_fma_f64 v[183:184], v[2:3], v[42:43], -v[44:45]
	ds_load_b128 v[2:5], v1 offset:1376
	scratch_load_b128 v[42:45], off, off offset:592
	v_fma_f64 v[173:174], v[173:174], v[6:7], v[179:180]
	v_fma_f64 v[171:172], v[171:172], v[6:7], -v[8:9]
	scratch_load_b128 v[6:9], off, off offset:608
	v_add_f64_e32 v[177:178], v[177:178], v[167:168]
	v_add_f64_e32 v[175:176], v[175:176], v[169:170]
	ds_load_b128 v[167:170], v1 offset:1392
	s_wait_loadcnt_dscnt 0x901
	v_mul_f64_e32 v[185:186], v[2:3], v[12:13]
	v_mul_f64_e32 v[12:13], v[4:5], v[12:13]
	s_wait_loadcnt_dscnt 0x800
	v_mul_f64_e32 v[179:180], v[167:168], v[16:17]
	v_mul_f64_e32 v[16:17], v[169:170], v[16:17]
	v_add_f64_e32 v[177:178], v[177:178], v[183:184]
	v_add_f64_e32 v[175:176], v[175:176], v[181:182]
	v_fma_f64 v[181:182], v[4:5], v[10:11], v[185:186]
	v_fma_f64 v[183:184], v[2:3], v[10:11], -v[12:13]
	ds_load_b128 v[2:5], v1 offset:1408
	scratch_load_b128 v[10:13], off, off offset:624
	v_fma_f64 v[169:170], v[169:170], v[14:15], v[179:180]
	v_fma_f64 v[167:168], v[167:168], v[14:15], -v[16:17]
	scratch_load_b128 v[14:17], off, off offset:640
	v_add_f64_e32 v[177:178], v[177:178], v[171:172]
	v_add_f64_e32 v[175:176], v[175:176], v[173:174]
	ds_load_b128 v[171:174], v1 offset:1424
	s_wait_loadcnt_dscnt 0x901
	v_mul_f64_e32 v[185:186], v[2:3], v[20:21]
	v_mul_f64_e32 v[20:21], v[4:5], v[20:21]
	s_wait_loadcnt_dscnt 0x800
	v_mul_f64_e32 v[179:180], v[171:172], v[24:25]
	v_mul_f64_e32 v[24:25], v[173:174], v[24:25]
	v_add_f64_e32 v[177:178], v[177:178], v[183:184]
	v_add_f64_e32 v[175:176], v[175:176], v[181:182]
	v_fma_f64 v[181:182], v[4:5], v[18:19], v[185:186]
	v_fma_f64 v[183:184], v[2:3], v[18:19], -v[20:21]
	ds_load_b128 v[2:5], v1 offset:1440
	scratch_load_b128 v[18:21], off, off offset:656
	v_fma_f64 v[173:174], v[173:174], v[22:23], v[179:180]
	v_fma_f64 v[171:172], v[171:172], v[22:23], -v[24:25]
	scratch_load_b128 v[22:25], off, off offset:672
	v_add_f64_e32 v[177:178], v[177:178], v[167:168]
	v_add_f64_e32 v[175:176], v[175:176], v[169:170]
	ds_load_b128 v[167:170], v1 offset:1456
	s_wait_loadcnt_dscnt 0x901
	v_mul_f64_e32 v[185:186], v[2:3], v[28:29]
	v_mul_f64_e32 v[28:29], v[4:5], v[28:29]
	s_wait_loadcnt_dscnt 0x800
	v_mul_f64_e32 v[179:180], v[167:168], v[32:33]
	v_mul_f64_e32 v[32:33], v[169:170], v[32:33]
	v_add_f64_e32 v[177:178], v[177:178], v[183:184]
	v_add_f64_e32 v[175:176], v[175:176], v[181:182]
	v_fma_f64 v[181:182], v[4:5], v[26:27], v[185:186]
	v_fma_f64 v[183:184], v[2:3], v[26:27], -v[28:29]
	ds_load_b128 v[2:5], v1 offset:1472
	scratch_load_b128 v[26:29], off, off offset:688
	v_fma_f64 v[169:170], v[169:170], v[30:31], v[179:180]
	v_fma_f64 v[167:168], v[167:168], v[30:31], -v[32:33]
	scratch_load_b128 v[30:33], off, off offset:704
	v_add_f64_e32 v[177:178], v[177:178], v[171:172]
	v_add_f64_e32 v[175:176], v[175:176], v[173:174]
	ds_load_b128 v[171:174], v1 offset:1488
	s_wait_loadcnt_dscnt 0x901
	v_mul_f64_e32 v[185:186], v[2:3], v[36:37]
	v_mul_f64_e32 v[36:37], v[4:5], v[36:37]
	s_wait_loadcnt_dscnt 0x800
	v_mul_f64_e32 v[179:180], v[171:172], v[40:41]
	v_mul_f64_e32 v[40:41], v[173:174], v[40:41]
	v_add_f64_e32 v[177:178], v[177:178], v[183:184]
	v_add_f64_e32 v[175:176], v[175:176], v[181:182]
	v_fma_f64 v[181:182], v[4:5], v[34:35], v[185:186]
	v_fma_f64 v[183:184], v[2:3], v[34:35], -v[36:37]
	ds_load_b128 v[2:5], v1 offset:1504
	scratch_load_b128 v[34:37], off, off offset:720
	v_fma_f64 v[173:174], v[173:174], v[38:39], v[179:180]
	v_fma_f64 v[171:172], v[171:172], v[38:39], -v[40:41]
	scratch_load_b128 v[38:41], off, off offset:736
	v_add_f64_e32 v[177:178], v[177:178], v[167:168]
	v_add_f64_e32 v[175:176], v[175:176], v[169:170]
	ds_load_b128 v[167:170], v1 offset:1520
	s_wait_loadcnt_dscnt 0x901
	v_mul_f64_e32 v[185:186], v[2:3], v[44:45]
	v_mul_f64_e32 v[44:45], v[4:5], v[44:45]
	s_wait_loadcnt_dscnt 0x800
	v_mul_f64_e32 v[179:180], v[167:168], v[8:9]
	v_mul_f64_e32 v[8:9], v[169:170], v[8:9]
	v_add_f64_e32 v[177:178], v[177:178], v[183:184]
	v_add_f64_e32 v[175:176], v[175:176], v[181:182]
	v_fma_f64 v[181:182], v[4:5], v[42:43], v[185:186]
	v_fma_f64 v[183:184], v[2:3], v[42:43], -v[44:45]
	ds_load_b128 v[2:5], v1 offset:1536
	scratch_load_b128 v[42:45], off, off offset:752
	v_fma_f64 v[169:170], v[169:170], v[6:7], v[179:180]
	v_fma_f64 v[167:168], v[167:168], v[6:7], -v[8:9]
	scratch_load_b128 v[6:9], off, off offset:768
	v_add_f64_e32 v[177:178], v[177:178], v[171:172]
	v_add_f64_e32 v[175:176], v[175:176], v[173:174]
	ds_load_b128 v[171:174], v1 offset:1552
	s_wait_loadcnt_dscnt 0x901
	v_mul_f64_e32 v[185:186], v[2:3], v[12:13]
	v_mul_f64_e32 v[12:13], v[4:5], v[12:13]
	s_wait_loadcnt_dscnt 0x800
	v_mul_f64_e32 v[179:180], v[171:172], v[16:17]
	v_mul_f64_e32 v[16:17], v[173:174], v[16:17]
	v_add_f64_e32 v[177:178], v[177:178], v[183:184]
	v_add_f64_e32 v[175:176], v[175:176], v[181:182]
	v_fma_f64 v[181:182], v[4:5], v[10:11], v[185:186]
	v_fma_f64 v[183:184], v[2:3], v[10:11], -v[12:13]
	ds_load_b128 v[2:5], v1 offset:1568
	scratch_load_b128 v[10:13], off, off offset:784
	v_fma_f64 v[173:174], v[173:174], v[14:15], v[179:180]
	v_fma_f64 v[171:172], v[171:172], v[14:15], -v[16:17]
	scratch_load_b128 v[14:17], off, off offset:800
	v_add_f64_e32 v[177:178], v[177:178], v[167:168]
	v_add_f64_e32 v[175:176], v[175:176], v[169:170]
	ds_load_b128 v[167:170], v1 offset:1584
	s_wait_loadcnt_dscnt 0x901
	v_mul_f64_e32 v[185:186], v[2:3], v[20:21]
	v_mul_f64_e32 v[20:21], v[4:5], v[20:21]
	s_wait_loadcnt_dscnt 0x800
	v_mul_f64_e32 v[179:180], v[167:168], v[24:25]
	v_mul_f64_e32 v[24:25], v[169:170], v[24:25]
	v_add_f64_e32 v[177:178], v[177:178], v[183:184]
	v_add_f64_e32 v[175:176], v[175:176], v[181:182]
	v_fma_f64 v[181:182], v[4:5], v[18:19], v[185:186]
	v_fma_f64 v[183:184], v[2:3], v[18:19], -v[20:21]
	ds_load_b128 v[2:5], v1 offset:1600
	scratch_load_b128 v[18:21], off, off offset:816
	v_fma_f64 v[169:170], v[169:170], v[22:23], v[179:180]
	v_fma_f64 v[167:168], v[167:168], v[22:23], -v[24:25]
	scratch_load_b128 v[22:25], off, off offset:832
	v_add_f64_e32 v[177:178], v[177:178], v[171:172]
	v_add_f64_e32 v[175:176], v[175:176], v[173:174]
	ds_load_b128 v[171:174], v1 offset:1616
	s_wait_loadcnt_dscnt 0x901
	v_mul_f64_e32 v[185:186], v[2:3], v[28:29]
	v_mul_f64_e32 v[28:29], v[4:5], v[28:29]
	s_wait_loadcnt_dscnt 0x800
	v_mul_f64_e32 v[179:180], v[171:172], v[32:33]
	v_mul_f64_e32 v[32:33], v[173:174], v[32:33]
	v_add_f64_e32 v[177:178], v[177:178], v[183:184]
	v_add_f64_e32 v[175:176], v[175:176], v[181:182]
	v_fma_f64 v[181:182], v[4:5], v[26:27], v[185:186]
	v_fma_f64 v[183:184], v[2:3], v[26:27], -v[28:29]
	ds_load_b128 v[2:5], v1 offset:1632
	scratch_load_b128 v[26:29], off, off offset:848
	v_fma_f64 v[173:174], v[173:174], v[30:31], v[179:180]
	v_fma_f64 v[171:172], v[171:172], v[30:31], -v[32:33]
	scratch_load_b128 v[30:33], off, off offset:864
	v_add_f64_e32 v[177:178], v[177:178], v[167:168]
	v_add_f64_e32 v[175:176], v[175:176], v[169:170]
	ds_load_b128 v[167:170], v1 offset:1648
	s_wait_loadcnt_dscnt 0x901
	v_mul_f64_e32 v[185:186], v[2:3], v[36:37]
	v_mul_f64_e32 v[36:37], v[4:5], v[36:37]
	s_wait_loadcnt_dscnt 0x800
	v_mul_f64_e32 v[179:180], v[167:168], v[40:41]
	v_mul_f64_e32 v[40:41], v[169:170], v[40:41]
	v_add_f64_e32 v[177:178], v[177:178], v[183:184]
	v_add_f64_e32 v[175:176], v[175:176], v[181:182]
	v_fma_f64 v[181:182], v[4:5], v[34:35], v[185:186]
	v_fma_f64 v[183:184], v[2:3], v[34:35], -v[36:37]
	ds_load_b128 v[2:5], v1 offset:1664
	scratch_load_b128 v[34:37], off, off offset:880
	v_fma_f64 v[169:170], v[169:170], v[38:39], v[179:180]
	v_fma_f64 v[167:168], v[167:168], v[38:39], -v[40:41]
	scratch_load_b128 v[38:41], off, off offset:896
	v_add_f64_e32 v[177:178], v[177:178], v[171:172]
	v_add_f64_e32 v[175:176], v[175:176], v[173:174]
	ds_load_b128 v[171:174], v1 offset:1680
	s_wait_loadcnt_dscnt 0x901
	v_mul_f64_e32 v[185:186], v[2:3], v[44:45]
	v_mul_f64_e32 v[44:45], v[4:5], v[44:45]
	s_wait_loadcnt_dscnt 0x800
	v_mul_f64_e32 v[179:180], v[171:172], v[8:9]
	v_mul_f64_e32 v[8:9], v[173:174], v[8:9]
	v_add_f64_e32 v[177:178], v[177:178], v[183:184]
	v_add_f64_e32 v[175:176], v[175:176], v[181:182]
	v_fma_f64 v[181:182], v[4:5], v[42:43], v[185:186]
	v_fma_f64 v[183:184], v[2:3], v[42:43], -v[44:45]
	ds_load_b128 v[2:5], v1 offset:1696
	scratch_load_b128 v[42:45], off, off offset:912
	v_fma_f64 v[173:174], v[173:174], v[6:7], v[179:180]
	v_fma_f64 v[171:172], v[171:172], v[6:7], -v[8:9]
	scratch_load_b128 v[6:9], off, off offset:928
	v_add_f64_e32 v[177:178], v[177:178], v[167:168]
	v_add_f64_e32 v[175:176], v[175:176], v[169:170]
	ds_load_b128 v[167:170], v1 offset:1712
	s_wait_loadcnt_dscnt 0x901
	v_mul_f64_e32 v[185:186], v[2:3], v[12:13]
	v_mul_f64_e32 v[12:13], v[4:5], v[12:13]
	s_wait_loadcnt_dscnt 0x800
	v_mul_f64_e32 v[179:180], v[167:168], v[16:17]
	v_mul_f64_e32 v[16:17], v[169:170], v[16:17]
	v_add_f64_e32 v[177:178], v[177:178], v[183:184]
	v_add_f64_e32 v[175:176], v[175:176], v[181:182]
	v_fma_f64 v[181:182], v[4:5], v[10:11], v[185:186]
	v_fma_f64 v[183:184], v[2:3], v[10:11], -v[12:13]
	ds_load_b128 v[2:5], v1 offset:1728
	ds_load_b128 v[10:13], v1 offset:1744
	v_fma_f64 v[169:170], v[169:170], v[14:15], v[179:180]
	v_fma_f64 v[14:15], v[167:168], v[14:15], -v[16:17]
	v_add_f64_e32 v[171:172], v[177:178], v[171:172]
	v_add_f64_e32 v[173:174], v[175:176], v[173:174]
	s_wait_loadcnt_dscnt 0x701
	v_mul_f64_e32 v[175:176], v[2:3], v[20:21]
	v_mul_f64_e32 v[20:21], v[4:5], v[20:21]
	s_delay_alu instid0(VALU_DEP_4) | instskip(NEXT) | instid1(VALU_DEP_4)
	v_add_f64_e32 v[16:17], v[171:172], v[183:184]
	v_add_f64_e32 v[167:168], v[173:174], v[181:182]
	s_wait_loadcnt_dscnt 0x600
	v_mul_f64_e32 v[171:172], v[10:11], v[24:25]
	v_mul_f64_e32 v[24:25], v[12:13], v[24:25]
	v_fma_f64 v[173:174], v[4:5], v[18:19], v[175:176]
	v_fma_f64 v[18:19], v[2:3], v[18:19], -v[20:21]
	v_add_f64_e32 v[20:21], v[16:17], v[14:15]
	v_add_f64_e32 v[167:168], v[167:168], v[169:170]
	ds_load_b128 v[2:5], v1 offset:1760
	ds_load_b128 v[14:17], v1 offset:1776
	v_fma_f64 v[12:13], v[12:13], v[22:23], v[171:172]
	v_fma_f64 v[10:11], v[10:11], v[22:23], -v[24:25]
	s_wait_loadcnt_dscnt 0x501
	v_mul_f64_e32 v[169:170], v[2:3], v[28:29]
	v_mul_f64_e32 v[28:29], v[4:5], v[28:29]
	s_wait_loadcnt_dscnt 0x400
	v_mul_f64_e32 v[22:23], v[14:15], v[32:33]
	v_mul_f64_e32 v[24:25], v[16:17], v[32:33]
	v_add_f64_e32 v[18:19], v[20:21], v[18:19]
	v_add_f64_e32 v[20:21], v[167:168], v[173:174]
	v_fma_f64 v[32:33], v[4:5], v[26:27], v[169:170]
	v_fma_f64 v[26:27], v[2:3], v[26:27], -v[28:29]
	v_fma_f64 v[16:17], v[16:17], v[30:31], v[22:23]
	v_fma_f64 v[14:15], v[14:15], v[30:31], -v[24:25]
	v_add_f64_e32 v[18:19], v[18:19], v[10:11]
	v_add_f64_e32 v[20:21], v[20:21], v[12:13]
	ds_load_b128 v[2:5], v1 offset:1792
	ds_load_b128 v[10:13], v1 offset:1808
	s_wait_loadcnt_dscnt 0x301
	v_mul_f64_e32 v[28:29], v[2:3], v[36:37]
	v_mul_f64_e32 v[36:37], v[4:5], v[36:37]
	s_wait_loadcnt_dscnt 0x200
	v_mul_f64_e32 v[22:23], v[10:11], v[40:41]
	v_mul_f64_e32 v[24:25], v[12:13], v[40:41]
	v_add_f64_e32 v[18:19], v[18:19], v[26:27]
	v_add_f64_e32 v[20:21], v[20:21], v[32:33]
	v_fma_f64 v[26:27], v[4:5], v[34:35], v[28:29]
	v_fma_f64 v[28:29], v[2:3], v[34:35], -v[36:37]
	v_fma_f64 v[12:13], v[12:13], v[38:39], v[22:23]
	v_fma_f64 v[10:11], v[10:11], v[38:39], -v[24:25]
	v_add_f64_e32 v[18:19], v[18:19], v[14:15]
	v_add_f64_e32 v[20:21], v[20:21], v[16:17]
	ds_load_b128 v[2:5], v1 offset:1824
	ds_load_b128 v[14:17], v1 offset:1840
	s_wait_loadcnt_dscnt 0x101
	v_mul_f64_e32 v[30:31], v[2:3], v[44:45]
	v_mul_f64_e32 v[32:33], v[4:5], v[44:45]
	s_wait_loadcnt_dscnt 0x0
	v_mul_f64_e32 v[22:23], v[14:15], v[8:9]
	v_mul_f64_e32 v[8:9], v[16:17], v[8:9]
	v_add_f64_e32 v[18:19], v[18:19], v[28:29]
	v_add_f64_e32 v[20:21], v[20:21], v[26:27]
	v_fma_f64 v[4:5], v[4:5], v[42:43], v[30:31]
	v_fma_f64 v[1:2], v[2:3], v[42:43], -v[32:33]
	v_fma_f64 v[16:17], v[16:17], v[6:7], v[22:23]
	v_fma_f64 v[6:7], v[14:15], v[6:7], -v[8:9]
	v_add_f64_e32 v[10:11], v[18:19], v[10:11]
	v_add_f64_e32 v[12:13], v[20:21], v[12:13]
	s_delay_alu instid0(VALU_DEP_2) | instskip(NEXT) | instid1(VALU_DEP_2)
	v_add_f64_e32 v[1:2], v[10:11], v[1:2]
	v_add_f64_e32 v[3:4], v[12:13], v[4:5]
	s_delay_alu instid0(VALU_DEP_2) | instskip(NEXT) | instid1(VALU_DEP_2)
	;; [unrolled: 3-line block ×3, first 2 shown]
	v_add_f64_e64 v[1:2], v[163:164], -v[1:2]
	v_add_f64_e64 v[3:4], v[165:166], -v[3:4]
	scratch_store_b128 off, v[1:4], off offset:96
	v_cmpx_lt_u32_e32 4, v0
	s_cbranch_execz .LBB121_353
; %bb.352:
	scratch_load_b128 v[1:4], off, s4
	v_mov_b32_e32 v5, 0
	s_delay_alu instid0(VALU_DEP_1)
	v_dual_mov_b32 v6, v5 :: v_dual_mov_b32 v7, v5
	v_mov_b32_e32 v8, v5
	scratch_store_b128 off, v[5:8], off offset:80
	s_wait_loadcnt 0x0
	ds_store_b128 v162, v[1:4]
.LBB121_353:
	s_wait_alu 0xfffe
	s_or_b32 exec_lo, exec_lo, s0
	s_wait_storecnt_dscnt 0x0
	s_barrier_signal -1
	s_barrier_wait -1
	global_inv scope:SCOPE_SE
	s_clause 0x7
	scratch_load_b128 v[2:5], off, off offset:96
	scratch_load_b128 v[6:9], off, off offset:112
	;; [unrolled: 1-line block ×8, first 2 shown]
	v_mov_b32_e32 v1, 0
	s_mov_b32 s0, exec_lo
	ds_load_b128 v[38:41], v1 offset:1008
	s_clause 0x1
	scratch_load_b128 v[34:37], off, off offset:224
	scratch_load_b128 v[42:45], off, off offset:80
	ds_load_b128 v[163:166], v1 offset:1024
	scratch_load_b128 v[167:170], off, off offset:240
	s_wait_loadcnt_dscnt 0xa01
	v_mul_f64_e32 v[171:172], v[40:41], v[4:5]
	v_mul_f64_e32 v[4:5], v[38:39], v[4:5]
	s_delay_alu instid0(VALU_DEP_2) | instskip(NEXT) | instid1(VALU_DEP_2)
	v_fma_f64 v[177:178], v[38:39], v[2:3], -v[171:172]
	v_fma_f64 v[179:180], v[40:41], v[2:3], v[4:5]
	ds_load_b128 v[2:5], v1 offset:1040
	s_wait_loadcnt_dscnt 0x901
	v_mul_f64_e32 v[175:176], v[163:164], v[8:9]
	v_mul_f64_e32 v[8:9], v[165:166], v[8:9]
	scratch_load_b128 v[38:41], off, off offset:256
	ds_load_b128 v[171:174], v1 offset:1056
	s_wait_loadcnt_dscnt 0x901
	v_mul_f64_e32 v[181:182], v[2:3], v[12:13]
	v_mul_f64_e32 v[12:13], v[4:5], v[12:13]
	v_fma_f64 v[165:166], v[165:166], v[6:7], v[175:176]
	v_fma_f64 v[163:164], v[163:164], v[6:7], -v[8:9]
	v_add_f64_e32 v[175:176], 0, v[177:178]
	v_add_f64_e32 v[177:178], 0, v[179:180]
	scratch_load_b128 v[6:9], off, off offset:272
	v_fma_f64 v[181:182], v[4:5], v[10:11], v[181:182]
	v_fma_f64 v[183:184], v[2:3], v[10:11], -v[12:13]
	ds_load_b128 v[2:5], v1 offset:1072
	s_wait_loadcnt_dscnt 0x901
	v_mul_f64_e32 v[179:180], v[171:172], v[16:17]
	v_mul_f64_e32 v[16:17], v[173:174], v[16:17]
	scratch_load_b128 v[10:13], off, off offset:288
	v_add_f64_e32 v[175:176], v[175:176], v[163:164]
	v_add_f64_e32 v[177:178], v[177:178], v[165:166]
	s_wait_loadcnt_dscnt 0x900
	v_mul_f64_e32 v[185:186], v[2:3], v[20:21]
	v_mul_f64_e32 v[20:21], v[4:5], v[20:21]
	ds_load_b128 v[163:166], v1 offset:1088
	v_fma_f64 v[173:174], v[173:174], v[14:15], v[179:180]
	v_fma_f64 v[171:172], v[171:172], v[14:15], -v[16:17]
	scratch_load_b128 v[14:17], off, off offset:304
	v_add_f64_e32 v[175:176], v[175:176], v[183:184]
	v_add_f64_e32 v[177:178], v[177:178], v[181:182]
	v_fma_f64 v[181:182], v[4:5], v[18:19], v[185:186]
	v_fma_f64 v[183:184], v[2:3], v[18:19], -v[20:21]
	ds_load_b128 v[2:5], v1 offset:1104
	s_wait_loadcnt_dscnt 0x901
	v_mul_f64_e32 v[179:180], v[163:164], v[24:25]
	v_mul_f64_e32 v[24:25], v[165:166], v[24:25]
	scratch_load_b128 v[18:21], off, off offset:320
	s_wait_loadcnt_dscnt 0x900
	v_mul_f64_e32 v[185:186], v[2:3], v[28:29]
	v_mul_f64_e32 v[28:29], v[4:5], v[28:29]
	v_add_f64_e32 v[175:176], v[175:176], v[171:172]
	v_add_f64_e32 v[177:178], v[177:178], v[173:174]
	ds_load_b128 v[171:174], v1 offset:1120
	v_fma_f64 v[165:166], v[165:166], v[22:23], v[179:180]
	v_fma_f64 v[163:164], v[163:164], v[22:23], -v[24:25]
	scratch_load_b128 v[22:25], off, off offset:336
	v_add_f64_e32 v[175:176], v[175:176], v[183:184]
	v_add_f64_e32 v[177:178], v[177:178], v[181:182]
	v_fma_f64 v[181:182], v[4:5], v[26:27], v[185:186]
	v_fma_f64 v[183:184], v[2:3], v[26:27], -v[28:29]
	ds_load_b128 v[2:5], v1 offset:1136
	s_wait_loadcnt_dscnt 0x901
	v_mul_f64_e32 v[179:180], v[171:172], v[32:33]
	v_mul_f64_e32 v[32:33], v[173:174], v[32:33]
	scratch_load_b128 v[26:29], off, off offset:352
	s_wait_loadcnt_dscnt 0x900
	v_mul_f64_e32 v[185:186], v[2:3], v[36:37]
	v_mul_f64_e32 v[36:37], v[4:5], v[36:37]
	v_add_f64_e32 v[175:176], v[175:176], v[163:164]
	v_add_f64_e32 v[177:178], v[177:178], v[165:166]
	ds_load_b128 v[163:166], v1 offset:1152
	v_fma_f64 v[173:174], v[173:174], v[30:31], v[179:180]
	v_fma_f64 v[171:172], v[171:172], v[30:31], -v[32:33]
	scratch_load_b128 v[30:33], off, off offset:368
	v_add_f64_e32 v[175:176], v[175:176], v[183:184]
	v_add_f64_e32 v[177:178], v[177:178], v[181:182]
	v_fma_f64 v[183:184], v[4:5], v[34:35], v[185:186]
	v_fma_f64 v[185:186], v[2:3], v[34:35], -v[36:37]
	ds_load_b128 v[2:5], v1 offset:1168
	s_wait_loadcnt_dscnt 0x801
	v_mul_f64_e32 v[179:180], v[163:164], v[169:170]
	v_mul_f64_e32 v[181:182], v[165:166], v[169:170]
	scratch_load_b128 v[34:37], off, off offset:384
	v_add_f64_e32 v[175:176], v[175:176], v[171:172]
	v_add_f64_e32 v[173:174], v[177:178], v[173:174]
	ds_load_b128 v[169:172], v1 offset:1184
	v_fma_f64 v[179:180], v[165:166], v[167:168], v[179:180]
	v_fma_f64 v[167:168], v[163:164], v[167:168], -v[181:182]
	scratch_load_b128 v[163:166], off, off offset:400
	s_wait_loadcnt_dscnt 0x901
	v_mul_f64_e32 v[177:178], v[2:3], v[40:41]
	v_mul_f64_e32 v[40:41], v[4:5], v[40:41]
	v_add_f64_e32 v[175:176], v[175:176], v[185:186]
	v_add_f64_e32 v[173:174], v[173:174], v[183:184]
	s_delay_alu instid0(VALU_DEP_4) | instskip(NEXT) | instid1(VALU_DEP_4)
	v_fma_f64 v[177:178], v[4:5], v[38:39], v[177:178]
	v_fma_f64 v[183:184], v[2:3], v[38:39], -v[40:41]
	ds_load_b128 v[2:5], v1 offset:1200
	s_wait_loadcnt_dscnt 0x801
	v_mul_f64_e32 v[181:182], v[169:170], v[8:9]
	v_mul_f64_e32 v[8:9], v[171:172], v[8:9]
	scratch_load_b128 v[38:41], off, off offset:416
	s_wait_loadcnt_dscnt 0x800
	v_mul_f64_e32 v[185:186], v[2:3], v[12:13]
	v_add_f64_e32 v[167:168], v[175:176], v[167:168]
	v_add_f64_e32 v[179:180], v[173:174], v[179:180]
	v_mul_f64_e32 v[12:13], v[4:5], v[12:13]
	ds_load_b128 v[173:176], v1 offset:1216
	v_fma_f64 v[171:172], v[171:172], v[6:7], v[181:182]
	v_fma_f64 v[169:170], v[169:170], v[6:7], -v[8:9]
	scratch_load_b128 v[6:9], off, off offset:432
	v_fma_f64 v[181:182], v[4:5], v[10:11], v[185:186]
	v_add_f64_e32 v[167:168], v[167:168], v[183:184]
	v_add_f64_e32 v[177:178], v[179:180], v[177:178]
	v_fma_f64 v[183:184], v[2:3], v[10:11], -v[12:13]
	ds_load_b128 v[2:5], v1 offset:1232
	s_wait_loadcnt_dscnt 0x801
	v_mul_f64_e32 v[179:180], v[173:174], v[16:17]
	v_mul_f64_e32 v[16:17], v[175:176], v[16:17]
	scratch_load_b128 v[10:13], off, off offset:448
	v_add_f64_e32 v[185:186], v[167:168], v[169:170]
	v_add_f64_e32 v[171:172], v[177:178], v[171:172]
	s_wait_loadcnt_dscnt 0x800
	v_mul_f64_e32 v[177:178], v[2:3], v[20:21]
	v_mul_f64_e32 v[20:21], v[4:5], v[20:21]
	v_fma_f64 v[175:176], v[175:176], v[14:15], v[179:180]
	v_fma_f64 v[173:174], v[173:174], v[14:15], -v[16:17]
	ds_load_b128 v[167:170], v1 offset:1248
	scratch_load_b128 v[14:17], off, off offset:464
	v_add_f64_e32 v[179:180], v[185:186], v[183:184]
	v_add_f64_e32 v[171:172], v[171:172], v[181:182]
	v_fma_f64 v[177:178], v[4:5], v[18:19], v[177:178]
	v_fma_f64 v[183:184], v[2:3], v[18:19], -v[20:21]
	ds_load_b128 v[2:5], v1 offset:1264
	s_wait_loadcnt_dscnt 0x801
	v_mul_f64_e32 v[181:182], v[167:168], v[24:25]
	v_mul_f64_e32 v[24:25], v[169:170], v[24:25]
	scratch_load_b128 v[18:21], off, off offset:480
	s_wait_loadcnt_dscnt 0x800
	v_mul_f64_e32 v[185:186], v[2:3], v[28:29]
	v_mul_f64_e32 v[28:29], v[4:5], v[28:29]
	v_add_f64_e32 v[179:180], v[179:180], v[173:174]
	v_add_f64_e32 v[175:176], v[171:172], v[175:176]
	ds_load_b128 v[171:174], v1 offset:1280
	v_fma_f64 v[169:170], v[169:170], v[22:23], v[181:182]
	v_fma_f64 v[167:168], v[167:168], v[22:23], -v[24:25]
	scratch_load_b128 v[22:25], off, off offset:496
	v_fma_f64 v[181:182], v[4:5], v[26:27], v[185:186]
	v_add_f64_e32 v[179:180], v[179:180], v[183:184]
	v_add_f64_e32 v[175:176], v[175:176], v[177:178]
	v_fma_f64 v[183:184], v[2:3], v[26:27], -v[28:29]
	ds_load_b128 v[2:5], v1 offset:1296
	s_wait_loadcnt_dscnt 0x801
	v_mul_f64_e32 v[177:178], v[171:172], v[32:33]
	v_mul_f64_e32 v[32:33], v[173:174], v[32:33]
	scratch_load_b128 v[26:29], off, off offset:512
	s_wait_loadcnt_dscnt 0x800
	v_mul_f64_e32 v[185:186], v[2:3], v[36:37]
	v_mul_f64_e32 v[36:37], v[4:5], v[36:37]
	v_add_f64_e32 v[179:180], v[179:180], v[167:168]
	v_add_f64_e32 v[175:176], v[175:176], v[169:170]
	ds_load_b128 v[167:170], v1 offset:1312
	v_fma_f64 v[173:174], v[173:174], v[30:31], v[177:178]
	v_fma_f64 v[171:172], v[171:172], v[30:31], -v[32:33]
	scratch_load_b128 v[30:33], off, off offset:528
	v_add_f64_e32 v[177:178], v[179:180], v[183:184]
	v_add_f64_e32 v[175:176], v[175:176], v[181:182]
	v_fma_f64 v[181:182], v[4:5], v[34:35], v[185:186]
	v_fma_f64 v[183:184], v[2:3], v[34:35], -v[36:37]
	ds_load_b128 v[2:5], v1 offset:1328
	s_wait_loadcnt_dscnt 0x801
	v_mul_f64_e32 v[179:180], v[167:168], v[165:166]
	v_mul_f64_e32 v[165:166], v[169:170], v[165:166]
	scratch_load_b128 v[34:37], off, off offset:544
	s_wait_loadcnt_dscnt 0x800
	v_mul_f64_e32 v[185:186], v[2:3], v[40:41]
	v_mul_f64_e32 v[40:41], v[4:5], v[40:41]
	v_add_f64_e32 v[177:178], v[177:178], v[171:172]
	v_add_f64_e32 v[175:176], v[175:176], v[173:174]
	ds_load_b128 v[171:174], v1 offset:1344
	v_fma_f64 v[169:170], v[169:170], v[163:164], v[179:180]
	v_fma_f64 v[167:168], v[167:168], v[163:164], -v[165:166]
	scratch_load_b128 v[163:166], off, off offset:560
	v_add_f64_e32 v[177:178], v[177:178], v[183:184]
	v_add_f64_e32 v[175:176], v[175:176], v[181:182]
	v_fma_f64 v[181:182], v[4:5], v[38:39], v[185:186]
	;; [unrolled: 18-line block ×6, first 2 shown]
	v_fma_f64 v[185:186], v[2:3], v[34:35], -v[36:37]
	ds_load_b128 v[2:5], v1 offset:1488
	s_wait_loadcnt_dscnt 0x801
	v_mul_f64_e32 v[179:180], v[171:172], v[165:166]
	v_mul_f64_e32 v[181:182], v[173:174], v[165:166]
	scratch_load_b128 v[34:37], off, off offset:704
	v_add_f64_e32 v[177:178], v[177:178], v[167:168]
	v_add_f64_e32 v[169:170], v[175:176], v[169:170]
	s_wait_loadcnt_dscnt 0x800
	v_mul_f64_e32 v[175:176], v[2:3], v[40:41]
	v_mul_f64_e32 v[40:41], v[4:5], v[40:41]
	ds_load_b128 v[165:168], v1 offset:1504
	v_fma_f64 v[173:174], v[173:174], v[163:164], v[179:180]
	v_fma_f64 v[163:164], v[171:172], v[163:164], -v[181:182]
	v_add_f64_e32 v[177:178], v[177:178], v[185:186]
	v_add_f64_e32 v[179:180], v[169:170], v[183:184]
	scratch_load_b128 v[169:172], off, off offset:720
	v_fma_f64 v[183:184], v[4:5], v[38:39], v[175:176]
	v_fma_f64 v[185:186], v[2:3], v[38:39], -v[40:41]
	ds_load_b128 v[2:5], v1 offset:1520
	s_wait_loadcnt_dscnt 0x801
	v_mul_f64_e32 v[181:182], v[165:166], v[8:9]
	v_mul_f64_e32 v[8:9], v[167:168], v[8:9]
	scratch_load_b128 v[38:41], off, off offset:736
	v_add_f64_e32 v[163:164], v[177:178], v[163:164]
	v_add_f64_e32 v[177:178], v[179:180], v[173:174]
	s_wait_loadcnt_dscnt 0x800
	v_mul_f64_e32 v[179:180], v[2:3], v[12:13]
	v_mul_f64_e32 v[12:13], v[4:5], v[12:13]
	ds_load_b128 v[173:176], v1 offset:1536
	v_fma_f64 v[167:168], v[167:168], v[6:7], v[181:182]
	v_fma_f64 v[165:166], v[165:166], v[6:7], -v[8:9]
	scratch_load_b128 v[6:9], off, off offset:752
	v_add_f64_e32 v[163:164], v[163:164], v[185:186]
	v_add_f64_e32 v[177:178], v[177:178], v[183:184]
	v_fma_f64 v[179:180], v[4:5], v[10:11], v[179:180]
	v_fma_f64 v[183:184], v[2:3], v[10:11], -v[12:13]
	ds_load_b128 v[2:5], v1 offset:1552
	s_wait_loadcnt_dscnt 0x801
	v_mul_f64_e32 v[181:182], v[173:174], v[16:17]
	v_mul_f64_e32 v[16:17], v[175:176], v[16:17]
	scratch_load_b128 v[10:13], off, off offset:768
	v_add_f64_e32 v[185:186], v[163:164], v[165:166]
	v_add_f64_e32 v[167:168], v[177:178], v[167:168]
	s_wait_loadcnt_dscnt 0x800
	v_mul_f64_e32 v[177:178], v[2:3], v[20:21]
	v_mul_f64_e32 v[20:21], v[4:5], v[20:21]
	ds_load_b128 v[163:166], v1 offset:1568
	v_fma_f64 v[175:176], v[175:176], v[14:15], v[181:182]
	v_fma_f64 v[173:174], v[173:174], v[14:15], -v[16:17]
	scratch_load_b128 v[14:17], off, off offset:784
	v_add_f64_e32 v[181:182], v[185:186], v[183:184]
	v_add_f64_e32 v[167:168], v[167:168], v[179:180]
	v_fma_f64 v[177:178], v[4:5], v[18:19], v[177:178]
	v_fma_f64 v[183:184], v[2:3], v[18:19], -v[20:21]
	ds_load_b128 v[2:5], v1 offset:1584
	s_wait_loadcnt_dscnt 0x801
	v_mul_f64_e32 v[179:180], v[163:164], v[24:25]
	v_mul_f64_e32 v[24:25], v[165:166], v[24:25]
	scratch_load_b128 v[18:21], off, off offset:800
	s_wait_loadcnt_dscnt 0x800
	v_mul_f64_e32 v[185:186], v[2:3], v[28:29]
	v_mul_f64_e32 v[28:29], v[4:5], v[28:29]
	v_add_f64_e32 v[181:182], v[181:182], v[173:174]
	v_add_f64_e32 v[167:168], v[167:168], v[175:176]
	ds_load_b128 v[173:176], v1 offset:1600
	v_fma_f64 v[165:166], v[165:166], v[22:23], v[179:180]
	v_fma_f64 v[163:164], v[163:164], v[22:23], -v[24:25]
	scratch_load_b128 v[22:25], off, off offset:816
	v_add_f64_e32 v[179:180], v[181:182], v[183:184]
	v_add_f64_e32 v[167:168], v[167:168], v[177:178]
	v_fma_f64 v[181:182], v[4:5], v[26:27], v[185:186]
	v_fma_f64 v[183:184], v[2:3], v[26:27], -v[28:29]
	ds_load_b128 v[2:5], v1 offset:1616
	s_wait_loadcnt_dscnt 0x801
	v_mul_f64_e32 v[177:178], v[173:174], v[32:33]
	v_mul_f64_e32 v[32:33], v[175:176], v[32:33]
	scratch_load_b128 v[26:29], off, off offset:832
	s_wait_loadcnt_dscnt 0x800
	v_mul_f64_e32 v[185:186], v[2:3], v[36:37]
	v_mul_f64_e32 v[36:37], v[4:5], v[36:37]
	v_add_f64_e32 v[179:180], v[179:180], v[163:164]
	v_add_f64_e32 v[167:168], v[167:168], v[165:166]
	ds_load_b128 v[163:166], v1 offset:1632
	v_fma_f64 v[175:176], v[175:176], v[30:31], v[177:178]
	v_fma_f64 v[173:174], v[173:174], v[30:31], -v[32:33]
	scratch_load_b128 v[30:33], off, off offset:848
	v_add_f64_e32 v[177:178], v[179:180], v[183:184]
	v_add_f64_e32 v[167:168], v[167:168], v[181:182]
	v_fma_f64 v[183:184], v[4:5], v[34:35], v[185:186]
	v_fma_f64 v[185:186], v[2:3], v[34:35], -v[36:37]
	ds_load_b128 v[2:5], v1 offset:1648
	scratch_load_b128 v[34:37], off, off offset:864
	s_wait_loadcnt_dscnt 0x901
	v_mul_f64_e32 v[179:180], v[163:164], v[171:172]
	v_mul_f64_e32 v[181:182], v[165:166], v[171:172]
	v_add_f64_e32 v[177:178], v[177:178], v[173:174]
	v_add_f64_e32 v[167:168], v[167:168], v[175:176]
	s_wait_loadcnt_dscnt 0x800
	v_mul_f64_e32 v[175:176], v[2:3], v[40:41]
	v_mul_f64_e32 v[40:41], v[4:5], v[40:41]
	ds_load_b128 v[171:174], v1 offset:1664
	v_fma_f64 v[179:180], v[165:166], v[169:170], v[179:180]
	v_fma_f64 v[169:170], v[163:164], v[169:170], -v[181:182]
	scratch_load_b128 v[163:166], off, off offset:880
	v_add_f64_e32 v[177:178], v[177:178], v[185:186]
	v_add_f64_e32 v[167:168], v[167:168], v[183:184]
	v_fma_f64 v[175:176], v[4:5], v[38:39], v[175:176]
	v_fma_f64 v[183:184], v[2:3], v[38:39], -v[40:41]
	ds_load_b128 v[2:5], v1 offset:1680
	s_wait_loadcnt_dscnt 0x801
	v_mul_f64_e32 v[181:182], v[171:172], v[8:9]
	v_mul_f64_e32 v[8:9], v[173:174], v[8:9]
	scratch_load_b128 v[38:41], off, off offset:896
	s_wait_loadcnt_dscnt 0x800
	v_mul_f64_e32 v[185:186], v[2:3], v[12:13]
	v_mul_f64_e32 v[12:13], v[4:5], v[12:13]
	v_add_f64_e32 v[177:178], v[177:178], v[169:170]
	v_add_f64_e32 v[179:180], v[167:168], v[179:180]
	ds_load_b128 v[167:170], v1 offset:1696
	v_fma_f64 v[173:174], v[173:174], v[6:7], v[181:182]
	v_fma_f64 v[171:172], v[171:172], v[6:7], -v[8:9]
	scratch_load_b128 v[6:9], off, off offset:912
	v_fma_f64 v[181:182], v[4:5], v[10:11], v[185:186]
	v_add_f64_e32 v[177:178], v[177:178], v[183:184]
	v_add_f64_e32 v[175:176], v[179:180], v[175:176]
	v_fma_f64 v[183:184], v[2:3], v[10:11], -v[12:13]
	ds_load_b128 v[2:5], v1 offset:1712
	s_wait_loadcnt_dscnt 0x801
	v_mul_f64_e32 v[179:180], v[167:168], v[16:17]
	v_mul_f64_e32 v[16:17], v[169:170], v[16:17]
	scratch_load_b128 v[10:13], off, off offset:928
	s_wait_loadcnt_dscnt 0x800
	v_mul_f64_e32 v[185:186], v[2:3], v[20:21]
	v_mul_f64_e32 v[20:21], v[4:5], v[20:21]
	v_add_f64_e32 v[177:178], v[177:178], v[171:172]
	v_add_f64_e32 v[175:176], v[175:176], v[173:174]
	ds_load_b128 v[171:174], v1 offset:1728
	v_fma_f64 v[169:170], v[169:170], v[14:15], v[179:180]
	v_fma_f64 v[14:15], v[167:168], v[14:15], -v[16:17]
	v_add_f64_e32 v[16:17], v[177:178], v[183:184]
	v_add_f64_e32 v[167:168], v[175:176], v[181:182]
	s_wait_loadcnt_dscnt 0x700
	v_mul_f64_e32 v[175:176], v[171:172], v[24:25]
	v_mul_f64_e32 v[24:25], v[173:174], v[24:25]
	v_fma_f64 v[177:178], v[4:5], v[18:19], v[185:186]
	v_fma_f64 v[18:19], v[2:3], v[18:19], -v[20:21]
	v_add_f64_e32 v[20:21], v[16:17], v[14:15]
	v_add_f64_e32 v[167:168], v[167:168], v[169:170]
	ds_load_b128 v[2:5], v1 offset:1744
	ds_load_b128 v[14:17], v1 offset:1760
	v_fma_f64 v[173:174], v[173:174], v[22:23], v[175:176]
	v_fma_f64 v[22:23], v[171:172], v[22:23], -v[24:25]
	s_wait_loadcnt_dscnt 0x601
	v_mul_f64_e32 v[169:170], v[2:3], v[28:29]
	v_mul_f64_e32 v[28:29], v[4:5], v[28:29]
	s_wait_loadcnt_dscnt 0x500
	v_mul_f64_e32 v[24:25], v[14:15], v[32:33]
	v_mul_f64_e32 v[32:33], v[16:17], v[32:33]
	v_add_f64_e32 v[18:19], v[20:21], v[18:19]
	v_add_f64_e32 v[20:21], v[167:168], v[177:178]
	v_fma_f64 v[167:168], v[4:5], v[26:27], v[169:170]
	v_fma_f64 v[26:27], v[2:3], v[26:27], -v[28:29]
	v_fma_f64 v[16:17], v[16:17], v[30:31], v[24:25]
	v_fma_f64 v[14:15], v[14:15], v[30:31], -v[32:33]
	v_add_f64_e32 v[22:23], v[18:19], v[22:23]
	v_add_f64_e32 v[28:29], v[20:21], v[173:174]
	ds_load_b128 v[2:5], v1 offset:1776
	ds_load_b128 v[18:21], v1 offset:1792
	s_wait_loadcnt_dscnt 0x401
	v_mul_f64_e32 v[169:170], v[2:3], v[36:37]
	v_mul_f64_e32 v[36:37], v[4:5], v[36:37]
	v_add_f64_e32 v[22:23], v[22:23], v[26:27]
	v_add_f64_e32 v[24:25], v[28:29], v[167:168]
	s_wait_loadcnt_dscnt 0x300
	v_mul_f64_e32 v[26:27], v[18:19], v[165:166]
	v_mul_f64_e32 v[28:29], v[20:21], v[165:166]
	v_fma_f64 v[30:31], v[4:5], v[34:35], v[169:170]
	v_fma_f64 v[32:33], v[2:3], v[34:35], -v[36:37]
	v_add_f64_e32 v[22:23], v[22:23], v[14:15]
	v_add_f64_e32 v[24:25], v[24:25], v[16:17]
	ds_load_b128 v[2:5], v1 offset:1808
	ds_load_b128 v[14:17], v1 offset:1824
	v_fma_f64 v[20:21], v[20:21], v[163:164], v[26:27]
	v_fma_f64 v[18:19], v[18:19], v[163:164], -v[28:29]
	s_wait_loadcnt_dscnt 0x201
	v_mul_f64_e32 v[34:35], v[2:3], v[40:41]
	v_mul_f64_e32 v[36:37], v[4:5], v[40:41]
	s_wait_loadcnt_dscnt 0x100
	v_mul_f64_e32 v[26:27], v[14:15], v[8:9]
	v_mul_f64_e32 v[8:9], v[16:17], v[8:9]
	v_add_f64_e32 v[22:23], v[22:23], v[32:33]
	v_add_f64_e32 v[24:25], v[24:25], v[30:31]
	v_fma_f64 v[28:29], v[4:5], v[38:39], v[34:35]
	v_fma_f64 v[30:31], v[2:3], v[38:39], -v[36:37]
	ds_load_b128 v[2:5], v1 offset:1840
	v_fma_f64 v[16:17], v[16:17], v[6:7], v[26:27]
	v_fma_f64 v[6:7], v[14:15], v[6:7], -v[8:9]
	v_add_f64_e32 v[18:19], v[22:23], v[18:19]
	v_add_f64_e32 v[20:21], v[24:25], v[20:21]
	s_wait_loadcnt_dscnt 0x0
	v_mul_f64_e32 v[22:23], v[2:3], v[12:13]
	v_mul_f64_e32 v[12:13], v[4:5], v[12:13]
	s_delay_alu instid0(VALU_DEP_4) | instskip(NEXT) | instid1(VALU_DEP_4)
	v_add_f64_e32 v[8:9], v[18:19], v[30:31]
	v_add_f64_e32 v[14:15], v[20:21], v[28:29]
	s_delay_alu instid0(VALU_DEP_4) | instskip(NEXT) | instid1(VALU_DEP_4)
	v_fma_f64 v[4:5], v[4:5], v[10:11], v[22:23]
	v_fma_f64 v[2:3], v[2:3], v[10:11], -v[12:13]
	s_delay_alu instid0(VALU_DEP_4) | instskip(NEXT) | instid1(VALU_DEP_4)
	v_add_f64_e32 v[6:7], v[8:9], v[6:7]
	v_add_f64_e32 v[8:9], v[14:15], v[16:17]
	s_delay_alu instid0(VALU_DEP_2) | instskip(NEXT) | instid1(VALU_DEP_2)
	v_add_f64_e32 v[2:3], v[6:7], v[2:3]
	v_add_f64_e32 v[4:5], v[8:9], v[4:5]
	s_delay_alu instid0(VALU_DEP_2) | instskip(NEXT) | instid1(VALU_DEP_2)
	v_add_f64_e64 v[2:3], v[42:43], -v[2:3]
	v_add_f64_e64 v[4:5], v[44:45], -v[4:5]
	scratch_store_b128 off, v[2:5], off offset:80
	v_cmpx_lt_u32_e32 3, v0
	s_cbranch_execz .LBB121_355
; %bb.354:
	scratch_load_b128 v[5:8], off, s10
	v_dual_mov_b32 v2, v1 :: v_dual_mov_b32 v3, v1
	v_mov_b32_e32 v4, v1
	scratch_store_b128 off, v[1:4], off offset:64
	s_wait_loadcnt 0x0
	ds_store_b128 v162, v[5:8]
.LBB121_355:
	s_wait_alu 0xfffe
	s_or_b32 exec_lo, exec_lo, s0
	s_wait_storecnt_dscnt 0x0
	s_barrier_signal -1
	s_barrier_wait -1
	global_inv scope:SCOPE_SE
	s_clause 0x8
	scratch_load_b128 v[2:5], off, off offset:80
	scratch_load_b128 v[6:9], off, off offset:96
	;; [unrolled: 1-line block ×9, first 2 shown]
	ds_load_b128 v[42:45], v1 offset:992
	ds_load_b128 v[38:41], v1 offset:1008
	s_clause 0x1
	scratch_load_b128 v[163:166], off, off offset:64
	scratch_load_b128 v[167:170], off, off offset:224
	s_mov_b32 s0, exec_lo
	s_wait_loadcnt_dscnt 0xa01
	v_mul_f64_e32 v[171:172], v[44:45], v[4:5]
	v_mul_f64_e32 v[4:5], v[42:43], v[4:5]
	s_wait_loadcnt_dscnt 0x900
	v_mul_f64_e32 v[175:176], v[38:39], v[8:9]
	v_mul_f64_e32 v[8:9], v[40:41], v[8:9]
	s_delay_alu instid0(VALU_DEP_4) | instskip(NEXT) | instid1(VALU_DEP_4)
	v_fma_f64 v[177:178], v[42:43], v[2:3], -v[171:172]
	v_fma_f64 v[179:180], v[44:45], v[2:3], v[4:5]
	ds_load_b128 v[2:5], v1 offset:1024
	ds_load_b128 v[171:174], v1 offset:1040
	scratch_load_b128 v[42:45], off, off offset:240
	v_fma_f64 v[40:41], v[40:41], v[6:7], v[175:176]
	v_fma_f64 v[38:39], v[38:39], v[6:7], -v[8:9]
	scratch_load_b128 v[6:9], off, off offset:256
	s_wait_loadcnt_dscnt 0xa01
	v_mul_f64_e32 v[181:182], v[2:3], v[12:13]
	v_mul_f64_e32 v[12:13], v[4:5], v[12:13]
	v_add_f64_e32 v[175:176], 0, v[177:178]
	v_add_f64_e32 v[177:178], 0, v[179:180]
	s_wait_loadcnt_dscnt 0x900
	v_mul_f64_e32 v[179:180], v[171:172], v[16:17]
	v_mul_f64_e32 v[16:17], v[173:174], v[16:17]
	v_fma_f64 v[181:182], v[4:5], v[10:11], v[181:182]
	v_fma_f64 v[183:184], v[2:3], v[10:11], -v[12:13]
	ds_load_b128 v[2:5], v1 offset:1056
	scratch_load_b128 v[10:13], off, off offset:272
	v_add_f64_e32 v[175:176], v[175:176], v[38:39]
	v_add_f64_e32 v[177:178], v[177:178], v[40:41]
	ds_load_b128 v[38:41], v1 offset:1072
	v_fma_f64 v[173:174], v[173:174], v[14:15], v[179:180]
	v_fma_f64 v[171:172], v[171:172], v[14:15], -v[16:17]
	scratch_load_b128 v[14:17], off, off offset:288
	s_wait_loadcnt_dscnt 0xa01
	v_mul_f64_e32 v[185:186], v[2:3], v[20:21]
	v_mul_f64_e32 v[20:21], v[4:5], v[20:21]
	s_wait_loadcnt_dscnt 0x900
	v_mul_f64_e32 v[179:180], v[38:39], v[24:25]
	v_mul_f64_e32 v[24:25], v[40:41], v[24:25]
	v_add_f64_e32 v[175:176], v[175:176], v[183:184]
	v_add_f64_e32 v[177:178], v[177:178], v[181:182]
	v_fma_f64 v[181:182], v[4:5], v[18:19], v[185:186]
	v_fma_f64 v[183:184], v[2:3], v[18:19], -v[20:21]
	ds_load_b128 v[2:5], v1 offset:1088
	scratch_load_b128 v[18:21], off, off offset:304
	v_fma_f64 v[40:41], v[40:41], v[22:23], v[179:180]
	v_fma_f64 v[38:39], v[38:39], v[22:23], -v[24:25]
	scratch_load_b128 v[22:25], off, off offset:320
	v_add_f64_e32 v[175:176], v[175:176], v[171:172]
	v_add_f64_e32 v[177:178], v[177:178], v[173:174]
	ds_load_b128 v[171:174], v1 offset:1104
	s_wait_loadcnt_dscnt 0xa01
	v_mul_f64_e32 v[185:186], v[2:3], v[28:29]
	v_mul_f64_e32 v[28:29], v[4:5], v[28:29]
	s_wait_loadcnt_dscnt 0x900
	v_mul_f64_e32 v[179:180], v[171:172], v[32:33]
	v_mul_f64_e32 v[32:33], v[173:174], v[32:33]
	v_add_f64_e32 v[175:176], v[175:176], v[183:184]
	v_add_f64_e32 v[177:178], v[177:178], v[181:182]
	v_fma_f64 v[181:182], v[4:5], v[26:27], v[185:186]
	v_fma_f64 v[183:184], v[2:3], v[26:27], -v[28:29]
	ds_load_b128 v[2:5], v1 offset:1120
	scratch_load_b128 v[26:29], off, off offset:336
	v_fma_f64 v[173:174], v[173:174], v[30:31], v[179:180]
	v_fma_f64 v[171:172], v[171:172], v[30:31], -v[32:33]
	scratch_load_b128 v[30:33], off, off offset:352
	v_add_f64_e32 v[175:176], v[175:176], v[38:39]
	v_add_f64_e32 v[177:178], v[177:178], v[40:41]
	ds_load_b128 v[38:41], v1 offset:1136
	s_wait_loadcnt_dscnt 0xa01
	v_mul_f64_e32 v[185:186], v[2:3], v[36:37]
	v_mul_f64_e32 v[36:37], v[4:5], v[36:37]
	s_wait_loadcnt_dscnt 0x800
	v_mul_f64_e32 v[179:180], v[38:39], v[169:170]
	v_add_f64_e32 v[175:176], v[175:176], v[183:184]
	v_add_f64_e32 v[177:178], v[177:178], v[181:182]
	v_mul_f64_e32 v[181:182], v[40:41], v[169:170]
	v_fma_f64 v[183:184], v[4:5], v[34:35], v[185:186]
	v_fma_f64 v[185:186], v[2:3], v[34:35], -v[36:37]
	ds_load_b128 v[2:5], v1 offset:1152
	scratch_load_b128 v[34:37], off, off offset:368
	v_fma_f64 v[179:180], v[40:41], v[167:168], v[179:180]
	v_add_f64_e32 v[175:176], v[175:176], v[171:172]
	v_add_f64_e32 v[173:174], v[177:178], v[173:174]
	ds_load_b128 v[169:172], v1 offset:1168
	v_fma_f64 v[167:168], v[38:39], v[167:168], -v[181:182]
	scratch_load_b128 v[38:41], off, off offset:384
	s_wait_loadcnt_dscnt 0x901
	v_mul_f64_e32 v[177:178], v[2:3], v[44:45]
	v_mul_f64_e32 v[44:45], v[4:5], v[44:45]
	s_wait_loadcnt_dscnt 0x800
	v_mul_f64_e32 v[181:182], v[169:170], v[8:9]
	v_mul_f64_e32 v[8:9], v[171:172], v[8:9]
	v_add_f64_e32 v[175:176], v[175:176], v[185:186]
	v_add_f64_e32 v[173:174], v[173:174], v[183:184]
	v_fma_f64 v[177:178], v[4:5], v[42:43], v[177:178]
	v_fma_f64 v[183:184], v[2:3], v[42:43], -v[44:45]
	ds_load_b128 v[2:5], v1 offset:1184
	scratch_load_b128 v[42:45], off, off offset:400
	v_fma_f64 v[171:172], v[171:172], v[6:7], v[181:182]
	v_fma_f64 v[169:170], v[169:170], v[6:7], -v[8:9]
	scratch_load_b128 v[6:9], off, off offset:416
	v_add_f64_e32 v[167:168], v[175:176], v[167:168]
	v_add_f64_e32 v[179:180], v[173:174], v[179:180]
	ds_load_b128 v[173:176], v1 offset:1200
	s_wait_loadcnt_dscnt 0x901
	v_mul_f64_e32 v[185:186], v[2:3], v[12:13]
	v_mul_f64_e32 v[12:13], v[4:5], v[12:13]
	v_add_f64_e32 v[167:168], v[167:168], v[183:184]
	v_add_f64_e32 v[177:178], v[179:180], v[177:178]
	s_wait_loadcnt_dscnt 0x800
	v_mul_f64_e32 v[179:180], v[173:174], v[16:17]
	v_mul_f64_e32 v[16:17], v[175:176], v[16:17]
	v_fma_f64 v[181:182], v[4:5], v[10:11], v[185:186]
	v_fma_f64 v[183:184], v[2:3], v[10:11], -v[12:13]
	ds_load_b128 v[2:5], v1 offset:1216
	scratch_load_b128 v[10:13], off, off offset:432
	v_add_f64_e32 v[185:186], v[167:168], v[169:170]
	v_add_f64_e32 v[171:172], v[177:178], v[171:172]
	ds_load_b128 v[167:170], v1 offset:1232
	s_wait_loadcnt_dscnt 0x801
	v_mul_f64_e32 v[177:178], v[2:3], v[20:21]
	v_mul_f64_e32 v[20:21], v[4:5], v[20:21]
	v_fma_f64 v[175:176], v[175:176], v[14:15], v[179:180]
	v_fma_f64 v[173:174], v[173:174], v[14:15], -v[16:17]
	scratch_load_b128 v[14:17], off, off offset:448
	v_add_f64_e32 v[179:180], v[185:186], v[183:184]
	v_add_f64_e32 v[171:172], v[171:172], v[181:182]
	s_wait_loadcnt_dscnt 0x800
	v_mul_f64_e32 v[181:182], v[167:168], v[24:25]
	v_mul_f64_e32 v[24:25], v[169:170], v[24:25]
	v_fma_f64 v[177:178], v[4:5], v[18:19], v[177:178]
	v_fma_f64 v[183:184], v[2:3], v[18:19], -v[20:21]
	ds_load_b128 v[2:5], v1 offset:1248
	scratch_load_b128 v[18:21], off, off offset:464
	v_add_f64_e32 v[179:180], v[179:180], v[173:174]
	v_add_f64_e32 v[175:176], v[171:172], v[175:176]
	ds_load_b128 v[171:174], v1 offset:1264
	s_wait_loadcnt_dscnt 0x801
	v_mul_f64_e32 v[185:186], v[2:3], v[28:29]
	v_mul_f64_e32 v[28:29], v[4:5], v[28:29]
	v_fma_f64 v[169:170], v[169:170], v[22:23], v[181:182]
	v_fma_f64 v[167:168], v[167:168], v[22:23], -v[24:25]
	scratch_load_b128 v[22:25], off, off offset:480
	v_add_f64_e32 v[179:180], v[179:180], v[183:184]
	v_add_f64_e32 v[175:176], v[175:176], v[177:178]
	s_wait_loadcnt_dscnt 0x800
	v_mul_f64_e32 v[177:178], v[171:172], v[32:33]
	v_mul_f64_e32 v[32:33], v[173:174], v[32:33]
	v_fma_f64 v[181:182], v[4:5], v[26:27], v[185:186]
	v_fma_f64 v[183:184], v[2:3], v[26:27], -v[28:29]
	ds_load_b128 v[2:5], v1 offset:1280
	scratch_load_b128 v[26:29], off, off offset:496
	v_add_f64_e32 v[179:180], v[179:180], v[167:168]
	v_add_f64_e32 v[175:176], v[175:176], v[169:170]
	ds_load_b128 v[167:170], v1 offset:1296
	s_wait_loadcnt_dscnt 0x801
	v_mul_f64_e32 v[185:186], v[2:3], v[36:37]
	v_mul_f64_e32 v[36:37], v[4:5], v[36:37]
	v_fma_f64 v[173:174], v[173:174], v[30:31], v[177:178]
	v_fma_f64 v[171:172], v[171:172], v[30:31], -v[32:33]
	scratch_load_b128 v[30:33], off, off offset:512
	v_add_f64_e32 v[177:178], v[179:180], v[183:184]
	v_add_f64_e32 v[175:176], v[175:176], v[181:182]
	s_wait_loadcnt_dscnt 0x800
	v_mul_f64_e32 v[179:180], v[167:168], v[40:41]
	v_mul_f64_e32 v[40:41], v[169:170], v[40:41]
	v_fma_f64 v[181:182], v[4:5], v[34:35], v[185:186]
	v_fma_f64 v[183:184], v[2:3], v[34:35], -v[36:37]
	ds_load_b128 v[2:5], v1 offset:1312
	scratch_load_b128 v[34:37], off, off offset:528
	v_add_f64_e32 v[177:178], v[177:178], v[171:172]
	v_add_f64_e32 v[175:176], v[175:176], v[173:174]
	ds_load_b128 v[171:174], v1 offset:1328
	s_wait_loadcnt_dscnt 0x801
	v_mul_f64_e32 v[185:186], v[2:3], v[44:45]
	v_mul_f64_e32 v[44:45], v[4:5], v[44:45]
	v_fma_f64 v[169:170], v[169:170], v[38:39], v[179:180]
	v_fma_f64 v[167:168], v[167:168], v[38:39], -v[40:41]
	scratch_load_b128 v[38:41], off, off offset:544
	s_wait_loadcnt_dscnt 0x800
	v_mul_f64_e32 v[179:180], v[171:172], v[8:9]
	v_mul_f64_e32 v[8:9], v[173:174], v[8:9]
	v_add_f64_e32 v[177:178], v[177:178], v[183:184]
	v_add_f64_e32 v[175:176], v[175:176], v[181:182]
	v_fma_f64 v[181:182], v[4:5], v[42:43], v[185:186]
	v_fma_f64 v[183:184], v[2:3], v[42:43], -v[44:45]
	ds_load_b128 v[2:5], v1 offset:1344
	scratch_load_b128 v[42:45], off, off offset:560
	v_fma_f64 v[173:174], v[173:174], v[6:7], v[179:180]
	v_fma_f64 v[171:172], v[171:172], v[6:7], -v[8:9]
	scratch_load_b128 v[6:9], off, off offset:576
	v_add_f64_e32 v[177:178], v[177:178], v[167:168]
	v_add_f64_e32 v[175:176], v[175:176], v[169:170]
	ds_load_b128 v[167:170], v1 offset:1360
	s_wait_loadcnt_dscnt 0x901
	v_mul_f64_e32 v[185:186], v[2:3], v[12:13]
	v_mul_f64_e32 v[12:13], v[4:5], v[12:13]
	s_wait_loadcnt_dscnt 0x800
	v_mul_f64_e32 v[179:180], v[167:168], v[16:17]
	v_mul_f64_e32 v[16:17], v[169:170], v[16:17]
	v_add_f64_e32 v[177:178], v[177:178], v[183:184]
	v_add_f64_e32 v[175:176], v[175:176], v[181:182]
	v_fma_f64 v[181:182], v[4:5], v[10:11], v[185:186]
	v_fma_f64 v[183:184], v[2:3], v[10:11], -v[12:13]
	ds_load_b128 v[2:5], v1 offset:1376
	scratch_load_b128 v[10:13], off, off offset:592
	v_fma_f64 v[169:170], v[169:170], v[14:15], v[179:180]
	v_fma_f64 v[167:168], v[167:168], v[14:15], -v[16:17]
	scratch_load_b128 v[14:17], off, off offset:608
	v_add_f64_e32 v[177:178], v[177:178], v[171:172]
	v_add_f64_e32 v[175:176], v[175:176], v[173:174]
	ds_load_b128 v[171:174], v1 offset:1392
	s_wait_loadcnt_dscnt 0x901
	v_mul_f64_e32 v[185:186], v[2:3], v[20:21]
	v_mul_f64_e32 v[20:21], v[4:5], v[20:21]
	;; [unrolled: 18-line block ×12, first 2 shown]
	s_wait_loadcnt_dscnt 0x800
	v_mul_f64_e32 v[179:180], v[171:172], v[24:25]
	v_mul_f64_e32 v[24:25], v[173:174], v[24:25]
	v_add_f64_e32 v[177:178], v[177:178], v[183:184]
	v_add_f64_e32 v[175:176], v[175:176], v[181:182]
	v_fma_f64 v[181:182], v[4:5], v[18:19], v[185:186]
	v_fma_f64 v[183:184], v[2:3], v[18:19], -v[20:21]
	ds_load_b128 v[2:5], v1 offset:1728
	ds_load_b128 v[18:21], v1 offset:1744
	v_fma_f64 v[173:174], v[173:174], v[22:23], v[179:180]
	v_fma_f64 v[22:23], v[171:172], v[22:23], -v[24:25]
	v_add_f64_e32 v[167:168], v[177:178], v[167:168]
	v_add_f64_e32 v[169:170], v[175:176], v[169:170]
	s_wait_loadcnt_dscnt 0x701
	v_mul_f64_e32 v[175:176], v[2:3], v[28:29]
	v_mul_f64_e32 v[28:29], v[4:5], v[28:29]
	s_delay_alu instid0(VALU_DEP_4) | instskip(NEXT) | instid1(VALU_DEP_4)
	v_add_f64_e32 v[24:25], v[167:168], v[183:184]
	v_add_f64_e32 v[167:168], v[169:170], v[181:182]
	s_wait_loadcnt_dscnt 0x600
	v_mul_f64_e32 v[169:170], v[18:19], v[32:33]
	v_mul_f64_e32 v[32:33], v[20:21], v[32:33]
	v_fma_f64 v[171:172], v[4:5], v[26:27], v[175:176]
	v_fma_f64 v[26:27], v[2:3], v[26:27], -v[28:29]
	v_add_f64_e32 v[28:29], v[24:25], v[22:23]
	v_add_f64_e32 v[167:168], v[167:168], v[173:174]
	ds_load_b128 v[2:5], v1 offset:1760
	ds_load_b128 v[22:25], v1 offset:1776
	v_fma_f64 v[20:21], v[20:21], v[30:31], v[169:170]
	v_fma_f64 v[18:19], v[18:19], v[30:31], -v[32:33]
	s_wait_loadcnt_dscnt 0x501
	v_mul_f64_e32 v[173:174], v[2:3], v[36:37]
	v_mul_f64_e32 v[36:37], v[4:5], v[36:37]
	s_wait_loadcnt_dscnt 0x400
	v_mul_f64_e32 v[30:31], v[22:23], v[40:41]
	v_mul_f64_e32 v[32:33], v[24:25], v[40:41]
	v_add_f64_e32 v[26:27], v[28:29], v[26:27]
	v_add_f64_e32 v[28:29], v[167:168], v[171:172]
	v_fma_f64 v[40:41], v[4:5], v[34:35], v[173:174]
	v_fma_f64 v[34:35], v[2:3], v[34:35], -v[36:37]
	v_fma_f64 v[24:25], v[24:25], v[38:39], v[30:31]
	v_fma_f64 v[22:23], v[22:23], v[38:39], -v[32:33]
	v_add_f64_e32 v[26:27], v[26:27], v[18:19]
	v_add_f64_e32 v[28:29], v[28:29], v[20:21]
	ds_load_b128 v[2:5], v1 offset:1792
	ds_load_b128 v[18:21], v1 offset:1808
	s_wait_loadcnt_dscnt 0x301
	v_mul_f64_e32 v[36:37], v[2:3], v[44:45]
	v_mul_f64_e32 v[44:45], v[4:5], v[44:45]
	s_wait_loadcnt_dscnt 0x200
	v_mul_f64_e32 v[30:31], v[18:19], v[8:9]
	v_mul_f64_e32 v[8:9], v[20:21], v[8:9]
	v_add_f64_e32 v[26:27], v[26:27], v[34:35]
	v_add_f64_e32 v[28:29], v[28:29], v[40:41]
	v_fma_f64 v[32:33], v[4:5], v[42:43], v[36:37]
	v_fma_f64 v[34:35], v[2:3], v[42:43], -v[44:45]
	v_fma_f64 v[20:21], v[20:21], v[6:7], v[30:31]
	v_fma_f64 v[6:7], v[18:19], v[6:7], -v[8:9]
	v_add_f64_e32 v[26:27], v[26:27], v[22:23]
	v_add_f64_e32 v[28:29], v[28:29], v[24:25]
	ds_load_b128 v[2:5], v1 offset:1824
	ds_load_b128 v[22:25], v1 offset:1840
	s_wait_loadcnt_dscnt 0x101
	v_mul_f64_e32 v[36:37], v[2:3], v[12:13]
	v_mul_f64_e32 v[12:13], v[4:5], v[12:13]
	v_add_f64_e32 v[8:9], v[26:27], v[34:35]
	v_add_f64_e32 v[18:19], v[28:29], v[32:33]
	s_wait_loadcnt_dscnt 0x0
	v_mul_f64_e32 v[26:27], v[22:23], v[16:17]
	v_mul_f64_e32 v[16:17], v[24:25], v[16:17]
	v_fma_f64 v[4:5], v[4:5], v[10:11], v[36:37]
	v_fma_f64 v[1:2], v[2:3], v[10:11], -v[12:13]
	v_add_f64_e32 v[6:7], v[8:9], v[6:7]
	v_add_f64_e32 v[8:9], v[18:19], v[20:21]
	v_fma_f64 v[10:11], v[24:25], v[14:15], v[26:27]
	v_fma_f64 v[12:13], v[22:23], v[14:15], -v[16:17]
	s_delay_alu instid0(VALU_DEP_4) | instskip(NEXT) | instid1(VALU_DEP_4)
	v_add_f64_e32 v[1:2], v[6:7], v[1:2]
	v_add_f64_e32 v[3:4], v[8:9], v[4:5]
	s_delay_alu instid0(VALU_DEP_2) | instskip(NEXT) | instid1(VALU_DEP_2)
	v_add_f64_e32 v[1:2], v[1:2], v[12:13]
	v_add_f64_e32 v[3:4], v[3:4], v[10:11]
	s_delay_alu instid0(VALU_DEP_2) | instskip(NEXT) | instid1(VALU_DEP_2)
	v_add_f64_e64 v[1:2], v[163:164], -v[1:2]
	v_add_f64_e64 v[3:4], v[165:166], -v[3:4]
	scratch_store_b128 off, v[1:4], off offset:64
	v_cmpx_lt_u32_e32 2, v0
	s_cbranch_execz .LBB121_357
; %bb.356:
	scratch_load_b128 v[1:4], off, s13
	v_mov_b32_e32 v5, 0
	s_delay_alu instid0(VALU_DEP_1)
	v_dual_mov_b32 v6, v5 :: v_dual_mov_b32 v7, v5
	v_mov_b32_e32 v8, v5
	scratch_store_b128 off, v[5:8], off offset:48
	s_wait_loadcnt 0x0
	ds_store_b128 v162, v[1:4]
.LBB121_357:
	s_wait_alu 0xfffe
	s_or_b32 exec_lo, exec_lo, s0
	s_wait_storecnt_dscnt 0x0
	s_barrier_signal -1
	s_barrier_wait -1
	global_inv scope:SCOPE_SE
	s_clause 0x7
	scratch_load_b128 v[2:5], off, off offset:64
	scratch_load_b128 v[6:9], off, off offset:80
	;; [unrolled: 1-line block ×8, first 2 shown]
	v_mov_b32_e32 v1, 0
	s_mov_b32 s0, exec_lo
	ds_load_b128 v[38:41], v1 offset:976
	s_clause 0x1
	scratch_load_b128 v[34:37], off, off offset:192
	scratch_load_b128 v[42:45], off, off offset:48
	ds_load_b128 v[163:166], v1 offset:992
	scratch_load_b128 v[167:170], off, off offset:208
	s_wait_loadcnt_dscnt 0xa01
	v_mul_f64_e32 v[171:172], v[40:41], v[4:5]
	v_mul_f64_e32 v[4:5], v[38:39], v[4:5]
	s_delay_alu instid0(VALU_DEP_2) | instskip(NEXT) | instid1(VALU_DEP_2)
	v_fma_f64 v[177:178], v[38:39], v[2:3], -v[171:172]
	v_fma_f64 v[179:180], v[40:41], v[2:3], v[4:5]
	ds_load_b128 v[2:5], v1 offset:1008
	s_wait_loadcnt_dscnt 0x901
	v_mul_f64_e32 v[175:176], v[163:164], v[8:9]
	v_mul_f64_e32 v[8:9], v[165:166], v[8:9]
	scratch_load_b128 v[38:41], off, off offset:224
	ds_load_b128 v[171:174], v1 offset:1024
	s_wait_loadcnt_dscnt 0x901
	v_mul_f64_e32 v[181:182], v[2:3], v[12:13]
	v_mul_f64_e32 v[12:13], v[4:5], v[12:13]
	v_fma_f64 v[165:166], v[165:166], v[6:7], v[175:176]
	v_fma_f64 v[163:164], v[163:164], v[6:7], -v[8:9]
	v_add_f64_e32 v[175:176], 0, v[177:178]
	v_add_f64_e32 v[177:178], 0, v[179:180]
	scratch_load_b128 v[6:9], off, off offset:240
	v_fma_f64 v[181:182], v[4:5], v[10:11], v[181:182]
	v_fma_f64 v[183:184], v[2:3], v[10:11], -v[12:13]
	ds_load_b128 v[2:5], v1 offset:1040
	s_wait_loadcnt_dscnt 0x901
	v_mul_f64_e32 v[179:180], v[171:172], v[16:17]
	v_mul_f64_e32 v[16:17], v[173:174], v[16:17]
	scratch_load_b128 v[10:13], off, off offset:256
	v_add_f64_e32 v[175:176], v[175:176], v[163:164]
	v_add_f64_e32 v[177:178], v[177:178], v[165:166]
	s_wait_loadcnt_dscnt 0x900
	v_mul_f64_e32 v[185:186], v[2:3], v[20:21]
	v_mul_f64_e32 v[20:21], v[4:5], v[20:21]
	ds_load_b128 v[163:166], v1 offset:1056
	v_fma_f64 v[173:174], v[173:174], v[14:15], v[179:180]
	v_fma_f64 v[171:172], v[171:172], v[14:15], -v[16:17]
	scratch_load_b128 v[14:17], off, off offset:272
	v_add_f64_e32 v[175:176], v[175:176], v[183:184]
	v_add_f64_e32 v[177:178], v[177:178], v[181:182]
	v_fma_f64 v[181:182], v[4:5], v[18:19], v[185:186]
	v_fma_f64 v[183:184], v[2:3], v[18:19], -v[20:21]
	ds_load_b128 v[2:5], v1 offset:1072
	s_wait_loadcnt_dscnt 0x901
	v_mul_f64_e32 v[179:180], v[163:164], v[24:25]
	v_mul_f64_e32 v[24:25], v[165:166], v[24:25]
	scratch_load_b128 v[18:21], off, off offset:288
	s_wait_loadcnt_dscnt 0x900
	v_mul_f64_e32 v[185:186], v[2:3], v[28:29]
	v_mul_f64_e32 v[28:29], v[4:5], v[28:29]
	v_add_f64_e32 v[175:176], v[175:176], v[171:172]
	v_add_f64_e32 v[177:178], v[177:178], v[173:174]
	ds_load_b128 v[171:174], v1 offset:1088
	v_fma_f64 v[165:166], v[165:166], v[22:23], v[179:180]
	v_fma_f64 v[163:164], v[163:164], v[22:23], -v[24:25]
	scratch_load_b128 v[22:25], off, off offset:304
	v_add_f64_e32 v[175:176], v[175:176], v[183:184]
	v_add_f64_e32 v[177:178], v[177:178], v[181:182]
	v_fma_f64 v[181:182], v[4:5], v[26:27], v[185:186]
	v_fma_f64 v[183:184], v[2:3], v[26:27], -v[28:29]
	ds_load_b128 v[2:5], v1 offset:1104
	s_wait_loadcnt_dscnt 0x901
	v_mul_f64_e32 v[179:180], v[171:172], v[32:33]
	v_mul_f64_e32 v[32:33], v[173:174], v[32:33]
	scratch_load_b128 v[26:29], off, off offset:320
	s_wait_loadcnt_dscnt 0x900
	v_mul_f64_e32 v[185:186], v[2:3], v[36:37]
	v_mul_f64_e32 v[36:37], v[4:5], v[36:37]
	v_add_f64_e32 v[175:176], v[175:176], v[163:164]
	v_add_f64_e32 v[177:178], v[177:178], v[165:166]
	ds_load_b128 v[163:166], v1 offset:1120
	v_fma_f64 v[173:174], v[173:174], v[30:31], v[179:180]
	v_fma_f64 v[171:172], v[171:172], v[30:31], -v[32:33]
	scratch_load_b128 v[30:33], off, off offset:336
	v_add_f64_e32 v[175:176], v[175:176], v[183:184]
	v_add_f64_e32 v[177:178], v[177:178], v[181:182]
	v_fma_f64 v[183:184], v[4:5], v[34:35], v[185:186]
	v_fma_f64 v[185:186], v[2:3], v[34:35], -v[36:37]
	ds_load_b128 v[2:5], v1 offset:1136
	s_wait_loadcnt_dscnt 0x801
	v_mul_f64_e32 v[179:180], v[163:164], v[169:170]
	v_mul_f64_e32 v[181:182], v[165:166], v[169:170]
	scratch_load_b128 v[34:37], off, off offset:352
	v_add_f64_e32 v[175:176], v[175:176], v[171:172]
	v_add_f64_e32 v[173:174], v[177:178], v[173:174]
	ds_load_b128 v[169:172], v1 offset:1152
	v_fma_f64 v[179:180], v[165:166], v[167:168], v[179:180]
	v_fma_f64 v[167:168], v[163:164], v[167:168], -v[181:182]
	scratch_load_b128 v[163:166], off, off offset:368
	s_wait_loadcnt_dscnt 0x901
	v_mul_f64_e32 v[177:178], v[2:3], v[40:41]
	v_mul_f64_e32 v[40:41], v[4:5], v[40:41]
	v_add_f64_e32 v[175:176], v[175:176], v[185:186]
	v_add_f64_e32 v[173:174], v[173:174], v[183:184]
	s_delay_alu instid0(VALU_DEP_4) | instskip(NEXT) | instid1(VALU_DEP_4)
	v_fma_f64 v[177:178], v[4:5], v[38:39], v[177:178]
	v_fma_f64 v[183:184], v[2:3], v[38:39], -v[40:41]
	ds_load_b128 v[2:5], v1 offset:1168
	s_wait_loadcnt_dscnt 0x801
	v_mul_f64_e32 v[181:182], v[169:170], v[8:9]
	v_mul_f64_e32 v[8:9], v[171:172], v[8:9]
	scratch_load_b128 v[38:41], off, off offset:384
	s_wait_loadcnt_dscnt 0x800
	v_mul_f64_e32 v[185:186], v[2:3], v[12:13]
	v_add_f64_e32 v[167:168], v[175:176], v[167:168]
	v_add_f64_e32 v[179:180], v[173:174], v[179:180]
	v_mul_f64_e32 v[12:13], v[4:5], v[12:13]
	ds_load_b128 v[173:176], v1 offset:1184
	v_fma_f64 v[171:172], v[171:172], v[6:7], v[181:182]
	v_fma_f64 v[169:170], v[169:170], v[6:7], -v[8:9]
	scratch_load_b128 v[6:9], off, off offset:400
	v_fma_f64 v[181:182], v[4:5], v[10:11], v[185:186]
	v_add_f64_e32 v[167:168], v[167:168], v[183:184]
	v_add_f64_e32 v[177:178], v[179:180], v[177:178]
	v_fma_f64 v[183:184], v[2:3], v[10:11], -v[12:13]
	ds_load_b128 v[2:5], v1 offset:1200
	s_wait_loadcnt_dscnt 0x801
	v_mul_f64_e32 v[179:180], v[173:174], v[16:17]
	v_mul_f64_e32 v[16:17], v[175:176], v[16:17]
	scratch_load_b128 v[10:13], off, off offset:416
	v_add_f64_e32 v[185:186], v[167:168], v[169:170]
	v_add_f64_e32 v[171:172], v[177:178], v[171:172]
	s_wait_loadcnt_dscnt 0x800
	v_mul_f64_e32 v[177:178], v[2:3], v[20:21]
	v_mul_f64_e32 v[20:21], v[4:5], v[20:21]
	v_fma_f64 v[175:176], v[175:176], v[14:15], v[179:180]
	v_fma_f64 v[173:174], v[173:174], v[14:15], -v[16:17]
	ds_load_b128 v[167:170], v1 offset:1216
	scratch_load_b128 v[14:17], off, off offset:432
	v_add_f64_e32 v[179:180], v[185:186], v[183:184]
	v_add_f64_e32 v[171:172], v[171:172], v[181:182]
	v_fma_f64 v[177:178], v[4:5], v[18:19], v[177:178]
	v_fma_f64 v[183:184], v[2:3], v[18:19], -v[20:21]
	ds_load_b128 v[2:5], v1 offset:1232
	s_wait_loadcnt_dscnt 0x801
	v_mul_f64_e32 v[181:182], v[167:168], v[24:25]
	v_mul_f64_e32 v[24:25], v[169:170], v[24:25]
	scratch_load_b128 v[18:21], off, off offset:448
	s_wait_loadcnt_dscnt 0x800
	v_mul_f64_e32 v[185:186], v[2:3], v[28:29]
	v_mul_f64_e32 v[28:29], v[4:5], v[28:29]
	v_add_f64_e32 v[179:180], v[179:180], v[173:174]
	v_add_f64_e32 v[175:176], v[171:172], v[175:176]
	ds_load_b128 v[171:174], v1 offset:1248
	v_fma_f64 v[169:170], v[169:170], v[22:23], v[181:182]
	v_fma_f64 v[167:168], v[167:168], v[22:23], -v[24:25]
	scratch_load_b128 v[22:25], off, off offset:464
	v_fma_f64 v[181:182], v[4:5], v[26:27], v[185:186]
	v_add_f64_e32 v[179:180], v[179:180], v[183:184]
	v_add_f64_e32 v[175:176], v[175:176], v[177:178]
	v_fma_f64 v[183:184], v[2:3], v[26:27], -v[28:29]
	ds_load_b128 v[2:5], v1 offset:1264
	s_wait_loadcnt_dscnt 0x801
	v_mul_f64_e32 v[177:178], v[171:172], v[32:33]
	v_mul_f64_e32 v[32:33], v[173:174], v[32:33]
	scratch_load_b128 v[26:29], off, off offset:480
	s_wait_loadcnt_dscnt 0x800
	v_mul_f64_e32 v[185:186], v[2:3], v[36:37]
	v_mul_f64_e32 v[36:37], v[4:5], v[36:37]
	v_add_f64_e32 v[179:180], v[179:180], v[167:168]
	v_add_f64_e32 v[175:176], v[175:176], v[169:170]
	ds_load_b128 v[167:170], v1 offset:1280
	v_fma_f64 v[173:174], v[173:174], v[30:31], v[177:178]
	v_fma_f64 v[171:172], v[171:172], v[30:31], -v[32:33]
	scratch_load_b128 v[30:33], off, off offset:496
	v_add_f64_e32 v[177:178], v[179:180], v[183:184]
	v_add_f64_e32 v[175:176], v[175:176], v[181:182]
	v_fma_f64 v[181:182], v[4:5], v[34:35], v[185:186]
	v_fma_f64 v[183:184], v[2:3], v[34:35], -v[36:37]
	ds_load_b128 v[2:5], v1 offset:1296
	s_wait_loadcnt_dscnt 0x801
	v_mul_f64_e32 v[179:180], v[167:168], v[165:166]
	v_mul_f64_e32 v[165:166], v[169:170], v[165:166]
	scratch_load_b128 v[34:37], off, off offset:512
	s_wait_loadcnt_dscnt 0x800
	v_mul_f64_e32 v[185:186], v[2:3], v[40:41]
	v_mul_f64_e32 v[40:41], v[4:5], v[40:41]
	v_add_f64_e32 v[177:178], v[177:178], v[171:172]
	v_add_f64_e32 v[175:176], v[175:176], v[173:174]
	ds_load_b128 v[171:174], v1 offset:1312
	v_fma_f64 v[169:170], v[169:170], v[163:164], v[179:180]
	v_fma_f64 v[167:168], v[167:168], v[163:164], -v[165:166]
	scratch_load_b128 v[163:166], off, off offset:528
	v_add_f64_e32 v[177:178], v[177:178], v[183:184]
	v_add_f64_e32 v[175:176], v[175:176], v[181:182]
	v_fma_f64 v[181:182], v[4:5], v[38:39], v[185:186]
	;; [unrolled: 18-line block ×6, first 2 shown]
	v_fma_f64 v[185:186], v[2:3], v[34:35], -v[36:37]
	ds_load_b128 v[2:5], v1 offset:1456
	s_wait_loadcnt_dscnt 0x801
	v_mul_f64_e32 v[179:180], v[171:172], v[165:166]
	v_mul_f64_e32 v[181:182], v[173:174], v[165:166]
	scratch_load_b128 v[34:37], off, off offset:672
	v_add_f64_e32 v[177:178], v[177:178], v[167:168]
	v_add_f64_e32 v[169:170], v[175:176], v[169:170]
	s_wait_loadcnt_dscnt 0x800
	v_mul_f64_e32 v[175:176], v[2:3], v[40:41]
	v_mul_f64_e32 v[40:41], v[4:5], v[40:41]
	ds_load_b128 v[165:168], v1 offset:1472
	v_fma_f64 v[173:174], v[173:174], v[163:164], v[179:180]
	v_fma_f64 v[163:164], v[171:172], v[163:164], -v[181:182]
	v_add_f64_e32 v[177:178], v[177:178], v[185:186]
	v_add_f64_e32 v[179:180], v[169:170], v[183:184]
	scratch_load_b128 v[169:172], off, off offset:688
	v_fma_f64 v[183:184], v[4:5], v[38:39], v[175:176]
	v_fma_f64 v[185:186], v[2:3], v[38:39], -v[40:41]
	ds_load_b128 v[2:5], v1 offset:1488
	s_wait_loadcnt_dscnt 0x801
	v_mul_f64_e32 v[181:182], v[165:166], v[8:9]
	v_mul_f64_e32 v[8:9], v[167:168], v[8:9]
	scratch_load_b128 v[38:41], off, off offset:704
	v_add_f64_e32 v[163:164], v[177:178], v[163:164]
	v_add_f64_e32 v[177:178], v[179:180], v[173:174]
	s_wait_loadcnt_dscnt 0x800
	v_mul_f64_e32 v[179:180], v[2:3], v[12:13]
	v_mul_f64_e32 v[12:13], v[4:5], v[12:13]
	ds_load_b128 v[173:176], v1 offset:1504
	v_fma_f64 v[167:168], v[167:168], v[6:7], v[181:182]
	v_fma_f64 v[165:166], v[165:166], v[6:7], -v[8:9]
	scratch_load_b128 v[6:9], off, off offset:720
	v_add_f64_e32 v[163:164], v[163:164], v[185:186]
	v_add_f64_e32 v[177:178], v[177:178], v[183:184]
	v_fma_f64 v[179:180], v[4:5], v[10:11], v[179:180]
	v_fma_f64 v[183:184], v[2:3], v[10:11], -v[12:13]
	ds_load_b128 v[2:5], v1 offset:1520
	s_wait_loadcnt_dscnt 0x801
	v_mul_f64_e32 v[181:182], v[173:174], v[16:17]
	v_mul_f64_e32 v[16:17], v[175:176], v[16:17]
	scratch_load_b128 v[10:13], off, off offset:736
	v_add_f64_e32 v[185:186], v[163:164], v[165:166]
	v_add_f64_e32 v[167:168], v[177:178], v[167:168]
	s_wait_loadcnt_dscnt 0x800
	v_mul_f64_e32 v[177:178], v[2:3], v[20:21]
	v_mul_f64_e32 v[20:21], v[4:5], v[20:21]
	ds_load_b128 v[163:166], v1 offset:1536
	v_fma_f64 v[175:176], v[175:176], v[14:15], v[181:182]
	v_fma_f64 v[173:174], v[173:174], v[14:15], -v[16:17]
	scratch_load_b128 v[14:17], off, off offset:752
	v_add_f64_e32 v[181:182], v[185:186], v[183:184]
	v_add_f64_e32 v[167:168], v[167:168], v[179:180]
	v_fma_f64 v[177:178], v[4:5], v[18:19], v[177:178]
	v_fma_f64 v[183:184], v[2:3], v[18:19], -v[20:21]
	ds_load_b128 v[2:5], v1 offset:1552
	s_wait_loadcnt_dscnt 0x801
	v_mul_f64_e32 v[179:180], v[163:164], v[24:25]
	v_mul_f64_e32 v[24:25], v[165:166], v[24:25]
	scratch_load_b128 v[18:21], off, off offset:768
	s_wait_loadcnt_dscnt 0x800
	v_mul_f64_e32 v[185:186], v[2:3], v[28:29]
	v_mul_f64_e32 v[28:29], v[4:5], v[28:29]
	v_add_f64_e32 v[181:182], v[181:182], v[173:174]
	v_add_f64_e32 v[167:168], v[167:168], v[175:176]
	ds_load_b128 v[173:176], v1 offset:1568
	v_fma_f64 v[165:166], v[165:166], v[22:23], v[179:180]
	v_fma_f64 v[163:164], v[163:164], v[22:23], -v[24:25]
	scratch_load_b128 v[22:25], off, off offset:784
	v_add_f64_e32 v[179:180], v[181:182], v[183:184]
	v_add_f64_e32 v[167:168], v[167:168], v[177:178]
	v_fma_f64 v[181:182], v[4:5], v[26:27], v[185:186]
	v_fma_f64 v[183:184], v[2:3], v[26:27], -v[28:29]
	ds_load_b128 v[2:5], v1 offset:1584
	s_wait_loadcnt_dscnt 0x801
	v_mul_f64_e32 v[177:178], v[173:174], v[32:33]
	v_mul_f64_e32 v[32:33], v[175:176], v[32:33]
	scratch_load_b128 v[26:29], off, off offset:800
	s_wait_loadcnt_dscnt 0x800
	v_mul_f64_e32 v[185:186], v[2:3], v[36:37]
	v_mul_f64_e32 v[36:37], v[4:5], v[36:37]
	v_add_f64_e32 v[179:180], v[179:180], v[163:164]
	v_add_f64_e32 v[167:168], v[167:168], v[165:166]
	ds_load_b128 v[163:166], v1 offset:1600
	v_fma_f64 v[175:176], v[175:176], v[30:31], v[177:178]
	v_fma_f64 v[173:174], v[173:174], v[30:31], -v[32:33]
	scratch_load_b128 v[30:33], off, off offset:816
	v_add_f64_e32 v[177:178], v[179:180], v[183:184]
	v_add_f64_e32 v[167:168], v[167:168], v[181:182]
	v_fma_f64 v[183:184], v[4:5], v[34:35], v[185:186]
	v_fma_f64 v[185:186], v[2:3], v[34:35], -v[36:37]
	ds_load_b128 v[2:5], v1 offset:1616
	scratch_load_b128 v[34:37], off, off offset:832
	s_wait_loadcnt_dscnt 0x901
	v_mul_f64_e32 v[179:180], v[163:164], v[171:172]
	v_mul_f64_e32 v[181:182], v[165:166], v[171:172]
	v_add_f64_e32 v[177:178], v[177:178], v[173:174]
	v_add_f64_e32 v[167:168], v[167:168], v[175:176]
	s_wait_loadcnt_dscnt 0x800
	v_mul_f64_e32 v[175:176], v[2:3], v[40:41]
	v_mul_f64_e32 v[40:41], v[4:5], v[40:41]
	ds_load_b128 v[171:174], v1 offset:1632
	v_fma_f64 v[179:180], v[165:166], v[169:170], v[179:180]
	v_fma_f64 v[169:170], v[163:164], v[169:170], -v[181:182]
	scratch_load_b128 v[163:166], off, off offset:848
	v_add_f64_e32 v[177:178], v[177:178], v[185:186]
	v_add_f64_e32 v[167:168], v[167:168], v[183:184]
	v_fma_f64 v[175:176], v[4:5], v[38:39], v[175:176]
	v_fma_f64 v[183:184], v[2:3], v[38:39], -v[40:41]
	ds_load_b128 v[2:5], v1 offset:1648
	s_wait_loadcnt_dscnt 0x801
	v_mul_f64_e32 v[181:182], v[171:172], v[8:9]
	v_mul_f64_e32 v[8:9], v[173:174], v[8:9]
	scratch_load_b128 v[38:41], off, off offset:864
	s_wait_loadcnt_dscnt 0x800
	v_mul_f64_e32 v[185:186], v[2:3], v[12:13]
	v_mul_f64_e32 v[12:13], v[4:5], v[12:13]
	v_add_f64_e32 v[177:178], v[177:178], v[169:170]
	v_add_f64_e32 v[179:180], v[167:168], v[179:180]
	ds_load_b128 v[167:170], v1 offset:1664
	v_fma_f64 v[173:174], v[173:174], v[6:7], v[181:182]
	v_fma_f64 v[171:172], v[171:172], v[6:7], -v[8:9]
	scratch_load_b128 v[6:9], off, off offset:880
	v_fma_f64 v[181:182], v[4:5], v[10:11], v[185:186]
	v_add_f64_e32 v[177:178], v[177:178], v[183:184]
	v_add_f64_e32 v[175:176], v[179:180], v[175:176]
	v_fma_f64 v[183:184], v[2:3], v[10:11], -v[12:13]
	ds_load_b128 v[2:5], v1 offset:1680
	s_wait_loadcnt_dscnt 0x801
	v_mul_f64_e32 v[179:180], v[167:168], v[16:17]
	v_mul_f64_e32 v[16:17], v[169:170], v[16:17]
	scratch_load_b128 v[10:13], off, off offset:896
	s_wait_loadcnt_dscnt 0x800
	v_mul_f64_e32 v[185:186], v[2:3], v[20:21]
	v_mul_f64_e32 v[20:21], v[4:5], v[20:21]
	v_add_f64_e32 v[177:178], v[177:178], v[171:172]
	v_add_f64_e32 v[175:176], v[175:176], v[173:174]
	ds_load_b128 v[171:174], v1 offset:1696
	v_fma_f64 v[169:170], v[169:170], v[14:15], v[179:180]
	v_fma_f64 v[167:168], v[167:168], v[14:15], -v[16:17]
	scratch_load_b128 v[14:17], off, off offset:912
	v_add_f64_e32 v[177:178], v[177:178], v[183:184]
	v_add_f64_e32 v[175:176], v[175:176], v[181:182]
	v_fma_f64 v[181:182], v[4:5], v[18:19], v[185:186]
	v_fma_f64 v[183:184], v[2:3], v[18:19], -v[20:21]
	ds_load_b128 v[2:5], v1 offset:1712
	s_wait_loadcnt_dscnt 0x801
	v_mul_f64_e32 v[179:180], v[171:172], v[24:25]
	v_mul_f64_e32 v[24:25], v[173:174], v[24:25]
	scratch_load_b128 v[18:21], off, off offset:928
	s_wait_loadcnt_dscnt 0x800
	v_mul_f64_e32 v[185:186], v[2:3], v[28:29]
	v_mul_f64_e32 v[28:29], v[4:5], v[28:29]
	v_add_f64_e32 v[177:178], v[177:178], v[167:168]
	v_add_f64_e32 v[175:176], v[175:176], v[169:170]
	ds_load_b128 v[167:170], v1 offset:1728
	v_fma_f64 v[173:174], v[173:174], v[22:23], v[179:180]
	v_fma_f64 v[22:23], v[171:172], v[22:23], -v[24:25]
	v_add_f64_e32 v[24:25], v[177:178], v[183:184]
	v_add_f64_e32 v[171:172], v[175:176], v[181:182]
	s_wait_loadcnt_dscnt 0x700
	v_mul_f64_e32 v[175:176], v[167:168], v[32:33]
	v_mul_f64_e32 v[32:33], v[169:170], v[32:33]
	v_fma_f64 v[177:178], v[4:5], v[26:27], v[185:186]
	v_fma_f64 v[26:27], v[2:3], v[26:27], -v[28:29]
	v_add_f64_e32 v[28:29], v[24:25], v[22:23]
	v_add_f64_e32 v[171:172], v[171:172], v[173:174]
	ds_load_b128 v[2:5], v1 offset:1744
	ds_load_b128 v[22:25], v1 offset:1760
	v_fma_f64 v[169:170], v[169:170], v[30:31], v[175:176]
	v_fma_f64 v[30:31], v[167:168], v[30:31], -v[32:33]
	s_wait_loadcnt_dscnt 0x601
	v_mul_f64_e32 v[173:174], v[2:3], v[36:37]
	v_mul_f64_e32 v[36:37], v[4:5], v[36:37]
	s_wait_loadcnt_dscnt 0x500
	v_mul_f64_e32 v[32:33], v[22:23], v[165:166]
	v_mul_f64_e32 v[165:166], v[24:25], v[165:166]
	v_add_f64_e32 v[26:27], v[28:29], v[26:27]
	v_add_f64_e32 v[28:29], v[171:172], v[177:178]
	v_fma_f64 v[167:168], v[4:5], v[34:35], v[173:174]
	v_fma_f64 v[34:35], v[2:3], v[34:35], -v[36:37]
	v_fma_f64 v[24:25], v[24:25], v[163:164], v[32:33]
	v_fma_f64 v[22:23], v[22:23], v[163:164], -v[165:166]
	v_add_f64_e32 v[30:31], v[26:27], v[30:31]
	v_add_f64_e32 v[36:37], v[28:29], v[169:170]
	ds_load_b128 v[2:5], v1 offset:1776
	ds_load_b128 v[26:29], v1 offset:1792
	s_wait_loadcnt_dscnt 0x401
	v_mul_f64_e32 v[169:170], v[2:3], v[40:41]
	v_mul_f64_e32 v[40:41], v[4:5], v[40:41]
	v_add_f64_e32 v[30:31], v[30:31], v[34:35]
	v_add_f64_e32 v[32:33], v[36:37], v[167:168]
	s_wait_loadcnt_dscnt 0x300
	v_mul_f64_e32 v[34:35], v[26:27], v[8:9]
	v_mul_f64_e32 v[8:9], v[28:29], v[8:9]
	v_fma_f64 v[36:37], v[4:5], v[38:39], v[169:170]
	v_fma_f64 v[38:39], v[2:3], v[38:39], -v[40:41]
	v_add_f64_e32 v[30:31], v[30:31], v[22:23]
	v_add_f64_e32 v[32:33], v[32:33], v[24:25]
	ds_load_b128 v[2:5], v1 offset:1808
	ds_load_b128 v[22:25], v1 offset:1824
	v_fma_f64 v[28:29], v[28:29], v[6:7], v[34:35]
	v_fma_f64 v[6:7], v[26:27], v[6:7], -v[8:9]
	s_wait_loadcnt_dscnt 0x201
	v_mul_f64_e32 v[40:41], v[2:3], v[12:13]
	v_mul_f64_e32 v[12:13], v[4:5], v[12:13]
	v_add_f64_e32 v[8:9], v[30:31], v[38:39]
	v_add_f64_e32 v[26:27], v[32:33], v[36:37]
	s_wait_loadcnt_dscnt 0x100
	v_mul_f64_e32 v[30:31], v[22:23], v[16:17]
	v_mul_f64_e32 v[16:17], v[24:25], v[16:17]
	v_fma_f64 v[32:33], v[4:5], v[10:11], v[40:41]
	v_fma_f64 v[10:11], v[2:3], v[10:11], -v[12:13]
	ds_load_b128 v[2:5], v1 offset:1840
	v_add_f64_e32 v[6:7], v[8:9], v[6:7]
	v_add_f64_e32 v[8:9], v[26:27], v[28:29]
	v_fma_f64 v[24:25], v[24:25], v[14:15], v[30:31]
	v_fma_f64 v[14:15], v[22:23], v[14:15], -v[16:17]
	s_wait_loadcnt_dscnt 0x0
	v_mul_f64_e32 v[12:13], v[2:3], v[20:21]
	v_mul_f64_e32 v[20:21], v[4:5], v[20:21]
	v_add_f64_e32 v[6:7], v[6:7], v[10:11]
	v_add_f64_e32 v[8:9], v[8:9], v[32:33]
	s_delay_alu instid0(VALU_DEP_4) | instskip(NEXT) | instid1(VALU_DEP_4)
	v_fma_f64 v[4:5], v[4:5], v[18:19], v[12:13]
	v_fma_f64 v[2:3], v[2:3], v[18:19], -v[20:21]
	s_delay_alu instid0(VALU_DEP_4) | instskip(NEXT) | instid1(VALU_DEP_4)
	v_add_f64_e32 v[6:7], v[6:7], v[14:15]
	v_add_f64_e32 v[8:9], v[8:9], v[24:25]
	s_delay_alu instid0(VALU_DEP_2) | instskip(NEXT) | instid1(VALU_DEP_2)
	v_add_f64_e32 v[2:3], v[6:7], v[2:3]
	v_add_f64_e32 v[4:5], v[8:9], v[4:5]
	s_delay_alu instid0(VALU_DEP_2) | instskip(NEXT) | instid1(VALU_DEP_2)
	v_add_f64_e64 v[2:3], v[42:43], -v[2:3]
	v_add_f64_e64 v[4:5], v[44:45], -v[4:5]
	scratch_store_b128 off, v[2:5], off offset:48
	v_cmpx_lt_u32_e32 1, v0
	s_cbranch_execz .LBB121_359
; %bb.358:
	scratch_load_b128 v[5:8], off, s15
	v_dual_mov_b32 v2, v1 :: v_dual_mov_b32 v3, v1
	v_mov_b32_e32 v4, v1
	scratch_store_b128 off, v[1:4], off offset:32
	s_wait_loadcnt 0x0
	ds_store_b128 v162, v[5:8]
.LBB121_359:
	s_wait_alu 0xfffe
	s_or_b32 exec_lo, exec_lo, s0
	s_wait_storecnt_dscnt 0x0
	s_barrier_signal -1
	s_barrier_wait -1
	global_inv scope:SCOPE_SE
	s_clause 0x8
	scratch_load_b128 v[2:5], off, off offset:48
	scratch_load_b128 v[6:9], off, off offset:64
	;; [unrolled: 1-line block ×9, first 2 shown]
	ds_load_b128 v[42:45], v1 offset:960
	ds_load_b128 v[38:41], v1 offset:976
	s_clause 0x1
	scratch_load_b128 v[163:166], off, off offset:32
	scratch_load_b128 v[167:170], off, off offset:192
	s_mov_b32 s0, exec_lo
	s_wait_loadcnt_dscnt 0xa01
	v_mul_f64_e32 v[171:172], v[44:45], v[4:5]
	v_mul_f64_e32 v[4:5], v[42:43], v[4:5]
	s_wait_loadcnt_dscnt 0x900
	v_mul_f64_e32 v[175:176], v[38:39], v[8:9]
	v_mul_f64_e32 v[8:9], v[40:41], v[8:9]
	s_delay_alu instid0(VALU_DEP_4) | instskip(NEXT) | instid1(VALU_DEP_4)
	v_fma_f64 v[177:178], v[42:43], v[2:3], -v[171:172]
	v_fma_f64 v[179:180], v[44:45], v[2:3], v[4:5]
	ds_load_b128 v[2:5], v1 offset:992
	ds_load_b128 v[171:174], v1 offset:1008
	scratch_load_b128 v[42:45], off, off offset:208
	v_fma_f64 v[40:41], v[40:41], v[6:7], v[175:176]
	v_fma_f64 v[38:39], v[38:39], v[6:7], -v[8:9]
	scratch_load_b128 v[6:9], off, off offset:224
	s_wait_loadcnt_dscnt 0xa01
	v_mul_f64_e32 v[181:182], v[2:3], v[12:13]
	v_mul_f64_e32 v[12:13], v[4:5], v[12:13]
	v_add_f64_e32 v[175:176], 0, v[177:178]
	v_add_f64_e32 v[177:178], 0, v[179:180]
	s_wait_loadcnt_dscnt 0x900
	v_mul_f64_e32 v[179:180], v[171:172], v[16:17]
	v_mul_f64_e32 v[16:17], v[173:174], v[16:17]
	v_fma_f64 v[181:182], v[4:5], v[10:11], v[181:182]
	v_fma_f64 v[183:184], v[2:3], v[10:11], -v[12:13]
	ds_load_b128 v[2:5], v1 offset:1024
	scratch_load_b128 v[10:13], off, off offset:240
	v_add_f64_e32 v[175:176], v[175:176], v[38:39]
	v_add_f64_e32 v[177:178], v[177:178], v[40:41]
	ds_load_b128 v[38:41], v1 offset:1040
	v_fma_f64 v[173:174], v[173:174], v[14:15], v[179:180]
	v_fma_f64 v[171:172], v[171:172], v[14:15], -v[16:17]
	scratch_load_b128 v[14:17], off, off offset:256
	s_wait_loadcnt_dscnt 0xa01
	v_mul_f64_e32 v[185:186], v[2:3], v[20:21]
	v_mul_f64_e32 v[20:21], v[4:5], v[20:21]
	s_wait_loadcnt_dscnt 0x900
	v_mul_f64_e32 v[179:180], v[38:39], v[24:25]
	v_mul_f64_e32 v[24:25], v[40:41], v[24:25]
	v_add_f64_e32 v[175:176], v[175:176], v[183:184]
	v_add_f64_e32 v[177:178], v[177:178], v[181:182]
	v_fma_f64 v[181:182], v[4:5], v[18:19], v[185:186]
	v_fma_f64 v[183:184], v[2:3], v[18:19], -v[20:21]
	ds_load_b128 v[2:5], v1 offset:1056
	scratch_load_b128 v[18:21], off, off offset:272
	v_fma_f64 v[40:41], v[40:41], v[22:23], v[179:180]
	v_fma_f64 v[38:39], v[38:39], v[22:23], -v[24:25]
	scratch_load_b128 v[22:25], off, off offset:288
	v_add_f64_e32 v[175:176], v[175:176], v[171:172]
	v_add_f64_e32 v[177:178], v[177:178], v[173:174]
	ds_load_b128 v[171:174], v1 offset:1072
	s_wait_loadcnt_dscnt 0xa01
	v_mul_f64_e32 v[185:186], v[2:3], v[28:29]
	v_mul_f64_e32 v[28:29], v[4:5], v[28:29]
	s_wait_loadcnt_dscnt 0x900
	v_mul_f64_e32 v[179:180], v[171:172], v[32:33]
	v_mul_f64_e32 v[32:33], v[173:174], v[32:33]
	v_add_f64_e32 v[175:176], v[175:176], v[183:184]
	v_add_f64_e32 v[177:178], v[177:178], v[181:182]
	v_fma_f64 v[181:182], v[4:5], v[26:27], v[185:186]
	v_fma_f64 v[183:184], v[2:3], v[26:27], -v[28:29]
	ds_load_b128 v[2:5], v1 offset:1088
	scratch_load_b128 v[26:29], off, off offset:304
	v_fma_f64 v[173:174], v[173:174], v[30:31], v[179:180]
	v_fma_f64 v[171:172], v[171:172], v[30:31], -v[32:33]
	scratch_load_b128 v[30:33], off, off offset:320
	v_add_f64_e32 v[175:176], v[175:176], v[38:39]
	v_add_f64_e32 v[177:178], v[177:178], v[40:41]
	ds_load_b128 v[38:41], v1 offset:1104
	s_wait_loadcnt_dscnt 0xa01
	v_mul_f64_e32 v[185:186], v[2:3], v[36:37]
	v_mul_f64_e32 v[36:37], v[4:5], v[36:37]
	s_wait_loadcnt_dscnt 0x800
	v_mul_f64_e32 v[179:180], v[38:39], v[169:170]
	v_add_f64_e32 v[175:176], v[175:176], v[183:184]
	v_add_f64_e32 v[177:178], v[177:178], v[181:182]
	v_mul_f64_e32 v[181:182], v[40:41], v[169:170]
	v_fma_f64 v[183:184], v[4:5], v[34:35], v[185:186]
	v_fma_f64 v[185:186], v[2:3], v[34:35], -v[36:37]
	ds_load_b128 v[2:5], v1 offset:1120
	scratch_load_b128 v[34:37], off, off offset:336
	v_fma_f64 v[179:180], v[40:41], v[167:168], v[179:180]
	v_add_f64_e32 v[175:176], v[175:176], v[171:172]
	v_add_f64_e32 v[173:174], v[177:178], v[173:174]
	ds_load_b128 v[169:172], v1 offset:1136
	v_fma_f64 v[167:168], v[38:39], v[167:168], -v[181:182]
	scratch_load_b128 v[38:41], off, off offset:352
	s_wait_loadcnt_dscnt 0x901
	v_mul_f64_e32 v[177:178], v[2:3], v[44:45]
	v_mul_f64_e32 v[44:45], v[4:5], v[44:45]
	s_wait_loadcnt_dscnt 0x800
	v_mul_f64_e32 v[181:182], v[169:170], v[8:9]
	v_mul_f64_e32 v[8:9], v[171:172], v[8:9]
	v_add_f64_e32 v[175:176], v[175:176], v[185:186]
	v_add_f64_e32 v[173:174], v[173:174], v[183:184]
	v_fma_f64 v[177:178], v[4:5], v[42:43], v[177:178]
	v_fma_f64 v[183:184], v[2:3], v[42:43], -v[44:45]
	ds_load_b128 v[2:5], v1 offset:1152
	scratch_load_b128 v[42:45], off, off offset:368
	v_fma_f64 v[171:172], v[171:172], v[6:7], v[181:182]
	v_fma_f64 v[169:170], v[169:170], v[6:7], -v[8:9]
	scratch_load_b128 v[6:9], off, off offset:384
	v_add_f64_e32 v[167:168], v[175:176], v[167:168]
	v_add_f64_e32 v[179:180], v[173:174], v[179:180]
	ds_load_b128 v[173:176], v1 offset:1168
	s_wait_loadcnt_dscnt 0x901
	v_mul_f64_e32 v[185:186], v[2:3], v[12:13]
	v_mul_f64_e32 v[12:13], v[4:5], v[12:13]
	v_add_f64_e32 v[167:168], v[167:168], v[183:184]
	v_add_f64_e32 v[177:178], v[179:180], v[177:178]
	s_wait_loadcnt_dscnt 0x800
	v_mul_f64_e32 v[179:180], v[173:174], v[16:17]
	v_mul_f64_e32 v[16:17], v[175:176], v[16:17]
	v_fma_f64 v[181:182], v[4:5], v[10:11], v[185:186]
	v_fma_f64 v[183:184], v[2:3], v[10:11], -v[12:13]
	ds_load_b128 v[2:5], v1 offset:1184
	scratch_load_b128 v[10:13], off, off offset:400
	v_add_f64_e32 v[185:186], v[167:168], v[169:170]
	v_add_f64_e32 v[171:172], v[177:178], v[171:172]
	ds_load_b128 v[167:170], v1 offset:1200
	s_wait_loadcnt_dscnt 0x801
	v_mul_f64_e32 v[177:178], v[2:3], v[20:21]
	v_mul_f64_e32 v[20:21], v[4:5], v[20:21]
	v_fma_f64 v[175:176], v[175:176], v[14:15], v[179:180]
	v_fma_f64 v[173:174], v[173:174], v[14:15], -v[16:17]
	scratch_load_b128 v[14:17], off, off offset:416
	v_add_f64_e32 v[179:180], v[185:186], v[183:184]
	v_add_f64_e32 v[171:172], v[171:172], v[181:182]
	s_wait_loadcnt_dscnt 0x800
	v_mul_f64_e32 v[181:182], v[167:168], v[24:25]
	v_mul_f64_e32 v[24:25], v[169:170], v[24:25]
	v_fma_f64 v[177:178], v[4:5], v[18:19], v[177:178]
	v_fma_f64 v[183:184], v[2:3], v[18:19], -v[20:21]
	ds_load_b128 v[2:5], v1 offset:1216
	scratch_load_b128 v[18:21], off, off offset:432
	v_add_f64_e32 v[179:180], v[179:180], v[173:174]
	v_add_f64_e32 v[175:176], v[171:172], v[175:176]
	ds_load_b128 v[171:174], v1 offset:1232
	s_wait_loadcnt_dscnt 0x801
	v_mul_f64_e32 v[185:186], v[2:3], v[28:29]
	v_mul_f64_e32 v[28:29], v[4:5], v[28:29]
	v_fma_f64 v[169:170], v[169:170], v[22:23], v[181:182]
	v_fma_f64 v[167:168], v[167:168], v[22:23], -v[24:25]
	scratch_load_b128 v[22:25], off, off offset:448
	;; [unrolled: 18-line block ×4, first 2 shown]
	s_wait_loadcnt_dscnt 0x800
	v_mul_f64_e32 v[179:180], v[171:172], v[8:9]
	v_mul_f64_e32 v[8:9], v[173:174], v[8:9]
	v_add_f64_e32 v[177:178], v[177:178], v[183:184]
	v_add_f64_e32 v[175:176], v[175:176], v[181:182]
	v_fma_f64 v[181:182], v[4:5], v[42:43], v[185:186]
	v_fma_f64 v[183:184], v[2:3], v[42:43], -v[44:45]
	ds_load_b128 v[2:5], v1 offset:1312
	scratch_load_b128 v[42:45], off, off offset:528
	v_fma_f64 v[173:174], v[173:174], v[6:7], v[179:180]
	v_fma_f64 v[171:172], v[171:172], v[6:7], -v[8:9]
	scratch_load_b128 v[6:9], off, off offset:544
	v_add_f64_e32 v[177:178], v[177:178], v[167:168]
	v_add_f64_e32 v[175:176], v[175:176], v[169:170]
	ds_load_b128 v[167:170], v1 offset:1328
	s_wait_loadcnt_dscnt 0x901
	v_mul_f64_e32 v[185:186], v[2:3], v[12:13]
	v_mul_f64_e32 v[12:13], v[4:5], v[12:13]
	s_wait_loadcnt_dscnt 0x800
	v_mul_f64_e32 v[179:180], v[167:168], v[16:17]
	v_mul_f64_e32 v[16:17], v[169:170], v[16:17]
	v_add_f64_e32 v[177:178], v[177:178], v[183:184]
	v_add_f64_e32 v[175:176], v[175:176], v[181:182]
	v_fma_f64 v[181:182], v[4:5], v[10:11], v[185:186]
	v_fma_f64 v[183:184], v[2:3], v[10:11], -v[12:13]
	ds_load_b128 v[2:5], v1 offset:1344
	scratch_load_b128 v[10:13], off, off offset:560
	v_fma_f64 v[169:170], v[169:170], v[14:15], v[179:180]
	v_fma_f64 v[167:168], v[167:168], v[14:15], -v[16:17]
	scratch_load_b128 v[14:17], off, off offset:576
	v_add_f64_e32 v[177:178], v[177:178], v[171:172]
	v_add_f64_e32 v[175:176], v[175:176], v[173:174]
	ds_load_b128 v[171:174], v1 offset:1360
	s_wait_loadcnt_dscnt 0x901
	v_mul_f64_e32 v[185:186], v[2:3], v[20:21]
	v_mul_f64_e32 v[20:21], v[4:5], v[20:21]
	;; [unrolled: 18-line block ×13, first 2 shown]
	s_wait_loadcnt_dscnt 0x800
	v_mul_f64_e32 v[179:180], v[167:168], v[32:33]
	v_mul_f64_e32 v[32:33], v[169:170], v[32:33]
	v_add_f64_e32 v[177:178], v[177:178], v[183:184]
	v_add_f64_e32 v[175:176], v[175:176], v[181:182]
	v_fma_f64 v[181:182], v[4:5], v[26:27], v[185:186]
	v_fma_f64 v[183:184], v[2:3], v[26:27], -v[28:29]
	ds_load_b128 v[2:5], v1 offset:1728
	ds_load_b128 v[26:29], v1 offset:1744
	v_fma_f64 v[169:170], v[169:170], v[30:31], v[179:180]
	v_fma_f64 v[30:31], v[167:168], v[30:31], -v[32:33]
	v_add_f64_e32 v[171:172], v[177:178], v[171:172]
	v_add_f64_e32 v[173:174], v[175:176], v[173:174]
	s_wait_loadcnt_dscnt 0x701
	v_mul_f64_e32 v[175:176], v[2:3], v[36:37]
	v_mul_f64_e32 v[36:37], v[4:5], v[36:37]
	s_delay_alu instid0(VALU_DEP_4) | instskip(NEXT) | instid1(VALU_DEP_4)
	v_add_f64_e32 v[32:33], v[171:172], v[183:184]
	v_add_f64_e32 v[167:168], v[173:174], v[181:182]
	s_wait_loadcnt_dscnt 0x600
	v_mul_f64_e32 v[171:172], v[26:27], v[40:41]
	v_mul_f64_e32 v[40:41], v[28:29], v[40:41]
	v_fma_f64 v[173:174], v[4:5], v[34:35], v[175:176]
	v_fma_f64 v[34:35], v[2:3], v[34:35], -v[36:37]
	v_add_f64_e32 v[36:37], v[32:33], v[30:31]
	v_add_f64_e32 v[167:168], v[167:168], v[169:170]
	ds_load_b128 v[2:5], v1 offset:1760
	ds_load_b128 v[30:33], v1 offset:1776
	v_fma_f64 v[28:29], v[28:29], v[38:39], v[171:172]
	v_fma_f64 v[26:27], v[26:27], v[38:39], -v[40:41]
	s_wait_loadcnt_dscnt 0x501
	v_mul_f64_e32 v[169:170], v[2:3], v[44:45]
	v_mul_f64_e32 v[44:45], v[4:5], v[44:45]
	s_wait_loadcnt_dscnt 0x400
	v_mul_f64_e32 v[38:39], v[30:31], v[8:9]
	v_mul_f64_e32 v[8:9], v[32:33], v[8:9]
	v_add_f64_e32 v[34:35], v[36:37], v[34:35]
	v_add_f64_e32 v[36:37], v[167:168], v[173:174]
	v_fma_f64 v[40:41], v[4:5], v[42:43], v[169:170]
	v_fma_f64 v[42:43], v[2:3], v[42:43], -v[44:45]
	v_fma_f64 v[32:33], v[32:33], v[6:7], v[38:39]
	v_fma_f64 v[6:7], v[30:31], v[6:7], -v[8:9]
	v_add_f64_e32 v[34:35], v[34:35], v[26:27]
	v_add_f64_e32 v[36:37], v[36:37], v[28:29]
	ds_load_b128 v[2:5], v1 offset:1792
	ds_load_b128 v[26:29], v1 offset:1808
	s_wait_loadcnt_dscnt 0x301
	v_mul_f64_e32 v[44:45], v[2:3], v[12:13]
	v_mul_f64_e32 v[12:13], v[4:5], v[12:13]
	v_add_f64_e32 v[8:9], v[34:35], v[42:43]
	v_add_f64_e32 v[30:31], v[36:37], v[40:41]
	s_wait_loadcnt_dscnt 0x200
	v_mul_f64_e32 v[34:35], v[26:27], v[16:17]
	v_mul_f64_e32 v[16:17], v[28:29], v[16:17]
	v_fma_f64 v[36:37], v[4:5], v[10:11], v[44:45]
	v_fma_f64 v[10:11], v[2:3], v[10:11], -v[12:13]
	v_add_f64_e32 v[12:13], v[8:9], v[6:7]
	v_add_f64_e32 v[30:31], v[30:31], v[32:33]
	ds_load_b128 v[2:5], v1 offset:1824
	ds_load_b128 v[6:9], v1 offset:1840
	v_fma_f64 v[28:29], v[28:29], v[14:15], v[34:35]
	v_fma_f64 v[14:15], v[26:27], v[14:15], -v[16:17]
	s_wait_loadcnt_dscnt 0x101
	v_mul_f64_e32 v[32:33], v[2:3], v[20:21]
	v_mul_f64_e32 v[20:21], v[4:5], v[20:21]
	s_wait_loadcnt_dscnt 0x0
	v_mul_f64_e32 v[16:17], v[6:7], v[24:25]
	v_mul_f64_e32 v[24:25], v[8:9], v[24:25]
	v_add_f64_e32 v[10:11], v[12:13], v[10:11]
	v_add_f64_e32 v[12:13], v[30:31], v[36:37]
	v_fma_f64 v[4:5], v[4:5], v[18:19], v[32:33]
	v_fma_f64 v[1:2], v[2:3], v[18:19], -v[20:21]
	v_fma_f64 v[8:9], v[8:9], v[22:23], v[16:17]
	v_fma_f64 v[6:7], v[6:7], v[22:23], -v[24:25]
	v_add_f64_e32 v[10:11], v[10:11], v[14:15]
	v_add_f64_e32 v[12:13], v[12:13], v[28:29]
	s_delay_alu instid0(VALU_DEP_2) | instskip(NEXT) | instid1(VALU_DEP_2)
	v_add_f64_e32 v[1:2], v[10:11], v[1:2]
	v_add_f64_e32 v[3:4], v[12:13], v[4:5]
	s_delay_alu instid0(VALU_DEP_2) | instskip(NEXT) | instid1(VALU_DEP_2)
	;; [unrolled: 3-line block ×3, first 2 shown]
	v_add_f64_e64 v[1:2], v[163:164], -v[1:2]
	v_add_f64_e64 v[3:4], v[165:166], -v[3:4]
	scratch_store_b128 off, v[1:4], off offset:32
	v_cmpx_ne_u32_e32 0, v0
	s_cbranch_execz .LBB121_361
; %bb.360:
	scratch_load_b128 v[0:3], off, off offset:16
	v_mov_b32_e32 v4, 0
	s_delay_alu instid0(VALU_DEP_1)
	v_dual_mov_b32 v5, v4 :: v_dual_mov_b32 v6, v4
	v_mov_b32_e32 v7, v4
	scratch_store_b128 off, v[4:7], off offset:16
	s_wait_loadcnt 0x0
	ds_store_b128 v162, v[0:3]
.LBB121_361:
	s_wait_alu 0xfffe
	s_or_b32 exec_lo, exec_lo, s0
	s_wait_storecnt_dscnt 0x0
	s_barrier_signal -1
	s_barrier_wait -1
	global_inv scope:SCOPE_SE
	s_clause 0x7
	scratch_load_b128 v[0:3], off, off offset:32
	scratch_load_b128 v[4:7], off, off offset:48
	;; [unrolled: 1-line block ×8, first 2 shown]
	v_mov_b32_e32 v40, 0
	s_and_b32 vcc_lo, exec_lo, s12
	ds_load_b128 v[36:39], v40 offset:944
	s_clause 0x1
	scratch_load_b128 v[32:35], off, off offset:160
	scratch_load_b128 v[41:44], off, off offset:16
	ds_load_b128 v[162:165], v40 offset:960
	scratch_load_b128 v[166:169], off, off offset:176
	s_wait_loadcnt_dscnt 0xa01
	v_mul_f64_e32 v[170:171], v[38:39], v[2:3]
	v_mul_f64_e32 v[2:3], v[36:37], v[2:3]
	s_delay_alu instid0(VALU_DEP_2) | instskip(NEXT) | instid1(VALU_DEP_2)
	v_fma_f64 v[176:177], v[36:37], v[0:1], -v[170:171]
	v_fma_f64 v[178:179], v[38:39], v[0:1], v[2:3]
	ds_load_b128 v[0:3], v40 offset:976
	s_wait_loadcnt_dscnt 0x901
	v_mul_f64_e32 v[174:175], v[162:163], v[6:7]
	v_mul_f64_e32 v[6:7], v[164:165], v[6:7]
	scratch_load_b128 v[36:39], off, off offset:192
	ds_load_b128 v[170:173], v40 offset:992
	s_wait_loadcnt_dscnt 0x901
	v_mul_f64_e32 v[180:181], v[0:1], v[10:11]
	v_mul_f64_e32 v[10:11], v[2:3], v[10:11]
	v_fma_f64 v[164:165], v[164:165], v[4:5], v[174:175]
	v_fma_f64 v[162:163], v[162:163], v[4:5], -v[6:7]
	v_add_f64_e32 v[174:175], 0, v[176:177]
	v_add_f64_e32 v[176:177], 0, v[178:179]
	scratch_load_b128 v[4:7], off, off offset:208
	v_fma_f64 v[180:181], v[2:3], v[8:9], v[180:181]
	v_fma_f64 v[182:183], v[0:1], v[8:9], -v[10:11]
	ds_load_b128 v[0:3], v40 offset:1008
	s_wait_loadcnt_dscnt 0x901
	v_mul_f64_e32 v[178:179], v[170:171], v[14:15]
	v_mul_f64_e32 v[14:15], v[172:173], v[14:15]
	scratch_load_b128 v[8:11], off, off offset:224
	v_add_f64_e32 v[174:175], v[174:175], v[162:163]
	v_add_f64_e32 v[176:177], v[176:177], v[164:165]
	s_wait_loadcnt_dscnt 0x900
	v_mul_f64_e32 v[184:185], v[0:1], v[18:19]
	v_mul_f64_e32 v[18:19], v[2:3], v[18:19]
	ds_load_b128 v[162:165], v40 offset:1024
	v_fma_f64 v[172:173], v[172:173], v[12:13], v[178:179]
	v_fma_f64 v[170:171], v[170:171], v[12:13], -v[14:15]
	scratch_load_b128 v[12:15], off, off offset:240
	v_add_f64_e32 v[174:175], v[174:175], v[182:183]
	v_add_f64_e32 v[176:177], v[176:177], v[180:181]
	v_fma_f64 v[180:181], v[2:3], v[16:17], v[184:185]
	v_fma_f64 v[182:183], v[0:1], v[16:17], -v[18:19]
	ds_load_b128 v[0:3], v40 offset:1040
	s_wait_loadcnt_dscnt 0x901
	v_mul_f64_e32 v[178:179], v[162:163], v[22:23]
	v_mul_f64_e32 v[22:23], v[164:165], v[22:23]
	scratch_load_b128 v[16:19], off, off offset:256
	s_wait_loadcnt_dscnt 0x900
	v_mul_f64_e32 v[184:185], v[0:1], v[26:27]
	v_mul_f64_e32 v[26:27], v[2:3], v[26:27]
	v_add_f64_e32 v[174:175], v[174:175], v[170:171]
	v_add_f64_e32 v[176:177], v[176:177], v[172:173]
	ds_load_b128 v[170:173], v40 offset:1056
	v_fma_f64 v[164:165], v[164:165], v[20:21], v[178:179]
	v_fma_f64 v[162:163], v[162:163], v[20:21], -v[22:23]
	scratch_load_b128 v[20:23], off, off offset:272
	v_add_f64_e32 v[174:175], v[174:175], v[182:183]
	v_add_f64_e32 v[176:177], v[176:177], v[180:181]
	v_fma_f64 v[180:181], v[2:3], v[24:25], v[184:185]
	v_fma_f64 v[182:183], v[0:1], v[24:25], -v[26:27]
	ds_load_b128 v[0:3], v40 offset:1072
	s_wait_loadcnt_dscnt 0x901
	v_mul_f64_e32 v[178:179], v[170:171], v[30:31]
	v_mul_f64_e32 v[30:31], v[172:173], v[30:31]
	scratch_load_b128 v[24:27], off, off offset:288
	s_wait_loadcnt_dscnt 0x900
	v_mul_f64_e32 v[184:185], v[0:1], v[34:35]
	v_mul_f64_e32 v[34:35], v[2:3], v[34:35]
	v_add_f64_e32 v[174:175], v[174:175], v[162:163]
	v_add_f64_e32 v[176:177], v[176:177], v[164:165]
	ds_load_b128 v[162:165], v40 offset:1088
	v_fma_f64 v[172:173], v[172:173], v[28:29], v[178:179]
	v_fma_f64 v[170:171], v[170:171], v[28:29], -v[30:31]
	scratch_load_b128 v[28:31], off, off offset:304
	v_add_f64_e32 v[174:175], v[174:175], v[182:183]
	v_add_f64_e32 v[176:177], v[176:177], v[180:181]
	v_fma_f64 v[182:183], v[2:3], v[32:33], v[184:185]
	v_fma_f64 v[184:185], v[0:1], v[32:33], -v[34:35]
	ds_load_b128 v[0:3], v40 offset:1104
	s_wait_loadcnt_dscnt 0x801
	v_mul_f64_e32 v[178:179], v[162:163], v[168:169]
	v_mul_f64_e32 v[180:181], v[164:165], v[168:169]
	scratch_load_b128 v[32:35], off, off offset:320
	v_add_f64_e32 v[174:175], v[174:175], v[170:171]
	v_add_f64_e32 v[172:173], v[176:177], v[172:173]
	ds_load_b128 v[168:171], v40 offset:1120
	v_fma_f64 v[178:179], v[164:165], v[166:167], v[178:179]
	v_fma_f64 v[166:167], v[162:163], v[166:167], -v[180:181]
	scratch_load_b128 v[162:165], off, off offset:336
	s_wait_loadcnt_dscnt 0x901
	v_mul_f64_e32 v[176:177], v[0:1], v[38:39]
	v_mul_f64_e32 v[38:39], v[2:3], v[38:39]
	v_add_f64_e32 v[174:175], v[174:175], v[184:185]
	v_add_f64_e32 v[172:173], v[172:173], v[182:183]
	s_delay_alu instid0(VALU_DEP_4) | instskip(NEXT) | instid1(VALU_DEP_4)
	v_fma_f64 v[176:177], v[2:3], v[36:37], v[176:177]
	v_fma_f64 v[182:183], v[0:1], v[36:37], -v[38:39]
	ds_load_b128 v[0:3], v40 offset:1136
	s_wait_loadcnt_dscnt 0x801
	v_mul_f64_e32 v[180:181], v[168:169], v[6:7]
	v_mul_f64_e32 v[6:7], v[170:171], v[6:7]
	scratch_load_b128 v[36:39], off, off offset:352
	s_wait_loadcnt_dscnt 0x800
	v_mul_f64_e32 v[184:185], v[0:1], v[10:11]
	v_add_f64_e32 v[166:167], v[174:175], v[166:167]
	v_add_f64_e32 v[178:179], v[172:173], v[178:179]
	v_mul_f64_e32 v[10:11], v[2:3], v[10:11]
	ds_load_b128 v[172:175], v40 offset:1152
	v_fma_f64 v[170:171], v[170:171], v[4:5], v[180:181]
	v_fma_f64 v[168:169], v[168:169], v[4:5], -v[6:7]
	scratch_load_b128 v[4:7], off, off offset:368
	v_fma_f64 v[180:181], v[2:3], v[8:9], v[184:185]
	v_add_f64_e32 v[166:167], v[166:167], v[182:183]
	v_add_f64_e32 v[176:177], v[178:179], v[176:177]
	v_fma_f64 v[182:183], v[0:1], v[8:9], -v[10:11]
	ds_load_b128 v[0:3], v40 offset:1168
	s_wait_loadcnt_dscnt 0x801
	v_mul_f64_e32 v[178:179], v[172:173], v[14:15]
	v_mul_f64_e32 v[14:15], v[174:175], v[14:15]
	scratch_load_b128 v[8:11], off, off offset:384
	v_add_f64_e32 v[184:185], v[166:167], v[168:169]
	v_add_f64_e32 v[170:171], v[176:177], v[170:171]
	s_wait_loadcnt_dscnt 0x800
	v_mul_f64_e32 v[176:177], v[0:1], v[18:19]
	v_mul_f64_e32 v[18:19], v[2:3], v[18:19]
	v_fma_f64 v[174:175], v[174:175], v[12:13], v[178:179]
	v_fma_f64 v[172:173], v[172:173], v[12:13], -v[14:15]
	ds_load_b128 v[166:169], v40 offset:1184
	scratch_load_b128 v[12:15], off, off offset:400
	v_add_f64_e32 v[178:179], v[184:185], v[182:183]
	v_add_f64_e32 v[170:171], v[170:171], v[180:181]
	v_fma_f64 v[176:177], v[2:3], v[16:17], v[176:177]
	v_fma_f64 v[182:183], v[0:1], v[16:17], -v[18:19]
	ds_load_b128 v[0:3], v40 offset:1200
	s_wait_loadcnt_dscnt 0x801
	v_mul_f64_e32 v[180:181], v[166:167], v[22:23]
	v_mul_f64_e32 v[22:23], v[168:169], v[22:23]
	scratch_load_b128 v[16:19], off, off offset:416
	s_wait_loadcnt_dscnt 0x800
	v_mul_f64_e32 v[184:185], v[0:1], v[26:27]
	v_mul_f64_e32 v[26:27], v[2:3], v[26:27]
	v_add_f64_e32 v[178:179], v[178:179], v[172:173]
	v_add_f64_e32 v[174:175], v[170:171], v[174:175]
	ds_load_b128 v[170:173], v40 offset:1216
	v_fma_f64 v[168:169], v[168:169], v[20:21], v[180:181]
	v_fma_f64 v[166:167], v[166:167], v[20:21], -v[22:23]
	scratch_load_b128 v[20:23], off, off offset:432
	v_fma_f64 v[180:181], v[2:3], v[24:25], v[184:185]
	v_add_f64_e32 v[178:179], v[178:179], v[182:183]
	v_add_f64_e32 v[174:175], v[174:175], v[176:177]
	v_fma_f64 v[182:183], v[0:1], v[24:25], -v[26:27]
	ds_load_b128 v[0:3], v40 offset:1232
	s_wait_loadcnt_dscnt 0x801
	v_mul_f64_e32 v[176:177], v[170:171], v[30:31]
	v_mul_f64_e32 v[30:31], v[172:173], v[30:31]
	scratch_load_b128 v[24:27], off, off offset:448
	s_wait_loadcnt_dscnt 0x800
	v_mul_f64_e32 v[184:185], v[0:1], v[34:35]
	v_mul_f64_e32 v[34:35], v[2:3], v[34:35]
	v_add_f64_e32 v[178:179], v[178:179], v[166:167]
	v_add_f64_e32 v[174:175], v[174:175], v[168:169]
	ds_load_b128 v[166:169], v40 offset:1248
	v_fma_f64 v[172:173], v[172:173], v[28:29], v[176:177]
	v_fma_f64 v[170:171], v[170:171], v[28:29], -v[30:31]
	scratch_load_b128 v[28:31], off, off offset:464
	v_add_f64_e32 v[176:177], v[178:179], v[182:183]
	v_add_f64_e32 v[174:175], v[174:175], v[180:181]
	v_fma_f64 v[180:181], v[2:3], v[32:33], v[184:185]
	v_fma_f64 v[182:183], v[0:1], v[32:33], -v[34:35]
	ds_load_b128 v[0:3], v40 offset:1264
	s_wait_loadcnt_dscnt 0x801
	v_mul_f64_e32 v[178:179], v[166:167], v[164:165]
	v_mul_f64_e32 v[164:165], v[168:169], v[164:165]
	scratch_load_b128 v[32:35], off, off offset:480
	s_wait_loadcnt_dscnt 0x800
	v_mul_f64_e32 v[184:185], v[0:1], v[38:39]
	v_mul_f64_e32 v[38:39], v[2:3], v[38:39]
	v_add_f64_e32 v[176:177], v[176:177], v[170:171]
	v_add_f64_e32 v[174:175], v[174:175], v[172:173]
	ds_load_b128 v[170:173], v40 offset:1280
	v_fma_f64 v[168:169], v[168:169], v[162:163], v[178:179]
	v_fma_f64 v[166:167], v[166:167], v[162:163], -v[164:165]
	scratch_load_b128 v[162:165], off, off offset:496
	v_add_f64_e32 v[176:177], v[176:177], v[182:183]
	v_add_f64_e32 v[174:175], v[174:175], v[180:181]
	v_fma_f64 v[180:181], v[2:3], v[36:37], v[184:185]
	;; [unrolled: 18-line block ×6, first 2 shown]
	v_fma_f64 v[184:185], v[0:1], v[32:33], -v[34:35]
	ds_load_b128 v[0:3], v40 offset:1424
	s_wait_loadcnt_dscnt 0x801
	v_mul_f64_e32 v[178:179], v[170:171], v[164:165]
	v_mul_f64_e32 v[180:181], v[172:173], v[164:165]
	scratch_load_b128 v[32:35], off, off offset:640
	v_add_f64_e32 v[176:177], v[176:177], v[166:167]
	v_add_f64_e32 v[168:169], v[174:175], v[168:169]
	s_wait_loadcnt_dscnt 0x800
	v_mul_f64_e32 v[174:175], v[0:1], v[38:39]
	v_mul_f64_e32 v[38:39], v[2:3], v[38:39]
	ds_load_b128 v[164:167], v40 offset:1440
	v_fma_f64 v[172:173], v[172:173], v[162:163], v[178:179]
	v_fma_f64 v[162:163], v[170:171], v[162:163], -v[180:181]
	v_add_f64_e32 v[176:177], v[176:177], v[184:185]
	v_add_f64_e32 v[178:179], v[168:169], v[182:183]
	scratch_load_b128 v[168:171], off, off offset:656
	v_fma_f64 v[182:183], v[2:3], v[36:37], v[174:175]
	v_fma_f64 v[184:185], v[0:1], v[36:37], -v[38:39]
	ds_load_b128 v[0:3], v40 offset:1456
	s_wait_loadcnt_dscnt 0x801
	v_mul_f64_e32 v[180:181], v[164:165], v[6:7]
	v_mul_f64_e32 v[6:7], v[166:167], v[6:7]
	scratch_load_b128 v[36:39], off, off offset:672
	v_add_f64_e32 v[162:163], v[176:177], v[162:163]
	v_add_f64_e32 v[176:177], v[178:179], v[172:173]
	s_wait_loadcnt_dscnt 0x800
	v_mul_f64_e32 v[178:179], v[0:1], v[10:11]
	v_mul_f64_e32 v[10:11], v[2:3], v[10:11]
	ds_load_b128 v[172:175], v40 offset:1472
	v_fma_f64 v[166:167], v[166:167], v[4:5], v[180:181]
	v_fma_f64 v[164:165], v[164:165], v[4:5], -v[6:7]
	scratch_load_b128 v[4:7], off, off offset:688
	v_add_f64_e32 v[162:163], v[162:163], v[184:185]
	v_add_f64_e32 v[176:177], v[176:177], v[182:183]
	v_fma_f64 v[178:179], v[2:3], v[8:9], v[178:179]
	v_fma_f64 v[182:183], v[0:1], v[8:9], -v[10:11]
	ds_load_b128 v[0:3], v40 offset:1488
	s_wait_loadcnt_dscnt 0x801
	v_mul_f64_e32 v[180:181], v[172:173], v[14:15]
	v_mul_f64_e32 v[14:15], v[174:175], v[14:15]
	scratch_load_b128 v[8:11], off, off offset:704
	v_add_f64_e32 v[184:185], v[162:163], v[164:165]
	v_add_f64_e32 v[166:167], v[176:177], v[166:167]
	s_wait_loadcnt_dscnt 0x800
	v_mul_f64_e32 v[176:177], v[0:1], v[18:19]
	v_mul_f64_e32 v[18:19], v[2:3], v[18:19]
	ds_load_b128 v[162:165], v40 offset:1504
	v_fma_f64 v[174:175], v[174:175], v[12:13], v[180:181]
	v_fma_f64 v[172:173], v[172:173], v[12:13], -v[14:15]
	scratch_load_b128 v[12:15], off, off offset:720
	v_add_f64_e32 v[180:181], v[184:185], v[182:183]
	v_add_f64_e32 v[166:167], v[166:167], v[178:179]
	v_fma_f64 v[176:177], v[2:3], v[16:17], v[176:177]
	v_fma_f64 v[182:183], v[0:1], v[16:17], -v[18:19]
	ds_load_b128 v[0:3], v40 offset:1520
	s_wait_loadcnt_dscnt 0x801
	v_mul_f64_e32 v[178:179], v[162:163], v[22:23]
	v_mul_f64_e32 v[22:23], v[164:165], v[22:23]
	scratch_load_b128 v[16:19], off, off offset:736
	s_wait_loadcnt_dscnt 0x800
	v_mul_f64_e32 v[184:185], v[0:1], v[26:27]
	v_mul_f64_e32 v[26:27], v[2:3], v[26:27]
	v_add_f64_e32 v[180:181], v[180:181], v[172:173]
	v_add_f64_e32 v[166:167], v[166:167], v[174:175]
	ds_load_b128 v[172:175], v40 offset:1536
	v_fma_f64 v[164:165], v[164:165], v[20:21], v[178:179]
	v_fma_f64 v[162:163], v[162:163], v[20:21], -v[22:23]
	scratch_load_b128 v[20:23], off, off offset:752
	v_add_f64_e32 v[178:179], v[180:181], v[182:183]
	v_add_f64_e32 v[166:167], v[166:167], v[176:177]
	v_fma_f64 v[180:181], v[2:3], v[24:25], v[184:185]
	v_fma_f64 v[182:183], v[0:1], v[24:25], -v[26:27]
	ds_load_b128 v[0:3], v40 offset:1552
	s_wait_loadcnt_dscnt 0x801
	v_mul_f64_e32 v[176:177], v[172:173], v[30:31]
	v_mul_f64_e32 v[30:31], v[174:175], v[30:31]
	scratch_load_b128 v[24:27], off, off offset:768
	s_wait_loadcnt_dscnt 0x800
	v_mul_f64_e32 v[184:185], v[0:1], v[34:35]
	v_mul_f64_e32 v[34:35], v[2:3], v[34:35]
	v_add_f64_e32 v[178:179], v[178:179], v[162:163]
	v_add_f64_e32 v[166:167], v[166:167], v[164:165]
	ds_load_b128 v[162:165], v40 offset:1568
	v_fma_f64 v[174:175], v[174:175], v[28:29], v[176:177]
	v_fma_f64 v[172:173], v[172:173], v[28:29], -v[30:31]
	scratch_load_b128 v[28:31], off, off offset:784
	v_add_f64_e32 v[176:177], v[178:179], v[182:183]
	v_add_f64_e32 v[166:167], v[166:167], v[180:181]
	v_fma_f64 v[182:183], v[2:3], v[32:33], v[184:185]
	v_fma_f64 v[184:185], v[0:1], v[32:33], -v[34:35]
	ds_load_b128 v[0:3], v40 offset:1584
	scratch_load_b128 v[32:35], off, off offset:800
	s_wait_loadcnt_dscnt 0x901
	v_mul_f64_e32 v[178:179], v[162:163], v[170:171]
	v_mul_f64_e32 v[180:181], v[164:165], v[170:171]
	v_add_f64_e32 v[176:177], v[176:177], v[172:173]
	v_add_f64_e32 v[166:167], v[166:167], v[174:175]
	s_wait_loadcnt_dscnt 0x800
	v_mul_f64_e32 v[174:175], v[0:1], v[38:39]
	v_mul_f64_e32 v[38:39], v[2:3], v[38:39]
	ds_load_b128 v[170:173], v40 offset:1600
	v_fma_f64 v[178:179], v[164:165], v[168:169], v[178:179]
	v_fma_f64 v[168:169], v[162:163], v[168:169], -v[180:181]
	scratch_load_b128 v[162:165], off, off offset:816
	v_add_f64_e32 v[176:177], v[176:177], v[184:185]
	v_add_f64_e32 v[166:167], v[166:167], v[182:183]
	v_fma_f64 v[174:175], v[2:3], v[36:37], v[174:175]
	v_fma_f64 v[182:183], v[0:1], v[36:37], -v[38:39]
	ds_load_b128 v[0:3], v40 offset:1616
	s_wait_loadcnt_dscnt 0x801
	v_mul_f64_e32 v[180:181], v[170:171], v[6:7]
	v_mul_f64_e32 v[6:7], v[172:173], v[6:7]
	scratch_load_b128 v[36:39], off, off offset:832
	s_wait_loadcnt_dscnt 0x800
	v_mul_f64_e32 v[184:185], v[0:1], v[10:11]
	v_mul_f64_e32 v[10:11], v[2:3], v[10:11]
	v_add_f64_e32 v[176:177], v[176:177], v[168:169]
	v_add_f64_e32 v[178:179], v[166:167], v[178:179]
	ds_load_b128 v[166:169], v40 offset:1632
	v_fma_f64 v[172:173], v[172:173], v[4:5], v[180:181]
	v_fma_f64 v[170:171], v[170:171], v[4:5], -v[6:7]
	scratch_load_b128 v[4:7], off, off offset:848
	v_fma_f64 v[180:181], v[2:3], v[8:9], v[184:185]
	v_add_f64_e32 v[176:177], v[176:177], v[182:183]
	v_add_f64_e32 v[174:175], v[178:179], v[174:175]
	v_fma_f64 v[182:183], v[0:1], v[8:9], -v[10:11]
	ds_load_b128 v[0:3], v40 offset:1648
	s_wait_loadcnt_dscnt 0x801
	v_mul_f64_e32 v[178:179], v[166:167], v[14:15]
	v_mul_f64_e32 v[14:15], v[168:169], v[14:15]
	scratch_load_b128 v[8:11], off, off offset:864
	s_wait_loadcnt_dscnt 0x800
	v_mul_f64_e32 v[184:185], v[0:1], v[18:19]
	v_mul_f64_e32 v[18:19], v[2:3], v[18:19]
	v_add_f64_e32 v[176:177], v[176:177], v[170:171]
	v_add_f64_e32 v[174:175], v[174:175], v[172:173]
	ds_load_b128 v[170:173], v40 offset:1664
	v_fma_f64 v[168:169], v[168:169], v[12:13], v[178:179]
	v_fma_f64 v[166:167], v[166:167], v[12:13], -v[14:15]
	scratch_load_b128 v[12:15], off, off offset:880
	v_add_f64_e32 v[176:177], v[176:177], v[182:183]
	v_add_f64_e32 v[174:175], v[174:175], v[180:181]
	v_fma_f64 v[180:181], v[2:3], v[16:17], v[184:185]
	v_fma_f64 v[182:183], v[0:1], v[16:17], -v[18:19]
	ds_load_b128 v[0:3], v40 offset:1680
	s_wait_loadcnt_dscnt 0x801
	v_mul_f64_e32 v[178:179], v[170:171], v[22:23]
	v_mul_f64_e32 v[22:23], v[172:173], v[22:23]
	scratch_load_b128 v[16:19], off, off offset:896
	s_wait_loadcnt_dscnt 0x800
	v_mul_f64_e32 v[184:185], v[0:1], v[26:27]
	v_mul_f64_e32 v[26:27], v[2:3], v[26:27]
	v_add_f64_e32 v[176:177], v[176:177], v[166:167]
	v_add_f64_e32 v[174:175], v[174:175], v[168:169]
	ds_load_b128 v[166:169], v40 offset:1696
	v_fma_f64 v[172:173], v[172:173], v[20:21], v[178:179]
	v_fma_f64 v[170:171], v[170:171], v[20:21], -v[22:23]
	scratch_load_b128 v[20:23], off, off offset:912
	v_add_f64_e32 v[176:177], v[176:177], v[182:183]
	v_add_f64_e32 v[174:175], v[174:175], v[180:181]
	v_fma_f64 v[180:181], v[2:3], v[24:25], v[184:185]
	v_fma_f64 v[182:183], v[0:1], v[24:25], -v[26:27]
	ds_load_b128 v[0:3], v40 offset:1712
	s_wait_loadcnt_dscnt 0x801
	v_mul_f64_e32 v[178:179], v[166:167], v[30:31]
	v_mul_f64_e32 v[30:31], v[168:169], v[30:31]
	scratch_load_b128 v[24:27], off, off offset:928
	s_wait_loadcnt_dscnt 0x800
	v_mul_f64_e32 v[184:185], v[0:1], v[34:35]
	v_mul_f64_e32 v[34:35], v[2:3], v[34:35]
	v_add_f64_e32 v[176:177], v[176:177], v[170:171]
	v_add_f64_e32 v[174:175], v[174:175], v[172:173]
	ds_load_b128 v[170:173], v40 offset:1728
	v_fma_f64 v[168:169], v[168:169], v[28:29], v[178:179]
	v_fma_f64 v[28:29], v[166:167], v[28:29], -v[30:31]
	v_add_f64_e32 v[30:31], v[176:177], v[182:183]
	v_add_f64_e32 v[166:167], v[174:175], v[180:181]
	s_wait_loadcnt_dscnt 0x700
	v_mul_f64_e32 v[174:175], v[170:171], v[164:165]
	v_mul_f64_e32 v[164:165], v[172:173], v[164:165]
	v_fma_f64 v[176:177], v[2:3], v[32:33], v[184:185]
	v_fma_f64 v[32:33], v[0:1], v[32:33], -v[34:35]
	v_add_f64_e32 v[34:35], v[30:31], v[28:29]
	v_add_f64_e32 v[166:167], v[166:167], v[168:169]
	ds_load_b128 v[0:3], v40 offset:1744
	ds_load_b128 v[28:31], v40 offset:1760
	v_fma_f64 v[172:173], v[172:173], v[162:163], v[174:175]
	v_fma_f64 v[162:163], v[170:171], v[162:163], -v[164:165]
	s_wait_loadcnt_dscnt 0x601
	v_mul_f64_e32 v[168:169], v[0:1], v[38:39]
	v_mul_f64_e32 v[38:39], v[2:3], v[38:39]
	s_wait_loadcnt_dscnt 0x500
	v_mul_f64_e32 v[164:165], v[28:29], v[6:7]
	v_mul_f64_e32 v[6:7], v[30:31], v[6:7]
	v_add_f64_e32 v[32:33], v[34:35], v[32:33]
	v_add_f64_e32 v[34:35], v[166:167], v[176:177]
	v_fma_f64 v[166:167], v[2:3], v[36:37], v[168:169]
	v_fma_f64 v[36:37], v[0:1], v[36:37], -v[38:39]
	v_fma_f64 v[30:31], v[30:31], v[4:5], v[164:165]
	v_fma_f64 v[4:5], v[28:29], v[4:5], -v[6:7]
	v_add_f64_e32 v[38:39], v[32:33], v[162:163]
	v_add_f64_e32 v[162:163], v[34:35], v[172:173]
	ds_load_b128 v[0:3], v40 offset:1776
	ds_load_b128 v[32:35], v40 offset:1792
	s_wait_loadcnt_dscnt 0x401
	v_mul_f64_e32 v[168:169], v[0:1], v[10:11]
	v_mul_f64_e32 v[10:11], v[2:3], v[10:11]
	v_add_f64_e32 v[6:7], v[38:39], v[36:37]
	v_add_f64_e32 v[28:29], v[162:163], v[166:167]
	s_wait_loadcnt_dscnt 0x300
	v_mul_f64_e32 v[36:37], v[32:33], v[14:15]
	v_mul_f64_e32 v[14:15], v[34:35], v[14:15]
	v_fma_f64 v[38:39], v[2:3], v[8:9], v[168:169]
	v_fma_f64 v[8:9], v[0:1], v[8:9], -v[10:11]
	v_add_f64_e32 v[10:11], v[6:7], v[4:5]
	v_add_f64_e32 v[28:29], v[28:29], v[30:31]
	ds_load_b128 v[0:3], v40 offset:1808
	ds_load_b128 v[4:7], v40 offset:1824
	v_fma_f64 v[34:35], v[34:35], v[12:13], v[36:37]
	v_fma_f64 v[12:13], v[32:33], v[12:13], -v[14:15]
	s_wait_loadcnt_dscnt 0x201
	v_mul_f64_e32 v[30:31], v[0:1], v[18:19]
	v_mul_f64_e32 v[18:19], v[2:3], v[18:19]
	s_wait_loadcnt_dscnt 0x100
	v_mul_f64_e32 v[14:15], v[4:5], v[22:23]
	v_mul_f64_e32 v[22:23], v[6:7], v[22:23]
	v_add_f64_e32 v[8:9], v[10:11], v[8:9]
	v_add_f64_e32 v[10:11], v[28:29], v[38:39]
	v_fma_f64 v[28:29], v[2:3], v[16:17], v[30:31]
	v_fma_f64 v[16:17], v[0:1], v[16:17], -v[18:19]
	ds_load_b128 v[0:3], v40 offset:1840
	v_fma_f64 v[6:7], v[6:7], v[20:21], v[14:15]
	v_fma_f64 v[4:5], v[4:5], v[20:21], -v[22:23]
	v_add_f64_e32 v[8:9], v[8:9], v[12:13]
	v_add_f64_e32 v[10:11], v[10:11], v[34:35]
	s_wait_loadcnt_dscnt 0x0
	v_mul_f64_e32 v[12:13], v[0:1], v[26:27]
	v_mul_f64_e32 v[18:19], v[2:3], v[26:27]
	s_delay_alu instid0(VALU_DEP_4) | instskip(NEXT) | instid1(VALU_DEP_4)
	v_add_f64_e32 v[8:9], v[8:9], v[16:17]
	v_add_f64_e32 v[10:11], v[10:11], v[28:29]
	s_delay_alu instid0(VALU_DEP_4) | instskip(NEXT) | instid1(VALU_DEP_4)
	v_fma_f64 v[2:3], v[2:3], v[24:25], v[12:13]
	v_fma_f64 v[0:1], v[0:1], v[24:25], -v[18:19]
	s_delay_alu instid0(VALU_DEP_4) | instskip(NEXT) | instid1(VALU_DEP_4)
	v_add_f64_e32 v[4:5], v[8:9], v[4:5]
	v_add_f64_e32 v[6:7], v[10:11], v[6:7]
	s_delay_alu instid0(VALU_DEP_2) | instskip(NEXT) | instid1(VALU_DEP_2)
	v_add_f64_e32 v[0:1], v[4:5], v[0:1]
	v_add_f64_e32 v[2:3], v[6:7], v[2:3]
	s_delay_alu instid0(VALU_DEP_2) | instskip(NEXT) | instid1(VALU_DEP_2)
	v_add_f64_e64 v[0:1], v[41:42], -v[0:1]
	v_add_f64_e64 v[2:3], v[43:44], -v[2:3]
	scratch_store_b128 off, v[0:3], off offset:16
	s_wait_alu 0xfffe
	s_cbranch_vccz .LBB121_476
; %bb.362:
	global_load_b32 v0, v40, s[2:3] offset:224
	s_wait_loadcnt 0x0
	v_cmp_ne_u32_e32 vcc_lo, 57, v0
	s_cbranch_vccz .LBB121_364
; %bb.363:
	v_lshlrev_b32_e32 v0, 4, v0
	s_delay_alu instid0(VALU_DEP_1)
	v_add_nc_u32_e32 v8, 16, v0
	s_clause 0x1
	scratch_load_b128 v[0:3], v8, off offset:-16
	scratch_load_b128 v[4:7], off, s11
	s_wait_loadcnt 0x1
	scratch_store_b128 off, v[0:3], s11
	s_wait_loadcnt 0x0
	scratch_store_b128 v8, v[4:7], off offset:-16
.LBB121_364:
	v_mov_b32_e32 v0, 0
	global_load_b32 v1, v0, s[2:3] offset:220
	s_wait_loadcnt 0x0
	v_cmp_eq_u32_e32 vcc_lo, 56, v1
	s_cbranch_vccnz .LBB121_366
; %bb.365:
	v_lshlrev_b32_e32 v1, 4, v1
	s_delay_alu instid0(VALU_DEP_1)
	v_add_nc_u32_e32 v9, 16, v1
	s_clause 0x1
	scratch_load_b128 v[1:4], v9, off offset:-16
	scratch_load_b128 v[5:8], off, s14
	s_wait_loadcnt 0x1
	scratch_store_b128 off, v[1:4], s14
	s_wait_loadcnt 0x0
	scratch_store_b128 v9, v[5:8], off offset:-16
.LBB121_366:
	global_load_b32 v0, v0, s[2:3] offset:216
	s_wait_loadcnt 0x0
	v_cmp_eq_u32_e32 vcc_lo, 55, v0
	s_cbranch_vccnz .LBB121_368
; %bb.367:
	v_lshlrev_b32_e32 v0, 4, v0
	s_delay_alu instid0(VALU_DEP_1)
	v_add_nc_u32_e32 v8, 16, v0
	s_clause 0x1
	scratch_load_b128 v[0:3], v8, off offset:-16
	scratch_load_b128 v[4:7], off, s16
	s_wait_loadcnt 0x1
	scratch_store_b128 off, v[0:3], s16
	s_wait_loadcnt 0x0
	scratch_store_b128 v8, v[4:7], off offset:-16
.LBB121_368:
	v_mov_b32_e32 v0, 0
	global_load_b32 v1, v0, s[2:3] offset:212
	s_wait_loadcnt 0x0
	v_cmp_eq_u32_e32 vcc_lo, 54, v1
	s_cbranch_vccnz .LBB121_370
; %bb.369:
	v_lshlrev_b32_e32 v1, 4, v1
	s_delay_alu instid0(VALU_DEP_1)
	v_add_nc_u32_e32 v9, 16, v1
	s_clause 0x1
	scratch_load_b128 v[1:4], v9, off offset:-16
	scratch_load_b128 v[5:8], off, s17
	s_wait_loadcnt 0x1
	scratch_store_b128 off, v[1:4], s17
	s_wait_loadcnt 0x0
	scratch_store_b128 v9, v[5:8], off offset:-16
.LBB121_370:
	global_load_b32 v0, v0, s[2:3] offset:208
	s_wait_loadcnt 0x0
	v_cmp_eq_u32_e32 vcc_lo, 53, v0
	s_cbranch_vccnz .LBB121_372
; %bb.371:
	v_lshlrev_b32_e32 v0, 4, v0
	s_delay_alu instid0(VALU_DEP_1)
	v_add_nc_u32_e32 v8, 16, v0
	s_clause 0x1
	scratch_load_b128 v[0:3], v8, off offset:-16
	scratch_load_b128 v[4:7], off, s18
	s_wait_loadcnt 0x1
	scratch_store_b128 off, v[0:3], s18
	s_wait_loadcnt 0x0
	scratch_store_b128 v8, v[4:7], off offset:-16
.LBB121_372:
	v_mov_b32_e32 v0, 0
	global_load_b32 v1, v0, s[2:3] offset:204
	s_wait_loadcnt 0x0
	v_cmp_eq_u32_e32 vcc_lo, 52, v1
	s_cbranch_vccnz .LBB121_374
; %bb.373:
	v_lshlrev_b32_e32 v1, 4, v1
	s_delay_alu instid0(VALU_DEP_1)
	v_add_nc_u32_e32 v9, 16, v1
	s_clause 0x1
	scratch_load_b128 v[1:4], v9, off offset:-16
	scratch_load_b128 v[5:8], off, s19
	s_wait_loadcnt 0x1
	scratch_store_b128 off, v[1:4], s19
	s_wait_loadcnt 0x0
	scratch_store_b128 v9, v[5:8], off offset:-16
.LBB121_374:
	global_load_b32 v0, v0, s[2:3] offset:200
	s_wait_loadcnt 0x0
	v_cmp_eq_u32_e32 vcc_lo, 51, v0
	s_cbranch_vccnz .LBB121_376
; %bb.375:
	v_lshlrev_b32_e32 v0, 4, v0
	s_delay_alu instid0(VALU_DEP_1)
	v_add_nc_u32_e32 v8, 16, v0
	s_clause 0x1
	scratch_load_b128 v[0:3], v8, off offset:-16
	scratch_load_b128 v[4:7], off, s20
	s_wait_loadcnt 0x1
	scratch_store_b128 off, v[0:3], s20
	s_wait_loadcnt 0x0
	scratch_store_b128 v8, v[4:7], off offset:-16
.LBB121_376:
	v_mov_b32_e32 v0, 0
	global_load_b32 v1, v0, s[2:3] offset:196
	s_wait_loadcnt 0x0
	v_cmp_eq_u32_e32 vcc_lo, 50, v1
	s_cbranch_vccnz .LBB121_378
; %bb.377:
	v_lshlrev_b32_e32 v1, 4, v1
	s_delay_alu instid0(VALU_DEP_1)
	v_add_nc_u32_e32 v9, 16, v1
	s_clause 0x1
	scratch_load_b128 v[1:4], v9, off offset:-16
	scratch_load_b128 v[5:8], off, s21
	s_wait_loadcnt 0x1
	scratch_store_b128 off, v[1:4], s21
	s_wait_loadcnt 0x0
	scratch_store_b128 v9, v[5:8], off offset:-16
.LBB121_378:
	global_load_b32 v0, v0, s[2:3] offset:192
	s_wait_loadcnt 0x0
	v_cmp_eq_u32_e32 vcc_lo, 49, v0
	s_cbranch_vccnz .LBB121_380
; %bb.379:
	v_lshlrev_b32_e32 v0, 4, v0
	s_delay_alu instid0(VALU_DEP_1)
	v_add_nc_u32_e32 v8, 16, v0
	s_clause 0x1
	scratch_load_b128 v[0:3], v8, off offset:-16
	scratch_load_b128 v[4:7], off, s22
	s_wait_loadcnt 0x1
	scratch_store_b128 off, v[0:3], s22
	s_wait_loadcnt 0x0
	scratch_store_b128 v8, v[4:7], off offset:-16
.LBB121_380:
	v_mov_b32_e32 v0, 0
	global_load_b32 v1, v0, s[2:3] offset:188
	s_wait_loadcnt 0x0
	v_cmp_eq_u32_e32 vcc_lo, 48, v1
	s_cbranch_vccnz .LBB121_382
; %bb.381:
	v_lshlrev_b32_e32 v1, 4, v1
	s_delay_alu instid0(VALU_DEP_1)
	v_add_nc_u32_e32 v9, 16, v1
	s_clause 0x1
	scratch_load_b128 v[1:4], v9, off offset:-16
	scratch_load_b128 v[5:8], off, s23
	s_wait_loadcnt 0x1
	scratch_store_b128 off, v[1:4], s23
	s_wait_loadcnt 0x0
	scratch_store_b128 v9, v[5:8], off offset:-16
.LBB121_382:
	global_load_b32 v0, v0, s[2:3] offset:184
	s_wait_loadcnt 0x0
	v_cmp_eq_u32_e32 vcc_lo, 47, v0
	s_cbranch_vccnz .LBB121_384
; %bb.383:
	v_lshlrev_b32_e32 v0, 4, v0
	s_delay_alu instid0(VALU_DEP_1)
	v_add_nc_u32_e32 v8, 16, v0
	s_clause 0x1
	scratch_load_b128 v[0:3], v8, off offset:-16
	scratch_load_b128 v[4:7], off, s24
	s_wait_loadcnt 0x1
	scratch_store_b128 off, v[0:3], s24
	s_wait_loadcnt 0x0
	scratch_store_b128 v8, v[4:7], off offset:-16
.LBB121_384:
	v_mov_b32_e32 v0, 0
	global_load_b32 v1, v0, s[2:3] offset:180
	s_wait_loadcnt 0x0
	v_cmp_eq_u32_e32 vcc_lo, 46, v1
	s_cbranch_vccnz .LBB121_386
; %bb.385:
	v_lshlrev_b32_e32 v1, 4, v1
	s_delay_alu instid0(VALU_DEP_1)
	v_add_nc_u32_e32 v9, 16, v1
	s_clause 0x1
	scratch_load_b128 v[1:4], v9, off offset:-16
	scratch_load_b128 v[5:8], off, s25
	s_wait_loadcnt 0x1
	scratch_store_b128 off, v[1:4], s25
	s_wait_loadcnt 0x0
	scratch_store_b128 v9, v[5:8], off offset:-16
.LBB121_386:
	global_load_b32 v0, v0, s[2:3] offset:176
	s_wait_loadcnt 0x0
	v_cmp_eq_u32_e32 vcc_lo, 45, v0
	s_cbranch_vccnz .LBB121_388
; %bb.387:
	v_lshlrev_b32_e32 v0, 4, v0
	s_delay_alu instid0(VALU_DEP_1)
	v_add_nc_u32_e32 v8, 16, v0
	s_clause 0x1
	scratch_load_b128 v[0:3], v8, off offset:-16
	scratch_load_b128 v[4:7], off, s26
	s_wait_loadcnt 0x1
	scratch_store_b128 off, v[0:3], s26
	s_wait_loadcnt 0x0
	scratch_store_b128 v8, v[4:7], off offset:-16
.LBB121_388:
	v_mov_b32_e32 v0, 0
	global_load_b32 v1, v0, s[2:3] offset:172
	s_wait_loadcnt 0x0
	v_cmp_eq_u32_e32 vcc_lo, 44, v1
	s_cbranch_vccnz .LBB121_390
; %bb.389:
	v_lshlrev_b32_e32 v1, 4, v1
	s_delay_alu instid0(VALU_DEP_1)
	v_add_nc_u32_e32 v9, 16, v1
	s_clause 0x1
	scratch_load_b128 v[1:4], v9, off offset:-16
	scratch_load_b128 v[5:8], off, s27
	s_wait_loadcnt 0x1
	scratch_store_b128 off, v[1:4], s27
	s_wait_loadcnt 0x0
	scratch_store_b128 v9, v[5:8], off offset:-16
.LBB121_390:
	global_load_b32 v0, v0, s[2:3] offset:168
	s_wait_loadcnt 0x0
	v_cmp_eq_u32_e32 vcc_lo, 43, v0
	s_cbranch_vccnz .LBB121_392
; %bb.391:
	v_lshlrev_b32_e32 v0, 4, v0
	s_delay_alu instid0(VALU_DEP_1)
	v_add_nc_u32_e32 v8, 16, v0
	s_clause 0x1
	scratch_load_b128 v[0:3], v8, off offset:-16
	scratch_load_b128 v[4:7], off, s28
	s_wait_loadcnt 0x1
	scratch_store_b128 off, v[0:3], s28
	s_wait_loadcnt 0x0
	scratch_store_b128 v8, v[4:7], off offset:-16
.LBB121_392:
	v_mov_b32_e32 v0, 0
	global_load_b32 v1, v0, s[2:3] offset:164
	s_wait_loadcnt 0x0
	v_cmp_eq_u32_e32 vcc_lo, 42, v1
	s_cbranch_vccnz .LBB121_394
; %bb.393:
	v_lshlrev_b32_e32 v1, 4, v1
	s_delay_alu instid0(VALU_DEP_1)
	v_add_nc_u32_e32 v9, 16, v1
	s_clause 0x1
	scratch_load_b128 v[1:4], v9, off offset:-16
	scratch_load_b128 v[5:8], off, s29
	s_wait_loadcnt 0x1
	scratch_store_b128 off, v[1:4], s29
	s_wait_loadcnt 0x0
	scratch_store_b128 v9, v[5:8], off offset:-16
.LBB121_394:
	global_load_b32 v0, v0, s[2:3] offset:160
	s_wait_loadcnt 0x0
	v_cmp_eq_u32_e32 vcc_lo, 41, v0
	s_cbranch_vccnz .LBB121_396
; %bb.395:
	v_lshlrev_b32_e32 v0, 4, v0
	s_delay_alu instid0(VALU_DEP_1)
	v_add_nc_u32_e32 v8, 16, v0
	s_clause 0x1
	scratch_load_b128 v[0:3], v8, off offset:-16
	scratch_load_b128 v[4:7], off, s30
	s_wait_loadcnt 0x1
	scratch_store_b128 off, v[0:3], s30
	s_wait_loadcnt 0x0
	scratch_store_b128 v8, v[4:7], off offset:-16
.LBB121_396:
	v_mov_b32_e32 v0, 0
	global_load_b32 v1, v0, s[2:3] offset:156
	s_wait_loadcnt 0x0
	v_cmp_eq_u32_e32 vcc_lo, 40, v1
	s_cbranch_vccnz .LBB121_398
; %bb.397:
	v_lshlrev_b32_e32 v1, 4, v1
	s_delay_alu instid0(VALU_DEP_1)
	v_add_nc_u32_e32 v9, 16, v1
	s_clause 0x1
	scratch_load_b128 v[1:4], v9, off offset:-16
	scratch_load_b128 v[5:8], off, s31
	s_wait_loadcnt 0x1
	scratch_store_b128 off, v[1:4], s31
	s_wait_loadcnt 0x0
	scratch_store_b128 v9, v[5:8], off offset:-16
.LBB121_398:
	global_load_b32 v0, v0, s[2:3] offset:152
	s_wait_loadcnt 0x0
	v_cmp_eq_u32_e32 vcc_lo, 39, v0
	s_cbranch_vccnz .LBB121_400
; %bb.399:
	v_lshlrev_b32_e32 v0, 4, v0
	s_delay_alu instid0(VALU_DEP_1)
	v_add_nc_u32_e32 v8, 16, v0
	s_clause 0x1
	scratch_load_b128 v[0:3], v8, off offset:-16
	scratch_load_b128 v[4:7], off, s33
	s_wait_loadcnt 0x1
	scratch_store_b128 off, v[0:3], s33
	s_wait_loadcnt 0x0
	scratch_store_b128 v8, v[4:7], off offset:-16
.LBB121_400:
	v_mov_b32_e32 v0, 0
	global_load_b32 v1, v0, s[2:3] offset:148
	s_wait_loadcnt 0x0
	v_cmp_eq_u32_e32 vcc_lo, 38, v1
	s_cbranch_vccnz .LBB121_402
; %bb.401:
	v_lshlrev_b32_e32 v1, 4, v1
	s_delay_alu instid0(VALU_DEP_1)
	v_add_nc_u32_e32 v9, 16, v1
	s_clause 0x1
	scratch_load_b128 v[1:4], v9, off offset:-16
	scratch_load_b128 v[5:8], off, s34
	s_wait_loadcnt 0x1
	scratch_store_b128 off, v[1:4], s34
	s_wait_loadcnt 0x0
	scratch_store_b128 v9, v[5:8], off offset:-16
.LBB121_402:
	global_load_b32 v0, v0, s[2:3] offset:144
	s_wait_loadcnt 0x0
	v_cmp_eq_u32_e32 vcc_lo, 37, v0
	s_cbranch_vccnz .LBB121_404
; %bb.403:
	v_lshlrev_b32_e32 v0, 4, v0
	s_delay_alu instid0(VALU_DEP_1)
	v_add_nc_u32_e32 v8, 16, v0
	s_clause 0x1
	scratch_load_b128 v[0:3], v8, off offset:-16
	scratch_load_b128 v[4:7], off, s35
	s_wait_loadcnt 0x1
	scratch_store_b128 off, v[0:3], s35
	s_wait_loadcnt 0x0
	scratch_store_b128 v8, v[4:7], off offset:-16
.LBB121_404:
	v_mov_b32_e32 v0, 0
	global_load_b32 v1, v0, s[2:3] offset:140
	s_wait_loadcnt 0x0
	v_cmp_eq_u32_e32 vcc_lo, 36, v1
	s_cbranch_vccnz .LBB121_406
; %bb.405:
	v_lshlrev_b32_e32 v1, 4, v1
	s_delay_alu instid0(VALU_DEP_1)
	v_add_nc_u32_e32 v9, 16, v1
	s_clause 0x1
	scratch_load_b128 v[1:4], v9, off offset:-16
	scratch_load_b128 v[5:8], off, s36
	s_wait_loadcnt 0x1
	scratch_store_b128 off, v[1:4], s36
	s_wait_loadcnt 0x0
	scratch_store_b128 v9, v[5:8], off offset:-16
.LBB121_406:
	global_load_b32 v0, v0, s[2:3] offset:136
	s_wait_loadcnt 0x0
	v_cmp_eq_u32_e32 vcc_lo, 35, v0
	s_cbranch_vccnz .LBB121_408
; %bb.407:
	v_lshlrev_b32_e32 v0, 4, v0
	s_delay_alu instid0(VALU_DEP_1)
	v_add_nc_u32_e32 v8, 16, v0
	s_clause 0x1
	scratch_load_b128 v[0:3], v8, off offset:-16
	scratch_load_b128 v[4:7], off, s37
	s_wait_loadcnt 0x1
	scratch_store_b128 off, v[0:3], s37
	s_wait_loadcnt 0x0
	scratch_store_b128 v8, v[4:7], off offset:-16
.LBB121_408:
	v_mov_b32_e32 v0, 0
	global_load_b32 v1, v0, s[2:3] offset:132
	s_wait_loadcnt 0x0
	v_cmp_eq_u32_e32 vcc_lo, 34, v1
	s_cbranch_vccnz .LBB121_410
; %bb.409:
	v_lshlrev_b32_e32 v1, 4, v1
	s_delay_alu instid0(VALU_DEP_1)
	v_add_nc_u32_e32 v9, 16, v1
	s_clause 0x1
	scratch_load_b128 v[1:4], v9, off offset:-16
	scratch_load_b128 v[5:8], off, s38
	s_wait_loadcnt 0x1
	scratch_store_b128 off, v[1:4], s38
	s_wait_loadcnt 0x0
	scratch_store_b128 v9, v[5:8], off offset:-16
.LBB121_410:
	global_load_b32 v0, v0, s[2:3] offset:128
	s_wait_loadcnt 0x0
	v_cmp_eq_u32_e32 vcc_lo, 33, v0
	s_cbranch_vccnz .LBB121_412
; %bb.411:
	v_lshlrev_b32_e32 v0, 4, v0
	s_delay_alu instid0(VALU_DEP_1)
	v_add_nc_u32_e32 v8, 16, v0
	s_clause 0x1
	scratch_load_b128 v[0:3], v8, off offset:-16
	scratch_load_b128 v[4:7], off, s39
	s_wait_loadcnt 0x1
	scratch_store_b128 off, v[0:3], s39
	s_wait_loadcnt 0x0
	scratch_store_b128 v8, v[4:7], off offset:-16
.LBB121_412:
	v_mov_b32_e32 v0, 0
	global_load_b32 v1, v0, s[2:3] offset:124
	s_wait_loadcnt 0x0
	v_cmp_eq_u32_e32 vcc_lo, 32, v1
	s_cbranch_vccnz .LBB121_414
; %bb.413:
	v_lshlrev_b32_e32 v1, 4, v1
	s_delay_alu instid0(VALU_DEP_1)
	v_add_nc_u32_e32 v9, 16, v1
	s_clause 0x1
	scratch_load_b128 v[1:4], v9, off offset:-16
	scratch_load_b128 v[5:8], off, s40
	s_wait_loadcnt 0x1
	scratch_store_b128 off, v[1:4], s40
	s_wait_loadcnt 0x0
	scratch_store_b128 v9, v[5:8], off offset:-16
.LBB121_414:
	global_load_b32 v0, v0, s[2:3] offset:120
	s_wait_loadcnt 0x0
	v_cmp_eq_u32_e32 vcc_lo, 31, v0
	s_cbranch_vccnz .LBB121_416
; %bb.415:
	v_lshlrev_b32_e32 v0, 4, v0
	s_delay_alu instid0(VALU_DEP_1)
	v_add_nc_u32_e32 v8, 16, v0
	s_clause 0x1
	scratch_load_b128 v[0:3], v8, off offset:-16
	scratch_load_b128 v[4:7], off, s41
	s_wait_loadcnt 0x1
	scratch_store_b128 off, v[0:3], s41
	s_wait_loadcnt 0x0
	scratch_store_b128 v8, v[4:7], off offset:-16
.LBB121_416:
	v_mov_b32_e32 v0, 0
	global_load_b32 v1, v0, s[2:3] offset:116
	s_wait_loadcnt 0x0
	v_cmp_eq_u32_e32 vcc_lo, 30, v1
	s_cbranch_vccnz .LBB121_418
; %bb.417:
	v_lshlrev_b32_e32 v1, 4, v1
	s_delay_alu instid0(VALU_DEP_1)
	v_add_nc_u32_e32 v9, 16, v1
	s_clause 0x1
	scratch_load_b128 v[1:4], v9, off offset:-16
	scratch_load_b128 v[5:8], off, s42
	s_wait_loadcnt 0x1
	scratch_store_b128 off, v[1:4], s42
	s_wait_loadcnt 0x0
	scratch_store_b128 v9, v[5:8], off offset:-16
.LBB121_418:
	global_load_b32 v0, v0, s[2:3] offset:112
	s_wait_loadcnt 0x0
	v_cmp_eq_u32_e32 vcc_lo, 29, v0
	s_cbranch_vccnz .LBB121_420
; %bb.419:
	v_lshlrev_b32_e32 v0, 4, v0
	s_delay_alu instid0(VALU_DEP_1)
	v_add_nc_u32_e32 v8, 16, v0
	s_clause 0x1
	scratch_load_b128 v[0:3], v8, off offset:-16
	scratch_load_b128 v[4:7], off, s43
	s_wait_loadcnt 0x1
	scratch_store_b128 off, v[0:3], s43
	s_wait_loadcnt 0x0
	scratch_store_b128 v8, v[4:7], off offset:-16
.LBB121_420:
	v_mov_b32_e32 v0, 0
	global_load_b32 v1, v0, s[2:3] offset:108
	s_wait_loadcnt 0x0
	v_cmp_eq_u32_e32 vcc_lo, 28, v1
	s_cbranch_vccnz .LBB121_422
; %bb.421:
	v_lshlrev_b32_e32 v1, 4, v1
	s_delay_alu instid0(VALU_DEP_1)
	v_add_nc_u32_e32 v9, 16, v1
	s_clause 0x1
	scratch_load_b128 v[1:4], v9, off offset:-16
	scratch_load_b128 v[5:8], off, s44
	s_wait_loadcnt 0x1
	scratch_store_b128 off, v[1:4], s44
	s_wait_loadcnt 0x0
	scratch_store_b128 v9, v[5:8], off offset:-16
.LBB121_422:
	global_load_b32 v0, v0, s[2:3] offset:104
	s_wait_loadcnt 0x0
	v_cmp_eq_u32_e32 vcc_lo, 27, v0
	s_cbranch_vccnz .LBB121_424
; %bb.423:
	v_lshlrev_b32_e32 v0, 4, v0
	s_delay_alu instid0(VALU_DEP_1)
	v_add_nc_u32_e32 v8, 16, v0
	s_clause 0x1
	scratch_load_b128 v[0:3], v8, off offset:-16
	scratch_load_b128 v[4:7], off, s45
	s_wait_loadcnt 0x1
	scratch_store_b128 off, v[0:3], s45
	s_wait_loadcnt 0x0
	scratch_store_b128 v8, v[4:7], off offset:-16
.LBB121_424:
	v_mov_b32_e32 v0, 0
	global_load_b32 v1, v0, s[2:3] offset:100
	s_wait_loadcnt 0x0
	v_cmp_eq_u32_e32 vcc_lo, 26, v1
	s_cbranch_vccnz .LBB121_426
; %bb.425:
	v_lshlrev_b32_e32 v1, 4, v1
	s_delay_alu instid0(VALU_DEP_1)
	v_add_nc_u32_e32 v9, 16, v1
	s_clause 0x1
	scratch_load_b128 v[1:4], v9, off offset:-16
	scratch_load_b128 v[5:8], off, s46
	s_wait_loadcnt 0x1
	scratch_store_b128 off, v[1:4], s46
	s_wait_loadcnt 0x0
	scratch_store_b128 v9, v[5:8], off offset:-16
.LBB121_426:
	global_load_b32 v0, v0, s[2:3] offset:96
	s_wait_loadcnt 0x0
	v_cmp_eq_u32_e32 vcc_lo, 25, v0
	s_cbranch_vccnz .LBB121_428
; %bb.427:
	v_lshlrev_b32_e32 v0, 4, v0
	s_delay_alu instid0(VALU_DEP_1)
	v_add_nc_u32_e32 v8, 16, v0
	s_clause 0x1
	scratch_load_b128 v[0:3], v8, off offset:-16
	scratch_load_b128 v[4:7], off, s47
	s_wait_loadcnt 0x1
	scratch_store_b128 off, v[0:3], s47
	s_wait_loadcnt 0x0
	scratch_store_b128 v8, v[4:7], off offset:-16
.LBB121_428:
	v_mov_b32_e32 v0, 0
	global_load_b32 v1, v0, s[2:3] offset:92
	s_wait_loadcnt 0x0
	v_cmp_eq_u32_e32 vcc_lo, 24, v1
	s_cbranch_vccnz .LBB121_430
; %bb.429:
	v_lshlrev_b32_e32 v1, 4, v1
	s_delay_alu instid0(VALU_DEP_1)
	v_add_nc_u32_e32 v9, 16, v1
	s_clause 0x1
	scratch_load_b128 v[1:4], v9, off offset:-16
	scratch_load_b128 v[5:8], off, s48
	s_wait_loadcnt 0x1
	scratch_store_b128 off, v[1:4], s48
	s_wait_loadcnt 0x0
	scratch_store_b128 v9, v[5:8], off offset:-16
.LBB121_430:
	global_load_b32 v0, v0, s[2:3] offset:88
	s_wait_loadcnt 0x0
	v_cmp_eq_u32_e32 vcc_lo, 23, v0
	s_cbranch_vccnz .LBB121_432
; %bb.431:
	v_lshlrev_b32_e32 v0, 4, v0
	s_delay_alu instid0(VALU_DEP_1)
	v_add_nc_u32_e32 v8, 16, v0
	s_clause 0x1
	scratch_load_b128 v[0:3], v8, off offset:-16
	scratch_load_b128 v[4:7], off, s49
	s_wait_loadcnt 0x1
	scratch_store_b128 off, v[0:3], s49
	s_wait_loadcnt 0x0
	scratch_store_b128 v8, v[4:7], off offset:-16
.LBB121_432:
	v_mov_b32_e32 v0, 0
	global_load_b32 v1, v0, s[2:3] offset:84
	s_wait_loadcnt 0x0
	v_cmp_eq_u32_e32 vcc_lo, 22, v1
	s_cbranch_vccnz .LBB121_434
; %bb.433:
	v_lshlrev_b32_e32 v1, 4, v1
	s_delay_alu instid0(VALU_DEP_1)
	v_add_nc_u32_e32 v9, 16, v1
	s_clause 0x1
	scratch_load_b128 v[1:4], v9, off offset:-16
	scratch_load_b128 v[5:8], off, s50
	s_wait_loadcnt 0x1
	scratch_store_b128 off, v[1:4], s50
	s_wait_loadcnt 0x0
	scratch_store_b128 v9, v[5:8], off offset:-16
.LBB121_434:
	global_load_b32 v0, v0, s[2:3] offset:80
	s_wait_loadcnt 0x0
	v_cmp_eq_u32_e32 vcc_lo, 21, v0
	s_cbranch_vccnz .LBB121_436
; %bb.435:
	v_lshlrev_b32_e32 v0, 4, v0
	s_delay_alu instid0(VALU_DEP_1)
	v_add_nc_u32_e32 v8, 16, v0
	s_clause 0x1
	scratch_load_b128 v[0:3], v8, off offset:-16
	scratch_load_b128 v[4:7], off, s51
	s_wait_loadcnt 0x1
	scratch_store_b128 off, v[0:3], s51
	s_wait_loadcnt 0x0
	scratch_store_b128 v8, v[4:7], off offset:-16
.LBB121_436:
	v_mov_b32_e32 v0, 0
	global_load_b32 v1, v0, s[2:3] offset:76
	s_wait_loadcnt 0x0
	v_cmp_eq_u32_e32 vcc_lo, 20, v1
	s_cbranch_vccnz .LBB121_438
; %bb.437:
	v_lshlrev_b32_e32 v1, 4, v1
	s_delay_alu instid0(VALU_DEP_1)
	v_add_nc_u32_e32 v9, 16, v1
	s_clause 0x1
	scratch_load_b128 v[1:4], v9, off offset:-16
	scratch_load_b128 v[5:8], off, s52
	s_wait_loadcnt 0x1
	scratch_store_b128 off, v[1:4], s52
	s_wait_loadcnt 0x0
	scratch_store_b128 v9, v[5:8], off offset:-16
.LBB121_438:
	global_load_b32 v0, v0, s[2:3] offset:72
	s_wait_loadcnt 0x0
	v_cmp_eq_u32_e32 vcc_lo, 19, v0
	s_cbranch_vccnz .LBB121_440
; %bb.439:
	v_lshlrev_b32_e32 v0, 4, v0
	s_delay_alu instid0(VALU_DEP_1)
	v_add_nc_u32_e32 v8, 16, v0
	s_clause 0x1
	scratch_load_b128 v[0:3], v8, off offset:-16
	scratch_load_b128 v[4:7], off, s53
	s_wait_loadcnt 0x1
	scratch_store_b128 off, v[0:3], s53
	s_wait_loadcnt 0x0
	scratch_store_b128 v8, v[4:7], off offset:-16
.LBB121_440:
	v_mov_b32_e32 v0, 0
	global_load_b32 v1, v0, s[2:3] offset:68
	s_wait_loadcnt 0x0
	v_cmp_eq_u32_e32 vcc_lo, 18, v1
	s_cbranch_vccnz .LBB121_442
; %bb.441:
	v_lshlrev_b32_e32 v1, 4, v1
	s_delay_alu instid0(VALU_DEP_1)
	v_add_nc_u32_e32 v9, 16, v1
	s_clause 0x1
	scratch_load_b128 v[1:4], v9, off offset:-16
	scratch_load_b128 v[5:8], off, s54
	s_wait_loadcnt 0x1
	scratch_store_b128 off, v[1:4], s54
	s_wait_loadcnt 0x0
	scratch_store_b128 v9, v[5:8], off offset:-16
.LBB121_442:
	global_load_b32 v0, v0, s[2:3] offset:64
	s_wait_loadcnt 0x0
	v_cmp_eq_u32_e32 vcc_lo, 17, v0
	s_cbranch_vccnz .LBB121_444
; %bb.443:
	v_lshlrev_b32_e32 v0, 4, v0
	s_delay_alu instid0(VALU_DEP_1)
	v_add_nc_u32_e32 v8, 16, v0
	s_clause 0x1
	scratch_load_b128 v[0:3], v8, off offset:-16
	scratch_load_b128 v[4:7], off, s55
	s_wait_loadcnt 0x1
	scratch_store_b128 off, v[0:3], s55
	s_wait_loadcnt 0x0
	scratch_store_b128 v8, v[4:7], off offset:-16
.LBB121_444:
	v_mov_b32_e32 v0, 0
	global_load_b32 v1, v0, s[2:3] offset:60
	s_wait_loadcnt 0x0
	v_cmp_eq_u32_e32 vcc_lo, 16, v1
	s_cbranch_vccnz .LBB121_446
; %bb.445:
	v_lshlrev_b32_e32 v1, 4, v1
	s_delay_alu instid0(VALU_DEP_1)
	v_add_nc_u32_e32 v9, 16, v1
	s_clause 0x1
	scratch_load_b128 v[1:4], v9, off offset:-16
	scratch_load_b128 v[5:8], off, s56
	s_wait_loadcnt 0x1
	scratch_store_b128 off, v[1:4], s56
	s_wait_loadcnt 0x0
	scratch_store_b128 v9, v[5:8], off offset:-16
.LBB121_446:
	global_load_b32 v0, v0, s[2:3] offset:56
	s_wait_loadcnt 0x0
	v_cmp_eq_u32_e32 vcc_lo, 15, v0
	s_cbranch_vccnz .LBB121_448
; %bb.447:
	v_lshlrev_b32_e32 v0, 4, v0
	s_delay_alu instid0(VALU_DEP_1)
	v_add_nc_u32_e32 v8, 16, v0
	s_clause 0x1
	scratch_load_b128 v[0:3], v8, off offset:-16
	scratch_load_b128 v[4:7], off, s57
	s_wait_loadcnt 0x1
	scratch_store_b128 off, v[0:3], s57
	s_wait_loadcnt 0x0
	scratch_store_b128 v8, v[4:7], off offset:-16
.LBB121_448:
	v_mov_b32_e32 v0, 0
	global_load_b32 v1, v0, s[2:3] offset:52
	s_wait_loadcnt 0x0
	v_cmp_eq_u32_e32 vcc_lo, 14, v1
	s_cbranch_vccnz .LBB121_450
; %bb.449:
	v_lshlrev_b32_e32 v1, 4, v1
	s_delay_alu instid0(VALU_DEP_1)
	v_add_nc_u32_e32 v9, 16, v1
	s_clause 0x1
	scratch_load_b128 v[1:4], v9, off offset:-16
	scratch_load_b128 v[5:8], off, s58
	s_wait_loadcnt 0x1
	scratch_store_b128 off, v[1:4], s58
	s_wait_loadcnt 0x0
	scratch_store_b128 v9, v[5:8], off offset:-16
.LBB121_450:
	global_load_b32 v0, v0, s[2:3] offset:48
	s_wait_loadcnt 0x0
	v_cmp_eq_u32_e32 vcc_lo, 13, v0
	s_cbranch_vccnz .LBB121_452
; %bb.451:
	v_lshlrev_b32_e32 v0, 4, v0
	s_delay_alu instid0(VALU_DEP_1)
	v_add_nc_u32_e32 v8, 16, v0
	s_clause 0x1
	scratch_load_b128 v[0:3], v8, off offset:-16
	scratch_load_b128 v[4:7], off, s59
	s_wait_loadcnt 0x1
	scratch_store_b128 off, v[0:3], s59
	s_wait_loadcnt 0x0
	scratch_store_b128 v8, v[4:7], off offset:-16
.LBB121_452:
	v_mov_b32_e32 v0, 0
	global_load_b32 v1, v0, s[2:3] offset:44
	s_wait_loadcnt 0x0
	v_cmp_eq_u32_e32 vcc_lo, 12, v1
	s_cbranch_vccnz .LBB121_454
; %bb.453:
	v_lshlrev_b32_e32 v1, 4, v1
	s_delay_alu instid0(VALU_DEP_1)
	v_add_nc_u32_e32 v9, 16, v1
	s_clause 0x1
	scratch_load_b128 v[1:4], v9, off offset:-16
	scratch_load_b128 v[5:8], off, s60
	s_wait_loadcnt 0x1
	scratch_store_b128 off, v[1:4], s60
	s_wait_loadcnt 0x0
	scratch_store_b128 v9, v[5:8], off offset:-16
.LBB121_454:
	global_load_b32 v0, v0, s[2:3] offset:40
	s_wait_loadcnt 0x0
	v_cmp_eq_u32_e32 vcc_lo, 11, v0
	s_cbranch_vccnz .LBB121_456
; %bb.455:
	v_lshlrev_b32_e32 v0, 4, v0
	s_delay_alu instid0(VALU_DEP_1)
	v_add_nc_u32_e32 v8, 16, v0
	s_clause 0x1
	scratch_load_b128 v[0:3], v8, off offset:-16
	scratch_load_b128 v[4:7], off, s61
	s_wait_loadcnt 0x1
	scratch_store_b128 off, v[0:3], s61
	s_wait_loadcnt 0x0
	scratch_store_b128 v8, v[4:7], off offset:-16
.LBB121_456:
	v_mov_b32_e32 v0, 0
	global_load_b32 v1, v0, s[2:3] offset:36
	s_wait_loadcnt 0x0
	v_cmp_eq_u32_e32 vcc_lo, 10, v1
	s_cbranch_vccnz .LBB121_458
; %bb.457:
	v_lshlrev_b32_e32 v1, 4, v1
	s_delay_alu instid0(VALU_DEP_1)
	v_add_nc_u32_e32 v9, 16, v1
	s_clause 0x1
	scratch_load_b128 v[1:4], v9, off offset:-16
	scratch_load_b128 v[5:8], off, s62
	s_wait_loadcnt 0x1
	scratch_store_b128 off, v[1:4], s62
	s_wait_loadcnt 0x0
	scratch_store_b128 v9, v[5:8], off offset:-16
.LBB121_458:
	global_load_b32 v0, v0, s[2:3] offset:32
	s_wait_loadcnt 0x0
	v_cmp_eq_u32_e32 vcc_lo, 9, v0
	s_cbranch_vccnz .LBB121_460
; %bb.459:
	v_lshlrev_b32_e32 v0, 4, v0
	s_delay_alu instid0(VALU_DEP_1)
	v_add_nc_u32_e32 v8, 16, v0
	s_clause 0x1
	scratch_load_b128 v[0:3], v8, off offset:-16
	scratch_load_b128 v[4:7], off, s63
	s_wait_loadcnt 0x1
	scratch_store_b128 off, v[0:3], s63
	s_wait_loadcnt 0x0
	scratch_store_b128 v8, v[4:7], off offset:-16
.LBB121_460:
	v_mov_b32_e32 v0, 0
	global_load_b32 v1, v0, s[2:3] offset:28
	s_wait_loadcnt 0x0
	v_cmp_eq_u32_e32 vcc_lo, 8, v1
	s_cbranch_vccnz .LBB121_462
; %bb.461:
	v_lshlrev_b32_e32 v1, 4, v1
	s_delay_alu instid0(VALU_DEP_1)
	v_add_nc_u32_e32 v9, 16, v1
	s_clause 0x1
	scratch_load_b128 v[1:4], v9, off offset:-16
	scratch_load_b128 v[5:8], off, s64
	s_wait_loadcnt 0x1
	scratch_store_b128 off, v[1:4], s64
	s_wait_loadcnt 0x0
	scratch_store_b128 v9, v[5:8], off offset:-16
.LBB121_462:
	global_load_b32 v0, v0, s[2:3] offset:24
	s_wait_loadcnt 0x0
	v_cmp_eq_u32_e32 vcc_lo, 7, v0
	s_cbranch_vccnz .LBB121_464
; %bb.463:
	v_lshlrev_b32_e32 v0, 4, v0
	s_delay_alu instid0(VALU_DEP_1)
	v_add_nc_u32_e32 v8, 16, v0
	s_clause 0x1
	scratch_load_b128 v[0:3], v8, off offset:-16
	scratch_load_b128 v[4:7], off, s65
	s_wait_loadcnt 0x1
	scratch_store_b128 off, v[0:3], s65
	s_wait_loadcnt 0x0
	scratch_store_b128 v8, v[4:7], off offset:-16
.LBB121_464:
	v_mov_b32_e32 v0, 0
	global_load_b32 v1, v0, s[2:3] offset:20
	s_wait_loadcnt 0x0
	v_cmp_eq_u32_e32 vcc_lo, 6, v1
	s_cbranch_vccnz .LBB121_466
; %bb.465:
	v_lshlrev_b32_e32 v1, 4, v1
	s_delay_alu instid0(VALU_DEP_1)
	v_add_nc_u32_e32 v9, 16, v1
	s_clause 0x1
	scratch_load_b128 v[1:4], v9, off offset:-16
	scratch_load_b128 v[5:8], off, s66
	s_wait_loadcnt 0x1
	scratch_store_b128 off, v[1:4], s66
	s_wait_loadcnt 0x0
	scratch_store_b128 v9, v[5:8], off offset:-16
.LBB121_466:
	global_load_b32 v0, v0, s[2:3] offset:16
	s_wait_loadcnt 0x0
	v_cmp_eq_u32_e32 vcc_lo, 5, v0
	s_cbranch_vccnz .LBB121_468
; %bb.467:
	v_lshlrev_b32_e32 v0, 4, v0
	s_delay_alu instid0(VALU_DEP_1)
	v_add_nc_u32_e32 v8, 16, v0
	s_clause 0x1
	scratch_load_b128 v[0:3], v8, off offset:-16
	scratch_load_b128 v[4:7], off, s4
	s_wait_loadcnt 0x1
	scratch_store_b128 off, v[0:3], s4
	s_wait_loadcnt 0x0
	scratch_store_b128 v8, v[4:7], off offset:-16
.LBB121_468:
	v_mov_b32_e32 v0, 0
	global_load_b32 v1, v0, s[2:3] offset:12
	s_wait_loadcnt 0x0
	v_cmp_eq_u32_e32 vcc_lo, 4, v1
	s_cbranch_vccnz .LBB121_470
; %bb.469:
	v_lshlrev_b32_e32 v1, 4, v1
	s_delay_alu instid0(VALU_DEP_1)
	v_add_nc_u32_e32 v9, 16, v1
	s_clause 0x1
	scratch_load_b128 v[1:4], v9, off offset:-16
	scratch_load_b128 v[5:8], off, s10
	s_wait_loadcnt 0x1
	scratch_store_b128 off, v[1:4], s10
	s_wait_loadcnt 0x0
	scratch_store_b128 v9, v[5:8], off offset:-16
.LBB121_470:
	global_load_b32 v0, v0, s[2:3] offset:8
	s_wait_loadcnt 0x0
	v_cmp_eq_u32_e32 vcc_lo, 3, v0
	s_cbranch_vccnz .LBB121_472
; %bb.471:
	v_lshlrev_b32_e32 v0, 4, v0
	s_delay_alu instid0(VALU_DEP_1)
	v_add_nc_u32_e32 v8, 16, v0
	s_clause 0x1
	scratch_load_b128 v[0:3], v8, off offset:-16
	scratch_load_b128 v[4:7], off, s13
	s_wait_loadcnt 0x1
	scratch_store_b128 off, v[0:3], s13
	s_wait_loadcnt 0x0
	scratch_store_b128 v8, v[4:7], off offset:-16
.LBB121_472:
	v_mov_b32_e32 v0, 0
	global_load_b32 v1, v0, s[2:3] offset:4
	s_wait_loadcnt 0x0
	v_cmp_eq_u32_e32 vcc_lo, 2, v1
	s_cbranch_vccnz .LBB121_474
; %bb.473:
	v_lshlrev_b32_e32 v1, 4, v1
	s_delay_alu instid0(VALU_DEP_1)
	v_add_nc_u32_e32 v9, 16, v1
	s_clause 0x1
	scratch_load_b128 v[1:4], v9, off offset:-16
	scratch_load_b128 v[5:8], off, s15
	s_wait_loadcnt 0x1
	scratch_store_b128 off, v[1:4], s15
	s_wait_loadcnt 0x0
	scratch_store_b128 v9, v[5:8], off offset:-16
.LBB121_474:
	global_load_b32 v0, v0, s[2:3]
	s_wait_loadcnt 0x0
	v_cmp_eq_u32_e32 vcc_lo, 1, v0
	s_cbranch_vccnz .LBB121_476
; %bb.475:
	v_lshlrev_b32_e32 v0, 4, v0
	s_delay_alu instid0(VALU_DEP_1)
	v_add_nc_u32_e32 v8, 16, v0
	scratch_load_b128 v[0:3], v8, off offset:-16
	scratch_load_b128 v[4:7], off, off offset:16
	s_wait_loadcnt 0x1
	scratch_store_b128 off, v[0:3], off offset:16
	s_wait_loadcnt 0x0
	scratch_store_b128 v8, v[4:7], off offset:-16
.LBB121_476:
	scratch_load_b128 v[0:3], off, off offset:16
	s_wait_loadcnt 0x0
	flat_store_b128 v[46:47], v[0:3]
	scratch_load_b128 v[0:3], off, s15
	s_wait_loadcnt 0x0
	flat_store_b128 v[48:49], v[0:3]
	scratch_load_b128 v[0:3], off, s13
	;; [unrolled: 3-line block ×57, first 2 shown]
	s_wait_loadcnt 0x0
	flat_store_b128 v[160:161], v[0:3]
	s_nop 0
	s_sendmsg sendmsg(MSG_DEALLOC_VGPRS)
	s_endpgm
	.section	.rodata,"a",@progbits
	.p2align	6, 0x0
	.amdhsa_kernel _ZN9rocsolver6v33100L18getri_kernel_smallILi58E19rocblas_complex_numIdEPKPS3_EEvT1_iilPiilS8_bb
		.amdhsa_group_segment_fixed_size 1864
		.amdhsa_private_segment_fixed_size 960
		.amdhsa_kernarg_size 60
		.amdhsa_user_sgpr_count 2
		.amdhsa_user_sgpr_dispatch_ptr 0
		.amdhsa_user_sgpr_queue_ptr 0
		.amdhsa_user_sgpr_kernarg_segment_ptr 1
		.amdhsa_user_sgpr_dispatch_id 0
		.amdhsa_user_sgpr_private_segment_size 0
		.amdhsa_wavefront_size32 1
		.amdhsa_uses_dynamic_stack 0
		.amdhsa_enable_private_segment 1
		.amdhsa_system_sgpr_workgroup_id_x 1
		.amdhsa_system_sgpr_workgroup_id_y 0
		.amdhsa_system_sgpr_workgroup_id_z 0
		.amdhsa_system_sgpr_workgroup_info 0
		.amdhsa_system_vgpr_workitem_id 0
		.amdhsa_next_free_vgpr 189
		.amdhsa_next_free_sgpr 93
		.amdhsa_reserve_vcc 1
		.amdhsa_float_round_mode_32 0
		.amdhsa_float_round_mode_16_64 0
		.amdhsa_float_denorm_mode_32 3
		.amdhsa_float_denorm_mode_16_64 3
		.amdhsa_fp16_overflow 0
		.amdhsa_workgroup_processor_mode 1
		.amdhsa_memory_ordered 1
		.amdhsa_forward_progress 1
		.amdhsa_inst_pref_size 255
		.amdhsa_round_robin_scheduling 0
		.amdhsa_exception_fp_ieee_invalid_op 0
		.amdhsa_exception_fp_denorm_src 0
		.amdhsa_exception_fp_ieee_div_zero 0
		.amdhsa_exception_fp_ieee_overflow 0
		.amdhsa_exception_fp_ieee_underflow 0
		.amdhsa_exception_fp_ieee_inexact 0
		.amdhsa_exception_int_div_zero 0
	.end_amdhsa_kernel
	.section	.text._ZN9rocsolver6v33100L18getri_kernel_smallILi58E19rocblas_complex_numIdEPKPS3_EEvT1_iilPiilS8_bb,"axG",@progbits,_ZN9rocsolver6v33100L18getri_kernel_smallILi58E19rocblas_complex_numIdEPKPS3_EEvT1_iilPiilS8_bb,comdat
.Lfunc_end121:
	.size	_ZN9rocsolver6v33100L18getri_kernel_smallILi58E19rocblas_complex_numIdEPKPS3_EEvT1_iilPiilS8_bb, .Lfunc_end121-_ZN9rocsolver6v33100L18getri_kernel_smallILi58E19rocblas_complex_numIdEPKPS3_EEvT1_iilPiilS8_bb
                                        ; -- End function
	.set _ZN9rocsolver6v33100L18getri_kernel_smallILi58E19rocblas_complex_numIdEPKPS3_EEvT1_iilPiilS8_bb.num_vgpr, 189
	.set _ZN9rocsolver6v33100L18getri_kernel_smallILi58E19rocblas_complex_numIdEPKPS3_EEvT1_iilPiilS8_bb.num_agpr, 0
	.set _ZN9rocsolver6v33100L18getri_kernel_smallILi58E19rocblas_complex_numIdEPKPS3_EEvT1_iilPiilS8_bb.numbered_sgpr, 93
	.set _ZN9rocsolver6v33100L18getri_kernel_smallILi58E19rocblas_complex_numIdEPKPS3_EEvT1_iilPiilS8_bb.num_named_barrier, 0
	.set _ZN9rocsolver6v33100L18getri_kernel_smallILi58E19rocblas_complex_numIdEPKPS3_EEvT1_iilPiilS8_bb.private_seg_size, 960
	.set _ZN9rocsolver6v33100L18getri_kernel_smallILi58E19rocblas_complex_numIdEPKPS3_EEvT1_iilPiilS8_bb.uses_vcc, 1
	.set _ZN9rocsolver6v33100L18getri_kernel_smallILi58E19rocblas_complex_numIdEPKPS3_EEvT1_iilPiilS8_bb.uses_flat_scratch, 1
	.set _ZN9rocsolver6v33100L18getri_kernel_smallILi58E19rocblas_complex_numIdEPKPS3_EEvT1_iilPiilS8_bb.has_dyn_sized_stack, 0
	.set _ZN9rocsolver6v33100L18getri_kernel_smallILi58E19rocblas_complex_numIdEPKPS3_EEvT1_iilPiilS8_bb.has_recursion, 0
	.set _ZN9rocsolver6v33100L18getri_kernel_smallILi58E19rocblas_complex_numIdEPKPS3_EEvT1_iilPiilS8_bb.has_indirect_call, 0
	.section	.AMDGPU.csdata,"",@progbits
; Kernel info:
; codeLenInByte = 131620
; TotalNumSgprs: 95
; NumVgprs: 189
; ScratchSize: 960
; MemoryBound: 0
; FloatMode: 240
; IeeeMode: 1
; LDSByteSize: 1864 bytes/workgroup (compile time only)
; SGPRBlocks: 0
; VGPRBlocks: 23
; NumSGPRsForWavesPerEU: 95
; NumVGPRsForWavesPerEU: 189
; Occupancy: 8
; WaveLimiterHint : 1
; COMPUTE_PGM_RSRC2:SCRATCH_EN: 1
; COMPUTE_PGM_RSRC2:USER_SGPR: 2
; COMPUTE_PGM_RSRC2:TRAP_HANDLER: 0
; COMPUTE_PGM_RSRC2:TGID_X_EN: 1
; COMPUTE_PGM_RSRC2:TGID_Y_EN: 0
; COMPUTE_PGM_RSRC2:TGID_Z_EN: 0
; COMPUTE_PGM_RSRC2:TIDIG_COMP_CNT: 0
	.section	.text._ZN9rocsolver6v33100L18getri_kernel_smallILi59E19rocblas_complex_numIdEPKPS3_EEvT1_iilPiilS8_bb,"axG",@progbits,_ZN9rocsolver6v33100L18getri_kernel_smallILi59E19rocblas_complex_numIdEPKPS3_EEvT1_iilPiilS8_bb,comdat
	.globl	_ZN9rocsolver6v33100L18getri_kernel_smallILi59E19rocblas_complex_numIdEPKPS3_EEvT1_iilPiilS8_bb ; -- Begin function _ZN9rocsolver6v33100L18getri_kernel_smallILi59E19rocblas_complex_numIdEPKPS3_EEvT1_iilPiilS8_bb
	.p2align	8
	.type	_ZN9rocsolver6v33100L18getri_kernel_smallILi59E19rocblas_complex_numIdEPKPS3_EEvT1_iilPiilS8_bb,@function
_ZN9rocsolver6v33100L18getri_kernel_smallILi59E19rocblas_complex_numIdEPKPS3_EEvT1_iilPiilS8_bb: ; @_ZN9rocsolver6v33100L18getri_kernel_smallILi59E19rocblas_complex_numIdEPKPS3_EEvT1_iilPiilS8_bb
; %bb.0:
	s_mov_b32 s2, exec_lo
	v_cmpx_gt_u32_e32 59, v0
	s_cbranch_execz .LBB122_250
; %bb.1:
	s_clause 0x1
	s_load_b32 s13, s[0:1], 0x38
	s_load_b64 s[2:3], s[0:1], 0x0
	s_mov_b32 s8, ttmp9
	s_load_b128 s[4:7], s[0:1], 0x28
	s_wait_kmcnt 0x0
	s_bitcmp1_b32 s13, 8
	s_cselect_b32 s12, -1, 0
	s_ashr_i32 s9, ttmp9, 31
	s_delay_alu instid0(SALU_CYCLE_1) | instskip(NEXT) | instid1(SALU_CYCLE_1)
	s_lshl_b64 s[10:11], s[8:9], 3
	s_add_nc_u64 s[2:3], s[2:3], s[10:11]
	s_load_b64 s[10:11], s[2:3], 0x0
	s_bfe_u32 s2, s13, 0x10008
	s_delay_alu instid0(SALU_CYCLE_1)
	s_cmp_eq_u32 s2, 0
                                        ; implicit-def: $sgpr2_sgpr3
	s_cbranch_scc1 .LBB122_3
; %bb.2:
	s_load_b96 s[16:18], s[0:1], 0x18
	s_mul_u64 s[2:3], s[4:5], s[8:9]
	s_delay_alu instid0(SALU_CYCLE_1)
	s_lshl_b64 s[2:3], s[2:3], 2
	s_wait_kmcnt 0x0
	s_ashr_i32 s5, s18, 31
	s_mov_b32 s4, s18
	s_add_nc_u64 s[2:3], s[16:17], s[2:3]
	s_lshl_b64 s[4:5], s[4:5], 2
	s_delay_alu instid0(SALU_CYCLE_1)
	s_add_nc_u64 s[2:3], s[2:3], s[4:5]
.LBB122_3:
	s_clause 0x1
	s_load_b64 s[4:5], s[0:1], 0x8
	s_load_b32 s68, s[0:1], 0x38
	v_lshlrev_b32_e32 v13, 4, v0
	s_movk_i32 s14, 0x90
	s_movk_i32 s16, 0xa0
	;; [unrolled: 1-line block ×17, first 2 shown]
	s_wait_kmcnt 0x0
	s_ashr_i32 s1, s4, 31
	s_mov_b32 s0, s4
	v_add3_u32 v5, s5, s5, v0
	s_lshl_b64 s[0:1], s[0:1], 4
	s_movk_i32 s33, 0x1a0
	s_add_nc_u64 s[0:1], s[10:11], s[0:1]
	s_ashr_i32 s11, s5, 31
	v_add_co_u32 v46, s4, s0, v13
	s_wait_alu 0xf1ff
	v_add_co_ci_u32_e64 v47, null, s1, 0, s4
	s_mov_b32 s10, s5
	v_ashrrev_i32_e32 v6, 31, v5
	s_lshl_b64 s[10:11], s[10:11], 4
	flat_load_b128 v[1:4], v[46:47]
	v_add_co_u32 v48, vcc_lo, v46, s10
	s_delay_alu instid0(VALU_DEP_1)
	v_add_co_ci_u32_e64 v49, null, s11, v47, vcc_lo
	v_lshlrev_b64_e32 v[6:7], 4, v[5:6]
	v_add_nc_u32_e32 v5, s5, v5
	s_movk_i32 s11, 0x80
	s_movk_i32 s34, 0x1b0
	s_movk_i32 s35, 0x1c0
	s_movk_i32 s36, 0x1d0
	v_add_co_u32 v50, vcc_lo, s0, v6
	s_wait_alu 0xfffd
	v_add_co_ci_u32_e64 v51, null, s1, v7, vcc_lo
	v_ashrrev_i32_e32 v6, 31, v5
	s_movk_i32 s37, 0x1e0
	s_movk_i32 s38, 0x1f0
	s_movk_i32 s39, 0x200
	s_movk_i32 s69, 0x210
	v_lshlrev_b64_e32 v[6:7], 4, v[5:6]
	v_add_nc_u32_e32 v5, s5, v5
	s_movk_i32 s70, 0x220
	s_movk_i32 s71, 0x230
	s_movk_i32 s72, 0x240
	s_movk_i32 s73, 0x250
	v_add_co_u32 v52, vcc_lo, s0, v6
	s_wait_alu 0xfffd
	v_add_co_ci_u32_e64 v53, null, s1, v7, vcc_lo
	v_ashrrev_i32_e32 v6, 31, v5
	s_movk_i32 s74, 0x260
	s_movk_i32 s75, 0x270
	s_movk_i32 s76, 0x280
	s_movk_i32 s77, 0x290
	;; [unrolled: 14-line block ×4, first 2 shown]
	v_lshlrev_b64_e32 v[6:7], 4, v[5:6]
	v_add_nc_u32_e32 v5, s5, v5
	s_movk_i32 s94, 0x3a0
	s_wait_alu 0xfffe
	s_add_co_i32 s64, s11, 16
	s_add_co_i32 s63, s14, 16
	s_add_co_i32 s62, s16, 16
	v_add_co_u32 v58, vcc_lo, s0, v6
	s_wait_alu 0xfffd
	v_add_co_ci_u32_e64 v59, null, s1, v7, vcc_lo
	v_ashrrev_i32_e32 v6, 31, v5
	s_add_co_i32 s61, s17, 16
	s_add_co_i32 s60, s18, 16
	s_add_co_i32 s59, s19, 16
	s_add_co_i32 s58, s20, 16
	v_lshlrev_b64_e32 v[6:7], 4, v[5:6]
	v_add_nc_u32_e32 v5, s5, v5
	s_add_co_i32 s57, s21, 16
	s_add_co_i32 s56, s22, 16
	s_add_co_i32 s55, s23, 16
	s_add_co_i32 s54, s24, 16
	v_add_co_u32 v60, vcc_lo, s0, v6
	s_wait_alu 0xfffd
	v_add_co_ci_u32_e64 v61, null, s1, v7, vcc_lo
	v_ashrrev_i32_e32 v6, 31, v5
	s_add_co_i32 s53, s25, 16
	s_add_co_i32 s52, s26, 16
	s_add_co_i32 s51, s27, 16
	s_add_co_i32 s50, s28, 16
	v_lshlrev_b64_e32 v[6:7], 4, v[5:6]
	v_add_nc_u32_e32 v5, s5, v5
	s_add_co_i32 s49, s29, 16
	;; [unrolled: 14-line block ×6, first 2 shown]
	s_add_co_i32 s14, s92, 16
	s_add_co_i32 s11, s93, 16
	s_mov_b32 s15, 32
	v_add_co_u32 v70, vcc_lo, s0, v6
	s_wait_alu 0xfffd
	v_add_co_ci_u32_e64 v71, null, s1, v7, vcc_lo
	v_ashrrev_i32_e32 v6, 31, v5
	s_mov_b32 s13, 48
	s_mov_b32 s10, 64
	s_movk_i32 s4, 0x50
	s_delay_alu instid0(VALU_DEP_1) | instskip(SKIP_1) | instid1(VALU_DEP_2)
	v_lshlrev_b64_e32 v[6:7], 4, v[5:6]
	v_add_nc_u32_e32 v5, s5, v5
	v_add_co_u32 v72, vcc_lo, s0, v6
	s_wait_alu 0xfffd
	s_delay_alu instid0(VALU_DEP_3) | instskip(NEXT) | instid1(VALU_DEP_3)
	v_add_co_ci_u32_e64 v73, null, s1, v7, vcc_lo
	v_ashrrev_i32_e32 v6, 31, v5
	s_delay_alu instid0(VALU_DEP_1) | instskip(SKIP_1) | instid1(VALU_DEP_2)
	v_lshlrev_b64_e32 v[6:7], 4, v[5:6]
	v_add_nc_u32_e32 v5, s5, v5
	v_add_co_u32 v74, vcc_lo, s0, v6
	s_wait_alu 0xfffd
	s_delay_alu instid0(VALU_DEP_3) | instskip(NEXT) | instid1(VALU_DEP_3)
	v_add_co_ci_u32_e64 v75, null, s1, v7, vcc_lo
	v_ashrrev_i32_e32 v6, 31, v5
	;; [unrolled: 8-line block ×10, first 2 shown]
	s_delay_alu instid0(VALU_DEP_1)
	v_lshlrev_b64_e32 v[6:7], 4, v[5:6]
	s_wait_loadcnt_dscnt 0x0
	scratch_store_b128 off, v[1:4], off offset:16
	flat_load_b128 v[1:4], v[48:49]
	v_add_nc_u32_e32 v5, s5, v5
	v_add_co_u32 v92, vcc_lo, s0, v6
	s_wait_alu 0xfffd
	v_add_co_ci_u32_e64 v93, null, s1, v7, vcc_lo
	s_delay_alu instid0(VALU_DEP_3) | instskip(NEXT) | instid1(VALU_DEP_1)
	v_ashrrev_i32_e32 v6, 31, v5
	v_lshlrev_b64_e32 v[6:7], 4, v[5:6]
	v_add_nc_u32_e32 v5, s5, v5
	s_delay_alu instid0(VALU_DEP_2) | instskip(SKIP_1) | instid1(VALU_DEP_3)
	v_add_co_u32 v94, vcc_lo, s0, v6
	s_wait_alu 0xfffd
	v_add_co_ci_u32_e64 v95, null, s1, v7, vcc_lo
	s_delay_alu instid0(VALU_DEP_3) | instskip(NEXT) | instid1(VALU_DEP_1)
	v_ashrrev_i32_e32 v6, 31, v5
	v_lshlrev_b64_e32 v[6:7], 4, v[5:6]
	v_add_nc_u32_e32 v5, s5, v5
	s_delay_alu instid0(VALU_DEP_2) | instskip(SKIP_1) | instid1(VALU_DEP_3)
	;; [unrolled: 8-line block ×20, first 2 shown]
	v_add_co_u32 v132, vcc_lo, s0, v6
	s_wait_alu 0xfffd
	v_add_co_ci_u32_e64 v133, null, s1, v7, vcc_lo
	s_delay_alu instid0(VALU_DEP_3) | instskip(NEXT) | instid1(VALU_DEP_1)
	v_ashrrev_i32_e32 v6, 31, v5
	v_lshlrev_b64_e32 v[6:7], 4, v[5:6]
	v_add_nc_u32_e32 v5, s5, v5
	s_delay_alu instid0(VALU_DEP_2)
	v_add_co_u32 v134, vcc_lo, s0, v6
	s_wait_loadcnt_dscnt 0x0
	scratch_store_b128 off, v[1:4], off offset:32
	flat_load_b128 v[1:4], v[50:51]
	s_wait_alu 0xfffd
	v_add_co_ci_u32_e64 v135, null, s1, v7, vcc_lo
	v_ashrrev_i32_e32 v6, 31, v5
	s_delay_alu instid0(VALU_DEP_1) | instskip(SKIP_1) | instid1(VALU_DEP_2)
	v_lshlrev_b64_e32 v[6:7], 4, v[5:6]
	v_add_nc_u32_e32 v5, s5, v5
	v_add_co_u32 v136, vcc_lo, s0, v6
	s_wait_alu 0xfffd
	s_delay_alu instid0(VALU_DEP_3) | instskip(NEXT) | instid1(VALU_DEP_3)
	v_add_co_ci_u32_e64 v137, null, s1, v7, vcc_lo
	v_ashrrev_i32_e32 v6, 31, v5
	s_delay_alu instid0(VALU_DEP_1) | instskip(SKIP_1) | instid1(VALU_DEP_2)
	v_lshlrev_b64_e32 v[6:7], 4, v[5:6]
	v_add_nc_u32_e32 v5, s5, v5
	v_add_co_u32 v138, vcc_lo, s0, v6
	s_wait_alu 0xfffd
	s_delay_alu instid0(VALU_DEP_3) | instskip(NEXT) | instid1(VALU_DEP_3)
	;; [unrolled: 8-line block ×12, first 2 shown]
	v_add_co_ci_u32_e64 v159, null, s1, v7, vcc_lo
	v_ashrrev_i32_e32 v6, 31, v5
	s_delay_alu instid0(VALU_DEP_1)
	v_lshlrev_b64_e32 v[6:7], 4, v[5:6]
	v_add_nc_u32_e32 v5, s5, v5
	s_movk_i32 s5, 0x70
	s_wait_alu 0xfffe
	s_add_co_i32 s65, s5, 16
	s_add_co_i32 s5, s94, 16
	v_add_co_u32 v160, vcc_lo, s0, v6
	s_wait_alu 0xfffd
	v_add_co_ci_u32_e64 v161, null, s1, v7, vcc_lo
	v_ashrrev_i32_e32 v6, 31, v5
	s_delay_alu instid0(VALU_DEP_1) | instskip(NEXT) | instid1(VALU_DEP_1)
	v_lshlrev_b64_e32 v[5:6], 4, v[5:6]
	v_add_co_u32 v162, vcc_lo, s0, v5
	s_wait_alu 0xfffd
	s_delay_alu instid0(VALU_DEP_2)
	v_add_co_ci_u32_e64 v163, null, s1, v6, vcc_lo
	s_movk_i32 s0, 0x50
	s_movk_i32 s1, 0x60
	s_wait_alu 0xfffe
	s_add_co_i32 s67, s0, 16
	s_add_co_i32 s66, s1, 16
	s_bitcmp0_b32 s68, 0
	s_mov_b32 s1, -1
	s_wait_loadcnt_dscnt 0x0
	scratch_store_b128 off, v[1:4], off offset:48
	flat_load_b128 v[1:4], v[52:53]
	s_wait_loadcnt_dscnt 0x0
	scratch_store_b128 off, v[1:4], off offset:64
	flat_load_b128 v[1:4], v[54:55]
	s_wait_loadcnt_dscnt 0x0
	scratch_store_b128 off, v[1:4], off offset:80
	flat_load_b128 v[1:4], v[56:57]
	s_wait_loadcnt_dscnt 0x0
	scratch_store_b128 off, v[1:4], off offset:96
	flat_load_b128 v[1:4], v[58:59]
	s_wait_loadcnt_dscnt 0x0
	scratch_store_b128 off, v[1:4], off offset:112
	flat_load_b128 v[1:4], v[60:61]
	s_wait_loadcnt_dscnt 0x0
	scratch_store_b128 off, v[1:4], off offset:128
	flat_load_b128 v[1:4], v[62:63]
	s_wait_loadcnt_dscnt 0x0
	scratch_store_b128 off, v[1:4], off offset:144
	flat_load_b128 v[1:4], v[64:65]
	s_wait_loadcnt_dscnt 0x0
	scratch_store_b128 off, v[1:4], off offset:160
	flat_load_b128 v[1:4], v[66:67]
	s_wait_loadcnt_dscnt 0x0
	scratch_store_b128 off, v[1:4], off offset:176
	flat_load_b128 v[1:4], v[68:69]
	s_wait_loadcnt_dscnt 0x0
	scratch_store_b128 off, v[1:4], off offset:192
	flat_load_b128 v[1:4], v[70:71]
	s_wait_loadcnt_dscnt 0x0
	scratch_store_b128 off, v[1:4], off offset:208
	flat_load_b128 v[1:4], v[72:73]
	s_wait_loadcnt_dscnt 0x0
	scratch_store_b128 off, v[1:4], off offset:224
	flat_load_b128 v[1:4], v[74:75]
	s_wait_loadcnt_dscnt 0x0
	scratch_store_b128 off, v[1:4], off offset:240
	flat_load_b128 v[1:4], v[76:77]
	s_wait_loadcnt_dscnt 0x0
	scratch_store_b128 off, v[1:4], off offset:256
	flat_load_b128 v[1:4], v[78:79]
	s_wait_loadcnt_dscnt 0x0
	scratch_store_b128 off, v[1:4], off offset:272
	flat_load_b128 v[1:4], v[80:81]
	s_wait_loadcnt_dscnt 0x0
	scratch_store_b128 off, v[1:4], off offset:288
	flat_load_b128 v[1:4], v[82:83]
	s_wait_loadcnt_dscnt 0x0
	scratch_store_b128 off, v[1:4], off offset:304
	flat_load_b128 v[1:4], v[84:85]
	s_wait_loadcnt_dscnt 0x0
	scratch_store_b128 off, v[1:4], off offset:320
	flat_load_b128 v[1:4], v[86:87]
	s_wait_loadcnt_dscnt 0x0
	scratch_store_b128 off, v[1:4], off offset:336
	flat_load_b128 v[1:4], v[88:89]
	s_wait_loadcnt_dscnt 0x0
	scratch_store_b128 off, v[1:4], off offset:352
	flat_load_b128 v[1:4], v[90:91]
	s_wait_loadcnt_dscnt 0x0
	scratch_store_b128 off, v[1:4], off offset:368
	flat_load_b128 v[1:4], v[92:93]
	s_wait_loadcnt_dscnt 0x0
	scratch_store_b128 off, v[1:4], off offset:384
	flat_load_b128 v[1:4], v[94:95]
	s_wait_loadcnt_dscnt 0x0
	scratch_store_b128 off, v[1:4], off offset:400
	flat_load_b128 v[1:4], v[96:97]
	s_wait_loadcnt_dscnt 0x0
	scratch_store_b128 off, v[1:4], off offset:416
	flat_load_b128 v[1:4], v[98:99]
	s_wait_loadcnt_dscnt 0x0
	scratch_store_b128 off, v[1:4], off offset:432
	flat_load_b128 v[1:4], v[100:101]
	s_wait_loadcnt_dscnt 0x0
	scratch_store_b128 off, v[1:4], off offset:448
	flat_load_b128 v[1:4], v[102:103]
	s_wait_loadcnt_dscnt 0x0
	scratch_store_b128 off, v[1:4], off offset:464
	flat_load_b128 v[1:4], v[104:105]
	s_wait_loadcnt_dscnt 0x0
	scratch_store_b128 off, v[1:4], off offset:480
	flat_load_b128 v[1:4], v[106:107]
	s_wait_loadcnt_dscnt 0x0
	scratch_store_b128 off, v[1:4], off offset:496
	flat_load_b128 v[1:4], v[108:109]
	s_wait_loadcnt_dscnt 0x0
	scratch_store_b128 off, v[1:4], off offset:512
	flat_load_b128 v[1:4], v[110:111]
	s_wait_loadcnt_dscnt 0x0
	scratch_store_b128 off, v[1:4], off offset:528
	flat_load_b128 v[1:4], v[112:113]
	s_wait_loadcnt_dscnt 0x0
	scratch_store_b128 off, v[1:4], off offset:544
	flat_load_b128 v[1:4], v[114:115]
	s_wait_loadcnt_dscnt 0x0
	scratch_store_b128 off, v[1:4], off offset:560
	flat_load_b128 v[1:4], v[116:117]
	s_wait_loadcnt_dscnt 0x0
	scratch_store_b128 off, v[1:4], off offset:576
	flat_load_b128 v[1:4], v[118:119]
	s_wait_loadcnt_dscnt 0x0
	scratch_store_b128 off, v[1:4], off offset:592
	flat_load_b128 v[1:4], v[120:121]
	s_wait_loadcnt_dscnt 0x0
	scratch_store_b128 off, v[1:4], off offset:608
	flat_load_b128 v[1:4], v[122:123]
	s_wait_loadcnt_dscnt 0x0
	scratch_store_b128 off, v[1:4], off offset:624
	flat_load_b128 v[1:4], v[124:125]
	s_wait_loadcnt_dscnt 0x0
	scratch_store_b128 off, v[1:4], off offset:640
	flat_load_b128 v[1:4], v[126:127]
	s_wait_loadcnt_dscnt 0x0
	scratch_store_b128 off, v[1:4], off offset:656
	flat_load_b128 v[1:4], v[128:129]
	s_wait_loadcnt_dscnt 0x0
	scratch_store_b128 off, v[1:4], off offset:672
	flat_load_b128 v[1:4], v[130:131]
	s_wait_loadcnt_dscnt 0x0
	scratch_store_b128 off, v[1:4], off offset:688
	flat_load_b128 v[1:4], v[132:133]
	s_wait_loadcnt_dscnt 0x0
	scratch_store_b128 off, v[1:4], off offset:704
	flat_load_b128 v[1:4], v[134:135]
	s_wait_loadcnt_dscnt 0x0
	scratch_store_b128 off, v[1:4], off offset:720
	flat_load_b128 v[1:4], v[136:137]
	s_wait_loadcnt_dscnt 0x0
	scratch_store_b128 off, v[1:4], off offset:736
	flat_load_b128 v[1:4], v[138:139]
	s_wait_loadcnt_dscnt 0x0
	scratch_store_b128 off, v[1:4], off offset:752
	flat_load_b128 v[1:4], v[140:141]
	s_wait_loadcnt_dscnt 0x0
	scratch_store_b128 off, v[1:4], off offset:768
	flat_load_b128 v[1:4], v[142:143]
	s_wait_loadcnt_dscnt 0x0
	scratch_store_b128 off, v[1:4], off offset:784
	flat_load_b128 v[1:4], v[144:145]
	s_wait_loadcnt_dscnt 0x0
	scratch_store_b128 off, v[1:4], off offset:800
	flat_load_b128 v[1:4], v[146:147]
	s_wait_loadcnt_dscnt 0x0
	scratch_store_b128 off, v[1:4], off offset:816
	flat_load_b128 v[1:4], v[148:149]
	s_wait_loadcnt_dscnt 0x0
	scratch_store_b128 off, v[1:4], off offset:832
	flat_load_b128 v[1:4], v[150:151]
	s_wait_loadcnt_dscnt 0x0
	scratch_store_b128 off, v[1:4], off offset:848
	flat_load_b128 v[1:4], v[152:153]
	s_wait_loadcnt_dscnt 0x0
	scratch_store_b128 off, v[1:4], off offset:864
	flat_load_b128 v[1:4], v[154:155]
	s_wait_loadcnt_dscnt 0x0
	scratch_store_b128 off, v[1:4], off offset:880
	flat_load_b128 v[1:4], v[156:157]
	s_wait_loadcnt_dscnt 0x0
	scratch_store_b128 off, v[1:4], off offset:896
	flat_load_b128 v[1:4], v[158:159]
	s_wait_loadcnt_dscnt 0x0
	scratch_store_b128 off, v[1:4], off offset:912
	flat_load_b128 v[1:4], v[160:161]
	s_wait_loadcnt_dscnt 0x0
	scratch_store_b128 off, v[1:4], off offset:928
	flat_load_b128 v[1:4], v[162:163]
	s_wait_loadcnt_dscnt 0x0
	scratch_store_b128 off, v[1:4], off offset:944
	s_cbranch_scc1 .LBB122_248
; %bb.4:
	v_cmp_eq_u32_e64 s0, 0, v0
	s_and_saveexec_b32 s1, s0
; %bb.5:
	v_mov_b32_e32 v1, 0
	ds_store_b32 v1, v1 offset:1888
; %bb.6:
	s_wait_alu 0xfffe
	s_or_b32 exec_lo, exec_lo, s1
	s_wait_storecnt_dscnt 0x0
	s_barrier_signal -1
	s_barrier_wait -1
	global_inv scope:SCOPE_SE
	scratch_load_b128 v[1:4], v13, off offset:16
	s_wait_loadcnt 0x0
	v_cmp_eq_f64_e32 vcc_lo, 0, v[1:2]
	v_cmp_eq_f64_e64 s1, 0, v[3:4]
	s_and_b32 s1, vcc_lo, s1
	s_wait_alu 0xfffe
	s_and_saveexec_b32 s68, s1
	s_cbranch_execz .LBB122_10
; %bb.7:
	v_mov_b32_e32 v1, 0
	s_mov_b32 s69, 0
	ds_load_b32 v2, v1 offset:1888
	s_wait_dscnt 0x0
	v_readfirstlane_b32 s1, v2
	v_add_nc_u32_e32 v2, 1, v0
	s_cmp_eq_u32 s1, 0
	s_delay_alu instid0(VALU_DEP_1) | instskip(SKIP_1) | instid1(SALU_CYCLE_1)
	v_cmp_gt_i32_e32 vcc_lo, s1, v2
	s_cselect_b32 s70, -1, 0
	s_or_b32 s70, s70, vcc_lo
	s_delay_alu instid0(SALU_CYCLE_1)
	s_and_b32 exec_lo, exec_lo, s70
	s_cbranch_execz .LBB122_10
; %bb.8:
	v_mov_b32_e32 v3, s1
.LBB122_9:                              ; =>This Inner Loop Header: Depth=1
	ds_cmpstore_rtn_b32 v3, v1, v2, v3 offset:1888
	s_wait_dscnt 0x0
	v_cmp_ne_u32_e32 vcc_lo, 0, v3
	v_cmp_le_i32_e64 s1, v3, v2
	s_and_b32 s1, vcc_lo, s1
	s_wait_alu 0xfffe
	s_and_b32 s1, exec_lo, s1
	s_wait_alu 0xfffe
	s_or_b32 s69, s1, s69
	s_delay_alu instid0(SALU_CYCLE_1)
	s_and_not1_b32 exec_lo, exec_lo, s69
	s_cbranch_execnz .LBB122_9
.LBB122_10:
	s_or_b32 exec_lo, exec_lo, s68
	v_mov_b32_e32 v1, 0
	s_barrier_signal -1
	s_barrier_wait -1
	global_inv scope:SCOPE_SE
	ds_load_b32 v2, v1 offset:1888
	s_and_saveexec_b32 s1, s0
	s_cbranch_execz .LBB122_12
; %bb.11:
	s_lshl_b64 s[68:69], s[8:9], 2
	s_delay_alu instid0(SALU_CYCLE_1)
	s_add_nc_u64 s[68:69], s[6:7], s[68:69]
	s_wait_dscnt 0x0
	global_store_b32 v1, v2, s[68:69]
.LBB122_12:
	s_wait_alu 0xfffe
	s_or_b32 exec_lo, exec_lo, s1
	s_wait_dscnt 0x0
	v_cmp_ne_u32_e32 vcc_lo, 0, v2
	s_mov_b32 s1, 0
	s_cbranch_vccnz .LBB122_248
; %bb.13:
	v_add_nc_u32_e32 v14, 16, v13
                                        ; implicit-def: $vgpr1_vgpr2
                                        ; implicit-def: $vgpr9_vgpr10
	scratch_load_b128 v[5:8], v14, off
	s_wait_loadcnt 0x0
	v_cmp_ngt_f64_e64 s1, |v[5:6]|, |v[7:8]|
	s_wait_alu 0xfffe
	s_and_saveexec_b32 s68, s1
	s_delay_alu instid0(SALU_CYCLE_1)
	s_xor_b32 s1, exec_lo, s68
	s_cbranch_execz .LBB122_15
; %bb.14:
	v_div_scale_f64 v[1:2], null, v[7:8], v[7:8], v[5:6]
	v_div_scale_f64 v[11:12], vcc_lo, v[5:6], v[7:8], v[5:6]
	s_delay_alu instid0(VALU_DEP_2) | instskip(NEXT) | instid1(TRANS32_DEP_1)
	v_rcp_f64_e32 v[3:4], v[1:2]
	v_fma_f64 v[9:10], -v[1:2], v[3:4], 1.0
	s_delay_alu instid0(VALU_DEP_1) | instskip(NEXT) | instid1(VALU_DEP_1)
	v_fma_f64 v[3:4], v[3:4], v[9:10], v[3:4]
	v_fma_f64 v[9:10], -v[1:2], v[3:4], 1.0
	s_delay_alu instid0(VALU_DEP_1) | instskip(NEXT) | instid1(VALU_DEP_1)
	v_fma_f64 v[3:4], v[3:4], v[9:10], v[3:4]
	v_mul_f64_e32 v[9:10], v[11:12], v[3:4]
	s_delay_alu instid0(VALU_DEP_1) | instskip(SKIP_1) | instid1(VALU_DEP_1)
	v_fma_f64 v[1:2], -v[1:2], v[9:10], v[11:12]
	s_wait_alu 0xfffd
	v_div_fmas_f64 v[1:2], v[1:2], v[3:4], v[9:10]
	s_delay_alu instid0(VALU_DEP_1) | instskip(NEXT) | instid1(VALU_DEP_1)
	v_div_fixup_f64 v[1:2], v[1:2], v[7:8], v[5:6]
	v_fma_f64 v[3:4], v[5:6], v[1:2], v[7:8]
	s_delay_alu instid0(VALU_DEP_1) | instskip(SKIP_1) | instid1(VALU_DEP_2)
	v_div_scale_f64 v[5:6], null, v[3:4], v[3:4], 1.0
	v_div_scale_f64 v[11:12], vcc_lo, 1.0, v[3:4], 1.0
	v_rcp_f64_e32 v[7:8], v[5:6]
	s_delay_alu instid0(TRANS32_DEP_1) | instskip(NEXT) | instid1(VALU_DEP_1)
	v_fma_f64 v[9:10], -v[5:6], v[7:8], 1.0
	v_fma_f64 v[7:8], v[7:8], v[9:10], v[7:8]
	s_delay_alu instid0(VALU_DEP_1) | instskip(NEXT) | instid1(VALU_DEP_1)
	v_fma_f64 v[9:10], -v[5:6], v[7:8], 1.0
	v_fma_f64 v[7:8], v[7:8], v[9:10], v[7:8]
	s_delay_alu instid0(VALU_DEP_1) | instskip(NEXT) | instid1(VALU_DEP_1)
	v_mul_f64_e32 v[9:10], v[11:12], v[7:8]
	v_fma_f64 v[5:6], -v[5:6], v[9:10], v[11:12]
	s_wait_alu 0xfffd
	s_delay_alu instid0(VALU_DEP_1) | instskip(NEXT) | instid1(VALU_DEP_1)
	v_div_fmas_f64 v[5:6], v[5:6], v[7:8], v[9:10]
	v_div_fixup_f64 v[3:4], v[5:6], v[3:4], 1.0
                                        ; implicit-def: $vgpr5_vgpr6
	s_delay_alu instid0(VALU_DEP_1) | instskip(SKIP_1) | instid1(VALU_DEP_2)
	v_mul_f64_e32 v[1:2], v[1:2], v[3:4]
	v_xor_b32_e32 v4, 0x80000000, v4
	v_xor_b32_e32 v10, 0x80000000, v2
	s_delay_alu instid0(VALU_DEP_3)
	v_mov_b32_e32 v9, v1
.LBB122_15:
	s_wait_alu 0xfffe
	s_and_not1_saveexec_b32 s1, s1
	s_cbranch_execz .LBB122_17
; %bb.16:
	v_div_scale_f64 v[1:2], null, v[5:6], v[5:6], v[7:8]
	v_div_scale_f64 v[11:12], vcc_lo, v[7:8], v[5:6], v[7:8]
	s_delay_alu instid0(VALU_DEP_2) | instskip(NEXT) | instid1(TRANS32_DEP_1)
	v_rcp_f64_e32 v[3:4], v[1:2]
	v_fma_f64 v[9:10], -v[1:2], v[3:4], 1.0
	s_delay_alu instid0(VALU_DEP_1) | instskip(NEXT) | instid1(VALU_DEP_1)
	v_fma_f64 v[3:4], v[3:4], v[9:10], v[3:4]
	v_fma_f64 v[9:10], -v[1:2], v[3:4], 1.0
	s_delay_alu instid0(VALU_DEP_1) | instskip(NEXT) | instid1(VALU_DEP_1)
	v_fma_f64 v[3:4], v[3:4], v[9:10], v[3:4]
	v_mul_f64_e32 v[9:10], v[11:12], v[3:4]
	s_delay_alu instid0(VALU_DEP_1) | instskip(SKIP_1) | instid1(VALU_DEP_1)
	v_fma_f64 v[1:2], -v[1:2], v[9:10], v[11:12]
	s_wait_alu 0xfffd
	v_div_fmas_f64 v[1:2], v[1:2], v[3:4], v[9:10]
	s_delay_alu instid0(VALU_DEP_1) | instskip(NEXT) | instid1(VALU_DEP_1)
	v_div_fixup_f64 v[3:4], v[1:2], v[5:6], v[7:8]
	v_fma_f64 v[1:2], v[7:8], v[3:4], v[5:6]
	s_delay_alu instid0(VALU_DEP_1) | instskip(NEXT) | instid1(VALU_DEP_1)
	v_div_scale_f64 v[5:6], null, v[1:2], v[1:2], 1.0
	v_rcp_f64_e32 v[7:8], v[5:6]
	s_delay_alu instid0(TRANS32_DEP_1) | instskip(NEXT) | instid1(VALU_DEP_1)
	v_fma_f64 v[9:10], -v[5:6], v[7:8], 1.0
	v_fma_f64 v[7:8], v[7:8], v[9:10], v[7:8]
	s_delay_alu instid0(VALU_DEP_1) | instskip(NEXT) | instid1(VALU_DEP_1)
	v_fma_f64 v[9:10], -v[5:6], v[7:8], 1.0
	v_fma_f64 v[7:8], v[7:8], v[9:10], v[7:8]
	v_div_scale_f64 v[9:10], vcc_lo, 1.0, v[1:2], 1.0
	s_delay_alu instid0(VALU_DEP_1) | instskip(NEXT) | instid1(VALU_DEP_1)
	v_mul_f64_e32 v[11:12], v[9:10], v[7:8]
	v_fma_f64 v[5:6], -v[5:6], v[11:12], v[9:10]
	s_wait_alu 0xfffd
	s_delay_alu instid0(VALU_DEP_1) | instskip(NEXT) | instid1(VALU_DEP_1)
	v_div_fmas_f64 v[5:6], v[5:6], v[7:8], v[11:12]
	v_div_fixup_f64 v[1:2], v[5:6], v[1:2], 1.0
	s_delay_alu instid0(VALU_DEP_1)
	v_mul_f64_e64 v[3:4], v[3:4], -v[1:2]
	v_xor_b32_e32 v10, 0x80000000, v2
	v_mov_b32_e32 v9, v1
.LBB122_17:
	s_wait_alu 0xfffe
	s_or_b32 exec_lo, exec_lo, s1
	scratch_store_b128 v14, v[1:4], off
	scratch_load_b128 v[15:18], off, s15
	v_xor_b32_e32 v12, 0x80000000, v4
	v_mov_b32_e32 v11, v3
	v_add_nc_u32_e32 v5, 0x3b0, v13
	ds_store_b128 v13, v[9:12]
	s_wait_loadcnt 0x0
	ds_store_b128 v13, v[15:18] offset:944
	s_wait_storecnt_dscnt 0x0
	s_barrier_signal -1
	s_barrier_wait -1
	global_inv scope:SCOPE_SE
	s_and_saveexec_b32 s1, s0
	s_cbranch_execz .LBB122_19
; %bb.18:
	scratch_load_b128 v[1:4], v14, off
	ds_load_b128 v[6:9], v5
	v_mov_b32_e32 v10, 0
	ds_load_b128 v[15:18], v10 offset:16
	s_wait_loadcnt_dscnt 0x1
	v_mul_f64_e32 v[10:11], v[6:7], v[3:4]
	v_mul_f64_e32 v[3:4], v[8:9], v[3:4]
	s_delay_alu instid0(VALU_DEP_2) | instskip(NEXT) | instid1(VALU_DEP_2)
	v_fma_f64 v[8:9], v[8:9], v[1:2], v[10:11]
	v_fma_f64 v[1:2], v[6:7], v[1:2], -v[3:4]
	s_delay_alu instid0(VALU_DEP_2) | instskip(NEXT) | instid1(VALU_DEP_2)
	v_add_f64_e32 v[3:4], 0, v[8:9]
	v_add_f64_e32 v[1:2], 0, v[1:2]
	s_wait_dscnt 0x0
	s_delay_alu instid0(VALU_DEP_2) | instskip(NEXT) | instid1(VALU_DEP_2)
	v_mul_f64_e32 v[6:7], v[3:4], v[17:18]
	v_mul_f64_e32 v[8:9], v[1:2], v[17:18]
	s_delay_alu instid0(VALU_DEP_2) | instskip(NEXT) | instid1(VALU_DEP_2)
	v_fma_f64 v[1:2], v[1:2], v[15:16], -v[6:7]
	v_fma_f64 v[3:4], v[3:4], v[15:16], v[8:9]
	scratch_store_b128 off, v[1:4], off offset:32
.LBB122_19:
	s_wait_alu 0xfffe
	s_or_b32 exec_lo, exec_lo, s1
	s_wait_loadcnt 0x0
	s_wait_storecnt 0x0
	s_barrier_signal -1
	s_barrier_wait -1
	global_inv scope:SCOPE_SE
	scratch_load_b128 v[1:4], off, s13
	s_mov_b32 s1, exec_lo
	s_wait_loadcnt 0x0
	ds_store_b128 v5, v[1:4]
	s_wait_dscnt 0x0
	s_barrier_signal -1
	s_barrier_wait -1
	global_inv scope:SCOPE_SE
	v_cmpx_gt_u32_e32 2, v0
	s_cbranch_execz .LBB122_23
; %bb.20:
	scratch_load_b128 v[1:4], v14, off
	ds_load_b128 v[6:9], v5
	s_wait_loadcnt_dscnt 0x0
	v_mul_f64_e32 v[10:11], v[8:9], v[3:4]
	v_mul_f64_e32 v[3:4], v[6:7], v[3:4]
	s_delay_alu instid0(VALU_DEP_2) | instskip(NEXT) | instid1(VALU_DEP_2)
	v_fma_f64 v[6:7], v[6:7], v[1:2], -v[10:11]
	v_fma_f64 v[3:4], v[8:9], v[1:2], v[3:4]
	s_delay_alu instid0(VALU_DEP_2) | instskip(NEXT) | instid1(VALU_DEP_2)
	v_add_f64_e32 v[1:2], 0, v[6:7]
	v_add_f64_e32 v[3:4], 0, v[3:4]
	s_and_saveexec_b32 s68, s0
	s_cbranch_execz .LBB122_22
; %bb.21:
	scratch_load_b128 v[6:9], off, off offset:32
	v_mov_b32_e32 v10, 0
	ds_load_b128 v[15:18], v10 offset:960
	s_wait_loadcnt_dscnt 0x0
	v_mul_f64_e32 v[10:11], v[15:16], v[8:9]
	v_mul_f64_e32 v[8:9], v[17:18], v[8:9]
	s_delay_alu instid0(VALU_DEP_2) | instskip(NEXT) | instid1(VALU_DEP_2)
	v_fma_f64 v[10:11], v[17:18], v[6:7], v[10:11]
	v_fma_f64 v[6:7], v[15:16], v[6:7], -v[8:9]
	s_delay_alu instid0(VALU_DEP_2) | instskip(NEXT) | instid1(VALU_DEP_2)
	v_add_f64_e32 v[3:4], v[3:4], v[10:11]
	v_add_f64_e32 v[1:2], v[1:2], v[6:7]
.LBB122_22:
	s_or_b32 exec_lo, exec_lo, s68
	v_mov_b32_e32 v6, 0
	ds_load_b128 v[6:9], v6 offset:32
	s_wait_dscnt 0x0
	v_mul_f64_e32 v[10:11], v[3:4], v[8:9]
	v_mul_f64_e32 v[8:9], v[1:2], v[8:9]
	s_delay_alu instid0(VALU_DEP_2) | instskip(NEXT) | instid1(VALU_DEP_2)
	v_fma_f64 v[1:2], v[1:2], v[6:7], -v[10:11]
	v_fma_f64 v[3:4], v[3:4], v[6:7], v[8:9]
	scratch_store_b128 off, v[1:4], off offset:48
.LBB122_23:
	s_wait_alu 0xfffe
	s_or_b32 exec_lo, exec_lo, s1
	s_wait_loadcnt 0x0
	s_wait_storecnt 0x0
	s_barrier_signal -1
	s_barrier_wait -1
	global_inv scope:SCOPE_SE
	scratch_load_b128 v[1:4], off, s10
	v_add_nc_u32_e32 v6, -1, v0
	s_mov_b32 s0, exec_lo
	s_wait_loadcnt 0x0
	ds_store_b128 v5, v[1:4]
	s_wait_dscnt 0x0
	s_barrier_signal -1
	s_barrier_wait -1
	global_inv scope:SCOPE_SE
	v_cmpx_gt_u32_e32 3, v0
	s_cbranch_execz .LBB122_27
; %bb.24:
	v_dual_mov_b32 v1, 0 :: v_dual_add_nc_u32 v8, 0x3b0, v13
	v_mov_b32_e32 v3, 0
	v_dual_mov_b32 v2, 0 :: v_dual_add_nc_u32 v7, -1, v0
	v_mov_b32_e32 v4, 0
	v_or_b32_e32 v9, 8, v14
	s_mov_b32 s1, 0
.LBB122_25:                             ; =>This Inner Loop Header: Depth=1
	scratch_load_b128 v[15:18], v9, off offset:-8
	ds_load_b128 v[19:22], v8
	v_add_nc_u32_e32 v7, 1, v7
	v_add_nc_u32_e32 v8, 16, v8
	v_add_nc_u32_e32 v9, 16, v9
	s_delay_alu instid0(VALU_DEP_3)
	v_cmp_lt_u32_e32 vcc_lo, 1, v7
	s_wait_alu 0xfffe
	s_or_b32 s1, vcc_lo, s1
	s_wait_loadcnt_dscnt 0x0
	v_mul_f64_e32 v[10:11], v[21:22], v[17:18]
	v_mul_f64_e32 v[17:18], v[19:20], v[17:18]
	s_delay_alu instid0(VALU_DEP_2) | instskip(NEXT) | instid1(VALU_DEP_2)
	v_fma_f64 v[10:11], v[19:20], v[15:16], -v[10:11]
	v_fma_f64 v[15:16], v[21:22], v[15:16], v[17:18]
	s_delay_alu instid0(VALU_DEP_2) | instskip(NEXT) | instid1(VALU_DEP_2)
	v_add_f64_e32 v[3:4], v[3:4], v[10:11]
	v_add_f64_e32 v[1:2], v[1:2], v[15:16]
	s_wait_alu 0xfffe
	s_and_not1_b32 exec_lo, exec_lo, s1
	s_cbranch_execnz .LBB122_25
; %bb.26:
	s_or_b32 exec_lo, exec_lo, s1
	v_mov_b32_e32 v7, 0
	ds_load_b128 v[7:10], v7 offset:48
	s_wait_dscnt 0x0
	v_mul_f64_e32 v[11:12], v[1:2], v[9:10]
	v_mul_f64_e32 v[15:16], v[3:4], v[9:10]
	s_delay_alu instid0(VALU_DEP_2) | instskip(NEXT) | instid1(VALU_DEP_2)
	v_fma_f64 v[9:10], v[3:4], v[7:8], -v[11:12]
	v_fma_f64 v[11:12], v[1:2], v[7:8], v[15:16]
	scratch_store_b128 off, v[9:12], off offset:64
.LBB122_27:
	s_wait_alu 0xfffe
	s_or_b32 exec_lo, exec_lo, s0
	s_wait_loadcnt 0x0
	s_wait_storecnt 0x0
	s_barrier_signal -1
	s_barrier_wait -1
	global_inv scope:SCOPE_SE
	scratch_load_b128 v[1:4], off, s4
	s_mov_b32 s0, exec_lo
	s_wait_loadcnt 0x0
	ds_store_b128 v5, v[1:4]
	s_wait_dscnt 0x0
	s_barrier_signal -1
	s_barrier_wait -1
	global_inv scope:SCOPE_SE
	v_cmpx_gt_u32_e32 4, v0
	s_cbranch_execz .LBB122_31
; %bb.28:
	v_dual_mov_b32 v1, 0 :: v_dual_add_nc_u32 v8, 0x3b0, v13
	v_mov_b32_e32 v3, 0
	v_dual_mov_b32 v2, 0 :: v_dual_add_nc_u32 v7, -1, v0
	v_mov_b32_e32 v4, 0
	v_or_b32_e32 v9, 8, v14
	s_mov_b32 s1, 0
.LBB122_29:                             ; =>This Inner Loop Header: Depth=1
	scratch_load_b128 v[15:18], v9, off offset:-8
	ds_load_b128 v[19:22], v8
	v_add_nc_u32_e32 v7, 1, v7
	v_add_nc_u32_e32 v8, 16, v8
	v_add_nc_u32_e32 v9, 16, v9
	s_delay_alu instid0(VALU_DEP_3)
	v_cmp_lt_u32_e32 vcc_lo, 2, v7
	s_wait_alu 0xfffe
	s_or_b32 s1, vcc_lo, s1
	s_wait_loadcnt_dscnt 0x0
	v_mul_f64_e32 v[10:11], v[21:22], v[17:18]
	v_mul_f64_e32 v[17:18], v[19:20], v[17:18]
	s_delay_alu instid0(VALU_DEP_2) | instskip(NEXT) | instid1(VALU_DEP_2)
	v_fma_f64 v[10:11], v[19:20], v[15:16], -v[10:11]
	v_fma_f64 v[15:16], v[21:22], v[15:16], v[17:18]
	s_delay_alu instid0(VALU_DEP_2) | instskip(NEXT) | instid1(VALU_DEP_2)
	v_add_f64_e32 v[3:4], v[3:4], v[10:11]
	v_add_f64_e32 v[1:2], v[1:2], v[15:16]
	s_wait_alu 0xfffe
	s_and_not1_b32 exec_lo, exec_lo, s1
	s_cbranch_execnz .LBB122_29
; %bb.30:
	s_or_b32 exec_lo, exec_lo, s1
	v_mov_b32_e32 v7, 0
	ds_load_b128 v[7:10], v7 offset:64
	s_wait_dscnt 0x0
	v_mul_f64_e32 v[11:12], v[1:2], v[9:10]
	v_mul_f64_e32 v[15:16], v[3:4], v[9:10]
	s_delay_alu instid0(VALU_DEP_2) | instskip(NEXT) | instid1(VALU_DEP_2)
	v_fma_f64 v[9:10], v[3:4], v[7:8], -v[11:12]
	v_fma_f64 v[11:12], v[1:2], v[7:8], v[15:16]
	scratch_store_b128 off, v[9:12], off offset:80
.LBB122_31:
	s_wait_alu 0xfffe
	s_or_b32 exec_lo, exec_lo, s0
	s_wait_loadcnt 0x0
	s_wait_storecnt 0x0
	s_barrier_signal -1
	s_barrier_wait -1
	global_inv scope:SCOPE_SE
	scratch_load_b128 v[1:4], off, s67
	;; [unrolled: 58-line block ×19, first 2 shown]
	s_mov_b32 s0, exec_lo
	s_wait_loadcnt 0x0
	ds_store_b128 v5, v[1:4]
	s_wait_dscnt 0x0
	s_barrier_signal -1
	s_barrier_wait -1
	global_inv scope:SCOPE_SE
	v_cmpx_gt_u32_e32 22, v0
	s_cbranch_execz .LBB122_103
; %bb.100:
	v_dual_mov_b32 v1, 0 :: v_dual_add_nc_u32 v8, 0x3b0, v13
	v_mov_b32_e32 v3, 0
	v_dual_mov_b32 v2, 0 :: v_dual_add_nc_u32 v7, -1, v0
	v_mov_b32_e32 v4, 0
	v_or_b32_e32 v9, 8, v14
	s_mov_b32 s1, 0
.LBB122_101:                            ; =>This Inner Loop Header: Depth=1
	scratch_load_b128 v[15:18], v9, off offset:-8
	ds_load_b128 v[19:22], v8
	v_add_nc_u32_e32 v7, 1, v7
	v_add_nc_u32_e32 v8, 16, v8
	v_add_nc_u32_e32 v9, 16, v9
	s_delay_alu instid0(VALU_DEP_3)
	v_cmp_lt_u32_e32 vcc_lo, 20, v7
	s_wait_alu 0xfffe
	s_or_b32 s1, vcc_lo, s1
	s_wait_loadcnt_dscnt 0x0
	v_mul_f64_e32 v[10:11], v[21:22], v[17:18]
	v_mul_f64_e32 v[17:18], v[19:20], v[17:18]
	s_delay_alu instid0(VALU_DEP_2) | instskip(NEXT) | instid1(VALU_DEP_2)
	v_fma_f64 v[10:11], v[19:20], v[15:16], -v[10:11]
	v_fma_f64 v[15:16], v[21:22], v[15:16], v[17:18]
	s_delay_alu instid0(VALU_DEP_2) | instskip(NEXT) | instid1(VALU_DEP_2)
	v_add_f64_e32 v[3:4], v[3:4], v[10:11]
	v_add_f64_e32 v[1:2], v[1:2], v[15:16]
	s_wait_alu 0xfffe
	s_and_not1_b32 exec_lo, exec_lo, s1
	s_cbranch_execnz .LBB122_101
; %bb.102:
	s_or_b32 exec_lo, exec_lo, s1
	v_mov_b32_e32 v7, 0
	ds_load_b128 v[7:10], v7 offset:352
	s_wait_dscnt 0x0
	v_mul_f64_e32 v[11:12], v[1:2], v[9:10]
	v_mul_f64_e32 v[15:16], v[3:4], v[9:10]
	s_delay_alu instid0(VALU_DEP_2) | instskip(NEXT) | instid1(VALU_DEP_2)
	v_fma_f64 v[9:10], v[3:4], v[7:8], -v[11:12]
	v_fma_f64 v[11:12], v[1:2], v[7:8], v[15:16]
	scratch_store_b128 off, v[9:12], off offset:368
.LBB122_103:
	s_wait_alu 0xfffe
	s_or_b32 exec_lo, exec_lo, s0
	s_wait_loadcnt 0x0
	s_wait_storecnt 0x0
	s_barrier_signal -1
	s_barrier_wait -1
	global_inv scope:SCOPE_SE
	scratch_load_b128 v[1:4], off, s49
	s_mov_b32 s0, exec_lo
	s_wait_loadcnt 0x0
	ds_store_b128 v5, v[1:4]
	s_wait_dscnt 0x0
	s_barrier_signal -1
	s_barrier_wait -1
	global_inv scope:SCOPE_SE
	v_cmpx_gt_u32_e32 23, v0
	s_cbranch_execz .LBB122_107
; %bb.104:
	v_dual_mov_b32 v1, 0 :: v_dual_add_nc_u32 v8, 0x3b0, v13
	v_mov_b32_e32 v3, 0
	v_dual_mov_b32 v2, 0 :: v_dual_add_nc_u32 v7, -1, v0
	v_mov_b32_e32 v4, 0
	v_or_b32_e32 v9, 8, v14
	s_mov_b32 s1, 0
.LBB122_105:                            ; =>This Inner Loop Header: Depth=1
	scratch_load_b128 v[15:18], v9, off offset:-8
	ds_load_b128 v[19:22], v8
	v_add_nc_u32_e32 v7, 1, v7
	v_add_nc_u32_e32 v8, 16, v8
	v_add_nc_u32_e32 v9, 16, v9
	s_delay_alu instid0(VALU_DEP_3)
	v_cmp_lt_u32_e32 vcc_lo, 21, v7
	s_wait_alu 0xfffe
	s_or_b32 s1, vcc_lo, s1
	s_wait_loadcnt_dscnt 0x0
	v_mul_f64_e32 v[10:11], v[21:22], v[17:18]
	v_mul_f64_e32 v[17:18], v[19:20], v[17:18]
	s_delay_alu instid0(VALU_DEP_2) | instskip(NEXT) | instid1(VALU_DEP_2)
	v_fma_f64 v[10:11], v[19:20], v[15:16], -v[10:11]
	v_fma_f64 v[15:16], v[21:22], v[15:16], v[17:18]
	s_delay_alu instid0(VALU_DEP_2) | instskip(NEXT) | instid1(VALU_DEP_2)
	v_add_f64_e32 v[3:4], v[3:4], v[10:11]
	v_add_f64_e32 v[1:2], v[1:2], v[15:16]
	s_wait_alu 0xfffe
	s_and_not1_b32 exec_lo, exec_lo, s1
	s_cbranch_execnz .LBB122_105
; %bb.106:
	s_or_b32 exec_lo, exec_lo, s1
	v_mov_b32_e32 v7, 0
	ds_load_b128 v[7:10], v7 offset:368
	s_wait_dscnt 0x0
	v_mul_f64_e32 v[11:12], v[1:2], v[9:10]
	v_mul_f64_e32 v[15:16], v[3:4], v[9:10]
	s_delay_alu instid0(VALU_DEP_2) | instskip(NEXT) | instid1(VALU_DEP_2)
	v_fma_f64 v[9:10], v[3:4], v[7:8], -v[11:12]
	v_fma_f64 v[11:12], v[1:2], v[7:8], v[15:16]
	scratch_store_b128 off, v[9:12], off offset:384
.LBB122_107:
	s_wait_alu 0xfffe
	s_or_b32 exec_lo, exec_lo, s0
	s_wait_loadcnt 0x0
	s_wait_storecnt 0x0
	s_barrier_signal -1
	s_barrier_wait -1
	global_inv scope:SCOPE_SE
	scratch_load_b128 v[1:4], off, s48
	;; [unrolled: 58-line block ×36, first 2 shown]
	s_mov_b32 s0, exec_lo
	s_wait_loadcnt 0x0
	ds_store_b128 v5, v[1:4]
	s_wait_dscnt 0x0
	s_barrier_signal -1
	s_barrier_wait -1
	global_inv scope:SCOPE_SE
	v_cmpx_ne_u32_e32 58, v0
	s_cbranch_execz .LBB122_247
; %bb.244:
	v_mov_b32_e32 v1, 0
	v_dual_mov_b32 v2, 0 :: v_dual_mov_b32 v3, 0
	v_mov_b32_e32 v4, 0
	v_or_b32_e32 v7, 8, v14
	s_mov_b32 s1, 0
.LBB122_245:                            ; =>This Inner Loop Header: Depth=1
	scratch_load_b128 v[8:11], v7, off offset:-8
	ds_load_b128 v[12:15], v5
	v_add_nc_u32_e32 v6, 1, v6
	v_add_nc_u32_e32 v5, 16, v5
	;; [unrolled: 1-line block ×3, first 2 shown]
	s_delay_alu instid0(VALU_DEP_3)
	v_cmp_lt_u32_e32 vcc_lo, 56, v6
	s_wait_alu 0xfffe
	s_or_b32 s1, vcc_lo, s1
	s_wait_loadcnt_dscnt 0x0
	v_mul_f64_e32 v[16:17], v[14:15], v[10:11]
	v_mul_f64_e32 v[10:11], v[12:13], v[10:11]
	s_delay_alu instid0(VALU_DEP_2) | instskip(NEXT) | instid1(VALU_DEP_2)
	v_fma_f64 v[12:13], v[12:13], v[8:9], -v[16:17]
	v_fma_f64 v[8:9], v[14:15], v[8:9], v[10:11]
	s_delay_alu instid0(VALU_DEP_2) | instskip(NEXT) | instid1(VALU_DEP_2)
	v_add_f64_e32 v[3:4], v[3:4], v[12:13]
	v_add_f64_e32 v[1:2], v[1:2], v[8:9]
	s_wait_alu 0xfffe
	s_and_not1_b32 exec_lo, exec_lo, s1
	s_cbranch_execnz .LBB122_245
; %bb.246:
	s_or_b32 exec_lo, exec_lo, s1
	v_mov_b32_e32 v5, 0
	ds_load_b128 v[5:8], v5 offset:928
	s_wait_dscnt 0x0
	v_mul_f64_e32 v[9:10], v[1:2], v[7:8]
	v_mul_f64_e32 v[7:8], v[3:4], v[7:8]
	s_delay_alu instid0(VALU_DEP_2) | instskip(NEXT) | instid1(VALU_DEP_2)
	v_fma_f64 v[3:4], v[3:4], v[5:6], -v[9:10]
	v_fma_f64 v[5:6], v[1:2], v[5:6], v[7:8]
	scratch_store_b128 off, v[3:6], off offset:944
.LBB122_247:
	s_wait_alu 0xfffe
	s_or_b32 exec_lo, exec_lo, s0
	s_mov_b32 s1, -1
	s_wait_loadcnt 0x0
	s_wait_storecnt 0x0
	s_barrier_signal -1
	s_barrier_wait -1
	global_inv scope:SCOPE_SE
.LBB122_248:
	s_wait_alu 0xfffe
	s_and_b32 vcc_lo, exec_lo, s1
	s_wait_alu 0xfffe
	s_cbranch_vccz .LBB122_250
; %bb.249:
	v_mov_b32_e32 v1, 0
	s_lshl_b64 s[0:1], s[8:9], 2
	s_wait_alu 0xfffe
	s_add_nc_u64 s[0:1], s[6:7], s[0:1]
	global_load_b32 v1, v1, s[0:1]
	s_wait_loadcnt 0x0
	v_cmp_ne_u32_e32 vcc_lo, 0, v1
	s_cbranch_vccz .LBB122_251
.LBB122_250:
	s_nop 0
	s_sendmsg sendmsg(MSG_DEALLOC_VGPRS)
	s_endpgm
.LBB122_251:
	v_lshl_add_u32 v164, v0, 4, 0x3b0
	s_mov_b32 s0, exec_lo
	v_cmpx_eq_u32_e32 58, v0
	s_cbranch_execz .LBB122_253
; %bb.252:
	scratch_load_b128 v[1:4], off, s11
	v_mov_b32_e32 v5, 0
	s_delay_alu instid0(VALU_DEP_1)
	v_dual_mov_b32 v6, v5 :: v_dual_mov_b32 v7, v5
	v_mov_b32_e32 v8, v5
	scratch_store_b128 off, v[5:8], off offset:928
	s_wait_loadcnt 0x0
	ds_store_b128 v164, v[1:4]
.LBB122_253:
	s_wait_alu 0xfffe
	s_or_b32 exec_lo, exec_lo, s0
	s_wait_storecnt_dscnt 0x0
	s_barrier_signal -1
	s_barrier_wait -1
	global_inv scope:SCOPE_SE
	s_clause 0x1
	scratch_load_b128 v[2:5], off, off offset:944
	scratch_load_b128 v[6:9], off, off offset:928
	v_mov_b32_e32 v1, 0
	s_mov_b32 s0, exec_lo
	ds_load_b128 v[10:13], v1 offset:1872
	s_wait_loadcnt_dscnt 0x100
	v_mul_f64_e32 v[14:15], v[12:13], v[4:5]
	v_mul_f64_e32 v[4:5], v[10:11], v[4:5]
	s_delay_alu instid0(VALU_DEP_2) | instskip(NEXT) | instid1(VALU_DEP_2)
	v_fma_f64 v[10:11], v[10:11], v[2:3], -v[14:15]
	v_fma_f64 v[2:3], v[12:13], v[2:3], v[4:5]
	s_delay_alu instid0(VALU_DEP_2) | instskip(NEXT) | instid1(VALU_DEP_2)
	v_add_f64_e32 v[4:5], 0, v[10:11]
	v_add_f64_e32 v[10:11], 0, v[2:3]
	s_wait_loadcnt 0x0
	s_delay_alu instid0(VALU_DEP_2) | instskip(NEXT) | instid1(VALU_DEP_2)
	v_add_f64_e64 v[2:3], v[6:7], -v[4:5]
	v_add_f64_e64 v[4:5], v[8:9], -v[10:11]
	scratch_store_b128 off, v[2:5], off offset:928
	v_cmpx_lt_u32_e32 56, v0
	s_cbranch_execz .LBB122_255
; %bb.254:
	scratch_load_b128 v[5:8], off, s14
	v_dual_mov_b32 v2, v1 :: v_dual_mov_b32 v3, v1
	v_mov_b32_e32 v4, v1
	scratch_store_b128 off, v[1:4], off offset:912
	s_wait_loadcnt 0x0
	ds_store_b128 v164, v[5:8]
.LBB122_255:
	s_wait_alu 0xfffe
	s_or_b32 exec_lo, exec_lo, s0
	s_wait_storecnt_dscnt 0x0
	s_barrier_signal -1
	s_barrier_wait -1
	global_inv scope:SCOPE_SE
	s_clause 0x2
	scratch_load_b128 v[2:5], off, off offset:928
	scratch_load_b128 v[6:9], off, off offset:944
	;; [unrolled: 1-line block ×3, first 2 shown]
	ds_load_b128 v[14:17], v1 offset:1856
	ds_load_b128 v[18:21], v1 offset:1872
	s_mov_b32 s0, exec_lo
	s_wait_loadcnt_dscnt 0x201
	v_mul_f64_e32 v[22:23], v[16:17], v[4:5]
	v_mul_f64_e32 v[4:5], v[14:15], v[4:5]
	s_wait_loadcnt_dscnt 0x100
	v_mul_f64_e32 v[24:25], v[18:19], v[8:9]
	v_mul_f64_e32 v[8:9], v[20:21], v[8:9]
	s_delay_alu instid0(VALU_DEP_4) | instskip(NEXT) | instid1(VALU_DEP_4)
	v_fma_f64 v[14:15], v[14:15], v[2:3], -v[22:23]
	v_fma_f64 v[1:2], v[16:17], v[2:3], v[4:5]
	s_delay_alu instid0(VALU_DEP_4) | instskip(NEXT) | instid1(VALU_DEP_4)
	v_fma_f64 v[3:4], v[20:21], v[6:7], v[24:25]
	v_fma_f64 v[5:6], v[18:19], v[6:7], -v[8:9]
	s_delay_alu instid0(VALU_DEP_4) | instskip(NEXT) | instid1(VALU_DEP_4)
	v_add_f64_e32 v[7:8], 0, v[14:15]
	v_add_f64_e32 v[1:2], 0, v[1:2]
	s_delay_alu instid0(VALU_DEP_2) | instskip(NEXT) | instid1(VALU_DEP_2)
	v_add_f64_e32 v[5:6], v[7:8], v[5:6]
	v_add_f64_e32 v[3:4], v[1:2], v[3:4]
	s_wait_loadcnt 0x0
	s_delay_alu instid0(VALU_DEP_2) | instskip(NEXT) | instid1(VALU_DEP_2)
	v_add_f64_e64 v[1:2], v[10:11], -v[5:6]
	v_add_f64_e64 v[3:4], v[12:13], -v[3:4]
	scratch_store_b128 off, v[1:4], off offset:912
	v_cmpx_lt_u32_e32 55, v0
	s_cbranch_execz .LBB122_257
; %bb.256:
	scratch_load_b128 v[1:4], off, s16
	v_mov_b32_e32 v5, 0
	s_delay_alu instid0(VALU_DEP_1)
	v_dual_mov_b32 v6, v5 :: v_dual_mov_b32 v7, v5
	v_mov_b32_e32 v8, v5
	scratch_store_b128 off, v[5:8], off offset:896
	s_wait_loadcnt 0x0
	ds_store_b128 v164, v[1:4]
.LBB122_257:
	s_wait_alu 0xfffe
	s_or_b32 exec_lo, exec_lo, s0
	s_wait_storecnt_dscnt 0x0
	s_barrier_signal -1
	s_barrier_wait -1
	global_inv scope:SCOPE_SE
	s_clause 0x3
	scratch_load_b128 v[2:5], off, off offset:912
	scratch_load_b128 v[6:9], off, off offset:928
	;; [unrolled: 1-line block ×4, first 2 shown]
	v_mov_b32_e32 v1, 0
	ds_load_b128 v[18:21], v1 offset:1840
	ds_load_b128 v[22:25], v1 offset:1856
	s_mov_b32 s0, exec_lo
	s_wait_loadcnt_dscnt 0x301
	v_mul_f64_e32 v[26:27], v[20:21], v[4:5]
	v_mul_f64_e32 v[4:5], v[18:19], v[4:5]
	s_wait_loadcnt_dscnt 0x200
	v_mul_f64_e32 v[28:29], v[22:23], v[8:9]
	v_mul_f64_e32 v[8:9], v[24:25], v[8:9]
	s_delay_alu instid0(VALU_DEP_4) | instskip(NEXT) | instid1(VALU_DEP_4)
	v_fma_f64 v[18:19], v[18:19], v[2:3], -v[26:27]
	v_fma_f64 v[20:21], v[20:21], v[2:3], v[4:5]
	ds_load_b128 v[2:5], v1 offset:1872
	v_fma_f64 v[24:25], v[24:25], v[6:7], v[28:29]
	v_fma_f64 v[6:7], v[22:23], v[6:7], -v[8:9]
	s_wait_loadcnt_dscnt 0x100
	v_mul_f64_e32 v[26:27], v[2:3], v[12:13]
	v_mul_f64_e32 v[12:13], v[4:5], v[12:13]
	v_add_f64_e32 v[8:9], 0, v[18:19]
	v_add_f64_e32 v[18:19], 0, v[20:21]
	s_delay_alu instid0(VALU_DEP_4) | instskip(NEXT) | instid1(VALU_DEP_4)
	v_fma_f64 v[4:5], v[4:5], v[10:11], v[26:27]
	v_fma_f64 v[2:3], v[2:3], v[10:11], -v[12:13]
	s_delay_alu instid0(VALU_DEP_4) | instskip(NEXT) | instid1(VALU_DEP_4)
	v_add_f64_e32 v[6:7], v[8:9], v[6:7]
	v_add_f64_e32 v[8:9], v[18:19], v[24:25]
	s_delay_alu instid0(VALU_DEP_2) | instskip(NEXT) | instid1(VALU_DEP_2)
	v_add_f64_e32 v[2:3], v[6:7], v[2:3]
	v_add_f64_e32 v[4:5], v[8:9], v[4:5]
	s_wait_loadcnt 0x0
	s_delay_alu instid0(VALU_DEP_2) | instskip(NEXT) | instid1(VALU_DEP_2)
	v_add_f64_e64 v[2:3], v[14:15], -v[2:3]
	v_add_f64_e64 v[4:5], v[16:17], -v[4:5]
	scratch_store_b128 off, v[2:5], off offset:896
	v_cmpx_lt_u32_e32 54, v0
	s_cbranch_execz .LBB122_259
; %bb.258:
	scratch_load_b128 v[5:8], off, s17
	v_dual_mov_b32 v2, v1 :: v_dual_mov_b32 v3, v1
	v_mov_b32_e32 v4, v1
	scratch_store_b128 off, v[1:4], off offset:880
	s_wait_loadcnt 0x0
	ds_store_b128 v164, v[5:8]
.LBB122_259:
	s_wait_alu 0xfffe
	s_or_b32 exec_lo, exec_lo, s0
	s_wait_storecnt_dscnt 0x0
	s_barrier_signal -1
	s_barrier_wait -1
	global_inv scope:SCOPE_SE
	s_clause 0x4
	scratch_load_b128 v[2:5], off, off offset:896
	scratch_load_b128 v[6:9], off, off offset:912
	;; [unrolled: 1-line block ×5, first 2 shown]
	ds_load_b128 v[22:25], v1 offset:1824
	ds_load_b128 v[26:29], v1 offset:1840
	s_mov_b32 s0, exec_lo
	s_wait_loadcnt_dscnt 0x401
	v_mul_f64_e32 v[30:31], v[24:25], v[4:5]
	v_mul_f64_e32 v[4:5], v[22:23], v[4:5]
	s_wait_loadcnt_dscnt 0x300
	v_mul_f64_e32 v[32:33], v[26:27], v[8:9]
	v_mul_f64_e32 v[8:9], v[28:29], v[8:9]
	s_delay_alu instid0(VALU_DEP_4) | instskip(NEXT) | instid1(VALU_DEP_4)
	v_fma_f64 v[30:31], v[22:23], v[2:3], -v[30:31]
	v_fma_f64 v[34:35], v[24:25], v[2:3], v[4:5]
	ds_load_b128 v[2:5], v1 offset:1856
	ds_load_b128 v[22:25], v1 offset:1872
	v_fma_f64 v[28:29], v[28:29], v[6:7], v[32:33]
	v_fma_f64 v[6:7], v[26:27], v[6:7], -v[8:9]
	s_wait_loadcnt_dscnt 0x201
	v_mul_f64_e32 v[36:37], v[2:3], v[12:13]
	v_mul_f64_e32 v[12:13], v[4:5], v[12:13]
	v_add_f64_e32 v[8:9], 0, v[30:31]
	v_add_f64_e32 v[26:27], 0, v[34:35]
	s_wait_loadcnt_dscnt 0x100
	v_mul_f64_e32 v[30:31], v[22:23], v[16:17]
	v_mul_f64_e32 v[16:17], v[24:25], v[16:17]
	v_fma_f64 v[4:5], v[4:5], v[10:11], v[36:37]
	v_fma_f64 v[1:2], v[2:3], v[10:11], -v[12:13]
	v_add_f64_e32 v[6:7], v[8:9], v[6:7]
	v_add_f64_e32 v[8:9], v[26:27], v[28:29]
	v_fma_f64 v[10:11], v[24:25], v[14:15], v[30:31]
	v_fma_f64 v[12:13], v[22:23], v[14:15], -v[16:17]
	s_delay_alu instid0(VALU_DEP_4) | instskip(NEXT) | instid1(VALU_DEP_4)
	v_add_f64_e32 v[1:2], v[6:7], v[1:2]
	v_add_f64_e32 v[3:4], v[8:9], v[4:5]
	s_delay_alu instid0(VALU_DEP_2) | instskip(NEXT) | instid1(VALU_DEP_2)
	v_add_f64_e32 v[1:2], v[1:2], v[12:13]
	v_add_f64_e32 v[3:4], v[3:4], v[10:11]
	s_wait_loadcnt 0x0
	s_delay_alu instid0(VALU_DEP_2) | instskip(NEXT) | instid1(VALU_DEP_2)
	v_add_f64_e64 v[1:2], v[18:19], -v[1:2]
	v_add_f64_e64 v[3:4], v[20:21], -v[3:4]
	scratch_store_b128 off, v[1:4], off offset:880
	v_cmpx_lt_u32_e32 53, v0
	s_cbranch_execz .LBB122_261
; %bb.260:
	scratch_load_b128 v[1:4], off, s18
	v_mov_b32_e32 v5, 0
	s_delay_alu instid0(VALU_DEP_1)
	v_dual_mov_b32 v6, v5 :: v_dual_mov_b32 v7, v5
	v_mov_b32_e32 v8, v5
	scratch_store_b128 off, v[5:8], off offset:864
	s_wait_loadcnt 0x0
	ds_store_b128 v164, v[1:4]
.LBB122_261:
	s_wait_alu 0xfffe
	s_or_b32 exec_lo, exec_lo, s0
	s_wait_storecnt_dscnt 0x0
	s_barrier_signal -1
	s_barrier_wait -1
	global_inv scope:SCOPE_SE
	s_clause 0x5
	scratch_load_b128 v[2:5], off, off offset:880
	scratch_load_b128 v[6:9], off, off offset:896
	;; [unrolled: 1-line block ×6, first 2 shown]
	v_mov_b32_e32 v1, 0
	ds_load_b128 v[26:29], v1 offset:1808
	ds_load_b128 v[30:33], v1 offset:1824
	s_mov_b32 s0, exec_lo
	s_wait_loadcnt_dscnt 0x501
	v_mul_f64_e32 v[34:35], v[28:29], v[4:5]
	v_mul_f64_e32 v[4:5], v[26:27], v[4:5]
	s_wait_loadcnt_dscnt 0x400
	v_mul_f64_e32 v[36:37], v[30:31], v[8:9]
	v_mul_f64_e32 v[8:9], v[32:33], v[8:9]
	s_delay_alu instid0(VALU_DEP_4) | instskip(NEXT) | instid1(VALU_DEP_4)
	v_fma_f64 v[34:35], v[26:27], v[2:3], -v[34:35]
	v_fma_f64 v[38:39], v[28:29], v[2:3], v[4:5]
	ds_load_b128 v[2:5], v1 offset:1840
	ds_load_b128 v[26:29], v1 offset:1856
	v_fma_f64 v[32:33], v[32:33], v[6:7], v[36:37]
	v_fma_f64 v[6:7], v[30:31], v[6:7], -v[8:9]
	s_wait_loadcnt_dscnt 0x301
	v_mul_f64_e32 v[40:41], v[2:3], v[12:13]
	v_mul_f64_e32 v[12:13], v[4:5], v[12:13]
	v_add_f64_e32 v[8:9], 0, v[34:35]
	v_add_f64_e32 v[30:31], 0, v[38:39]
	s_wait_loadcnt_dscnt 0x200
	v_mul_f64_e32 v[34:35], v[26:27], v[16:17]
	v_mul_f64_e32 v[16:17], v[28:29], v[16:17]
	v_fma_f64 v[36:37], v[4:5], v[10:11], v[40:41]
	v_fma_f64 v[10:11], v[2:3], v[10:11], -v[12:13]
	ds_load_b128 v[2:5], v1 offset:1872
	v_add_f64_e32 v[6:7], v[8:9], v[6:7]
	v_add_f64_e32 v[8:9], v[30:31], v[32:33]
	v_fma_f64 v[28:29], v[28:29], v[14:15], v[34:35]
	v_fma_f64 v[14:15], v[26:27], v[14:15], -v[16:17]
	s_wait_loadcnt_dscnt 0x100
	v_mul_f64_e32 v[12:13], v[2:3], v[20:21]
	v_mul_f64_e32 v[20:21], v[4:5], v[20:21]
	v_add_f64_e32 v[6:7], v[6:7], v[10:11]
	v_add_f64_e32 v[8:9], v[8:9], v[36:37]
	s_delay_alu instid0(VALU_DEP_4) | instskip(NEXT) | instid1(VALU_DEP_4)
	v_fma_f64 v[4:5], v[4:5], v[18:19], v[12:13]
	v_fma_f64 v[2:3], v[2:3], v[18:19], -v[20:21]
	s_delay_alu instid0(VALU_DEP_4) | instskip(NEXT) | instid1(VALU_DEP_4)
	v_add_f64_e32 v[6:7], v[6:7], v[14:15]
	v_add_f64_e32 v[8:9], v[8:9], v[28:29]
	s_delay_alu instid0(VALU_DEP_2) | instskip(NEXT) | instid1(VALU_DEP_2)
	v_add_f64_e32 v[2:3], v[6:7], v[2:3]
	v_add_f64_e32 v[4:5], v[8:9], v[4:5]
	s_wait_loadcnt 0x0
	s_delay_alu instid0(VALU_DEP_2) | instskip(NEXT) | instid1(VALU_DEP_2)
	v_add_f64_e64 v[2:3], v[22:23], -v[2:3]
	v_add_f64_e64 v[4:5], v[24:25], -v[4:5]
	scratch_store_b128 off, v[2:5], off offset:864
	v_cmpx_lt_u32_e32 52, v0
	s_cbranch_execz .LBB122_263
; %bb.262:
	scratch_load_b128 v[5:8], off, s19
	v_dual_mov_b32 v2, v1 :: v_dual_mov_b32 v3, v1
	v_mov_b32_e32 v4, v1
	scratch_store_b128 off, v[1:4], off offset:848
	s_wait_loadcnt 0x0
	ds_store_b128 v164, v[5:8]
.LBB122_263:
	s_wait_alu 0xfffe
	s_or_b32 exec_lo, exec_lo, s0
	s_wait_storecnt_dscnt 0x0
	s_barrier_signal -1
	s_barrier_wait -1
	global_inv scope:SCOPE_SE
	s_clause 0x5
	scratch_load_b128 v[2:5], off, off offset:864
	scratch_load_b128 v[6:9], off, off offset:880
	;; [unrolled: 1-line block ×6, first 2 shown]
	ds_load_b128 v[26:29], v1 offset:1792
	ds_load_b128 v[34:37], v1 offset:1808
	scratch_load_b128 v[30:33], off, off offset:848
	s_mov_b32 s0, exec_lo
	s_wait_loadcnt_dscnt 0x601
	v_mul_f64_e32 v[38:39], v[28:29], v[4:5]
	v_mul_f64_e32 v[4:5], v[26:27], v[4:5]
	s_wait_loadcnt_dscnt 0x500
	v_mul_f64_e32 v[40:41], v[34:35], v[8:9]
	v_mul_f64_e32 v[8:9], v[36:37], v[8:9]
	s_delay_alu instid0(VALU_DEP_4) | instskip(NEXT) | instid1(VALU_DEP_4)
	v_fma_f64 v[38:39], v[26:27], v[2:3], -v[38:39]
	v_fma_f64 v[42:43], v[28:29], v[2:3], v[4:5]
	ds_load_b128 v[2:5], v1 offset:1824
	ds_load_b128 v[26:29], v1 offset:1840
	v_fma_f64 v[36:37], v[36:37], v[6:7], v[40:41]
	v_fma_f64 v[6:7], v[34:35], v[6:7], -v[8:9]
	s_wait_loadcnt_dscnt 0x401
	v_mul_f64_e32 v[44:45], v[2:3], v[12:13]
	v_mul_f64_e32 v[12:13], v[4:5], v[12:13]
	v_add_f64_e32 v[8:9], 0, v[38:39]
	v_add_f64_e32 v[34:35], 0, v[42:43]
	s_wait_loadcnt_dscnt 0x300
	v_mul_f64_e32 v[38:39], v[26:27], v[16:17]
	v_mul_f64_e32 v[16:17], v[28:29], v[16:17]
	v_fma_f64 v[40:41], v[4:5], v[10:11], v[44:45]
	v_fma_f64 v[10:11], v[2:3], v[10:11], -v[12:13]
	v_add_f64_e32 v[12:13], v[8:9], v[6:7]
	v_add_f64_e32 v[34:35], v[34:35], v[36:37]
	ds_load_b128 v[2:5], v1 offset:1856
	ds_load_b128 v[6:9], v1 offset:1872
	v_fma_f64 v[28:29], v[28:29], v[14:15], v[38:39]
	v_fma_f64 v[14:15], v[26:27], v[14:15], -v[16:17]
	s_wait_loadcnt_dscnt 0x201
	v_mul_f64_e32 v[36:37], v[2:3], v[20:21]
	v_mul_f64_e32 v[20:21], v[4:5], v[20:21]
	s_wait_loadcnt_dscnt 0x100
	v_mul_f64_e32 v[16:17], v[6:7], v[24:25]
	v_mul_f64_e32 v[24:25], v[8:9], v[24:25]
	v_add_f64_e32 v[10:11], v[12:13], v[10:11]
	v_add_f64_e32 v[12:13], v[34:35], v[40:41]
	v_fma_f64 v[4:5], v[4:5], v[18:19], v[36:37]
	v_fma_f64 v[1:2], v[2:3], v[18:19], -v[20:21]
	v_fma_f64 v[8:9], v[8:9], v[22:23], v[16:17]
	v_fma_f64 v[6:7], v[6:7], v[22:23], -v[24:25]
	v_add_f64_e32 v[10:11], v[10:11], v[14:15]
	v_add_f64_e32 v[12:13], v[12:13], v[28:29]
	s_delay_alu instid0(VALU_DEP_2) | instskip(NEXT) | instid1(VALU_DEP_2)
	v_add_f64_e32 v[1:2], v[10:11], v[1:2]
	v_add_f64_e32 v[3:4], v[12:13], v[4:5]
	s_delay_alu instid0(VALU_DEP_2) | instskip(NEXT) | instid1(VALU_DEP_2)
	v_add_f64_e32 v[1:2], v[1:2], v[6:7]
	v_add_f64_e32 v[3:4], v[3:4], v[8:9]
	s_wait_loadcnt 0x0
	s_delay_alu instid0(VALU_DEP_2) | instskip(NEXT) | instid1(VALU_DEP_2)
	v_add_f64_e64 v[1:2], v[30:31], -v[1:2]
	v_add_f64_e64 v[3:4], v[32:33], -v[3:4]
	scratch_store_b128 off, v[1:4], off offset:848
	v_cmpx_lt_u32_e32 51, v0
	s_cbranch_execz .LBB122_265
; %bb.264:
	scratch_load_b128 v[1:4], off, s20
	v_mov_b32_e32 v5, 0
	s_delay_alu instid0(VALU_DEP_1)
	v_dual_mov_b32 v6, v5 :: v_dual_mov_b32 v7, v5
	v_mov_b32_e32 v8, v5
	scratch_store_b128 off, v[5:8], off offset:832
	s_wait_loadcnt 0x0
	ds_store_b128 v164, v[1:4]
.LBB122_265:
	s_wait_alu 0xfffe
	s_or_b32 exec_lo, exec_lo, s0
	s_wait_storecnt_dscnt 0x0
	s_barrier_signal -1
	s_barrier_wait -1
	global_inv scope:SCOPE_SE
	s_clause 0x6
	scratch_load_b128 v[2:5], off, off offset:848
	scratch_load_b128 v[6:9], off, off offset:864
	;; [unrolled: 1-line block ×7, first 2 shown]
	v_mov_b32_e32 v1, 0
	scratch_load_b128 v[38:41], off, off offset:832
	s_mov_b32 s0, exec_lo
	ds_load_b128 v[30:33], v1 offset:1776
	ds_load_b128 v[34:37], v1 offset:1792
	s_wait_loadcnt_dscnt 0x701
	v_mul_f64_e32 v[42:43], v[32:33], v[4:5]
	v_mul_f64_e32 v[4:5], v[30:31], v[4:5]
	s_wait_loadcnt_dscnt 0x600
	v_mul_f64_e32 v[44:45], v[34:35], v[8:9]
	v_mul_f64_e32 v[8:9], v[36:37], v[8:9]
	s_delay_alu instid0(VALU_DEP_4) | instskip(NEXT) | instid1(VALU_DEP_4)
	v_fma_f64 v[30:31], v[30:31], v[2:3], -v[42:43]
	v_fma_f64 v[32:33], v[32:33], v[2:3], v[4:5]
	ds_load_b128 v[2:5], v1 offset:1808
	v_fma_f64 v[36:37], v[36:37], v[6:7], v[44:45]
	v_fma_f64 v[34:35], v[34:35], v[6:7], -v[8:9]
	ds_load_b128 v[6:9], v1 offset:1824
	s_wait_loadcnt_dscnt 0x501
	v_mul_f64_e32 v[42:43], v[2:3], v[12:13]
	v_mul_f64_e32 v[12:13], v[4:5], v[12:13]
	s_wait_loadcnt_dscnt 0x400
	v_mul_f64_e32 v[44:45], v[6:7], v[16:17]
	v_mul_f64_e32 v[16:17], v[8:9], v[16:17]
	v_add_f64_e32 v[30:31], 0, v[30:31]
	v_add_f64_e32 v[32:33], 0, v[32:33]
	v_fma_f64 v[42:43], v[4:5], v[10:11], v[42:43]
	v_fma_f64 v[10:11], v[2:3], v[10:11], -v[12:13]
	ds_load_b128 v[2:5], v1 offset:1840
	v_add_f64_e32 v[12:13], v[30:31], v[34:35]
	v_add_f64_e32 v[30:31], v[32:33], v[36:37]
	v_fma_f64 v[34:35], v[8:9], v[14:15], v[44:45]
	v_fma_f64 v[14:15], v[6:7], v[14:15], -v[16:17]
	ds_load_b128 v[6:9], v1 offset:1856
	s_wait_loadcnt_dscnt 0x301
	v_mul_f64_e32 v[32:33], v[2:3], v[20:21]
	v_mul_f64_e32 v[20:21], v[4:5], v[20:21]
	s_wait_loadcnt_dscnt 0x200
	v_mul_f64_e32 v[16:17], v[6:7], v[24:25]
	v_mul_f64_e32 v[24:25], v[8:9], v[24:25]
	v_add_f64_e32 v[10:11], v[12:13], v[10:11]
	v_add_f64_e32 v[12:13], v[30:31], v[42:43]
	v_fma_f64 v[30:31], v[4:5], v[18:19], v[32:33]
	v_fma_f64 v[18:19], v[2:3], v[18:19], -v[20:21]
	ds_load_b128 v[2:5], v1 offset:1872
	v_fma_f64 v[8:9], v[8:9], v[22:23], v[16:17]
	v_fma_f64 v[6:7], v[6:7], v[22:23], -v[24:25]
	s_wait_loadcnt_dscnt 0x100
	v_mul_f64_e32 v[20:21], v[4:5], v[28:29]
	v_add_f64_e32 v[10:11], v[10:11], v[14:15]
	v_add_f64_e32 v[12:13], v[12:13], v[34:35]
	v_mul_f64_e32 v[14:15], v[2:3], v[28:29]
	s_delay_alu instid0(VALU_DEP_4) | instskip(NEXT) | instid1(VALU_DEP_4)
	v_fma_f64 v[2:3], v[2:3], v[26:27], -v[20:21]
	v_add_f64_e32 v[10:11], v[10:11], v[18:19]
	s_delay_alu instid0(VALU_DEP_4) | instskip(NEXT) | instid1(VALU_DEP_4)
	v_add_f64_e32 v[12:13], v[12:13], v[30:31]
	v_fma_f64 v[4:5], v[4:5], v[26:27], v[14:15]
	s_delay_alu instid0(VALU_DEP_3) | instskip(NEXT) | instid1(VALU_DEP_3)
	v_add_f64_e32 v[6:7], v[10:11], v[6:7]
	v_add_f64_e32 v[8:9], v[12:13], v[8:9]
	s_delay_alu instid0(VALU_DEP_2) | instskip(NEXT) | instid1(VALU_DEP_2)
	v_add_f64_e32 v[2:3], v[6:7], v[2:3]
	v_add_f64_e32 v[4:5], v[8:9], v[4:5]
	s_wait_loadcnt 0x0
	s_delay_alu instid0(VALU_DEP_2) | instskip(NEXT) | instid1(VALU_DEP_2)
	v_add_f64_e64 v[2:3], v[38:39], -v[2:3]
	v_add_f64_e64 v[4:5], v[40:41], -v[4:5]
	scratch_store_b128 off, v[2:5], off offset:832
	v_cmpx_lt_u32_e32 50, v0
	s_cbranch_execz .LBB122_267
; %bb.266:
	scratch_load_b128 v[5:8], off, s21
	v_dual_mov_b32 v2, v1 :: v_dual_mov_b32 v3, v1
	v_mov_b32_e32 v4, v1
	scratch_store_b128 off, v[1:4], off offset:816
	s_wait_loadcnt 0x0
	ds_store_b128 v164, v[5:8]
.LBB122_267:
	s_wait_alu 0xfffe
	s_or_b32 exec_lo, exec_lo, s0
	s_wait_storecnt_dscnt 0x0
	s_barrier_signal -1
	s_barrier_wait -1
	global_inv scope:SCOPE_SE
	s_clause 0x7
	scratch_load_b128 v[2:5], off, off offset:832
	scratch_load_b128 v[6:9], off, off offset:848
	;; [unrolled: 1-line block ×8, first 2 shown]
	ds_load_b128 v[34:37], v1 offset:1760
	ds_load_b128 v[38:41], v1 offset:1776
	s_mov_b32 s0, exec_lo
	s_wait_loadcnt_dscnt 0x701
	v_mul_f64_e32 v[42:43], v[36:37], v[4:5]
	v_mul_f64_e32 v[4:5], v[34:35], v[4:5]
	s_wait_loadcnt_dscnt 0x600
	v_mul_f64_e32 v[44:45], v[38:39], v[8:9]
	v_mul_f64_e32 v[8:9], v[40:41], v[8:9]
	s_delay_alu instid0(VALU_DEP_4) | instskip(NEXT) | instid1(VALU_DEP_4)
	v_fma_f64 v[42:43], v[34:35], v[2:3], -v[42:43]
	v_fma_f64 v[165:166], v[36:37], v[2:3], v[4:5]
	ds_load_b128 v[2:5], v1 offset:1792
	scratch_load_b128 v[34:37], off, off offset:816
	v_fma_f64 v[40:41], v[40:41], v[6:7], v[44:45]
	v_fma_f64 v[38:39], v[38:39], v[6:7], -v[8:9]
	ds_load_b128 v[6:9], v1 offset:1808
	s_wait_loadcnt_dscnt 0x601
	v_mul_f64_e32 v[167:168], v[2:3], v[12:13]
	v_mul_f64_e32 v[12:13], v[4:5], v[12:13]
	v_add_f64_e32 v[42:43], 0, v[42:43]
	v_add_f64_e32 v[44:45], 0, v[165:166]
	s_wait_loadcnt_dscnt 0x500
	v_mul_f64_e32 v[165:166], v[6:7], v[16:17]
	v_mul_f64_e32 v[16:17], v[8:9], v[16:17]
	v_fma_f64 v[167:168], v[4:5], v[10:11], v[167:168]
	v_fma_f64 v[10:11], v[2:3], v[10:11], -v[12:13]
	ds_load_b128 v[2:5], v1 offset:1824
	v_add_f64_e32 v[12:13], v[42:43], v[38:39]
	v_add_f64_e32 v[38:39], v[44:45], v[40:41]
	v_fma_f64 v[42:43], v[8:9], v[14:15], v[165:166]
	v_fma_f64 v[14:15], v[6:7], v[14:15], -v[16:17]
	ds_load_b128 v[6:9], v1 offset:1840
	s_wait_loadcnt_dscnt 0x401
	v_mul_f64_e32 v[40:41], v[2:3], v[20:21]
	v_mul_f64_e32 v[20:21], v[4:5], v[20:21]
	s_wait_loadcnt_dscnt 0x300
	v_mul_f64_e32 v[16:17], v[6:7], v[24:25]
	v_mul_f64_e32 v[24:25], v[8:9], v[24:25]
	v_add_f64_e32 v[10:11], v[12:13], v[10:11]
	v_add_f64_e32 v[12:13], v[38:39], v[167:168]
	v_fma_f64 v[38:39], v[4:5], v[18:19], v[40:41]
	v_fma_f64 v[18:19], v[2:3], v[18:19], -v[20:21]
	ds_load_b128 v[2:5], v1 offset:1856
	v_fma_f64 v[16:17], v[8:9], v[22:23], v[16:17]
	v_fma_f64 v[22:23], v[6:7], v[22:23], -v[24:25]
	ds_load_b128 v[6:9], v1 offset:1872
	s_wait_loadcnt_dscnt 0x201
	v_mul_f64_e32 v[20:21], v[4:5], v[28:29]
	v_add_f64_e32 v[10:11], v[10:11], v[14:15]
	v_add_f64_e32 v[12:13], v[12:13], v[42:43]
	v_mul_f64_e32 v[14:15], v[2:3], v[28:29]
	s_wait_loadcnt_dscnt 0x100
	v_mul_f64_e32 v[24:25], v[8:9], v[32:33]
	v_fma_f64 v[1:2], v[2:3], v[26:27], -v[20:21]
	v_add_f64_e32 v[10:11], v[10:11], v[18:19]
	v_add_f64_e32 v[12:13], v[12:13], v[38:39]
	v_mul_f64_e32 v[18:19], v[6:7], v[32:33]
	v_fma_f64 v[4:5], v[4:5], v[26:27], v[14:15]
	v_fma_f64 v[6:7], v[6:7], v[30:31], -v[24:25]
	v_add_f64_e32 v[10:11], v[10:11], v[22:23]
	v_add_f64_e32 v[12:13], v[12:13], v[16:17]
	v_fma_f64 v[8:9], v[8:9], v[30:31], v[18:19]
	s_delay_alu instid0(VALU_DEP_3) | instskip(NEXT) | instid1(VALU_DEP_3)
	v_add_f64_e32 v[1:2], v[10:11], v[1:2]
	v_add_f64_e32 v[3:4], v[12:13], v[4:5]
	s_delay_alu instid0(VALU_DEP_2) | instskip(NEXT) | instid1(VALU_DEP_2)
	v_add_f64_e32 v[1:2], v[1:2], v[6:7]
	v_add_f64_e32 v[3:4], v[3:4], v[8:9]
	s_wait_loadcnt 0x0
	s_delay_alu instid0(VALU_DEP_2) | instskip(NEXT) | instid1(VALU_DEP_2)
	v_add_f64_e64 v[1:2], v[34:35], -v[1:2]
	v_add_f64_e64 v[3:4], v[36:37], -v[3:4]
	scratch_store_b128 off, v[1:4], off offset:816
	v_cmpx_lt_u32_e32 49, v0
	s_cbranch_execz .LBB122_269
; %bb.268:
	scratch_load_b128 v[1:4], off, s22
	v_mov_b32_e32 v5, 0
	s_delay_alu instid0(VALU_DEP_1)
	v_dual_mov_b32 v6, v5 :: v_dual_mov_b32 v7, v5
	v_mov_b32_e32 v8, v5
	scratch_store_b128 off, v[5:8], off offset:800
	s_wait_loadcnt 0x0
	ds_store_b128 v164, v[1:4]
.LBB122_269:
	s_wait_alu 0xfffe
	s_or_b32 exec_lo, exec_lo, s0
	s_wait_storecnt_dscnt 0x0
	s_barrier_signal -1
	s_barrier_wait -1
	global_inv scope:SCOPE_SE
	s_clause 0x7
	scratch_load_b128 v[2:5], off, off offset:816
	scratch_load_b128 v[6:9], off, off offset:832
	;; [unrolled: 1-line block ×8, first 2 shown]
	v_mov_b32_e32 v1, 0
	s_mov_b32 s0, exec_lo
	ds_load_b128 v[34:37], v1 offset:1744
	s_clause 0x1
	scratch_load_b128 v[38:41], off, off offset:944
	scratch_load_b128 v[42:45], off, off offset:800
	ds_load_b128 v[165:168], v1 offset:1760
	s_wait_loadcnt_dscnt 0x901
	v_mul_f64_e32 v[169:170], v[36:37], v[4:5]
	v_mul_f64_e32 v[4:5], v[34:35], v[4:5]
	s_wait_loadcnt_dscnt 0x800
	v_mul_f64_e32 v[171:172], v[165:166], v[8:9]
	v_mul_f64_e32 v[8:9], v[167:168], v[8:9]
	s_delay_alu instid0(VALU_DEP_4) | instskip(NEXT) | instid1(VALU_DEP_4)
	v_fma_f64 v[169:170], v[34:35], v[2:3], -v[169:170]
	v_fma_f64 v[173:174], v[36:37], v[2:3], v[4:5]
	ds_load_b128 v[2:5], v1 offset:1776
	ds_load_b128 v[34:37], v1 offset:1792
	v_fma_f64 v[167:168], v[167:168], v[6:7], v[171:172]
	v_fma_f64 v[6:7], v[165:166], v[6:7], -v[8:9]
	s_wait_loadcnt_dscnt 0x701
	v_mul_f64_e32 v[175:176], v[2:3], v[12:13]
	v_mul_f64_e32 v[12:13], v[4:5], v[12:13]
	v_add_f64_e32 v[8:9], 0, v[169:170]
	v_add_f64_e32 v[165:166], 0, v[173:174]
	s_wait_loadcnt_dscnt 0x600
	v_mul_f64_e32 v[169:170], v[34:35], v[16:17]
	v_mul_f64_e32 v[16:17], v[36:37], v[16:17]
	v_fma_f64 v[171:172], v[4:5], v[10:11], v[175:176]
	v_fma_f64 v[10:11], v[2:3], v[10:11], -v[12:13]
	v_add_f64_e32 v[12:13], v[8:9], v[6:7]
	v_add_f64_e32 v[165:166], v[165:166], v[167:168]
	ds_load_b128 v[2:5], v1 offset:1808
	ds_load_b128 v[6:9], v1 offset:1824
	v_fma_f64 v[36:37], v[36:37], v[14:15], v[169:170]
	v_fma_f64 v[14:15], v[34:35], v[14:15], -v[16:17]
	s_wait_loadcnt_dscnt 0x501
	v_mul_f64_e32 v[167:168], v[2:3], v[20:21]
	v_mul_f64_e32 v[20:21], v[4:5], v[20:21]
	s_wait_loadcnt_dscnt 0x400
	v_mul_f64_e32 v[16:17], v[6:7], v[24:25]
	v_mul_f64_e32 v[24:25], v[8:9], v[24:25]
	v_add_f64_e32 v[10:11], v[12:13], v[10:11]
	v_add_f64_e32 v[12:13], v[165:166], v[171:172]
	v_fma_f64 v[34:35], v[4:5], v[18:19], v[167:168]
	v_fma_f64 v[18:19], v[2:3], v[18:19], -v[20:21]
	v_fma_f64 v[8:9], v[8:9], v[22:23], v[16:17]
	v_fma_f64 v[6:7], v[6:7], v[22:23], -v[24:25]
	v_add_f64_e32 v[14:15], v[10:11], v[14:15]
	v_add_f64_e32 v[20:21], v[12:13], v[36:37]
	ds_load_b128 v[2:5], v1 offset:1840
	ds_load_b128 v[10:13], v1 offset:1856
	s_wait_loadcnt_dscnt 0x301
	v_mul_f64_e32 v[36:37], v[2:3], v[28:29]
	v_mul_f64_e32 v[28:29], v[4:5], v[28:29]
	v_add_f64_e32 v[14:15], v[14:15], v[18:19]
	v_add_f64_e32 v[16:17], v[20:21], v[34:35]
	s_wait_loadcnt_dscnt 0x200
	v_mul_f64_e32 v[18:19], v[10:11], v[32:33]
	v_mul_f64_e32 v[20:21], v[12:13], v[32:33]
	v_fma_f64 v[22:23], v[4:5], v[26:27], v[36:37]
	v_fma_f64 v[24:25], v[2:3], v[26:27], -v[28:29]
	ds_load_b128 v[2:5], v1 offset:1872
	v_add_f64_e32 v[6:7], v[14:15], v[6:7]
	v_add_f64_e32 v[8:9], v[16:17], v[8:9]
	v_fma_f64 v[12:13], v[12:13], v[30:31], v[18:19]
	v_fma_f64 v[10:11], v[10:11], v[30:31], -v[20:21]
	s_wait_loadcnt_dscnt 0x100
	v_mul_f64_e32 v[14:15], v[2:3], v[40:41]
	v_mul_f64_e32 v[16:17], v[4:5], v[40:41]
	v_add_f64_e32 v[6:7], v[6:7], v[24:25]
	v_add_f64_e32 v[8:9], v[8:9], v[22:23]
	s_delay_alu instid0(VALU_DEP_4) | instskip(NEXT) | instid1(VALU_DEP_4)
	v_fma_f64 v[4:5], v[4:5], v[38:39], v[14:15]
	v_fma_f64 v[2:3], v[2:3], v[38:39], -v[16:17]
	s_delay_alu instid0(VALU_DEP_4) | instskip(NEXT) | instid1(VALU_DEP_4)
	v_add_f64_e32 v[6:7], v[6:7], v[10:11]
	v_add_f64_e32 v[8:9], v[8:9], v[12:13]
	s_delay_alu instid0(VALU_DEP_2) | instskip(NEXT) | instid1(VALU_DEP_2)
	v_add_f64_e32 v[2:3], v[6:7], v[2:3]
	v_add_f64_e32 v[4:5], v[8:9], v[4:5]
	s_wait_loadcnt 0x0
	s_delay_alu instid0(VALU_DEP_2) | instskip(NEXT) | instid1(VALU_DEP_2)
	v_add_f64_e64 v[2:3], v[42:43], -v[2:3]
	v_add_f64_e64 v[4:5], v[44:45], -v[4:5]
	scratch_store_b128 off, v[2:5], off offset:800
	v_cmpx_lt_u32_e32 48, v0
	s_cbranch_execz .LBB122_271
; %bb.270:
	scratch_load_b128 v[5:8], off, s23
	v_dual_mov_b32 v2, v1 :: v_dual_mov_b32 v3, v1
	v_mov_b32_e32 v4, v1
	scratch_store_b128 off, v[1:4], off offset:784
	s_wait_loadcnt 0x0
	ds_store_b128 v164, v[5:8]
.LBB122_271:
	s_wait_alu 0xfffe
	s_or_b32 exec_lo, exec_lo, s0
	s_wait_storecnt_dscnt 0x0
	s_barrier_signal -1
	s_barrier_wait -1
	global_inv scope:SCOPE_SE
	s_clause 0x8
	scratch_load_b128 v[2:5], off, off offset:800
	scratch_load_b128 v[6:9], off, off offset:816
	;; [unrolled: 1-line block ×9, first 2 shown]
	ds_load_b128 v[38:41], v1 offset:1728
	ds_load_b128 v[42:45], v1 offset:1744
	s_clause 0x1
	scratch_load_b128 v[165:168], off, off offset:784
	scratch_load_b128 v[169:172], off, off offset:944
	s_mov_b32 s0, exec_lo
	s_wait_loadcnt_dscnt 0xa01
	v_mul_f64_e32 v[173:174], v[40:41], v[4:5]
	v_mul_f64_e32 v[4:5], v[38:39], v[4:5]
	s_wait_loadcnt_dscnt 0x900
	v_mul_f64_e32 v[175:176], v[42:43], v[8:9]
	v_mul_f64_e32 v[8:9], v[44:45], v[8:9]
	s_delay_alu instid0(VALU_DEP_4) | instskip(NEXT) | instid1(VALU_DEP_4)
	v_fma_f64 v[173:174], v[38:39], v[2:3], -v[173:174]
	v_fma_f64 v[177:178], v[40:41], v[2:3], v[4:5]
	ds_load_b128 v[2:5], v1 offset:1760
	ds_load_b128 v[38:41], v1 offset:1776
	v_fma_f64 v[44:45], v[44:45], v[6:7], v[175:176]
	v_fma_f64 v[6:7], v[42:43], v[6:7], -v[8:9]
	s_wait_loadcnt_dscnt 0x801
	v_mul_f64_e32 v[179:180], v[2:3], v[12:13]
	v_mul_f64_e32 v[12:13], v[4:5], v[12:13]
	v_add_f64_e32 v[8:9], 0, v[173:174]
	v_add_f64_e32 v[42:43], 0, v[177:178]
	s_wait_loadcnt_dscnt 0x700
	v_mul_f64_e32 v[173:174], v[38:39], v[16:17]
	v_mul_f64_e32 v[16:17], v[40:41], v[16:17]
	v_fma_f64 v[175:176], v[4:5], v[10:11], v[179:180]
	v_fma_f64 v[10:11], v[2:3], v[10:11], -v[12:13]
	v_add_f64_e32 v[12:13], v[8:9], v[6:7]
	v_add_f64_e32 v[42:43], v[42:43], v[44:45]
	ds_load_b128 v[2:5], v1 offset:1792
	ds_load_b128 v[6:9], v1 offset:1808
	v_fma_f64 v[40:41], v[40:41], v[14:15], v[173:174]
	v_fma_f64 v[14:15], v[38:39], v[14:15], -v[16:17]
	s_wait_loadcnt_dscnt 0x601
	v_mul_f64_e32 v[44:45], v[2:3], v[20:21]
	v_mul_f64_e32 v[20:21], v[4:5], v[20:21]
	s_wait_loadcnt_dscnt 0x500
	v_mul_f64_e32 v[16:17], v[6:7], v[24:25]
	v_mul_f64_e32 v[24:25], v[8:9], v[24:25]
	v_add_f64_e32 v[10:11], v[12:13], v[10:11]
	v_add_f64_e32 v[12:13], v[42:43], v[175:176]
	v_fma_f64 v[38:39], v[4:5], v[18:19], v[44:45]
	v_fma_f64 v[18:19], v[2:3], v[18:19], -v[20:21]
	v_fma_f64 v[8:9], v[8:9], v[22:23], v[16:17]
	v_fma_f64 v[6:7], v[6:7], v[22:23], -v[24:25]
	v_add_f64_e32 v[14:15], v[10:11], v[14:15]
	v_add_f64_e32 v[20:21], v[12:13], v[40:41]
	ds_load_b128 v[2:5], v1 offset:1824
	ds_load_b128 v[10:13], v1 offset:1840
	s_wait_loadcnt_dscnt 0x401
	v_mul_f64_e32 v[40:41], v[2:3], v[28:29]
	v_mul_f64_e32 v[28:29], v[4:5], v[28:29]
	v_add_f64_e32 v[14:15], v[14:15], v[18:19]
	v_add_f64_e32 v[16:17], v[20:21], v[38:39]
	s_wait_loadcnt_dscnt 0x300
	v_mul_f64_e32 v[18:19], v[10:11], v[32:33]
	v_mul_f64_e32 v[20:21], v[12:13], v[32:33]
	v_fma_f64 v[22:23], v[4:5], v[26:27], v[40:41]
	v_fma_f64 v[24:25], v[2:3], v[26:27], -v[28:29]
	v_add_f64_e32 v[14:15], v[14:15], v[6:7]
	v_add_f64_e32 v[16:17], v[16:17], v[8:9]
	ds_load_b128 v[2:5], v1 offset:1856
	ds_load_b128 v[6:9], v1 offset:1872
	v_fma_f64 v[12:13], v[12:13], v[30:31], v[18:19]
	v_fma_f64 v[10:11], v[10:11], v[30:31], -v[20:21]
	s_wait_loadcnt_dscnt 0x201
	v_mul_f64_e32 v[26:27], v[2:3], v[36:37]
	v_mul_f64_e32 v[28:29], v[4:5], v[36:37]
	s_wait_loadcnt_dscnt 0x0
	v_mul_f64_e32 v[18:19], v[6:7], v[171:172]
	v_mul_f64_e32 v[20:21], v[8:9], v[171:172]
	v_add_f64_e32 v[14:15], v[14:15], v[24:25]
	v_add_f64_e32 v[16:17], v[16:17], v[22:23]
	v_fma_f64 v[4:5], v[4:5], v[34:35], v[26:27]
	v_fma_f64 v[1:2], v[2:3], v[34:35], -v[28:29]
	v_fma_f64 v[8:9], v[8:9], v[169:170], v[18:19]
	v_fma_f64 v[6:7], v[6:7], v[169:170], -v[20:21]
	v_add_f64_e32 v[10:11], v[14:15], v[10:11]
	v_add_f64_e32 v[12:13], v[16:17], v[12:13]
	s_delay_alu instid0(VALU_DEP_2) | instskip(NEXT) | instid1(VALU_DEP_2)
	v_add_f64_e32 v[1:2], v[10:11], v[1:2]
	v_add_f64_e32 v[3:4], v[12:13], v[4:5]
	s_delay_alu instid0(VALU_DEP_2) | instskip(NEXT) | instid1(VALU_DEP_2)
	;; [unrolled: 3-line block ×3, first 2 shown]
	v_add_f64_e64 v[1:2], v[165:166], -v[1:2]
	v_add_f64_e64 v[3:4], v[167:168], -v[3:4]
	scratch_store_b128 off, v[1:4], off offset:784
	v_cmpx_lt_u32_e32 47, v0
	s_cbranch_execz .LBB122_273
; %bb.272:
	scratch_load_b128 v[1:4], off, s24
	v_mov_b32_e32 v5, 0
	s_delay_alu instid0(VALU_DEP_1)
	v_dual_mov_b32 v6, v5 :: v_dual_mov_b32 v7, v5
	v_mov_b32_e32 v8, v5
	scratch_store_b128 off, v[5:8], off offset:768
	s_wait_loadcnt 0x0
	ds_store_b128 v164, v[1:4]
.LBB122_273:
	s_wait_alu 0xfffe
	s_or_b32 exec_lo, exec_lo, s0
	s_wait_storecnt_dscnt 0x0
	s_barrier_signal -1
	s_barrier_wait -1
	global_inv scope:SCOPE_SE
	s_clause 0x7
	scratch_load_b128 v[2:5], off, off offset:784
	scratch_load_b128 v[6:9], off, off offset:800
	;; [unrolled: 1-line block ×8, first 2 shown]
	v_mov_b32_e32 v1, 0
	s_mov_b32 s0, exec_lo
	ds_load_b128 v[34:37], v1 offset:1712
	s_clause 0x1
	scratch_load_b128 v[38:41], off, off offset:912
	scratch_load_b128 v[42:45], off, off offset:768
	ds_load_b128 v[165:168], v1 offset:1728
	scratch_load_b128 v[169:172], off, off offset:928
	s_wait_loadcnt_dscnt 0xa01
	v_mul_f64_e32 v[173:174], v[36:37], v[4:5]
	v_mul_f64_e32 v[4:5], v[34:35], v[4:5]
	s_delay_alu instid0(VALU_DEP_2) | instskip(NEXT) | instid1(VALU_DEP_2)
	v_fma_f64 v[179:180], v[34:35], v[2:3], -v[173:174]
	v_fma_f64 v[181:182], v[36:37], v[2:3], v[4:5]
	ds_load_b128 v[2:5], v1 offset:1744
	s_wait_loadcnt_dscnt 0x901
	v_mul_f64_e32 v[177:178], v[165:166], v[8:9]
	v_mul_f64_e32 v[8:9], v[167:168], v[8:9]
	scratch_load_b128 v[34:37], off, off offset:944
	ds_load_b128 v[173:176], v1 offset:1760
	s_wait_loadcnt_dscnt 0x901
	v_mul_f64_e32 v[183:184], v[2:3], v[12:13]
	v_mul_f64_e32 v[12:13], v[4:5], v[12:13]
	v_fma_f64 v[167:168], v[167:168], v[6:7], v[177:178]
	v_fma_f64 v[6:7], v[165:166], v[6:7], -v[8:9]
	v_add_f64_e32 v[8:9], 0, v[179:180]
	v_add_f64_e32 v[165:166], 0, v[181:182]
	s_wait_loadcnt_dscnt 0x800
	v_mul_f64_e32 v[177:178], v[173:174], v[16:17]
	v_mul_f64_e32 v[16:17], v[175:176], v[16:17]
	v_fma_f64 v[179:180], v[4:5], v[10:11], v[183:184]
	v_fma_f64 v[10:11], v[2:3], v[10:11], -v[12:13]
	v_add_f64_e32 v[12:13], v[8:9], v[6:7]
	v_add_f64_e32 v[165:166], v[165:166], v[167:168]
	ds_load_b128 v[2:5], v1 offset:1776
	ds_load_b128 v[6:9], v1 offset:1792
	v_fma_f64 v[175:176], v[175:176], v[14:15], v[177:178]
	v_fma_f64 v[14:15], v[173:174], v[14:15], -v[16:17]
	s_wait_loadcnt_dscnt 0x701
	v_mul_f64_e32 v[167:168], v[2:3], v[20:21]
	v_mul_f64_e32 v[20:21], v[4:5], v[20:21]
	s_wait_loadcnt_dscnt 0x600
	v_mul_f64_e32 v[16:17], v[6:7], v[24:25]
	v_mul_f64_e32 v[24:25], v[8:9], v[24:25]
	v_add_f64_e32 v[10:11], v[12:13], v[10:11]
	v_add_f64_e32 v[12:13], v[165:166], v[179:180]
	v_fma_f64 v[165:166], v[4:5], v[18:19], v[167:168]
	v_fma_f64 v[18:19], v[2:3], v[18:19], -v[20:21]
	v_fma_f64 v[8:9], v[8:9], v[22:23], v[16:17]
	v_fma_f64 v[6:7], v[6:7], v[22:23], -v[24:25]
	v_add_f64_e32 v[14:15], v[10:11], v[14:15]
	v_add_f64_e32 v[20:21], v[12:13], v[175:176]
	ds_load_b128 v[2:5], v1 offset:1808
	ds_load_b128 v[10:13], v1 offset:1824
	s_wait_loadcnt_dscnt 0x501
	v_mul_f64_e32 v[167:168], v[2:3], v[28:29]
	v_mul_f64_e32 v[28:29], v[4:5], v[28:29]
	v_add_f64_e32 v[14:15], v[14:15], v[18:19]
	v_add_f64_e32 v[16:17], v[20:21], v[165:166]
	s_wait_loadcnt_dscnt 0x400
	v_mul_f64_e32 v[18:19], v[10:11], v[32:33]
	v_mul_f64_e32 v[20:21], v[12:13], v[32:33]
	v_fma_f64 v[22:23], v[4:5], v[26:27], v[167:168]
	v_fma_f64 v[24:25], v[2:3], v[26:27], -v[28:29]
	v_add_f64_e32 v[14:15], v[14:15], v[6:7]
	v_add_f64_e32 v[16:17], v[16:17], v[8:9]
	ds_load_b128 v[2:5], v1 offset:1840
	ds_load_b128 v[6:9], v1 offset:1856
	v_fma_f64 v[12:13], v[12:13], v[30:31], v[18:19]
	v_fma_f64 v[10:11], v[10:11], v[30:31], -v[20:21]
	s_wait_loadcnt_dscnt 0x301
	v_mul_f64_e32 v[26:27], v[2:3], v[40:41]
	v_mul_f64_e32 v[28:29], v[4:5], v[40:41]
	s_wait_loadcnt_dscnt 0x100
	v_mul_f64_e32 v[18:19], v[6:7], v[171:172]
	v_mul_f64_e32 v[20:21], v[8:9], v[171:172]
	v_add_f64_e32 v[14:15], v[14:15], v[24:25]
	v_add_f64_e32 v[16:17], v[16:17], v[22:23]
	v_fma_f64 v[22:23], v[4:5], v[38:39], v[26:27]
	v_fma_f64 v[24:25], v[2:3], v[38:39], -v[28:29]
	ds_load_b128 v[2:5], v1 offset:1872
	v_fma_f64 v[8:9], v[8:9], v[169:170], v[18:19]
	v_fma_f64 v[6:7], v[6:7], v[169:170], -v[20:21]
	v_add_f64_e32 v[10:11], v[14:15], v[10:11]
	v_add_f64_e32 v[12:13], v[16:17], v[12:13]
	s_wait_loadcnt_dscnt 0x0
	v_mul_f64_e32 v[14:15], v[2:3], v[36:37]
	v_mul_f64_e32 v[16:17], v[4:5], v[36:37]
	s_delay_alu instid0(VALU_DEP_4) | instskip(NEXT) | instid1(VALU_DEP_4)
	v_add_f64_e32 v[10:11], v[10:11], v[24:25]
	v_add_f64_e32 v[12:13], v[12:13], v[22:23]
	s_delay_alu instid0(VALU_DEP_4) | instskip(NEXT) | instid1(VALU_DEP_4)
	v_fma_f64 v[4:5], v[4:5], v[34:35], v[14:15]
	v_fma_f64 v[2:3], v[2:3], v[34:35], -v[16:17]
	s_delay_alu instid0(VALU_DEP_4) | instskip(NEXT) | instid1(VALU_DEP_4)
	v_add_f64_e32 v[6:7], v[10:11], v[6:7]
	v_add_f64_e32 v[8:9], v[12:13], v[8:9]
	s_delay_alu instid0(VALU_DEP_2) | instskip(NEXT) | instid1(VALU_DEP_2)
	v_add_f64_e32 v[2:3], v[6:7], v[2:3]
	v_add_f64_e32 v[4:5], v[8:9], v[4:5]
	s_delay_alu instid0(VALU_DEP_2) | instskip(NEXT) | instid1(VALU_DEP_2)
	v_add_f64_e64 v[2:3], v[42:43], -v[2:3]
	v_add_f64_e64 v[4:5], v[44:45], -v[4:5]
	scratch_store_b128 off, v[2:5], off offset:768
	v_cmpx_lt_u32_e32 46, v0
	s_cbranch_execz .LBB122_275
; %bb.274:
	scratch_load_b128 v[5:8], off, s25
	v_dual_mov_b32 v2, v1 :: v_dual_mov_b32 v3, v1
	v_mov_b32_e32 v4, v1
	scratch_store_b128 off, v[1:4], off offset:752
	s_wait_loadcnt 0x0
	ds_store_b128 v164, v[5:8]
.LBB122_275:
	s_wait_alu 0xfffe
	s_or_b32 exec_lo, exec_lo, s0
	s_wait_storecnt_dscnt 0x0
	s_barrier_signal -1
	s_barrier_wait -1
	global_inv scope:SCOPE_SE
	s_clause 0x8
	scratch_load_b128 v[2:5], off, off offset:768
	scratch_load_b128 v[6:9], off, off offset:784
	;; [unrolled: 1-line block ×9, first 2 shown]
	ds_load_b128 v[38:41], v1 offset:1696
	ds_load_b128 v[42:45], v1 offset:1712
	s_clause 0x1
	scratch_load_b128 v[165:168], off, off offset:752
	scratch_load_b128 v[169:172], off, off offset:912
	s_mov_b32 s0, exec_lo
	s_wait_loadcnt_dscnt 0xa01
	v_mul_f64_e32 v[173:174], v[40:41], v[4:5]
	v_mul_f64_e32 v[4:5], v[38:39], v[4:5]
	s_wait_loadcnt_dscnt 0x900
	v_mul_f64_e32 v[177:178], v[42:43], v[8:9]
	v_mul_f64_e32 v[8:9], v[44:45], v[8:9]
	s_delay_alu instid0(VALU_DEP_4) | instskip(NEXT) | instid1(VALU_DEP_4)
	v_fma_f64 v[179:180], v[38:39], v[2:3], -v[173:174]
	v_fma_f64 v[181:182], v[40:41], v[2:3], v[4:5]
	ds_load_b128 v[2:5], v1 offset:1728
	ds_load_b128 v[173:176], v1 offset:1744
	scratch_load_b128 v[38:41], off, off offset:928
	v_fma_f64 v[44:45], v[44:45], v[6:7], v[177:178]
	v_fma_f64 v[42:43], v[42:43], v[6:7], -v[8:9]
	scratch_load_b128 v[6:9], off, off offset:944
	s_wait_loadcnt_dscnt 0xa01
	v_mul_f64_e32 v[183:184], v[2:3], v[12:13]
	v_mul_f64_e32 v[12:13], v[4:5], v[12:13]
	v_add_f64_e32 v[177:178], 0, v[179:180]
	v_add_f64_e32 v[179:180], 0, v[181:182]
	s_wait_loadcnt_dscnt 0x900
	v_mul_f64_e32 v[181:182], v[173:174], v[16:17]
	v_mul_f64_e32 v[16:17], v[175:176], v[16:17]
	v_fma_f64 v[183:184], v[4:5], v[10:11], v[183:184]
	v_fma_f64 v[185:186], v[2:3], v[10:11], -v[12:13]
	ds_load_b128 v[2:5], v1 offset:1760
	ds_load_b128 v[10:13], v1 offset:1776
	v_add_f64_e32 v[42:43], v[177:178], v[42:43]
	v_add_f64_e32 v[44:45], v[179:180], v[44:45]
	v_fma_f64 v[175:176], v[175:176], v[14:15], v[181:182]
	v_fma_f64 v[14:15], v[173:174], v[14:15], -v[16:17]
	s_wait_loadcnt_dscnt 0x801
	v_mul_f64_e32 v[177:178], v[2:3], v[20:21]
	v_mul_f64_e32 v[20:21], v[4:5], v[20:21]
	v_add_f64_e32 v[16:17], v[42:43], v[185:186]
	v_add_f64_e32 v[42:43], v[44:45], v[183:184]
	s_wait_loadcnt_dscnt 0x700
	v_mul_f64_e32 v[44:45], v[10:11], v[24:25]
	v_mul_f64_e32 v[24:25], v[12:13], v[24:25]
	v_fma_f64 v[173:174], v[4:5], v[18:19], v[177:178]
	v_fma_f64 v[18:19], v[2:3], v[18:19], -v[20:21]
	v_add_f64_e32 v[20:21], v[16:17], v[14:15]
	v_add_f64_e32 v[42:43], v[42:43], v[175:176]
	ds_load_b128 v[2:5], v1 offset:1792
	ds_load_b128 v[14:17], v1 offset:1808
	v_fma_f64 v[12:13], v[12:13], v[22:23], v[44:45]
	v_fma_f64 v[10:11], v[10:11], v[22:23], -v[24:25]
	s_wait_loadcnt_dscnt 0x601
	v_mul_f64_e32 v[175:176], v[2:3], v[28:29]
	v_mul_f64_e32 v[28:29], v[4:5], v[28:29]
	s_wait_loadcnt_dscnt 0x500
	v_mul_f64_e32 v[22:23], v[14:15], v[32:33]
	v_mul_f64_e32 v[24:25], v[16:17], v[32:33]
	v_add_f64_e32 v[18:19], v[20:21], v[18:19]
	v_add_f64_e32 v[20:21], v[42:43], v[173:174]
	v_fma_f64 v[32:33], v[4:5], v[26:27], v[175:176]
	v_fma_f64 v[26:27], v[2:3], v[26:27], -v[28:29]
	v_fma_f64 v[16:17], v[16:17], v[30:31], v[22:23]
	v_fma_f64 v[14:15], v[14:15], v[30:31], -v[24:25]
	v_add_f64_e32 v[18:19], v[18:19], v[10:11]
	v_add_f64_e32 v[20:21], v[20:21], v[12:13]
	ds_load_b128 v[2:5], v1 offset:1824
	ds_load_b128 v[10:13], v1 offset:1840
	s_wait_loadcnt_dscnt 0x401
	v_mul_f64_e32 v[28:29], v[2:3], v[36:37]
	v_mul_f64_e32 v[36:37], v[4:5], v[36:37]
	s_wait_loadcnt_dscnt 0x200
	v_mul_f64_e32 v[22:23], v[10:11], v[171:172]
	v_mul_f64_e32 v[24:25], v[12:13], v[171:172]
	v_add_f64_e32 v[18:19], v[18:19], v[26:27]
	v_add_f64_e32 v[20:21], v[20:21], v[32:33]
	v_fma_f64 v[26:27], v[4:5], v[34:35], v[28:29]
	v_fma_f64 v[28:29], v[2:3], v[34:35], -v[36:37]
	v_fma_f64 v[12:13], v[12:13], v[169:170], v[22:23]
	v_fma_f64 v[10:11], v[10:11], v[169:170], -v[24:25]
	v_add_f64_e32 v[18:19], v[18:19], v[14:15]
	v_add_f64_e32 v[20:21], v[20:21], v[16:17]
	ds_load_b128 v[2:5], v1 offset:1856
	ds_load_b128 v[14:17], v1 offset:1872
	s_wait_loadcnt_dscnt 0x101
	v_mul_f64_e32 v[30:31], v[2:3], v[40:41]
	v_mul_f64_e32 v[32:33], v[4:5], v[40:41]
	s_wait_loadcnt_dscnt 0x0
	v_mul_f64_e32 v[22:23], v[14:15], v[8:9]
	v_mul_f64_e32 v[8:9], v[16:17], v[8:9]
	v_add_f64_e32 v[18:19], v[18:19], v[28:29]
	v_add_f64_e32 v[20:21], v[20:21], v[26:27]
	v_fma_f64 v[4:5], v[4:5], v[38:39], v[30:31]
	v_fma_f64 v[1:2], v[2:3], v[38:39], -v[32:33]
	v_fma_f64 v[16:17], v[16:17], v[6:7], v[22:23]
	v_fma_f64 v[6:7], v[14:15], v[6:7], -v[8:9]
	v_add_f64_e32 v[10:11], v[18:19], v[10:11]
	v_add_f64_e32 v[12:13], v[20:21], v[12:13]
	s_delay_alu instid0(VALU_DEP_2) | instskip(NEXT) | instid1(VALU_DEP_2)
	v_add_f64_e32 v[1:2], v[10:11], v[1:2]
	v_add_f64_e32 v[3:4], v[12:13], v[4:5]
	s_delay_alu instid0(VALU_DEP_2) | instskip(NEXT) | instid1(VALU_DEP_2)
	;; [unrolled: 3-line block ×3, first 2 shown]
	v_add_f64_e64 v[1:2], v[165:166], -v[1:2]
	v_add_f64_e64 v[3:4], v[167:168], -v[3:4]
	scratch_store_b128 off, v[1:4], off offset:752
	v_cmpx_lt_u32_e32 45, v0
	s_cbranch_execz .LBB122_277
; %bb.276:
	scratch_load_b128 v[1:4], off, s26
	v_mov_b32_e32 v5, 0
	s_delay_alu instid0(VALU_DEP_1)
	v_dual_mov_b32 v6, v5 :: v_dual_mov_b32 v7, v5
	v_mov_b32_e32 v8, v5
	scratch_store_b128 off, v[5:8], off offset:736
	s_wait_loadcnt 0x0
	ds_store_b128 v164, v[1:4]
.LBB122_277:
	s_wait_alu 0xfffe
	s_or_b32 exec_lo, exec_lo, s0
	s_wait_storecnt_dscnt 0x0
	s_barrier_signal -1
	s_barrier_wait -1
	global_inv scope:SCOPE_SE
	s_clause 0x7
	scratch_load_b128 v[2:5], off, off offset:752
	scratch_load_b128 v[6:9], off, off offset:768
	;; [unrolled: 1-line block ×8, first 2 shown]
	v_mov_b32_e32 v1, 0
	s_mov_b32 s0, exec_lo
	ds_load_b128 v[34:37], v1 offset:1680
	s_clause 0x1
	scratch_load_b128 v[38:41], off, off offset:880
	scratch_load_b128 v[42:45], off, off offset:736
	ds_load_b128 v[165:168], v1 offset:1696
	scratch_load_b128 v[169:172], off, off offset:896
	s_wait_loadcnt_dscnt 0xa01
	v_mul_f64_e32 v[173:174], v[36:37], v[4:5]
	v_mul_f64_e32 v[4:5], v[34:35], v[4:5]
	s_delay_alu instid0(VALU_DEP_2) | instskip(NEXT) | instid1(VALU_DEP_2)
	v_fma_f64 v[179:180], v[34:35], v[2:3], -v[173:174]
	v_fma_f64 v[181:182], v[36:37], v[2:3], v[4:5]
	ds_load_b128 v[2:5], v1 offset:1712
	s_wait_loadcnt_dscnt 0x901
	v_mul_f64_e32 v[177:178], v[165:166], v[8:9]
	v_mul_f64_e32 v[8:9], v[167:168], v[8:9]
	scratch_load_b128 v[34:37], off, off offset:912
	ds_load_b128 v[173:176], v1 offset:1728
	s_wait_loadcnt_dscnt 0x901
	v_mul_f64_e32 v[183:184], v[2:3], v[12:13]
	v_mul_f64_e32 v[12:13], v[4:5], v[12:13]
	v_fma_f64 v[167:168], v[167:168], v[6:7], v[177:178]
	v_fma_f64 v[165:166], v[165:166], v[6:7], -v[8:9]
	v_add_f64_e32 v[177:178], 0, v[179:180]
	v_add_f64_e32 v[179:180], 0, v[181:182]
	scratch_load_b128 v[6:9], off, off offset:928
	v_fma_f64 v[183:184], v[4:5], v[10:11], v[183:184]
	v_fma_f64 v[185:186], v[2:3], v[10:11], -v[12:13]
	ds_load_b128 v[2:5], v1 offset:1744
	s_wait_loadcnt_dscnt 0x901
	v_mul_f64_e32 v[181:182], v[173:174], v[16:17]
	v_mul_f64_e32 v[16:17], v[175:176], v[16:17]
	scratch_load_b128 v[10:13], off, off offset:944
	v_add_f64_e32 v[177:178], v[177:178], v[165:166]
	v_add_f64_e32 v[179:180], v[179:180], v[167:168]
	s_wait_loadcnt_dscnt 0x900
	v_mul_f64_e32 v[187:188], v[2:3], v[20:21]
	v_mul_f64_e32 v[20:21], v[4:5], v[20:21]
	ds_load_b128 v[165:168], v1 offset:1760
	v_fma_f64 v[175:176], v[175:176], v[14:15], v[181:182]
	v_fma_f64 v[14:15], v[173:174], v[14:15], -v[16:17]
	v_add_f64_e32 v[16:17], v[177:178], v[185:186]
	v_add_f64_e32 v[173:174], v[179:180], v[183:184]
	s_wait_loadcnt_dscnt 0x800
	v_mul_f64_e32 v[177:178], v[165:166], v[24:25]
	v_mul_f64_e32 v[24:25], v[167:168], v[24:25]
	v_fma_f64 v[179:180], v[4:5], v[18:19], v[187:188]
	v_fma_f64 v[18:19], v[2:3], v[18:19], -v[20:21]
	v_add_f64_e32 v[20:21], v[16:17], v[14:15]
	v_add_f64_e32 v[173:174], v[173:174], v[175:176]
	ds_load_b128 v[2:5], v1 offset:1776
	ds_load_b128 v[14:17], v1 offset:1792
	v_fma_f64 v[167:168], v[167:168], v[22:23], v[177:178]
	v_fma_f64 v[22:23], v[165:166], v[22:23], -v[24:25]
	s_wait_loadcnt_dscnt 0x701
	v_mul_f64_e32 v[175:176], v[2:3], v[28:29]
	v_mul_f64_e32 v[28:29], v[4:5], v[28:29]
	s_wait_loadcnt_dscnt 0x600
	v_mul_f64_e32 v[24:25], v[14:15], v[32:33]
	v_mul_f64_e32 v[32:33], v[16:17], v[32:33]
	v_add_f64_e32 v[18:19], v[20:21], v[18:19]
	v_add_f64_e32 v[20:21], v[173:174], v[179:180]
	v_fma_f64 v[165:166], v[4:5], v[26:27], v[175:176]
	v_fma_f64 v[26:27], v[2:3], v[26:27], -v[28:29]
	v_fma_f64 v[16:17], v[16:17], v[30:31], v[24:25]
	v_fma_f64 v[14:15], v[14:15], v[30:31], -v[32:33]
	v_add_f64_e32 v[22:23], v[18:19], v[22:23]
	v_add_f64_e32 v[28:29], v[20:21], v[167:168]
	ds_load_b128 v[2:5], v1 offset:1808
	ds_load_b128 v[18:21], v1 offset:1824
	s_wait_loadcnt_dscnt 0x501
	v_mul_f64_e32 v[167:168], v[2:3], v[40:41]
	v_mul_f64_e32 v[40:41], v[4:5], v[40:41]
	v_add_f64_e32 v[22:23], v[22:23], v[26:27]
	v_add_f64_e32 v[24:25], v[28:29], v[165:166]
	s_wait_loadcnt_dscnt 0x300
	v_mul_f64_e32 v[26:27], v[18:19], v[171:172]
	v_mul_f64_e32 v[28:29], v[20:21], v[171:172]
	v_fma_f64 v[30:31], v[4:5], v[38:39], v[167:168]
	v_fma_f64 v[32:33], v[2:3], v[38:39], -v[40:41]
	v_add_f64_e32 v[22:23], v[22:23], v[14:15]
	v_add_f64_e32 v[24:25], v[24:25], v[16:17]
	ds_load_b128 v[2:5], v1 offset:1840
	ds_load_b128 v[14:17], v1 offset:1856
	v_fma_f64 v[20:21], v[20:21], v[169:170], v[26:27]
	v_fma_f64 v[18:19], v[18:19], v[169:170], -v[28:29]
	s_wait_loadcnt_dscnt 0x201
	v_mul_f64_e32 v[38:39], v[2:3], v[36:37]
	v_mul_f64_e32 v[36:37], v[4:5], v[36:37]
	v_add_f64_e32 v[22:23], v[22:23], v[32:33]
	v_add_f64_e32 v[24:25], v[24:25], v[30:31]
	s_wait_loadcnt_dscnt 0x100
	v_mul_f64_e32 v[26:27], v[14:15], v[8:9]
	v_mul_f64_e32 v[8:9], v[16:17], v[8:9]
	v_fma_f64 v[28:29], v[4:5], v[34:35], v[38:39]
	v_fma_f64 v[30:31], v[2:3], v[34:35], -v[36:37]
	ds_load_b128 v[2:5], v1 offset:1872
	v_add_f64_e32 v[18:19], v[22:23], v[18:19]
	v_add_f64_e32 v[20:21], v[24:25], v[20:21]
	s_wait_loadcnt_dscnt 0x0
	v_mul_f64_e32 v[22:23], v[2:3], v[12:13]
	v_mul_f64_e32 v[12:13], v[4:5], v[12:13]
	v_fma_f64 v[16:17], v[16:17], v[6:7], v[26:27]
	v_fma_f64 v[6:7], v[14:15], v[6:7], -v[8:9]
	v_add_f64_e32 v[8:9], v[18:19], v[30:31]
	v_add_f64_e32 v[14:15], v[20:21], v[28:29]
	v_fma_f64 v[4:5], v[4:5], v[10:11], v[22:23]
	v_fma_f64 v[2:3], v[2:3], v[10:11], -v[12:13]
	s_delay_alu instid0(VALU_DEP_4) | instskip(NEXT) | instid1(VALU_DEP_4)
	v_add_f64_e32 v[6:7], v[8:9], v[6:7]
	v_add_f64_e32 v[8:9], v[14:15], v[16:17]
	s_delay_alu instid0(VALU_DEP_2) | instskip(NEXT) | instid1(VALU_DEP_2)
	v_add_f64_e32 v[2:3], v[6:7], v[2:3]
	v_add_f64_e32 v[4:5], v[8:9], v[4:5]
	s_delay_alu instid0(VALU_DEP_2) | instskip(NEXT) | instid1(VALU_DEP_2)
	v_add_f64_e64 v[2:3], v[42:43], -v[2:3]
	v_add_f64_e64 v[4:5], v[44:45], -v[4:5]
	scratch_store_b128 off, v[2:5], off offset:736
	v_cmpx_lt_u32_e32 44, v0
	s_cbranch_execz .LBB122_279
; %bb.278:
	scratch_load_b128 v[5:8], off, s27
	v_dual_mov_b32 v2, v1 :: v_dual_mov_b32 v3, v1
	v_mov_b32_e32 v4, v1
	scratch_store_b128 off, v[1:4], off offset:720
	s_wait_loadcnt 0x0
	ds_store_b128 v164, v[5:8]
.LBB122_279:
	s_wait_alu 0xfffe
	s_or_b32 exec_lo, exec_lo, s0
	s_wait_storecnt_dscnt 0x0
	s_barrier_signal -1
	s_barrier_wait -1
	global_inv scope:SCOPE_SE
	s_clause 0x8
	scratch_load_b128 v[2:5], off, off offset:736
	scratch_load_b128 v[6:9], off, off offset:752
	;; [unrolled: 1-line block ×9, first 2 shown]
	ds_load_b128 v[38:41], v1 offset:1664
	ds_load_b128 v[42:45], v1 offset:1680
	s_clause 0x1
	scratch_load_b128 v[165:168], off, off offset:720
	scratch_load_b128 v[169:172], off, off offset:880
	s_mov_b32 s0, exec_lo
	s_wait_loadcnt_dscnt 0xa01
	v_mul_f64_e32 v[173:174], v[40:41], v[4:5]
	v_mul_f64_e32 v[4:5], v[38:39], v[4:5]
	s_wait_loadcnt_dscnt 0x900
	v_mul_f64_e32 v[177:178], v[42:43], v[8:9]
	v_mul_f64_e32 v[8:9], v[44:45], v[8:9]
	s_delay_alu instid0(VALU_DEP_4) | instskip(NEXT) | instid1(VALU_DEP_4)
	v_fma_f64 v[179:180], v[38:39], v[2:3], -v[173:174]
	v_fma_f64 v[181:182], v[40:41], v[2:3], v[4:5]
	ds_load_b128 v[2:5], v1 offset:1696
	ds_load_b128 v[173:176], v1 offset:1712
	scratch_load_b128 v[38:41], off, off offset:896
	v_fma_f64 v[44:45], v[44:45], v[6:7], v[177:178]
	v_fma_f64 v[42:43], v[42:43], v[6:7], -v[8:9]
	scratch_load_b128 v[6:9], off, off offset:912
	s_wait_loadcnt_dscnt 0xa01
	v_mul_f64_e32 v[183:184], v[2:3], v[12:13]
	v_mul_f64_e32 v[12:13], v[4:5], v[12:13]
	v_add_f64_e32 v[177:178], 0, v[179:180]
	v_add_f64_e32 v[179:180], 0, v[181:182]
	s_wait_loadcnt_dscnt 0x900
	v_mul_f64_e32 v[181:182], v[173:174], v[16:17]
	v_mul_f64_e32 v[16:17], v[175:176], v[16:17]
	v_fma_f64 v[183:184], v[4:5], v[10:11], v[183:184]
	v_fma_f64 v[185:186], v[2:3], v[10:11], -v[12:13]
	ds_load_b128 v[2:5], v1 offset:1728
	scratch_load_b128 v[10:13], off, off offset:928
	v_add_f64_e32 v[177:178], v[177:178], v[42:43]
	v_add_f64_e32 v[179:180], v[179:180], v[44:45]
	ds_load_b128 v[42:45], v1 offset:1744
	v_fma_f64 v[175:176], v[175:176], v[14:15], v[181:182]
	v_fma_f64 v[173:174], v[173:174], v[14:15], -v[16:17]
	scratch_load_b128 v[14:17], off, off offset:944
	s_wait_loadcnt_dscnt 0xa01
	v_mul_f64_e32 v[187:188], v[2:3], v[20:21]
	v_mul_f64_e32 v[20:21], v[4:5], v[20:21]
	s_wait_loadcnt_dscnt 0x900
	v_mul_f64_e32 v[181:182], v[42:43], v[24:25]
	v_mul_f64_e32 v[24:25], v[44:45], v[24:25]
	v_add_f64_e32 v[177:178], v[177:178], v[185:186]
	v_add_f64_e32 v[179:180], v[179:180], v[183:184]
	v_fma_f64 v[183:184], v[4:5], v[18:19], v[187:188]
	v_fma_f64 v[185:186], v[2:3], v[18:19], -v[20:21]
	ds_load_b128 v[2:5], v1 offset:1760
	ds_load_b128 v[18:21], v1 offset:1776
	v_fma_f64 v[44:45], v[44:45], v[22:23], v[181:182]
	v_fma_f64 v[22:23], v[42:43], v[22:23], -v[24:25]
	v_add_f64_e32 v[173:174], v[177:178], v[173:174]
	v_add_f64_e32 v[175:176], v[179:180], v[175:176]
	s_wait_loadcnt_dscnt 0x801
	v_mul_f64_e32 v[177:178], v[2:3], v[28:29]
	v_mul_f64_e32 v[28:29], v[4:5], v[28:29]
	s_delay_alu instid0(VALU_DEP_4) | instskip(NEXT) | instid1(VALU_DEP_4)
	v_add_f64_e32 v[24:25], v[173:174], v[185:186]
	v_add_f64_e32 v[42:43], v[175:176], v[183:184]
	s_wait_loadcnt_dscnt 0x700
	v_mul_f64_e32 v[173:174], v[18:19], v[32:33]
	v_mul_f64_e32 v[32:33], v[20:21], v[32:33]
	v_fma_f64 v[175:176], v[4:5], v[26:27], v[177:178]
	v_fma_f64 v[26:27], v[2:3], v[26:27], -v[28:29]
	v_add_f64_e32 v[28:29], v[24:25], v[22:23]
	v_add_f64_e32 v[42:43], v[42:43], v[44:45]
	ds_load_b128 v[2:5], v1 offset:1792
	ds_load_b128 v[22:25], v1 offset:1808
	v_fma_f64 v[20:21], v[20:21], v[30:31], v[173:174]
	v_fma_f64 v[18:19], v[18:19], v[30:31], -v[32:33]
	s_wait_loadcnt_dscnt 0x601
	v_mul_f64_e32 v[44:45], v[2:3], v[36:37]
	v_mul_f64_e32 v[36:37], v[4:5], v[36:37]
	s_wait_loadcnt_dscnt 0x400
	v_mul_f64_e32 v[30:31], v[22:23], v[171:172]
	v_mul_f64_e32 v[32:33], v[24:25], v[171:172]
	v_add_f64_e32 v[26:27], v[28:29], v[26:27]
	v_add_f64_e32 v[28:29], v[42:43], v[175:176]
	v_fma_f64 v[42:43], v[4:5], v[34:35], v[44:45]
	v_fma_f64 v[34:35], v[2:3], v[34:35], -v[36:37]
	v_fma_f64 v[24:25], v[24:25], v[169:170], v[30:31]
	v_fma_f64 v[22:23], v[22:23], v[169:170], -v[32:33]
	v_add_f64_e32 v[26:27], v[26:27], v[18:19]
	v_add_f64_e32 v[28:29], v[28:29], v[20:21]
	ds_load_b128 v[2:5], v1 offset:1824
	ds_load_b128 v[18:21], v1 offset:1840
	s_wait_loadcnt_dscnt 0x301
	v_mul_f64_e32 v[36:37], v[2:3], v[40:41]
	v_mul_f64_e32 v[40:41], v[4:5], v[40:41]
	s_wait_loadcnt_dscnt 0x200
	v_mul_f64_e32 v[30:31], v[18:19], v[8:9]
	v_mul_f64_e32 v[8:9], v[20:21], v[8:9]
	v_add_f64_e32 v[26:27], v[26:27], v[34:35]
	v_add_f64_e32 v[28:29], v[28:29], v[42:43]
	v_fma_f64 v[32:33], v[4:5], v[38:39], v[36:37]
	v_fma_f64 v[34:35], v[2:3], v[38:39], -v[40:41]
	v_fma_f64 v[20:21], v[20:21], v[6:7], v[30:31]
	v_fma_f64 v[6:7], v[18:19], v[6:7], -v[8:9]
	v_add_f64_e32 v[26:27], v[26:27], v[22:23]
	v_add_f64_e32 v[28:29], v[28:29], v[24:25]
	ds_load_b128 v[2:5], v1 offset:1856
	ds_load_b128 v[22:25], v1 offset:1872
	s_wait_loadcnt_dscnt 0x101
	v_mul_f64_e32 v[36:37], v[2:3], v[12:13]
	v_mul_f64_e32 v[12:13], v[4:5], v[12:13]
	v_add_f64_e32 v[8:9], v[26:27], v[34:35]
	v_add_f64_e32 v[18:19], v[28:29], v[32:33]
	s_wait_loadcnt_dscnt 0x0
	v_mul_f64_e32 v[26:27], v[22:23], v[16:17]
	v_mul_f64_e32 v[16:17], v[24:25], v[16:17]
	v_fma_f64 v[4:5], v[4:5], v[10:11], v[36:37]
	v_fma_f64 v[1:2], v[2:3], v[10:11], -v[12:13]
	v_add_f64_e32 v[6:7], v[8:9], v[6:7]
	v_add_f64_e32 v[8:9], v[18:19], v[20:21]
	v_fma_f64 v[10:11], v[24:25], v[14:15], v[26:27]
	v_fma_f64 v[12:13], v[22:23], v[14:15], -v[16:17]
	s_delay_alu instid0(VALU_DEP_4) | instskip(NEXT) | instid1(VALU_DEP_4)
	v_add_f64_e32 v[1:2], v[6:7], v[1:2]
	v_add_f64_e32 v[3:4], v[8:9], v[4:5]
	s_delay_alu instid0(VALU_DEP_2) | instskip(NEXT) | instid1(VALU_DEP_2)
	v_add_f64_e32 v[1:2], v[1:2], v[12:13]
	v_add_f64_e32 v[3:4], v[3:4], v[10:11]
	s_delay_alu instid0(VALU_DEP_2) | instskip(NEXT) | instid1(VALU_DEP_2)
	v_add_f64_e64 v[1:2], v[165:166], -v[1:2]
	v_add_f64_e64 v[3:4], v[167:168], -v[3:4]
	scratch_store_b128 off, v[1:4], off offset:720
	v_cmpx_lt_u32_e32 43, v0
	s_cbranch_execz .LBB122_281
; %bb.280:
	scratch_load_b128 v[1:4], off, s28
	v_mov_b32_e32 v5, 0
	s_delay_alu instid0(VALU_DEP_1)
	v_dual_mov_b32 v6, v5 :: v_dual_mov_b32 v7, v5
	v_mov_b32_e32 v8, v5
	scratch_store_b128 off, v[5:8], off offset:704
	s_wait_loadcnt 0x0
	ds_store_b128 v164, v[1:4]
.LBB122_281:
	s_wait_alu 0xfffe
	s_or_b32 exec_lo, exec_lo, s0
	s_wait_storecnt_dscnt 0x0
	s_barrier_signal -1
	s_barrier_wait -1
	global_inv scope:SCOPE_SE
	s_clause 0x7
	scratch_load_b128 v[2:5], off, off offset:720
	scratch_load_b128 v[6:9], off, off offset:736
	;; [unrolled: 1-line block ×8, first 2 shown]
	v_mov_b32_e32 v1, 0
	s_mov_b32 s0, exec_lo
	ds_load_b128 v[34:37], v1 offset:1648
	s_clause 0x1
	scratch_load_b128 v[38:41], off, off offset:848
	scratch_load_b128 v[42:45], off, off offset:704
	ds_load_b128 v[165:168], v1 offset:1664
	scratch_load_b128 v[169:172], off, off offset:864
	s_wait_loadcnt_dscnt 0xa01
	v_mul_f64_e32 v[173:174], v[36:37], v[4:5]
	v_mul_f64_e32 v[4:5], v[34:35], v[4:5]
	s_delay_alu instid0(VALU_DEP_2) | instskip(NEXT) | instid1(VALU_DEP_2)
	v_fma_f64 v[179:180], v[34:35], v[2:3], -v[173:174]
	v_fma_f64 v[181:182], v[36:37], v[2:3], v[4:5]
	ds_load_b128 v[2:5], v1 offset:1680
	s_wait_loadcnt_dscnt 0x901
	v_mul_f64_e32 v[177:178], v[165:166], v[8:9]
	v_mul_f64_e32 v[8:9], v[167:168], v[8:9]
	scratch_load_b128 v[34:37], off, off offset:880
	ds_load_b128 v[173:176], v1 offset:1696
	s_wait_loadcnt_dscnt 0x901
	v_mul_f64_e32 v[183:184], v[2:3], v[12:13]
	v_mul_f64_e32 v[12:13], v[4:5], v[12:13]
	v_fma_f64 v[167:168], v[167:168], v[6:7], v[177:178]
	v_fma_f64 v[165:166], v[165:166], v[6:7], -v[8:9]
	v_add_f64_e32 v[177:178], 0, v[179:180]
	v_add_f64_e32 v[179:180], 0, v[181:182]
	scratch_load_b128 v[6:9], off, off offset:896
	v_fma_f64 v[183:184], v[4:5], v[10:11], v[183:184]
	v_fma_f64 v[185:186], v[2:3], v[10:11], -v[12:13]
	ds_load_b128 v[2:5], v1 offset:1712
	s_wait_loadcnt_dscnt 0x901
	v_mul_f64_e32 v[181:182], v[173:174], v[16:17]
	v_mul_f64_e32 v[16:17], v[175:176], v[16:17]
	scratch_load_b128 v[10:13], off, off offset:912
	v_add_f64_e32 v[177:178], v[177:178], v[165:166]
	v_add_f64_e32 v[179:180], v[179:180], v[167:168]
	s_wait_loadcnt_dscnt 0x900
	v_mul_f64_e32 v[187:188], v[2:3], v[20:21]
	v_mul_f64_e32 v[20:21], v[4:5], v[20:21]
	ds_load_b128 v[165:168], v1 offset:1728
	v_fma_f64 v[175:176], v[175:176], v[14:15], v[181:182]
	v_fma_f64 v[173:174], v[173:174], v[14:15], -v[16:17]
	scratch_load_b128 v[14:17], off, off offset:928
	v_add_f64_e32 v[177:178], v[177:178], v[185:186]
	v_add_f64_e32 v[179:180], v[179:180], v[183:184]
	v_fma_f64 v[183:184], v[4:5], v[18:19], v[187:188]
	v_fma_f64 v[185:186], v[2:3], v[18:19], -v[20:21]
	ds_load_b128 v[2:5], v1 offset:1744
	s_wait_loadcnt_dscnt 0x901
	v_mul_f64_e32 v[181:182], v[165:166], v[24:25]
	v_mul_f64_e32 v[24:25], v[167:168], v[24:25]
	scratch_load_b128 v[18:21], off, off offset:944
	s_wait_loadcnt_dscnt 0x900
	v_mul_f64_e32 v[187:188], v[2:3], v[28:29]
	v_mul_f64_e32 v[28:29], v[4:5], v[28:29]
	v_add_f64_e32 v[177:178], v[177:178], v[173:174]
	v_add_f64_e32 v[179:180], v[179:180], v[175:176]
	ds_load_b128 v[173:176], v1 offset:1760
	v_fma_f64 v[167:168], v[167:168], v[22:23], v[181:182]
	v_fma_f64 v[22:23], v[165:166], v[22:23], -v[24:25]
	v_add_f64_e32 v[24:25], v[177:178], v[185:186]
	v_add_f64_e32 v[165:166], v[179:180], v[183:184]
	s_wait_loadcnt_dscnt 0x800
	v_mul_f64_e32 v[177:178], v[173:174], v[32:33]
	v_mul_f64_e32 v[32:33], v[175:176], v[32:33]
	v_fma_f64 v[179:180], v[4:5], v[26:27], v[187:188]
	v_fma_f64 v[26:27], v[2:3], v[26:27], -v[28:29]
	v_add_f64_e32 v[28:29], v[24:25], v[22:23]
	v_add_f64_e32 v[165:166], v[165:166], v[167:168]
	ds_load_b128 v[2:5], v1 offset:1776
	ds_load_b128 v[22:25], v1 offset:1792
	v_fma_f64 v[175:176], v[175:176], v[30:31], v[177:178]
	v_fma_f64 v[30:31], v[173:174], v[30:31], -v[32:33]
	s_wait_loadcnt_dscnt 0x701
	v_mul_f64_e32 v[167:168], v[2:3], v[40:41]
	v_mul_f64_e32 v[40:41], v[4:5], v[40:41]
	s_wait_loadcnt_dscnt 0x500
	v_mul_f64_e32 v[32:33], v[22:23], v[171:172]
	v_add_f64_e32 v[26:27], v[28:29], v[26:27]
	v_add_f64_e32 v[28:29], v[165:166], v[179:180]
	v_mul_f64_e32 v[165:166], v[24:25], v[171:172]
	v_fma_f64 v[167:168], v[4:5], v[38:39], v[167:168]
	v_fma_f64 v[38:39], v[2:3], v[38:39], -v[40:41]
	v_fma_f64 v[24:25], v[24:25], v[169:170], v[32:33]
	v_add_f64_e32 v[30:31], v[26:27], v[30:31]
	v_add_f64_e32 v[40:41], v[28:29], v[175:176]
	ds_load_b128 v[2:5], v1 offset:1808
	ds_load_b128 v[26:29], v1 offset:1824
	v_fma_f64 v[22:23], v[22:23], v[169:170], -v[165:166]
	s_wait_loadcnt_dscnt 0x401
	v_mul_f64_e32 v[171:172], v[2:3], v[36:37]
	v_mul_f64_e32 v[36:37], v[4:5], v[36:37]
	v_add_f64_e32 v[30:31], v[30:31], v[38:39]
	v_add_f64_e32 v[32:33], v[40:41], v[167:168]
	s_wait_loadcnt_dscnt 0x300
	v_mul_f64_e32 v[38:39], v[26:27], v[8:9]
	v_mul_f64_e32 v[8:9], v[28:29], v[8:9]
	v_fma_f64 v[40:41], v[4:5], v[34:35], v[171:172]
	v_fma_f64 v[34:35], v[2:3], v[34:35], -v[36:37]
	v_add_f64_e32 v[30:31], v[30:31], v[22:23]
	v_add_f64_e32 v[32:33], v[32:33], v[24:25]
	ds_load_b128 v[2:5], v1 offset:1840
	ds_load_b128 v[22:25], v1 offset:1856
	v_fma_f64 v[28:29], v[28:29], v[6:7], v[38:39]
	v_fma_f64 v[6:7], v[26:27], v[6:7], -v[8:9]
	s_wait_loadcnt_dscnt 0x201
	v_mul_f64_e32 v[36:37], v[2:3], v[12:13]
	v_mul_f64_e32 v[12:13], v[4:5], v[12:13]
	v_add_f64_e32 v[8:9], v[30:31], v[34:35]
	v_add_f64_e32 v[26:27], v[32:33], v[40:41]
	s_wait_loadcnt_dscnt 0x100
	v_mul_f64_e32 v[30:31], v[22:23], v[16:17]
	v_mul_f64_e32 v[16:17], v[24:25], v[16:17]
	v_fma_f64 v[32:33], v[4:5], v[10:11], v[36:37]
	v_fma_f64 v[10:11], v[2:3], v[10:11], -v[12:13]
	ds_load_b128 v[2:5], v1 offset:1872
	v_add_f64_e32 v[6:7], v[8:9], v[6:7]
	v_add_f64_e32 v[8:9], v[26:27], v[28:29]
	v_fma_f64 v[24:25], v[24:25], v[14:15], v[30:31]
	v_fma_f64 v[14:15], v[22:23], v[14:15], -v[16:17]
	s_wait_loadcnt_dscnt 0x0
	v_mul_f64_e32 v[12:13], v[2:3], v[20:21]
	v_mul_f64_e32 v[20:21], v[4:5], v[20:21]
	v_add_f64_e32 v[6:7], v[6:7], v[10:11]
	v_add_f64_e32 v[8:9], v[8:9], v[32:33]
	s_delay_alu instid0(VALU_DEP_4) | instskip(NEXT) | instid1(VALU_DEP_4)
	v_fma_f64 v[4:5], v[4:5], v[18:19], v[12:13]
	v_fma_f64 v[2:3], v[2:3], v[18:19], -v[20:21]
	s_delay_alu instid0(VALU_DEP_4) | instskip(NEXT) | instid1(VALU_DEP_4)
	v_add_f64_e32 v[6:7], v[6:7], v[14:15]
	v_add_f64_e32 v[8:9], v[8:9], v[24:25]
	s_delay_alu instid0(VALU_DEP_2) | instskip(NEXT) | instid1(VALU_DEP_2)
	v_add_f64_e32 v[2:3], v[6:7], v[2:3]
	v_add_f64_e32 v[4:5], v[8:9], v[4:5]
	s_delay_alu instid0(VALU_DEP_2) | instskip(NEXT) | instid1(VALU_DEP_2)
	v_add_f64_e64 v[2:3], v[42:43], -v[2:3]
	v_add_f64_e64 v[4:5], v[44:45], -v[4:5]
	scratch_store_b128 off, v[2:5], off offset:704
	v_cmpx_lt_u32_e32 42, v0
	s_cbranch_execz .LBB122_283
; %bb.282:
	scratch_load_b128 v[5:8], off, s29
	v_dual_mov_b32 v2, v1 :: v_dual_mov_b32 v3, v1
	v_mov_b32_e32 v4, v1
	scratch_store_b128 off, v[1:4], off offset:688
	s_wait_loadcnt 0x0
	ds_store_b128 v164, v[5:8]
.LBB122_283:
	s_wait_alu 0xfffe
	s_or_b32 exec_lo, exec_lo, s0
	s_wait_storecnt_dscnt 0x0
	s_barrier_signal -1
	s_barrier_wait -1
	global_inv scope:SCOPE_SE
	s_clause 0x8
	scratch_load_b128 v[2:5], off, off offset:704
	scratch_load_b128 v[6:9], off, off offset:720
	;; [unrolled: 1-line block ×9, first 2 shown]
	ds_load_b128 v[38:41], v1 offset:1632
	ds_load_b128 v[42:45], v1 offset:1648
	s_clause 0x1
	scratch_load_b128 v[165:168], off, off offset:688
	scratch_load_b128 v[169:172], off, off offset:848
	s_mov_b32 s0, exec_lo
	s_wait_loadcnt_dscnt 0xa01
	v_mul_f64_e32 v[173:174], v[40:41], v[4:5]
	v_mul_f64_e32 v[4:5], v[38:39], v[4:5]
	s_wait_loadcnt_dscnt 0x900
	v_mul_f64_e32 v[177:178], v[42:43], v[8:9]
	v_mul_f64_e32 v[8:9], v[44:45], v[8:9]
	s_delay_alu instid0(VALU_DEP_4) | instskip(NEXT) | instid1(VALU_DEP_4)
	v_fma_f64 v[179:180], v[38:39], v[2:3], -v[173:174]
	v_fma_f64 v[181:182], v[40:41], v[2:3], v[4:5]
	ds_load_b128 v[2:5], v1 offset:1664
	ds_load_b128 v[173:176], v1 offset:1680
	scratch_load_b128 v[38:41], off, off offset:864
	v_fma_f64 v[44:45], v[44:45], v[6:7], v[177:178]
	v_fma_f64 v[42:43], v[42:43], v[6:7], -v[8:9]
	scratch_load_b128 v[6:9], off, off offset:880
	s_wait_loadcnt_dscnt 0xa01
	v_mul_f64_e32 v[183:184], v[2:3], v[12:13]
	v_mul_f64_e32 v[12:13], v[4:5], v[12:13]
	v_add_f64_e32 v[177:178], 0, v[179:180]
	v_add_f64_e32 v[179:180], 0, v[181:182]
	s_wait_loadcnt_dscnt 0x900
	v_mul_f64_e32 v[181:182], v[173:174], v[16:17]
	v_mul_f64_e32 v[16:17], v[175:176], v[16:17]
	v_fma_f64 v[183:184], v[4:5], v[10:11], v[183:184]
	v_fma_f64 v[185:186], v[2:3], v[10:11], -v[12:13]
	ds_load_b128 v[2:5], v1 offset:1696
	scratch_load_b128 v[10:13], off, off offset:896
	v_add_f64_e32 v[177:178], v[177:178], v[42:43]
	v_add_f64_e32 v[179:180], v[179:180], v[44:45]
	ds_load_b128 v[42:45], v1 offset:1712
	v_fma_f64 v[175:176], v[175:176], v[14:15], v[181:182]
	v_fma_f64 v[173:174], v[173:174], v[14:15], -v[16:17]
	scratch_load_b128 v[14:17], off, off offset:912
	s_wait_loadcnt_dscnt 0xa01
	v_mul_f64_e32 v[187:188], v[2:3], v[20:21]
	v_mul_f64_e32 v[20:21], v[4:5], v[20:21]
	s_wait_loadcnt_dscnt 0x900
	v_mul_f64_e32 v[181:182], v[42:43], v[24:25]
	v_mul_f64_e32 v[24:25], v[44:45], v[24:25]
	v_add_f64_e32 v[177:178], v[177:178], v[185:186]
	v_add_f64_e32 v[179:180], v[179:180], v[183:184]
	v_fma_f64 v[183:184], v[4:5], v[18:19], v[187:188]
	v_fma_f64 v[185:186], v[2:3], v[18:19], -v[20:21]
	ds_load_b128 v[2:5], v1 offset:1728
	scratch_load_b128 v[18:21], off, off offset:928
	v_fma_f64 v[44:45], v[44:45], v[22:23], v[181:182]
	v_fma_f64 v[42:43], v[42:43], v[22:23], -v[24:25]
	scratch_load_b128 v[22:25], off, off offset:944
	v_add_f64_e32 v[177:178], v[177:178], v[173:174]
	v_add_f64_e32 v[179:180], v[179:180], v[175:176]
	ds_load_b128 v[173:176], v1 offset:1744
	s_wait_loadcnt_dscnt 0xa01
	v_mul_f64_e32 v[187:188], v[2:3], v[28:29]
	v_mul_f64_e32 v[28:29], v[4:5], v[28:29]
	s_wait_loadcnt_dscnt 0x900
	v_mul_f64_e32 v[181:182], v[173:174], v[32:33]
	v_mul_f64_e32 v[32:33], v[175:176], v[32:33]
	v_add_f64_e32 v[177:178], v[177:178], v[185:186]
	v_add_f64_e32 v[179:180], v[179:180], v[183:184]
	v_fma_f64 v[183:184], v[4:5], v[26:27], v[187:188]
	v_fma_f64 v[185:186], v[2:3], v[26:27], -v[28:29]
	ds_load_b128 v[2:5], v1 offset:1760
	ds_load_b128 v[26:29], v1 offset:1776
	v_fma_f64 v[175:176], v[175:176], v[30:31], v[181:182]
	v_fma_f64 v[30:31], v[173:174], v[30:31], -v[32:33]
	v_add_f64_e32 v[42:43], v[177:178], v[42:43]
	v_add_f64_e32 v[44:45], v[179:180], v[44:45]
	s_wait_loadcnt_dscnt 0x801
	v_mul_f64_e32 v[177:178], v[2:3], v[36:37]
	v_mul_f64_e32 v[36:37], v[4:5], v[36:37]
	s_delay_alu instid0(VALU_DEP_4) | instskip(NEXT) | instid1(VALU_DEP_4)
	v_add_f64_e32 v[32:33], v[42:43], v[185:186]
	v_add_f64_e32 v[42:43], v[44:45], v[183:184]
	s_wait_loadcnt_dscnt 0x600
	v_mul_f64_e32 v[44:45], v[26:27], v[171:172]
	v_mul_f64_e32 v[171:172], v[28:29], v[171:172]
	v_fma_f64 v[173:174], v[4:5], v[34:35], v[177:178]
	v_fma_f64 v[34:35], v[2:3], v[34:35], -v[36:37]
	v_add_f64_e32 v[36:37], v[32:33], v[30:31]
	v_add_f64_e32 v[42:43], v[42:43], v[175:176]
	ds_load_b128 v[2:5], v1 offset:1792
	ds_load_b128 v[30:33], v1 offset:1808
	v_fma_f64 v[28:29], v[28:29], v[169:170], v[44:45]
	v_fma_f64 v[26:27], v[26:27], v[169:170], -v[171:172]
	s_wait_loadcnt_dscnt 0x501
	v_mul_f64_e32 v[175:176], v[2:3], v[40:41]
	v_mul_f64_e32 v[40:41], v[4:5], v[40:41]
	v_add_f64_e32 v[34:35], v[36:37], v[34:35]
	v_add_f64_e32 v[36:37], v[42:43], v[173:174]
	s_wait_loadcnt_dscnt 0x400
	v_mul_f64_e32 v[42:43], v[30:31], v[8:9]
	v_mul_f64_e32 v[8:9], v[32:33], v[8:9]
	v_fma_f64 v[44:45], v[4:5], v[38:39], v[175:176]
	v_fma_f64 v[38:39], v[2:3], v[38:39], -v[40:41]
	v_add_f64_e32 v[34:35], v[34:35], v[26:27]
	v_add_f64_e32 v[36:37], v[36:37], v[28:29]
	ds_load_b128 v[2:5], v1 offset:1824
	ds_load_b128 v[26:29], v1 offset:1840
	v_fma_f64 v[32:33], v[32:33], v[6:7], v[42:43]
	v_fma_f64 v[6:7], v[30:31], v[6:7], -v[8:9]
	s_wait_loadcnt_dscnt 0x301
	v_mul_f64_e32 v[40:41], v[2:3], v[12:13]
	v_mul_f64_e32 v[12:13], v[4:5], v[12:13]
	;; [unrolled: 16-line block ×3, first 2 shown]
	s_wait_loadcnt_dscnt 0x0
	v_mul_f64_e32 v[16:17], v[6:7], v[24:25]
	v_mul_f64_e32 v[24:25], v[8:9], v[24:25]
	v_add_f64_e32 v[10:11], v[12:13], v[10:11]
	v_add_f64_e32 v[12:13], v[30:31], v[36:37]
	v_fma_f64 v[4:5], v[4:5], v[18:19], v[32:33]
	v_fma_f64 v[1:2], v[2:3], v[18:19], -v[20:21]
	v_fma_f64 v[8:9], v[8:9], v[22:23], v[16:17]
	v_fma_f64 v[6:7], v[6:7], v[22:23], -v[24:25]
	v_add_f64_e32 v[10:11], v[10:11], v[14:15]
	v_add_f64_e32 v[12:13], v[12:13], v[28:29]
	s_delay_alu instid0(VALU_DEP_2) | instskip(NEXT) | instid1(VALU_DEP_2)
	v_add_f64_e32 v[1:2], v[10:11], v[1:2]
	v_add_f64_e32 v[3:4], v[12:13], v[4:5]
	s_delay_alu instid0(VALU_DEP_2) | instskip(NEXT) | instid1(VALU_DEP_2)
	;; [unrolled: 3-line block ×3, first 2 shown]
	v_add_f64_e64 v[1:2], v[165:166], -v[1:2]
	v_add_f64_e64 v[3:4], v[167:168], -v[3:4]
	scratch_store_b128 off, v[1:4], off offset:688
	v_cmpx_lt_u32_e32 41, v0
	s_cbranch_execz .LBB122_285
; %bb.284:
	scratch_load_b128 v[1:4], off, s30
	v_mov_b32_e32 v5, 0
	s_delay_alu instid0(VALU_DEP_1)
	v_dual_mov_b32 v6, v5 :: v_dual_mov_b32 v7, v5
	v_mov_b32_e32 v8, v5
	scratch_store_b128 off, v[5:8], off offset:672
	s_wait_loadcnt 0x0
	ds_store_b128 v164, v[1:4]
.LBB122_285:
	s_wait_alu 0xfffe
	s_or_b32 exec_lo, exec_lo, s0
	s_wait_storecnt_dscnt 0x0
	s_barrier_signal -1
	s_barrier_wait -1
	global_inv scope:SCOPE_SE
	s_clause 0x7
	scratch_load_b128 v[2:5], off, off offset:688
	scratch_load_b128 v[6:9], off, off offset:704
	;; [unrolled: 1-line block ×8, first 2 shown]
	v_mov_b32_e32 v1, 0
	s_mov_b32 s0, exec_lo
	ds_load_b128 v[34:37], v1 offset:1616
	s_clause 0x1
	scratch_load_b128 v[38:41], off, off offset:816
	scratch_load_b128 v[42:45], off, off offset:672
	ds_load_b128 v[165:168], v1 offset:1632
	scratch_load_b128 v[169:172], off, off offset:832
	s_wait_loadcnt_dscnt 0xa01
	v_mul_f64_e32 v[173:174], v[36:37], v[4:5]
	v_mul_f64_e32 v[4:5], v[34:35], v[4:5]
	s_delay_alu instid0(VALU_DEP_2) | instskip(NEXT) | instid1(VALU_DEP_2)
	v_fma_f64 v[179:180], v[34:35], v[2:3], -v[173:174]
	v_fma_f64 v[181:182], v[36:37], v[2:3], v[4:5]
	ds_load_b128 v[2:5], v1 offset:1648
	s_wait_loadcnt_dscnt 0x901
	v_mul_f64_e32 v[177:178], v[165:166], v[8:9]
	v_mul_f64_e32 v[8:9], v[167:168], v[8:9]
	scratch_load_b128 v[34:37], off, off offset:848
	ds_load_b128 v[173:176], v1 offset:1664
	s_wait_loadcnt_dscnt 0x901
	v_mul_f64_e32 v[183:184], v[2:3], v[12:13]
	v_mul_f64_e32 v[12:13], v[4:5], v[12:13]
	v_fma_f64 v[167:168], v[167:168], v[6:7], v[177:178]
	v_fma_f64 v[165:166], v[165:166], v[6:7], -v[8:9]
	v_add_f64_e32 v[177:178], 0, v[179:180]
	v_add_f64_e32 v[179:180], 0, v[181:182]
	scratch_load_b128 v[6:9], off, off offset:864
	v_fma_f64 v[183:184], v[4:5], v[10:11], v[183:184]
	v_fma_f64 v[185:186], v[2:3], v[10:11], -v[12:13]
	ds_load_b128 v[2:5], v1 offset:1680
	s_wait_loadcnt_dscnt 0x901
	v_mul_f64_e32 v[181:182], v[173:174], v[16:17]
	v_mul_f64_e32 v[16:17], v[175:176], v[16:17]
	scratch_load_b128 v[10:13], off, off offset:880
	v_add_f64_e32 v[177:178], v[177:178], v[165:166]
	v_add_f64_e32 v[179:180], v[179:180], v[167:168]
	s_wait_loadcnt_dscnt 0x900
	v_mul_f64_e32 v[187:188], v[2:3], v[20:21]
	v_mul_f64_e32 v[20:21], v[4:5], v[20:21]
	ds_load_b128 v[165:168], v1 offset:1696
	v_fma_f64 v[175:176], v[175:176], v[14:15], v[181:182]
	v_fma_f64 v[173:174], v[173:174], v[14:15], -v[16:17]
	scratch_load_b128 v[14:17], off, off offset:896
	v_add_f64_e32 v[177:178], v[177:178], v[185:186]
	v_add_f64_e32 v[179:180], v[179:180], v[183:184]
	v_fma_f64 v[183:184], v[4:5], v[18:19], v[187:188]
	v_fma_f64 v[185:186], v[2:3], v[18:19], -v[20:21]
	ds_load_b128 v[2:5], v1 offset:1712
	s_wait_loadcnt_dscnt 0x901
	v_mul_f64_e32 v[181:182], v[165:166], v[24:25]
	v_mul_f64_e32 v[24:25], v[167:168], v[24:25]
	scratch_load_b128 v[18:21], off, off offset:912
	s_wait_loadcnt_dscnt 0x900
	v_mul_f64_e32 v[187:188], v[2:3], v[28:29]
	v_mul_f64_e32 v[28:29], v[4:5], v[28:29]
	v_add_f64_e32 v[177:178], v[177:178], v[173:174]
	v_add_f64_e32 v[179:180], v[179:180], v[175:176]
	ds_load_b128 v[173:176], v1 offset:1728
	v_fma_f64 v[167:168], v[167:168], v[22:23], v[181:182]
	v_fma_f64 v[165:166], v[165:166], v[22:23], -v[24:25]
	scratch_load_b128 v[22:25], off, off offset:928
	v_add_f64_e32 v[177:178], v[177:178], v[185:186]
	v_add_f64_e32 v[179:180], v[179:180], v[183:184]
	v_fma_f64 v[183:184], v[4:5], v[26:27], v[187:188]
	v_fma_f64 v[185:186], v[2:3], v[26:27], -v[28:29]
	ds_load_b128 v[2:5], v1 offset:1744
	s_wait_loadcnt_dscnt 0x901
	v_mul_f64_e32 v[181:182], v[173:174], v[32:33]
	v_mul_f64_e32 v[32:33], v[175:176], v[32:33]
	scratch_load_b128 v[26:29], off, off offset:944
	s_wait_loadcnt_dscnt 0x900
	v_mul_f64_e32 v[187:188], v[2:3], v[40:41]
	v_mul_f64_e32 v[40:41], v[4:5], v[40:41]
	v_add_f64_e32 v[177:178], v[177:178], v[165:166]
	v_add_f64_e32 v[179:180], v[179:180], v[167:168]
	ds_load_b128 v[165:168], v1 offset:1760
	v_fma_f64 v[175:176], v[175:176], v[30:31], v[181:182]
	v_fma_f64 v[30:31], v[173:174], v[30:31], -v[32:33]
	v_add_f64_e32 v[32:33], v[177:178], v[185:186]
	v_add_f64_e32 v[173:174], v[179:180], v[183:184]
	s_wait_loadcnt_dscnt 0x700
	v_mul_f64_e32 v[177:178], v[165:166], v[171:172]
	v_mul_f64_e32 v[171:172], v[167:168], v[171:172]
	v_fma_f64 v[179:180], v[4:5], v[38:39], v[187:188]
	v_fma_f64 v[38:39], v[2:3], v[38:39], -v[40:41]
	v_add_f64_e32 v[40:41], v[32:33], v[30:31]
	v_add_f64_e32 v[173:174], v[173:174], v[175:176]
	ds_load_b128 v[2:5], v1 offset:1776
	ds_load_b128 v[30:33], v1 offset:1792
	v_fma_f64 v[167:168], v[167:168], v[169:170], v[177:178]
	v_fma_f64 v[165:166], v[165:166], v[169:170], -v[171:172]
	s_wait_loadcnt_dscnt 0x601
	v_mul_f64_e32 v[175:176], v[2:3], v[36:37]
	v_mul_f64_e32 v[36:37], v[4:5], v[36:37]
	v_add_f64_e32 v[38:39], v[40:41], v[38:39]
	v_add_f64_e32 v[40:41], v[173:174], v[179:180]
	s_wait_loadcnt_dscnt 0x500
	v_mul_f64_e32 v[169:170], v[30:31], v[8:9]
	v_mul_f64_e32 v[8:9], v[32:33], v[8:9]
	v_fma_f64 v[171:172], v[4:5], v[34:35], v[175:176]
	v_fma_f64 v[173:174], v[2:3], v[34:35], -v[36:37]
	ds_load_b128 v[2:5], v1 offset:1808
	ds_load_b128 v[34:37], v1 offset:1824
	v_add_f64_e32 v[38:39], v[38:39], v[165:166]
	v_add_f64_e32 v[40:41], v[40:41], v[167:168]
	s_wait_loadcnt_dscnt 0x401
	v_mul_f64_e32 v[165:166], v[2:3], v[12:13]
	v_mul_f64_e32 v[12:13], v[4:5], v[12:13]
	v_fma_f64 v[32:33], v[32:33], v[6:7], v[169:170]
	v_fma_f64 v[6:7], v[30:31], v[6:7], -v[8:9]
	v_add_f64_e32 v[8:9], v[38:39], v[173:174]
	v_add_f64_e32 v[30:31], v[40:41], v[171:172]
	s_wait_loadcnt_dscnt 0x300
	v_mul_f64_e32 v[38:39], v[34:35], v[16:17]
	v_mul_f64_e32 v[16:17], v[36:37], v[16:17]
	v_fma_f64 v[40:41], v[4:5], v[10:11], v[165:166]
	v_fma_f64 v[10:11], v[2:3], v[10:11], -v[12:13]
	v_add_f64_e32 v[12:13], v[8:9], v[6:7]
	v_add_f64_e32 v[30:31], v[30:31], v[32:33]
	ds_load_b128 v[2:5], v1 offset:1840
	ds_load_b128 v[6:9], v1 offset:1856
	v_fma_f64 v[36:37], v[36:37], v[14:15], v[38:39]
	v_fma_f64 v[14:15], v[34:35], v[14:15], -v[16:17]
	s_wait_loadcnt_dscnt 0x201
	v_mul_f64_e32 v[32:33], v[2:3], v[20:21]
	v_mul_f64_e32 v[20:21], v[4:5], v[20:21]
	s_wait_loadcnt_dscnt 0x100
	v_mul_f64_e32 v[16:17], v[6:7], v[24:25]
	v_mul_f64_e32 v[24:25], v[8:9], v[24:25]
	v_add_f64_e32 v[10:11], v[12:13], v[10:11]
	v_add_f64_e32 v[12:13], v[30:31], v[40:41]
	v_fma_f64 v[30:31], v[4:5], v[18:19], v[32:33]
	v_fma_f64 v[18:19], v[2:3], v[18:19], -v[20:21]
	ds_load_b128 v[2:5], v1 offset:1872
	v_fma_f64 v[8:9], v[8:9], v[22:23], v[16:17]
	v_fma_f64 v[6:7], v[6:7], v[22:23], -v[24:25]
	v_add_f64_e32 v[10:11], v[10:11], v[14:15]
	v_add_f64_e32 v[12:13], v[12:13], v[36:37]
	s_wait_loadcnt_dscnt 0x0
	v_mul_f64_e32 v[14:15], v[2:3], v[28:29]
	v_mul_f64_e32 v[20:21], v[4:5], v[28:29]
	s_delay_alu instid0(VALU_DEP_4) | instskip(NEXT) | instid1(VALU_DEP_4)
	v_add_f64_e32 v[10:11], v[10:11], v[18:19]
	v_add_f64_e32 v[12:13], v[12:13], v[30:31]
	s_delay_alu instid0(VALU_DEP_4) | instskip(NEXT) | instid1(VALU_DEP_4)
	v_fma_f64 v[4:5], v[4:5], v[26:27], v[14:15]
	v_fma_f64 v[2:3], v[2:3], v[26:27], -v[20:21]
	s_delay_alu instid0(VALU_DEP_4) | instskip(NEXT) | instid1(VALU_DEP_4)
	v_add_f64_e32 v[6:7], v[10:11], v[6:7]
	v_add_f64_e32 v[8:9], v[12:13], v[8:9]
	s_delay_alu instid0(VALU_DEP_2) | instskip(NEXT) | instid1(VALU_DEP_2)
	v_add_f64_e32 v[2:3], v[6:7], v[2:3]
	v_add_f64_e32 v[4:5], v[8:9], v[4:5]
	s_delay_alu instid0(VALU_DEP_2) | instskip(NEXT) | instid1(VALU_DEP_2)
	v_add_f64_e64 v[2:3], v[42:43], -v[2:3]
	v_add_f64_e64 v[4:5], v[44:45], -v[4:5]
	scratch_store_b128 off, v[2:5], off offset:672
	v_cmpx_lt_u32_e32 40, v0
	s_cbranch_execz .LBB122_287
; %bb.286:
	scratch_load_b128 v[5:8], off, s31
	v_dual_mov_b32 v2, v1 :: v_dual_mov_b32 v3, v1
	v_mov_b32_e32 v4, v1
	scratch_store_b128 off, v[1:4], off offset:656
	s_wait_loadcnt 0x0
	ds_store_b128 v164, v[5:8]
.LBB122_287:
	s_wait_alu 0xfffe
	s_or_b32 exec_lo, exec_lo, s0
	s_wait_storecnt_dscnt 0x0
	s_barrier_signal -1
	s_barrier_wait -1
	global_inv scope:SCOPE_SE
	s_clause 0x8
	scratch_load_b128 v[2:5], off, off offset:672
	scratch_load_b128 v[6:9], off, off offset:688
	;; [unrolled: 1-line block ×9, first 2 shown]
	ds_load_b128 v[38:41], v1 offset:1600
	ds_load_b128 v[42:45], v1 offset:1616
	s_clause 0x1
	scratch_load_b128 v[165:168], off, off offset:656
	scratch_load_b128 v[169:172], off, off offset:816
	s_mov_b32 s0, exec_lo
	s_wait_loadcnt_dscnt 0xa01
	v_mul_f64_e32 v[173:174], v[40:41], v[4:5]
	v_mul_f64_e32 v[4:5], v[38:39], v[4:5]
	s_wait_loadcnt_dscnt 0x900
	v_mul_f64_e32 v[177:178], v[42:43], v[8:9]
	v_mul_f64_e32 v[8:9], v[44:45], v[8:9]
	s_delay_alu instid0(VALU_DEP_4) | instskip(NEXT) | instid1(VALU_DEP_4)
	v_fma_f64 v[179:180], v[38:39], v[2:3], -v[173:174]
	v_fma_f64 v[181:182], v[40:41], v[2:3], v[4:5]
	ds_load_b128 v[2:5], v1 offset:1632
	ds_load_b128 v[173:176], v1 offset:1648
	scratch_load_b128 v[38:41], off, off offset:832
	v_fma_f64 v[44:45], v[44:45], v[6:7], v[177:178]
	v_fma_f64 v[42:43], v[42:43], v[6:7], -v[8:9]
	scratch_load_b128 v[6:9], off, off offset:848
	s_wait_loadcnt_dscnt 0xa01
	v_mul_f64_e32 v[183:184], v[2:3], v[12:13]
	v_mul_f64_e32 v[12:13], v[4:5], v[12:13]
	v_add_f64_e32 v[177:178], 0, v[179:180]
	v_add_f64_e32 v[179:180], 0, v[181:182]
	s_wait_loadcnt_dscnt 0x900
	v_mul_f64_e32 v[181:182], v[173:174], v[16:17]
	v_mul_f64_e32 v[16:17], v[175:176], v[16:17]
	v_fma_f64 v[183:184], v[4:5], v[10:11], v[183:184]
	v_fma_f64 v[185:186], v[2:3], v[10:11], -v[12:13]
	ds_load_b128 v[2:5], v1 offset:1664
	scratch_load_b128 v[10:13], off, off offset:864
	v_add_f64_e32 v[177:178], v[177:178], v[42:43]
	v_add_f64_e32 v[179:180], v[179:180], v[44:45]
	ds_load_b128 v[42:45], v1 offset:1680
	v_fma_f64 v[175:176], v[175:176], v[14:15], v[181:182]
	v_fma_f64 v[173:174], v[173:174], v[14:15], -v[16:17]
	scratch_load_b128 v[14:17], off, off offset:880
	s_wait_loadcnt_dscnt 0xa01
	v_mul_f64_e32 v[187:188], v[2:3], v[20:21]
	v_mul_f64_e32 v[20:21], v[4:5], v[20:21]
	s_wait_loadcnt_dscnt 0x900
	v_mul_f64_e32 v[181:182], v[42:43], v[24:25]
	v_mul_f64_e32 v[24:25], v[44:45], v[24:25]
	v_add_f64_e32 v[177:178], v[177:178], v[185:186]
	v_add_f64_e32 v[179:180], v[179:180], v[183:184]
	v_fma_f64 v[183:184], v[4:5], v[18:19], v[187:188]
	v_fma_f64 v[185:186], v[2:3], v[18:19], -v[20:21]
	ds_load_b128 v[2:5], v1 offset:1696
	scratch_load_b128 v[18:21], off, off offset:896
	v_fma_f64 v[44:45], v[44:45], v[22:23], v[181:182]
	v_fma_f64 v[42:43], v[42:43], v[22:23], -v[24:25]
	scratch_load_b128 v[22:25], off, off offset:912
	v_add_f64_e32 v[177:178], v[177:178], v[173:174]
	v_add_f64_e32 v[179:180], v[179:180], v[175:176]
	ds_load_b128 v[173:176], v1 offset:1712
	s_wait_loadcnt_dscnt 0xa01
	v_mul_f64_e32 v[187:188], v[2:3], v[28:29]
	v_mul_f64_e32 v[28:29], v[4:5], v[28:29]
	s_wait_loadcnt_dscnt 0x900
	v_mul_f64_e32 v[181:182], v[173:174], v[32:33]
	v_mul_f64_e32 v[32:33], v[175:176], v[32:33]
	v_add_f64_e32 v[177:178], v[177:178], v[185:186]
	v_add_f64_e32 v[179:180], v[179:180], v[183:184]
	v_fma_f64 v[183:184], v[4:5], v[26:27], v[187:188]
	v_fma_f64 v[185:186], v[2:3], v[26:27], -v[28:29]
	ds_load_b128 v[2:5], v1 offset:1728
	scratch_load_b128 v[26:29], off, off offset:928
	v_fma_f64 v[175:176], v[175:176], v[30:31], v[181:182]
	v_fma_f64 v[173:174], v[173:174], v[30:31], -v[32:33]
	scratch_load_b128 v[30:33], off, off offset:944
	v_add_f64_e32 v[177:178], v[177:178], v[42:43]
	v_add_f64_e32 v[179:180], v[179:180], v[44:45]
	ds_load_b128 v[42:45], v1 offset:1744
	s_wait_loadcnt_dscnt 0xa01
	v_mul_f64_e32 v[187:188], v[2:3], v[36:37]
	v_mul_f64_e32 v[36:37], v[4:5], v[36:37]
	s_wait_loadcnt_dscnt 0x800
	v_mul_f64_e32 v[181:182], v[42:43], v[171:172]
	v_mul_f64_e32 v[171:172], v[44:45], v[171:172]
	v_add_f64_e32 v[177:178], v[177:178], v[185:186]
	v_add_f64_e32 v[179:180], v[179:180], v[183:184]
	v_fma_f64 v[183:184], v[4:5], v[34:35], v[187:188]
	v_fma_f64 v[185:186], v[2:3], v[34:35], -v[36:37]
	ds_load_b128 v[2:5], v1 offset:1760
	ds_load_b128 v[34:37], v1 offset:1776
	v_fma_f64 v[44:45], v[44:45], v[169:170], v[181:182]
	v_fma_f64 v[42:43], v[42:43], v[169:170], -v[171:172]
	v_add_f64_e32 v[173:174], v[177:178], v[173:174]
	v_add_f64_e32 v[175:176], v[179:180], v[175:176]
	s_wait_loadcnt_dscnt 0x701
	v_mul_f64_e32 v[177:178], v[2:3], v[40:41]
	v_mul_f64_e32 v[40:41], v[4:5], v[40:41]
	s_delay_alu instid0(VALU_DEP_4) | instskip(NEXT) | instid1(VALU_DEP_4)
	v_add_f64_e32 v[169:170], v[173:174], v[185:186]
	v_add_f64_e32 v[171:172], v[175:176], v[183:184]
	s_wait_loadcnt_dscnt 0x600
	v_mul_f64_e32 v[173:174], v[34:35], v[8:9]
	v_mul_f64_e32 v[8:9], v[36:37], v[8:9]
	v_fma_f64 v[175:176], v[4:5], v[38:39], v[177:178]
	v_fma_f64 v[177:178], v[2:3], v[38:39], -v[40:41]
	ds_load_b128 v[2:5], v1 offset:1792
	ds_load_b128 v[38:41], v1 offset:1808
	v_add_f64_e32 v[42:43], v[169:170], v[42:43]
	v_add_f64_e32 v[44:45], v[171:172], v[44:45]
	v_fma_f64 v[36:37], v[36:37], v[6:7], v[173:174]
	s_wait_loadcnt_dscnt 0x501
	v_mul_f64_e32 v[169:170], v[2:3], v[12:13]
	v_mul_f64_e32 v[12:13], v[4:5], v[12:13]
	v_fma_f64 v[6:7], v[34:35], v[6:7], -v[8:9]
	v_add_f64_e32 v[8:9], v[42:43], v[177:178]
	v_add_f64_e32 v[34:35], v[44:45], v[175:176]
	s_wait_loadcnt_dscnt 0x400
	v_mul_f64_e32 v[42:43], v[38:39], v[16:17]
	v_mul_f64_e32 v[16:17], v[40:41], v[16:17]
	v_fma_f64 v[44:45], v[4:5], v[10:11], v[169:170]
	v_fma_f64 v[10:11], v[2:3], v[10:11], -v[12:13]
	v_add_f64_e32 v[12:13], v[8:9], v[6:7]
	v_add_f64_e32 v[34:35], v[34:35], v[36:37]
	ds_load_b128 v[2:5], v1 offset:1824
	ds_load_b128 v[6:9], v1 offset:1840
	v_fma_f64 v[40:41], v[40:41], v[14:15], v[42:43]
	v_fma_f64 v[14:15], v[38:39], v[14:15], -v[16:17]
	s_wait_loadcnt_dscnt 0x301
	v_mul_f64_e32 v[36:37], v[2:3], v[20:21]
	v_mul_f64_e32 v[20:21], v[4:5], v[20:21]
	s_wait_loadcnt_dscnt 0x200
	v_mul_f64_e32 v[16:17], v[6:7], v[24:25]
	v_mul_f64_e32 v[24:25], v[8:9], v[24:25]
	v_add_f64_e32 v[10:11], v[12:13], v[10:11]
	v_add_f64_e32 v[12:13], v[34:35], v[44:45]
	v_fma_f64 v[34:35], v[4:5], v[18:19], v[36:37]
	v_fma_f64 v[18:19], v[2:3], v[18:19], -v[20:21]
	v_fma_f64 v[8:9], v[8:9], v[22:23], v[16:17]
	v_fma_f64 v[6:7], v[6:7], v[22:23], -v[24:25]
	v_add_f64_e32 v[14:15], v[10:11], v[14:15]
	v_add_f64_e32 v[20:21], v[12:13], v[40:41]
	ds_load_b128 v[2:5], v1 offset:1856
	ds_load_b128 v[10:13], v1 offset:1872
	s_wait_loadcnt_dscnt 0x101
	v_mul_f64_e32 v[36:37], v[2:3], v[28:29]
	v_mul_f64_e32 v[28:29], v[4:5], v[28:29]
	v_add_f64_e32 v[14:15], v[14:15], v[18:19]
	v_add_f64_e32 v[16:17], v[20:21], v[34:35]
	s_wait_loadcnt_dscnt 0x0
	v_mul_f64_e32 v[18:19], v[10:11], v[32:33]
	v_mul_f64_e32 v[20:21], v[12:13], v[32:33]
	v_fma_f64 v[4:5], v[4:5], v[26:27], v[36:37]
	v_fma_f64 v[1:2], v[2:3], v[26:27], -v[28:29]
	v_add_f64_e32 v[6:7], v[14:15], v[6:7]
	v_add_f64_e32 v[8:9], v[16:17], v[8:9]
	v_fma_f64 v[12:13], v[12:13], v[30:31], v[18:19]
	v_fma_f64 v[10:11], v[10:11], v[30:31], -v[20:21]
	s_delay_alu instid0(VALU_DEP_4) | instskip(NEXT) | instid1(VALU_DEP_4)
	v_add_f64_e32 v[1:2], v[6:7], v[1:2]
	v_add_f64_e32 v[3:4], v[8:9], v[4:5]
	s_delay_alu instid0(VALU_DEP_2) | instskip(NEXT) | instid1(VALU_DEP_2)
	v_add_f64_e32 v[1:2], v[1:2], v[10:11]
	v_add_f64_e32 v[3:4], v[3:4], v[12:13]
	s_delay_alu instid0(VALU_DEP_2) | instskip(NEXT) | instid1(VALU_DEP_2)
	v_add_f64_e64 v[1:2], v[165:166], -v[1:2]
	v_add_f64_e64 v[3:4], v[167:168], -v[3:4]
	scratch_store_b128 off, v[1:4], off offset:656
	v_cmpx_lt_u32_e32 39, v0
	s_cbranch_execz .LBB122_289
; %bb.288:
	scratch_load_b128 v[1:4], off, s33
	v_mov_b32_e32 v5, 0
	s_delay_alu instid0(VALU_DEP_1)
	v_dual_mov_b32 v6, v5 :: v_dual_mov_b32 v7, v5
	v_mov_b32_e32 v8, v5
	scratch_store_b128 off, v[5:8], off offset:640
	s_wait_loadcnt 0x0
	ds_store_b128 v164, v[1:4]
.LBB122_289:
	s_wait_alu 0xfffe
	s_or_b32 exec_lo, exec_lo, s0
	s_wait_storecnt_dscnt 0x0
	s_barrier_signal -1
	s_barrier_wait -1
	global_inv scope:SCOPE_SE
	s_clause 0x7
	scratch_load_b128 v[2:5], off, off offset:656
	scratch_load_b128 v[6:9], off, off offset:672
	;; [unrolled: 1-line block ×8, first 2 shown]
	v_mov_b32_e32 v1, 0
	s_mov_b32 s0, exec_lo
	ds_load_b128 v[34:37], v1 offset:1584
	s_clause 0x1
	scratch_load_b128 v[38:41], off, off offset:784
	scratch_load_b128 v[42:45], off, off offset:640
	ds_load_b128 v[165:168], v1 offset:1600
	scratch_load_b128 v[169:172], off, off offset:800
	s_wait_loadcnt_dscnt 0xa01
	v_mul_f64_e32 v[173:174], v[36:37], v[4:5]
	v_mul_f64_e32 v[4:5], v[34:35], v[4:5]
	s_delay_alu instid0(VALU_DEP_2) | instskip(NEXT) | instid1(VALU_DEP_2)
	v_fma_f64 v[179:180], v[34:35], v[2:3], -v[173:174]
	v_fma_f64 v[181:182], v[36:37], v[2:3], v[4:5]
	ds_load_b128 v[2:5], v1 offset:1616
	s_wait_loadcnt_dscnt 0x901
	v_mul_f64_e32 v[177:178], v[165:166], v[8:9]
	v_mul_f64_e32 v[8:9], v[167:168], v[8:9]
	scratch_load_b128 v[34:37], off, off offset:816
	ds_load_b128 v[173:176], v1 offset:1632
	s_wait_loadcnt_dscnt 0x901
	v_mul_f64_e32 v[183:184], v[2:3], v[12:13]
	v_mul_f64_e32 v[12:13], v[4:5], v[12:13]
	v_fma_f64 v[167:168], v[167:168], v[6:7], v[177:178]
	v_fma_f64 v[165:166], v[165:166], v[6:7], -v[8:9]
	v_add_f64_e32 v[177:178], 0, v[179:180]
	v_add_f64_e32 v[179:180], 0, v[181:182]
	scratch_load_b128 v[6:9], off, off offset:832
	v_fma_f64 v[183:184], v[4:5], v[10:11], v[183:184]
	v_fma_f64 v[185:186], v[2:3], v[10:11], -v[12:13]
	ds_load_b128 v[2:5], v1 offset:1648
	s_wait_loadcnt_dscnt 0x901
	v_mul_f64_e32 v[181:182], v[173:174], v[16:17]
	v_mul_f64_e32 v[16:17], v[175:176], v[16:17]
	scratch_load_b128 v[10:13], off, off offset:848
	v_add_f64_e32 v[177:178], v[177:178], v[165:166]
	v_add_f64_e32 v[179:180], v[179:180], v[167:168]
	s_wait_loadcnt_dscnt 0x900
	v_mul_f64_e32 v[187:188], v[2:3], v[20:21]
	v_mul_f64_e32 v[20:21], v[4:5], v[20:21]
	ds_load_b128 v[165:168], v1 offset:1664
	v_fma_f64 v[175:176], v[175:176], v[14:15], v[181:182]
	v_fma_f64 v[173:174], v[173:174], v[14:15], -v[16:17]
	scratch_load_b128 v[14:17], off, off offset:864
	v_add_f64_e32 v[177:178], v[177:178], v[185:186]
	v_add_f64_e32 v[179:180], v[179:180], v[183:184]
	v_fma_f64 v[183:184], v[4:5], v[18:19], v[187:188]
	v_fma_f64 v[185:186], v[2:3], v[18:19], -v[20:21]
	ds_load_b128 v[2:5], v1 offset:1680
	s_wait_loadcnt_dscnt 0x901
	v_mul_f64_e32 v[181:182], v[165:166], v[24:25]
	v_mul_f64_e32 v[24:25], v[167:168], v[24:25]
	scratch_load_b128 v[18:21], off, off offset:880
	s_wait_loadcnt_dscnt 0x900
	v_mul_f64_e32 v[187:188], v[2:3], v[28:29]
	v_mul_f64_e32 v[28:29], v[4:5], v[28:29]
	v_add_f64_e32 v[177:178], v[177:178], v[173:174]
	v_add_f64_e32 v[179:180], v[179:180], v[175:176]
	ds_load_b128 v[173:176], v1 offset:1696
	v_fma_f64 v[167:168], v[167:168], v[22:23], v[181:182]
	v_fma_f64 v[165:166], v[165:166], v[22:23], -v[24:25]
	scratch_load_b128 v[22:25], off, off offset:896
	v_add_f64_e32 v[177:178], v[177:178], v[185:186]
	v_add_f64_e32 v[179:180], v[179:180], v[183:184]
	v_fma_f64 v[183:184], v[4:5], v[26:27], v[187:188]
	v_fma_f64 v[185:186], v[2:3], v[26:27], -v[28:29]
	ds_load_b128 v[2:5], v1 offset:1712
	s_wait_loadcnt_dscnt 0x901
	v_mul_f64_e32 v[181:182], v[173:174], v[32:33]
	v_mul_f64_e32 v[32:33], v[175:176], v[32:33]
	scratch_load_b128 v[26:29], off, off offset:912
	s_wait_loadcnt_dscnt 0x900
	v_mul_f64_e32 v[187:188], v[2:3], v[40:41]
	v_mul_f64_e32 v[40:41], v[4:5], v[40:41]
	v_add_f64_e32 v[177:178], v[177:178], v[165:166]
	v_add_f64_e32 v[179:180], v[179:180], v[167:168]
	ds_load_b128 v[165:168], v1 offset:1728
	v_fma_f64 v[175:176], v[175:176], v[30:31], v[181:182]
	v_fma_f64 v[173:174], v[173:174], v[30:31], -v[32:33]
	scratch_load_b128 v[30:33], off, off offset:928
	v_add_f64_e32 v[177:178], v[177:178], v[185:186]
	v_add_f64_e32 v[179:180], v[179:180], v[183:184]
	v_fma_f64 v[185:186], v[4:5], v[38:39], v[187:188]
	v_fma_f64 v[187:188], v[2:3], v[38:39], -v[40:41]
	ds_load_b128 v[2:5], v1 offset:1744
	s_wait_loadcnt_dscnt 0x801
	v_mul_f64_e32 v[181:182], v[165:166], v[171:172]
	v_mul_f64_e32 v[183:184], v[167:168], v[171:172]
	scratch_load_b128 v[38:41], off, off offset:944
	v_add_f64_e32 v[177:178], v[177:178], v[173:174]
	v_add_f64_e32 v[175:176], v[179:180], v[175:176]
	ds_load_b128 v[171:174], v1 offset:1760
	v_fma_f64 v[167:168], v[167:168], v[169:170], v[181:182]
	v_fma_f64 v[165:166], v[165:166], v[169:170], -v[183:184]
	s_wait_loadcnt_dscnt 0x801
	v_mul_f64_e32 v[179:180], v[2:3], v[36:37]
	v_mul_f64_e32 v[36:37], v[4:5], v[36:37]
	v_add_f64_e32 v[169:170], v[177:178], v[187:188]
	v_add_f64_e32 v[175:176], v[175:176], v[185:186]
	s_delay_alu instid0(VALU_DEP_4) | instskip(NEXT) | instid1(VALU_DEP_4)
	v_fma_f64 v[179:180], v[4:5], v[34:35], v[179:180]
	v_fma_f64 v[181:182], v[2:3], v[34:35], -v[36:37]
	s_wait_loadcnt_dscnt 0x700
	v_mul_f64_e32 v[177:178], v[171:172], v[8:9]
	v_mul_f64_e32 v[8:9], v[173:174], v[8:9]
	ds_load_b128 v[2:5], v1 offset:1776
	ds_load_b128 v[34:37], v1 offset:1792
	v_add_f64_e32 v[165:166], v[169:170], v[165:166]
	v_add_f64_e32 v[167:168], v[175:176], v[167:168]
	s_wait_loadcnt_dscnt 0x601
	v_mul_f64_e32 v[169:170], v[2:3], v[12:13]
	v_mul_f64_e32 v[12:13], v[4:5], v[12:13]
	v_fma_f64 v[173:174], v[173:174], v[6:7], v[177:178]
	v_fma_f64 v[6:7], v[171:172], v[6:7], -v[8:9]
	v_add_f64_e32 v[8:9], v[165:166], v[181:182]
	v_add_f64_e32 v[165:166], v[167:168], v[179:180]
	s_wait_loadcnt_dscnt 0x500
	v_mul_f64_e32 v[167:168], v[34:35], v[16:17]
	v_mul_f64_e32 v[16:17], v[36:37], v[16:17]
	v_fma_f64 v[169:170], v[4:5], v[10:11], v[169:170]
	v_fma_f64 v[10:11], v[2:3], v[10:11], -v[12:13]
	v_add_f64_e32 v[12:13], v[8:9], v[6:7]
	v_add_f64_e32 v[165:166], v[165:166], v[173:174]
	ds_load_b128 v[2:5], v1 offset:1808
	ds_load_b128 v[6:9], v1 offset:1824
	v_fma_f64 v[36:37], v[36:37], v[14:15], v[167:168]
	v_fma_f64 v[14:15], v[34:35], v[14:15], -v[16:17]
	s_wait_loadcnt_dscnt 0x401
	v_mul_f64_e32 v[171:172], v[2:3], v[20:21]
	v_mul_f64_e32 v[20:21], v[4:5], v[20:21]
	s_wait_loadcnt_dscnt 0x300
	v_mul_f64_e32 v[16:17], v[6:7], v[24:25]
	v_mul_f64_e32 v[24:25], v[8:9], v[24:25]
	v_add_f64_e32 v[10:11], v[12:13], v[10:11]
	v_add_f64_e32 v[12:13], v[165:166], v[169:170]
	v_fma_f64 v[34:35], v[4:5], v[18:19], v[171:172]
	v_fma_f64 v[18:19], v[2:3], v[18:19], -v[20:21]
	v_fma_f64 v[8:9], v[8:9], v[22:23], v[16:17]
	v_fma_f64 v[6:7], v[6:7], v[22:23], -v[24:25]
	v_add_f64_e32 v[14:15], v[10:11], v[14:15]
	v_add_f64_e32 v[20:21], v[12:13], v[36:37]
	ds_load_b128 v[2:5], v1 offset:1840
	ds_load_b128 v[10:13], v1 offset:1856
	s_wait_loadcnt_dscnt 0x201
	v_mul_f64_e32 v[36:37], v[2:3], v[28:29]
	v_mul_f64_e32 v[28:29], v[4:5], v[28:29]
	v_add_f64_e32 v[14:15], v[14:15], v[18:19]
	v_add_f64_e32 v[16:17], v[20:21], v[34:35]
	s_wait_loadcnt_dscnt 0x100
	v_mul_f64_e32 v[18:19], v[10:11], v[32:33]
	v_mul_f64_e32 v[20:21], v[12:13], v[32:33]
	v_fma_f64 v[22:23], v[4:5], v[26:27], v[36:37]
	v_fma_f64 v[24:25], v[2:3], v[26:27], -v[28:29]
	ds_load_b128 v[2:5], v1 offset:1872
	v_add_f64_e32 v[6:7], v[14:15], v[6:7]
	v_add_f64_e32 v[8:9], v[16:17], v[8:9]
	v_fma_f64 v[12:13], v[12:13], v[30:31], v[18:19]
	v_fma_f64 v[10:11], v[10:11], v[30:31], -v[20:21]
	s_wait_loadcnt_dscnt 0x0
	v_mul_f64_e32 v[14:15], v[2:3], v[40:41]
	v_mul_f64_e32 v[16:17], v[4:5], v[40:41]
	v_add_f64_e32 v[6:7], v[6:7], v[24:25]
	v_add_f64_e32 v[8:9], v[8:9], v[22:23]
	s_delay_alu instid0(VALU_DEP_4) | instskip(NEXT) | instid1(VALU_DEP_4)
	v_fma_f64 v[4:5], v[4:5], v[38:39], v[14:15]
	v_fma_f64 v[2:3], v[2:3], v[38:39], -v[16:17]
	s_delay_alu instid0(VALU_DEP_4) | instskip(NEXT) | instid1(VALU_DEP_4)
	v_add_f64_e32 v[6:7], v[6:7], v[10:11]
	v_add_f64_e32 v[8:9], v[8:9], v[12:13]
	s_delay_alu instid0(VALU_DEP_2) | instskip(NEXT) | instid1(VALU_DEP_2)
	v_add_f64_e32 v[2:3], v[6:7], v[2:3]
	v_add_f64_e32 v[4:5], v[8:9], v[4:5]
	s_delay_alu instid0(VALU_DEP_2) | instskip(NEXT) | instid1(VALU_DEP_2)
	v_add_f64_e64 v[2:3], v[42:43], -v[2:3]
	v_add_f64_e64 v[4:5], v[44:45], -v[4:5]
	scratch_store_b128 off, v[2:5], off offset:640
	v_cmpx_lt_u32_e32 38, v0
	s_cbranch_execz .LBB122_291
; %bb.290:
	scratch_load_b128 v[5:8], off, s34
	v_dual_mov_b32 v2, v1 :: v_dual_mov_b32 v3, v1
	v_mov_b32_e32 v4, v1
	scratch_store_b128 off, v[1:4], off offset:624
	s_wait_loadcnt 0x0
	ds_store_b128 v164, v[5:8]
.LBB122_291:
	s_wait_alu 0xfffe
	s_or_b32 exec_lo, exec_lo, s0
	s_wait_storecnt_dscnt 0x0
	s_barrier_signal -1
	s_barrier_wait -1
	global_inv scope:SCOPE_SE
	s_clause 0x8
	scratch_load_b128 v[2:5], off, off offset:640
	scratch_load_b128 v[6:9], off, off offset:656
	;; [unrolled: 1-line block ×9, first 2 shown]
	ds_load_b128 v[38:41], v1 offset:1568
	ds_load_b128 v[42:45], v1 offset:1584
	s_clause 0x1
	scratch_load_b128 v[165:168], off, off offset:624
	scratch_load_b128 v[169:172], off, off offset:784
	s_mov_b32 s0, exec_lo
	s_wait_loadcnt_dscnt 0xa01
	v_mul_f64_e32 v[173:174], v[40:41], v[4:5]
	v_mul_f64_e32 v[4:5], v[38:39], v[4:5]
	s_wait_loadcnt_dscnt 0x900
	v_mul_f64_e32 v[177:178], v[42:43], v[8:9]
	v_mul_f64_e32 v[8:9], v[44:45], v[8:9]
	s_delay_alu instid0(VALU_DEP_4) | instskip(NEXT) | instid1(VALU_DEP_4)
	v_fma_f64 v[179:180], v[38:39], v[2:3], -v[173:174]
	v_fma_f64 v[181:182], v[40:41], v[2:3], v[4:5]
	ds_load_b128 v[2:5], v1 offset:1600
	ds_load_b128 v[173:176], v1 offset:1616
	scratch_load_b128 v[38:41], off, off offset:800
	v_fma_f64 v[44:45], v[44:45], v[6:7], v[177:178]
	v_fma_f64 v[42:43], v[42:43], v[6:7], -v[8:9]
	scratch_load_b128 v[6:9], off, off offset:816
	s_wait_loadcnt_dscnt 0xa01
	v_mul_f64_e32 v[183:184], v[2:3], v[12:13]
	v_mul_f64_e32 v[12:13], v[4:5], v[12:13]
	v_add_f64_e32 v[177:178], 0, v[179:180]
	v_add_f64_e32 v[179:180], 0, v[181:182]
	s_wait_loadcnt_dscnt 0x900
	v_mul_f64_e32 v[181:182], v[173:174], v[16:17]
	v_mul_f64_e32 v[16:17], v[175:176], v[16:17]
	v_fma_f64 v[183:184], v[4:5], v[10:11], v[183:184]
	v_fma_f64 v[185:186], v[2:3], v[10:11], -v[12:13]
	ds_load_b128 v[2:5], v1 offset:1632
	scratch_load_b128 v[10:13], off, off offset:832
	v_add_f64_e32 v[177:178], v[177:178], v[42:43]
	v_add_f64_e32 v[179:180], v[179:180], v[44:45]
	ds_load_b128 v[42:45], v1 offset:1648
	v_fma_f64 v[175:176], v[175:176], v[14:15], v[181:182]
	v_fma_f64 v[173:174], v[173:174], v[14:15], -v[16:17]
	scratch_load_b128 v[14:17], off, off offset:848
	s_wait_loadcnt_dscnt 0xa01
	v_mul_f64_e32 v[187:188], v[2:3], v[20:21]
	v_mul_f64_e32 v[20:21], v[4:5], v[20:21]
	s_wait_loadcnt_dscnt 0x900
	v_mul_f64_e32 v[181:182], v[42:43], v[24:25]
	v_mul_f64_e32 v[24:25], v[44:45], v[24:25]
	v_add_f64_e32 v[177:178], v[177:178], v[185:186]
	v_add_f64_e32 v[179:180], v[179:180], v[183:184]
	v_fma_f64 v[183:184], v[4:5], v[18:19], v[187:188]
	v_fma_f64 v[185:186], v[2:3], v[18:19], -v[20:21]
	ds_load_b128 v[2:5], v1 offset:1664
	scratch_load_b128 v[18:21], off, off offset:864
	v_fma_f64 v[44:45], v[44:45], v[22:23], v[181:182]
	v_fma_f64 v[42:43], v[42:43], v[22:23], -v[24:25]
	scratch_load_b128 v[22:25], off, off offset:880
	v_add_f64_e32 v[177:178], v[177:178], v[173:174]
	v_add_f64_e32 v[179:180], v[179:180], v[175:176]
	ds_load_b128 v[173:176], v1 offset:1680
	s_wait_loadcnt_dscnt 0xa01
	v_mul_f64_e32 v[187:188], v[2:3], v[28:29]
	v_mul_f64_e32 v[28:29], v[4:5], v[28:29]
	s_wait_loadcnt_dscnt 0x900
	v_mul_f64_e32 v[181:182], v[173:174], v[32:33]
	v_mul_f64_e32 v[32:33], v[175:176], v[32:33]
	v_add_f64_e32 v[177:178], v[177:178], v[185:186]
	v_add_f64_e32 v[179:180], v[179:180], v[183:184]
	v_fma_f64 v[183:184], v[4:5], v[26:27], v[187:188]
	v_fma_f64 v[185:186], v[2:3], v[26:27], -v[28:29]
	ds_load_b128 v[2:5], v1 offset:1696
	scratch_load_b128 v[26:29], off, off offset:896
	v_fma_f64 v[175:176], v[175:176], v[30:31], v[181:182]
	v_fma_f64 v[173:174], v[173:174], v[30:31], -v[32:33]
	scratch_load_b128 v[30:33], off, off offset:912
	v_add_f64_e32 v[177:178], v[177:178], v[42:43]
	v_add_f64_e32 v[179:180], v[179:180], v[44:45]
	ds_load_b128 v[42:45], v1 offset:1712
	s_wait_loadcnt_dscnt 0xa01
	v_mul_f64_e32 v[187:188], v[2:3], v[36:37]
	v_mul_f64_e32 v[36:37], v[4:5], v[36:37]
	s_wait_loadcnt_dscnt 0x800
	v_mul_f64_e32 v[181:182], v[42:43], v[171:172]
	v_add_f64_e32 v[177:178], v[177:178], v[185:186]
	v_add_f64_e32 v[179:180], v[179:180], v[183:184]
	v_mul_f64_e32 v[183:184], v[44:45], v[171:172]
	v_fma_f64 v[185:186], v[4:5], v[34:35], v[187:188]
	v_fma_f64 v[187:188], v[2:3], v[34:35], -v[36:37]
	ds_load_b128 v[2:5], v1 offset:1728
	scratch_load_b128 v[34:37], off, off offset:928
	v_fma_f64 v[44:45], v[44:45], v[169:170], v[181:182]
	v_add_f64_e32 v[177:178], v[177:178], v[173:174]
	v_add_f64_e32 v[175:176], v[179:180], v[175:176]
	ds_load_b128 v[171:174], v1 offset:1744
	v_fma_f64 v[169:170], v[42:43], v[169:170], -v[183:184]
	s_wait_loadcnt_dscnt 0x801
	v_mul_f64_e32 v[179:180], v[2:3], v[40:41]
	v_mul_f64_e32 v[189:190], v[4:5], v[40:41]
	scratch_load_b128 v[40:43], off, off offset:944
	s_wait_loadcnt_dscnt 0x800
	v_mul_f64_e32 v[181:182], v[171:172], v[8:9]
	v_mul_f64_e32 v[8:9], v[173:174], v[8:9]
	v_add_f64_e32 v[177:178], v[177:178], v[187:188]
	v_add_f64_e32 v[175:176], v[175:176], v[185:186]
	v_fma_f64 v[179:180], v[4:5], v[38:39], v[179:180]
	v_fma_f64 v[38:39], v[2:3], v[38:39], -v[189:190]
	v_fma_f64 v[173:174], v[173:174], v[6:7], v[181:182]
	v_fma_f64 v[6:7], v[171:172], v[6:7], -v[8:9]
	v_add_f64_e32 v[169:170], v[177:178], v[169:170]
	v_add_f64_e32 v[44:45], v[175:176], v[44:45]
	ds_load_b128 v[2:5], v1 offset:1760
	ds_load_b128 v[175:178], v1 offset:1776
	s_wait_loadcnt_dscnt 0x701
	v_mul_f64_e32 v[183:184], v[2:3], v[12:13]
	v_mul_f64_e32 v[12:13], v[4:5], v[12:13]
	v_add_f64_e32 v[8:9], v[169:170], v[38:39]
	v_add_f64_e32 v[38:39], v[44:45], v[179:180]
	s_wait_loadcnt_dscnt 0x600
	v_mul_f64_e32 v[44:45], v[175:176], v[16:17]
	v_mul_f64_e32 v[16:17], v[177:178], v[16:17]
	v_fma_f64 v[169:170], v[4:5], v[10:11], v[183:184]
	v_fma_f64 v[10:11], v[2:3], v[10:11], -v[12:13]
	v_add_f64_e32 v[12:13], v[8:9], v[6:7]
	v_add_f64_e32 v[38:39], v[38:39], v[173:174]
	ds_load_b128 v[2:5], v1 offset:1792
	ds_load_b128 v[6:9], v1 offset:1808
	v_fma_f64 v[44:45], v[177:178], v[14:15], v[44:45]
	v_fma_f64 v[14:15], v[175:176], v[14:15], -v[16:17]
	s_wait_loadcnt_dscnt 0x501
	v_mul_f64_e32 v[171:172], v[2:3], v[20:21]
	v_mul_f64_e32 v[20:21], v[4:5], v[20:21]
	s_wait_loadcnt_dscnt 0x400
	v_mul_f64_e32 v[16:17], v[6:7], v[24:25]
	v_mul_f64_e32 v[24:25], v[8:9], v[24:25]
	v_add_f64_e32 v[10:11], v[12:13], v[10:11]
	v_add_f64_e32 v[12:13], v[38:39], v[169:170]
	v_fma_f64 v[38:39], v[4:5], v[18:19], v[171:172]
	v_fma_f64 v[18:19], v[2:3], v[18:19], -v[20:21]
	v_fma_f64 v[8:9], v[8:9], v[22:23], v[16:17]
	v_fma_f64 v[6:7], v[6:7], v[22:23], -v[24:25]
	v_add_f64_e32 v[14:15], v[10:11], v[14:15]
	v_add_f64_e32 v[20:21], v[12:13], v[44:45]
	ds_load_b128 v[2:5], v1 offset:1824
	ds_load_b128 v[10:13], v1 offset:1840
	s_wait_loadcnt_dscnt 0x301
	v_mul_f64_e32 v[44:45], v[2:3], v[28:29]
	v_mul_f64_e32 v[28:29], v[4:5], v[28:29]
	v_add_f64_e32 v[14:15], v[14:15], v[18:19]
	v_add_f64_e32 v[16:17], v[20:21], v[38:39]
	s_wait_loadcnt_dscnt 0x200
	v_mul_f64_e32 v[18:19], v[10:11], v[32:33]
	v_mul_f64_e32 v[20:21], v[12:13], v[32:33]
	v_fma_f64 v[22:23], v[4:5], v[26:27], v[44:45]
	v_fma_f64 v[24:25], v[2:3], v[26:27], -v[28:29]
	v_add_f64_e32 v[14:15], v[14:15], v[6:7]
	v_add_f64_e32 v[16:17], v[16:17], v[8:9]
	ds_load_b128 v[2:5], v1 offset:1856
	ds_load_b128 v[6:9], v1 offset:1872
	v_fma_f64 v[12:13], v[12:13], v[30:31], v[18:19]
	v_fma_f64 v[10:11], v[10:11], v[30:31], -v[20:21]
	s_wait_loadcnt_dscnt 0x101
	v_mul_f64_e32 v[26:27], v[2:3], v[36:37]
	v_mul_f64_e32 v[28:29], v[4:5], v[36:37]
	s_wait_loadcnt_dscnt 0x0
	v_mul_f64_e32 v[18:19], v[6:7], v[42:43]
	v_add_f64_e32 v[14:15], v[14:15], v[24:25]
	v_add_f64_e32 v[16:17], v[16:17], v[22:23]
	v_mul_f64_e32 v[20:21], v[8:9], v[42:43]
	v_fma_f64 v[4:5], v[4:5], v[34:35], v[26:27]
	v_fma_f64 v[1:2], v[2:3], v[34:35], -v[28:29]
	v_fma_f64 v[8:9], v[8:9], v[40:41], v[18:19]
	v_add_f64_e32 v[10:11], v[14:15], v[10:11]
	v_add_f64_e32 v[12:13], v[16:17], v[12:13]
	v_fma_f64 v[6:7], v[6:7], v[40:41], -v[20:21]
	s_delay_alu instid0(VALU_DEP_3) | instskip(NEXT) | instid1(VALU_DEP_3)
	v_add_f64_e32 v[1:2], v[10:11], v[1:2]
	v_add_f64_e32 v[3:4], v[12:13], v[4:5]
	s_delay_alu instid0(VALU_DEP_2) | instskip(NEXT) | instid1(VALU_DEP_2)
	v_add_f64_e32 v[1:2], v[1:2], v[6:7]
	v_add_f64_e32 v[3:4], v[3:4], v[8:9]
	s_delay_alu instid0(VALU_DEP_2) | instskip(NEXT) | instid1(VALU_DEP_2)
	v_add_f64_e64 v[1:2], v[165:166], -v[1:2]
	v_add_f64_e64 v[3:4], v[167:168], -v[3:4]
	scratch_store_b128 off, v[1:4], off offset:624
	v_cmpx_lt_u32_e32 37, v0
	s_cbranch_execz .LBB122_293
; %bb.292:
	scratch_load_b128 v[1:4], off, s35
	v_mov_b32_e32 v5, 0
	s_delay_alu instid0(VALU_DEP_1)
	v_dual_mov_b32 v6, v5 :: v_dual_mov_b32 v7, v5
	v_mov_b32_e32 v8, v5
	scratch_store_b128 off, v[5:8], off offset:608
	s_wait_loadcnt 0x0
	ds_store_b128 v164, v[1:4]
.LBB122_293:
	s_wait_alu 0xfffe
	s_or_b32 exec_lo, exec_lo, s0
	s_wait_storecnt_dscnt 0x0
	s_barrier_signal -1
	s_barrier_wait -1
	global_inv scope:SCOPE_SE
	s_clause 0x7
	scratch_load_b128 v[2:5], off, off offset:624
	scratch_load_b128 v[6:9], off, off offset:640
	;; [unrolled: 1-line block ×8, first 2 shown]
	v_mov_b32_e32 v1, 0
	s_mov_b32 s0, exec_lo
	ds_load_b128 v[34:37], v1 offset:1552
	s_clause 0x1
	scratch_load_b128 v[38:41], off, off offset:752
	scratch_load_b128 v[42:45], off, off offset:608
	ds_load_b128 v[165:168], v1 offset:1568
	scratch_load_b128 v[169:172], off, off offset:768
	s_wait_loadcnt_dscnt 0xa01
	v_mul_f64_e32 v[173:174], v[36:37], v[4:5]
	v_mul_f64_e32 v[4:5], v[34:35], v[4:5]
	s_delay_alu instid0(VALU_DEP_2) | instskip(NEXT) | instid1(VALU_DEP_2)
	v_fma_f64 v[179:180], v[34:35], v[2:3], -v[173:174]
	v_fma_f64 v[181:182], v[36:37], v[2:3], v[4:5]
	ds_load_b128 v[2:5], v1 offset:1584
	s_wait_loadcnt_dscnt 0x901
	v_mul_f64_e32 v[177:178], v[165:166], v[8:9]
	v_mul_f64_e32 v[8:9], v[167:168], v[8:9]
	scratch_load_b128 v[34:37], off, off offset:784
	ds_load_b128 v[173:176], v1 offset:1600
	s_wait_loadcnt_dscnt 0x901
	v_mul_f64_e32 v[183:184], v[2:3], v[12:13]
	v_mul_f64_e32 v[12:13], v[4:5], v[12:13]
	v_fma_f64 v[167:168], v[167:168], v[6:7], v[177:178]
	v_fma_f64 v[165:166], v[165:166], v[6:7], -v[8:9]
	v_add_f64_e32 v[177:178], 0, v[179:180]
	v_add_f64_e32 v[179:180], 0, v[181:182]
	scratch_load_b128 v[6:9], off, off offset:800
	v_fma_f64 v[183:184], v[4:5], v[10:11], v[183:184]
	v_fma_f64 v[185:186], v[2:3], v[10:11], -v[12:13]
	ds_load_b128 v[2:5], v1 offset:1616
	s_wait_loadcnt_dscnt 0x901
	v_mul_f64_e32 v[181:182], v[173:174], v[16:17]
	v_mul_f64_e32 v[16:17], v[175:176], v[16:17]
	scratch_load_b128 v[10:13], off, off offset:816
	v_add_f64_e32 v[177:178], v[177:178], v[165:166]
	v_add_f64_e32 v[179:180], v[179:180], v[167:168]
	s_wait_loadcnt_dscnt 0x900
	v_mul_f64_e32 v[187:188], v[2:3], v[20:21]
	v_mul_f64_e32 v[20:21], v[4:5], v[20:21]
	ds_load_b128 v[165:168], v1 offset:1632
	v_fma_f64 v[175:176], v[175:176], v[14:15], v[181:182]
	v_fma_f64 v[173:174], v[173:174], v[14:15], -v[16:17]
	scratch_load_b128 v[14:17], off, off offset:832
	v_add_f64_e32 v[177:178], v[177:178], v[185:186]
	v_add_f64_e32 v[179:180], v[179:180], v[183:184]
	v_fma_f64 v[183:184], v[4:5], v[18:19], v[187:188]
	v_fma_f64 v[185:186], v[2:3], v[18:19], -v[20:21]
	ds_load_b128 v[2:5], v1 offset:1648
	s_wait_loadcnt_dscnt 0x901
	v_mul_f64_e32 v[181:182], v[165:166], v[24:25]
	v_mul_f64_e32 v[24:25], v[167:168], v[24:25]
	scratch_load_b128 v[18:21], off, off offset:848
	s_wait_loadcnt_dscnt 0x900
	v_mul_f64_e32 v[187:188], v[2:3], v[28:29]
	v_mul_f64_e32 v[28:29], v[4:5], v[28:29]
	v_add_f64_e32 v[177:178], v[177:178], v[173:174]
	v_add_f64_e32 v[179:180], v[179:180], v[175:176]
	ds_load_b128 v[173:176], v1 offset:1664
	v_fma_f64 v[167:168], v[167:168], v[22:23], v[181:182]
	v_fma_f64 v[165:166], v[165:166], v[22:23], -v[24:25]
	scratch_load_b128 v[22:25], off, off offset:864
	v_add_f64_e32 v[177:178], v[177:178], v[185:186]
	v_add_f64_e32 v[179:180], v[179:180], v[183:184]
	v_fma_f64 v[183:184], v[4:5], v[26:27], v[187:188]
	v_fma_f64 v[185:186], v[2:3], v[26:27], -v[28:29]
	ds_load_b128 v[2:5], v1 offset:1680
	s_wait_loadcnt_dscnt 0x901
	v_mul_f64_e32 v[181:182], v[173:174], v[32:33]
	v_mul_f64_e32 v[32:33], v[175:176], v[32:33]
	scratch_load_b128 v[26:29], off, off offset:880
	s_wait_loadcnt_dscnt 0x900
	v_mul_f64_e32 v[187:188], v[2:3], v[40:41]
	v_mul_f64_e32 v[40:41], v[4:5], v[40:41]
	v_add_f64_e32 v[177:178], v[177:178], v[165:166]
	v_add_f64_e32 v[179:180], v[179:180], v[167:168]
	ds_load_b128 v[165:168], v1 offset:1696
	v_fma_f64 v[175:176], v[175:176], v[30:31], v[181:182]
	v_fma_f64 v[173:174], v[173:174], v[30:31], -v[32:33]
	scratch_load_b128 v[30:33], off, off offset:896
	v_add_f64_e32 v[177:178], v[177:178], v[185:186]
	v_add_f64_e32 v[179:180], v[179:180], v[183:184]
	v_fma_f64 v[185:186], v[4:5], v[38:39], v[187:188]
	v_fma_f64 v[187:188], v[2:3], v[38:39], -v[40:41]
	ds_load_b128 v[2:5], v1 offset:1712
	s_wait_loadcnt_dscnt 0x801
	v_mul_f64_e32 v[181:182], v[165:166], v[171:172]
	v_mul_f64_e32 v[183:184], v[167:168], v[171:172]
	scratch_load_b128 v[38:41], off, off offset:912
	v_add_f64_e32 v[177:178], v[177:178], v[173:174]
	v_add_f64_e32 v[175:176], v[179:180], v[175:176]
	ds_load_b128 v[171:174], v1 offset:1728
	v_fma_f64 v[181:182], v[167:168], v[169:170], v[181:182]
	v_fma_f64 v[169:170], v[165:166], v[169:170], -v[183:184]
	scratch_load_b128 v[165:168], off, off offset:928
	s_wait_loadcnt_dscnt 0x901
	v_mul_f64_e32 v[179:180], v[2:3], v[36:37]
	v_mul_f64_e32 v[36:37], v[4:5], v[36:37]
	v_add_f64_e32 v[177:178], v[177:178], v[187:188]
	v_add_f64_e32 v[175:176], v[175:176], v[185:186]
	s_delay_alu instid0(VALU_DEP_4) | instskip(NEXT) | instid1(VALU_DEP_4)
	v_fma_f64 v[179:180], v[4:5], v[34:35], v[179:180]
	v_fma_f64 v[185:186], v[2:3], v[34:35], -v[36:37]
	ds_load_b128 v[2:5], v1 offset:1744
	s_wait_loadcnt_dscnt 0x801
	v_mul_f64_e32 v[183:184], v[171:172], v[8:9]
	v_mul_f64_e32 v[8:9], v[173:174], v[8:9]
	scratch_load_b128 v[34:37], off, off offset:944
	s_wait_loadcnt_dscnt 0x800
	v_mul_f64_e32 v[187:188], v[2:3], v[12:13]
	v_add_f64_e32 v[169:170], v[177:178], v[169:170]
	v_add_f64_e32 v[181:182], v[175:176], v[181:182]
	v_mul_f64_e32 v[12:13], v[4:5], v[12:13]
	ds_load_b128 v[175:178], v1 offset:1760
	v_fma_f64 v[173:174], v[173:174], v[6:7], v[183:184]
	v_fma_f64 v[6:7], v[171:172], v[6:7], -v[8:9]
	s_wait_loadcnt_dscnt 0x700
	v_mul_f64_e32 v[171:172], v[175:176], v[16:17]
	v_add_f64_e32 v[8:9], v[169:170], v[185:186]
	v_add_f64_e32 v[169:170], v[181:182], v[179:180]
	v_mul_f64_e32 v[16:17], v[177:178], v[16:17]
	v_fma_f64 v[179:180], v[4:5], v[10:11], v[187:188]
	v_fma_f64 v[10:11], v[2:3], v[10:11], -v[12:13]
	v_fma_f64 v[171:172], v[177:178], v[14:15], v[171:172]
	v_add_f64_e32 v[12:13], v[8:9], v[6:7]
	v_add_f64_e32 v[169:170], v[169:170], v[173:174]
	ds_load_b128 v[2:5], v1 offset:1776
	ds_load_b128 v[6:9], v1 offset:1792
	v_fma_f64 v[14:15], v[175:176], v[14:15], -v[16:17]
	s_wait_loadcnt_dscnt 0x601
	v_mul_f64_e32 v[173:174], v[2:3], v[20:21]
	v_mul_f64_e32 v[20:21], v[4:5], v[20:21]
	s_wait_loadcnt_dscnt 0x500
	v_mul_f64_e32 v[16:17], v[6:7], v[24:25]
	v_mul_f64_e32 v[24:25], v[8:9], v[24:25]
	v_add_f64_e32 v[10:11], v[12:13], v[10:11]
	v_add_f64_e32 v[12:13], v[169:170], v[179:180]
	v_fma_f64 v[169:170], v[4:5], v[18:19], v[173:174]
	v_fma_f64 v[18:19], v[2:3], v[18:19], -v[20:21]
	v_fma_f64 v[8:9], v[8:9], v[22:23], v[16:17]
	v_fma_f64 v[6:7], v[6:7], v[22:23], -v[24:25]
	v_add_f64_e32 v[14:15], v[10:11], v[14:15]
	v_add_f64_e32 v[20:21], v[12:13], v[171:172]
	ds_load_b128 v[2:5], v1 offset:1808
	ds_load_b128 v[10:13], v1 offset:1824
	s_wait_loadcnt_dscnt 0x401
	v_mul_f64_e32 v[171:172], v[2:3], v[28:29]
	v_mul_f64_e32 v[28:29], v[4:5], v[28:29]
	v_add_f64_e32 v[14:15], v[14:15], v[18:19]
	v_add_f64_e32 v[16:17], v[20:21], v[169:170]
	s_wait_loadcnt_dscnt 0x300
	v_mul_f64_e32 v[18:19], v[10:11], v[32:33]
	v_mul_f64_e32 v[20:21], v[12:13], v[32:33]
	v_fma_f64 v[22:23], v[4:5], v[26:27], v[171:172]
	v_fma_f64 v[24:25], v[2:3], v[26:27], -v[28:29]
	v_add_f64_e32 v[14:15], v[14:15], v[6:7]
	v_add_f64_e32 v[16:17], v[16:17], v[8:9]
	ds_load_b128 v[2:5], v1 offset:1840
	ds_load_b128 v[6:9], v1 offset:1856
	v_fma_f64 v[12:13], v[12:13], v[30:31], v[18:19]
	v_fma_f64 v[10:11], v[10:11], v[30:31], -v[20:21]
	s_wait_loadcnt_dscnt 0x201
	v_mul_f64_e32 v[26:27], v[2:3], v[40:41]
	v_mul_f64_e32 v[28:29], v[4:5], v[40:41]
	s_wait_loadcnt_dscnt 0x100
	v_mul_f64_e32 v[18:19], v[6:7], v[167:168]
	v_mul_f64_e32 v[20:21], v[8:9], v[167:168]
	v_add_f64_e32 v[14:15], v[14:15], v[24:25]
	v_add_f64_e32 v[16:17], v[16:17], v[22:23]
	v_fma_f64 v[22:23], v[4:5], v[38:39], v[26:27]
	v_fma_f64 v[24:25], v[2:3], v[38:39], -v[28:29]
	ds_load_b128 v[2:5], v1 offset:1872
	v_fma_f64 v[8:9], v[8:9], v[165:166], v[18:19]
	v_fma_f64 v[6:7], v[6:7], v[165:166], -v[20:21]
	v_add_f64_e32 v[10:11], v[14:15], v[10:11]
	v_add_f64_e32 v[12:13], v[16:17], v[12:13]
	s_wait_loadcnt_dscnt 0x0
	v_mul_f64_e32 v[14:15], v[2:3], v[36:37]
	v_mul_f64_e32 v[16:17], v[4:5], v[36:37]
	s_delay_alu instid0(VALU_DEP_4) | instskip(NEXT) | instid1(VALU_DEP_4)
	v_add_f64_e32 v[10:11], v[10:11], v[24:25]
	v_add_f64_e32 v[12:13], v[12:13], v[22:23]
	s_delay_alu instid0(VALU_DEP_4) | instskip(NEXT) | instid1(VALU_DEP_4)
	v_fma_f64 v[4:5], v[4:5], v[34:35], v[14:15]
	v_fma_f64 v[2:3], v[2:3], v[34:35], -v[16:17]
	s_delay_alu instid0(VALU_DEP_4) | instskip(NEXT) | instid1(VALU_DEP_4)
	v_add_f64_e32 v[6:7], v[10:11], v[6:7]
	v_add_f64_e32 v[8:9], v[12:13], v[8:9]
	s_delay_alu instid0(VALU_DEP_2) | instskip(NEXT) | instid1(VALU_DEP_2)
	v_add_f64_e32 v[2:3], v[6:7], v[2:3]
	v_add_f64_e32 v[4:5], v[8:9], v[4:5]
	s_delay_alu instid0(VALU_DEP_2) | instskip(NEXT) | instid1(VALU_DEP_2)
	v_add_f64_e64 v[2:3], v[42:43], -v[2:3]
	v_add_f64_e64 v[4:5], v[44:45], -v[4:5]
	scratch_store_b128 off, v[2:5], off offset:608
	v_cmpx_lt_u32_e32 36, v0
	s_cbranch_execz .LBB122_295
; %bb.294:
	scratch_load_b128 v[5:8], off, s36
	v_dual_mov_b32 v2, v1 :: v_dual_mov_b32 v3, v1
	v_mov_b32_e32 v4, v1
	scratch_store_b128 off, v[1:4], off offset:592
	s_wait_loadcnt 0x0
	ds_store_b128 v164, v[5:8]
.LBB122_295:
	s_wait_alu 0xfffe
	s_or_b32 exec_lo, exec_lo, s0
	s_wait_storecnt_dscnt 0x0
	s_barrier_signal -1
	s_barrier_wait -1
	global_inv scope:SCOPE_SE
	s_clause 0x8
	scratch_load_b128 v[2:5], off, off offset:608
	scratch_load_b128 v[6:9], off, off offset:624
	;; [unrolled: 1-line block ×9, first 2 shown]
	ds_load_b128 v[38:41], v1 offset:1536
	ds_load_b128 v[42:45], v1 offset:1552
	s_clause 0x1
	scratch_load_b128 v[165:168], off, off offset:592
	scratch_load_b128 v[169:172], off, off offset:752
	s_mov_b32 s0, exec_lo
	s_wait_loadcnt_dscnt 0xa01
	v_mul_f64_e32 v[173:174], v[40:41], v[4:5]
	v_mul_f64_e32 v[4:5], v[38:39], v[4:5]
	s_wait_loadcnt_dscnt 0x900
	v_mul_f64_e32 v[177:178], v[42:43], v[8:9]
	v_mul_f64_e32 v[8:9], v[44:45], v[8:9]
	s_delay_alu instid0(VALU_DEP_4) | instskip(NEXT) | instid1(VALU_DEP_4)
	v_fma_f64 v[179:180], v[38:39], v[2:3], -v[173:174]
	v_fma_f64 v[181:182], v[40:41], v[2:3], v[4:5]
	ds_load_b128 v[2:5], v1 offset:1568
	ds_load_b128 v[173:176], v1 offset:1584
	scratch_load_b128 v[38:41], off, off offset:768
	v_fma_f64 v[44:45], v[44:45], v[6:7], v[177:178]
	v_fma_f64 v[42:43], v[42:43], v[6:7], -v[8:9]
	scratch_load_b128 v[6:9], off, off offset:784
	s_wait_loadcnt_dscnt 0xa01
	v_mul_f64_e32 v[183:184], v[2:3], v[12:13]
	v_mul_f64_e32 v[12:13], v[4:5], v[12:13]
	v_add_f64_e32 v[177:178], 0, v[179:180]
	v_add_f64_e32 v[179:180], 0, v[181:182]
	s_wait_loadcnt_dscnt 0x900
	v_mul_f64_e32 v[181:182], v[173:174], v[16:17]
	v_mul_f64_e32 v[16:17], v[175:176], v[16:17]
	v_fma_f64 v[183:184], v[4:5], v[10:11], v[183:184]
	v_fma_f64 v[185:186], v[2:3], v[10:11], -v[12:13]
	ds_load_b128 v[2:5], v1 offset:1600
	scratch_load_b128 v[10:13], off, off offset:800
	v_add_f64_e32 v[177:178], v[177:178], v[42:43]
	v_add_f64_e32 v[179:180], v[179:180], v[44:45]
	ds_load_b128 v[42:45], v1 offset:1616
	v_fma_f64 v[175:176], v[175:176], v[14:15], v[181:182]
	v_fma_f64 v[173:174], v[173:174], v[14:15], -v[16:17]
	scratch_load_b128 v[14:17], off, off offset:816
	s_wait_loadcnt_dscnt 0xa01
	v_mul_f64_e32 v[187:188], v[2:3], v[20:21]
	v_mul_f64_e32 v[20:21], v[4:5], v[20:21]
	s_wait_loadcnt_dscnt 0x900
	v_mul_f64_e32 v[181:182], v[42:43], v[24:25]
	v_mul_f64_e32 v[24:25], v[44:45], v[24:25]
	v_add_f64_e32 v[177:178], v[177:178], v[185:186]
	v_add_f64_e32 v[179:180], v[179:180], v[183:184]
	v_fma_f64 v[183:184], v[4:5], v[18:19], v[187:188]
	v_fma_f64 v[185:186], v[2:3], v[18:19], -v[20:21]
	ds_load_b128 v[2:5], v1 offset:1632
	scratch_load_b128 v[18:21], off, off offset:832
	v_fma_f64 v[44:45], v[44:45], v[22:23], v[181:182]
	v_fma_f64 v[42:43], v[42:43], v[22:23], -v[24:25]
	scratch_load_b128 v[22:25], off, off offset:848
	v_add_f64_e32 v[177:178], v[177:178], v[173:174]
	v_add_f64_e32 v[179:180], v[179:180], v[175:176]
	ds_load_b128 v[173:176], v1 offset:1648
	s_wait_loadcnt_dscnt 0xa01
	v_mul_f64_e32 v[187:188], v[2:3], v[28:29]
	v_mul_f64_e32 v[28:29], v[4:5], v[28:29]
	s_wait_loadcnt_dscnt 0x900
	v_mul_f64_e32 v[181:182], v[173:174], v[32:33]
	v_mul_f64_e32 v[32:33], v[175:176], v[32:33]
	v_add_f64_e32 v[177:178], v[177:178], v[185:186]
	v_add_f64_e32 v[179:180], v[179:180], v[183:184]
	v_fma_f64 v[183:184], v[4:5], v[26:27], v[187:188]
	v_fma_f64 v[185:186], v[2:3], v[26:27], -v[28:29]
	ds_load_b128 v[2:5], v1 offset:1664
	scratch_load_b128 v[26:29], off, off offset:864
	v_fma_f64 v[175:176], v[175:176], v[30:31], v[181:182]
	v_fma_f64 v[173:174], v[173:174], v[30:31], -v[32:33]
	scratch_load_b128 v[30:33], off, off offset:880
	v_add_f64_e32 v[177:178], v[177:178], v[42:43]
	v_add_f64_e32 v[179:180], v[179:180], v[44:45]
	ds_load_b128 v[42:45], v1 offset:1680
	s_wait_loadcnt_dscnt 0xa01
	v_mul_f64_e32 v[187:188], v[2:3], v[36:37]
	v_mul_f64_e32 v[36:37], v[4:5], v[36:37]
	s_wait_loadcnt_dscnt 0x800
	v_mul_f64_e32 v[181:182], v[42:43], v[171:172]
	v_add_f64_e32 v[177:178], v[177:178], v[185:186]
	v_add_f64_e32 v[179:180], v[179:180], v[183:184]
	v_mul_f64_e32 v[183:184], v[44:45], v[171:172]
	v_fma_f64 v[185:186], v[4:5], v[34:35], v[187:188]
	v_fma_f64 v[187:188], v[2:3], v[34:35], -v[36:37]
	ds_load_b128 v[2:5], v1 offset:1696
	scratch_load_b128 v[34:37], off, off offset:896
	v_fma_f64 v[44:45], v[44:45], v[169:170], v[181:182]
	v_add_f64_e32 v[177:178], v[177:178], v[173:174]
	v_add_f64_e32 v[175:176], v[179:180], v[175:176]
	ds_load_b128 v[171:174], v1 offset:1712
	v_fma_f64 v[169:170], v[42:43], v[169:170], -v[183:184]
	s_wait_loadcnt_dscnt 0x801
	v_mul_f64_e32 v[179:180], v[2:3], v[40:41]
	v_mul_f64_e32 v[189:190], v[4:5], v[40:41]
	scratch_load_b128 v[40:43], off, off offset:912
	s_wait_loadcnt_dscnt 0x800
	v_mul_f64_e32 v[183:184], v[171:172], v[8:9]
	v_mul_f64_e32 v[8:9], v[173:174], v[8:9]
	v_add_f64_e32 v[177:178], v[177:178], v[187:188]
	v_add_f64_e32 v[175:176], v[175:176], v[185:186]
	v_fma_f64 v[185:186], v[4:5], v[38:39], v[179:180]
	v_fma_f64 v[38:39], v[2:3], v[38:39], -v[189:190]
	ds_load_b128 v[2:5], v1 offset:1728
	ds_load_b128 v[179:182], v1 offset:1744
	v_fma_f64 v[173:174], v[173:174], v[6:7], v[183:184]
	v_fma_f64 v[171:172], v[171:172], v[6:7], -v[8:9]
	scratch_load_b128 v[6:9], off, off offset:944
	v_add_f64_e32 v[169:170], v[177:178], v[169:170]
	v_add_f64_e32 v[44:45], v[175:176], v[44:45]
	scratch_load_b128 v[175:178], off, off offset:928
	s_wait_loadcnt_dscnt 0x901
	v_mul_f64_e32 v[187:188], v[2:3], v[12:13]
	v_mul_f64_e32 v[12:13], v[4:5], v[12:13]
	v_add_f64_e32 v[38:39], v[169:170], v[38:39]
	v_add_f64_e32 v[44:45], v[44:45], v[185:186]
	s_wait_loadcnt_dscnt 0x800
	v_mul_f64_e32 v[169:170], v[179:180], v[16:17]
	v_mul_f64_e32 v[16:17], v[181:182], v[16:17]
	v_fma_f64 v[183:184], v[4:5], v[10:11], v[187:188]
	v_fma_f64 v[185:186], v[2:3], v[10:11], -v[12:13]
	ds_load_b128 v[2:5], v1 offset:1760
	ds_load_b128 v[10:13], v1 offset:1776
	v_add_f64_e32 v[38:39], v[38:39], v[171:172]
	v_add_f64_e32 v[44:45], v[44:45], v[173:174]
	s_wait_loadcnt_dscnt 0x701
	v_mul_f64_e32 v[171:172], v[2:3], v[20:21]
	v_mul_f64_e32 v[20:21], v[4:5], v[20:21]
	v_fma_f64 v[169:170], v[181:182], v[14:15], v[169:170]
	v_fma_f64 v[14:15], v[179:180], v[14:15], -v[16:17]
	v_add_f64_e32 v[16:17], v[38:39], v[185:186]
	v_add_f64_e32 v[38:39], v[44:45], v[183:184]
	s_wait_loadcnt_dscnt 0x600
	v_mul_f64_e32 v[44:45], v[10:11], v[24:25]
	v_mul_f64_e32 v[24:25], v[12:13], v[24:25]
	v_fma_f64 v[171:172], v[4:5], v[18:19], v[171:172]
	v_fma_f64 v[18:19], v[2:3], v[18:19], -v[20:21]
	v_add_f64_e32 v[20:21], v[16:17], v[14:15]
	v_add_f64_e32 v[38:39], v[38:39], v[169:170]
	ds_load_b128 v[2:5], v1 offset:1792
	ds_load_b128 v[14:17], v1 offset:1808
	v_fma_f64 v[12:13], v[12:13], v[22:23], v[44:45]
	v_fma_f64 v[10:11], v[10:11], v[22:23], -v[24:25]
	s_wait_loadcnt_dscnt 0x501
	v_mul_f64_e32 v[169:170], v[2:3], v[28:29]
	v_mul_f64_e32 v[28:29], v[4:5], v[28:29]
	s_wait_loadcnt_dscnt 0x400
	v_mul_f64_e32 v[22:23], v[14:15], v[32:33]
	v_mul_f64_e32 v[24:25], v[16:17], v[32:33]
	v_add_f64_e32 v[18:19], v[20:21], v[18:19]
	v_add_f64_e32 v[20:21], v[38:39], v[171:172]
	v_fma_f64 v[32:33], v[4:5], v[26:27], v[169:170]
	v_fma_f64 v[26:27], v[2:3], v[26:27], -v[28:29]
	v_fma_f64 v[16:17], v[16:17], v[30:31], v[22:23]
	v_fma_f64 v[14:15], v[14:15], v[30:31], -v[24:25]
	v_add_f64_e32 v[18:19], v[18:19], v[10:11]
	v_add_f64_e32 v[20:21], v[20:21], v[12:13]
	ds_load_b128 v[2:5], v1 offset:1824
	ds_load_b128 v[10:13], v1 offset:1840
	s_wait_loadcnt_dscnt 0x301
	v_mul_f64_e32 v[28:29], v[2:3], v[36:37]
	v_mul_f64_e32 v[36:37], v[4:5], v[36:37]
	s_wait_loadcnt_dscnt 0x200
	v_mul_f64_e32 v[22:23], v[10:11], v[42:43]
	v_add_f64_e32 v[18:19], v[18:19], v[26:27]
	v_add_f64_e32 v[20:21], v[20:21], v[32:33]
	v_mul_f64_e32 v[24:25], v[12:13], v[42:43]
	v_fma_f64 v[26:27], v[4:5], v[34:35], v[28:29]
	v_fma_f64 v[28:29], v[2:3], v[34:35], -v[36:37]
	v_fma_f64 v[12:13], v[12:13], v[40:41], v[22:23]
	v_add_f64_e32 v[18:19], v[18:19], v[14:15]
	v_add_f64_e32 v[20:21], v[20:21], v[16:17]
	ds_load_b128 v[2:5], v1 offset:1856
	ds_load_b128 v[14:17], v1 offset:1872
	v_fma_f64 v[10:11], v[10:11], v[40:41], -v[24:25]
	s_wait_loadcnt_dscnt 0x1
	v_mul_f64_e32 v[30:31], v[2:3], v[177:178]
	v_mul_f64_e32 v[32:33], v[4:5], v[177:178]
	s_wait_dscnt 0x0
	v_mul_f64_e32 v[22:23], v[14:15], v[8:9]
	v_mul_f64_e32 v[8:9], v[16:17], v[8:9]
	v_add_f64_e32 v[18:19], v[18:19], v[28:29]
	v_add_f64_e32 v[20:21], v[20:21], v[26:27]
	v_fma_f64 v[4:5], v[4:5], v[175:176], v[30:31]
	v_fma_f64 v[1:2], v[2:3], v[175:176], -v[32:33]
	v_fma_f64 v[16:17], v[16:17], v[6:7], v[22:23]
	v_fma_f64 v[6:7], v[14:15], v[6:7], -v[8:9]
	v_add_f64_e32 v[10:11], v[18:19], v[10:11]
	v_add_f64_e32 v[12:13], v[20:21], v[12:13]
	s_delay_alu instid0(VALU_DEP_2) | instskip(NEXT) | instid1(VALU_DEP_2)
	v_add_f64_e32 v[1:2], v[10:11], v[1:2]
	v_add_f64_e32 v[3:4], v[12:13], v[4:5]
	s_delay_alu instid0(VALU_DEP_2) | instskip(NEXT) | instid1(VALU_DEP_2)
	v_add_f64_e32 v[1:2], v[1:2], v[6:7]
	v_add_f64_e32 v[3:4], v[3:4], v[16:17]
	s_delay_alu instid0(VALU_DEP_2) | instskip(NEXT) | instid1(VALU_DEP_2)
	v_add_f64_e64 v[1:2], v[165:166], -v[1:2]
	v_add_f64_e64 v[3:4], v[167:168], -v[3:4]
	scratch_store_b128 off, v[1:4], off offset:592
	v_cmpx_lt_u32_e32 35, v0
	s_cbranch_execz .LBB122_297
; %bb.296:
	scratch_load_b128 v[1:4], off, s37
	v_mov_b32_e32 v5, 0
	s_delay_alu instid0(VALU_DEP_1)
	v_dual_mov_b32 v6, v5 :: v_dual_mov_b32 v7, v5
	v_mov_b32_e32 v8, v5
	scratch_store_b128 off, v[5:8], off offset:576
	s_wait_loadcnt 0x0
	ds_store_b128 v164, v[1:4]
.LBB122_297:
	s_wait_alu 0xfffe
	s_or_b32 exec_lo, exec_lo, s0
	s_wait_storecnt_dscnt 0x0
	s_barrier_signal -1
	s_barrier_wait -1
	global_inv scope:SCOPE_SE
	s_clause 0x7
	scratch_load_b128 v[2:5], off, off offset:592
	scratch_load_b128 v[6:9], off, off offset:608
	scratch_load_b128 v[10:13], off, off offset:624
	scratch_load_b128 v[14:17], off, off offset:640
	scratch_load_b128 v[18:21], off, off offset:656
	scratch_load_b128 v[22:25], off, off offset:672
	scratch_load_b128 v[26:29], off, off offset:688
	scratch_load_b128 v[30:33], off, off offset:704
	v_mov_b32_e32 v1, 0
	s_mov_b32 s0, exec_lo
	ds_load_b128 v[34:37], v1 offset:1520
	s_clause 0x1
	scratch_load_b128 v[38:41], off, off offset:720
	scratch_load_b128 v[42:45], off, off offset:576
	ds_load_b128 v[165:168], v1 offset:1536
	scratch_load_b128 v[169:172], off, off offset:736
	s_wait_loadcnt_dscnt 0xa01
	v_mul_f64_e32 v[173:174], v[36:37], v[4:5]
	v_mul_f64_e32 v[4:5], v[34:35], v[4:5]
	s_delay_alu instid0(VALU_DEP_2) | instskip(NEXT) | instid1(VALU_DEP_2)
	v_fma_f64 v[179:180], v[34:35], v[2:3], -v[173:174]
	v_fma_f64 v[181:182], v[36:37], v[2:3], v[4:5]
	ds_load_b128 v[2:5], v1 offset:1552
	s_wait_loadcnt_dscnt 0x901
	v_mul_f64_e32 v[177:178], v[165:166], v[8:9]
	v_mul_f64_e32 v[8:9], v[167:168], v[8:9]
	scratch_load_b128 v[34:37], off, off offset:752
	ds_load_b128 v[173:176], v1 offset:1568
	s_wait_loadcnt_dscnt 0x901
	v_mul_f64_e32 v[183:184], v[2:3], v[12:13]
	v_mul_f64_e32 v[12:13], v[4:5], v[12:13]
	v_fma_f64 v[167:168], v[167:168], v[6:7], v[177:178]
	v_fma_f64 v[165:166], v[165:166], v[6:7], -v[8:9]
	v_add_f64_e32 v[177:178], 0, v[179:180]
	v_add_f64_e32 v[179:180], 0, v[181:182]
	scratch_load_b128 v[6:9], off, off offset:768
	v_fma_f64 v[183:184], v[4:5], v[10:11], v[183:184]
	v_fma_f64 v[185:186], v[2:3], v[10:11], -v[12:13]
	ds_load_b128 v[2:5], v1 offset:1584
	s_wait_loadcnt_dscnt 0x901
	v_mul_f64_e32 v[181:182], v[173:174], v[16:17]
	v_mul_f64_e32 v[16:17], v[175:176], v[16:17]
	scratch_load_b128 v[10:13], off, off offset:784
	v_add_f64_e32 v[177:178], v[177:178], v[165:166]
	v_add_f64_e32 v[179:180], v[179:180], v[167:168]
	s_wait_loadcnt_dscnt 0x900
	v_mul_f64_e32 v[187:188], v[2:3], v[20:21]
	v_mul_f64_e32 v[20:21], v[4:5], v[20:21]
	ds_load_b128 v[165:168], v1 offset:1600
	v_fma_f64 v[175:176], v[175:176], v[14:15], v[181:182]
	v_fma_f64 v[173:174], v[173:174], v[14:15], -v[16:17]
	scratch_load_b128 v[14:17], off, off offset:800
	v_add_f64_e32 v[177:178], v[177:178], v[185:186]
	v_add_f64_e32 v[179:180], v[179:180], v[183:184]
	v_fma_f64 v[183:184], v[4:5], v[18:19], v[187:188]
	v_fma_f64 v[185:186], v[2:3], v[18:19], -v[20:21]
	ds_load_b128 v[2:5], v1 offset:1616
	s_wait_loadcnt_dscnt 0x901
	v_mul_f64_e32 v[181:182], v[165:166], v[24:25]
	v_mul_f64_e32 v[24:25], v[167:168], v[24:25]
	scratch_load_b128 v[18:21], off, off offset:816
	s_wait_loadcnt_dscnt 0x900
	v_mul_f64_e32 v[187:188], v[2:3], v[28:29]
	v_mul_f64_e32 v[28:29], v[4:5], v[28:29]
	v_add_f64_e32 v[177:178], v[177:178], v[173:174]
	v_add_f64_e32 v[179:180], v[179:180], v[175:176]
	ds_load_b128 v[173:176], v1 offset:1632
	v_fma_f64 v[167:168], v[167:168], v[22:23], v[181:182]
	v_fma_f64 v[165:166], v[165:166], v[22:23], -v[24:25]
	scratch_load_b128 v[22:25], off, off offset:832
	v_add_f64_e32 v[177:178], v[177:178], v[185:186]
	v_add_f64_e32 v[179:180], v[179:180], v[183:184]
	v_fma_f64 v[183:184], v[4:5], v[26:27], v[187:188]
	v_fma_f64 v[185:186], v[2:3], v[26:27], -v[28:29]
	ds_load_b128 v[2:5], v1 offset:1648
	s_wait_loadcnt_dscnt 0x901
	v_mul_f64_e32 v[181:182], v[173:174], v[32:33]
	v_mul_f64_e32 v[32:33], v[175:176], v[32:33]
	scratch_load_b128 v[26:29], off, off offset:848
	s_wait_loadcnt_dscnt 0x900
	v_mul_f64_e32 v[187:188], v[2:3], v[40:41]
	v_mul_f64_e32 v[40:41], v[4:5], v[40:41]
	v_add_f64_e32 v[177:178], v[177:178], v[165:166]
	v_add_f64_e32 v[179:180], v[179:180], v[167:168]
	ds_load_b128 v[165:168], v1 offset:1664
	v_fma_f64 v[175:176], v[175:176], v[30:31], v[181:182]
	v_fma_f64 v[173:174], v[173:174], v[30:31], -v[32:33]
	scratch_load_b128 v[30:33], off, off offset:864
	v_add_f64_e32 v[177:178], v[177:178], v[185:186]
	v_add_f64_e32 v[179:180], v[179:180], v[183:184]
	v_fma_f64 v[185:186], v[4:5], v[38:39], v[187:188]
	v_fma_f64 v[187:188], v[2:3], v[38:39], -v[40:41]
	ds_load_b128 v[2:5], v1 offset:1680
	s_wait_loadcnt_dscnt 0x801
	v_mul_f64_e32 v[181:182], v[165:166], v[171:172]
	v_mul_f64_e32 v[183:184], v[167:168], v[171:172]
	scratch_load_b128 v[38:41], off, off offset:880
	v_add_f64_e32 v[177:178], v[177:178], v[173:174]
	v_add_f64_e32 v[175:176], v[179:180], v[175:176]
	ds_load_b128 v[171:174], v1 offset:1696
	v_fma_f64 v[181:182], v[167:168], v[169:170], v[181:182]
	v_fma_f64 v[169:170], v[165:166], v[169:170], -v[183:184]
	scratch_load_b128 v[165:168], off, off offset:896
	s_wait_loadcnt_dscnt 0x901
	v_mul_f64_e32 v[179:180], v[2:3], v[36:37]
	v_mul_f64_e32 v[36:37], v[4:5], v[36:37]
	v_add_f64_e32 v[177:178], v[177:178], v[187:188]
	v_add_f64_e32 v[175:176], v[175:176], v[185:186]
	s_delay_alu instid0(VALU_DEP_4) | instskip(NEXT) | instid1(VALU_DEP_4)
	v_fma_f64 v[179:180], v[4:5], v[34:35], v[179:180]
	v_fma_f64 v[185:186], v[2:3], v[34:35], -v[36:37]
	ds_load_b128 v[2:5], v1 offset:1712
	s_wait_loadcnt_dscnt 0x801
	v_mul_f64_e32 v[183:184], v[171:172], v[8:9]
	v_mul_f64_e32 v[8:9], v[173:174], v[8:9]
	scratch_load_b128 v[34:37], off, off offset:912
	s_wait_loadcnt_dscnt 0x800
	v_mul_f64_e32 v[187:188], v[2:3], v[12:13]
	v_add_f64_e32 v[169:170], v[177:178], v[169:170]
	v_add_f64_e32 v[181:182], v[175:176], v[181:182]
	v_mul_f64_e32 v[12:13], v[4:5], v[12:13]
	ds_load_b128 v[175:178], v1 offset:1728
	v_fma_f64 v[173:174], v[173:174], v[6:7], v[183:184]
	v_fma_f64 v[171:172], v[171:172], v[6:7], -v[8:9]
	scratch_load_b128 v[6:9], off, off offset:928
	v_fma_f64 v[183:184], v[4:5], v[10:11], v[187:188]
	v_add_f64_e32 v[169:170], v[169:170], v[185:186]
	v_add_f64_e32 v[179:180], v[181:182], v[179:180]
	v_fma_f64 v[185:186], v[2:3], v[10:11], -v[12:13]
	ds_load_b128 v[2:5], v1 offset:1744
	s_wait_loadcnt_dscnt 0x801
	v_mul_f64_e32 v[181:182], v[175:176], v[16:17]
	v_mul_f64_e32 v[16:17], v[177:178], v[16:17]
	scratch_load_b128 v[10:13], off, off offset:944
	v_add_f64_e32 v[187:188], v[169:170], v[171:172]
	v_add_f64_e32 v[173:174], v[179:180], v[173:174]
	s_wait_loadcnt_dscnt 0x800
	v_mul_f64_e32 v[179:180], v[2:3], v[20:21]
	v_mul_f64_e32 v[20:21], v[4:5], v[20:21]
	v_fma_f64 v[177:178], v[177:178], v[14:15], v[181:182]
	v_fma_f64 v[14:15], v[175:176], v[14:15], -v[16:17]
	ds_load_b128 v[169:172], v1 offset:1760
	s_wait_loadcnt_dscnt 0x700
	v_mul_f64_e32 v[175:176], v[169:170], v[24:25]
	v_mul_f64_e32 v[24:25], v[171:172], v[24:25]
	v_add_f64_e32 v[16:17], v[187:188], v[185:186]
	v_add_f64_e32 v[173:174], v[173:174], v[183:184]
	v_fma_f64 v[179:180], v[4:5], v[18:19], v[179:180]
	v_fma_f64 v[18:19], v[2:3], v[18:19], -v[20:21]
	v_fma_f64 v[171:172], v[171:172], v[22:23], v[175:176]
	v_fma_f64 v[22:23], v[169:170], v[22:23], -v[24:25]
	v_add_f64_e32 v[20:21], v[16:17], v[14:15]
	v_add_f64_e32 v[173:174], v[173:174], v[177:178]
	ds_load_b128 v[2:5], v1 offset:1776
	ds_load_b128 v[14:17], v1 offset:1792
	s_wait_loadcnt_dscnt 0x601
	v_mul_f64_e32 v[177:178], v[2:3], v[28:29]
	v_mul_f64_e32 v[28:29], v[4:5], v[28:29]
	s_wait_loadcnt_dscnt 0x500
	v_mul_f64_e32 v[24:25], v[14:15], v[32:33]
	v_mul_f64_e32 v[32:33], v[16:17], v[32:33]
	v_add_f64_e32 v[18:19], v[20:21], v[18:19]
	v_add_f64_e32 v[20:21], v[173:174], v[179:180]
	v_fma_f64 v[169:170], v[4:5], v[26:27], v[177:178]
	v_fma_f64 v[26:27], v[2:3], v[26:27], -v[28:29]
	v_fma_f64 v[16:17], v[16:17], v[30:31], v[24:25]
	v_fma_f64 v[14:15], v[14:15], v[30:31], -v[32:33]
	v_add_f64_e32 v[22:23], v[18:19], v[22:23]
	v_add_f64_e32 v[28:29], v[20:21], v[171:172]
	ds_load_b128 v[2:5], v1 offset:1808
	ds_load_b128 v[18:21], v1 offset:1824
	s_wait_loadcnt_dscnt 0x401
	v_mul_f64_e32 v[171:172], v[2:3], v[40:41]
	v_mul_f64_e32 v[40:41], v[4:5], v[40:41]
	v_add_f64_e32 v[22:23], v[22:23], v[26:27]
	v_add_f64_e32 v[24:25], v[28:29], v[169:170]
	s_wait_loadcnt_dscnt 0x300
	v_mul_f64_e32 v[26:27], v[18:19], v[167:168]
	v_mul_f64_e32 v[28:29], v[20:21], v[167:168]
	v_fma_f64 v[30:31], v[4:5], v[38:39], v[171:172]
	v_fma_f64 v[32:33], v[2:3], v[38:39], -v[40:41]
	v_add_f64_e32 v[22:23], v[22:23], v[14:15]
	v_add_f64_e32 v[24:25], v[24:25], v[16:17]
	ds_load_b128 v[2:5], v1 offset:1840
	ds_load_b128 v[14:17], v1 offset:1856
	v_fma_f64 v[20:21], v[20:21], v[165:166], v[26:27]
	v_fma_f64 v[18:19], v[18:19], v[165:166], -v[28:29]
	s_wait_loadcnt_dscnt 0x201
	v_mul_f64_e32 v[38:39], v[2:3], v[36:37]
	v_mul_f64_e32 v[36:37], v[4:5], v[36:37]
	s_wait_loadcnt_dscnt 0x100
	v_mul_f64_e32 v[26:27], v[14:15], v[8:9]
	v_mul_f64_e32 v[8:9], v[16:17], v[8:9]
	v_add_f64_e32 v[22:23], v[22:23], v[32:33]
	v_add_f64_e32 v[24:25], v[24:25], v[30:31]
	v_fma_f64 v[28:29], v[4:5], v[34:35], v[38:39]
	v_fma_f64 v[30:31], v[2:3], v[34:35], -v[36:37]
	ds_load_b128 v[2:5], v1 offset:1872
	v_fma_f64 v[16:17], v[16:17], v[6:7], v[26:27]
	v_fma_f64 v[6:7], v[14:15], v[6:7], -v[8:9]
	v_add_f64_e32 v[18:19], v[22:23], v[18:19]
	v_add_f64_e32 v[20:21], v[24:25], v[20:21]
	s_wait_loadcnt_dscnt 0x0
	v_mul_f64_e32 v[22:23], v[2:3], v[12:13]
	v_mul_f64_e32 v[12:13], v[4:5], v[12:13]
	s_delay_alu instid0(VALU_DEP_4) | instskip(NEXT) | instid1(VALU_DEP_4)
	v_add_f64_e32 v[8:9], v[18:19], v[30:31]
	v_add_f64_e32 v[14:15], v[20:21], v[28:29]
	s_delay_alu instid0(VALU_DEP_4) | instskip(NEXT) | instid1(VALU_DEP_4)
	v_fma_f64 v[4:5], v[4:5], v[10:11], v[22:23]
	v_fma_f64 v[2:3], v[2:3], v[10:11], -v[12:13]
	s_delay_alu instid0(VALU_DEP_4) | instskip(NEXT) | instid1(VALU_DEP_4)
	v_add_f64_e32 v[6:7], v[8:9], v[6:7]
	v_add_f64_e32 v[8:9], v[14:15], v[16:17]
	s_delay_alu instid0(VALU_DEP_2) | instskip(NEXT) | instid1(VALU_DEP_2)
	v_add_f64_e32 v[2:3], v[6:7], v[2:3]
	v_add_f64_e32 v[4:5], v[8:9], v[4:5]
	s_delay_alu instid0(VALU_DEP_2) | instskip(NEXT) | instid1(VALU_DEP_2)
	v_add_f64_e64 v[2:3], v[42:43], -v[2:3]
	v_add_f64_e64 v[4:5], v[44:45], -v[4:5]
	scratch_store_b128 off, v[2:5], off offset:576
	v_cmpx_lt_u32_e32 34, v0
	s_cbranch_execz .LBB122_299
; %bb.298:
	scratch_load_b128 v[5:8], off, s38
	v_dual_mov_b32 v2, v1 :: v_dual_mov_b32 v3, v1
	v_mov_b32_e32 v4, v1
	scratch_store_b128 off, v[1:4], off offset:560
	s_wait_loadcnt 0x0
	ds_store_b128 v164, v[5:8]
.LBB122_299:
	s_wait_alu 0xfffe
	s_or_b32 exec_lo, exec_lo, s0
	s_wait_storecnt_dscnt 0x0
	s_barrier_signal -1
	s_barrier_wait -1
	global_inv scope:SCOPE_SE
	s_clause 0x8
	scratch_load_b128 v[2:5], off, off offset:576
	scratch_load_b128 v[6:9], off, off offset:592
	;; [unrolled: 1-line block ×9, first 2 shown]
	ds_load_b128 v[38:41], v1 offset:1504
	ds_load_b128 v[42:45], v1 offset:1520
	s_clause 0x1
	scratch_load_b128 v[165:168], off, off offset:560
	scratch_load_b128 v[169:172], off, off offset:720
	s_mov_b32 s0, exec_lo
	s_wait_loadcnt_dscnt 0xa01
	v_mul_f64_e32 v[173:174], v[40:41], v[4:5]
	v_mul_f64_e32 v[4:5], v[38:39], v[4:5]
	s_wait_loadcnt_dscnt 0x900
	v_mul_f64_e32 v[177:178], v[42:43], v[8:9]
	v_mul_f64_e32 v[8:9], v[44:45], v[8:9]
	s_delay_alu instid0(VALU_DEP_4) | instskip(NEXT) | instid1(VALU_DEP_4)
	v_fma_f64 v[179:180], v[38:39], v[2:3], -v[173:174]
	v_fma_f64 v[181:182], v[40:41], v[2:3], v[4:5]
	ds_load_b128 v[2:5], v1 offset:1536
	ds_load_b128 v[173:176], v1 offset:1552
	scratch_load_b128 v[38:41], off, off offset:736
	v_fma_f64 v[44:45], v[44:45], v[6:7], v[177:178]
	v_fma_f64 v[42:43], v[42:43], v[6:7], -v[8:9]
	scratch_load_b128 v[6:9], off, off offset:752
	s_wait_loadcnt_dscnt 0xa01
	v_mul_f64_e32 v[183:184], v[2:3], v[12:13]
	v_mul_f64_e32 v[12:13], v[4:5], v[12:13]
	v_add_f64_e32 v[177:178], 0, v[179:180]
	v_add_f64_e32 v[179:180], 0, v[181:182]
	s_wait_loadcnt_dscnt 0x900
	v_mul_f64_e32 v[181:182], v[173:174], v[16:17]
	v_mul_f64_e32 v[16:17], v[175:176], v[16:17]
	v_fma_f64 v[183:184], v[4:5], v[10:11], v[183:184]
	v_fma_f64 v[185:186], v[2:3], v[10:11], -v[12:13]
	ds_load_b128 v[2:5], v1 offset:1568
	scratch_load_b128 v[10:13], off, off offset:768
	v_add_f64_e32 v[177:178], v[177:178], v[42:43]
	v_add_f64_e32 v[179:180], v[179:180], v[44:45]
	ds_load_b128 v[42:45], v1 offset:1584
	v_fma_f64 v[175:176], v[175:176], v[14:15], v[181:182]
	v_fma_f64 v[173:174], v[173:174], v[14:15], -v[16:17]
	scratch_load_b128 v[14:17], off, off offset:784
	s_wait_loadcnt_dscnt 0xa01
	v_mul_f64_e32 v[187:188], v[2:3], v[20:21]
	v_mul_f64_e32 v[20:21], v[4:5], v[20:21]
	s_wait_loadcnt_dscnt 0x900
	v_mul_f64_e32 v[181:182], v[42:43], v[24:25]
	v_mul_f64_e32 v[24:25], v[44:45], v[24:25]
	v_add_f64_e32 v[177:178], v[177:178], v[185:186]
	v_add_f64_e32 v[179:180], v[179:180], v[183:184]
	v_fma_f64 v[183:184], v[4:5], v[18:19], v[187:188]
	v_fma_f64 v[185:186], v[2:3], v[18:19], -v[20:21]
	ds_load_b128 v[2:5], v1 offset:1600
	scratch_load_b128 v[18:21], off, off offset:800
	v_fma_f64 v[44:45], v[44:45], v[22:23], v[181:182]
	v_fma_f64 v[42:43], v[42:43], v[22:23], -v[24:25]
	scratch_load_b128 v[22:25], off, off offset:816
	v_add_f64_e32 v[177:178], v[177:178], v[173:174]
	v_add_f64_e32 v[179:180], v[179:180], v[175:176]
	ds_load_b128 v[173:176], v1 offset:1616
	s_wait_loadcnt_dscnt 0xa01
	v_mul_f64_e32 v[187:188], v[2:3], v[28:29]
	v_mul_f64_e32 v[28:29], v[4:5], v[28:29]
	s_wait_loadcnt_dscnt 0x900
	v_mul_f64_e32 v[181:182], v[173:174], v[32:33]
	v_mul_f64_e32 v[32:33], v[175:176], v[32:33]
	v_add_f64_e32 v[177:178], v[177:178], v[185:186]
	v_add_f64_e32 v[179:180], v[179:180], v[183:184]
	v_fma_f64 v[183:184], v[4:5], v[26:27], v[187:188]
	v_fma_f64 v[185:186], v[2:3], v[26:27], -v[28:29]
	ds_load_b128 v[2:5], v1 offset:1632
	scratch_load_b128 v[26:29], off, off offset:832
	v_fma_f64 v[175:176], v[175:176], v[30:31], v[181:182]
	v_fma_f64 v[173:174], v[173:174], v[30:31], -v[32:33]
	scratch_load_b128 v[30:33], off, off offset:848
	v_add_f64_e32 v[177:178], v[177:178], v[42:43]
	v_add_f64_e32 v[179:180], v[179:180], v[44:45]
	ds_load_b128 v[42:45], v1 offset:1648
	s_wait_loadcnt_dscnt 0xa01
	v_mul_f64_e32 v[187:188], v[2:3], v[36:37]
	v_mul_f64_e32 v[36:37], v[4:5], v[36:37]
	s_wait_loadcnt_dscnt 0x800
	v_mul_f64_e32 v[181:182], v[42:43], v[171:172]
	v_add_f64_e32 v[177:178], v[177:178], v[185:186]
	v_add_f64_e32 v[179:180], v[179:180], v[183:184]
	v_mul_f64_e32 v[183:184], v[44:45], v[171:172]
	v_fma_f64 v[185:186], v[4:5], v[34:35], v[187:188]
	v_fma_f64 v[187:188], v[2:3], v[34:35], -v[36:37]
	ds_load_b128 v[2:5], v1 offset:1664
	scratch_load_b128 v[34:37], off, off offset:864
	v_fma_f64 v[44:45], v[44:45], v[169:170], v[181:182]
	v_add_f64_e32 v[177:178], v[177:178], v[173:174]
	v_add_f64_e32 v[175:176], v[179:180], v[175:176]
	ds_load_b128 v[171:174], v1 offset:1680
	v_fma_f64 v[169:170], v[42:43], v[169:170], -v[183:184]
	s_wait_loadcnt_dscnt 0x801
	v_mul_f64_e32 v[179:180], v[2:3], v[40:41]
	v_mul_f64_e32 v[189:190], v[4:5], v[40:41]
	scratch_load_b128 v[40:43], off, off offset:880
	s_wait_loadcnt_dscnt 0x800
	v_mul_f64_e32 v[183:184], v[171:172], v[8:9]
	v_mul_f64_e32 v[8:9], v[173:174], v[8:9]
	v_add_f64_e32 v[177:178], v[177:178], v[187:188]
	v_add_f64_e32 v[175:176], v[175:176], v[185:186]
	v_fma_f64 v[185:186], v[4:5], v[38:39], v[179:180]
	v_fma_f64 v[38:39], v[2:3], v[38:39], -v[189:190]
	ds_load_b128 v[2:5], v1 offset:1696
	ds_load_b128 v[179:182], v1 offset:1712
	v_fma_f64 v[173:174], v[173:174], v[6:7], v[183:184]
	v_fma_f64 v[171:172], v[171:172], v[6:7], -v[8:9]
	scratch_load_b128 v[6:9], off, off offset:912
	v_add_f64_e32 v[169:170], v[177:178], v[169:170]
	v_add_f64_e32 v[44:45], v[175:176], v[44:45]
	scratch_load_b128 v[175:178], off, off offset:896
	s_wait_loadcnt_dscnt 0x901
	v_mul_f64_e32 v[187:188], v[2:3], v[12:13]
	v_mul_f64_e32 v[12:13], v[4:5], v[12:13]
	s_wait_loadcnt_dscnt 0x800
	v_mul_f64_e32 v[183:184], v[179:180], v[16:17]
	v_mul_f64_e32 v[16:17], v[181:182], v[16:17]
	v_add_f64_e32 v[38:39], v[169:170], v[38:39]
	v_add_f64_e32 v[44:45], v[44:45], v[185:186]
	v_fma_f64 v[185:186], v[4:5], v[10:11], v[187:188]
	v_fma_f64 v[187:188], v[2:3], v[10:11], -v[12:13]
	ds_load_b128 v[2:5], v1 offset:1728
	scratch_load_b128 v[10:13], off, off offset:928
	v_fma_f64 v[181:182], v[181:182], v[14:15], v[183:184]
	v_fma_f64 v[179:180], v[179:180], v[14:15], -v[16:17]
	scratch_load_b128 v[14:17], off, off offset:944
	v_add_f64_e32 v[38:39], v[38:39], v[171:172]
	v_add_f64_e32 v[44:45], v[44:45], v[173:174]
	ds_load_b128 v[169:172], v1 offset:1744
	s_wait_loadcnt_dscnt 0x901
	v_mul_f64_e32 v[173:174], v[2:3], v[20:21]
	v_mul_f64_e32 v[20:21], v[4:5], v[20:21]
	s_wait_loadcnt_dscnt 0x800
	v_mul_f64_e32 v[183:184], v[169:170], v[24:25]
	v_mul_f64_e32 v[24:25], v[171:172], v[24:25]
	v_add_f64_e32 v[38:39], v[38:39], v[187:188]
	v_add_f64_e32 v[44:45], v[44:45], v[185:186]
	v_fma_f64 v[173:174], v[4:5], v[18:19], v[173:174]
	v_fma_f64 v[185:186], v[2:3], v[18:19], -v[20:21]
	ds_load_b128 v[2:5], v1 offset:1760
	ds_load_b128 v[18:21], v1 offset:1776
	v_fma_f64 v[171:172], v[171:172], v[22:23], v[183:184]
	v_fma_f64 v[22:23], v[169:170], v[22:23], -v[24:25]
	v_add_f64_e32 v[38:39], v[38:39], v[179:180]
	v_add_f64_e32 v[44:45], v[44:45], v[181:182]
	s_wait_loadcnt_dscnt 0x701
	v_mul_f64_e32 v[179:180], v[2:3], v[28:29]
	v_mul_f64_e32 v[28:29], v[4:5], v[28:29]
	s_delay_alu instid0(VALU_DEP_4) | instskip(NEXT) | instid1(VALU_DEP_4)
	v_add_f64_e32 v[24:25], v[38:39], v[185:186]
	v_add_f64_e32 v[38:39], v[44:45], v[173:174]
	s_wait_loadcnt_dscnt 0x600
	v_mul_f64_e32 v[44:45], v[18:19], v[32:33]
	v_mul_f64_e32 v[32:33], v[20:21], v[32:33]
	v_fma_f64 v[169:170], v[4:5], v[26:27], v[179:180]
	v_fma_f64 v[26:27], v[2:3], v[26:27], -v[28:29]
	v_add_f64_e32 v[28:29], v[24:25], v[22:23]
	v_add_f64_e32 v[38:39], v[38:39], v[171:172]
	ds_load_b128 v[2:5], v1 offset:1792
	ds_load_b128 v[22:25], v1 offset:1808
	v_fma_f64 v[20:21], v[20:21], v[30:31], v[44:45]
	v_fma_f64 v[18:19], v[18:19], v[30:31], -v[32:33]
	s_wait_loadcnt_dscnt 0x501
	v_mul_f64_e32 v[171:172], v[2:3], v[36:37]
	v_mul_f64_e32 v[36:37], v[4:5], v[36:37]
	s_wait_loadcnt_dscnt 0x400
	v_mul_f64_e32 v[30:31], v[22:23], v[42:43]
	v_add_f64_e32 v[26:27], v[28:29], v[26:27]
	v_add_f64_e32 v[28:29], v[38:39], v[169:170]
	v_mul_f64_e32 v[32:33], v[24:25], v[42:43]
	v_fma_f64 v[38:39], v[4:5], v[34:35], v[171:172]
	v_fma_f64 v[34:35], v[2:3], v[34:35], -v[36:37]
	v_fma_f64 v[24:25], v[24:25], v[40:41], v[30:31]
	v_add_f64_e32 v[26:27], v[26:27], v[18:19]
	v_add_f64_e32 v[28:29], v[28:29], v[20:21]
	ds_load_b128 v[2:5], v1 offset:1824
	ds_load_b128 v[18:21], v1 offset:1840
	v_fma_f64 v[22:23], v[22:23], v[40:41], -v[32:33]
	s_wait_loadcnt_dscnt 0x201
	v_mul_f64_e32 v[36:37], v[2:3], v[177:178]
	v_mul_f64_e32 v[42:43], v[4:5], v[177:178]
	s_wait_dscnt 0x0
	v_mul_f64_e32 v[30:31], v[18:19], v[8:9]
	v_mul_f64_e32 v[8:9], v[20:21], v[8:9]
	v_add_f64_e32 v[26:27], v[26:27], v[34:35]
	v_add_f64_e32 v[28:29], v[28:29], v[38:39]
	v_fma_f64 v[32:33], v[4:5], v[175:176], v[36:37]
	v_fma_f64 v[34:35], v[2:3], v[175:176], -v[42:43]
	v_fma_f64 v[20:21], v[20:21], v[6:7], v[30:31]
	v_fma_f64 v[6:7], v[18:19], v[6:7], -v[8:9]
	v_add_f64_e32 v[26:27], v[26:27], v[22:23]
	v_add_f64_e32 v[28:29], v[28:29], v[24:25]
	ds_load_b128 v[2:5], v1 offset:1856
	ds_load_b128 v[22:25], v1 offset:1872
	s_wait_loadcnt_dscnt 0x101
	v_mul_f64_e32 v[36:37], v[2:3], v[12:13]
	v_mul_f64_e32 v[12:13], v[4:5], v[12:13]
	v_add_f64_e32 v[8:9], v[26:27], v[34:35]
	v_add_f64_e32 v[18:19], v[28:29], v[32:33]
	s_wait_loadcnt_dscnt 0x0
	v_mul_f64_e32 v[26:27], v[22:23], v[16:17]
	v_mul_f64_e32 v[16:17], v[24:25], v[16:17]
	v_fma_f64 v[4:5], v[4:5], v[10:11], v[36:37]
	v_fma_f64 v[1:2], v[2:3], v[10:11], -v[12:13]
	v_add_f64_e32 v[6:7], v[8:9], v[6:7]
	v_add_f64_e32 v[8:9], v[18:19], v[20:21]
	v_fma_f64 v[10:11], v[24:25], v[14:15], v[26:27]
	v_fma_f64 v[12:13], v[22:23], v[14:15], -v[16:17]
	s_delay_alu instid0(VALU_DEP_4) | instskip(NEXT) | instid1(VALU_DEP_4)
	v_add_f64_e32 v[1:2], v[6:7], v[1:2]
	v_add_f64_e32 v[3:4], v[8:9], v[4:5]
	s_delay_alu instid0(VALU_DEP_2) | instskip(NEXT) | instid1(VALU_DEP_2)
	v_add_f64_e32 v[1:2], v[1:2], v[12:13]
	v_add_f64_e32 v[3:4], v[3:4], v[10:11]
	s_delay_alu instid0(VALU_DEP_2) | instskip(NEXT) | instid1(VALU_DEP_2)
	v_add_f64_e64 v[1:2], v[165:166], -v[1:2]
	v_add_f64_e64 v[3:4], v[167:168], -v[3:4]
	scratch_store_b128 off, v[1:4], off offset:560
	v_cmpx_lt_u32_e32 33, v0
	s_cbranch_execz .LBB122_301
; %bb.300:
	scratch_load_b128 v[1:4], off, s39
	v_mov_b32_e32 v5, 0
	s_delay_alu instid0(VALU_DEP_1)
	v_dual_mov_b32 v6, v5 :: v_dual_mov_b32 v7, v5
	v_mov_b32_e32 v8, v5
	scratch_store_b128 off, v[5:8], off offset:544
	s_wait_loadcnt 0x0
	ds_store_b128 v164, v[1:4]
.LBB122_301:
	s_wait_alu 0xfffe
	s_or_b32 exec_lo, exec_lo, s0
	s_wait_storecnt_dscnt 0x0
	s_barrier_signal -1
	s_barrier_wait -1
	global_inv scope:SCOPE_SE
	s_clause 0x7
	scratch_load_b128 v[2:5], off, off offset:560
	scratch_load_b128 v[6:9], off, off offset:576
	;; [unrolled: 1-line block ×8, first 2 shown]
	v_mov_b32_e32 v1, 0
	s_mov_b32 s0, exec_lo
	ds_load_b128 v[34:37], v1 offset:1488
	s_clause 0x1
	scratch_load_b128 v[38:41], off, off offset:688
	scratch_load_b128 v[42:45], off, off offset:544
	ds_load_b128 v[165:168], v1 offset:1504
	scratch_load_b128 v[169:172], off, off offset:704
	s_wait_loadcnt_dscnt 0xa01
	v_mul_f64_e32 v[173:174], v[36:37], v[4:5]
	v_mul_f64_e32 v[4:5], v[34:35], v[4:5]
	s_delay_alu instid0(VALU_DEP_2) | instskip(NEXT) | instid1(VALU_DEP_2)
	v_fma_f64 v[179:180], v[34:35], v[2:3], -v[173:174]
	v_fma_f64 v[181:182], v[36:37], v[2:3], v[4:5]
	ds_load_b128 v[2:5], v1 offset:1520
	s_wait_loadcnt_dscnt 0x901
	v_mul_f64_e32 v[177:178], v[165:166], v[8:9]
	v_mul_f64_e32 v[8:9], v[167:168], v[8:9]
	scratch_load_b128 v[34:37], off, off offset:720
	ds_load_b128 v[173:176], v1 offset:1536
	s_wait_loadcnt_dscnt 0x901
	v_mul_f64_e32 v[183:184], v[2:3], v[12:13]
	v_mul_f64_e32 v[12:13], v[4:5], v[12:13]
	v_fma_f64 v[167:168], v[167:168], v[6:7], v[177:178]
	v_fma_f64 v[165:166], v[165:166], v[6:7], -v[8:9]
	v_add_f64_e32 v[177:178], 0, v[179:180]
	v_add_f64_e32 v[179:180], 0, v[181:182]
	scratch_load_b128 v[6:9], off, off offset:736
	v_fma_f64 v[183:184], v[4:5], v[10:11], v[183:184]
	v_fma_f64 v[185:186], v[2:3], v[10:11], -v[12:13]
	ds_load_b128 v[2:5], v1 offset:1552
	s_wait_loadcnt_dscnt 0x901
	v_mul_f64_e32 v[181:182], v[173:174], v[16:17]
	v_mul_f64_e32 v[16:17], v[175:176], v[16:17]
	scratch_load_b128 v[10:13], off, off offset:752
	v_add_f64_e32 v[177:178], v[177:178], v[165:166]
	v_add_f64_e32 v[179:180], v[179:180], v[167:168]
	s_wait_loadcnt_dscnt 0x900
	v_mul_f64_e32 v[187:188], v[2:3], v[20:21]
	v_mul_f64_e32 v[20:21], v[4:5], v[20:21]
	ds_load_b128 v[165:168], v1 offset:1568
	v_fma_f64 v[175:176], v[175:176], v[14:15], v[181:182]
	v_fma_f64 v[173:174], v[173:174], v[14:15], -v[16:17]
	scratch_load_b128 v[14:17], off, off offset:768
	v_add_f64_e32 v[177:178], v[177:178], v[185:186]
	v_add_f64_e32 v[179:180], v[179:180], v[183:184]
	v_fma_f64 v[183:184], v[4:5], v[18:19], v[187:188]
	v_fma_f64 v[185:186], v[2:3], v[18:19], -v[20:21]
	ds_load_b128 v[2:5], v1 offset:1584
	s_wait_loadcnt_dscnt 0x901
	v_mul_f64_e32 v[181:182], v[165:166], v[24:25]
	v_mul_f64_e32 v[24:25], v[167:168], v[24:25]
	scratch_load_b128 v[18:21], off, off offset:784
	s_wait_loadcnt_dscnt 0x900
	v_mul_f64_e32 v[187:188], v[2:3], v[28:29]
	v_mul_f64_e32 v[28:29], v[4:5], v[28:29]
	v_add_f64_e32 v[177:178], v[177:178], v[173:174]
	v_add_f64_e32 v[179:180], v[179:180], v[175:176]
	ds_load_b128 v[173:176], v1 offset:1600
	v_fma_f64 v[167:168], v[167:168], v[22:23], v[181:182]
	v_fma_f64 v[165:166], v[165:166], v[22:23], -v[24:25]
	scratch_load_b128 v[22:25], off, off offset:800
	v_add_f64_e32 v[177:178], v[177:178], v[185:186]
	v_add_f64_e32 v[179:180], v[179:180], v[183:184]
	v_fma_f64 v[183:184], v[4:5], v[26:27], v[187:188]
	v_fma_f64 v[185:186], v[2:3], v[26:27], -v[28:29]
	ds_load_b128 v[2:5], v1 offset:1616
	s_wait_loadcnt_dscnt 0x901
	v_mul_f64_e32 v[181:182], v[173:174], v[32:33]
	v_mul_f64_e32 v[32:33], v[175:176], v[32:33]
	scratch_load_b128 v[26:29], off, off offset:816
	s_wait_loadcnt_dscnt 0x900
	v_mul_f64_e32 v[187:188], v[2:3], v[40:41]
	v_mul_f64_e32 v[40:41], v[4:5], v[40:41]
	v_add_f64_e32 v[177:178], v[177:178], v[165:166]
	v_add_f64_e32 v[179:180], v[179:180], v[167:168]
	ds_load_b128 v[165:168], v1 offset:1632
	v_fma_f64 v[175:176], v[175:176], v[30:31], v[181:182]
	v_fma_f64 v[173:174], v[173:174], v[30:31], -v[32:33]
	scratch_load_b128 v[30:33], off, off offset:832
	v_add_f64_e32 v[177:178], v[177:178], v[185:186]
	v_add_f64_e32 v[179:180], v[179:180], v[183:184]
	v_fma_f64 v[185:186], v[4:5], v[38:39], v[187:188]
	v_fma_f64 v[187:188], v[2:3], v[38:39], -v[40:41]
	ds_load_b128 v[2:5], v1 offset:1648
	s_wait_loadcnt_dscnt 0x801
	v_mul_f64_e32 v[181:182], v[165:166], v[171:172]
	v_mul_f64_e32 v[183:184], v[167:168], v[171:172]
	scratch_load_b128 v[38:41], off, off offset:848
	v_add_f64_e32 v[177:178], v[177:178], v[173:174]
	v_add_f64_e32 v[175:176], v[179:180], v[175:176]
	ds_load_b128 v[171:174], v1 offset:1664
	v_fma_f64 v[181:182], v[167:168], v[169:170], v[181:182]
	v_fma_f64 v[169:170], v[165:166], v[169:170], -v[183:184]
	scratch_load_b128 v[165:168], off, off offset:864
	s_wait_loadcnt_dscnt 0x901
	v_mul_f64_e32 v[179:180], v[2:3], v[36:37]
	v_mul_f64_e32 v[36:37], v[4:5], v[36:37]
	v_add_f64_e32 v[177:178], v[177:178], v[187:188]
	v_add_f64_e32 v[175:176], v[175:176], v[185:186]
	s_delay_alu instid0(VALU_DEP_4) | instskip(NEXT) | instid1(VALU_DEP_4)
	v_fma_f64 v[179:180], v[4:5], v[34:35], v[179:180]
	v_fma_f64 v[185:186], v[2:3], v[34:35], -v[36:37]
	ds_load_b128 v[2:5], v1 offset:1680
	s_wait_loadcnt_dscnt 0x801
	v_mul_f64_e32 v[183:184], v[171:172], v[8:9]
	v_mul_f64_e32 v[8:9], v[173:174], v[8:9]
	scratch_load_b128 v[34:37], off, off offset:880
	s_wait_loadcnt_dscnt 0x800
	v_mul_f64_e32 v[187:188], v[2:3], v[12:13]
	v_add_f64_e32 v[169:170], v[177:178], v[169:170]
	v_add_f64_e32 v[181:182], v[175:176], v[181:182]
	v_mul_f64_e32 v[12:13], v[4:5], v[12:13]
	ds_load_b128 v[175:178], v1 offset:1696
	v_fma_f64 v[173:174], v[173:174], v[6:7], v[183:184]
	v_fma_f64 v[171:172], v[171:172], v[6:7], -v[8:9]
	scratch_load_b128 v[6:9], off, off offset:896
	v_fma_f64 v[183:184], v[4:5], v[10:11], v[187:188]
	v_add_f64_e32 v[169:170], v[169:170], v[185:186]
	v_add_f64_e32 v[179:180], v[181:182], v[179:180]
	v_fma_f64 v[185:186], v[2:3], v[10:11], -v[12:13]
	ds_load_b128 v[2:5], v1 offset:1712
	s_wait_loadcnt_dscnt 0x801
	v_mul_f64_e32 v[181:182], v[175:176], v[16:17]
	v_mul_f64_e32 v[16:17], v[177:178], v[16:17]
	scratch_load_b128 v[10:13], off, off offset:912
	v_add_f64_e32 v[187:188], v[169:170], v[171:172]
	v_add_f64_e32 v[173:174], v[179:180], v[173:174]
	s_wait_loadcnt_dscnt 0x800
	v_mul_f64_e32 v[179:180], v[2:3], v[20:21]
	v_mul_f64_e32 v[20:21], v[4:5], v[20:21]
	v_fma_f64 v[177:178], v[177:178], v[14:15], v[181:182]
	v_fma_f64 v[175:176], v[175:176], v[14:15], -v[16:17]
	ds_load_b128 v[169:172], v1 offset:1728
	scratch_load_b128 v[14:17], off, off offset:928
	v_add_f64_e32 v[181:182], v[187:188], v[185:186]
	v_add_f64_e32 v[173:174], v[173:174], v[183:184]
	v_fma_f64 v[179:180], v[4:5], v[18:19], v[179:180]
	v_fma_f64 v[185:186], v[2:3], v[18:19], -v[20:21]
	ds_load_b128 v[2:5], v1 offset:1744
	s_wait_loadcnt_dscnt 0x801
	v_mul_f64_e32 v[183:184], v[169:170], v[24:25]
	v_mul_f64_e32 v[24:25], v[171:172], v[24:25]
	scratch_load_b128 v[18:21], off, off offset:944
	s_wait_loadcnt_dscnt 0x800
	v_mul_f64_e32 v[187:188], v[2:3], v[28:29]
	v_mul_f64_e32 v[28:29], v[4:5], v[28:29]
	v_add_f64_e32 v[181:182], v[181:182], v[175:176]
	v_add_f64_e32 v[177:178], v[173:174], v[177:178]
	ds_load_b128 v[173:176], v1 offset:1760
	v_fma_f64 v[171:172], v[171:172], v[22:23], v[183:184]
	v_fma_f64 v[22:23], v[169:170], v[22:23], -v[24:25]
	v_add_f64_e32 v[24:25], v[181:182], v[185:186]
	v_add_f64_e32 v[169:170], v[177:178], v[179:180]
	s_wait_loadcnt_dscnt 0x700
	v_mul_f64_e32 v[177:178], v[173:174], v[32:33]
	v_mul_f64_e32 v[32:33], v[175:176], v[32:33]
	v_fma_f64 v[179:180], v[4:5], v[26:27], v[187:188]
	v_fma_f64 v[26:27], v[2:3], v[26:27], -v[28:29]
	v_add_f64_e32 v[28:29], v[24:25], v[22:23]
	v_add_f64_e32 v[169:170], v[169:170], v[171:172]
	ds_load_b128 v[2:5], v1 offset:1776
	ds_load_b128 v[22:25], v1 offset:1792
	v_fma_f64 v[175:176], v[175:176], v[30:31], v[177:178]
	v_fma_f64 v[30:31], v[173:174], v[30:31], -v[32:33]
	s_wait_loadcnt_dscnt 0x601
	v_mul_f64_e32 v[171:172], v[2:3], v[40:41]
	v_mul_f64_e32 v[40:41], v[4:5], v[40:41]
	s_wait_loadcnt_dscnt 0x500
	v_mul_f64_e32 v[32:33], v[22:23], v[167:168]
	v_mul_f64_e32 v[167:168], v[24:25], v[167:168]
	v_add_f64_e32 v[26:27], v[28:29], v[26:27]
	v_add_f64_e32 v[28:29], v[169:170], v[179:180]
	v_fma_f64 v[169:170], v[4:5], v[38:39], v[171:172]
	v_fma_f64 v[38:39], v[2:3], v[38:39], -v[40:41]
	v_fma_f64 v[24:25], v[24:25], v[165:166], v[32:33]
	v_fma_f64 v[22:23], v[22:23], v[165:166], -v[167:168]
	v_add_f64_e32 v[30:31], v[26:27], v[30:31]
	v_add_f64_e32 v[40:41], v[28:29], v[175:176]
	ds_load_b128 v[2:5], v1 offset:1808
	ds_load_b128 v[26:29], v1 offset:1824
	s_wait_loadcnt_dscnt 0x401
	v_mul_f64_e32 v[171:172], v[2:3], v[36:37]
	v_mul_f64_e32 v[36:37], v[4:5], v[36:37]
	v_add_f64_e32 v[30:31], v[30:31], v[38:39]
	v_add_f64_e32 v[32:33], v[40:41], v[169:170]
	s_wait_loadcnt_dscnt 0x300
	v_mul_f64_e32 v[38:39], v[26:27], v[8:9]
	v_mul_f64_e32 v[8:9], v[28:29], v[8:9]
	v_fma_f64 v[40:41], v[4:5], v[34:35], v[171:172]
	v_fma_f64 v[34:35], v[2:3], v[34:35], -v[36:37]
	v_add_f64_e32 v[30:31], v[30:31], v[22:23]
	v_add_f64_e32 v[32:33], v[32:33], v[24:25]
	ds_load_b128 v[2:5], v1 offset:1840
	ds_load_b128 v[22:25], v1 offset:1856
	v_fma_f64 v[28:29], v[28:29], v[6:7], v[38:39]
	v_fma_f64 v[6:7], v[26:27], v[6:7], -v[8:9]
	s_wait_loadcnt_dscnt 0x201
	v_mul_f64_e32 v[36:37], v[2:3], v[12:13]
	v_mul_f64_e32 v[12:13], v[4:5], v[12:13]
	v_add_f64_e32 v[8:9], v[30:31], v[34:35]
	v_add_f64_e32 v[26:27], v[32:33], v[40:41]
	s_wait_loadcnt_dscnt 0x100
	v_mul_f64_e32 v[30:31], v[22:23], v[16:17]
	v_mul_f64_e32 v[16:17], v[24:25], v[16:17]
	v_fma_f64 v[32:33], v[4:5], v[10:11], v[36:37]
	v_fma_f64 v[10:11], v[2:3], v[10:11], -v[12:13]
	ds_load_b128 v[2:5], v1 offset:1872
	v_add_f64_e32 v[6:7], v[8:9], v[6:7]
	v_add_f64_e32 v[8:9], v[26:27], v[28:29]
	v_fma_f64 v[24:25], v[24:25], v[14:15], v[30:31]
	v_fma_f64 v[14:15], v[22:23], v[14:15], -v[16:17]
	s_wait_loadcnt_dscnt 0x0
	v_mul_f64_e32 v[12:13], v[2:3], v[20:21]
	v_mul_f64_e32 v[20:21], v[4:5], v[20:21]
	v_add_f64_e32 v[6:7], v[6:7], v[10:11]
	v_add_f64_e32 v[8:9], v[8:9], v[32:33]
	s_delay_alu instid0(VALU_DEP_4) | instskip(NEXT) | instid1(VALU_DEP_4)
	v_fma_f64 v[4:5], v[4:5], v[18:19], v[12:13]
	v_fma_f64 v[2:3], v[2:3], v[18:19], -v[20:21]
	s_delay_alu instid0(VALU_DEP_4) | instskip(NEXT) | instid1(VALU_DEP_4)
	v_add_f64_e32 v[6:7], v[6:7], v[14:15]
	v_add_f64_e32 v[8:9], v[8:9], v[24:25]
	s_delay_alu instid0(VALU_DEP_2) | instskip(NEXT) | instid1(VALU_DEP_2)
	v_add_f64_e32 v[2:3], v[6:7], v[2:3]
	v_add_f64_e32 v[4:5], v[8:9], v[4:5]
	s_delay_alu instid0(VALU_DEP_2) | instskip(NEXT) | instid1(VALU_DEP_2)
	v_add_f64_e64 v[2:3], v[42:43], -v[2:3]
	v_add_f64_e64 v[4:5], v[44:45], -v[4:5]
	scratch_store_b128 off, v[2:5], off offset:544
	v_cmpx_lt_u32_e32 32, v0
	s_cbranch_execz .LBB122_303
; %bb.302:
	scratch_load_b128 v[5:8], off, s40
	v_dual_mov_b32 v2, v1 :: v_dual_mov_b32 v3, v1
	v_mov_b32_e32 v4, v1
	scratch_store_b128 off, v[1:4], off offset:528
	s_wait_loadcnt 0x0
	ds_store_b128 v164, v[5:8]
.LBB122_303:
	s_wait_alu 0xfffe
	s_or_b32 exec_lo, exec_lo, s0
	s_wait_storecnt_dscnt 0x0
	s_barrier_signal -1
	s_barrier_wait -1
	global_inv scope:SCOPE_SE
	s_clause 0x8
	scratch_load_b128 v[2:5], off, off offset:544
	scratch_load_b128 v[6:9], off, off offset:560
	;; [unrolled: 1-line block ×9, first 2 shown]
	ds_load_b128 v[38:41], v1 offset:1472
	ds_load_b128 v[42:45], v1 offset:1488
	s_clause 0x1
	scratch_load_b128 v[165:168], off, off offset:528
	scratch_load_b128 v[169:172], off, off offset:688
	s_mov_b32 s0, exec_lo
	s_wait_loadcnt_dscnt 0xa01
	v_mul_f64_e32 v[173:174], v[40:41], v[4:5]
	v_mul_f64_e32 v[4:5], v[38:39], v[4:5]
	s_wait_loadcnt_dscnt 0x900
	v_mul_f64_e32 v[177:178], v[42:43], v[8:9]
	v_mul_f64_e32 v[8:9], v[44:45], v[8:9]
	s_delay_alu instid0(VALU_DEP_4) | instskip(NEXT) | instid1(VALU_DEP_4)
	v_fma_f64 v[179:180], v[38:39], v[2:3], -v[173:174]
	v_fma_f64 v[181:182], v[40:41], v[2:3], v[4:5]
	ds_load_b128 v[2:5], v1 offset:1504
	ds_load_b128 v[173:176], v1 offset:1520
	scratch_load_b128 v[38:41], off, off offset:704
	v_fma_f64 v[44:45], v[44:45], v[6:7], v[177:178]
	v_fma_f64 v[42:43], v[42:43], v[6:7], -v[8:9]
	scratch_load_b128 v[6:9], off, off offset:720
	s_wait_loadcnt_dscnt 0xa01
	v_mul_f64_e32 v[183:184], v[2:3], v[12:13]
	v_mul_f64_e32 v[12:13], v[4:5], v[12:13]
	v_add_f64_e32 v[177:178], 0, v[179:180]
	v_add_f64_e32 v[179:180], 0, v[181:182]
	s_wait_loadcnt_dscnt 0x900
	v_mul_f64_e32 v[181:182], v[173:174], v[16:17]
	v_mul_f64_e32 v[16:17], v[175:176], v[16:17]
	v_fma_f64 v[183:184], v[4:5], v[10:11], v[183:184]
	v_fma_f64 v[185:186], v[2:3], v[10:11], -v[12:13]
	ds_load_b128 v[2:5], v1 offset:1536
	scratch_load_b128 v[10:13], off, off offset:736
	v_add_f64_e32 v[177:178], v[177:178], v[42:43]
	v_add_f64_e32 v[179:180], v[179:180], v[44:45]
	ds_load_b128 v[42:45], v1 offset:1552
	v_fma_f64 v[175:176], v[175:176], v[14:15], v[181:182]
	v_fma_f64 v[173:174], v[173:174], v[14:15], -v[16:17]
	scratch_load_b128 v[14:17], off, off offset:752
	s_wait_loadcnt_dscnt 0xa01
	v_mul_f64_e32 v[187:188], v[2:3], v[20:21]
	v_mul_f64_e32 v[20:21], v[4:5], v[20:21]
	s_wait_loadcnt_dscnt 0x900
	v_mul_f64_e32 v[181:182], v[42:43], v[24:25]
	v_mul_f64_e32 v[24:25], v[44:45], v[24:25]
	v_add_f64_e32 v[177:178], v[177:178], v[185:186]
	v_add_f64_e32 v[179:180], v[179:180], v[183:184]
	v_fma_f64 v[183:184], v[4:5], v[18:19], v[187:188]
	v_fma_f64 v[185:186], v[2:3], v[18:19], -v[20:21]
	ds_load_b128 v[2:5], v1 offset:1568
	scratch_load_b128 v[18:21], off, off offset:768
	v_fma_f64 v[44:45], v[44:45], v[22:23], v[181:182]
	v_fma_f64 v[42:43], v[42:43], v[22:23], -v[24:25]
	scratch_load_b128 v[22:25], off, off offset:784
	v_add_f64_e32 v[177:178], v[177:178], v[173:174]
	v_add_f64_e32 v[179:180], v[179:180], v[175:176]
	ds_load_b128 v[173:176], v1 offset:1584
	s_wait_loadcnt_dscnt 0xa01
	v_mul_f64_e32 v[187:188], v[2:3], v[28:29]
	v_mul_f64_e32 v[28:29], v[4:5], v[28:29]
	s_wait_loadcnt_dscnt 0x900
	v_mul_f64_e32 v[181:182], v[173:174], v[32:33]
	v_mul_f64_e32 v[32:33], v[175:176], v[32:33]
	v_add_f64_e32 v[177:178], v[177:178], v[185:186]
	v_add_f64_e32 v[179:180], v[179:180], v[183:184]
	v_fma_f64 v[183:184], v[4:5], v[26:27], v[187:188]
	v_fma_f64 v[185:186], v[2:3], v[26:27], -v[28:29]
	ds_load_b128 v[2:5], v1 offset:1600
	scratch_load_b128 v[26:29], off, off offset:800
	v_fma_f64 v[175:176], v[175:176], v[30:31], v[181:182]
	v_fma_f64 v[173:174], v[173:174], v[30:31], -v[32:33]
	scratch_load_b128 v[30:33], off, off offset:816
	v_add_f64_e32 v[177:178], v[177:178], v[42:43]
	v_add_f64_e32 v[179:180], v[179:180], v[44:45]
	ds_load_b128 v[42:45], v1 offset:1616
	s_wait_loadcnt_dscnt 0xa01
	v_mul_f64_e32 v[187:188], v[2:3], v[36:37]
	v_mul_f64_e32 v[36:37], v[4:5], v[36:37]
	s_wait_loadcnt_dscnt 0x800
	v_mul_f64_e32 v[181:182], v[42:43], v[171:172]
	v_add_f64_e32 v[177:178], v[177:178], v[185:186]
	v_add_f64_e32 v[179:180], v[179:180], v[183:184]
	v_mul_f64_e32 v[183:184], v[44:45], v[171:172]
	v_fma_f64 v[185:186], v[4:5], v[34:35], v[187:188]
	v_fma_f64 v[187:188], v[2:3], v[34:35], -v[36:37]
	ds_load_b128 v[2:5], v1 offset:1632
	scratch_load_b128 v[34:37], off, off offset:832
	v_fma_f64 v[44:45], v[44:45], v[169:170], v[181:182]
	v_add_f64_e32 v[177:178], v[177:178], v[173:174]
	v_add_f64_e32 v[175:176], v[179:180], v[175:176]
	ds_load_b128 v[171:174], v1 offset:1648
	v_fma_f64 v[169:170], v[42:43], v[169:170], -v[183:184]
	s_wait_loadcnt_dscnt 0x801
	v_mul_f64_e32 v[179:180], v[2:3], v[40:41]
	v_mul_f64_e32 v[189:190], v[4:5], v[40:41]
	scratch_load_b128 v[40:43], off, off offset:848
	s_wait_loadcnt_dscnt 0x800
	v_mul_f64_e32 v[183:184], v[171:172], v[8:9]
	v_mul_f64_e32 v[8:9], v[173:174], v[8:9]
	v_add_f64_e32 v[177:178], v[177:178], v[187:188]
	v_add_f64_e32 v[175:176], v[175:176], v[185:186]
	v_fma_f64 v[185:186], v[4:5], v[38:39], v[179:180]
	v_fma_f64 v[38:39], v[2:3], v[38:39], -v[189:190]
	ds_load_b128 v[2:5], v1 offset:1664
	ds_load_b128 v[179:182], v1 offset:1680
	v_fma_f64 v[173:174], v[173:174], v[6:7], v[183:184]
	v_fma_f64 v[171:172], v[171:172], v[6:7], -v[8:9]
	scratch_load_b128 v[6:9], off, off offset:880
	v_add_f64_e32 v[169:170], v[177:178], v[169:170]
	v_add_f64_e32 v[44:45], v[175:176], v[44:45]
	scratch_load_b128 v[175:178], off, off offset:864
	s_wait_loadcnt_dscnt 0x901
	v_mul_f64_e32 v[187:188], v[2:3], v[12:13]
	v_mul_f64_e32 v[12:13], v[4:5], v[12:13]
	s_wait_loadcnt_dscnt 0x800
	v_mul_f64_e32 v[183:184], v[179:180], v[16:17]
	v_mul_f64_e32 v[16:17], v[181:182], v[16:17]
	v_add_f64_e32 v[38:39], v[169:170], v[38:39]
	v_add_f64_e32 v[44:45], v[44:45], v[185:186]
	v_fma_f64 v[185:186], v[4:5], v[10:11], v[187:188]
	v_fma_f64 v[187:188], v[2:3], v[10:11], -v[12:13]
	ds_load_b128 v[2:5], v1 offset:1696
	scratch_load_b128 v[10:13], off, off offset:896
	v_fma_f64 v[181:182], v[181:182], v[14:15], v[183:184]
	v_fma_f64 v[179:180], v[179:180], v[14:15], -v[16:17]
	scratch_load_b128 v[14:17], off, off offset:912
	v_add_f64_e32 v[38:39], v[38:39], v[171:172]
	v_add_f64_e32 v[44:45], v[44:45], v[173:174]
	ds_load_b128 v[169:172], v1 offset:1712
	s_wait_loadcnt_dscnt 0x901
	v_mul_f64_e32 v[173:174], v[2:3], v[20:21]
	v_mul_f64_e32 v[20:21], v[4:5], v[20:21]
	s_wait_loadcnt_dscnt 0x800
	v_mul_f64_e32 v[183:184], v[169:170], v[24:25]
	v_mul_f64_e32 v[24:25], v[171:172], v[24:25]
	v_add_f64_e32 v[38:39], v[38:39], v[187:188]
	v_add_f64_e32 v[44:45], v[44:45], v[185:186]
	v_fma_f64 v[173:174], v[4:5], v[18:19], v[173:174]
	v_fma_f64 v[185:186], v[2:3], v[18:19], -v[20:21]
	ds_load_b128 v[2:5], v1 offset:1728
	scratch_load_b128 v[18:21], off, off offset:928
	v_fma_f64 v[171:172], v[171:172], v[22:23], v[183:184]
	v_fma_f64 v[169:170], v[169:170], v[22:23], -v[24:25]
	scratch_load_b128 v[22:25], off, off offset:944
	v_add_f64_e32 v[38:39], v[38:39], v[179:180]
	v_add_f64_e32 v[44:45], v[44:45], v[181:182]
	ds_load_b128 v[179:182], v1 offset:1744
	s_wait_loadcnt_dscnt 0x901
	v_mul_f64_e32 v[187:188], v[2:3], v[28:29]
	v_mul_f64_e32 v[28:29], v[4:5], v[28:29]
	v_add_f64_e32 v[38:39], v[38:39], v[185:186]
	v_add_f64_e32 v[44:45], v[44:45], v[173:174]
	s_wait_loadcnt_dscnt 0x800
	v_mul_f64_e32 v[173:174], v[179:180], v[32:33]
	v_mul_f64_e32 v[32:33], v[181:182], v[32:33]
	v_fma_f64 v[183:184], v[4:5], v[26:27], v[187:188]
	v_fma_f64 v[185:186], v[2:3], v[26:27], -v[28:29]
	ds_load_b128 v[2:5], v1 offset:1760
	ds_load_b128 v[26:29], v1 offset:1776
	v_add_f64_e32 v[38:39], v[38:39], v[169:170]
	v_add_f64_e32 v[44:45], v[44:45], v[171:172]
	s_wait_loadcnt_dscnt 0x701
	v_mul_f64_e32 v[169:170], v[2:3], v[36:37]
	v_mul_f64_e32 v[36:37], v[4:5], v[36:37]
	v_fma_f64 v[171:172], v[181:182], v[30:31], v[173:174]
	v_fma_f64 v[30:31], v[179:180], v[30:31], -v[32:33]
	v_add_f64_e32 v[32:33], v[38:39], v[185:186]
	v_add_f64_e32 v[38:39], v[44:45], v[183:184]
	s_wait_loadcnt_dscnt 0x600
	v_mul_f64_e32 v[44:45], v[26:27], v[42:43]
	v_mul_f64_e32 v[42:43], v[28:29], v[42:43]
	v_fma_f64 v[169:170], v[4:5], v[34:35], v[169:170]
	v_fma_f64 v[34:35], v[2:3], v[34:35], -v[36:37]
	v_add_f64_e32 v[36:37], v[32:33], v[30:31]
	v_add_f64_e32 v[38:39], v[38:39], v[171:172]
	ds_load_b128 v[2:5], v1 offset:1792
	ds_load_b128 v[30:33], v1 offset:1808
	v_fma_f64 v[28:29], v[28:29], v[40:41], v[44:45]
	v_fma_f64 v[26:27], v[26:27], v[40:41], -v[42:43]
	s_wait_loadcnt_dscnt 0x401
	v_mul_f64_e32 v[171:172], v[2:3], v[177:178]
	v_mul_f64_e32 v[173:174], v[4:5], v[177:178]
	v_add_f64_e32 v[34:35], v[36:37], v[34:35]
	v_add_f64_e32 v[36:37], v[38:39], v[169:170]
	s_wait_dscnt 0x0
	v_mul_f64_e32 v[38:39], v[30:31], v[8:9]
	v_mul_f64_e32 v[8:9], v[32:33], v[8:9]
	v_fma_f64 v[40:41], v[4:5], v[175:176], v[171:172]
	v_fma_f64 v[42:43], v[2:3], v[175:176], -v[173:174]
	v_add_f64_e32 v[34:35], v[34:35], v[26:27]
	v_add_f64_e32 v[36:37], v[36:37], v[28:29]
	ds_load_b128 v[2:5], v1 offset:1824
	ds_load_b128 v[26:29], v1 offset:1840
	v_fma_f64 v[32:33], v[32:33], v[6:7], v[38:39]
	v_fma_f64 v[6:7], v[30:31], v[6:7], -v[8:9]
	s_wait_loadcnt_dscnt 0x301
	v_mul_f64_e32 v[44:45], v[2:3], v[12:13]
	v_mul_f64_e32 v[12:13], v[4:5], v[12:13]
	v_add_f64_e32 v[8:9], v[34:35], v[42:43]
	v_add_f64_e32 v[30:31], v[36:37], v[40:41]
	s_wait_loadcnt_dscnt 0x200
	v_mul_f64_e32 v[34:35], v[26:27], v[16:17]
	v_mul_f64_e32 v[16:17], v[28:29], v[16:17]
	v_fma_f64 v[36:37], v[4:5], v[10:11], v[44:45]
	v_fma_f64 v[10:11], v[2:3], v[10:11], -v[12:13]
	v_add_f64_e32 v[12:13], v[8:9], v[6:7]
	v_add_f64_e32 v[30:31], v[30:31], v[32:33]
	ds_load_b128 v[2:5], v1 offset:1856
	ds_load_b128 v[6:9], v1 offset:1872
	v_fma_f64 v[28:29], v[28:29], v[14:15], v[34:35]
	v_fma_f64 v[14:15], v[26:27], v[14:15], -v[16:17]
	s_wait_loadcnt_dscnt 0x101
	v_mul_f64_e32 v[32:33], v[2:3], v[20:21]
	v_mul_f64_e32 v[20:21], v[4:5], v[20:21]
	s_wait_loadcnt_dscnt 0x0
	v_mul_f64_e32 v[16:17], v[6:7], v[24:25]
	v_mul_f64_e32 v[24:25], v[8:9], v[24:25]
	v_add_f64_e32 v[10:11], v[12:13], v[10:11]
	v_add_f64_e32 v[12:13], v[30:31], v[36:37]
	v_fma_f64 v[4:5], v[4:5], v[18:19], v[32:33]
	v_fma_f64 v[1:2], v[2:3], v[18:19], -v[20:21]
	v_fma_f64 v[8:9], v[8:9], v[22:23], v[16:17]
	v_fma_f64 v[6:7], v[6:7], v[22:23], -v[24:25]
	v_add_f64_e32 v[10:11], v[10:11], v[14:15]
	v_add_f64_e32 v[12:13], v[12:13], v[28:29]
	s_delay_alu instid0(VALU_DEP_2) | instskip(NEXT) | instid1(VALU_DEP_2)
	v_add_f64_e32 v[1:2], v[10:11], v[1:2]
	v_add_f64_e32 v[3:4], v[12:13], v[4:5]
	s_delay_alu instid0(VALU_DEP_2) | instskip(NEXT) | instid1(VALU_DEP_2)
	;; [unrolled: 3-line block ×3, first 2 shown]
	v_add_f64_e64 v[1:2], v[165:166], -v[1:2]
	v_add_f64_e64 v[3:4], v[167:168], -v[3:4]
	scratch_store_b128 off, v[1:4], off offset:528
	v_cmpx_lt_u32_e32 31, v0
	s_cbranch_execz .LBB122_305
; %bb.304:
	scratch_load_b128 v[1:4], off, s41
	v_mov_b32_e32 v5, 0
	s_delay_alu instid0(VALU_DEP_1)
	v_dual_mov_b32 v6, v5 :: v_dual_mov_b32 v7, v5
	v_mov_b32_e32 v8, v5
	scratch_store_b128 off, v[5:8], off offset:512
	s_wait_loadcnt 0x0
	ds_store_b128 v164, v[1:4]
.LBB122_305:
	s_wait_alu 0xfffe
	s_or_b32 exec_lo, exec_lo, s0
	s_wait_storecnt_dscnt 0x0
	s_barrier_signal -1
	s_barrier_wait -1
	global_inv scope:SCOPE_SE
	s_clause 0x7
	scratch_load_b128 v[2:5], off, off offset:528
	scratch_load_b128 v[6:9], off, off offset:544
	;; [unrolled: 1-line block ×8, first 2 shown]
	v_mov_b32_e32 v1, 0
	s_mov_b32 s0, exec_lo
	ds_load_b128 v[34:37], v1 offset:1456
	s_clause 0x1
	scratch_load_b128 v[38:41], off, off offset:656
	scratch_load_b128 v[42:45], off, off offset:512
	ds_load_b128 v[165:168], v1 offset:1472
	scratch_load_b128 v[169:172], off, off offset:672
	s_wait_loadcnt_dscnt 0xa01
	v_mul_f64_e32 v[173:174], v[36:37], v[4:5]
	v_mul_f64_e32 v[4:5], v[34:35], v[4:5]
	s_delay_alu instid0(VALU_DEP_2) | instskip(NEXT) | instid1(VALU_DEP_2)
	v_fma_f64 v[179:180], v[34:35], v[2:3], -v[173:174]
	v_fma_f64 v[181:182], v[36:37], v[2:3], v[4:5]
	ds_load_b128 v[2:5], v1 offset:1488
	s_wait_loadcnt_dscnt 0x901
	v_mul_f64_e32 v[177:178], v[165:166], v[8:9]
	v_mul_f64_e32 v[8:9], v[167:168], v[8:9]
	scratch_load_b128 v[34:37], off, off offset:688
	ds_load_b128 v[173:176], v1 offset:1504
	s_wait_loadcnt_dscnt 0x901
	v_mul_f64_e32 v[183:184], v[2:3], v[12:13]
	v_mul_f64_e32 v[12:13], v[4:5], v[12:13]
	v_fma_f64 v[167:168], v[167:168], v[6:7], v[177:178]
	v_fma_f64 v[165:166], v[165:166], v[6:7], -v[8:9]
	v_add_f64_e32 v[177:178], 0, v[179:180]
	v_add_f64_e32 v[179:180], 0, v[181:182]
	scratch_load_b128 v[6:9], off, off offset:704
	v_fma_f64 v[183:184], v[4:5], v[10:11], v[183:184]
	v_fma_f64 v[185:186], v[2:3], v[10:11], -v[12:13]
	ds_load_b128 v[2:5], v1 offset:1520
	s_wait_loadcnt_dscnt 0x901
	v_mul_f64_e32 v[181:182], v[173:174], v[16:17]
	v_mul_f64_e32 v[16:17], v[175:176], v[16:17]
	scratch_load_b128 v[10:13], off, off offset:720
	v_add_f64_e32 v[177:178], v[177:178], v[165:166]
	v_add_f64_e32 v[179:180], v[179:180], v[167:168]
	s_wait_loadcnt_dscnt 0x900
	v_mul_f64_e32 v[187:188], v[2:3], v[20:21]
	v_mul_f64_e32 v[20:21], v[4:5], v[20:21]
	ds_load_b128 v[165:168], v1 offset:1536
	v_fma_f64 v[175:176], v[175:176], v[14:15], v[181:182]
	v_fma_f64 v[173:174], v[173:174], v[14:15], -v[16:17]
	scratch_load_b128 v[14:17], off, off offset:736
	v_add_f64_e32 v[177:178], v[177:178], v[185:186]
	v_add_f64_e32 v[179:180], v[179:180], v[183:184]
	v_fma_f64 v[183:184], v[4:5], v[18:19], v[187:188]
	v_fma_f64 v[185:186], v[2:3], v[18:19], -v[20:21]
	ds_load_b128 v[2:5], v1 offset:1552
	s_wait_loadcnt_dscnt 0x901
	v_mul_f64_e32 v[181:182], v[165:166], v[24:25]
	v_mul_f64_e32 v[24:25], v[167:168], v[24:25]
	scratch_load_b128 v[18:21], off, off offset:752
	s_wait_loadcnt_dscnt 0x900
	v_mul_f64_e32 v[187:188], v[2:3], v[28:29]
	v_mul_f64_e32 v[28:29], v[4:5], v[28:29]
	v_add_f64_e32 v[177:178], v[177:178], v[173:174]
	v_add_f64_e32 v[179:180], v[179:180], v[175:176]
	ds_load_b128 v[173:176], v1 offset:1568
	v_fma_f64 v[167:168], v[167:168], v[22:23], v[181:182]
	v_fma_f64 v[165:166], v[165:166], v[22:23], -v[24:25]
	scratch_load_b128 v[22:25], off, off offset:768
	v_add_f64_e32 v[177:178], v[177:178], v[185:186]
	v_add_f64_e32 v[179:180], v[179:180], v[183:184]
	v_fma_f64 v[183:184], v[4:5], v[26:27], v[187:188]
	v_fma_f64 v[185:186], v[2:3], v[26:27], -v[28:29]
	ds_load_b128 v[2:5], v1 offset:1584
	s_wait_loadcnt_dscnt 0x901
	v_mul_f64_e32 v[181:182], v[173:174], v[32:33]
	v_mul_f64_e32 v[32:33], v[175:176], v[32:33]
	scratch_load_b128 v[26:29], off, off offset:784
	s_wait_loadcnt_dscnt 0x900
	v_mul_f64_e32 v[187:188], v[2:3], v[40:41]
	v_mul_f64_e32 v[40:41], v[4:5], v[40:41]
	v_add_f64_e32 v[177:178], v[177:178], v[165:166]
	v_add_f64_e32 v[179:180], v[179:180], v[167:168]
	ds_load_b128 v[165:168], v1 offset:1600
	v_fma_f64 v[175:176], v[175:176], v[30:31], v[181:182]
	v_fma_f64 v[173:174], v[173:174], v[30:31], -v[32:33]
	scratch_load_b128 v[30:33], off, off offset:800
	v_add_f64_e32 v[177:178], v[177:178], v[185:186]
	v_add_f64_e32 v[179:180], v[179:180], v[183:184]
	v_fma_f64 v[185:186], v[4:5], v[38:39], v[187:188]
	v_fma_f64 v[187:188], v[2:3], v[38:39], -v[40:41]
	ds_load_b128 v[2:5], v1 offset:1616
	s_wait_loadcnt_dscnt 0x801
	v_mul_f64_e32 v[181:182], v[165:166], v[171:172]
	v_mul_f64_e32 v[183:184], v[167:168], v[171:172]
	scratch_load_b128 v[38:41], off, off offset:816
	v_add_f64_e32 v[177:178], v[177:178], v[173:174]
	v_add_f64_e32 v[175:176], v[179:180], v[175:176]
	ds_load_b128 v[171:174], v1 offset:1632
	v_fma_f64 v[181:182], v[167:168], v[169:170], v[181:182]
	v_fma_f64 v[169:170], v[165:166], v[169:170], -v[183:184]
	scratch_load_b128 v[165:168], off, off offset:832
	s_wait_loadcnt_dscnt 0x901
	v_mul_f64_e32 v[179:180], v[2:3], v[36:37]
	v_mul_f64_e32 v[36:37], v[4:5], v[36:37]
	v_add_f64_e32 v[177:178], v[177:178], v[187:188]
	v_add_f64_e32 v[175:176], v[175:176], v[185:186]
	s_delay_alu instid0(VALU_DEP_4) | instskip(NEXT) | instid1(VALU_DEP_4)
	v_fma_f64 v[179:180], v[4:5], v[34:35], v[179:180]
	v_fma_f64 v[185:186], v[2:3], v[34:35], -v[36:37]
	ds_load_b128 v[2:5], v1 offset:1648
	s_wait_loadcnt_dscnt 0x801
	v_mul_f64_e32 v[183:184], v[171:172], v[8:9]
	v_mul_f64_e32 v[8:9], v[173:174], v[8:9]
	scratch_load_b128 v[34:37], off, off offset:848
	s_wait_loadcnt_dscnt 0x800
	v_mul_f64_e32 v[187:188], v[2:3], v[12:13]
	v_add_f64_e32 v[169:170], v[177:178], v[169:170]
	v_add_f64_e32 v[181:182], v[175:176], v[181:182]
	v_mul_f64_e32 v[12:13], v[4:5], v[12:13]
	ds_load_b128 v[175:178], v1 offset:1664
	v_fma_f64 v[173:174], v[173:174], v[6:7], v[183:184]
	v_fma_f64 v[171:172], v[171:172], v[6:7], -v[8:9]
	scratch_load_b128 v[6:9], off, off offset:864
	v_fma_f64 v[183:184], v[4:5], v[10:11], v[187:188]
	v_add_f64_e32 v[169:170], v[169:170], v[185:186]
	v_add_f64_e32 v[179:180], v[181:182], v[179:180]
	v_fma_f64 v[185:186], v[2:3], v[10:11], -v[12:13]
	ds_load_b128 v[2:5], v1 offset:1680
	s_wait_loadcnt_dscnt 0x801
	v_mul_f64_e32 v[181:182], v[175:176], v[16:17]
	v_mul_f64_e32 v[16:17], v[177:178], v[16:17]
	scratch_load_b128 v[10:13], off, off offset:880
	v_add_f64_e32 v[187:188], v[169:170], v[171:172]
	v_add_f64_e32 v[173:174], v[179:180], v[173:174]
	s_wait_loadcnt_dscnt 0x800
	v_mul_f64_e32 v[179:180], v[2:3], v[20:21]
	v_mul_f64_e32 v[20:21], v[4:5], v[20:21]
	v_fma_f64 v[177:178], v[177:178], v[14:15], v[181:182]
	v_fma_f64 v[175:176], v[175:176], v[14:15], -v[16:17]
	ds_load_b128 v[169:172], v1 offset:1696
	scratch_load_b128 v[14:17], off, off offset:896
	v_add_f64_e32 v[181:182], v[187:188], v[185:186]
	v_add_f64_e32 v[173:174], v[173:174], v[183:184]
	v_fma_f64 v[179:180], v[4:5], v[18:19], v[179:180]
	v_fma_f64 v[185:186], v[2:3], v[18:19], -v[20:21]
	ds_load_b128 v[2:5], v1 offset:1712
	s_wait_loadcnt_dscnt 0x801
	v_mul_f64_e32 v[183:184], v[169:170], v[24:25]
	v_mul_f64_e32 v[24:25], v[171:172], v[24:25]
	scratch_load_b128 v[18:21], off, off offset:912
	s_wait_loadcnt_dscnt 0x800
	v_mul_f64_e32 v[187:188], v[2:3], v[28:29]
	v_mul_f64_e32 v[28:29], v[4:5], v[28:29]
	v_add_f64_e32 v[181:182], v[181:182], v[175:176]
	v_add_f64_e32 v[177:178], v[173:174], v[177:178]
	ds_load_b128 v[173:176], v1 offset:1728
	v_fma_f64 v[171:172], v[171:172], v[22:23], v[183:184]
	v_fma_f64 v[169:170], v[169:170], v[22:23], -v[24:25]
	scratch_load_b128 v[22:25], off, off offset:928
	v_fma_f64 v[183:184], v[4:5], v[26:27], v[187:188]
	v_add_f64_e32 v[181:182], v[181:182], v[185:186]
	v_add_f64_e32 v[177:178], v[177:178], v[179:180]
	v_fma_f64 v[185:186], v[2:3], v[26:27], -v[28:29]
	ds_load_b128 v[2:5], v1 offset:1744
	s_wait_loadcnt_dscnt 0x801
	v_mul_f64_e32 v[179:180], v[173:174], v[32:33]
	v_mul_f64_e32 v[32:33], v[175:176], v[32:33]
	scratch_load_b128 v[26:29], off, off offset:944
	s_wait_loadcnt_dscnt 0x800
	v_mul_f64_e32 v[187:188], v[2:3], v[40:41]
	v_mul_f64_e32 v[40:41], v[4:5], v[40:41]
	v_add_f64_e32 v[181:182], v[181:182], v[169:170]
	v_add_f64_e32 v[177:178], v[177:178], v[171:172]
	ds_load_b128 v[169:172], v1 offset:1760
	v_fma_f64 v[175:176], v[175:176], v[30:31], v[179:180]
	v_fma_f64 v[30:31], v[173:174], v[30:31], -v[32:33]
	v_fma_f64 v[179:180], v[4:5], v[38:39], v[187:188]
	v_fma_f64 v[38:39], v[2:3], v[38:39], -v[40:41]
	v_add_f64_e32 v[32:33], v[181:182], v[185:186]
	v_add_f64_e32 v[173:174], v[177:178], v[183:184]
	s_wait_loadcnt_dscnt 0x700
	v_mul_f64_e32 v[177:178], v[169:170], v[167:168]
	v_mul_f64_e32 v[167:168], v[171:172], v[167:168]
	s_delay_alu instid0(VALU_DEP_4) | instskip(NEXT) | instid1(VALU_DEP_4)
	v_add_f64_e32 v[40:41], v[32:33], v[30:31]
	v_add_f64_e32 v[173:174], v[173:174], v[175:176]
	ds_load_b128 v[2:5], v1 offset:1776
	ds_load_b128 v[30:33], v1 offset:1792
	v_fma_f64 v[171:172], v[171:172], v[165:166], v[177:178]
	v_fma_f64 v[165:166], v[169:170], v[165:166], -v[167:168]
	s_wait_loadcnt_dscnt 0x601
	v_mul_f64_e32 v[175:176], v[2:3], v[36:37]
	v_mul_f64_e32 v[36:37], v[4:5], v[36:37]
	s_wait_loadcnt_dscnt 0x500
	v_mul_f64_e32 v[167:168], v[30:31], v[8:9]
	v_mul_f64_e32 v[8:9], v[32:33], v[8:9]
	v_add_f64_e32 v[38:39], v[40:41], v[38:39]
	v_add_f64_e32 v[40:41], v[173:174], v[179:180]
	v_fma_f64 v[169:170], v[4:5], v[34:35], v[175:176]
	v_fma_f64 v[173:174], v[2:3], v[34:35], -v[36:37]
	ds_load_b128 v[2:5], v1 offset:1808
	ds_load_b128 v[34:37], v1 offset:1824
	v_fma_f64 v[32:33], v[32:33], v[6:7], v[167:168]
	v_fma_f64 v[6:7], v[30:31], v[6:7], -v[8:9]
	v_add_f64_e32 v[38:39], v[38:39], v[165:166]
	v_add_f64_e32 v[40:41], v[40:41], v[171:172]
	s_wait_loadcnt_dscnt 0x401
	v_mul_f64_e32 v[165:166], v[2:3], v[12:13]
	v_mul_f64_e32 v[12:13], v[4:5], v[12:13]
	s_delay_alu instid0(VALU_DEP_4) | instskip(NEXT) | instid1(VALU_DEP_4)
	v_add_f64_e32 v[8:9], v[38:39], v[173:174]
	v_add_f64_e32 v[30:31], v[40:41], v[169:170]
	s_wait_loadcnt_dscnt 0x300
	v_mul_f64_e32 v[38:39], v[34:35], v[16:17]
	v_mul_f64_e32 v[16:17], v[36:37], v[16:17]
	v_fma_f64 v[40:41], v[4:5], v[10:11], v[165:166]
	v_fma_f64 v[10:11], v[2:3], v[10:11], -v[12:13]
	v_add_f64_e32 v[12:13], v[8:9], v[6:7]
	v_add_f64_e32 v[30:31], v[30:31], v[32:33]
	ds_load_b128 v[2:5], v1 offset:1840
	ds_load_b128 v[6:9], v1 offset:1856
	v_fma_f64 v[36:37], v[36:37], v[14:15], v[38:39]
	v_fma_f64 v[14:15], v[34:35], v[14:15], -v[16:17]
	s_wait_loadcnt_dscnt 0x201
	v_mul_f64_e32 v[32:33], v[2:3], v[20:21]
	v_mul_f64_e32 v[20:21], v[4:5], v[20:21]
	s_wait_loadcnt_dscnt 0x100
	v_mul_f64_e32 v[16:17], v[6:7], v[24:25]
	v_mul_f64_e32 v[24:25], v[8:9], v[24:25]
	v_add_f64_e32 v[10:11], v[12:13], v[10:11]
	v_add_f64_e32 v[12:13], v[30:31], v[40:41]
	v_fma_f64 v[30:31], v[4:5], v[18:19], v[32:33]
	v_fma_f64 v[18:19], v[2:3], v[18:19], -v[20:21]
	ds_load_b128 v[2:5], v1 offset:1872
	v_fma_f64 v[8:9], v[8:9], v[22:23], v[16:17]
	v_fma_f64 v[6:7], v[6:7], v[22:23], -v[24:25]
	v_add_f64_e32 v[10:11], v[10:11], v[14:15]
	v_add_f64_e32 v[12:13], v[12:13], v[36:37]
	s_wait_loadcnt_dscnt 0x0
	v_mul_f64_e32 v[14:15], v[2:3], v[28:29]
	v_mul_f64_e32 v[20:21], v[4:5], v[28:29]
	s_delay_alu instid0(VALU_DEP_4) | instskip(NEXT) | instid1(VALU_DEP_4)
	v_add_f64_e32 v[10:11], v[10:11], v[18:19]
	v_add_f64_e32 v[12:13], v[12:13], v[30:31]
	s_delay_alu instid0(VALU_DEP_4) | instskip(NEXT) | instid1(VALU_DEP_4)
	v_fma_f64 v[4:5], v[4:5], v[26:27], v[14:15]
	v_fma_f64 v[2:3], v[2:3], v[26:27], -v[20:21]
	s_delay_alu instid0(VALU_DEP_4) | instskip(NEXT) | instid1(VALU_DEP_4)
	v_add_f64_e32 v[6:7], v[10:11], v[6:7]
	v_add_f64_e32 v[8:9], v[12:13], v[8:9]
	s_delay_alu instid0(VALU_DEP_2) | instskip(NEXT) | instid1(VALU_DEP_2)
	v_add_f64_e32 v[2:3], v[6:7], v[2:3]
	v_add_f64_e32 v[4:5], v[8:9], v[4:5]
	s_delay_alu instid0(VALU_DEP_2) | instskip(NEXT) | instid1(VALU_DEP_2)
	v_add_f64_e64 v[2:3], v[42:43], -v[2:3]
	v_add_f64_e64 v[4:5], v[44:45], -v[4:5]
	scratch_store_b128 off, v[2:5], off offset:512
	v_cmpx_lt_u32_e32 30, v0
	s_cbranch_execz .LBB122_307
; %bb.306:
	scratch_load_b128 v[5:8], off, s42
	v_dual_mov_b32 v2, v1 :: v_dual_mov_b32 v3, v1
	v_mov_b32_e32 v4, v1
	scratch_store_b128 off, v[1:4], off offset:496
	s_wait_loadcnt 0x0
	ds_store_b128 v164, v[5:8]
.LBB122_307:
	s_wait_alu 0xfffe
	s_or_b32 exec_lo, exec_lo, s0
	s_wait_storecnt_dscnt 0x0
	s_barrier_signal -1
	s_barrier_wait -1
	global_inv scope:SCOPE_SE
	s_clause 0x8
	scratch_load_b128 v[2:5], off, off offset:512
	scratch_load_b128 v[6:9], off, off offset:528
	;; [unrolled: 1-line block ×9, first 2 shown]
	ds_load_b128 v[38:41], v1 offset:1440
	ds_load_b128 v[42:45], v1 offset:1456
	s_clause 0x1
	scratch_load_b128 v[165:168], off, off offset:496
	scratch_load_b128 v[169:172], off, off offset:656
	s_mov_b32 s0, exec_lo
	s_wait_loadcnt_dscnt 0xa01
	v_mul_f64_e32 v[173:174], v[40:41], v[4:5]
	v_mul_f64_e32 v[4:5], v[38:39], v[4:5]
	s_wait_loadcnt_dscnt 0x900
	v_mul_f64_e32 v[177:178], v[42:43], v[8:9]
	v_mul_f64_e32 v[8:9], v[44:45], v[8:9]
	s_delay_alu instid0(VALU_DEP_4) | instskip(NEXT) | instid1(VALU_DEP_4)
	v_fma_f64 v[179:180], v[38:39], v[2:3], -v[173:174]
	v_fma_f64 v[181:182], v[40:41], v[2:3], v[4:5]
	ds_load_b128 v[2:5], v1 offset:1472
	ds_load_b128 v[173:176], v1 offset:1488
	scratch_load_b128 v[38:41], off, off offset:672
	v_fma_f64 v[44:45], v[44:45], v[6:7], v[177:178]
	v_fma_f64 v[42:43], v[42:43], v[6:7], -v[8:9]
	scratch_load_b128 v[6:9], off, off offset:688
	s_wait_loadcnt_dscnt 0xa01
	v_mul_f64_e32 v[183:184], v[2:3], v[12:13]
	v_mul_f64_e32 v[12:13], v[4:5], v[12:13]
	v_add_f64_e32 v[177:178], 0, v[179:180]
	v_add_f64_e32 v[179:180], 0, v[181:182]
	s_wait_loadcnt_dscnt 0x900
	v_mul_f64_e32 v[181:182], v[173:174], v[16:17]
	v_mul_f64_e32 v[16:17], v[175:176], v[16:17]
	v_fma_f64 v[183:184], v[4:5], v[10:11], v[183:184]
	v_fma_f64 v[185:186], v[2:3], v[10:11], -v[12:13]
	ds_load_b128 v[2:5], v1 offset:1504
	scratch_load_b128 v[10:13], off, off offset:704
	v_add_f64_e32 v[177:178], v[177:178], v[42:43]
	v_add_f64_e32 v[179:180], v[179:180], v[44:45]
	ds_load_b128 v[42:45], v1 offset:1520
	v_fma_f64 v[175:176], v[175:176], v[14:15], v[181:182]
	v_fma_f64 v[173:174], v[173:174], v[14:15], -v[16:17]
	scratch_load_b128 v[14:17], off, off offset:720
	s_wait_loadcnt_dscnt 0xa01
	v_mul_f64_e32 v[187:188], v[2:3], v[20:21]
	v_mul_f64_e32 v[20:21], v[4:5], v[20:21]
	s_wait_loadcnt_dscnt 0x900
	v_mul_f64_e32 v[181:182], v[42:43], v[24:25]
	v_mul_f64_e32 v[24:25], v[44:45], v[24:25]
	v_add_f64_e32 v[177:178], v[177:178], v[185:186]
	v_add_f64_e32 v[179:180], v[179:180], v[183:184]
	v_fma_f64 v[183:184], v[4:5], v[18:19], v[187:188]
	v_fma_f64 v[185:186], v[2:3], v[18:19], -v[20:21]
	ds_load_b128 v[2:5], v1 offset:1536
	scratch_load_b128 v[18:21], off, off offset:736
	v_fma_f64 v[44:45], v[44:45], v[22:23], v[181:182]
	v_fma_f64 v[42:43], v[42:43], v[22:23], -v[24:25]
	scratch_load_b128 v[22:25], off, off offset:752
	v_add_f64_e32 v[177:178], v[177:178], v[173:174]
	v_add_f64_e32 v[179:180], v[179:180], v[175:176]
	ds_load_b128 v[173:176], v1 offset:1552
	s_wait_loadcnt_dscnt 0xa01
	v_mul_f64_e32 v[187:188], v[2:3], v[28:29]
	v_mul_f64_e32 v[28:29], v[4:5], v[28:29]
	s_wait_loadcnt_dscnt 0x900
	v_mul_f64_e32 v[181:182], v[173:174], v[32:33]
	v_mul_f64_e32 v[32:33], v[175:176], v[32:33]
	v_add_f64_e32 v[177:178], v[177:178], v[185:186]
	v_add_f64_e32 v[179:180], v[179:180], v[183:184]
	v_fma_f64 v[183:184], v[4:5], v[26:27], v[187:188]
	v_fma_f64 v[185:186], v[2:3], v[26:27], -v[28:29]
	ds_load_b128 v[2:5], v1 offset:1568
	scratch_load_b128 v[26:29], off, off offset:768
	v_fma_f64 v[175:176], v[175:176], v[30:31], v[181:182]
	v_fma_f64 v[173:174], v[173:174], v[30:31], -v[32:33]
	scratch_load_b128 v[30:33], off, off offset:784
	v_add_f64_e32 v[177:178], v[177:178], v[42:43]
	v_add_f64_e32 v[179:180], v[179:180], v[44:45]
	ds_load_b128 v[42:45], v1 offset:1584
	s_wait_loadcnt_dscnt 0xa01
	v_mul_f64_e32 v[187:188], v[2:3], v[36:37]
	v_mul_f64_e32 v[36:37], v[4:5], v[36:37]
	s_wait_loadcnt_dscnt 0x800
	v_mul_f64_e32 v[181:182], v[42:43], v[171:172]
	v_add_f64_e32 v[177:178], v[177:178], v[185:186]
	v_add_f64_e32 v[179:180], v[179:180], v[183:184]
	v_mul_f64_e32 v[183:184], v[44:45], v[171:172]
	v_fma_f64 v[185:186], v[4:5], v[34:35], v[187:188]
	v_fma_f64 v[187:188], v[2:3], v[34:35], -v[36:37]
	ds_load_b128 v[2:5], v1 offset:1600
	scratch_load_b128 v[34:37], off, off offset:800
	v_fma_f64 v[44:45], v[44:45], v[169:170], v[181:182]
	v_add_f64_e32 v[177:178], v[177:178], v[173:174]
	v_add_f64_e32 v[175:176], v[179:180], v[175:176]
	ds_load_b128 v[171:174], v1 offset:1616
	v_fma_f64 v[169:170], v[42:43], v[169:170], -v[183:184]
	s_wait_loadcnt_dscnt 0x801
	v_mul_f64_e32 v[179:180], v[2:3], v[40:41]
	v_mul_f64_e32 v[189:190], v[4:5], v[40:41]
	scratch_load_b128 v[40:43], off, off offset:816
	s_wait_loadcnt_dscnt 0x800
	v_mul_f64_e32 v[183:184], v[171:172], v[8:9]
	v_mul_f64_e32 v[8:9], v[173:174], v[8:9]
	v_add_f64_e32 v[177:178], v[177:178], v[187:188]
	v_add_f64_e32 v[175:176], v[175:176], v[185:186]
	v_fma_f64 v[185:186], v[4:5], v[38:39], v[179:180]
	v_fma_f64 v[38:39], v[2:3], v[38:39], -v[189:190]
	ds_load_b128 v[2:5], v1 offset:1632
	ds_load_b128 v[179:182], v1 offset:1648
	v_fma_f64 v[173:174], v[173:174], v[6:7], v[183:184]
	v_fma_f64 v[171:172], v[171:172], v[6:7], -v[8:9]
	scratch_load_b128 v[6:9], off, off offset:848
	v_add_f64_e32 v[169:170], v[177:178], v[169:170]
	v_add_f64_e32 v[44:45], v[175:176], v[44:45]
	scratch_load_b128 v[175:178], off, off offset:832
	s_wait_loadcnt_dscnt 0x901
	v_mul_f64_e32 v[187:188], v[2:3], v[12:13]
	v_mul_f64_e32 v[12:13], v[4:5], v[12:13]
	s_wait_loadcnt_dscnt 0x800
	v_mul_f64_e32 v[183:184], v[179:180], v[16:17]
	v_mul_f64_e32 v[16:17], v[181:182], v[16:17]
	v_add_f64_e32 v[38:39], v[169:170], v[38:39]
	v_add_f64_e32 v[44:45], v[44:45], v[185:186]
	v_fma_f64 v[185:186], v[4:5], v[10:11], v[187:188]
	v_fma_f64 v[187:188], v[2:3], v[10:11], -v[12:13]
	ds_load_b128 v[2:5], v1 offset:1664
	scratch_load_b128 v[10:13], off, off offset:864
	v_fma_f64 v[181:182], v[181:182], v[14:15], v[183:184]
	v_fma_f64 v[179:180], v[179:180], v[14:15], -v[16:17]
	scratch_load_b128 v[14:17], off, off offset:880
	v_add_f64_e32 v[38:39], v[38:39], v[171:172]
	v_add_f64_e32 v[44:45], v[44:45], v[173:174]
	ds_load_b128 v[169:172], v1 offset:1680
	s_wait_loadcnt_dscnt 0x901
	v_mul_f64_e32 v[173:174], v[2:3], v[20:21]
	v_mul_f64_e32 v[20:21], v[4:5], v[20:21]
	s_wait_loadcnt_dscnt 0x800
	v_mul_f64_e32 v[183:184], v[169:170], v[24:25]
	v_mul_f64_e32 v[24:25], v[171:172], v[24:25]
	v_add_f64_e32 v[38:39], v[38:39], v[187:188]
	v_add_f64_e32 v[44:45], v[44:45], v[185:186]
	v_fma_f64 v[173:174], v[4:5], v[18:19], v[173:174]
	v_fma_f64 v[185:186], v[2:3], v[18:19], -v[20:21]
	ds_load_b128 v[2:5], v1 offset:1696
	scratch_load_b128 v[18:21], off, off offset:896
	v_fma_f64 v[171:172], v[171:172], v[22:23], v[183:184]
	v_fma_f64 v[169:170], v[169:170], v[22:23], -v[24:25]
	scratch_load_b128 v[22:25], off, off offset:912
	v_add_f64_e32 v[38:39], v[38:39], v[179:180]
	v_add_f64_e32 v[44:45], v[44:45], v[181:182]
	ds_load_b128 v[179:182], v1 offset:1712
	s_wait_loadcnt_dscnt 0x901
	v_mul_f64_e32 v[187:188], v[2:3], v[28:29]
	v_mul_f64_e32 v[28:29], v[4:5], v[28:29]
	v_add_f64_e32 v[38:39], v[38:39], v[185:186]
	v_add_f64_e32 v[44:45], v[44:45], v[173:174]
	s_wait_loadcnt_dscnt 0x800
	v_mul_f64_e32 v[173:174], v[179:180], v[32:33]
	v_mul_f64_e32 v[32:33], v[181:182], v[32:33]
	v_fma_f64 v[183:184], v[4:5], v[26:27], v[187:188]
	v_fma_f64 v[185:186], v[2:3], v[26:27], -v[28:29]
	ds_load_b128 v[2:5], v1 offset:1728
	scratch_load_b128 v[26:29], off, off offset:928
	v_add_f64_e32 v[38:39], v[38:39], v[169:170]
	v_add_f64_e32 v[44:45], v[44:45], v[171:172]
	ds_load_b128 v[169:172], v1 offset:1744
	s_wait_loadcnt_dscnt 0x801
	v_mul_f64_e32 v[187:188], v[2:3], v[36:37]
	v_mul_f64_e32 v[36:37], v[4:5], v[36:37]
	v_fma_f64 v[173:174], v[181:182], v[30:31], v[173:174]
	v_fma_f64 v[179:180], v[179:180], v[30:31], -v[32:33]
	scratch_load_b128 v[30:33], off, off offset:944
	s_wait_loadcnt_dscnt 0x800
	v_mul_f64_e32 v[181:182], v[169:170], v[42:43]
	v_add_f64_e32 v[38:39], v[38:39], v[185:186]
	v_add_f64_e32 v[44:45], v[44:45], v[183:184]
	v_mul_f64_e32 v[42:43], v[171:172], v[42:43]
	v_fma_f64 v[183:184], v[4:5], v[34:35], v[187:188]
	v_fma_f64 v[185:186], v[2:3], v[34:35], -v[36:37]
	ds_load_b128 v[2:5], v1 offset:1760
	ds_load_b128 v[34:37], v1 offset:1776
	v_fma_f64 v[171:172], v[171:172], v[40:41], v[181:182]
	v_add_f64_e32 v[38:39], v[38:39], v[179:180]
	v_add_f64_e32 v[44:45], v[44:45], v[173:174]
	v_fma_f64 v[40:41], v[169:170], v[40:41], -v[42:43]
	s_wait_loadcnt_dscnt 0x601
	v_mul_f64_e32 v[173:174], v[2:3], v[177:178]
	v_mul_f64_e32 v[177:178], v[4:5], v[177:178]
	v_add_f64_e32 v[38:39], v[38:39], v[185:186]
	v_add_f64_e32 v[42:43], v[44:45], v[183:184]
	s_wait_dscnt 0x0
	v_mul_f64_e32 v[44:45], v[34:35], v[8:9]
	v_mul_f64_e32 v[8:9], v[36:37], v[8:9]
	v_fma_f64 v[169:170], v[4:5], v[175:176], v[173:174]
	v_fma_f64 v[173:174], v[2:3], v[175:176], -v[177:178]
	v_add_f64_e32 v[175:176], v[38:39], v[40:41]
	v_add_f64_e32 v[42:43], v[42:43], v[171:172]
	ds_load_b128 v[2:5], v1 offset:1792
	ds_load_b128 v[38:41], v1 offset:1808
	v_fma_f64 v[36:37], v[36:37], v[6:7], v[44:45]
	v_fma_f64 v[6:7], v[34:35], v[6:7], -v[8:9]
	s_wait_loadcnt_dscnt 0x501
	v_mul_f64_e32 v[171:172], v[2:3], v[12:13]
	v_mul_f64_e32 v[12:13], v[4:5], v[12:13]
	v_add_f64_e32 v[8:9], v[175:176], v[173:174]
	v_add_f64_e32 v[34:35], v[42:43], v[169:170]
	s_wait_loadcnt_dscnt 0x400
	v_mul_f64_e32 v[42:43], v[38:39], v[16:17]
	v_mul_f64_e32 v[16:17], v[40:41], v[16:17]
	v_fma_f64 v[44:45], v[4:5], v[10:11], v[171:172]
	v_fma_f64 v[10:11], v[2:3], v[10:11], -v[12:13]
	v_add_f64_e32 v[12:13], v[8:9], v[6:7]
	v_add_f64_e32 v[34:35], v[34:35], v[36:37]
	ds_load_b128 v[2:5], v1 offset:1824
	ds_load_b128 v[6:9], v1 offset:1840
	v_fma_f64 v[40:41], v[40:41], v[14:15], v[42:43]
	v_fma_f64 v[14:15], v[38:39], v[14:15], -v[16:17]
	s_wait_loadcnt_dscnt 0x301
	v_mul_f64_e32 v[36:37], v[2:3], v[20:21]
	v_mul_f64_e32 v[20:21], v[4:5], v[20:21]
	s_wait_loadcnt_dscnt 0x200
	v_mul_f64_e32 v[16:17], v[6:7], v[24:25]
	v_mul_f64_e32 v[24:25], v[8:9], v[24:25]
	v_add_f64_e32 v[10:11], v[12:13], v[10:11]
	v_add_f64_e32 v[12:13], v[34:35], v[44:45]
	v_fma_f64 v[34:35], v[4:5], v[18:19], v[36:37]
	v_fma_f64 v[18:19], v[2:3], v[18:19], -v[20:21]
	v_fma_f64 v[8:9], v[8:9], v[22:23], v[16:17]
	v_fma_f64 v[6:7], v[6:7], v[22:23], -v[24:25]
	v_add_f64_e32 v[14:15], v[10:11], v[14:15]
	v_add_f64_e32 v[20:21], v[12:13], v[40:41]
	ds_load_b128 v[2:5], v1 offset:1856
	ds_load_b128 v[10:13], v1 offset:1872
	s_wait_loadcnt_dscnt 0x101
	v_mul_f64_e32 v[36:37], v[2:3], v[28:29]
	v_mul_f64_e32 v[28:29], v[4:5], v[28:29]
	v_add_f64_e32 v[14:15], v[14:15], v[18:19]
	v_add_f64_e32 v[16:17], v[20:21], v[34:35]
	s_wait_loadcnt_dscnt 0x0
	v_mul_f64_e32 v[18:19], v[10:11], v[32:33]
	v_mul_f64_e32 v[20:21], v[12:13], v[32:33]
	v_fma_f64 v[4:5], v[4:5], v[26:27], v[36:37]
	v_fma_f64 v[1:2], v[2:3], v[26:27], -v[28:29]
	v_add_f64_e32 v[6:7], v[14:15], v[6:7]
	v_add_f64_e32 v[8:9], v[16:17], v[8:9]
	v_fma_f64 v[12:13], v[12:13], v[30:31], v[18:19]
	v_fma_f64 v[10:11], v[10:11], v[30:31], -v[20:21]
	s_delay_alu instid0(VALU_DEP_4) | instskip(NEXT) | instid1(VALU_DEP_4)
	v_add_f64_e32 v[1:2], v[6:7], v[1:2]
	v_add_f64_e32 v[3:4], v[8:9], v[4:5]
	s_delay_alu instid0(VALU_DEP_2) | instskip(NEXT) | instid1(VALU_DEP_2)
	v_add_f64_e32 v[1:2], v[1:2], v[10:11]
	v_add_f64_e32 v[3:4], v[3:4], v[12:13]
	s_delay_alu instid0(VALU_DEP_2) | instskip(NEXT) | instid1(VALU_DEP_2)
	v_add_f64_e64 v[1:2], v[165:166], -v[1:2]
	v_add_f64_e64 v[3:4], v[167:168], -v[3:4]
	scratch_store_b128 off, v[1:4], off offset:496
	v_cmpx_lt_u32_e32 29, v0
	s_cbranch_execz .LBB122_309
; %bb.308:
	scratch_load_b128 v[1:4], off, s43
	v_mov_b32_e32 v5, 0
	s_delay_alu instid0(VALU_DEP_1)
	v_dual_mov_b32 v6, v5 :: v_dual_mov_b32 v7, v5
	v_mov_b32_e32 v8, v5
	scratch_store_b128 off, v[5:8], off offset:480
	s_wait_loadcnt 0x0
	ds_store_b128 v164, v[1:4]
.LBB122_309:
	s_wait_alu 0xfffe
	s_or_b32 exec_lo, exec_lo, s0
	s_wait_storecnt_dscnt 0x0
	s_barrier_signal -1
	s_barrier_wait -1
	global_inv scope:SCOPE_SE
	s_clause 0x7
	scratch_load_b128 v[2:5], off, off offset:496
	scratch_load_b128 v[6:9], off, off offset:512
	scratch_load_b128 v[10:13], off, off offset:528
	scratch_load_b128 v[14:17], off, off offset:544
	scratch_load_b128 v[18:21], off, off offset:560
	scratch_load_b128 v[22:25], off, off offset:576
	scratch_load_b128 v[26:29], off, off offset:592
	scratch_load_b128 v[30:33], off, off offset:608
	v_mov_b32_e32 v1, 0
	s_mov_b32 s0, exec_lo
	ds_load_b128 v[34:37], v1 offset:1424
	s_clause 0x1
	scratch_load_b128 v[38:41], off, off offset:624
	scratch_load_b128 v[42:45], off, off offset:480
	ds_load_b128 v[165:168], v1 offset:1440
	scratch_load_b128 v[169:172], off, off offset:640
	s_wait_loadcnt_dscnt 0xa01
	v_mul_f64_e32 v[173:174], v[36:37], v[4:5]
	v_mul_f64_e32 v[4:5], v[34:35], v[4:5]
	s_delay_alu instid0(VALU_DEP_2) | instskip(NEXT) | instid1(VALU_DEP_2)
	v_fma_f64 v[179:180], v[34:35], v[2:3], -v[173:174]
	v_fma_f64 v[181:182], v[36:37], v[2:3], v[4:5]
	ds_load_b128 v[2:5], v1 offset:1456
	s_wait_loadcnt_dscnt 0x901
	v_mul_f64_e32 v[177:178], v[165:166], v[8:9]
	v_mul_f64_e32 v[8:9], v[167:168], v[8:9]
	scratch_load_b128 v[34:37], off, off offset:656
	ds_load_b128 v[173:176], v1 offset:1472
	s_wait_loadcnt_dscnt 0x901
	v_mul_f64_e32 v[183:184], v[2:3], v[12:13]
	v_mul_f64_e32 v[12:13], v[4:5], v[12:13]
	v_fma_f64 v[167:168], v[167:168], v[6:7], v[177:178]
	v_fma_f64 v[165:166], v[165:166], v[6:7], -v[8:9]
	v_add_f64_e32 v[177:178], 0, v[179:180]
	v_add_f64_e32 v[179:180], 0, v[181:182]
	scratch_load_b128 v[6:9], off, off offset:672
	v_fma_f64 v[183:184], v[4:5], v[10:11], v[183:184]
	v_fma_f64 v[185:186], v[2:3], v[10:11], -v[12:13]
	ds_load_b128 v[2:5], v1 offset:1488
	s_wait_loadcnt_dscnt 0x901
	v_mul_f64_e32 v[181:182], v[173:174], v[16:17]
	v_mul_f64_e32 v[16:17], v[175:176], v[16:17]
	scratch_load_b128 v[10:13], off, off offset:688
	v_add_f64_e32 v[177:178], v[177:178], v[165:166]
	v_add_f64_e32 v[179:180], v[179:180], v[167:168]
	s_wait_loadcnt_dscnt 0x900
	v_mul_f64_e32 v[187:188], v[2:3], v[20:21]
	v_mul_f64_e32 v[20:21], v[4:5], v[20:21]
	ds_load_b128 v[165:168], v1 offset:1504
	v_fma_f64 v[175:176], v[175:176], v[14:15], v[181:182]
	v_fma_f64 v[173:174], v[173:174], v[14:15], -v[16:17]
	scratch_load_b128 v[14:17], off, off offset:704
	v_add_f64_e32 v[177:178], v[177:178], v[185:186]
	v_add_f64_e32 v[179:180], v[179:180], v[183:184]
	v_fma_f64 v[183:184], v[4:5], v[18:19], v[187:188]
	v_fma_f64 v[185:186], v[2:3], v[18:19], -v[20:21]
	ds_load_b128 v[2:5], v1 offset:1520
	s_wait_loadcnt_dscnt 0x901
	v_mul_f64_e32 v[181:182], v[165:166], v[24:25]
	v_mul_f64_e32 v[24:25], v[167:168], v[24:25]
	scratch_load_b128 v[18:21], off, off offset:720
	s_wait_loadcnt_dscnt 0x900
	v_mul_f64_e32 v[187:188], v[2:3], v[28:29]
	v_mul_f64_e32 v[28:29], v[4:5], v[28:29]
	v_add_f64_e32 v[177:178], v[177:178], v[173:174]
	v_add_f64_e32 v[179:180], v[179:180], v[175:176]
	ds_load_b128 v[173:176], v1 offset:1536
	v_fma_f64 v[167:168], v[167:168], v[22:23], v[181:182]
	v_fma_f64 v[165:166], v[165:166], v[22:23], -v[24:25]
	scratch_load_b128 v[22:25], off, off offset:736
	v_add_f64_e32 v[177:178], v[177:178], v[185:186]
	v_add_f64_e32 v[179:180], v[179:180], v[183:184]
	v_fma_f64 v[183:184], v[4:5], v[26:27], v[187:188]
	v_fma_f64 v[185:186], v[2:3], v[26:27], -v[28:29]
	ds_load_b128 v[2:5], v1 offset:1552
	s_wait_loadcnt_dscnt 0x901
	v_mul_f64_e32 v[181:182], v[173:174], v[32:33]
	v_mul_f64_e32 v[32:33], v[175:176], v[32:33]
	scratch_load_b128 v[26:29], off, off offset:752
	s_wait_loadcnt_dscnt 0x900
	v_mul_f64_e32 v[187:188], v[2:3], v[40:41]
	v_mul_f64_e32 v[40:41], v[4:5], v[40:41]
	v_add_f64_e32 v[177:178], v[177:178], v[165:166]
	v_add_f64_e32 v[179:180], v[179:180], v[167:168]
	ds_load_b128 v[165:168], v1 offset:1568
	v_fma_f64 v[175:176], v[175:176], v[30:31], v[181:182]
	v_fma_f64 v[173:174], v[173:174], v[30:31], -v[32:33]
	scratch_load_b128 v[30:33], off, off offset:768
	v_add_f64_e32 v[177:178], v[177:178], v[185:186]
	v_add_f64_e32 v[179:180], v[179:180], v[183:184]
	v_fma_f64 v[185:186], v[4:5], v[38:39], v[187:188]
	v_fma_f64 v[187:188], v[2:3], v[38:39], -v[40:41]
	ds_load_b128 v[2:5], v1 offset:1584
	s_wait_loadcnt_dscnt 0x801
	v_mul_f64_e32 v[181:182], v[165:166], v[171:172]
	v_mul_f64_e32 v[183:184], v[167:168], v[171:172]
	scratch_load_b128 v[38:41], off, off offset:784
	v_add_f64_e32 v[177:178], v[177:178], v[173:174]
	v_add_f64_e32 v[175:176], v[179:180], v[175:176]
	ds_load_b128 v[171:174], v1 offset:1600
	v_fma_f64 v[181:182], v[167:168], v[169:170], v[181:182]
	v_fma_f64 v[169:170], v[165:166], v[169:170], -v[183:184]
	scratch_load_b128 v[165:168], off, off offset:800
	s_wait_loadcnt_dscnt 0x901
	v_mul_f64_e32 v[179:180], v[2:3], v[36:37]
	v_mul_f64_e32 v[36:37], v[4:5], v[36:37]
	v_add_f64_e32 v[177:178], v[177:178], v[187:188]
	v_add_f64_e32 v[175:176], v[175:176], v[185:186]
	s_delay_alu instid0(VALU_DEP_4) | instskip(NEXT) | instid1(VALU_DEP_4)
	v_fma_f64 v[179:180], v[4:5], v[34:35], v[179:180]
	v_fma_f64 v[185:186], v[2:3], v[34:35], -v[36:37]
	ds_load_b128 v[2:5], v1 offset:1616
	s_wait_loadcnt_dscnt 0x801
	v_mul_f64_e32 v[183:184], v[171:172], v[8:9]
	v_mul_f64_e32 v[8:9], v[173:174], v[8:9]
	scratch_load_b128 v[34:37], off, off offset:816
	s_wait_loadcnt_dscnt 0x800
	v_mul_f64_e32 v[187:188], v[2:3], v[12:13]
	v_add_f64_e32 v[169:170], v[177:178], v[169:170]
	v_add_f64_e32 v[181:182], v[175:176], v[181:182]
	v_mul_f64_e32 v[12:13], v[4:5], v[12:13]
	ds_load_b128 v[175:178], v1 offset:1632
	v_fma_f64 v[173:174], v[173:174], v[6:7], v[183:184]
	v_fma_f64 v[171:172], v[171:172], v[6:7], -v[8:9]
	scratch_load_b128 v[6:9], off, off offset:832
	v_fma_f64 v[183:184], v[4:5], v[10:11], v[187:188]
	v_add_f64_e32 v[169:170], v[169:170], v[185:186]
	v_add_f64_e32 v[179:180], v[181:182], v[179:180]
	v_fma_f64 v[185:186], v[2:3], v[10:11], -v[12:13]
	ds_load_b128 v[2:5], v1 offset:1648
	s_wait_loadcnt_dscnt 0x801
	v_mul_f64_e32 v[181:182], v[175:176], v[16:17]
	v_mul_f64_e32 v[16:17], v[177:178], v[16:17]
	scratch_load_b128 v[10:13], off, off offset:848
	v_add_f64_e32 v[187:188], v[169:170], v[171:172]
	v_add_f64_e32 v[173:174], v[179:180], v[173:174]
	s_wait_loadcnt_dscnt 0x800
	v_mul_f64_e32 v[179:180], v[2:3], v[20:21]
	v_mul_f64_e32 v[20:21], v[4:5], v[20:21]
	v_fma_f64 v[177:178], v[177:178], v[14:15], v[181:182]
	v_fma_f64 v[175:176], v[175:176], v[14:15], -v[16:17]
	ds_load_b128 v[169:172], v1 offset:1664
	scratch_load_b128 v[14:17], off, off offset:864
	v_add_f64_e32 v[181:182], v[187:188], v[185:186]
	v_add_f64_e32 v[173:174], v[173:174], v[183:184]
	v_fma_f64 v[179:180], v[4:5], v[18:19], v[179:180]
	v_fma_f64 v[185:186], v[2:3], v[18:19], -v[20:21]
	ds_load_b128 v[2:5], v1 offset:1680
	s_wait_loadcnt_dscnt 0x801
	v_mul_f64_e32 v[183:184], v[169:170], v[24:25]
	v_mul_f64_e32 v[24:25], v[171:172], v[24:25]
	scratch_load_b128 v[18:21], off, off offset:880
	s_wait_loadcnt_dscnt 0x800
	v_mul_f64_e32 v[187:188], v[2:3], v[28:29]
	v_mul_f64_e32 v[28:29], v[4:5], v[28:29]
	v_add_f64_e32 v[181:182], v[181:182], v[175:176]
	v_add_f64_e32 v[177:178], v[173:174], v[177:178]
	ds_load_b128 v[173:176], v1 offset:1696
	v_fma_f64 v[171:172], v[171:172], v[22:23], v[183:184]
	v_fma_f64 v[169:170], v[169:170], v[22:23], -v[24:25]
	scratch_load_b128 v[22:25], off, off offset:896
	v_fma_f64 v[183:184], v[4:5], v[26:27], v[187:188]
	v_add_f64_e32 v[181:182], v[181:182], v[185:186]
	v_add_f64_e32 v[177:178], v[177:178], v[179:180]
	v_fma_f64 v[185:186], v[2:3], v[26:27], -v[28:29]
	ds_load_b128 v[2:5], v1 offset:1712
	s_wait_loadcnt_dscnt 0x801
	v_mul_f64_e32 v[179:180], v[173:174], v[32:33]
	v_mul_f64_e32 v[32:33], v[175:176], v[32:33]
	scratch_load_b128 v[26:29], off, off offset:912
	s_wait_loadcnt_dscnt 0x800
	v_mul_f64_e32 v[187:188], v[2:3], v[40:41]
	v_mul_f64_e32 v[40:41], v[4:5], v[40:41]
	v_add_f64_e32 v[181:182], v[181:182], v[169:170]
	v_add_f64_e32 v[177:178], v[177:178], v[171:172]
	ds_load_b128 v[169:172], v1 offset:1728
	v_fma_f64 v[175:176], v[175:176], v[30:31], v[179:180]
	v_fma_f64 v[173:174], v[173:174], v[30:31], -v[32:33]
	scratch_load_b128 v[30:33], off, off offset:928
	v_add_f64_e32 v[179:180], v[181:182], v[185:186]
	v_add_f64_e32 v[177:178], v[177:178], v[183:184]
	v_fma_f64 v[183:184], v[4:5], v[38:39], v[187:188]
	v_fma_f64 v[185:186], v[2:3], v[38:39], -v[40:41]
	ds_load_b128 v[2:5], v1 offset:1744
	s_wait_loadcnt_dscnt 0x801
	v_mul_f64_e32 v[181:182], v[169:170], v[167:168]
	v_mul_f64_e32 v[167:168], v[171:172], v[167:168]
	scratch_load_b128 v[38:41], off, off offset:944
	s_wait_loadcnt_dscnt 0x800
	v_mul_f64_e32 v[187:188], v[2:3], v[36:37]
	v_mul_f64_e32 v[36:37], v[4:5], v[36:37]
	v_add_f64_e32 v[179:180], v[179:180], v[173:174]
	v_add_f64_e32 v[177:178], v[177:178], v[175:176]
	ds_load_b128 v[173:176], v1 offset:1760
	v_fma_f64 v[171:172], v[171:172], v[165:166], v[181:182]
	v_fma_f64 v[165:166], v[169:170], v[165:166], -v[167:168]
	v_fma_f64 v[181:182], v[2:3], v[34:35], -v[36:37]
	v_add_f64_e32 v[167:168], v[179:180], v[185:186]
	v_add_f64_e32 v[169:170], v[177:178], v[183:184]
	s_wait_loadcnt_dscnt 0x700
	v_mul_f64_e32 v[177:178], v[173:174], v[8:9]
	v_mul_f64_e32 v[8:9], v[175:176], v[8:9]
	v_fma_f64 v[179:180], v[4:5], v[34:35], v[187:188]
	ds_load_b128 v[2:5], v1 offset:1776
	ds_load_b128 v[34:37], v1 offset:1792
	v_add_f64_e32 v[165:166], v[167:168], v[165:166]
	v_add_f64_e32 v[167:168], v[169:170], v[171:172]
	s_wait_loadcnt_dscnt 0x601
	v_mul_f64_e32 v[169:170], v[2:3], v[12:13]
	v_mul_f64_e32 v[12:13], v[4:5], v[12:13]
	v_fma_f64 v[171:172], v[175:176], v[6:7], v[177:178]
	v_fma_f64 v[6:7], v[173:174], v[6:7], -v[8:9]
	v_add_f64_e32 v[8:9], v[165:166], v[181:182]
	v_add_f64_e32 v[165:166], v[167:168], v[179:180]
	s_wait_loadcnt_dscnt 0x500
	v_mul_f64_e32 v[167:168], v[34:35], v[16:17]
	v_mul_f64_e32 v[16:17], v[36:37], v[16:17]
	v_fma_f64 v[169:170], v[4:5], v[10:11], v[169:170]
	v_fma_f64 v[10:11], v[2:3], v[10:11], -v[12:13]
	v_add_f64_e32 v[12:13], v[8:9], v[6:7]
	v_add_f64_e32 v[165:166], v[165:166], v[171:172]
	ds_load_b128 v[2:5], v1 offset:1808
	ds_load_b128 v[6:9], v1 offset:1824
	v_fma_f64 v[36:37], v[36:37], v[14:15], v[167:168]
	v_fma_f64 v[14:15], v[34:35], v[14:15], -v[16:17]
	s_wait_loadcnt_dscnt 0x401
	v_mul_f64_e32 v[171:172], v[2:3], v[20:21]
	v_mul_f64_e32 v[20:21], v[4:5], v[20:21]
	s_wait_loadcnt_dscnt 0x300
	v_mul_f64_e32 v[16:17], v[6:7], v[24:25]
	v_mul_f64_e32 v[24:25], v[8:9], v[24:25]
	v_add_f64_e32 v[10:11], v[12:13], v[10:11]
	v_add_f64_e32 v[12:13], v[165:166], v[169:170]
	v_fma_f64 v[34:35], v[4:5], v[18:19], v[171:172]
	v_fma_f64 v[18:19], v[2:3], v[18:19], -v[20:21]
	v_fma_f64 v[8:9], v[8:9], v[22:23], v[16:17]
	v_fma_f64 v[6:7], v[6:7], v[22:23], -v[24:25]
	v_add_f64_e32 v[14:15], v[10:11], v[14:15]
	v_add_f64_e32 v[20:21], v[12:13], v[36:37]
	ds_load_b128 v[2:5], v1 offset:1840
	ds_load_b128 v[10:13], v1 offset:1856
	s_wait_loadcnt_dscnt 0x201
	v_mul_f64_e32 v[36:37], v[2:3], v[28:29]
	v_mul_f64_e32 v[28:29], v[4:5], v[28:29]
	v_add_f64_e32 v[14:15], v[14:15], v[18:19]
	v_add_f64_e32 v[16:17], v[20:21], v[34:35]
	s_wait_loadcnt_dscnt 0x100
	v_mul_f64_e32 v[18:19], v[10:11], v[32:33]
	v_mul_f64_e32 v[20:21], v[12:13], v[32:33]
	v_fma_f64 v[22:23], v[4:5], v[26:27], v[36:37]
	v_fma_f64 v[24:25], v[2:3], v[26:27], -v[28:29]
	ds_load_b128 v[2:5], v1 offset:1872
	v_add_f64_e32 v[6:7], v[14:15], v[6:7]
	v_add_f64_e32 v[8:9], v[16:17], v[8:9]
	v_fma_f64 v[12:13], v[12:13], v[30:31], v[18:19]
	v_fma_f64 v[10:11], v[10:11], v[30:31], -v[20:21]
	s_wait_loadcnt_dscnt 0x0
	v_mul_f64_e32 v[14:15], v[2:3], v[40:41]
	v_mul_f64_e32 v[16:17], v[4:5], v[40:41]
	v_add_f64_e32 v[6:7], v[6:7], v[24:25]
	v_add_f64_e32 v[8:9], v[8:9], v[22:23]
	s_delay_alu instid0(VALU_DEP_4) | instskip(NEXT) | instid1(VALU_DEP_4)
	v_fma_f64 v[4:5], v[4:5], v[38:39], v[14:15]
	v_fma_f64 v[2:3], v[2:3], v[38:39], -v[16:17]
	s_delay_alu instid0(VALU_DEP_4) | instskip(NEXT) | instid1(VALU_DEP_4)
	v_add_f64_e32 v[6:7], v[6:7], v[10:11]
	v_add_f64_e32 v[8:9], v[8:9], v[12:13]
	s_delay_alu instid0(VALU_DEP_2) | instskip(NEXT) | instid1(VALU_DEP_2)
	v_add_f64_e32 v[2:3], v[6:7], v[2:3]
	v_add_f64_e32 v[4:5], v[8:9], v[4:5]
	s_delay_alu instid0(VALU_DEP_2) | instskip(NEXT) | instid1(VALU_DEP_2)
	v_add_f64_e64 v[2:3], v[42:43], -v[2:3]
	v_add_f64_e64 v[4:5], v[44:45], -v[4:5]
	scratch_store_b128 off, v[2:5], off offset:480
	v_cmpx_lt_u32_e32 28, v0
	s_cbranch_execz .LBB122_311
; %bb.310:
	scratch_load_b128 v[5:8], off, s44
	v_dual_mov_b32 v2, v1 :: v_dual_mov_b32 v3, v1
	v_mov_b32_e32 v4, v1
	scratch_store_b128 off, v[1:4], off offset:464
	s_wait_loadcnt 0x0
	ds_store_b128 v164, v[5:8]
.LBB122_311:
	s_wait_alu 0xfffe
	s_or_b32 exec_lo, exec_lo, s0
	s_wait_storecnt_dscnt 0x0
	s_barrier_signal -1
	s_barrier_wait -1
	global_inv scope:SCOPE_SE
	s_clause 0x8
	scratch_load_b128 v[2:5], off, off offset:480
	scratch_load_b128 v[6:9], off, off offset:496
	;; [unrolled: 1-line block ×9, first 2 shown]
	ds_load_b128 v[38:41], v1 offset:1408
	ds_load_b128 v[42:45], v1 offset:1424
	s_clause 0x1
	scratch_load_b128 v[165:168], off, off offset:464
	scratch_load_b128 v[169:172], off, off offset:624
	s_mov_b32 s0, exec_lo
	s_wait_loadcnt_dscnt 0xa01
	v_mul_f64_e32 v[173:174], v[40:41], v[4:5]
	v_mul_f64_e32 v[4:5], v[38:39], v[4:5]
	s_wait_loadcnt_dscnt 0x900
	v_mul_f64_e32 v[177:178], v[42:43], v[8:9]
	v_mul_f64_e32 v[8:9], v[44:45], v[8:9]
	s_delay_alu instid0(VALU_DEP_4) | instskip(NEXT) | instid1(VALU_DEP_4)
	v_fma_f64 v[179:180], v[38:39], v[2:3], -v[173:174]
	v_fma_f64 v[181:182], v[40:41], v[2:3], v[4:5]
	ds_load_b128 v[2:5], v1 offset:1440
	ds_load_b128 v[173:176], v1 offset:1456
	scratch_load_b128 v[38:41], off, off offset:640
	v_fma_f64 v[44:45], v[44:45], v[6:7], v[177:178]
	v_fma_f64 v[42:43], v[42:43], v[6:7], -v[8:9]
	scratch_load_b128 v[6:9], off, off offset:656
	s_wait_loadcnt_dscnt 0xa01
	v_mul_f64_e32 v[183:184], v[2:3], v[12:13]
	v_mul_f64_e32 v[12:13], v[4:5], v[12:13]
	v_add_f64_e32 v[177:178], 0, v[179:180]
	v_add_f64_e32 v[179:180], 0, v[181:182]
	s_wait_loadcnt_dscnt 0x900
	v_mul_f64_e32 v[181:182], v[173:174], v[16:17]
	v_mul_f64_e32 v[16:17], v[175:176], v[16:17]
	v_fma_f64 v[183:184], v[4:5], v[10:11], v[183:184]
	v_fma_f64 v[185:186], v[2:3], v[10:11], -v[12:13]
	ds_load_b128 v[2:5], v1 offset:1472
	scratch_load_b128 v[10:13], off, off offset:672
	v_add_f64_e32 v[177:178], v[177:178], v[42:43]
	v_add_f64_e32 v[179:180], v[179:180], v[44:45]
	ds_load_b128 v[42:45], v1 offset:1488
	v_fma_f64 v[175:176], v[175:176], v[14:15], v[181:182]
	v_fma_f64 v[173:174], v[173:174], v[14:15], -v[16:17]
	scratch_load_b128 v[14:17], off, off offset:688
	s_wait_loadcnt_dscnt 0xa01
	v_mul_f64_e32 v[187:188], v[2:3], v[20:21]
	v_mul_f64_e32 v[20:21], v[4:5], v[20:21]
	s_wait_loadcnt_dscnt 0x900
	v_mul_f64_e32 v[181:182], v[42:43], v[24:25]
	v_mul_f64_e32 v[24:25], v[44:45], v[24:25]
	v_add_f64_e32 v[177:178], v[177:178], v[185:186]
	v_add_f64_e32 v[179:180], v[179:180], v[183:184]
	v_fma_f64 v[183:184], v[4:5], v[18:19], v[187:188]
	v_fma_f64 v[185:186], v[2:3], v[18:19], -v[20:21]
	ds_load_b128 v[2:5], v1 offset:1504
	scratch_load_b128 v[18:21], off, off offset:704
	v_fma_f64 v[44:45], v[44:45], v[22:23], v[181:182]
	v_fma_f64 v[42:43], v[42:43], v[22:23], -v[24:25]
	scratch_load_b128 v[22:25], off, off offset:720
	v_add_f64_e32 v[177:178], v[177:178], v[173:174]
	v_add_f64_e32 v[179:180], v[179:180], v[175:176]
	ds_load_b128 v[173:176], v1 offset:1520
	s_wait_loadcnt_dscnt 0xa01
	v_mul_f64_e32 v[187:188], v[2:3], v[28:29]
	v_mul_f64_e32 v[28:29], v[4:5], v[28:29]
	s_wait_loadcnt_dscnt 0x900
	v_mul_f64_e32 v[181:182], v[173:174], v[32:33]
	v_mul_f64_e32 v[32:33], v[175:176], v[32:33]
	v_add_f64_e32 v[177:178], v[177:178], v[185:186]
	v_add_f64_e32 v[179:180], v[179:180], v[183:184]
	v_fma_f64 v[183:184], v[4:5], v[26:27], v[187:188]
	v_fma_f64 v[185:186], v[2:3], v[26:27], -v[28:29]
	ds_load_b128 v[2:5], v1 offset:1536
	scratch_load_b128 v[26:29], off, off offset:736
	v_fma_f64 v[175:176], v[175:176], v[30:31], v[181:182]
	v_fma_f64 v[173:174], v[173:174], v[30:31], -v[32:33]
	scratch_load_b128 v[30:33], off, off offset:752
	v_add_f64_e32 v[177:178], v[177:178], v[42:43]
	v_add_f64_e32 v[179:180], v[179:180], v[44:45]
	ds_load_b128 v[42:45], v1 offset:1552
	s_wait_loadcnt_dscnt 0xa01
	v_mul_f64_e32 v[187:188], v[2:3], v[36:37]
	v_mul_f64_e32 v[36:37], v[4:5], v[36:37]
	s_wait_loadcnt_dscnt 0x800
	v_mul_f64_e32 v[181:182], v[42:43], v[171:172]
	v_add_f64_e32 v[177:178], v[177:178], v[185:186]
	v_add_f64_e32 v[179:180], v[179:180], v[183:184]
	v_mul_f64_e32 v[183:184], v[44:45], v[171:172]
	v_fma_f64 v[185:186], v[4:5], v[34:35], v[187:188]
	v_fma_f64 v[187:188], v[2:3], v[34:35], -v[36:37]
	ds_load_b128 v[2:5], v1 offset:1568
	scratch_load_b128 v[34:37], off, off offset:768
	v_fma_f64 v[44:45], v[44:45], v[169:170], v[181:182]
	v_add_f64_e32 v[177:178], v[177:178], v[173:174]
	v_add_f64_e32 v[175:176], v[179:180], v[175:176]
	ds_load_b128 v[171:174], v1 offset:1584
	v_fma_f64 v[169:170], v[42:43], v[169:170], -v[183:184]
	s_wait_loadcnt_dscnt 0x801
	v_mul_f64_e32 v[179:180], v[2:3], v[40:41]
	v_mul_f64_e32 v[189:190], v[4:5], v[40:41]
	scratch_load_b128 v[40:43], off, off offset:784
	s_wait_loadcnt_dscnt 0x800
	v_mul_f64_e32 v[183:184], v[171:172], v[8:9]
	v_mul_f64_e32 v[8:9], v[173:174], v[8:9]
	v_add_f64_e32 v[177:178], v[177:178], v[187:188]
	v_add_f64_e32 v[175:176], v[175:176], v[185:186]
	v_fma_f64 v[185:186], v[4:5], v[38:39], v[179:180]
	v_fma_f64 v[38:39], v[2:3], v[38:39], -v[189:190]
	ds_load_b128 v[2:5], v1 offset:1600
	ds_load_b128 v[179:182], v1 offset:1616
	v_fma_f64 v[173:174], v[173:174], v[6:7], v[183:184]
	v_fma_f64 v[171:172], v[171:172], v[6:7], -v[8:9]
	scratch_load_b128 v[6:9], off, off offset:816
	v_add_f64_e32 v[169:170], v[177:178], v[169:170]
	v_add_f64_e32 v[44:45], v[175:176], v[44:45]
	scratch_load_b128 v[175:178], off, off offset:800
	s_wait_loadcnt_dscnt 0x901
	v_mul_f64_e32 v[187:188], v[2:3], v[12:13]
	v_mul_f64_e32 v[12:13], v[4:5], v[12:13]
	s_wait_loadcnt_dscnt 0x800
	v_mul_f64_e32 v[183:184], v[179:180], v[16:17]
	v_mul_f64_e32 v[16:17], v[181:182], v[16:17]
	v_add_f64_e32 v[38:39], v[169:170], v[38:39]
	v_add_f64_e32 v[44:45], v[44:45], v[185:186]
	v_fma_f64 v[185:186], v[4:5], v[10:11], v[187:188]
	v_fma_f64 v[187:188], v[2:3], v[10:11], -v[12:13]
	ds_load_b128 v[2:5], v1 offset:1632
	scratch_load_b128 v[10:13], off, off offset:832
	v_fma_f64 v[181:182], v[181:182], v[14:15], v[183:184]
	v_fma_f64 v[179:180], v[179:180], v[14:15], -v[16:17]
	scratch_load_b128 v[14:17], off, off offset:848
	v_add_f64_e32 v[38:39], v[38:39], v[171:172]
	v_add_f64_e32 v[44:45], v[44:45], v[173:174]
	ds_load_b128 v[169:172], v1 offset:1648
	s_wait_loadcnt_dscnt 0x901
	v_mul_f64_e32 v[173:174], v[2:3], v[20:21]
	v_mul_f64_e32 v[20:21], v[4:5], v[20:21]
	s_wait_loadcnt_dscnt 0x800
	v_mul_f64_e32 v[183:184], v[169:170], v[24:25]
	v_mul_f64_e32 v[24:25], v[171:172], v[24:25]
	v_add_f64_e32 v[38:39], v[38:39], v[187:188]
	v_add_f64_e32 v[44:45], v[44:45], v[185:186]
	v_fma_f64 v[173:174], v[4:5], v[18:19], v[173:174]
	v_fma_f64 v[185:186], v[2:3], v[18:19], -v[20:21]
	ds_load_b128 v[2:5], v1 offset:1664
	scratch_load_b128 v[18:21], off, off offset:864
	v_fma_f64 v[171:172], v[171:172], v[22:23], v[183:184]
	v_fma_f64 v[169:170], v[169:170], v[22:23], -v[24:25]
	scratch_load_b128 v[22:25], off, off offset:880
	v_add_f64_e32 v[38:39], v[38:39], v[179:180]
	v_add_f64_e32 v[44:45], v[44:45], v[181:182]
	ds_load_b128 v[179:182], v1 offset:1680
	s_wait_loadcnt_dscnt 0x901
	v_mul_f64_e32 v[187:188], v[2:3], v[28:29]
	v_mul_f64_e32 v[28:29], v[4:5], v[28:29]
	v_add_f64_e32 v[38:39], v[38:39], v[185:186]
	v_add_f64_e32 v[44:45], v[44:45], v[173:174]
	s_wait_loadcnt_dscnt 0x800
	v_mul_f64_e32 v[173:174], v[179:180], v[32:33]
	v_mul_f64_e32 v[32:33], v[181:182], v[32:33]
	v_fma_f64 v[183:184], v[4:5], v[26:27], v[187:188]
	v_fma_f64 v[185:186], v[2:3], v[26:27], -v[28:29]
	ds_load_b128 v[2:5], v1 offset:1696
	scratch_load_b128 v[26:29], off, off offset:896
	v_add_f64_e32 v[38:39], v[38:39], v[169:170]
	v_add_f64_e32 v[44:45], v[44:45], v[171:172]
	ds_load_b128 v[169:172], v1 offset:1712
	s_wait_loadcnt_dscnt 0x801
	v_mul_f64_e32 v[187:188], v[2:3], v[36:37]
	v_mul_f64_e32 v[36:37], v[4:5], v[36:37]
	v_fma_f64 v[173:174], v[181:182], v[30:31], v[173:174]
	v_fma_f64 v[179:180], v[179:180], v[30:31], -v[32:33]
	scratch_load_b128 v[30:33], off, off offset:912
	s_wait_loadcnt_dscnt 0x800
	v_mul_f64_e32 v[181:182], v[169:170], v[42:43]
	v_add_f64_e32 v[38:39], v[38:39], v[185:186]
	v_add_f64_e32 v[44:45], v[44:45], v[183:184]
	v_mul_f64_e32 v[183:184], v[171:172], v[42:43]
	v_fma_f64 v[185:186], v[4:5], v[34:35], v[187:188]
	v_fma_f64 v[187:188], v[2:3], v[34:35], -v[36:37]
	ds_load_b128 v[2:5], v1 offset:1728
	scratch_load_b128 v[34:37], off, off offset:928
	v_fma_f64 v[171:172], v[171:172], v[40:41], v[181:182]
	v_add_f64_e32 v[38:39], v[38:39], v[179:180]
	v_add_f64_e32 v[173:174], v[44:45], v[173:174]
	ds_load_b128 v[42:45], v1 offset:1744
	v_fma_f64 v[169:170], v[169:170], v[40:41], -v[183:184]
	s_wait_loadcnt_dscnt 0x701
	v_mul_f64_e32 v[179:180], v[2:3], v[177:178]
	v_mul_f64_e32 v[177:178], v[4:5], v[177:178]
	s_wait_dscnt 0x0
	v_mul_f64_e32 v[183:184], v[42:43], v[8:9]
	v_mul_f64_e32 v[8:9], v[44:45], v[8:9]
	v_add_f64_e32 v[181:182], v[38:39], v[187:188]
	v_add_f64_e32 v[173:174], v[173:174], v[185:186]
	scratch_load_b128 v[38:41], off, off offset:944
	v_fma_f64 v[179:180], v[4:5], v[175:176], v[179:180]
	v_fma_f64 v[175:176], v[2:3], v[175:176], -v[177:178]
	v_fma_f64 v[44:45], v[44:45], v[6:7], v[183:184]
	v_fma_f64 v[6:7], v[42:43], v[6:7], -v[8:9]
	v_add_f64_e32 v[177:178], v[181:182], v[169:170]
	v_add_f64_e32 v[173:174], v[173:174], v[171:172]
	ds_load_b128 v[2:5], v1 offset:1760
	ds_load_b128 v[169:172], v1 offset:1776
	s_wait_loadcnt_dscnt 0x701
	v_mul_f64_e32 v[181:182], v[2:3], v[12:13]
	v_mul_f64_e32 v[12:13], v[4:5], v[12:13]
	v_add_f64_e32 v[8:9], v[177:178], v[175:176]
	v_add_f64_e32 v[42:43], v[173:174], v[179:180]
	s_wait_loadcnt_dscnt 0x600
	v_mul_f64_e32 v[173:174], v[169:170], v[16:17]
	v_mul_f64_e32 v[16:17], v[171:172], v[16:17]
	v_fma_f64 v[175:176], v[4:5], v[10:11], v[181:182]
	v_fma_f64 v[10:11], v[2:3], v[10:11], -v[12:13]
	v_add_f64_e32 v[12:13], v[8:9], v[6:7]
	v_add_f64_e32 v[42:43], v[42:43], v[44:45]
	ds_load_b128 v[2:5], v1 offset:1792
	ds_load_b128 v[6:9], v1 offset:1808
	v_fma_f64 v[171:172], v[171:172], v[14:15], v[173:174]
	v_fma_f64 v[14:15], v[169:170], v[14:15], -v[16:17]
	s_wait_loadcnt_dscnt 0x501
	v_mul_f64_e32 v[44:45], v[2:3], v[20:21]
	v_mul_f64_e32 v[20:21], v[4:5], v[20:21]
	s_wait_loadcnt_dscnt 0x400
	v_mul_f64_e32 v[16:17], v[6:7], v[24:25]
	v_mul_f64_e32 v[24:25], v[8:9], v[24:25]
	v_add_f64_e32 v[10:11], v[12:13], v[10:11]
	v_add_f64_e32 v[12:13], v[42:43], v[175:176]
	v_fma_f64 v[42:43], v[4:5], v[18:19], v[44:45]
	v_fma_f64 v[18:19], v[2:3], v[18:19], -v[20:21]
	v_fma_f64 v[8:9], v[8:9], v[22:23], v[16:17]
	v_fma_f64 v[6:7], v[6:7], v[22:23], -v[24:25]
	v_add_f64_e32 v[14:15], v[10:11], v[14:15]
	v_add_f64_e32 v[20:21], v[12:13], v[171:172]
	ds_load_b128 v[2:5], v1 offset:1824
	ds_load_b128 v[10:13], v1 offset:1840
	s_wait_loadcnt_dscnt 0x301
	v_mul_f64_e32 v[44:45], v[2:3], v[28:29]
	v_mul_f64_e32 v[28:29], v[4:5], v[28:29]
	v_add_f64_e32 v[14:15], v[14:15], v[18:19]
	v_add_f64_e32 v[16:17], v[20:21], v[42:43]
	s_wait_loadcnt_dscnt 0x200
	v_mul_f64_e32 v[18:19], v[10:11], v[32:33]
	v_mul_f64_e32 v[20:21], v[12:13], v[32:33]
	v_fma_f64 v[22:23], v[4:5], v[26:27], v[44:45]
	v_fma_f64 v[24:25], v[2:3], v[26:27], -v[28:29]
	v_add_f64_e32 v[14:15], v[14:15], v[6:7]
	v_add_f64_e32 v[16:17], v[16:17], v[8:9]
	ds_load_b128 v[2:5], v1 offset:1856
	ds_load_b128 v[6:9], v1 offset:1872
	v_fma_f64 v[12:13], v[12:13], v[30:31], v[18:19]
	v_fma_f64 v[10:11], v[10:11], v[30:31], -v[20:21]
	s_wait_loadcnt_dscnt 0x101
	v_mul_f64_e32 v[26:27], v[2:3], v[36:37]
	v_mul_f64_e32 v[28:29], v[4:5], v[36:37]
	v_add_f64_e32 v[14:15], v[14:15], v[24:25]
	v_add_f64_e32 v[16:17], v[16:17], v[22:23]
	s_wait_loadcnt_dscnt 0x0
	v_mul_f64_e32 v[18:19], v[6:7], v[40:41]
	v_mul_f64_e32 v[20:21], v[8:9], v[40:41]
	v_fma_f64 v[4:5], v[4:5], v[34:35], v[26:27]
	v_fma_f64 v[1:2], v[2:3], v[34:35], -v[28:29]
	v_add_f64_e32 v[10:11], v[14:15], v[10:11]
	v_add_f64_e32 v[12:13], v[16:17], v[12:13]
	v_fma_f64 v[8:9], v[8:9], v[38:39], v[18:19]
	v_fma_f64 v[6:7], v[6:7], v[38:39], -v[20:21]
	s_delay_alu instid0(VALU_DEP_4) | instskip(NEXT) | instid1(VALU_DEP_4)
	v_add_f64_e32 v[1:2], v[10:11], v[1:2]
	v_add_f64_e32 v[3:4], v[12:13], v[4:5]
	s_delay_alu instid0(VALU_DEP_2) | instskip(NEXT) | instid1(VALU_DEP_2)
	v_add_f64_e32 v[1:2], v[1:2], v[6:7]
	v_add_f64_e32 v[3:4], v[3:4], v[8:9]
	s_delay_alu instid0(VALU_DEP_2) | instskip(NEXT) | instid1(VALU_DEP_2)
	v_add_f64_e64 v[1:2], v[165:166], -v[1:2]
	v_add_f64_e64 v[3:4], v[167:168], -v[3:4]
	scratch_store_b128 off, v[1:4], off offset:464
	v_cmpx_lt_u32_e32 27, v0
	s_cbranch_execz .LBB122_313
; %bb.312:
	scratch_load_b128 v[1:4], off, s45
	v_mov_b32_e32 v5, 0
	s_delay_alu instid0(VALU_DEP_1)
	v_dual_mov_b32 v6, v5 :: v_dual_mov_b32 v7, v5
	v_mov_b32_e32 v8, v5
	scratch_store_b128 off, v[5:8], off offset:448
	s_wait_loadcnt 0x0
	ds_store_b128 v164, v[1:4]
.LBB122_313:
	s_wait_alu 0xfffe
	s_or_b32 exec_lo, exec_lo, s0
	s_wait_storecnt_dscnt 0x0
	s_barrier_signal -1
	s_barrier_wait -1
	global_inv scope:SCOPE_SE
	s_clause 0x7
	scratch_load_b128 v[2:5], off, off offset:464
	scratch_load_b128 v[6:9], off, off offset:480
	;; [unrolled: 1-line block ×8, first 2 shown]
	v_mov_b32_e32 v1, 0
	s_mov_b32 s0, exec_lo
	ds_load_b128 v[34:37], v1 offset:1392
	s_clause 0x1
	scratch_load_b128 v[38:41], off, off offset:592
	scratch_load_b128 v[42:45], off, off offset:448
	ds_load_b128 v[165:168], v1 offset:1408
	scratch_load_b128 v[169:172], off, off offset:608
	s_wait_loadcnt_dscnt 0xa01
	v_mul_f64_e32 v[173:174], v[36:37], v[4:5]
	v_mul_f64_e32 v[4:5], v[34:35], v[4:5]
	s_delay_alu instid0(VALU_DEP_2) | instskip(NEXT) | instid1(VALU_DEP_2)
	v_fma_f64 v[179:180], v[34:35], v[2:3], -v[173:174]
	v_fma_f64 v[181:182], v[36:37], v[2:3], v[4:5]
	ds_load_b128 v[2:5], v1 offset:1424
	s_wait_loadcnt_dscnt 0x901
	v_mul_f64_e32 v[177:178], v[165:166], v[8:9]
	v_mul_f64_e32 v[8:9], v[167:168], v[8:9]
	scratch_load_b128 v[34:37], off, off offset:624
	ds_load_b128 v[173:176], v1 offset:1440
	s_wait_loadcnt_dscnt 0x901
	v_mul_f64_e32 v[183:184], v[2:3], v[12:13]
	v_mul_f64_e32 v[12:13], v[4:5], v[12:13]
	v_fma_f64 v[167:168], v[167:168], v[6:7], v[177:178]
	v_fma_f64 v[165:166], v[165:166], v[6:7], -v[8:9]
	v_add_f64_e32 v[177:178], 0, v[179:180]
	v_add_f64_e32 v[179:180], 0, v[181:182]
	scratch_load_b128 v[6:9], off, off offset:640
	v_fma_f64 v[183:184], v[4:5], v[10:11], v[183:184]
	v_fma_f64 v[185:186], v[2:3], v[10:11], -v[12:13]
	ds_load_b128 v[2:5], v1 offset:1456
	s_wait_loadcnt_dscnt 0x901
	v_mul_f64_e32 v[181:182], v[173:174], v[16:17]
	v_mul_f64_e32 v[16:17], v[175:176], v[16:17]
	scratch_load_b128 v[10:13], off, off offset:656
	v_add_f64_e32 v[177:178], v[177:178], v[165:166]
	v_add_f64_e32 v[179:180], v[179:180], v[167:168]
	s_wait_loadcnt_dscnt 0x900
	v_mul_f64_e32 v[187:188], v[2:3], v[20:21]
	v_mul_f64_e32 v[20:21], v[4:5], v[20:21]
	ds_load_b128 v[165:168], v1 offset:1472
	v_fma_f64 v[175:176], v[175:176], v[14:15], v[181:182]
	v_fma_f64 v[173:174], v[173:174], v[14:15], -v[16:17]
	scratch_load_b128 v[14:17], off, off offset:672
	v_add_f64_e32 v[177:178], v[177:178], v[185:186]
	v_add_f64_e32 v[179:180], v[179:180], v[183:184]
	v_fma_f64 v[183:184], v[4:5], v[18:19], v[187:188]
	v_fma_f64 v[185:186], v[2:3], v[18:19], -v[20:21]
	ds_load_b128 v[2:5], v1 offset:1488
	s_wait_loadcnt_dscnt 0x901
	v_mul_f64_e32 v[181:182], v[165:166], v[24:25]
	v_mul_f64_e32 v[24:25], v[167:168], v[24:25]
	scratch_load_b128 v[18:21], off, off offset:688
	s_wait_loadcnt_dscnt 0x900
	v_mul_f64_e32 v[187:188], v[2:3], v[28:29]
	v_mul_f64_e32 v[28:29], v[4:5], v[28:29]
	v_add_f64_e32 v[177:178], v[177:178], v[173:174]
	v_add_f64_e32 v[179:180], v[179:180], v[175:176]
	ds_load_b128 v[173:176], v1 offset:1504
	v_fma_f64 v[167:168], v[167:168], v[22:23], v[181:182]
	v_fma_f64 v[165:166], v[165:166], v[22:23], -v[24:25]
	scratch_load_b128 v[22:25], off, off offset:704
	v_add_f64_e32 v[177:178], v[177:178], v[185:186]
	v_add_f64_e32 v[179:180], v[179:180], v[183:184]
	v_fma_f64 v[183:184], v[4:5], v[26:27], v[187:188]
	v_fma_f64 v[185:186], v[2:3], v[26:27], -v[28:29]
	ds_load_b128 v[2:5], v1 offset:1520
	s_wait_loadcnt_dscnt 0x901
	v_mul_f64_e32 v[181:182], v[173:174], v[32:33]
	v_mul_f64_e32 v[32:33], v[175:176], v[32:33]
	scratch_load_b128 v[26:29], off, off offset:720
	s_wait_loadcnt_dscnt 0x900
	v_mul_f64_e32 v[187:188], v[2:3], v[40:41]
	v_mul_f64_e32 v[40:41], v[4:5], v[40:41]
	v_add_f64_e32 v[177:178], v[177:178], v[165:166]
	v_add_f64_e32 v[179:180], v[179:180], v[167:168]
	ds_load_b128 v[165:168], v1 offset:1536
	v_fma_f64 v[175:176], v[175:176], v[30:31], v[181:182]
	v_fma_f64 v[173:174], v[173:174], v[30:31], -v[32:33]
	scratch_load_b128 v[30:33], off, off offset:736
	v_add_f64_e32 v[177:178], v[177:178], v[185:186]
	v_add_f64_e32 v[179:180], v[179:180], v[183:184]
	v_fma_f64 v[185:186], v[4:5], v[38:39], v[187:188]
	v_fma_f64 v[187:188], v[2:3], v[38:39], -v[40:41]
	ds_load_b128 v[2:5], v1 offset:1552
	s_wait_loadcnt_dscnt 0x801
	v_mul_f64_e32 v[181:182], v[165:166], v[171:172]
	v_mul_f64_e32 v[183:184], v[167:168], v[171:172]
	scratch_load_b128 v[38:41], off, off offset:752
	v_add_f64_e32 v[177:178], v[177:178], v[173:174]
	v_add_f64_e32 v[175:176], v[179:180], v[175:176]
	ds_load_b128 v[171:174], v1 offset:1568
	v_fma_f64 v[181:182], v[167:168], v[169:170], v[181:182]
	v_fma_f64 v[169:170], v[165:166], v[169:170], -v[183:184]
	scratch_load_b128 v[165:168], off, off offset:768
	s_wait_loadcnt_dscnt 0x901
	v_mul_f64_e32 v[179:180], v[2:3], v[36:37]
	v_mul_f64_e32 v[36:37], v[4:5], v[36:37]
	v_add_f64_e32 v[177:178], v[177:178], v[187:188]
	v_add_f64_e32 v[175:176], v[175:176], v[185:186]
	s_delay_alu instid0(VALU_DEP_4) | instskip(NEXT) | instid1(VALU_DEP_4)
	v_fma_f64 v[179:180], v[4:5], v[34:35], v[179:180]
	v_fma_f64 v[185:186], v[2:3], v[34:35], -v[36:37]
	ds_load_b128 v[2:5], v1 offset:1584
	s_wait_loadcnt_dscnt 0x801
	v_mul_f64_e32 v[183:184], v[171:172], v[8:9]
	v_mul_f64_e32 v[8:9], v[173:174], v[8:9]
	scratch_load_b128 v[34:37], off, off offset:784
	s_wait_loadcnt_dscnt 0x800
	v_mul_f64_e32 v[187:188], v[2:3], v[12:13]
	v_add_f64_e32 v[169:170], v[177:178], v[169:170]
	v_add_f64_e32 v[181:182], v[175:176], v[181:182]
	v_mul_f64_e32 v[12:13], v[4:5], v[12:13]
	ds_load_b128 v[175:178], v1 offset:1600
	v_fma_f64 v[173:174], v[173:174], v[6:7], v[183:184]
	v_fma_f64 v[171:172], v[171:172], v[6:7], -v[8:9]
	scratch_load_b128 v[6:9], off, off offset:800
	v_fma_f64 v[183:184], v[4:5], v[10:11], v[187:188]
	v_add_f64_e32 v[169:170], v[169:170], v[185:186]
	v_add_f64_e32 v[179:180], v[181:182], v[179:180]
	v_fma_f64 v[185:186], v[2:3], v[10:11], -v[12:13]
	ds_load_b128 v[2:5], v1 offset:1616
	s_wait_loadcnt_dscnt 0x801
	v_mul_f64_e32 v[181:182], v[175:176], v[16:17]
	v_mul_f64_e32 v[16:17], v[177:178], v[16:17]
	scratch_load_b128 v[10:13], off, off offset:816
	v_add_f64_e32 v[187:188], v[169:170], v[171:172]
	v_add_f64_e32 v[173:174], v[179:180], v[173:174]
	s_wait_loadcnt_dscnt 0x800
	v_mul_f64_e32 v[179:180], v[2:3], v[20:21]
	v_mul_f64_e32 v[20:21], v[4:5], v[20:21]
	v_fma_f64 v[177:178], v[177:178], v[14:15], v[181:182]
	v_fma_f64 v[175:176], v[175:176], v[14:15], -v[16:17]
	ds_load_b128 v[169:172], v1 offset:1632
	scratch_load_b128 v[14:17], off, off offset:832
	v_add_f64_e32 v[181:182], v[187:188], v[185:186]
	v_add_f64_e32 v[173:174], v[173:174], v[183:184]
	v_fma_f64 v[179:180], v[4:5], v[18:19], v[179:180]
	v_fma_f64 v[185:186], v[2:3], v[18:19], -v[20:21]
	ds_load_b128 v[2:5], v1 offset:1648
	s_wait_loadcnt_dscnt 0x801
	v_mul_f64_e32 v[183:184], v[169:170], v[24:25]
	v_mul_f64_e32 v[24:25], v[171:172], v[24:25]
	scratch_load_b128 v[18:21], off, off offset:848
	s_wait_loadcnt_dscnt 0x800
	v_mul_f64_e32 v[187:188], v[2:3], v[28:29]
	v_mul_f64_e32 v[28:29], v[4:5], v[28:29]
	v_add_f64_e32 v[181:182], v[181:182], v[175:176]
	v_add_f64_e32 v[177:178], v[173:174], v[177:178]
	ds_load_b128 v[173:176], v1 offset:1664
	v_fma_f64 v[171:172], v[171:172], v[22:23], v[183:184]
	v_fma_f64 v[169:170], v[169:170], v[22:23], -v[24:25]
	scratch_load_b128 v[22:25], off, off offset:864
	v_fma_f64 v[183:184], v[4:5], v[26:27], v[187:188]
	v_add_f64_e32 v[181:182], v[181:182], v[185:186]
	v_add_f64_e32 v[177:178], v[177:178], v[179:180]
	v_fma_f64 v[185:186], v[2:3], v[26:27], -v[28:29]
	ds_load_b128 v[2:5], v1 offset:1680
	s_wait_loadcnt_dscnt 0x801
	v_mul_f64_e32 v[179:180], v[173:174], v[32:33]
	v_mul_f64_e32 v[32:33], v[175:176], v[32:33]
	scratch_load_b128 v[26:29], off, off offset:880
	s_wait_loadcnt_dscnt 0x800
	v_mul_f64_e32 v[187:188], v[2:3], v[40:41]
	v_mul_f64_e32 v[40:41], v[4:5], v[40:41]
	v_add_f64_e32 v[181:182], v[181:182], v[169:170]
	v_add_f64_e32 v[177:178], v[177:178], v[171:172]
	ds_load_b128 v[169:172], v1 offset:1696
	v_fma_f64 v[175:176], v[175:176], v[30:31], v[179:180]
	v_fma_f64 v[173:174], v[173:174], v[30:31], -v[32:33]
	scratch_load_b128 v[30:33], off, off offset:896
	v_add_f64_e32 v[179:180], v[181:182], v[185:186]
	v_add_f64_e32 v[177:178], v[177:178], v[183:184]
	v_fma_f64 v[183:184], v[4:5], v[38:39], v[187:188]
	v_fma_f64 v[185:186], v[2:3], v[38:39], -v[40:41]
	ds_load_b128 v[2:5], v1 offset:1712
	s_wait_loadcnt_dscnt 0x801
	v_mul_f64_e32 v[181:182], v[169:170], v[167:168]
	v_mul_f64_e32 v[167:168], v[171:172], v[167:168]
	scratch_load_b128 v[38:41], off, off offset:912
	s_wait_loadcnt_dscnt 0x800
	v_mul_f64_e32 v[187:188], v[2:3], v[36:37]
	v_mul_f64_e32 v[36:37], v[4:5], v[36:37]
	v_add_f64_e32 v[179:180], v[179:180], v[173:174]
	v_add_f64_e32 v[177:178], v[177:178], v[175:176]
	ds_load_b128 v[173:176], v1 offset:1728
	v_fma_f64 v[171:172], v[171:172], v[165:166], v[181:182]
	v_fma_f64 v[169:170], v[169:170], v[165:166], -v[167:168]
	scratch_load_b128 v[165:168], off, off offset:928
	v_add_f64_e32 v[179:180], v[179:180], v[185:186]
	v_add_f64_e32 v[177:178], v[177:178], v[183:184]
	v_fma_f64 v[183:184], v[4:5], v[34:35], v[187:188]
	v_fma_f64 v[185:186], v[2:3], v[34:35], -v[36:37]
	ds_load_b128 v[2:5], v1 offset:1744
	s_wait_loadcnt_dscnt 0x801
	v_mul_f64_e32 v[181:182], v[173:174], v[8:9]
	v_mul_f64_e32 v[8:9], v[175:176], v[8:9]
	scratch_load_b128 v[34:37], off, off offset:944
	s_wait_loadcnt_dscnt 0x800
	v_mul_f64_e32 v[187:188], v[2:3], v[12:13]
	v_mul_f64_e32 v[12:13], v[4:5], v[12:13]
	v_add_f64_e32 v[179:180], v[179:180], v[169:170]
	v_add_f64_e32 v[177:178], v[177:178], v[171:172]
	ds_load_b128 v[169:172], v1 offset:1760
	v_fma_f64 v[175:176], v[175:176], v[6:7], v[181:182]
	v_fma_f64 v[6:7], v[173:174], v[6:7], -v[8:9]
	v_add_f64_e32 v[8:9], v[179:180], v[185:186]
	v_add_f64_e32 v[173:174], v[177:178], v[183:184]
	s_wait_loadcnt_dscnt 0x700
	v_mul_f64_e32 v[177:178], v[169:170], v[16:17]
	v_mul_f64_e32 v[16:17], v[171:172], v[16:17]
	v_fma_f64 v[179:180], v[4:5], v[10:11], v[187:188]
	v_fma_f64 v[10:11], v[2:3], v[10:11], -v[12:13]
	v_add_f64_e32 v[12:13], v[8:9], v[6:7]
	v_add_f64_e32 v[173:174], v[173:174], v[175:176]
	ds_load_b128 v[2:5], v1 offset:1776
	ds_load_b128 v[6:9], v1 offset:1792
	v_fma_f64 v[171:172], v[171:172], v[14:15], v[177:178]
	v_fma_f64 v[14:15], v[169:170], v[14:15], -v[16:17]
	s_wait_loadcnt_dscnt 0x601
	v_mul_f64_e32 v[175:176], v[2:3], v[20:21]
	v_mul_f64_e32 v[20:21], v[4:5], v[20:21]
	s_wait_loadcnt_dscnt 0x500
	v_mul_f64_e32 v[16:17], v[6:7], v[24:25]
	v_mul_f64_e32 v[24:25], v[8:9], v[24:25]
	v_add_f64_e32 v[10:11], v[12:13], v[10:11]
	v_add_f64_e32 v[12:13], v[173:174], v[179:180]
	v_fma_f64 v[169:170], v[4:5], v[18:19], v[175:176]
	v_fma_f64 v[18:19], v[2:3], v[18:19], -v[20:21]
	v_fma_f64 v[8:9], v[8:9], v[22:23], v[16:17]
	v_fma_f64 v[6:7], v[6:7], v[22:23], -v[24:25]
	v_add_f64_e32 v[14:15], v[10:11], v[14:15]
	v_add_f64_e32 v[20:21], v[12:13], v[171:172]
	ds_load_b128 v[2:5], v1 offset:1808
	ds_load_b128 v[10:13], v1 offset:1824
	s_wait_loadcnt_dscnt 0x401
	v_mul_f64_e32 v[171:172], v[2:3], v[28:29]
	v_mul_f64_e32 v[28:29], v[4:5], v[28:29]
	v_add_f64_e32 v[14:15], v[14:15], v[18:19]
	v_add_f64_e32 v[16:17], v[20:21], v[169:170]
	s_wait_loadcnt_dscnt 0x300
	v_mul_f64_e32 v[18:19], v[10:11], v[32:33]
	v_mul_f64_e32 v[20:21], v[12:13], v[32:33]
	v_fma_f64 v[22:23], v[4:5], v[26:27], v[171:172]
	v_fma_f64 v[24:25], v[2:3], v[26:27], -v[28:29]
	v_add_f64_e32 v[14:15], v[14:15], v[6:7]
	v_add_f64_e32 v[16:17], v[16:17], v[8:9]
	ds_load_b128 v[2:5], v1 offset:1840
	ds_load_b128 v[6:9], v1 offset:1856
	v_fma_f64 v[12:13], v[12:13], v[30:31], v[18:19]
	v_fma_f64 v[10:11], v[10:11], v[30:31], -v[20:21]
	s_wait_loadcnt_dscnt 0x201
	v_mul_f64_e32 v[26:27], v[2:3], v[40:41]
	v_mul_f64_e32 v[28:29], v[4:5], v[40:41]
	s_wait_loadcnt_dscnt 0x100
	v_mul_f64_e32 v[18:19], v[6:7], v[167:168]
	v_mul_f64_e32 v[20:21], v[8:9], v[167:168]
	v_add_f64_e32 v[14:15], v[14:15], v[24:25]
	v_add_f64_e32 v[16:17], v[16:17], v[22:23]
	v_fma_f64 v[22:23], v[4:5], v[38:39], v[26:27]
	v_fma_f64 v[24:25], v[2:3], v[38:39], -v[28:29]
	ds_load_b128 v[2:5], v1 offset:1872
	v_fma_f64 v[8:9], v[8:9], v[165:166], v[18:19]
	v_fma_f64 v[6:7], v[6:7], v[165:166], -v[20:21]
	v_add_f64_e32 v[10:11], v[14:15], v[10:11]
	v_add_f64_e32 v[12:13], v[16:17], v[12:13]
	s_wait_loadcnt_dscnt 0x0
	v_mul_f64_e32 v[14:15], v[2:3], v[36:37]
	v_mul_f64_e32 v[16:17], v[4:5], v[36:37]
	s_delay_alu instid0(VALU_DEP_4) | instskip(NEXT) | instid1(VALU_DEP_4)
	v_add_f64_e32 v[10:11], v[10:11], v[24:25]
	v_add_f64_e32 v[12:13], v[12:13], v[22:23]
	s_delay_alu instid0(VALU_DEP_4) | instskip(NEXT) | instid1(VALU_DEP_4)
	v_fma_f64 v[4:5], v[4:5], v[34:35], v[14:15]
	v_fma_f64 v[2:3], v[2:3], v[34:35], -v[16:17]
	s_delay_alu instid0(VALU_DEP_4) | instskip(NEXT) | instid1(VALU_DEP_4)
	v_add_f64_e32 v[6:7], v[10:11], v[6:7]
	v_add_f64_e32 v[8:9], v[12:13], v[8:9]
	s_delay_alu instid0(VALU_DEP_2) | instskip(NEXT) | instid1(VALU_DEP_2)
	v_add_f64_e32 v[2:3], v[6:7], v[2:3]
	v_add_f64_e32 v[4:5], v[8:9], v[4:5]
	s_delay_alu instid0(VALU_DEP_2) | instskip(NEXT) | instid1(VALU_DEP_2)
	v_add_f64_e64 v[2:3], v[42:43], -v[2:3]
	v_add_f64_e64 v[4:5], v[44:45], -v[4:5]
	scratch_store_b128 off, v[2:5], off offset:448
	v_cmpx_lt_u32_e32 26, v0
	s_cbranch_execz .LBB122_315
; %bb.314:
	scratch_load_b128 v[5:8], off, s46
	v_dual_mov_b32 v2, v1 :: v_dual_mov_b32 v3, v1
	v_mov_b32_e32 v4, v1
	scratch_store_b128 off, v[1:4], off offset:432
	s_wait_loadcnt 0x0
	ds_store_b128 v164, v[5:8]
.LBB122_315:
	s_wait_alu 0xfffe
	s_or_b32 exec_lo, exec_lo, s0
	s_wait_storecnt_dscnt 0x0
	s_barrier_signal -1
	s_barrier_wait -1
	global_inv scope:SCOPE_SE
	s_clause 0x8
	scratch_load_b128 v[2:5], off, off offset:448
	scratch_load_b128 v[6:9], off, off offset:464
	;; [unrolled: 1-line block ×9, first 2 shown]
	ds_load_b128 v[38:41], v1 offset:1376
	ds_load_b128 v[42:45], v1 offset:1392
	s_clause 0x1
	scratch_load_b128 v[165:168], off, off offset:432
	scratch_load_b128 v[169:172], off, off offset:592
	s_mov_b32 s0, exec_lo
	s_wait_loadcnt_dscnt 0xa01
	v_mul_f64_e32 v[173:174], v[40:41], v[4:5]
	v_mul_f64_e32 v[4:5], v[38:39], v[4:5]
	s_wait_loadcnt_dscnt 0x900
	v_mul_f64_e32 v[177:178], v[42:43], v[8:9]
	v_mul_f64_e32 v[8:9], v[44:45], v[8:9]
	s_delay_alu instid0(VALU_DEP_4) | instskip(NEXT) | instid1(VALU_DEP_4)
	v_fma_f64 v[179:180], v[38:39], v[2:3], -v[173:174]
	v_fma_f64 v[181:182], v[40:41], v[2:3], v[4:5]
	ds_load_b128 v[2:5], v1 offset:1408
	ds_load_b128 v[173:176], v1 offset:1424
	scratch_load_b128 v[38:41], off, off offset:608
	v_fma_f64 v[44:45], v[44:45], v[6:7], v[177:178]
	v_fma_f64 v[42:43], v[42:43], v[6:7], -v[8:9]
	scratch_load_b128 v[6:9], off, off offset:624
	s_wait_loadcnt_dscnt 0xa01
	v_mul_f64_e32 v[183:184], v[2:3], v[12:13]
	v_mul_f64_e32 v[12:13], v[4:5], v[12:13]
	v_add_f64_e32 v[177:178], 0, v[179:180]
	v_add_f64_e32 v[179:180], 0, v[181:182]
	s_wait_loadcnt_dscnt 0x900
	v_mul_f64_e32 v[181:182], v[173:174], v[16:17]
	v_mul_f64_e32 v[16:17], v[175:176], v[16:17]
	v_fma_f64 v[183:184], v[4:5], v[10:11], v[183:184]
	v_fma_f64 v[185:186], v[2:3], v[10:11], -v[12:13]
	ds_load_b128 v[2:5], v1 offset:1440
	scratch_load_b128 v[10:13], off, off offset:640
	v_add_f64_e32 v[177:178], v[177:178], v[42:43]
	v_add_f64_e32 v[179:180], v[179:180], v[44:45]
	ds_load_b128 v[42:45], v1 offset:1456
	v_fma_f64 v[175:176], v[175:176], v[14:15], v[181:182]
	v_fma_f64 v[173:174], v[173:174], v[14:15], -v[16:17]
	scratch_load_b128 v[14:17], off, off offset:656
	s_wait_loadcnt_dscnt 0xa01
	v_mul_f64_e32 v[187:188], v[2:3], v[20:21]
	v_mul_f64_e32 v[20:21], v[4:5], v[20:21]
	s_wait_loadcnt_dscnt 0x900
	v_mul_f64_e32 v[181:182], v[42:43], v[24:25]
	v_mul_f64_e32 v[24:25], v[44:45], v[24:25]
	v_add_f64_e32 v[177:178], v[177:178], v[185:186]
	v_add_f64_e32 v[179:180], v[179:180], v[183:184]
	v_fma_f64 v[183:184], v[4:5], v[18:19], v[187:188]
	v_fma_f64 v[185:186], v[2:3], v[18:19], -v[20:21]
	ds_load_b128 v[2:5], v1 offset:1472
	scratch_load_b128 v[18:21], off, off offset:672
	v_fma_f64 v[44:45], v[44:45], v[22:23], v[181:182]
	v_fma_f64 v[42:43], v[42:43], v[22:23], -v[24:25]
	scratch_load_b128 v[22:25], off, off offset:688
	v_add_f64_e32 v[177:178], v[177:178], v[173:174]
	v_add_f64_e32 v[179:180], v[179:180], v[175:176]
	ds_load_b128 v[173:176], v1 offset:1488
	s_wait_loadcnt_dscnt 0xa01
	v_mul_f64_e32 v[187:188], v[2:3], v[28:29]
	v_mul_f64_e32 v[28:29], v[4:5], v[28:29]
	s_wait_loadcnt_dscnt 0x900
	v_mul_f64_e32 v[181:182], v[173:174], v[32:33]
	v_mul_f64_e32 v[32:33], v[175:176], v[32:33]
	v_add_f64_e32 v[177:178], v[177:178], v[185:186]
	v_add_f64_e32 v[179:180], v[179:180], v[183:184]
	v_fma_f64 v[183:184], v[4:5], v[26:27], v[187:188]
	v_fma_f64 v[185:186], v[2:3], v[26:27], -v[28:29]
	ds_load_b128 v[2:5], v1 offset:1504
	scratch_load_b128 v[26:29], off, off offset:704
	v_fma_f64 v[175:176], v[175:176], v[30:31], v[181:182]
	v_fma_f64 v[173:174], v[173:174], v[30:31], -v[32:33]
	scratch_load_b128 v[30:33], off, off offset:720
	v_add_f64_e32 v[177:178], v[177:178], v[42:43]
	v_add_f64_e32 v[179:180], v[179:180], v[44:45]
	ds_load_b128 v[42:45], v1 offset:1520
	s_wait_loadcnt_dscnt 0xa01
	v_mul_f64_e32 v[187:188], v[2:3], v[36:37]
	v_mul_f64_e32 v[36:37], v[4:5], v[36:37]
	s_wait_loadcnt_dscnt 0x800
	v_mul_f64_e32 v[181:182], v[42:43], v[171:172]
	v_add_f64_e32 v[177:178], v[177:178], v[185:186]
	v_add_f64_e32 v[179:180], v[179:180], v[183:184]
	v_mul_f64_e32 v[183:184], v[44:45], v[171:172]
	v_fma_f64 v[185:186], v[4:5], v[34:35], v[187:188]
	v_fma_f64 v[187:188], v[2:3], v[34:35], -v[36:37]
	ds_load_b128 v[2:5], v1 offset:1536
	scratch_load_b128 v[34:37], off, off offset:736
	v_fma_f64 v[44:45], v[44:45], v[169:170], v[181:182]
	v_add_f64_e32 v[177:178], v[177:178], v[173:174]
	v_add_f64_e32 v[175:176], v[179:180], v[175:176]
	ds_load_b128 v[171:174], v1 offset:1552
	v_fma_f64 v[169:170], v[42:43], v[169:170], -v[183:184]
	s_wait_loadcnt_dscnt 0x801
	v_mul_f64_e32 v[179:180], v[2:3], v[40:41]
	v_mul_f64_e32 v[189:190], v[4:5], v[40:41]
	scratch_load_b128 v[40:43], off, off offset:752
	s_wait_loadcnt_dscnt 0x800
	v_mul_f64_e32 v[183:184], v[171:172], v[8:9]
	v_mul_f64_e32 v[8:9], v[173:174], v[8:9]
	v_add_f64_e32 v[177:178], v[177:178], v[187:188]
	v_add_f64_e32 v[175:176], v[175:176], v[185:186]
	v_fma_f64 v[185:186], v[4:5], v[38:39], v[179:180]
	v_fma_f64 v[38:39], v[2:3], v[38:39], -v[189:190]
	ds_load_b128 v[2:5], v1 offset:1568
	ds_load_b128 v[179:182], v1 offset:1584
	v_fma_f64 v[173:174], v[173:174], v[6:7], v[183:184]
	v_fma_f64 v[171:172], v[171:172], v[6:7], -v[8:9]
	scratch_load_b128 v[6:9], off, off offset:784
	v_add_f64_e32 v[169:170], v[177:178], v[169:170]
	v_add_f64_e32 v[44:45], v[175:176], v[44:45]
	scratch_load_b128 v[175:178], off, off offset:768
	s_wait_loadcnt_dscnt 0x901
	v_mul_f64_e32 v[187:188], v[2:3], v[12:13]
	v_mul_f64_e32 v[12:13], v[4:5], v[12:13]
	s_wait_loadcnt_dscnt 0x800
	v_mul_f64_e32 v[183:184], v[179:180], v[16:17]
	v_mul_f64_e32 v[16:17], v[181:182], v[16:17]
	v_add_f64_e32 v[38:39], v[169:170], v[38:39]
	v_add_f64_e32 v[44:45], v[44:45], v[185:186]
	v_fma_f64 v[185:186], v[4:5], v[10:11], v[187:188]
	v_fma_f64 v[187:188], v[2:3], v[10:11], -v[12:13]
	ds_load_b128 v[2:5], v1 offset:1600
	scratch_load_b128 v[10:13], off, off offset:800
	v_fma_f64 v[181:182], v[181:182], v[14:15], v[183:184]
	v_fma_f64 v[179:180], v[179:180], v[14:15], -v[16:17]
	scratch_load_b128 v[14:17], off, off offset:816
	v_add_f64_e32 v[38:39], v[38:39], v[171:172]
	v_add_f64_e32 v[44:45], v[44:45], v[173:174]
	ds_load_b128 v[169:172], v1 offset:1616
	s_wait_loadcnt_dscnt 0x901
	v_mul_f64_e32 v[173:174], v[2:3], v[20:21]
	v_mul_f64_e32 v[20:21], v[4:5], v[20:21]
	s_wait_loadcnt_dscnt 0x800
	v_mul_f64_e32 v[183:184], v[169:170], v[24:25]
	v_mul_f64_e32 v[24:25], v[171:172], v[24:25]
	v_add_f64_e32 v[38:39], v[38:39], v[187:188]
	v_add_f64_e32 v[44:45], v[44:45], v[185:186]
	v_fma_f64 v[173:174], v[4:5], v[18:19], v[173:174]
	v_fma_f64 v[185:186], v[2:3], v[18:19], -v[20:21]
	ds_load_b128 v[2:5], v1 offset:1632
	scratch_load_b128 v[18:21], off, off offset:832
	v_fma_f64 v[171:172], v[171:172], v[22:23], v[183:184]
	v_fma_f64 v[169:170], v[169:170], v[22:23], -v[24:25]
	scratch_load_b128 v[22:25], off, off offset:848
	v_add_f64_e32 v[38:39], v[38:39], v[179:180]
	v_add_f64_e32 v[44:45], v[44:45], v[181:182]
	ds_load_b128 v[179:182], v1 offset:1648
	s_wait_loadcnt_dscnt 0x901
	v_mul_f64_e32 v[187:188], v[2:3], v[28:29]
	v_mul_f64_e32 v[28:29], v[4:5], v[28:29]
	v_add_f64_e32 v[38:39], v[38:39], v[185:186]
	v_add_f64_e32 v[44:45], v[44:45], v[173:174]
	s_wait_loadcnt_dscnt 0x800
	v_mul_f64_e32 v[173:174], v[179:180], v[32:33]
	v_mul_f64_e32 v[32:33], v[181:182], v[32:33]
	v_fma_f64 v[183:184], v[4:5], v[26:27], v[187:188]
	v_fma_f64 v[185:186], v[2:3], v[26:27], -v[28:29]
	ds_load_b128 v[2:5], v1 offset:1664
	scratch_load_b128 v[26:29], off, off offset:864
	v_add_f64_e32 v[38:39], v[38:39], v[169:170]
	v_add_f64_e32 v[44:45], v[44:45], v[171:172]
	ds_load_b128 v[169:172], v1 offset:1680
	s_wait_loadcnt_dscnt 0x801
	v_mul_f64_e32 v[187:188], v[2:3], v[36:37]
	v_mul_f64_e32 v[36:37], v[4:5], v[36:37]
	v_fma_f64 v[173:174], v[181:182], v[30:31], v[173:174]
	v_fma_f64 v[179:180], v[179:180], v[30:31], -v[32:33]
	scratch_load_b128 v[30:33], off, off offset:880
	s_wait_loadcnt_dscnt 0x800
	v_mul_f64_e32 v[181:182], v[169:170], v[42:43]
	v_add_f64_e32 v[38:39], v[38:39], v[185:186]
	v_add_f64_e32 v[44:45], v[44:45], v[183:184]
	v_mul_f64_e32 v[183:184], v[171:172], v[42:43]
	v_fma_f64 v[185:186], v[4:5], v[34:35], v[187:188]
	v_fma_f64 v[187:188], v[2:3], v[34:35], -v[36:37]
	ds_load_b128 v[2:5], v1 offset:1696
	scratch_load_b128 v[34:37], off, off offset:896
	v_fma_f64 v[171:172], v[171:172], v[40:41], v[181:182]
	v_add_f64_e32 v[38:39], v[38:39], v[179:180]
	v_add_f64_e32 v[173:174], v[44:45], v[173:174]
	ds_load_b128 v[42:45], v1 offset:1712
	v_fma_f64 v[169:170], v[169:170], v[40:41], -v[183:184]
	s_wait_loadcnt_dscnt 0x701
	v_mul_f64_e32 v[179:180], v[2:3], v[177:178]
	v_mul_f64_e32 v[177:178], v[4:5], v[177:178]
	s_wait_dscnt 0x0
	v_mul_f64_e32 v[183:184], v[42:43], v[8:9]
	v_mul_f64_e32 v[8:9], v[44:45], v[8:9]
	v_add_f64_e32 v[181:182], v[38:39], v[187:188]
	v_add_f64_e32 v[173:174], v[173:174], v[185:186]
	scratch_load_b128 v[38:41], off, off offset:912
	v_fma_f64 v[179:180], v[4:5], v[175:176], v[179:180]
	v_fma_f64 v[177:178], v[2:3], v[175:176], -v[177:178]
	ds_load_b128 v[2:5], v1 offset:1728
	v_fma_f64 v[44:45], v[44:45], v[6:7], v[183:184]
	v_fma_f64 v[42:43], v[42:43], v[6:7], -v[8:9]
	scratch_load_b128 v[6:9], off, off offset:944
	v_add_f64_e32 v[181:182], v[181:182], v[169:170]
	v_add_f64_e32 v[185:186], v[173:174], v[171:172]
	scratch_load_b128 v[169:172], off, off offset:928
	ds_load_b128 v[173:176], v1 offset:1744
	s_wait_loadcnt_dscnt 0x901
	v_mul_f64_e32 v[187:188], v[2:3], v[12:13]
	v_mul_f64_e32 v[12:13], v[4:5], v[12:13]
	v_add_f64_e32 v[177:178], v[181:182], v[177:178]
	v_add_f64_e32 v[179:180], v[185:186], v[179:180]
	s_wait_loadcnt_dscnt 0x800
	v_mul_f64_e32 v[181:182], v[173:174], v[16:17]
	v_mul_f64_e32 v[16:17], v[175:176], v[16:17]
	v_fma_f64 v[183:184], v[4:5], v[10:11], v[187:188]
	v_fma_f64 v[185:186], v[2:3], v[10:11], -v[12:13]
	ds_load_b128 v[2:5], v1 offset:1760
	ds_load_b128 v[10:13], v1 offset:1776
	v_add_f64_e32 v[42:43], v[177:178], v[42:43]
	v_add_f64_e32 v[44:45], v[179:180], v[44:45]
	s_wait_loadcnt_dscnt 0x701
	v_mul_f64_e32 v[177:178], v[2:3], v[20:21]
	v_mul_f64_e32 v[20:21], v[4:5], v[20:21]
	v_fma_f64 v[175:176], v[175:176], v[14:15], v[181:182]
	v_fma_f64 v[14:15], v[173:174], v[14:15], -v[16:17]
	v_add_f64_e32 v[16:17], v[42:43], v[185:186]
	v_add_f64_e32 v[42:43], v[44:45], v[183:184]
	s_wait_loadcnt_dscnt 0x600
	v_mul_f64_e32 v[44:45], v[10:11], v[24:25]
	v_mul_f64_e32 v[24:25], v[12:13], v[24:25]
	v_fma_f64 v[173:174], v[4:5], v[18:19], v[177:178]
	v_fma_f64 v[18:19], v[2:3], v[18:19], -v[20:21]
	v_add_f64_e32 v[20:21], v[16:17], v[14:15]
	v_add_f64_e32 v[42:43], v[42:43], v[175:176]
	ds_load_b128 v[2:5], v1 offset:1792
	ds_load_b128 v[14:17], v1 offset:1808
	v_fma_f64 v[12:13], v[12:13], v[22:23], v[44:45]
	v_fma_f64 v[10:11], v[10:11], v[22:23], -v[24:25]
	s_wait_loadcnt_dscnt 0x501
	v_mul_f64_e32 v[175:176], v[2:3], v[28:29]
	v_mul_f64_e32 v[28:29], v[4:5], v[28:29]
	s_wait_loadcnt_dscnt 0x400
	v_mul_f64_e32 v[22:23], v[14:15], v[32:33]
	v_mul_f64_e32 v[24:25], v[16:17], v[32:33]
	v_add_f64_e32 v[18:19], v[20:21], v[18:19]
	v_add_f64_e32 v[20:21], v[42:43], v[173:174]
	v_fma_f64 v[32:33], v[4:5], v[26:27], v[175:176]
	v_fma_f64 v[26:27], v[2:3], v[26:27], -v[28:29]
	v_fma_f64 v[16:17], v[16:17], v[30:31], v[22:23]
	v_fma_f64 v[14:15], v[14:15], v[30:31], -v[24:25]
	v_add_f64_e32 v[18:19], v[18:19], v[10:11]
	v_add_f64_e32 v[20:21], v[20:21], v[12:13]
	ds_load_b128 v[2:5], v1 offset:1824
	ds_load_b128 v[10:13], v1 offset:1840
	s_wait_loadcnt_dscnt 0x301
	v_mul_f64_e32 v[28:29], v[2:3], v[36:37]
	v_mul_f64_e32 v[36:37], v[4:5], v[36:37]
	v_add_f64_e32 v[18:19], v[18:19], v[26:27]
	v_add_f64_e32 v[20:21], v[20:21], v[32:33]
	s_wait_loadcnt_dscnt 0x200
	v_mul_f64_e32 v[22:23], v[10:11], v[40:41]
	v_mul_f64_e32 v[24:25], v[12:13], v[40:41]
	v_fma_f64 v[26:27], v[4:5], v[34:35], v[28:29]
	v_fma_f64 v[28:29], v[2:3], v[34:35], -v[36:37]
	v_add_f64_e32 v[18:19], v[18:19], v[14:15]
	v_add_f64_e32 v[20:21], v[20:21], v[16:17]
	ds_load_b128 v[2:5], v1 offset:1856
	ds_load_b128 v[14:17], v1 offset:1872
	v_fma_f64 v[12:13], v[12:13], v[38:39], v[22:23]
	v_fma_f64 v[10:11], v[10:11], v[38:39], -v[24:25]
	s_wait_loadcnt_dscnt 0x1
	v_mul_f64_e32 v[30:31], v[2:3], v[171:172]
	v_mul_f64_e32 v[32:33], v[4:5], v[171:172]
	s_wait_dscnt 0x0
	v_mul_f64_e32 v[22:23], v[14:15], v[8:9]
	v_mul_f64_e32 v[8:9], v[16:17], v[8:9]
	v_add_f64_e32 v[18:19], v[18:19], v[28:29]
	v_add_f64_e32 v[20:21], v[20:21], v[26:27]
	v_fma_f64 v[4:5], v[4:5], v[169:170], v[30:31]
	v_fma_f64 v[1:2], v[2:3], v[169:170], -v[32:33]
	v_fma_f64 v[16:17], v[16:17], v[6:7], v[22:23]
	v_fma_f64 v[6:7], v[14:15], v[6:7], -v[8:9]
	v_add_f64_e32 v[10:11], v[18:19], v[10:11]
	v_add_f64_e32 v[12:13], v[20:21], v[12:13]
	s_delay_alu instid0(VALU_DEP_2) | instskip(NEXT) | instid1(VALU_DEP_2)
	v_add_f64_e32 v[1:2], v[10:11], v[1:2]
	v_add_f64_e32 v[3:4], v[12:13], v[4:5]
	s_delay_alu instid0(VALU_DEP_2) | instskip(NEXT) | instid1(VALU_DEP_2)
	;; [unrolled: 3-line block ×3, first 2 shown]
	v_add_f64_e64 v[1:2], v[165:166], -v[1:2]
	v_add_f64_e64 v[3:4], v[167:168], -v[3:4]
	scratch_store_b128 off, v[1:4], off offset:432
	v_cmpx_lt_u32_e32 25, v0
	s_cbranch_execz .LBB122_317
; %bb.316:
	scratch_load_b128 v[1:4], off, s47
	v_mov_b32_e32 v5, 0
	s_delay_alu instid0(VALU_DEP_1)
	v_dual_mov_b32 v6, v5 :: v_dual_mov_b32 v7, v5
	v_mov_b32_e32 v8, v5
	scratch_store_b128 off, v[5:8], off offset:416
	s_wait_loadcnt 0x0
	ds_store_b128 v164, v[1:4]
.LBB122_317:
	s_wait_alu 0xfffe
	s_or_b32 exec_lo, exec_lo, s0
	s_wait_storecnt_dscnt 0x0
	s_barrier_signal -1
	s_barrier_wait -1
	global_inv scope:SCOPE_SE
	s_clause 0x7
	scratch_load_b128 v[2:5], off, off offset:432
	scratch_load_b128 v[6:9], off, off offset:448
	;; [unrolled: 1-line block ×8, first 2 shown]
	v_mov_b32_e32 v1, 0
	s_mov_b32 s0, exec_lo
	ds_load_b128 v[34:37], v1 offset:1360
	s_clause 0x1
	scratch_load_b128 v[38:41], off, off offset:560
	scratch_load_b128 v[42:45], off, off offset:416
	ds_load_b128 v[165:168], v1 offset:1376
	scratch_load_b128 v[169:172], off, off offset:576
	s_wait_loadcnt_dscnt 0xa01
	v_mul_f64_e32 v[173:174], v[36:37], v[4:5]
	v_mul_f64_e32 v[4:5], v[34:35], v[4:5]
	s_delay_alu instid0(VALU_DEP_2) | instskip(NEXT) | instid1(VALU_DEP_2)
	v_fma_f64 v[179:180], v[34:35], v[2:3], -v[173:174]
	v_fma_f64 v[181:182], v[36:37], v[2:3], v[4:5]
	ds_load_b128 v[2:5], v1 offset:1392
	s_wait_loadcnt_dscnt 0x901
	v_mul_f64_e32 v[177:178], v[165:166], v[8:9]
	v_mul_f64_e32 v[8:9], v[167:168], v[8:9]
	scratch_load_b128 v[34:37], off, off offset:592
	ds_load_b128 v[173:176], v1 offset:1408
	s_wait_loadcnt_dscnt 0x901
	v_mul_f64_e32 v[183:184], v[2:3], v[12:13]
	v_mul_f64_e32 v[12:13], v[4:5], v[12:13]
	v_fma_f64 v[167:168], v[167:168], v[6:7], v[177:178]
	v_fma_f64 v[165:166], v[165:166], v[6:7], -v[8:9]
	v_add_f64_e32 v[177:178], 0, v[179:180]
	v_add_f64_e32 v[179:180], 0, v[181:182]
	scratch_load_b128 v[6:9], off, off offset:608
	v_fma_f64 v[183:184], v[4:5], v[10:11], v[183:184]
	v_fma_f64 v[185:186], v[2:3], v[10:11], -v[12:13]
	ds_load_b128 v[2:5], v1 offset:1424
	s_wait_loadcnt_dscnt 0x901
	v_mul_f64_e32 v[181:182], v[173:174], v[16:17]
	v_mul_f64_e32 v[16:17], v[175:176], v[16:17]
	scratch_load_b128 v[10:13], off, off offset:624
	v_add_f64_e32 v[177:178], v[177:178], v[165:166]
	v_add_f64_e32 v[179:180], v[179:180], v[167:168]
	s_wait_loadcnt_dscnt 0x900
	v_mul_f64_e32 v[187:188], v[2:3], v[20:21]
	v_mul_f64_e32 v[20:21], v[4:5], v[20:21]
	ds_load_b128 v[165:168], v1 offset:1440
	v_fma_f64 v[175:176], v[175:176], v[14:15], v[181:182]
	v_fma_f64 v[173:174], v[173:174], v[14:15], -v[16:17]
	scratch_load_b128 v[14:17], off, off offset:640
	v_add_f64_e32 v[177:178], v[177:178], v[185:186]
	v_add_f64_e32 v[179:180], v[179:180], v[183:184]
	v_fma_f64 v[183:184], v[4:5], v[18:19], v[187:188]
	v_fma_f64 v[185:186], v[2:3], v[18:19], -v[20:21]
	ds_load_b128 v[2:5], v1 offset:1456
	s_wait_loadcnt_dscnt 0x901
	v_mul_f64_e32 v[181:182], v[165:166], v[24:25]
	v_mul_f64_e32 v[24:25], v[167:168], v[24:25]
	scratch_load_b128 v[18:21], off, off offset:656
	s_wait_loadcnt_dscnt 0x900
	v_mul_f64_e32 v[187:188], v[2:3], v[28:29]
	v_mul_f64_e32 v[28:29], v[4:5], v[28:29]
	v_add_f64_e32 v[177:178], v[177:178], v[173:174]
	v_add_f64_e32 v[179:180], v[179:180], v[175:176]
	ds_load_b128 v[173:176], v1 offset:1472
	v_fma_f64 v[167:168], v[167:168], v[22:23], v[181:182]
	v_fma_f64 v[165:166], v[165:166], v[22:23], -v[24:25]
	scratch_load_b128 v[22:25], off, off offset:672
	v_add_f64_e32 v[177:178], v[177:178], v[185:186]
	v_add_f64_e32 v[179:180], v[179:180], v[183:184]
	v_fma_f64 v[183:184], v[4:5], v[26:27], v[187:188]
	v_fma_f64 v[185:186], v[2:3], v[26:27], -v[28:29]
	ds_load_b128 v[2:5], v1 offset:1488
	s_wait_loadcnt_dscnt 0x901
	v_mul_f64_e32 v[181:182], v[173:174], v[32:33]
	v_mul_f64_e32 v[32:33], v[175:176], v[32:33]
	scratch_load_b128 v[26:29], off, off offset:688
	s_wait_loadcnt_dscnt 0x900
	v_mul_f64_e32 v[187:188], v[2:3], v[40:41]
	v_mul_f64_e32 v[40:41], v[4:5], v[40:41]
	v_add_f64_e32 v[177:178], v[177:178], v[165:166]
	v_add_f64_e32 v[179:180], v[179:180], v[167:168]
	ds_load_b128 v[165:168], v1 offset:1504
	v_fma_f64 v[175:176], v[175:176], v[30:31], v[181:182]
	v_fma_f64 v[173:174], v[173:174], v[30:31], -v[32:33]
	scratch_load_b128 v[30:33], off, off offset:704
	v_add_f64_e32 v[177:178], v[177:178], v[185:186]
	v_add_f64_e32 v[179:180], v[179:180], v[183:184]
	v_fma_f64 v[185:186], v[4:5], v[38:39], v[187:188]
	v_fma_f64 v[187:188], v[2:3], v[38:39], -v[40:41]
	ds_load_b128 v[2:5], v1 offset:1520
	s_wait_loadcnt_dscnt 0x801
	v_mul_f64_e32 v[181:182], v[165:166], v[171:172]
	v_mul_f64_e32 v[183:184], v[167:168], v[171:172]
	scratch_load_b128 v[38:41], off, off offset:720
	v_add_f64_e32 v[177:178], v[177:178], v[173:174]
	v_add_f64_e32 v[175:176], v[179:180], v[175:176]
	ds_load_b128 v[171:174], v1 offset:1536
	v_fma_f64 v[181:182], v[167:168], v[169:170], v[181:182]
	v_fma_f64 v[169:170], v[165:166], v[169:170], -v[183:184]
	scratch_load_b128 v[165:168], off, off offset:736
	s_wait_loadcnt_dscnt 0x901
	v_mul_f64_e32 v[179:180], v[2:3], v[36:37]
	v_mul_f64_e32 v[36:37], v[4:5], v[36:37]
	v_add_f64_e32 v[177:178], v[177:178], v[187:188]
	v_add_f64_e32 v[175:176], v[175:176], v[185:186]
	s_delay_alu instid0(VALU_DEP_4) | instskip(NEXT) | instid1(VALU_DEP_4)
	v_fma_f64 v[179:180], v[4:5], v[34:35], v[179:180]
	v_fma_f64 v[185:186], v[2:3], v[34:35], -v[36:37]
	ds_load_b128 v[2:5], v1 offset:1552
	s_wait_loadcnt_dscnt 0x801
	v_mul_f64_e32 v[183:184], v[171:172], v[8:9]
	v_mul_f64_e32 v[8:9], v[173:174], v[8:9]
	scratch_load_b128 v[34:37], off, off offset:752
	s_wait_loadcnt_dscnt 0x800
	v_mul_f64_e32 v[187:188], v[2:3], v[12:13]
	v_add_f64_e32 v[169:170], v[177:178], v[169:170]
	v_add_f64_e32 v[181:182], v[175:176], v[181:182]
	v_mul_f64_e32 v[12:13], v[4:5], v[12:13]
	ds_load_b128 v[175:178], v1 offset:1568
	v_fma_f64 v[173:174], v[173:174], v[6:7], v[183:184]
	v_fma_f64 v[171:172], v[171:172], v[6:7], -v[8:9]
	scratch_load_b128 v[6:9], off, off offset:768
	v_fma_f64 v[183:184], v[4:5], v[10:11], v[187:188]
	v_add_f64_e32 v[169:170], v[169:170], v[185:186]
	v_add_f64_e32 v[179:180], v[181:182], v[179:180]
	v_fma_f64 v[185:186], v[2:3], v[10:11], -v[12:13]
	ds_load_b128 v[2:5], v1 offset:1584
	s_wait_loadcnt_dscnt 0x801
	v_mul_f64_e32 v[181:182], v[175:176], v[16:17]
	v_mul_f64_e32 v[16:17], v[177:178], v[16:17]
	scratch_load_b128 v[10:13], off, off offset:784
	v_add_f64_e32 v[187:188], v[169:170], v[171:172]
	v_add_f64_e32 v[173:174], v[179:180], v[173:174]
	s_wait_loadcnt_dscnt 0x800
	v_mul_f64_e32 v[179:180], v[2:3], v[20:21]
	v_mul_f64_e32 v[20:21], v[4:5], v[20:21]
	v_fma_f64 v[177:178], v[177:178], v[14:15], v[181:182]
	v_fma_f64 v[175:176], v[175:176], v[14:15], -v[16:17]
	ds_load_b128 v[169:172], v1 offset:1600
	scratch_load_b128 v[14:17], off, off offset:800
	v_add_f64_e32 v[181:182], v[187:188], v[185:186]
	v_add_f64_e32 v[173:174], v[173:174], v[183:184]
	v_fma_f64 v[179:180], v[4:5], v[18:19], v[179:180]
	v_fma_f64 v[185:186], v[2:3], v[18:19], -v[20:21]
	ds_load_b128 v[2:5], v1 offset:1616
	s_wait_loadcnt_dscnt 0x801
	v_mul_f64_e32 v[183:184], v[169:170], v[24:25]
	v_mul_f64_e32 v[24:25], v[171:172], v[24:25]
	scratch_load_b128 v[18:21], off, off offset:816
	s_wait_loadcnt_dscnt 0x800
	v_mul_f64_e32 v[187:188], v[2:3], v[28:29]
	v_mul_f64_e32 v[28:29], v[4:5], v[28:29]
	v_add_f64_e32 v[181:182], v[181:182], v[175:176]
	v_add_f64_e32 v[177:178], v[173:174], v[177:178]
	ds_load_b128 v[173:176], v1 offset:1632
	v_fma_f64 v[171:172], v[171:172], v[22:23], v[183:184]
	v_fma_f64 v[169:170], v[169:170], v[22:23], -v[24:25]
	scratch_load_b128 v[22:25], off, off offset:832
	v_fma_f64 v[183:184], v[4:5], v[26:27], v[187:188]
	v_add_f64_e32 v[181:182], v[181:182], v[185:186]
	v_add_f64_e32 v[177:178], v[177:178], v[179:180]
	v_fma_f64 v[185:186], v[2:3], v[26:27], -v[28:29]
	ds_load_b128 v[2:5], v1 offset:1648
	s_wait_loadcnt_dscnt 0x801
	v_mul_f64_e32 v[179:180], v[173:174], v[32:33]
	v_mul_f64_e32 v[32:33], v[175:176], v[32:33]
	scratch_load_b128 v[26:29], off, off offset:848
	s_wait_loadcnt_dscnt 0x800
	v_mul_f64_e32 v[187:188], v[2:3], v[40:41]
	v_mul_f64_e32 v[40:41], v[4:5], v[40:41]
	v_add_f64_e32 v[181:182], v[181:182], v[169:170]
	v_add_f64_e32 v[177:178], v[177:178], v[171:172]
	ds_load_b128 v[169:172], v1 offset:1664
	v_fma_f64 v[175:176], v[175:176], v[30:31], v[179:180]
	v_fma_f64 v[173:174], v[173:174], v[30:31], -v[32:33]
	scratch_load_b128 v[30:33], off, off offset:864
	v_add_f64_e32 v[179:180], v[181:182], v[185:186]
	v_add_f64_e32 v[177:178], v[177:178], v[183:184]
	v_fma_f64 v[183:184], v[4:5], v[38:39], v[187:188]
	v_fma_f64 v[185:186], v[2:3], v[38:39], -v[40:41]
	ds_load_b128 v[2:5], v1 offset:1680
	s_wait_loadcnt_dscnt 0x801
	v_mul_f64_e32 v[181:182], v[169:170], v[167:168]
	v_mul_f64_e32 v[167:168], v[171:172], v[167:168]
	scratch_load_b128 v[38:41], off, off offset:880
	s_wait_loadcnt_dscnt 0x800
	v_mul_f64_e32 v[187:188], v[2:3], v[36:37]
	v_mul_f64_e32 v[36:37], v[4:5], v[36:37]
	v_add_f64_e32 v[179:180], v[179:180], v[173:174]
	v_add_f64_e32 v[177:178], v[177:178], v[175:176]
	ds_load_b128 v[173:176], v1 offset:1696
	v_fma_f64 v[171:172], v[171:172], v[165:166], v[181:182]
	v_fma_f64 v[169:170], v[169:170], v[165:166], -v[167:168]
	scratch_load_b128 v[165:168], off, off offset:896
	v_add_f64_e32 v[179:180], v[179:180], v[185:186]
	v_add_f64_e32 v[177:178], v[177:178], v[183:184]
	v_fma_f64 v[183:184], v[4:5], v[34:35], v[187:188]
	;; [unrolled: 18-line block ×3, first 2 shown]
	v_fma_f64 v[185:186], v[2:3], v[10:11], -v[12:13]
	ds_load_b128 v[2:5], v1 offset:1744
	s_wait_loadcnt_dscnt 0x801
	v_mul_f64_e32 v[181:182], v[169:170], v[16:17]
	v_mul_f64_e32 v[16:17], v[171:172], v[16:17]
	scratch_load_b128 v[10:13], off, off offset:944
	s_wait_loadcnt_dscnt 0x800
	v_mul_f64_e32 v[187:188], v[2:3], v[20:21]
	v_mul_f64_e32 v[20:21], v[4:5], v[20:21]
	v_add_f64_e32 v[179:180], v[179:180], v[173:174]
	v_add_f64_e32 v[177:178], v[177:178], v[175:176]
	ds_load_b128 v[173:176], v1 offset:1760
	v_fma_f64 v[171:172], v[171:172], v[14:15], v[181:182]
	v_fma_f64 v[14:15], v[169:170], v[14:15], -v[16:17]
	v_add_f64_e32 v[16:17], v[179:180], v[185:186]
	v_add_f64_e32 v[169:170], v[177:178], v[183:184]
	s_wait_loadcnt_dscnt 0x700
	v_mul_f64_e32 v[177:178], v[173:174], v[24:25]
	v_mul_f64_e32 v[24:25], v[175:176], v[24:25]
	v_fma_f64 v[179:180], v[4:5], v[18:19], v[187:188]
	v_fma_f64 v[18:19], v[2:3], v[18:19], -v[20:21]
	v_add_f64_e32 v[20:21], v[16:17], v[14:15]
	v_add_f64_e32 v[169:170], v[169:170], v[171:172]
	ds_load_b128 v[2:5], v1 offset:1776
	ds_load_b128 v[14:17], v1 offset:1792
	v_fma_f64 v[175:176], v[175:176], v[22:23], v[177:178]
	v_fma_f64 v[22:23], v[173:174], v[22:23], -v[24:25]
	s_wait_loadcnt_dscnt 0x601
	v_mul_f64_e32 v[171:172], v[2:3], v[28:29]
	v_mul_f64_e32 v[28:29], v[4:5], v[28:29]
	s_wait_loadcnt_dscnt 0x500
	v_mul_f64_e32 v[24:25], v[14:15], v[32:33]
	v_mul_f64_e32 v[32:33], v[16:17], v[32:33]
	v_add_f64_e32 v[18:19], v[20:21], v[18:19]
	v_add_f64_e32 v[20:21], v[169:170], v[179:180]
	v_fma_f64 v[169:170], v[4:5], v[26:27], v[171:172]
	v_fma_f64 v[26:27], v[2:3], v[26:27], -v[28:29]
	v_fma_f64 v[16:17], v[16:17], v[30:31], v[24:25]
	v_fma_f64 v[14:15], v[14:15], v[30:31], -v[32:33]
	v_add_f64_e32 v[22:23], v[18:19], v[22:23]
	v_add_f64_e32 v[28:29], v[20:21], v[175:176]
	ds_load_b128 v[2:5], v1 offset:1808
	ds_load_b128 v[18:21], v1 offset:1824
	s_wait_loadcnt_dscnt 0x401
	v_mul_f64_e32 v[171:172], v[2:3], v[40:41]
	v_mul_f64_e32 v[40:41], v[4:5], v[40:41]
	v_add_f64_e32 v[22:23], v[22:23], v[26:27]
	v_add_f64_e32 v[24:25], v[28:29], v[169:170]
	s_wait_loadcnt_dscnt 0x300
	v_mul_f64_e32 v[26:27], v[18:19], v[167:168]
	v_mul_f64_e32 v[28:29], v[20:21], v[167:168]
	v_fma_f64 v[30:31], v[4:5], v[38:39], v[171:172]
	v_fma_f64 v[32:33], v[2:3], v[38:39], -v[40:41]
	v_add_f64_e32 v[22:23], v[22:23], v[14:15]
	v_add_f64_e32 v[24:25], v[24:25], v[16:17]
	ds_load_b128 v[2:5], v1 offset:1840
	ds_load_b128 v[14:17], v1 offset:1856
	v_fma_f64 v[20:21], v[20:21], v[165:166], v[26:27]
	v_fma_f64 v[18:19], v[18:19], v[165:166], -v[28:29]
	s_wait_loadcnt_dscnt 0x201
	v_mul_f64_e32 v[38:39], v[2:3], v[36:37]
	v_mul_f64_e32 v[36:37], v[4:5], v[36:37]
	s_wait_loadcnt_dscnt 0x100
	v_mul_f64_e32 v[26:27], v[14:15], v[8:9]
	v_mul_f64_e32 v[8:9], v[16:17], v[8:9]
	v_add_f64_e32 v[22:23], v[22:23], v[32:33]
	v_add_f64_e32 v[24:25], v[24:25], v[30:31]
	v_fma_f64 v[28:29], v[4:5], v[34:35], v[38:39]
	v_fma_f64 v[30:31], v[2:3], v[34:35], -v[36:37]
	ds_load_b128 v[2:5], v1 offset:1872
	v_fma_f64 v[16:17], v[16:17], v[6:7], v[26:27]
	v_fma_f64 v[6:7], v[14:15], v[6:7], -v[8:9]
	v_add_f64_e32 v[18:19], v[22:23], v[18:19]
	v_add_f64_e32 v[20:21], v[24:25], v[20:21]
	s_wait_loadcnt_dscnt 0x0
	v_mul_f64_e32 v[22:23], v[2:3], v[12:13]
	v_mul_f64_e32 v[12:13], v[4:5], v[12:13]
	s_delay_alu instid0(VALU_DEP_4) | instskip(NEXT) | instid1(VALU_DEP_4)
	v_add_f64_e32 v[8:9], v[18:19], v[30:31]
	v_add_f64_e32 v[14:15], v[20:21], v[28:29]
	s_delay_alu instid0(VALU_DEP_4) | instskip(NEXT) | instid1(VALU_DEP_4)
	v_fma_f64 v[4:5], v[4:5], v[10:11], v[22:23]
	v_fma_f64 v[2:3], v[2:3], v[10:11], -v[12:13]
	s_delay_alu instid0(VALU_DEP_4) | instskip(NEXT) | instid1(VALU_DEP_4)
	v_add_f64_e32 v[6:7], v[8:9], v[6:7]
	v_add_f64_e32 v[8:9], v[14:15], v[16:17]
	s_delay_alu instid0(VALU_DEP_2) | instskip(NEXT) | instid1(VALU_DEP_2)
	v_add_f64_e32 v[2:3], v[6:7], v[2:3]
	v_add_f64_e32 v[4:5], v[8:9], v[4:5]
	s_delay_alu instid0(VALU_DEP_2) | instskip(NEXT) | instid1(VALU_DEP_2)
	v_add_f64_e64 v[2:3], v[42:43], -v[2:3]
	v_add_f64_e64 v[4:5], v[44:45], -v[4:5]
	scratch_store_b128 off, v[2:5], off offset:416
	v_cmpx_lt_u32_e32 24, v0
	s_cbranch_execz .LBB122_319
; %bb.318:
	scratch_load_b128 v[5:8], off, s48
	v_dual_mov_b32 v2, v1 :: v_dual_mov_b32 v3, v1
	v_mov_b32_e32 v4, v1
	scratch_store_b128 off, v[1:4], off offset:400
	s_wait_loadcnt 0x0
	ds_store_b128 v164, v[5:8]
.LBB122_319:
	s_wait_alu 0xfffe
	s_or_b32 exec_lo, exec_lo, s0
	s_wait_storecnt_dscnt 0x0
	s_barrier_signal -1
	s_barrier_wait -1
	global_inv scope:SCOPE_SE
	s_clause 0x8
	scratch_load_b128 v[2:5], off, off offset:416
	scratch_load_b128 v[6:9], off, off offset:432
	scratch_load_b128 v[10:13], off, off offset:448
	scratch_load_b128 v[14:17], off, off offset:464
	scratch_load_b128 v[18:21], off, off offset:480
	scratch_load_b128 v[22:25], off, off offset:496
	scratch_load_b128 v[26:29], off, off offset:512
	scratch_load_b128 v[30:33], off, off offset:528
	scratch_load_b128 v[34:37], off, off offset:544
	ds_load_b128 v[38:41], v1 offset:1344
	ds_load_b128 v[42:45], v1 offset:1360
	s_clause 0x1
	scratch_load_b128 v[165:168], off, off offset:400
	scratch_load_b128 v[169:172], off, off offset:560
	s_mov_b32 s0, exec_lo
	s_wait_loadcnt_dscnt 0xa01
	v_mul_f64_e32 v[173:174], v[40:41], v[4:5]
	v_mul_f64_e32 v[4:5], v[38:39], v[4:5]
	s_wait_loadcnt_dscnt 0x900
	v_mul_f64_e32 v[177:178], v[42:43], v[8:9]
	v_mul_f64_e32 v[8:9], v[44:45], v[8:9]
	s_delay_alu instid0(VALU_DEP_4) | instskip(NEXT) | instid1(VALU_DEP_4)
	v_fma_f64 v[179:180], v[38:39], v[2:3], -v[173:174]
	v_fma_f64 v[181:182], v[40:41], v[2:3], v[4:5]
	ds_load_b128 v[2:5], v1 offset:1376
	ds_load_b128 v[173:176], v1 offset:1392
	scratch_load_b128 v[38:41], off, off offset:576
	v_fma_f64 v[44:45], v[44:45], v[6:7], v[177:178]
	v_fma_f64 v[42:43], v[42:43], v[6:7], -v[8:9]
	scratch_load_b128 v[6:9], off, off offset:592
	s_wait_loadcnt_dscnt 0xa01
	v_mul_f64_e32 v[183:184], v[2:3], v[12:13]
	v_mul_f64_e32 v[12:13], v[4:5], v[12:13]
	v_add_f64_e32 v[177:178], 0, v[179:180]
	v_add_f64_e32 v[179:180], 0, v[181:182]
	s_wait_loadcnt_dscnt 0x900
	v_mul_f64_e32 v[181:182], v[173:174], v[16:17]
	v_mul_f64_e32 v[16:17], v[175:176], v[16:17]
	v_fma_f64 v[183:184], v[4:5], v[10:11], v[183:184]
	v_fma_f64 v[185:186], v[2:3], v[10:11], -v[12:13]
	ds_load_b128 v[2:5], v1 offset:1408
	scratch_load_b128 v[10:13], off, off offset:608
	v_add_f64_e32 v[177:178], v[177:178], v[42:43]
	v_add_f64_e32 v[179:180], v[179:180], v[44:45]
	ds_load_b128 v[42:45], v1 offset:1424
	v_fma_f64 v[175:176], v[175:176], v[14:15], v[181:182]
	v_fma_f64 v[173:174], v[173:174], v[14:15], -v[16:17]
	scratch_load_b128 v[14:17], off, off offset:624
	s_wait_loadcnt_dscnt 0xa01
	v_mul_f64_e32 v[187:188], v[2:3], v[20:21]
	v_mul_f64_e32 v[20:21], v[4:5], v[20:21]
	s_wait_loadcnt_dscnt 0x900
	v_mul_f64_e32 v[181:182], v[42:43], v[24:25]
	v_mul_f64_e32 v[24:25], v[44:45], v[24:25]
	v_add_f64_e32 v[177:178], v[177:178], v[185:186]
	v_add_f64_e32 v[179:180], v[179:180], v[183:184]
	v_fma_f64 v[183:184], v[4:5], v[18:19], v[187:188]
	v_fma_f64 v[185:186], v[2:3], v[18:19], -v[20:21]
	ds_load_b128 v[2:5], v1 offset:1440
	scratch_load_b128 v[18:21], off, off offset:640
	v_fma_f64 v[44:45], v[44:45], v[22:23], v[181:182]
	v_fma_f64 v[42:43], v[42:43], v[22:23], -v[24:25]
	scratch_load_b128 v[22:25], off, off offset:656
	v_add_f64_e32 v[177:178], v[177:178], v[173:174]
	v_add_f64_e32 v[179:180], v[179:180], v[175:176]
	ds_load_b128 v[173:176], v1 offset:1456
	s_wait_loadcnt_dscnt 0xa01
	v_mul_f64_e32 v[187:188], v[2:3], v[28:29]
	v_mul_f64_e32 v[28:29], v[4:5], v[28:29]
	s_wait_loadcnt_dscnt 0x900
	v_mul_f64_e32 v[181:182], v[173:174], v[32:33]
	v_mul_f64_e32 v[32:33], v[175:176], v[32:33]
	v_add_f64_e32 v[177:178], v[177:178], v[185:186]
	v_add_f64_e32 v[179:180], v[179:180], v[183:184]
	v_fma_f64 v[183:184], v[4:5], v[26:27], v[187:188]
	v_fma_f64 v[185:186], v[2:3], v[26:27], -v[28:29]
	ds_load_b128 v[2:5], v1 offset:1472
	scratch_load_b128 v[26:29], off, off offset:672
	v_fma_f64 v[175:176], v[175:176], v[30:31], v[181:182]
	v_fma_f64 v[173:174], v[173:174], v[30:31], -v[32:33]
	scratch_load_b128 v[30:33], off, off offset:688
	v_add_f64_e32 v[177:178], v[177:178], v[42:43]
	v_add_f64_e32 v[179:180], v[179:180], v[44:45]
	ds_load_b128 v[42:45], v1 offset:1488
	s_wait_loadcnt_dscnt 0xa01
	v_mul_f64_e32 v[187:188], v[2:3], v[36:37]
	v_mul_f64_e32 v[36:37], v[4:5], v[36:37]
	s_wait_loadcnt_dscnt 0x800
	v_mul_f64_e32 v[181:182], v[42:43], v[171:172]
	v_add_f64_e32 v[177:178], v[177:178], v[185:186]
	v_add_f64_e32 v[179:180], v[179:180], v[183:184]
	v_mul_f64_e32 v[183:184], v[44:45], v[171:172]
	v_fma_f64 v[185:186], v[4:5], v[34:35], v[187:188]
	v_fma_f64 v[187:188], v[2:3], v[34:35], -v[36:37]
	ds_load_b128 v[2:5], v1 offset:1504
	scratch_load_b128 v[34:37], off, off offset:704
	v_fma_f64 v[44:45], v[44:45], v[169:170], v[181:182]
	v_add_f64_e32 v[177:178], v[177:178], v[173:174]
	v_add_f64_e32 v[175:176], v[179:180], v[175:176]
	ds_load_b128 v[171:174], v1 offset:1520
	v_fma_f64 v[169:170], v[42:43], v[169:170], -v[183:184]
	s_wait_loadcnt_dscnt 0x801
	v_mul_f64_e32 v[179:180], v[2:3], v[40:41]
	v_mul_f64_e32 v[189:190], v[4:5], v[40:41]
	scratch_load_b128 v[40:43], off, off offset:720
	s_wait_loadcnt_dscnt 0x800
	v_mul_f64_e32 v[183:184], v[171:172], v[8:9]
	v_mul_f64_e32 v[8:9], v[173:174], v[8:9]
	v_add_f64_e32 v[177:178], v[177:178], v[187:188]
	v_add_f64_e32 v[175:176], v[175:176], v[185:186]
	v_fma_f64 v[185:186], v[4:5], v[38:39], v[179:180]
	v_fma_f64 v[38:39], v[2:3], v[38:39], -v[189:190]
	ds_load_b128 v[2:5], v1 offset:1536
	ds_load_b128 v[179:182], v1 offset:1552
	v_fma_f64 v[173:174], v[173:174], v[6:7], v[183:184]
	v_fma_f64 v[171:172], v[171:172], v[6:7], -v[8:9]
	scratch_load_b128 v[6:9], off, off offset:752
	v_add_f64_e32 v[169:170], v[177:178], v[169:170]
	v_add_f64_e32 v[44:45], v[175:176], v[44:45]
	scratch_load_b128 v[175:178], off, off offset:736
	s_wait_loadcnt_dscnt 0x901
	v_mul_f64_e32 v[187:188], v[2:3], v[12:13]
	v_mul_f64_e32 v[12:13], v[4:5], v[12:13]
	s_wait_loadcnt_dscnt 0x800
	v_mul_f64_e32 v[183:184], v[179:180], v[16:17]
	v_mul_f64_e32 v[16:17], v[181:182], v[16:17]
	v_add_f64_e32 v[38:39], v[169:170], v[38:39]
	v_add_f64_e32 v[44:45], v[44:45], v[185:186]
	v_fma_f64 v[185:186], v[4:5], v[10:11], v[187:188]
	v_fma_f64 v[187:188], v[2:3], v[10:11], -v[12:13]
	ds_load_b128 v[2:5], v1 offset:1568
	scratch_load_b128 v[10:13], off, off offset:768
	v_fma_f64 v[181:182], v[181:182], v[14:15], v[183:184]
	v_fma_f64 v[179:180], v[179:180], v[14:15], -v[16:17]
	scratch_load_b128 v[14:17], off, off offset:784
	v_add_f64_e32 v[38:39], v[38:39], v[171:172]
	v_add_f64_e32 v[44:45], v[44:45], v[173:174]
	ds_load_b128 v[169:172], v1 offset:1584
	s_wait_loadcnt_dscnt 0x901
	v_mul_f64_e32 v[173:174], v[2:3], v[20:21]
	v_mul_f64_e32 v[20:21], v[4:5], v[20:21]
	s_wait_loadcnt_dscnt 0x800
	v_mul_f64_e32 v[183:184], v[169:170], v[24:25]
	v_mul_f64_e32 v[24:25], v[171:172], v[24:25]
	v_add_f64_e32 v[38:39], v[38:39], v[187:188]
	v_add_f64_e32 v[44:45], v[44:45], v[185:186]
	v_fma_f64 v[173:174], v[4:5], v[18:19], v[173:174]
	v_fma_f64 v[185:186], v[2:3], v[18:19], -v[20:21]
	ds_load_b128 v[2:5], v1 offset:1600
	scratch_load_b128 v[18:21], off, off offset:800
	v_fma_f64 v[171:172], v[171:172], v[22:23], v[183:184]
	v_fma_f64 v[169:170], v[169:170], v[22:23], -v[24:25]
	scratch_load_b128 v[22:25], off, off offset:816
	v_add_f64_e32 v[38:39], v[38:39], v[179:180]
	v_add_f64_e32 v[44:45], v[44:45], v[181:182]
	ds_load_b128 v[179:182], v1 offset:1616
	s_wait_loadcnt_dscnt 0x901
	v_mul_f64_e32 v[187:188], v[2:3], v[28:29]
	v_mul_f64_e32 v[28:29], v[4:5], v[28:29]
	v_add_f64_e32 v[38:39], v[38:39], v[185:186]
	v_add_f64_e32 v[44:45], v[44:45], v[173:174]
	s_wait_loadcnt_dscnt 0x800
	v_mul_f64_e32 v[173:174], v[179:180], v[32:33]
	v_mul_f64_e32 v[32:33], v[181:182], v[32:33]
	v_fma_f64 v[183:184], v[4:5], v[26:27], v[187:188]
	v_fma_f64 v[185:186], v[2:3], v[26:27], -v[28:29]
	ds_load_b128 v[2:5], v1 offset:1632
	scratch_load_b128 v[26:29], off, off offset:832
	v_add_f64_e32 v[38:39], v[38:39], v[169:170]
	v_add_f64_e32 v[44:45], v[44:45], v[171:172]
	ds_load_b128 v[169:172], v1 offset:1648
	s_wait_loadcnt_dscnt 0x801
	v_mul_f64_e32 v[187:188], v[2:3], v[36:37]
	v_mul_f64_e32 v[36:37], v[4:5], v[36:37]
	v_fma_f64 v[173:174], v[181:182], v[30:31], v[173:174]
	v_fma_f64 v[179:180], v[179:180], v[30:31], -v[32:33]
	scratch_load_b128 v[30:33], off, off offset:848
	s_wait_loadcnt_dscnt 0x800
	v_mul_f64_e32 v[181:182], v[169:170], v[42:43]
	v_add_f64_e32 v[38:39], v[38:39], v[185:186]
	v_add_f64_e32 v[44:45], v[44:45], v[183:184]
	v_mul_f64_e32 v[183:184], v[171:172], v[42:43]
	v_fma_f64 v[185:186], v[4:5], v[34:35], v[187:188]
	v_fma_f64 v[187:188], v[2:3], v[34:35], -v[36:37]
	ds_load_b128 v[2:5], v1 offset:1664
	scratch_load_b128 v[34:37], off, off offset:864
	v_fma_f64 v[171:172], v[171:172], v[40:41], v[181:182]
	v_add_f64_e32 v[38:39], v[38:39], v[179:180]
	v_add_f64_e32 v[173:174], v[44:45], v[173:174]
	ds_load_b128 v[42:45], v1 offset:1680
	v_fma_f64 v[169:170], v[169:170], v[40:41], -v[183:184]
	s_wait_loadcnt_dscnt 0x701
	v_mul_f64_e32 v[179:180], v[2:3], v[177:178]
	v_mul_f64_e32 v[177:178], v[4:5], v[177:178]
	s_wait_dscnt 0x0
	v_mul_f64_e32 v[183:184], v[42:43], v[8:9]
	v_mul_f64_e32 v[8:9], v[44:45], v[8:9]
	v_add_f64_e32 v[181:182], v[38:39], v[187:188]
	v_add_f64_e32 v[173:174], v[173:174], v[185:186]
	scratch_load_b128 v[38:41], off, off offset:880
	v_fma_f64 v[179:180], v[4:5], v[175:176], v[179:180]
	v_fma_f64 v[177:178], v[2:3], v[175:176], -v[177:178]
	ds_load_b128 v[2:5], v1 offset:1696
	v_fma_f64 v[44:45], v[44:45], v[6:7], v[183:184]
	v_fma_f64 v[42:43], v[42:43], v[6:7], -v[8:9]
	scratch_load_b128 v[6:9], off, off offset:912
	v_add_f64_e32 v[181:182], v[181:182], v[169:170]
	v_add_f64_e32 v[185:186], v[173:174], v[171:172]
	scratch_load_b128 v[169:172], off, off offset:896
	ds_load_b128 v[173:176], v1 offset:1712
	s_wait_loadcnt_dscnt 0x901
	v_mul_f64_e32 v[187:188], v[2:3], v[12:13]
	v_mul_f64_e32 v[12:13], v[4:5], v[12:13]
	v_add_f64_e32 v[177:178], v[181:182], v[177:178]
	v_add_f64_e32 v[179:180], v[185:186], v[179:180]
	s_wait_loadcnt_dscnt 0x800
	v_mul_f64_e32 v[181:182], v[173:174], v[16:17]
	v_mul_f64_e32 v[16:17], v[175:176], v[16:17]
	v_fma_f64 v[183:184], v[4:5], v[10:11], v[187:188]
	v_fma_f64 v[185:186], v[2:3], v[10:11], -v[12:13]
	ds_load_b128 v[2:5], v1 offset:1728
	scratch_load_b128 v[10:13], off, off offset:928
	v_add_f64_e32 v[177:178], v[177:178], v[42:43]
	v_add_f64_e32 v[179:180], v[179:180], v[44:45]
	ds_load_b128 v[42:45], v1 offset:1744
	s_wait_loadcnt_dscnt 0x801
	v_mul_f64_e32 v[187:188], v[2:3], v[20:21]
	v_mul_f64_e32 v[20:21], v[4:5], v[20:21]
	v_fma_f64 v[175:176], v[175:176], v[14:15], v[181:182]
	v_fma_f64 v[173:174], v[173:174], v[14:15], -v[16:17]
	scratch_load_b128 v[14:17], off, off offset:944
	s_wait_loadcnt_dscnt 0x800
	v_mul_f64_e32 v[181:182], v[42:43], v[24:25]
	v_mul_f64_e32 v[24:25], v[44:45], v[24:25]
	v_add_f64_e32 v[177:178], v[177:178], v[185:186]
	v_add_f64_e32 v[179:180], v[179:180], v[183:184]
	v_fma_f64 v[183:184], v[4:5], v[18:19], v[187:188]
	v_fma_f64 v[185:186], v[2:3], v[18:19], -v[20:21]
	ds_load_b128 v[2:5], v1 offset:1760
	ds_load_b128 v[18:21], v1 offset:1776
	v_fma_f64 v[44:45], v[44:45], v[22:23], v[181:182]
	v_fma_f64 v[22:23], v[42:43], v[22:23], -v[24:25]
	v_add_f64_e32 v[173:174], v[177:178], v[173:174]
	v_add_f64_e32 v[175:176], v[179:180], v[175:176]
	s_wait_loadcnt_dscnt 0x701
	v_mul_f64_e32 v[177:178], v[2:3], v[28:29]
	v_mul_f64_e32 v[28:29], v[4:5], v[28:29]
	s_delay_alu instid0(VALU_DEP_4) | instskip(NEXT) | instid1(VALU_DEP_4)
	v_add_f64_e32 v[24:25], v[173:174], v[185:186]
	v_add_f64_e32 v[42:43], v[175:176], v[183:184]
	s_wait_loadcnt_dscnt 0x600
	v_mul_f64_e32 v[173:174], v[18:19], v[32:33]
	v_mul_f64_e32 v[32:33], v[20:21], v[32:33]
	v_fma_f64 v[175:176], v[4:5], v[26:27], v[177:178]
	v_fma_f64 v[26:27], v[2:3], v[26:27], -v[28:29]
	v_add_f64_e32 v[28:29], v[24:25], v[22:23]
	v_add_f64_e32 v[42:43], v[42:43], v[44:45]
	ds_load_b128 v[2:5], v1 offset:1792
	ds_load_b128 v[22:25], v1 offset:1808
	v_fma_f64 v[20:21], v[20:21], v[30:31], v[173:174]
	v_fma_f64 v[18:19], v[18:19], v[30:31], -v[32:33]
	s_wait_loadcnt_dscnt 0x501
	v_mul_f64_e32 v[44:45], v[2:3], v[36:37]
	v_mul_f64_e32 v[36:37], v[4:5], v[36:37]
	v_add_f64_e32 v[26:27], v[28:29], v[26:27]
	v_add_f64_e32 v[28:29], v[42:43], v[175:176]
	s_wait_loadcnt_dscnt 0x400
	v_mul_f64_e32 v[30:31], v[22:23], v[40:41]
	v_mul_f64_e32 v[32:33], v[24:25], v[40:41]
	v_fma_f64 v[40:41], v[4:5], v[34:35], v[44:45]
	v_fma_f64 v[34:35], v[2:3], v[34:35], -v[36:37]
	v_add_f64_e32 v[26:27], v[26:27], v[18:19]
	v_add_f64_e32 v[28:29], v[28:29], v[20:21]
	ds_load_b128 v[2:5], v1 offset:1824
	ds_load_b128 v[18:21], v1 offset:1840
	v_fma_f64 v[24:25], v[24:25], v[38:39], v[30:31]
	v_fma_f64 v[22:23], v[22:23], v[38:39], -v[32:33]
	s_wait_loadcnt_dscnt 0x201
	v_mul_f64_e32 v[36:37], v[2:3], v[171:172]
	v_mul_f64_e32 v[42:43], v[4:5], v[171:172]
	s_wait_dscnt 0x0
	v_mul_f64_e32 v[30:31], v[18:19], v[8:9]
	v_mul_f64_e32 v[8:9], v[20:21], v[8:9]
	v_add_f64_e32 v[26:27], v[26:27], v[34:35]
	v_add_f64_e32 v[28:29], v[28:29], v[40:41]
	v_fma_f64 v[32:33], v[4:5], v[169:170], v[36:37]
	v_fma_f64 v[34:35], v[2:3], v[169:170], -v[42:43]
	v_fma_f64 v[20:21], v[20:21], v[6:7], v[30:31]
	v_fma_f64 v[6:7], v[18:19], v[6:7], -v[8:9]
	v_add_f64_e32 v[26:27], v[26:27], v[22:23]
	v_add_f64_e32 v[28:29], v[28:29], v[24:25]
	ds_load_b128 v[2:5], v1 offset:1856
	ds_load_b128 v[22:25], v1 offset:1872
	s_wait_loadcnt_dscnt 0x101
	v_mul_f64_e32 v[36:37], v[2:3], v[12:13]
	v_mul_f64_e32 v[12:13], v[4:5], v[12:13]
	v_add_f64_e32 v[8:9], v[26:27], v[34:35]
	v_add_f64_e32 v[18:19], v[28:29], v[32:33]
	s_wait_loadcnt_dscnt 0x0
	v_mul_f64_e32 v[26:27], v[22:23], v[16:17]
	v_mul_f64_e32 v[16:17], v[24:25], v[16:17]
	v_fma_f64 v[4:5], v[4:5], v[10:11], v[36:37]
	v_fma_f64 v[1:2], v[2:3], v[10:11], -v[12:13]
	v_add_f64_e32 v[6:7], v[8:9], v[6:7]
	v_add_f64_e32 v[8:9], v[18:19], v[20:21]
	v_fma_f64 v[10:11], v[24:25], v[14:15], v[26:27]
	v_fma_f64 v[12:13], v[22:23], v[14:15], -v[16:17]
	s_delay_alu instid0(VALU_DEP_4) | instskip(NEXT) | instid1(VALU_DEP_4)
	v_add_f64_e32 v[1:2], v[6:7], v[1:2]
	v_add_f64_e32 v[3:4], v[8:9], v[4:5]
	s_delay_alu instid0(VALU_DEP_2) | instskip(NEXT) | instid1(VALU_DEP_2)
	v_add_f64_e32 v[1:2], v[1:2], v[12:13]
	v_add_f64_e32 v[3:4], v[3:4], v[10:11]
	s_delay_alu instid0(VALU_DEP_2) | instskip(NEXT) | instid1(VALU_DEP_2)
	v_add_f64_e64 v[1:2], v[165:166], -v[1:2]
	v_add_f64_e64 v[3:4], v[167:168], -v[3:4]
	scratch_store_b128 off, v[1:4], off offset:400
	v_cmpx_lt_u32_e32 23, v0
	s_cbranch_execz .LBB122_321
; %bb.320:
	scratch_load_b128 v[1:4], off, s49
	v_mov_b32_e32 v5, 0
	s_delay_alu instid0(VALU_DEP_1)
	v_dual_mov_b32 v6, v5 :: v_dual_mov_b32 v7, v5
	v_mov_b32_e32 v8, v5
	scratch_store_b128 off, v[5:8], off offset:384
	s_wait_loadcnt 0x0
	ds_store_b128 v164, v[1:4]
.LBB122_321:
	s_wait_alu 0xfffe
	s_or_b32 exec_lo, exec_lo, s0
	s_wait_storecnt_dscnt 0x0
	s_barrier_signal -1
	s_barrier_wait -1
	global_inv scope:SCOPE_SE
	s_clause 0x7
	scratch_load_b128 v[2:5], off, off offset:400
	scratch_load_b128 v[6:9], off, off offset:416
	;; [unrolled: 1-line block ×8, first 2 shown]
	v_mov_b32_e32 v1, 0
	s_mov_b32 s0, exec_lo
	ds_load_b128 v[38:41], v1 offset:1328
	s_clause 0x1
	scratch_load_b128 v[34:37], off, off offset:528
	scratch_load_b128 v[42:45], off, off offset:384
	ds_load_b128 v[165:168], v1 offset:1344
	scratch_load_b128 v[169:172], off, off offset:544
	s_wait_loadcnt_dscnt 0xa01
	v_mul_f64_e32 v[173:174], v[40:41], v[4:5]
	v_mul_f64_e32 v[4:5], v[38:39], v[4:5]
	s_delay_alu instid0(VALU_DEP_2) | instskip(NEXT) | instid1(VALU_DEP_2)
	v_fma_f64 v[179:180], v[38:39], v[2:3], -v[173:174]
	v_fma_f64 v[181:182], v[40:41], v[2:3], v[4:5]
	ds_load_b128 v[2:5], v1 offset:1360
	s_wait_loadcnt_dscnt 0x901
	v_mul_f64_e32 v[177:178], v[165:166], v[8:9]
	v_mul_f64_e32 v[8:9], v[167:168], v[8:9]
	scratch_load_b128 v[38:41], off, off offset:560
	ds_load_b128 v[173:176], v1 offset:1376
	s_wait_loadcnt_dscnt 0x901
	v_mul_f64_e32 v[183:184], v[2:3], v[12:13]
	v_mul_f64_e32 v[12:13], v[4:5], v[12:13]
	v_fma_f64 v[167:168], v[167:168], v[6:7], v[177:178]
	v_fma_f64 v[165:166], v[165:166], v[6:7], -v[8:9]
	v_add_f64_e32 v[177:178], 0, v[179:180]
	v_add_f64_e32 v[179:180], 0, v[181:182]
	scratch_load_b128 v[6:9], off, off offset:576
	v_fma_f64 v[183:184], v[4:5], v[10:11], v[183:184]
	v_fma_f64 v[185:186], v[2:3], v[10:11], -v[12:13]
	ds_load_b128 v[2:5], v1 offset:1392
	s_wait_loadcnt_dscnt 0x901
	v_mul_f64_e32 v[181:182], v[173:174], v[16:17]
	v_mul_f64_e32 v[16:17], v[175:176], v[16:17]
	scratch_load_b128 v[10:13], off, off offset:592
	v_add_f64_e32 v[177:178], v[177:178], v[165:166]
	v_add_f64_e32 v[179:180], v[179:180], v[167:168]
	s_wait_loadcnt_dscnt 0x900
	v_mul_f64_e32 v[187:188], v[2:3], v[20:21]
	v_mul_f64_e32 v[20:21], v[4:5], v[20:21]
	ds_load_b128 v[165:168], v1 offset:1408
	v_fma_f64 v[175:176], v[175:176], v[14:15], v[181:182]
	v_fma_f64 v[173:174], v[173:174], v[14:15], -v[16:17]
	scratch_load_b128 v[14:17], off, off offset:608
	v_add_f64_e32 v[177:178], v[177:178], v[185:186]
	v_add_f64_e32 v[179:180], v[179:180], v[183:184]
	v_fma_f64 v[183:184], v[4:5], v[18:19], v[187:188]
	v_fma_f64 v[185:186], v[2:3], v[18:19], -v[20:21]
	ds_load_b128 v[2:5], v1 offset:1424
	s_wait_loadcnt_dscnt 0x901
	v_mul_f64_e32 v[181:182], v[165:166], v[24:25]
	v_mul_f64_e32 v[24:25], v[167:168], v[24:25]
	scratch_load_b128 v[18:21], off, off offset:624
	s_wait_loadcnt_dscnt 0x900
	v_mul_f64_e32 v[187:188], v[2:3], v[28:29]
	v_mul_f64_e32 v[28:29], v[4:5], v[28:29]
	v_add_f64_e32 v[177:178], v[177:178], v[173:174]
	v_add_f64_e32 v[179:180], v[179:180], v[175:176]
	ds_load_b128 v[173:176], v1 offset:1440
	v_fma_f64 v[167:168], v[167:168], v[22:23], v[181:182]
	v_fma_f64 v[165:166], v[165:166], v[22:23], -v[24:25]
	scratch_load_b128 v[22:25], off, off offset:640
	v_add_f64_e32 v[177:178], v[177:178], v[185:186]
	v_add_f64_e32 v[179:180], v[179:180], v[183:184]
	v_fma_f64 v[183:184], v[4:5], v[26:27], v[187:188]
	v_fma_f64 v[185:186], v[2:3], v[26:27], -v[28:29]
	ds_load_b128 v[2:5], v1 offset:1456
	s_wait_loadcnt_dscnt 0x901
	v_mul_f64_e32 v[181:182], v[173:174], v[32:33]
	v_mul_f64_e32 v[32:33], v[175:176], v[32:33]
	scratch_load_b128 v[26:29], off, off offset:656
	s_wait_loadcnt_dscnt 0x900
	v_mul_f64_e32 v[187:188], v[2:3], v[36:37]
	v_mul_f64_e32 v[36:37], v[4:5], v[36:37]
	v_add_f64_e32 v[177:178], v[177:178], v[165:166]
	v_add_f64_e32 v[179:180], v[179:180], v[167:168]
	ds_load_b128 v[165:168], v1 offset:1472
	v_fma_f64 v[175:176], v[175:176], v[30:31], v[181:182]
	v_fma_f64 v[173:174], v[173:174], v[30:31], -v[32:33]
	scratch_load_b128 v[30:33], off, off offset:672
	v_add_f64_e32 v[177:178], v[177:178], v[185:186]
	v_add_f64_e32 v[179:180], v[179:180], v[183:184]
	v_fma_f64 v[185:186], v[4:5], v[34:35], v[187:188]
	v_fma_f64 v[187:188], v[2:3], v[34:35], -v[36:37]
	ds_load_b128 v[2:5], v1 offset:1488
	s_wait_loadcnt_dscnt 0x801
	v_mul_f64_e32 v[181:182], v[165:166], v[171:172]
	v_mul_f64_e32 v[183:184], v[167:168], v[171:172]
	scratch_load_b128 v[34:37], off, off offset:688
	v_add_f64_e32 v[177:178], v[177:178], v[173:174]
	v_add_f64_e32 v[175:176], v[179:180], v[175:176]
	ds_load_b128 v[171:174], v1 offset:1504
	v_fma_f64 v[181:182], v[167:168], v[169:170], v[181:182]
	v_fma_f64 v[169:170], v[165:166], v[169:170], -v[183:184]
	scratch_load_b128 v[165:168], off, off offset:704
	s_wait_loadcnt_dscnt 0x901
	v_mul_f64_e32 v[179:180], v[2:3], v[40:41]
	v_mul_f64_e32 v[40:41], v[4:5], v[40:41]
	v_add_f64_e32 v[177:178], v[177:178], v[187:188]
	v_add_f64_e32 v[175:176], v[175:176], v[185:186]
	s_delay_alu instid0(VALU_DEP_4) | instskip(NEXT) | instid1(VALU_DEP_4)
	v_fma_f64 v[179:180], v[4:5], v[38:39], v[179:180]
	v_fma_f64 v[185:186], v[2:3], v[38:39], -v[40:41]
	ds_load_b128 v[2:5], v1 offset:1520
	s_wait_loadcnt_dscnt 0x801
	v_mul_f64_e32 v[183:184], v[171:172], v[8:9]
	v_mul_f64_e32 v[8:9], v[173:174], v[8:9]
	scratch_load_b128 v[38:41], off, off offset:720
	s_wait_loadcnt_dscnt 0x800
	v_mul_f64_e32 v[187:188], v[2:3], v[12:13]
	v_add_f64_e32 v[169:170], v[177:178], v[169:170]
	v_add_f64_e32 v[181:182], v[175:176], v[181:182]
	v_mul_f64_e32 v[12:13], v[4:5], v[12:13]
	ds_load_b128 v[175:178], v1 offset:1536
	v_fma_f64 v[173:174], v[173:174], v[6:7], v[183:184]
	v_fma_f64 v[171:172], v[171:172], v[6:7], -v[8:9]
	scratch_load_b128 v[6:9], off, off offset:736
	v_fma_f64 v[183:184], v[4:5], v[10:11], v[187:188]
	v_add_f64_e32 v[169:170], v[169:170], v[185:186]
	v_add_f64_e32 v[179:180], v[181:182], v[179:180]
	v_fma_f64 v[185:186], v[2:3], v[10:11], -v[12:13]
	ds_load_b128 v[2:5], v1 offset:1552
	s_wait_loadcnt_dscnt 0x801
	v_mul_f64_e32 v[181:182], v[175:176], v[16:17]
	v_mul_f64_e32 v[16:17], v[177:178], v[16:17]
	scratch_load_b128 v[10:13], off, off offset:752
	v_add_f64_e32 v[187:188], v[169:170], v[171:172]
	v_add_f64_e32 v[173:174], v[179:180], v[173:174]
	s_wait_loadcnt_dscnt 0x800
	v_mul_f64_e32 v[179:180], v[2:3], v[20:21]
	v_mul_f64_e32 v[20:21], v[4:5], v[20:21]
	v_fma_f64 v[177:178], v[177:178], v[14:15], v[181:182]
	v_fma_f64 v[175:176], v[175:176], v[14:15], -v[16:17]
	ds_load_b128 v[169:172], v1 offset:1568
	scratch_load_b128 v[14:17], off, off offset:768
	v_add_f64_e32 v[181:182], v[187:188], v[185:186]
	v_add_f64_e32 v[173:174], v[173:174], v[183:184]
	v_fma_f64 v[179:180], v[4:5], v[18:19], v[179:180]
	v_fma_f64 v[185:186], v[2:3], v[18:19], -v[20:21]
	ds_load_b128 v[2:5], v1 offset:1584
	s_wait_loadcnt_dscnt 0x801
	v_mul_f64_e32 v[183:184], v[169:170], v[24:25]
	v_mul_f64_e32 v[24:25], v[171:172], v[24:25]
	scratch_load_b128 v[18:21], off, off offset:784
	s_wait_loadcnt_dscnt 0x800
	v_mul_f64_e32 v[187:188], v[2:3], v[28:29]
	v_mul_f64_e32 v[28:29], v[4:5], v[28:29]
	v_add_f64_e32 v[181:182], v[181:182], v[175:176]
	v_add_f64_e32 v[177:178], v[173:174], v[177:178]
	ds_load_b128 v[173:176], v1 offset:1600
	v_fma_f64 v[171:172], v[171:172], v[22:23], v[183:184]
	v_fma_f64 v[169:170], v[169:170], v[22:23], -v[24:25]
	scratch_load_b128 v[22:25], off, off offset:800
	v_fma_f64 v[183:184], v[4:5], v[26:27], v[187:188]
	v_add_f64_e32 v[181:182], v[181:182], v[185:186]
	v_add_f64_e32 v[177:178], v[177:178], v[179:180]
	v_fma_f64 v[185:186], v[2:3], v[26:27], -v[28:29]
	ds_load_b128 v[2:5], v1 offset:1616
	s_wait_loadcnt_dscnt 0x801
	v_mul_f64_e32 v[179:180], v[173:174], v[32:33]
	v_mul_f64_e32 v[32:33], v[175:176], v[32:33]
	scratch_load_b128 v[26:29], off, off offset:816
	s_wait_loadcnt_dscnt 0x800
	v_mul_f64_e32 v[187:188], v[2:3], v[36:37]
	v_mul_f64_e32 v[36:37], v[4:5], v[36:37]
	v_add_f64_e32 v[181:182], v[181:182], v[169:170]
	v_add_f64_e32 v[177:178], v[177:178], v[171:172]
	ds_load_b128 v[169:172], v1 offset:1632
	v_fma_f64 v[175:176], v[175:176], v[30:31], v[179:180]
	v_fma_f64 v[173:174], v[173:174], v[30:31], -v[32:33]
	scratch_load_b128 v[30:33], off, off offset:832
	v_add_f64_e32 v[179:180], v[181:182], v[185:186]
	v_add_f64_e32 v[177:178], v[177:178], v[183:184]
	v_fma_f64 v[183:184], v[4:5], v[34:35], v[187:188]
	v_fma_f64 v[185:186], v[2:3], v[34:35], -v[36:37]
	ds_load_b128 v[2:5], v1 offset:1648
	s_wait_loadcnt_dscnt 0x801
	v_mul_f64_e32 v[181:182], v[169:170], v[167:168]
	v_mul_f64_e32 v[167:168], v[171:172], v[167:168]
	scratch_load_b128 v[34:37], off, off offset:848
	s_wait_loadcnt_dscnt 0x800
	v_mul_f64_e32 v[187:188], v[2:3], v[40:41]
	v_mul_f64_e32 v[40:41], v[4:5], v[40:41]
	v_add_f64_e32 v[179:180], v[179:180], v[173:174]
	v_add_f64_e32 v[177:178], v[177:178], v[175:176]
	ds_load_b128 v[173:176], v1 offset:1664
	v_fma_f64 v[171:172], v[171:172], v[165:166], v[181:182]
	v_fma_f64 v[169:170], v[169:170], v[165:166], -v[167:168]
	scratch_load_b128 v[165:168], off, off offset:864
	v_add_f64_e32 v[179:180], v[179:180], v[185:186]
	v_add_f64_e32 v[177:178], v[177:178], v[183:184]
	v_fma_f64 v[183:184], v[4:5], v[38:39], v[187:188]
	;; [unrolled: 18-line block ×4, first 2 shown]
	v_fma_f64 v[185:186], v[2:3], v[18:19], -v[20:21]
	ds_load_b128 v[2:5], v1 offset:1744
	s_wait_loadcnt_dscnt 0x801
	v_mul_f64_e32 v[181:182], v[173:174], v[24:25]
	v_mul_f64_e32 v[24:25], v[175:176], v[24:25]
	scratch_load_b128 v[18:21], off, off offset:944
	s_wait_loadcnt_dscnt 0x800
	v_mul_f64_e32 v[187:188], v[2:3], v[28:29]
	v_mul_f64_e32 v[28:29], v[4:5], v[28:29]
	v_add_f64_e32 v[179:180], v[179:180], v[169:170]
	v_add_f64_e32 v[177:178], v[177:178], v[171:172]
	ds_load_b128 v[169:172], v1 offset:1760
	v_fma_f64 v[175:176], v[175:176], v[22:23], v[181:182]
	v_fma_f64 v[22:23], v[173:174], v[22:23], -v[24:25]
	v_add_f64_e32 v[24:25], v[179:180], v[185:186]
	v_add_f64_e32 v[173:174], v[177:178], v[183:184]
	s_wait_loadcnt_dscnt 0x700
	v_mul_f64_e32 v[177:178], v[169:170], v[32:33]
	v_mul_f64_e32 v[32:33], v[171:172], v[32:33]
	v_fma_f64 v[179:180], v[4:5], v[26:27], v[187:188]
	v_fma_f64 v[26:27], v[2:3], v[26:27], -v[28:29]
	v_add_f64_e32 v[28:29], v[24:25], v[22:23]
	v_add_f64_e32 v[173:174], v[173:174], v[175:176]
	ds_load_b128 v[2:5], v1 offset:1776
	ds_load_b128 v[22:25], v1 offset:1792
	v_fma_f64 v[171:172], v[171:172], v[30:31], v[177:178]
	v_fma_f64 v[30:31], v[169:170], v[30:31], -v[32:33]
	s_wait_loadcnt_dscnt 0x601
	v_mul_f64_e32 v[175:176], v[2:3], v[36:37]
	v_mul_f64_e32 v[36:37], v[4:5], v[36:37]
	s_wait_loadcnt_dscnt 0x500
	v_mul_f64_e32 v[32:33], v[22:23], v[167:168]
	v_mul_f64_e32 v[167:168], v[24:25], v[167:168]
	v_add_f64_e32 v[26:27], v[28:29], v[26:27]
	v_add_f64_e32 v[28:29], v[173:174], v[179:180]
	v_fma_f64 v[169:170], v[4:5], v[34:35], v[175:176]
	v_fma_f64 v[34:35], v[2:3], v[34:35], -v[36:37]
	v_fma_f64 v[24:25], v[24:25], v[165:166], v[32:33]
	v_fma_f64 v[22:23], v[22:23], v[165:166], -v[167:168]
	v_add_f64_e32 v[30:31], v[26:27], v[30:31]
	v_add_f64_e32 v[36:37], v[28:29], v[171:172]
	ds_load_b128 v[2:5], v1 offset:1808
	ds_load_b128 v[26:29], v1 offset:1824
	s_wait_loadcnt_dscnt 0x401
	v_mul_f64_e32 v[171:172], v[2:3], v[40:41]
	v_mul_f64_e32 v[40:41], v[4:5], v[40:41]
	v_add_f64_e32 v[30:31], v[30:31], v[34:35]
	v_add_f64_e32 v[32:33], v[36:37], v[169:170]
	s_wait_loadcnt_dscnt 0x300
	v_mul_f64_e32 v[34:35], v[26:27], v[8:9]
	v_mul_f64_e32 v[8:9], v[28:29], v[8:9]
	v_fma_f64 v[36:37], v[4:5], v[38:39], v[171:172]
	v_fma_f64 v[38:39], v[2:3], v[38:39], -v[40:41]
	v_add_f64_e32 v[30:31], v[30:31], v[22:23]
	v_add_f64_e32 v[32:33], v[32:33], v[24:25]
	ds_load_b128 v[2:5], v1 offset:1840
	ds_load_b128 v[22:25], v1 offset:1856
	v_fma_f64 v[28:29], v[28:29], v[6:7], v[34:35]
	v_fma_f64 v[6:7], v[26:27], v[6:7], -v[8:9]
	s_wait_loadcnt_dscnt 0x201
	v_mul_f64_e32 v[40:41], v[2:3], v[12:13]
	v_mul_f64_e32 v[12:13], v[4:5], v[12:13]
	v_add_f64_e32 v[8:9], v[30:31], v[38:39]
	v_add_f64_e32 v[26:27], v[32:33], v[36:37]
	s_wait_loadcnt_dscnt 0x100
	v_mul_f64_e32 v[30:31], v[22:23], v[16:17]
	v_mul_f64_e32 v[16:17], v[24:25], v[16:17]
	v_fma_f64 v[32:33], v[4:5], v[10:11], v[40:41]
	v_fma_f64 v[10:11], v[2:3], v[10:11], -v[12:13]
	ds_load_b128 v[2:5], v1 offset:1872
	v_add_f64_e32 v[6:7], v[8:9], v[6:7]
	v_add_f64_e32 v[8:9], v[26:27], v[28:29]
	v_fma_f64 v[24:25], v[24:25], v[14:15], v[30:31]
	v_fma_f64 v[14:15], v[22:23], v[14:15], -v[16:17]
	s_wait_loadcnt_dscnt 0x0
	v_mul_f64_e32 v[12:13], v[2:3], v[20:21]
	v_mul_f64_e32 v[20:21], v[4:5], v[20:21]
	v_add_f64_e32 v[6:7], v[6:7], v[10:11]
	v_add_f64_e32 v[8:9], v[8:9], v[32:33]
	s_delay_alu instid0(VALU_DEP_4) | instskip(NEXT) | instid1(VALU_DEP_4)
	v_fma_f64 v[4:5], v[4:5], v[18:19], v[12:13]
	v_fma_f64 v[2:3], v[2:3], v[18:19], -v[20:21]
	s_delay_alu instid0(VALU_DEP_4) | instskip(NEXT) | instid1(VALU_DEP_4)
	v_add_f64_e32 v[6:7], v[6:7], v[14:15]
	v_add_f64_e32 v[8:9], v[8:9], v[24:25]
	s_delay_alu instid0(VALU_DEP_2) | instskip(NEXT) | instid1(VALU_DEP_2)
	v_add_f64_e32 v[2:3], v[6:7], v[2:3]
	v_add_f64_e32 v[4:5], v[8:9], v[4:5]
	s_delay_alu instid0(VALU_DEP_2) | instskip(NEXT) | instid1(VALU_DEP_2)
	v_add_f64_e64 v[2:3], v[42:43], -v[2:3]
	v_add_f64_e64 v[4:5], v[44:45], -v[4:5]
	scratch_store_b128 off, v[2:5], off offset:384
	v_cmpx_lt_u32_e32 22, v0
	s_cbranch_execz .LBB122_323
; %bb.322:
	scratch_load_b128 v[5:8], off, s50
	v_dual_mov_b32 v2, v1 :: v_dual_mov_b32 v3, v1
	v_mov_b32_e32 v4, v1
	scratch_store_b128 off, v[1:4], off offset:368
	s_wait_loadcnt 0x0
	ds_store_b128 v164, v[5:8]
.LBB122_323:
	s_wait_alu 0xfffe
	s_or_b32 exec_lo, exec_lo, s0
	s_wait_storecnt_dscnt 0x0
	s_barrier_signal -1
	s_barrier_wait -1
	global_inv scope:SCOPE_SE
	s_clause 0x8
	scratch_load_b128 v[2:5], off, off offset:384
	scratch_load_b128 v[6:9], off, off offset:400
	;; [unrolled: 1-line block ×9, first 2 shown]
	ds_load_b128 v[38:41], v1 offset:1312
	ds_load_b128 v[42:45], v1 offset:1328
	s_clause 0x1
	scratch_load_b128 v[165:168], off, off offset:368
	scratch_load_b128 v[169:172], off, off offset:528
	s_mov_b32 s0, exec_lo
	s_wait_loadcnt_dscnt 0xa01
	v_mul_f64_e32 v[173:174], v[40:41], v[4:5]
	v_mul_f64_e32 v[4:5], v[38:39], v[4:5]
	s_wait_loadcnt_dscnt 0x900
	v_mul_f64_e32 v[177:178], v[42:43], v[8:9]
	v_mul_f64_e32 v[8:9], v[44:45], v[8:9]
	s_delay_alu instid0(VALU_DEP_4) | instskip(NEXT) | instid1(VALU_DEP_4)
	v_fma_f64 v[179:180], v[38:39], v[2:3], -v[173:174]
	v_fma_f64 v[181:182], v[40:41], v[2:3], v[4:5]
	ds_load_b128 v[2:5], v1 offset:1344
	ds_load_b128 v[173:176], v1 offset:1360
	scratch_load_b128 v[38:41], off, off offset:544
	v_fma_f64 v[44:45], v[44:45], v[6:7], v[177:178]
	v_fma_f64 v[42:43], v[42:43], v[6:7], -v[8:9]
	scratch_load_b128 v[6:9], off, off offset:560
	s_wait_loadcnt_dscnt 0xa01
	v_mul_f64_e32 v[183:184], v[2:3], v[12:13]
	v_mul_f64_e32 v[12:13], v[4:5], v[12:13]
	v_add_f64_e32 v[177:178], 0, v[179:180]
	v_add_f64_e32 v[179:180], 0, v[181:182]
	s_wait_loadcnt_dscnt 0x900
	v_mul_f64_e32 v[181:182], v[173:174], v[16:17]
	v_mul_f64_e32 v[16:17], v[175:176], v[16:17]
	v_fma_f64 v[183:184], v[4:5], v[10:11], v[183:184]
	v_fma_f64 v[185:186], v[2:3], v[10:11], -v[12:13]
	ds_load_b128 v[2:5], v1 offset:1376
	scratch_load_b128 v[10:13], off, off offset:576
	v_add_f64_e32 v[177:178], v[177:178], v[42:43]
	v_add_f64_e32 v[179:180], v[179:180], v[44:45]
	ds_load_b128 v[42:45], v1 offset:1392
	v_fma_f64 v[175:176], v[175:176], v[14:15], v[181:182]
	v_fma_f64 v[173:174], v[173:174], v[14:15], -v[16:17]
	scratch_load_b128 v[14:17], off, off offset:592
	s_wait_loadcnt_dscnt 0xa01
	v_mul_f64_e32 v[187:188], v[2:3], v[20:21]
	v_mul_f64_e32 v[20:21], v[4:5], v[20:21]
	s_wait_loadcnt_dscnt 0x900
	v_mul_f64_e32 v[181:182], v[42:43], v[24:25]
	v_mul_f64_e32 v[24:25], v[44:45], v[24:25]
	v_add_f64_e32 v[177:178], v[177:178], v[185:186]
	v_add_f64_e32 v[179:180], v[179:180], v[183:184]
	v_fma_f64 v[183:184], v[4:5], v[18:19], v[187:188]
	v_fma_f64 v[185:186], v[2:3], v[18:19], -v[20:21]
	ds_load_b128 v[2:5], v1 offset:1408
	scratch_load_b128 v[18:21], off, off offset:608
	v_fma_f64 v[44:45], v[44:45], v[22:23], v[181:182]
	v_fma_f64 v[42:43], v[42:43], v[22:23], -v[24:25]
	scratch_load_b128 v[22:25], off, off offset:624
	v_add_f64_e32 v[177:178], v[177:178], v[173:174]
	v_add_f64_e32 v[179:180], v[179:180], v[175:176]
	ds_load_b128 v[173:176], v1 offset:1424
	s_wait_loadcnt_dscnt 0xa01
	v_mul_f64_e32 v[187:188], v[2:3], v[28:29]
	v_mul_f64_e32 v[28:29], v[4:5], v[28:29]
	s_wait_loadcnt_dscnt 0x900
	v_mul_f64_e32 v[181:182], v[173:174], v[32:33]
	v_mul_f64_e32 v[32:33], v[175:176], v[32:33]
	v_add_f64_e32 v[177:178], v[177:178], v[185:186]
	v_add_f64_e32 v[179:180], v[179:180], v[183:184]
	v_fma_f64 v[183:184], v[4:5], v[26:27], v[187:188]
	v_fma_f64 v[185:186], v[2:3], v[26:27], -v[28:29]
	ds_load_b128 v[2:5], v1 offset:1440
	scratch_load_b128 v[26:29], off, off offset:640
	v_fma_f64 v[175:176], v[175:176], v[30:31], v[181:182]
	v_fma_f64 v[173:174], v[173:174], v[30:31], -v[32:33]
	scratch_load_b128 v[30:33], off, off offset:656
	v_add_f64_e32 v[177:178], v[177:178], v[42:43]
	v_add_f64_e32 v[179:180], v[179:180], v[44:45]
	ds_load_b128 v[42:45], v1 offset:1456
	s_wait_loadcnt_dscnt 0xa01
	v_mul_f64_e32 v[187:188], v[2:3], v[36:37]
	v_mul_f64_e32 v[36:37], v[4:5], v[36:37]
	s_wait_loadcnt_dscnt 0x800
	v_mul_f64_e32 v[181:182], v[42:43], v[171:172]
	v_add_f64_e32 v[177:178], v[177:178], v[185:186]
	v_add_f64_e32 v[179:180], v[179:180], v[183:184]
	v_mul_f64_e32 v[183:184], v[44:45], v[171:172]
	v_fma_f64 v[185:186], v[4:5], v[34:35], v[187:188]
	v_fma_f64 v[187:188], v[2:3], v[34:35], -v[36:37]
	ds_load_b128 v[2:5], v1 offset:1472
	scratch_load_b128 v[34:37], off, off offset:672
	v_fma_f64 v[44:45], v[44:45], v[169:170], v[181:182]
	v_add_f64_e32 v[177:178], v[177:178], v[173:174]
	v_add_f64_e32 v[175:176], v[179:180], v[175:176]
	ds_load_b128 v[171:174], v1 offset:1488
	v_fma_f64 v[169:170], v[42:43], v[169:170], -v[183:184]
	s_wait_loadcnt_dscnt 0x801
	v_mul_f64_e32 v[179:180], v[2:3], v[40:41]
	v_mul_f64_e32 v[189:190], v[4:5], v[40:41]
	scratch_load_b128 v[40:43], off, off offset:688
	s_wait_loadcnt_dscnt 0x800
	v_mul_f64_e32 v[183:184], v[171:172], v[8:9]
	v_mul_f64_e32 v[8:9], v[173:174], v[8:9]
	v_add_f64_e32 v[177:178], v[177:178], v[187:188]
	v_add_f64_e32 v[175:176], v[175:176], v[185:186]
	v_fma_f64 v[185:186], v[4:5], v[38:39], v[179:180]
	v_fma_f64 v[38:39], v[2:3], v[38:39], -v[189:190]
	ds_load_b128 v[2:5], v1 offset:1504
	ds_load_b128 v[179:182], v1 offset:1520
	v_fma_f64 v[173:174], v[173:174], v[6:7], v[183:184]
	v_fma_f64 v[171:172], v[171:172], v[6:7], -v[8:9]
	scratch_load_b128 v[6:9], off, off offset:720
	v_add_f64_e32 v[169:170], v[177:178], v[169:170]
	v_add_f64_e32 v[44:45], v[175:176], v[44:45]
	scratch_load_b128 v[175:178], off, off offset:704
	s_wait_loadcnt_dscnt 0x901
	v_mul_f64_e32 v[187:188], v[2:3], v[12:13]
	v_mul_f64_e32 v[12:13], v[4:5], v[12:13]
	s_wait_loadcnt_dscnt 0x800
	v_mul_f64_e32 v[183:184], v[179:180], v[16:17]
	v_mul_f64_e32 v[16:17], v[181:182], v[16:17]
	v_add_f64_e32 v[38:39], v[169:170], v[38:39]
	v_add_f64_e32 v[44:45], v[44:45], v[185:186]
	v_fma_f64 v[185:186], v[4:5], v[10:11], v[187:188]
	v_fma_f64 v[187:188], v[2:3], v[10:11], -v[12:13]
	ds_load_b128 v[2:5], v1 offset:1536
	scratch_load_b128 v[10:13], off, off offset:736
	v_fma_f64 v[181:182], v[181:182], v[14:15], v[183:184]
	v_fma_f64 v[179:180], v[179:180], v[14:15], -v[16:17]
	scratch_load_b128 v[14:17], off, off offset:752
	v_add_f64_e32 v[38:39], v[38:39], v[171:172]
	v_add_f64_e32 v[44:45], v[44:45], v[173:174]
	ds_load_b128 v[169:172], v1 offset:1552
	s_wait_loadcnt_dscnt 0x901
	v_mul_f64_e32 v[173:174], v[2:3], v[20:21]
	v_mul_f64_e32 v[20:21], v[4:5], v[20:21]
	s_wait_loadcnt_dscnt 0x800
	v_mul_f64_e32 v[183:184], v[169:170], v[24:25]
	v_mul_f64_e32 v[24:25], v[171:172], v[24:25]
	v_add_f64_e32 v[38:39], v[38:39], v[187:188]
	v_add_f64_e32 v[44:45], v[44:45], v[185:186]
	v_fma_f64 v[173:174], v[4:5], v[18:19], v[173:174]
	v_fma_f64 v[185:186], v[2:3], v[18:19], -v[20:21]
	ds_load_b128 v[2:5], v1 offset:1568
	scratch_load_b128 v[18:21], off, off offset:768
	v_fma_f64 v[171:172], v[171:172], v[22:23], v[183:184]
	v_fma_f64 v[169:170], v[169:170], v[22:23], -v[24:25]
	scratch_load_b128 v[22:25], off, off offset:784
	v_add_f64_e32 v[38:39], v[38:39], v[179:180]
	v_add_f64_e32 v[44:45], v[44:45], v[181:182]
	ds_load_b128 v[179:182], v1 offset:1584
	s_wait_loadcnt_dscnt 0x901
	v_mul_f64_e32 v[187:188], v[2:3], v[28:29]
	v_mul_f64_e32 v[28:29], v[4:5], v[28:29]
	v_add_f64_e32 v[38:39], v[38:39], v[185:186]
	v_add_f64_e32 v[44:45], v[44:45], v[173:174]
	s_wait_loadcnt_dscnt 0x800
	v_mul_f64_e32 v[173:174], v[179:180], v[32:33]
	v_mul_f64_e32 v[32:33], v[181:182], v[32:33]
	v_fma_f64 v[183:184], v[4:5], v[26:27], v[187:188]
	v_fma_f64 v[185:186], v[2:3], v[26:27], -v[28:29]
	ds_load_b128 v[2:5], v1 offset:1600
	scratch_load_b128 v[26:29], off, off offset:800
	v_add_f64_e32 v[38:39], v[38:39], v[169:170]
	v_add_f64_e32 v[44:45], v[44:45], v[171:172]
	ds_load_b128 v[169:172], v1 offset:1616
	s_wait_loadcnt_dscnt 0x801
	v_mul_f64_e32 v[187:188], v[2:3], v[36:37]
	v_mul_f64_e32 v[36:37], v[4:5], v[36:37]
	v_fma_f64 v[173:174], v[181:182], v[30:31], v[173:174]
	v_fma_f64 v[179:180], v[179:180], v[30:31], -v[32:33]
	scratch_load_b128 v[30:33], off, off offset:816
	s_wait_loadcnt_dscnt 0x800
	v_mul_f64_e32 v[181:182], v[169:170], v[42:43]
	v_add_f64_e32 v[38:39], v[38:39], v[185:186]
	v_add_f64_e32 v[44:45], v[44:45], v[183:184]
	v_mul_f64_e32 v[183:184], v[171:172], v[42:43]
	v_fma_f64 v[185:186], v[4:5], v[34:35], v[187:188]
	v_fma_f64 v[187:188], v[2:3], v[34:35], -v[36:37]
	ds_load_b128 v[2:5], v1 offset:1632
	scratch_load_b128 v[34:37], off, off offset:832
	v_fma_f64 v[171:172], v[171:172], v[40:41], v[181:182]
	v_add_f64_e32 v[38:39], v[38:39], v[179:180]
	v_add_f64_e32 v[173:174], v[44:45], v[173:174]
	ds_load_b128 v[42:45], v1 offset:1648
	v_fma_f64 v[169:170], v[169:170], v[40:41], -v[183:184]
	s_wait_loadcnt_dscnt 0x701
	v_mul_f64_e32 v[179:180], v[2:3], v[177:178]
	v_mul_f64_e32 v[177:178], v[4:5], v[177:178]
	s_wait_dscnt 0x0
	v_mul_f64_e32 v[183:184], v[42:43], v[8:9]
	v_mul_f64_e32 v[8:9], v[44:45], v[8:9]
	v_add_f64_e32 v[181:182], v[38:39], v[187:188]
	v_add_f64_e32 v[173:174], v[173:174], v[185:186]
	scratch_load_b128 v[38:41], off, off offset:848
	v_fma_f64 v[179:180], v[4:5], v[175:176], v[179:180]
	v_fma_f64 v[177:178], v[2:3], v[175:176], -v[177:178]
	ds_load_b128 v[2:5], v1 offset:1664
	v_fma_f64 v[44:45], v[44:45], v[6:7], v[183:184]
	v_fma_f64 v[42:43], v[42:43], v[6:7], -v[8:9]
	scratch_load_b128 v[6:9], off, off offset:880
	v_add_f64_e32 v[181:182], v[181:182], v[169:170]
	v_add_f64_e32 v[185:186], v[173:174], v[171:172]
	scratch_load_b128 v[169:172], off, off offset:864
	ds_load_b128 v[173:176], v1 offset:1680
	s_wait_loadcnt_dscnt 0x901
	v_mul_f64_e32 v[187:188], v[2:3], v[12:13]
	v_mul_f64_e32 v[12:13], v[4:5], v[12:13]
	v_add_f64_e32 v[177:178], v[181:182], v[177:178]
	v_add_f64_e32 v[179:180], v[185:186], v[179:180]
	s_wait_loadcnt_dscnt 0x800
	v_mul_f64_e32 v[181:182], v[173:174], v[16:17]
	v_mul_f64_e32 v[16:17], v[175:176], v[16:17]
	v_fma_f64 v[183:184], v[4:5], v[10:11], v[187:188]
	v_fma_f64 v[185:186], v[2:3], v[10:11], -v[12:13]
	ds_load_b128 v[2:5], v1 offset:1696
	scratch_load_b128 v[10:13], off, off offset:896
	v_add_f64_e32 v[177:178], v[177:178], v[42:43]
	v_add_f64_e32 v[179:180], v[179:180], v[44:45]
	ds_load_b128 v[42:45], v1 offset:1712
	s_wait_loadcnt_dscnt 0x801
	v_mul_f64_e32 v[187:188], v[2:3], v[20:21]
	v_mul_f64_e32 v[20:21], v[4:5], v[20:21]
	v_fma_f64 v[175:176], v[175:176], v[14:15], v[181:182]
	v_fma_f64 v[173:174], v[173:174], v[14:15], -v[16:17]
	scratch_load_b128 v[14:17], off, off offset:912
	s_wait_loadcnt_dscnt 0x800
	v_mul_f64_e32 v[181:182], v[42:43], v[24:25]
	v_mul_f64_e32 v[24:25], v[44:45], v[24:25]
	v_add_f64_e32 v[177:178], v[177:178], v[185:186]
	v_add_f64_e32 v[179:180], v[179:180], v[183:184]
	v_fma_f64 v[183:184], v[4:5], v[18:19], v[187:188]
	v_fma_f64 v[185:186], v[2:3], v[18:19], -v[20:21]
	ds_load_b128 v[2:5], v1 offset:1728
	scratch_load_b128 v[18:21], off, off offset:928
	v_fma_f64 v[44:45], v[44:45], v[22:23], v[181:182]
	v_fma_f64 v[42:43], v[42:43], v[22:23], -v[24:25]
	scratch_load_b128 v[22:25], off, off offset:944
	v_add_f64_e32 v[177:178], v[177:178], v[173:174]
	v_add_f64_e32 v[179:180], v[179:180], v[175:176]
	ds_load_b128 v[173:176], v1 offset:1744
	s_wait_loadcnt_dscnt 0x901
	v_mul_f64_e32 v[187:188], v[2:3], v[28:29]
	v_mul_f64_e32 v[28:29], v[4:5], v[28:29]
	s_wait_loadcnt_dscnt 0x800
	v_mul_f64_e32 v[181:182], v[173:174], v[32:33]
	v_mul_f64_e32 v[32:33], v[175:176], v[32:33]
	v_add_f64_e32 v[177:178], v[177:178], v[185:186]
	v_add_f64_e32 v[179:180], v[179:180], v[183:184]
	v_fma_f64 v[183:184], v[4:5], v[26:27], v[187:188]
	v_fma_f64 v[185:186], v[2:3], v[26:27], -v[28:29]
	ds_load_b128 v[2:5], v1 offset:1760
	ds_load_b128 v[26:29], v1 offset:1776
	v_fma_f64 v[175:176], v[175:176], v[30:31], v[181:182]
	v_fma_f64 v[30:31], v[173:174], v[30:31], -v[32:33]
	v_add_f64_e32 v[42:43], v[177:178], v[42:43]
	v_add_f64_e32 v[44:45], v[179:180], v[44:45]
	s_wait_loadcnt_dscnt 0x701
	v_mul_f64_e32 v[177:178], v[2:3], v[36:37]
	v_mul_f64_e32 v[36:37], v[4:5], v[36:37]
	s_delay_alu instid0(VALU_DEP_4) | instskip(NEXT) | instid1(VALU_DEP_4)
	v_add_f64_e32 v[32:33], v[42:43], v[185:186]
	v_add_f64_e32 v[42:43], v[44:45], v[183:184]
	s_delay_alu instid0(VALU_DEP_4) | instskip(NEXT) | instid1(VALU_DEP_4)
	v_fma_f64 v[173:174], v[4:5], v[34:35], v[177:178]
	v_fma_f64 v[34:35], v[2:3], v[34:35], -v[36:37]
	s_wait_loadcnt_dscnt 0x600
	v_mul_f64_e32 v[44:45], v[26:27], v[40:41]
	v_mul_f64_e32 v[40:41], v[28:29], v[40:41]
	v_add_f64_e32 v[36:37], v[32:33], v[30:31]
	v_add_f64_e32 v[42:43], v[42:43], v[175:176]
	ds_load_b128 v[2:5], v1 offset:1792
	ds_load_b128 v[30:33], v1 offset:1808
	v_fma_f64 v[28:29], v[28:29], v[38:39], v[44:45]
	v_fma_f64 v[26:27], v[26:27], v[38:39], -v[40:41]
	s_wait_loadcnt_dscnt 0x401
	v_mul_f64_e32 v[175:176], v[2:3], v[171:172]
	v_mul_f64_e32 v[171:172], v[4:5], v[171:172]
	s_wait_dscnt 0x0
	v_mul_f64_e32 v[38:39], v[30:31], v[8:9]
	v_mul_f64_e32 v[8:9], v[32:33], v[8:9]
	v_add_f64_e32 v[34:35], v[36:37], v[34:35]
	v_add_f64_e32 v[36:37], v[42:43], v[173:174]
	v_fma_f64 v[40:41], v[4:5], v[169:170], v[175:176]
	v_fma_f64 v[42:43], v[2:3], v[169:170], -v[171:172]
	v_fma_f64 v[32:33], v[32:33], v[6:7], v[38:39]
	v_fma_f64 v[6:7], v[30:31], v[6:7], -v[8:9]
	v_add_f64_e32 v[34:35], v[34:35], v[26:27]
	v_add_f64_e32 v[36:37], v[36:37], v[28:29]
	ds_load_b128 v[2:5], v1 offset:1824
	ds_load_b128 v[26:29], v1 offset:1840
	s_wait_loadcnt_dscnt 0x301
	v_mul_f64_e32 v[44:45], v[2:3], v[12:13]
	v_mul_f64_e32 v[12:13], v[4:5], v[12:13]
	v_add_f64_e32 v[8:9], v[34:35], v[42:43]
	v_add_f64_e32 v[30:31], v[36:37], v[40:41]
	s_wait_loadcnt_dscnt 0x200
	v_mul_f64_e32 v[34:35], v[26:27], v[16:17]
	v_mul_f64_e32 v[16:17], v[28:29], v[16:17]
	v_fma_f64 v[36:37], v[4:5], v[10:11], v[44:45]
	v_fma_f64 v[10:11], v[2:3], v[10:11], -v[12:13]
	v_add_f64_e32 v[12:13], v[8:9], v[6:7]
	v_add_f64_e32 v[30:31], v[30:31], v[32:33]
	ds_load_b128 v[2:5], v1 offset:1856
	ds_load_b128 v[6:9], v1 offset:1872
	v_fma_f64 v[28:29], v[28:29], v[14:15], v[34:35]
	v_fma_f64 v[14:15], v[26:27], v[14:15], -v[16:17]
	s_wait_loadcnt_dscnt 0x101
	v_mul_f64_e32 v[32:33], v[2:3], v[20:21]
	v_mul_f64_e32 v[20:21], v[4:5], v[20:21]
	s_wait_loadcnt_dscnt 0x0
	v_mul_f64_e32 v[16:17], v[6:7], v[24:25]
	v_mul_f64_e32 v[24:25], v[8:9], v[24:25]
	v_add_f64_e32 v[10:11], v[12:13], v[10:11]
	v_add_f64_e32 v[12:13], v[30:31], v[36:37]
	v_fma_f64 v[4:5], v[4:5], v[18:19], v[32:33]
	v_fma_f64 v[1:2], v[2:3], v[18:19], -v[20:21]
	v_fma_f64 v[8:9], v[8:9], v[22:23], v[16:17]
	v_fma_f64 v[6:7], v[6:7], v[22:23], -v[24:25]
	v_add_f64_e32 v[10:11], v[10:11], v[14:15]
	v_add_f64_e32 v[12:13], v[12:13], v[28:29]
	s_delay_alu instid0(VALU_DEP_2) | instskip(NEXT) | instid1(VALU_DEP_2)
	v_add_f64_e32 v[1:2], v[10:11], v[1:2]
	v_add_f64_e32 v[3:4], v[12:13], v[4:5]
	s_delay_alu instid0(VALU_DEP_2) | instskip(NEXT) | instid1(VALU_DEP_2)
	;; [unrolled: 3-line block ×3, first 2 shown]
	v_add_f64_e64 v[1:2], v[165:166], -v[1:2]
	v_add_f64_e64 v[3:4], v[167:168], -v[3:4]
	scratch_store_b128 off, v[1:4], off offset:368
	v_cmpx_lt_u32_e32 21, v0
	s_cbranch_execz .LBB122_325
; %bb.324:
	scratch_load_b128 v[1:4], off, s51
	v_mov_b32_e32 v5, 0
	s_delay_alu instid0(VALU_DEP_1)
	v_dual_mov_b32 v6, v5 :: v_dual_mov_b32 v7, v5
	v_mov_b32_e32 v8, v5
	scratch_store_b128 off, v[5:8], off offset:352
	s_wait_loadcnt 0x0
	ds_store_b128 v164, v[1:4]
.LBB122_325:
	s_wait_alu 0xfffe
	s_or_b32 exec_lo, exec_lo, s0
	s_wait_storecnt_dscnt 0x0
	s_barrier_signal -1
	s_barrier_wait -1
	global_inv scope:SCOPE_SE
	s_clause 0x7
	scratch_load_b128 v[2:5], off, off offset:368
	scratch_load_b128 v[6:9], off, off offset:384
	;; [unrolled: 1-line block ×8, first 2 shown]
	v_mov_b32_e32 v1, 0
	s_mov_b32 s0, exec_lo
	ds_load_b128 v[38:41], v1 offset:1296
	s_clause 0x1
	scratch_load_b128 v[34:37], off, off offset:496
	scratch_load_b128 v[42:45], off, off offset:352
	ds_load_b128 v[165:168], v1 offset:1312
	scratch_load_b128 v[169:172], off, off offset:512
	s_wait_loadcnt_dscnt 0xa01
	v_mul_f64_e32 v[173:174], v[40:41], v[4:5]
	v_mul_f64_e32 v[4:5], v[38:39], v[4:5]
	s_delay_alu instid0(VALU_DEP_2) | instskip(NEXT) | instid1(VALU_DEP_2)
	v_fma_f64 v[179:180], v[38:39], v[2:3], -v[173:174]
	v_fma_f64 v[181:182], v[40:41], v[2:3], v[4:5]
	ds_load_b128 v[2:5], v1 offset:1328
	s_wait_loadcnt_dscnt 0x901
	v_mul_f64_e32 v[177:178], v[165:166], v[8:9]
	v_mul_f64_e32 v[8:9], v[167:168], v[8:9]
	scratch_load_b128 v[38:41], off, off offset:528
	ds_load_b128 v[173:176], v1 offset:1344
	s_wait_loadcnt_dscnt 0x901
	v_mul_f64_e32 v[183:184], v[2:3], v[12:13]
	v_mul_f64_e32 v[12:13], v[4:5], v[12:13]
	v_fma_f64 v[167:168], v[167:168], v[6:7], v[177:178]
	v_fma_f64 v[165:166], v[165:166], v[6:7], -v[8:9]
	v_add_f64_e32 v[177:178], 0, v[179:180]
	v_add_f64_e32 v[179:180], 0, v[181:182]
	scratch_load_b128 v[6:9], off, off offset:544
	v_fma_f64 v[183:184], v[4:5], v[10:11], v[183:184]
	v_fma_f64 v[185:186], v[2:3], v[10:11], -v[12:13]
	ds_load_b128 v[2:5], v1 offset:1360
	s_wait_loadcnt_dscnt 0x901
	v_mul_f64_e32 v[181:182], v[173:174], v[16:17]
	v_mul_f64_e32 v[16:17], v[175:176], v[16:17]
	scratch_load_b128 v[10:13], off, off offset:560
	v_add_f64_e32 v[177:178], v[177:178], v[165:166]
	v_add_f64_e32 v[179:180], v[179:180], v[167:168]
	s_wait_loadcnt_dscnt 0x900
	v_mul_f64_e32 v[187:188], v[2:3], v[20:21]
	v_mul_f64_e32 v[20:21], v[4:5], v[20:21]
	ds_load_b128 v[165:168], v1 offset:1376
	v_fma_f64 v[175:176], v[175:176], v[14:15], v[181:182]
	v_fma_f64 v[173:174], v[173:174], v[14:15], -v[16:17]
	scratch_load_b128 v[14:17], off, off offset:576
	v_add_f64_e32 v[177:178], v[177:178], v[185:186]
	v_add_f64_e32 v[179:180], v[179:180], v[183:184]
	v_fma_f64 v[183:184], v[4:5], v[18:19], v[187:188]
	v_fma_f64 v[185:186], v[2:3], v[18:19], -v[20:21]
	ds_load_b128 v[2:5], v1 offset:1392
	s_wait_loadcnt_dscnt 0x901
	v_mul_f64_e32 v[181:182], v[165:166], v[24:25]
	v_mul_f64_e32 v[24:25], v[167:168], v[24:25]
	scratch_load_b128 v[18:21], off, off offset:592
	s_wait_loadcnt_dscnt 0x900
	v_mul_f64_e32 v[187:188], v[2:3], v[28:29]
	v_mul_f64_e32 v[28:29], v[4:5], v[28:29]
	v_add_f64_e32 v[177:178], v[177:178], v[173:174]
	v_add_f64_e32 v[179:180], v[179:180], v[175:176]
	ds_load_b128 v[173:176], v1 offset:1408
	v_fma_f64 v[167:168], v[167:168], v[22:23], v[181:182]
	v_fma_f64 v[165:166], v[165:166], v[22:23], -v[24:25]
	scratch_load_b128 v[22:25], off, off offset:608
	v_add_f64_e32 v[177:178], v[177:178], v[185:186]
	v_add_f64_e32 v[179:180], v[179:180], v[183:184]
	v_fma_f64 v[183:184], v[4:5], v[26:27], v[187:188]
	v_fma_f64 v[185:186], v[2:3], v[26:27], -v[28:29]
	ds_load_b128 v[2:5], v1 offset:1424
	s_wait_loadcnt_dscnt 0x901
	v_mul_f64_e32 v[181:182], v[173:174], v[32:33]
	v_mul_f64_e32 v[32:33], v[175:176], v[32:33]
	scratch_load_b128 v[26:29], off, off offset:624
	s_wait_loadcnt_dscnt 0x900
	v_mul_f64_e32 v[187:188], v[2:3], v[36:37]
	v_mul_f64_e32 v[36:37], v[4:5], v[36:37]
	v_add_f64_e32 v[177:178], v[177:178], v[165:166]
	v_add_f64_e32 v[179:180], v[179:180], v[167:168]
	ds_load_b128 v[165:168], v1 offset:1440
	v_fma_f64 v[175:176], v[175:176], v[30:31], v[181:182]
	v_fma_f64 v[173:174], v[173:174], v[30:31], -v[32:33]
	scratch_load_b128 v[30:33], off, off offset:640
	v_add_f64_e32 v[177:178], v[177:178], v[185:186]
	v_add_f64_e32 v[179:180], v[179:180], v[183:184]
	v_fma_f64 v[185:186], v[4:5], v[34:35], v[187:188]
	v_fma_f64 v[187:188], v[2:3], v[34:35], -v[36:37]
	ds_load_b128 v[2:5], v1 offset:1456
	s_wait_loadcnt_dscnt 0x801
	v_mul_f64_e32 v[181:182], v[165:166], v[171:172]
	v_mul_f64_e32 v[183:184], v[167:168], v[171:172]
	scratch_load_b128 v[34:37], off, off offset:656
	v_add_f64_e32 v[177:178], v[177:178], v[173:174]
	v_add_f64_e32 v[175:176], v[179:180], v[175:176]
	ds_load_b128 v[171:174], v1 offset:1472
	v_fma_f64 v[181:182], v[167:168], v[169:170], v[181:182]
	v_fma_f64 v[169:170], v[165:166], v[169:170], -v[183:184]
	scratch_load_b128 v[165:168], off, off offset:672
	s_wait_loadcnt_dscnt 0x901
	v_mul_f64_e32 v[179:180], v[2:3], v[40:41]
	v_mul_f64_e32 v[40:41], v[4:5], v[40:41]
	v_add_f64_e32 v[177:178], v[177:178], v[187:188]
	v_add_f64_e32 v[175:176], v[175:176], v[185:186]
	s_delay_alu instid0(VALU_DEP_4) | instskip(NEXT) | instid1(VALU_DEP_4)
	v_fma_f64 v[179:180], v[4:5], v[38:39], v[179:180]
	v_fma_f64 v[185:186], v[2:3], v[38:39], -v[40:41]
	ds_load_b128 v[2:5], v1 offset:1488
	s_wait_loadcnt_dscnt 0x801
	v_mul_f64_e32 v[183:184], v[171:172], v[8:9]
	v_mul_f64_e32 v[8:9], v[173:174], v[8:9]
	scratch_load_b128 v[38:41], off, off offset:688
	s_wait_loadcnt_dscnt 0x800
	v_mul_f64_e32 v[187:188], v[2:3], v[12:13]
	v_add_f64_e32 v[169:170], v[177:178], v[169:170]
	v_add_f64_e32 v[181:182], v[175:176], v[181:182]
	v_mul_f64_e32 v[12:13], v[4:5], v[12:13]
	ds_load_b128 v[175:178], v1 offset:1504
	v_fma_f64 v[173:174], v[173:174], v[6:7], v[183:184]
	v_fma_f64 v[171:172], v[171:172], v[6:7], -v[8:9]
	scratch_load_b128 v[6:9], off, off offset:704
	v_fma_f64 v[183:184], v[4:5], v[10:11], v[187:188]
	v_add_f64_e32 v[169:170], v[169:170], v[185:186]
	v_add_f64_e32 v[179:180], v[181:182], v[179:180]
	v_fma_f64 v[185:186], v[2:3], v[10:11], -v[12:13]
	ds_load_b128 v[2:5], v1 offset:1520
	s_wait_loadcnt_dscnt 0x801
	v_mul_f64_e32 v[181:182], v[175:176], v[16:17]
	v_mul_f64_e32 v[16:17], v[177:178], v[16:17]
	scratch_load_b128 v[10:13], off, off offset:720
	v_add_f64_e32 v[187:188], v[169:170], v[171:172]
	v_add_f64_e32 v[173:174], v[179:180], v[173:174]
	s_wait_loadcnt_dscnt 0x800
	v_mul_f64_e32 v[179:180], v[2:3], v[20:21]
	v_mul_f64_e32 v[20:21], v[4:5], v[20:21]
	v_fma_f64 v[177:178], v[177:178], v[14:15], v[181:182]
	v_fma_f64 v[175:176], v[175:176], v[14:15], -v[16:17]
	ds_load_b128 v[169:172], v1 offset:1536
	scratch_load_b128 v[14:17], off, off offset:736
	v_add_f64_e32 v[181:182], v[187:188], v[185:186]
	v_add_f64_e32 v[173:174], v[173:174], v[183:184]
	v_fma_f64 v[179:180], v[4:5], v[18:19], v[179:180]
	v_fma_f64 v[185:186], v[2:3], v[18:19], -v[20:21]
	ds_load_b128 v[2:5], v1 offset:1552
	s_wait_loadcnt_dscnt 0x801
	v_mul_f64_e32 v[183:184], v[169:170], v[24:25]
	v_mul_f64_e32 v[24:25], v[171:172], v[24:25]
	scratch_load_b128 v[18:21], off, off offset:752
	s_wait_loadcnt_dscnt 0x800
	v_mul_f64_e32 v[187:188], v[2:3], v[28:29]
	v_mul_f64_e32 v[28:29], v[4:5], v[28:29]
	v_add_f64_e32 v[181:182], v[181:182], v[175:176]
	v_add_f64_e32 v[177:178], v[173:174], v[177:178]
	ds_load_b128 v[173:176], v1 offset:1568
	v_fma_f64 v[171:172], v[171:172], v[22:23], v[183:184]
	v_fma_f64 v[169:170], v[169:170], v[22:23], -v[24:25]
	scratch_load_b128 v[22:25], off, off offset:768
	v_fma_f64 v[183:184], v[4:5], v[26:27], v[187:188]
	v_add_f64_e32 v[181:182], v[181:182], v[185:186]
	v_add_f64_e32 v[177:178], v[177:178], v[179:180]
	v_fma_f64 v[185:186], v[2:3], v[26:27], -v[28:29]
	ds_load_b128 v[2:5], v1 offset:1584
	s_wait_loadcnt_dscnt 0x801
	v_mul_f64_e32 v[179:180], v[173:174], v[32:33]
	v_mul_f64_e32 v[32:33], v[175:176], v[32:33]
	scratch_load_b128 v[26:29], off, off offset:784
	s_wait_loadcnt_dscnt 0x800
	v_mul_f64_e32 v[187:188], v[2:3], v[36:37]
	v_mul_f64_e32 v[36:37], v[4:5], v[36:37]
	v_add_f64_e32 v[181:182], v[181:182], v[169:170]
	v_add_f64_e32 v[177:178], v[177:178], v[171:172]
	ds_load_b128 v[169:172], v1 offset:1600
	v_fma_f64 v[175:176], v[175:176], v[30:31], v[179:180]
	v_fma_f64 v[173:174], v[173:174], v[30:31], -v[32:33]
	scratch_load_b128 v[30:33], off, off offset:800
	v_add_f64_e32 v[179:180], v[181:182], v[185:186]
	v_add_f64_e32 v[177:178], v[177:178], v[183:184]
	v_fma_f64 v[183:184], v[4:5], v[34:35], v[187:188]
	v_fma_f64 v[185:186], v[2:3], v[34:35], -v[36:37]
	ds_load_b128 v[2:5], v1 offset:1616
	s_wait_loadcnt_dscnt 0x801
	v_mul_f64_e32 v[181:182], v[169:170], v[167:168]
	v_mul_f64_e32 v[167:168], v[171:172], v[167:168]
	scratch_load_b128 v[34:37], off, off offset:816
	s_wait_loadcnt_dscnt 0x800
	v_mul_f64_e32 v[187:188], v[2:3], v[40:41]
	v_mul_f64_e32 v[40:41], v[4:5], v[40:41]
	v_add_f64_e32 v[179:180], v[179:180], v[173:174]
	v_add_f64_e32 v[177:178], v[177:178], v[175:176]
	ds_load_b128 v[173:176], v1 offset:1632
	v_fma_f64 v[171:172], v[171:172], v[165:166], v[181:182]
	v_fma_f64 v[169:170], v[169:170], v[165:166], -v[167:168]
	scratch_load_b128 v[165:168], off, off offset:832
	v_add_f64_e32 v[179:180], v[179:180], v[185:186]
	v_add_f64_e32 v[177:178], v[177:178], v[183:184]
	v_fma_f64 v[183:184], v[4:5], v[38:39], v[187:188]
	;; [unrolled: 18-line block ×5, first 2 shown]
	v_fma_f64 v[185:186], v[2:3], v[26:27], -v[28:29]
	ds_load_b128 v[2:5], v1 offset:1744
	s_wait_loadcnt_dscnt 0x801
	v_mul_f64_e32 v[181:182], v[169:170], v[32:33]
	v_mul_f64_e32 v[32:33], v[171:172], v[32:33]
	scratch_load_b128 v[26:29], off, off offset:944
	s_wait_loadcnt_dscnt 0x800
	v_mul_f64_e32 v[187:188], v[2:3], v[36:37]
	v_mul_f64_e32 v[36:37], v[4:5], v[36:37]
	v_add_f64_e32 v[179:180], v[179:180], v[173:174]
	v_add_f64_e32 v[177:178], v[177:178], v[175:176]
	ds_load_b128 v[173:176], v1 offset:1760
	v_fma_f64 v[171:172], v[171:172], v[30:31], v[181:182]
	v_fma_f64 v[30:31], v[169:170], v[30:31], -v[32:33]
	v_add_f64_e32 v[32:33], v[179:180], v[185:186]
	v_add_f64_e32 v[169:170], v[177:178], v[183:184]
	s_wait_loadcnt_dscnt 0x700
	v_mul_f64_e32 v[177:178], v[173:174], v[167:168]
	v_mul_f64_e32 v[167:168], v[175:176], v[167:168]
	v_fma_f64 v[179:180], v[4:5], v[34:35], v[187:188]
	v_fma_f64 v[34:35], v[2:3], v[34:35], -v[36:37]
	v_add_f64_e32 v[36:37], v[32:33], v[30:31]
	v_add_f64_e32 v[169:170], v[169:170], v[171:172]
	ds_load_b128 v[2:5], v1 offset:1776
	ds_load_b128 v[30:33], v1 offset:1792
	v_fma_f64 v[175:176], v[175:176], v[165:166], v[177:178]
	v_fma_f64 v[165:166], v[173:174], v[165:166], -v[167:168]
	s_wait_loadcnt_dscnt 0x601
	v_mul_f64_e32 v[171:172], v[2:3], v[40:41]
	v_mul_f64_e32 v[40:41], v[4:5], v[40:41]
	s_wait_loadcnt_dscnt 0x500
	v_mul_f64_e32 v[167:168], v[30:31], v[8:9]
	v_mul_f64_e32 v[8:9], v[32:33], v[8:9]
	v_add_f64_e32 v[34:35], v[36:37], v[34:35]
	v_add_f64_e32 v[36:37], v[169:170], v[179:180]
	v_fma_f64 v[169:170], v[4:5], v[38:39], v[171:172]
	v_fma_f64 v[38:39], v[2:3], v[38:39], -v[40:41]
	v_fma_f64 v[32:33], v[32:33], v[6:7], v[167:168]
	v_fma_f64 v[6:7], v[30:31], v[6:7], -v[8:9]
	v_add_f64_e32 v[40:41], v[34:35], v[165:166]
	v_add_f64_e32 v[165:166], v[36:37], v[175:176]
	ds_load_b128 v[2:5], v1 offset:1808
	ds_load_b128 v[34:37], v1 offset:1824
	s_wait_loadcnt_dscnt 0x401
	v_mul_f64_e32 v[171:172], v[2:3], v[12:13]
	v_mul_f64_e32 v[12:13], v[4:5], v[12:13]
	v_add_f64_e32 v[8:9], v[40:41], v[38:39]
	v_add_f64_e32 v[30:31], v[165:166], v[169:170]
	s_wait_loadcnt_dscnt 0x300
	v_mul_f64_e32 v[38:39], v[34:35], v[16:17]
	v_mul_f64_e32 v[16:17], v[36:37], v[16:17]
	v_fma_f64 v[40:41], v[4:5], v[10:11], v[171:172]
	v_fma_f64 v[10:11], v[2:3], v[10:11], -v[12:13]
	v_add_f64_e32 v[12:13], v[8:9], v[6:7]
	v_add_f64_e32 v[30:31], v[30:31], v[32:33]
	ds_load_b128 v[2:5], v1 offset:1840
	ds_load_b128 v[6:9], v1 offset:1856
	v_fma_f64 v[36:37], v[36:37], v[14:15], v[38:39]
	v_fma_f64 v[14:15], v[34:35], v[14:15], -v[16:17]
	s_wait_loadcnt_dscnt 0x201
	v_mul_f64_e32 v[32:33], v[2:3], v[20:21]
	v_mul_f64_e32 v[20:21], v[4:5], v[20:21]
	s_wait_loadcnt_dscnt 0x100
	v_mul_f64_e32 v[16:17], v[6:7], v[24:25]
	v_mul_f64_e32 v[24:25], v[8:9], v[24:25]
	v_add_f64_e32 v[10:11], v[12:13], v[10:11]
	v_add_f64_e32 v[12:13], v[30:31], v[40:41]
	v_fma_f64 v[30:31], v[4:5], v[18:19], v[32:33]
	v_fma_f64 v[18:19], v[2:3], v[18:19], -v[20:21]
	ds_load_b128 v[2:5], v1 offset:1872
	v_fma_f64 v[8:9], v[8:9], v[22:23], v[16:17]
	v_fma_f64 v[6:7], v[6:7], v[22:23], -v[24:25]
	v_add_f64_e32 v[10:11], v[10:11], v[14:15]
	v_add_f64_e32 v[12:13], v[12:13], v[36:37]
	s_wait_loadcnt_dscnt 0x0
	v_mul_f64_e32 v[14:15], v[2:3], v[28:29]
	v_mul_f64_e32 v[20:21], v[4:5], v[28:29]
	s_delay_alu instid0(VALU_DEP_4) | instskip(NEXT) | instid1(VALU_DEP_4)
	v_add_f64_e32 v[10:11], v[10:11], v[18:19]
	v_add_f64_e32 v[12:13], v[12:13], v[30:31]
	s_delay_alu instid0(VALU_DEP_4) | instskip(NEXT) | instid1(VALU_DEP_4)
	v_fma_f64 v[4:5], v[4:5], v[26:27], v[14:15]
	v_fma_f64 v[2:3], v[2:3], v[26:27], -v[20:21]
	s_delay_alu instid0(VALU_DEP_4) | instskip(NEXT) | instid1(VALU_DEP_4)
	v_add_f64_e32 v[6:7], v[10:11], v[6:7]
	v_add_f64_e32 v[8:9], v[12:13], v[8:9]
	s_delay_alu instid0(VALU_DEP_2) | instskip(NEXT) | instid1(VALU_DEP_2)
	v_add_f64_e32 v[2:3], v[6:7], v[2:3]
	v_add_f64_e32 v[4:5], v[8:9], v[4:5]
	s_delay_alu instid0(VALU_DEP_2) | instskip(NEXT) | instid1(VALU_DEP_2)
	v_add_f64_e64 v[2:3], v[42:43], -v[2:3]
	v_add_f64_e64 v[4:5], v[44:45], -v[4:5]
	scratch_store_b128 off, v[2:5], off offset:352
	v_cmpx_lt_u32_e32 20, v0
	s_cbranch_execz .LBB122_327
; %bb.326:
	scratch_load_b128 v[5:8], off, s52
	v_dual_mov_b32 v2, v1 :: v_dual_mov_b32 v3, v1
	v_mov_b32_e32 v4, v1
	scratch_store_b128 off, v[1:4], off offset:336
	s_wait_loadcnt 0x0
	ds_store_b128 v164, v[5:8]
.LBB122_327:
	s_wait_alu 0xfffe
	s_or_b32 exec_lo, exec_lo, s0
	s_wait_storecnt_dscnt 0x0
	s_barrier_signal -1
	s_barrier_wait -1
	global_inv scope:SCOPE_SE
	s_clause 0x8
	scratch_load_b128 v[2:5], off, off offset:352
	scratch_load_b128 v[6:9], off, off offset:368
	;; [unrolled: 1-line block ×9, first 2 shown]
	ds_load_b128 v[42:45], v1 offset:1280
	ds_load_b128 v[38:41], v1 offset:1296
	s_clause 0x1
	scratch_load_b128 v[165:168], off, off offset:336
	scratch_load_b128 v[169:172], off, off offset:496
	s_mov_b32 s0, exec_lo
	s_wait_loadcnt_dscnt 0xa01
	v_mul_f64_e32 v[173:174], v[44:45], v[4:5]
	v_mul_f64_e32 v[4:5], v[42:43], v[4:5]
	s_wait_loadcnt_dscnt 0x900
	v_mul_f64_e32 v[177:178], v[38:39], v[8:9]
	v_mul_f64_e32 v[8:9], v[40:41], v[8:9]
	s_delay_alu instid0(VALU_DEP_4) | instskip(NEXT) | instid1(VALU_DEP_4)
	v_fma_f64 v[179:180], v[42:43], v[2:3], -v[173:174]
	v_fma_f64 v[181:182], v[44:45], v[2:3], v[4:5]
	ds_load_b128 v[2:5], v1 offset:1312
	ds_load_b128 v[173:176], v1 offset:1328
	scratch_load_b128 v[42:45], off, off offset:512
	v_fma_f64 v[40:41], v[40:41], v[6:7], v[177:178]
	v_fma_f64 v[38:39], v[38:39], v[6:7], -v[8:9]
	scratch_load_b128 v[6:9], off, off offset:528
	s_wait_loadcnt_dscnt 0xa01
	v_mul_f64_e32 v[183:184], v[2:3], v[12:13]
	v_mul_f64_e32 v[12:13], v[4:5], v[12:13]
	v_add_f64_e32 v[177:178], 0, v[179:180]
	v_add_f64_e32 v[179:180], 0, v[181:182]
	s_wait_loadcnt_dscnt 0x900
	v_mul_f64_e32 v[181:182], v[173:174], v[16:17]
	v_mul_f64_e32 v[16:17], v[175:176], v[16:17]
	v_fma_f64 v[183:184], v[4:5], v[10:11], v[183:184]
	v_fma_f64 v[185:186], v[2:3], v[10:11], -v[12:13]
	ds_load_b128 v[2:5], v1 offset:1344
	scratch_load_b128 v[10:13], off, off offset:544
	v_add_f64_e32 v[177:178], v[177:178], v[38:39]
	v_add_f64_e32 v[179:180], v[179:180], v[40:41]
	ds_load_b128 v[38:41], v1 offset:1360
	v_fma_f64 v[175:176], v[175:176], v[14:15], v[181:182]
	v_fma_f64 v[173:174], v[173:174], v[14:15], -v[16:17]
	scratch_load_b128 v[14:17], off, off offset:560
	s_wait_loadcnt_dscnt 0xa01
	v_mul_f64_e32 v[187:188], v[2:3], v[20:21]
	v_mul_f64_e32 v[20:21], v[4:5], v[20:21]
	s_wait_loadcnt_dscnt 0x900
	v_mul_f64_e32 v[181:182], v[38:39], v[24:25]
	v_mul_f64_e32 v[24:25], v[40:41], v[24:25]
	v_add_f64_e32 v[177:178], v[177:178], v[185:186]
	v_add_f64_e32 v[179:180], v[179:180], v[183:184]
	v_fma_f64 v[183:184], v[4:5], v[18:19], v[187:188]
	v_fma_f64 v[185:186], v[2:3], v[18:19], -v[20:21]
	ds_load_b128 v[2:5], v1 offset:1376
	scratch_load_b128 v[18:21], off, off offset:576
	v_fma_f64 v[40:41], v[40:41], v[22:23], v[181:182]
	v_fma_f64 v[38:39], v[38:39], v[22:23], -v[24:25]
	scratch_load_b128 v[22:25], off, off offset:592
	v_add_f64_e32 v[177:178], v[177:178], v[173:174]
	v_add_f64_e32 v[179:180], v[179:180], v[175:176]
	ds_load_b128 v[173:176], v1 offset:1392
	s_wait_loadcnt_dscnt 0xa01
	v_mul_f64_e32 v[187:188], v[2:3], v[28:29]
	v_mul_f64_e32 v[28:29], v[4:5], v[28:29]
	s_wait_loadcnt_dscnt 0x900
	v_mul_f64_e32 v[181:182], v[173:174], v[32:33]
	v_mul_f64_e32 v[32:33], v[175:176], v[32:33]
	v_add_f64_e32 v[177:178], v[177:178], v[185:186]
	v_add_f64_e32 v[179:180], v[179:180], v[183:184]
	v_fma_f64 v[183:184], v[4:5], v[26:27], v[187:188]
	v_fma_f64 v[185:186], v[2:3], v[26:27], -v[28:29]
	ds_load_b128 v[2:5], v1 offset:1408
	scratch_load_b128 v[26:29], off, off offset:608
	v_fma_f64 v[175:176], v[175:176], v[30:31], v[181:182]
	v_fma_f64 v[173:174], v[173:174], v[30:31], -v[32:33]
	scratch_load_b128 v[30:33], off, off offset:624
	v_add_f64_e32 v[177:178], v[177:178], v[38:39]
	v_add_f64_e32 v[179:180], v[179:180], v[40:41]
	ds_load_b128 v[38:41], v1 offset:1424
	s_wait_loadcnt_dscnt 0xa01
	v_mul_f64_e32 v[187:188], v[2:3], v[36:37]
	v_mul_f64_e32 v[36:37], v[4:5], v[36:37]
	s_wait_loadcnt_dscnt 0x800
	v_mul_f64_e32 v[181:182], v[38:39], v[171:172]
	v_add_f64_e32 v[177:178], v[177:178], v[185:186]
	v_add_f64_e32 v[179:180], v[179:180], v[183:184]
	v_mul_f64_e32 v[183:184], v[40:41], v[171:172]
	v_fma_f64 v[185:186], v[4:5], v[34:35], v[187:188]
	v_fma_f64 v[187:188], v[2:3], v[34:35], -v[36:37]
	ds_load_b128 v[2:5], v1 offset:1440
	scratch_load_b128 v[34:37], off, off offset:640
	v_fma_f64 v[181:182], v[40:41], v[169:170], v[181:182]
	v_add_f64_e32 v[177:178], v[177:178], v[173:174]
	v_add_f64_e32 v[175:176], v[179:180], v[175:176]
	ds_load_b128 v[171:174], v1 offset:1456
	v_fma_f64 v[169:170], v[38:39], v[169:170], -v[183:184]
	scratch_load_b128 v[38:41], off, off offset:656
	s_wait_loadcnt_dscnt 0x901
	v_mul_f64_e32 v[179:180], v[2:3], v[44:45]
	v_mul_f64_e32 v[44:45], v[4:5], v[44:45]
	s_wait_loadcnt_dscnt 0x800
	v_mul_f64_e32 v[183:184], v[171:172], v[8:9]
	v_mul_f64_e32 v[8:9], v[173:174], v[8:9]
	v_add_f64_e32 v[177:178], v[177:178], v[187:188]
	v_add_f64_e32 v[175:176], v[175:176], v[185:186]
	v_fma_f64 v[179:180], v[4:5], v[42:43], v[179:180]
	v_fma_f64 v[185:186], v[2:3], v[42:43], -v[44:45]
	ds_load_b128 v[2:5], v1 offset:1472
	scratch_load_b128 v[42:45], off, off offset:672
	v_fma_f64 v[173:174], v[173:174], v[6:7], v[183:184]
	v_fma_f64 v[171:172], v[171:172], v[6:7], -v[8:9]
	scratch_load_b128 v[6:9], off, off offset:688
	v_add_f64_e32 v[169:170], v[177:178], v[169:170]
	v_add_f64_e32 v[181:182], v[175:176], v[181:182]
	ds_load_b128 v[175:178], v1 offset:1488
	s_wait_loadcnt_dscnt 0x901
	v_mul_f64_e32 v[187:188], v[2:3], v[12:13]
	v_mul_f64_e32 v[12:13], v[4:5], v[12:13]
	v_add_f64_e32 v[169:170], v[169:170], v[185:186]
	v_add_f64_e32 v[179:180], v[181:182], v[179:180]
	s_wait_loadcnt_dscnt 0x800
	v_mul_f64_e32 v[181:182], v[175:176], v[16:17]
	v_mul_f64_e32 v[16:17], v[177:178], v[16:17]
	v_fma_f64 v[183:184], v[4:5], v[10:11], v[187:188]
	v_fma_f64 v[185:186], v[2:3], v[10:11], -v[12:13]
	ds_load_b128 v[2:5], v1 offset:1504
	scratch_load_b128 v[10:13], off, off offset:704
	v_add_f64_e32 v[187:188], v[169:170], v[171:172]
	v_add_f64_e32 v[173:174], v[179:180], v[173:174]
	ds_load_b128 v[169:172], v1 offset:1520
	s_wait_loadcnt_dscnt 0x801
	v_mul_f64_e32 v[179:180], v[2:3], v[20:21]
	v_mul_f64_e32 v[20:21], v[4:5], v[20:21]
	v_fma_f64 v[177:178], v[177:178], v[14:15], v[181:182]
	v_fma_f64 v[175:176], v[175:176], v[14:15], -v[16:17]
	scratch_load_b128 v[14:17], off, off offset:720
	v_add_f64_e32 v[181:182], v[187:188], v[185:186]
	v_add_f64_e32 v[173:174], v[173:174], v[183:184]
	s_wait_loadcnt_dscnt 0x800
	v_mul_f64_e32 v[183:184], v[169:170], v[24:25]
	v_mul_f64_e32 v[24:25], v[171:172], v[24:25]
	v_fma_f64 v[179:180], v[4:5], v[18:19], v[179:180]
	v_fma_f64 v[185:186], v[2:3], v[18:19], -v[20:21]
	ds_load_b128 v[2:5], v1 offset:1536
	scratch_load_b128 v[18:21], off, off offset:736
	v_add_f64_e32 v[181:182], v[181:182], v[175:176]
	v_add_f64_e32 v[177:178], v[173:174], v[177:178]
	ds_load_b128 v[173:176], v1 offset:1552
	s_wait_loadcnt_dscnt 0x801
	v_mul_f64_e32 v[187:188], v[2:3], v[28:29]
	v_mul_f64_e32 v[28:29], v[4:5], v[28:29]
	v_fma_f64 v[171:172], v[171:172], v[22:23], v[183:184]
	v_fma_f64 v[169:170], v[169:170], v[22:23], -v[24:25]
	scratch_load_b128 v[22:25], off, off offset:752
	;; [unrolled: 18-line block ×4, first 2 shown]
	s_wait_loadcnt_dscnt 0x800
	v_mul_f64_e32 v[181:182], v[173:174], v[8:9]
	v_mul_f64_e32 v[8:9], v[175:176], v[8:9]
	v_add_f64_e32 v[179:180], v[179:180], v[185:186]
	v_add_f64_e32 v[177:178], v[177:178], v[183:184]
	v_fma_f64 v[183:184], v[4:5], v[42:43], v[187:188]
	v_fma_f64 v[185:186], v[2:3], v[42:43], -v[44:45]
	ds_load_b128 v[2:5], v1 offset:1632
	scratch_load_b128 v[42:45], off, off offset:832
	v_fma_f64 v[175:176], v[175:176], v[6:7], v[181:182]
	v_fma_f64 v[173:174], v[173:174], v[6:7], -v[8:9]
	scratch_load_b128 v[6:9], off, off offset:848
	v_add_f64_e32 v[179:180], v[179:180], v[169:170]
	v_add_f64_e32 v[177:178], v[177:178], v[171:172]
	ds_load_b128 v[169:172], v1 offset:1648
	s_wait_loadcnt_dscnt 0x901
	v_mul_f64_e32 v[187:188], v[2:3], v[12:13]
	v_mul_f64_e32 v[12:13], v[4:5], v[12:13]
	s_wait_loadcnt_dscnt 0x800
	v_mul_f64_e32 v[181:182], v[169:170], v[16:17]
	v_mul_f64_e32 v[16:17], v[171:172], v[16:17]
	v_add_f64_e32 v[179:180], v[179:180], v[185:186]
	v_add_f64_e32 v[177:178], v[177:178], v[183:184]
	v_fma_f64 v[183:184], v[4:5], v[10:11], v[187:188]
	v_fma_f64 v[185:186], v[2:3], v[10:11], -v[12:13]
	ds_load_b128 v[2:5], v1 offset:1664
	scratch_load_b128 v[10:13], off, off offset:864
	v_fma_f64 v[171:172], v[171:172], v[14:15], v[181:182]
	v_fma_f64 v[169:170], v[169:170], v[14:15], -v[16:17]
	scratch_load_b128 v[14:17], off, off offset:880
	v_add_f64_e32 v[179:180], v[179:180], v[173:174]
	v_add_f64_e32 v[177:178], v[177:178], v[175:176]
	ds_load_b128 v[173:176], v1 offset:1680
	s_wait_loadcnt_dscnt 0x901
	v_mul_f64_e32 v[187:188], v[2:3], v[20:21]
	v_mul_f64_e32 v[20:21], v[4:5], v[20:21]
	;; [unrolled: 18-line block ×4, first 2 shown]
	s_wait_loadcnt_dscnt 0x800
	v_mul_f64_e32 v[181:182], v[173:174], v[40:41]
	v_mul_f64_e32 v[40:41], v[175:176], v[40:41]
	v_add_f64_e32 v[179:180], v[179:180], v[185:186]
	v_add_f64_e32 v[177:178], v[177:178], v[183:184]
	v_fma_f64 v[183:184], v[4:5], v[34:35], v[187:188]
	v_fma_f64 v[185:186], v[2:3], v[34:35], -v[36:37]
	ds_load_b128 v[2:5], v1 offset:1760
	ds_load_b128 v[34:37], v1 offset:1776
	v_fma_f64 v[175:176], v[175:176], v[38:39], v[181:182]
	v_fma_f64 v[38:39], v[173:174], v[38:39], -v[40:41]
	v_add_f64_e32 v[169:170], v[179:180], v[169:170]
	v_add_f64_e32 v[171:172], v[177:178], v[171:172]
	s_wait_loadcnt_dscnt 0x701
	v_mul_f64_e32 v[177:178], v[2:3], v[44:45]
	v_mul_f64_e32 v[44:45], v[4:5], v[44:45]
	s_delay_alu instid0(VALU_DEP_4) | instskip(NEXT) | instid1(VALU_DEP_4)
	v_add_f64_e32 v[40:41], v[169:170], v[185:186]
	v_add_f64_e32 v[169:170], v[171:172], v[183:184]
	s_wait_loadcnt_dscnt 0x600
	v_mul_f64_e32 v[171:172], v[34:35], v[8:9]
	v_mul_f64_e32 v[8:9], v[36:37], v[8:9]
	v_fma_f64 v[173:174], v[4:5], v[42:43], v[177:178]
	v_fma_f64 v[42:43], v[2:3], v[42:43], -v[44:45]
	v_add_f64_e32 v[44:45], v[40:41], v[38:39]
	v_add_f64_e32 v[169:170], v[169:170], v[175:176]
	ds_load_b128 v[2:5], v1 offset:1792
	ds_load_b128 v[38:41], v1 offset:1808
	v_fma_f64 v[36:37], v[36:37], v[6:7], v[171:172]
	v_fma_f64 v[6:7], v[34:35], v[6:7], -v[8:9]
	s_wait_loadcnt_dscnt 0x501
	v_mul_f64_e32 v[175:176], v[2:3], v[12:13]
	v_mul_f64_e32 v[12:13], v[4:5], v[12:13]
	v_add_f64_e32 v[8:9], v[44:45], v[42:43]
	v_add_f64_e32 v[34:35], v[169:170], v[173:174]
	s_wait_loadcnt_dscnt 0x400
	v_mul_f64_e32 v[42:43], v[38:39], v[16:17]
	v_mul_f64_e32 v[16:17], v[40:41], v[16:17]
	v_fma_f64 v[44:45], v[4:5], v[10:11], v[175:176]
	v_fma_f64 v[10:11], v[2:3], v[10:11], -v[12:13]
	v_add_f64_e32 v[12:13], v[8:9], v[6:7]
	v_add_f64_e32 v[34:35], v[34:35], v[36:37]
	ds_load_b128 v[2:5], v1 offset:1824
	ds_load_b128 v[6:9], v1 offset:1840
	v_fma_f64 v[40:41], v[40:41], v[14:15], v[42:43]
	v_fma_f64 v[14:15], v[38:39], v[14:15], -v[16:17]
	s_wait_loadcnt_dscnt 0x301
	v_mul_f64_e32 v[36:37], v[2:3], v[20:21]
	v_mul_f64_e32 v[20:21], v[4:5], v[20:21]
	s_wait_loadcnt_dscnt 0x200
	v_mul_f64_e32 v[16:17], v[6:7], v[24:25]
	v_mul_f64_e32 v[24:25], v[8:9], v[24:25]
	v_add_f64_e32 v[10:11], v[12:13], v[10:11]
	v_add_f64_e32 v[12:13], v[34:35], v[44:45]
	v_fma_f64 v[34:35], v[4:5], v[18:19], v[36:37]
	v_fma_f64 v[18:19], v[2:3], v[18:19], -v[20:21]
	v_fma_f64 v[8:9], v[8:9], v[22:23], v[16:17]
	v_fma_f64 v[6:7], v[6:7], v[22:23], -v[24:25]
	v_add_f64_e32 v[14:15], v[10:11], v[14:15]
	v_add_f64_e32 v[20:21], v[12:13], v[40:41]
	ds_load_b128 v[2:5], v1 offset:1856
	ds_load_b128 v[10:13], v1 offset:1872
	s_wait_loadcnt_dscnt 0x101
	v_mul_f64_e32 v[36:37], v[2:3], v[28:29]
	v_mul_f64_e32 v[28:29], v[4:5], v[28:29]
	v_add_f64_e32 v[14:15], v[14:15], v[18:19]
	v_add_f64_e32 v[16:17], v[20:21], v[34:35]
	s_wait_loadcnt_dscnt 0x0
	v_mul_f64_e32 v[18:19], v[10:11], v[32:33]
	v_mul_f64_e32 v[20:21], v[12:13], v[32:33]
	v_fma_f64 v[4:5], v[4:5], v[26:27], v[36:37]
	v_fma_f64 v[1:2], v[2:3], v[26:27], -v[28:29]
	v_add_f64_e32 v[6:7], v[14:15], v[6:7]
	v_add_f64_e32 v[8:9], v[16:17], v[8:9]
	v_fma_f64 v[12:13], v[12:13], v[30:31], v[18:19]
	v_fma_f64 v[10:11], v[10:11], v[30:31], -v[20:21]
	s_delay_alu instid0(VALU_DEP_4) | instskip(NEXT) | instid1(VALU_DEP_4)
	v_add_f64_e32 v[1:2], v[6:7], v[1:2]
	v_add_f64_e32 v[3:4], v[8:9], v[4:5]
	s_delay_alu instid0(VALU_DEP_2) | instskip(NEXT) | instid1(VALU_DEP_2)
	v_add_f64_e32 v[1:2], v[1:2], v[10:11]
	v_add_f64_e32 v[3:4], v[3:4], v[12:13]
	s_delay_alu instid0(VALU_DEP_2) | instskip(NEXT) | instid1(VALU_DEP_2)
	v_add_f64_e64 v[1:2], v[165:166], -v[1:2]
	v_add_f64_e64 v[3:4], v[167:168], -v[3:4]
	scratch_store_b128 off, v[1:4], off offset:336
	v_cmpx_lt_u32_e32 19, v0
	s_cbranch_execz .LBB122_329
; %bb.328:
	scratch_load_b128 v[1:4], off, s53
	v_mov_b32_e32 v5, 0
	s_delay_alu instid0(VALU_DEP_1)
	v_dual_mov_b32 v6, v5 :: v_dual_mov_b32 v7, v5
	v_mov_b32_e32 v8, v5
	scratch_store_b128 off, v[5:8], off offset:320
	s_wait_loadcnt 0x0
	ds_store_b128 v164, v[1:4]
.LBB122_329:
	s_wait_alu 0xfffe
	s_or_b32 exec_lo, exec_lo, s0
	s_wait_storecnt_dscnt 0x0
	s_barrier_signal -1
	s_barrier_wait -1
	global_inv scope:SCOPE_SE
	s_clause 0x7
	scratch_load_b128 v[2:5], off, off offset:336
	scratch_load_b128 v[6:9], off, off offset:352
	;; [unrolled: 1-line block ×8, first 2 shown]
	v_mov_b32_e32 v1, 0
	s_mov_b32 s0, exec_lo
	ds_load_b128 v[38:41], v1 offset:1264
	s_clause 0x1
	scratch_load_b128 v[34:37], off, off offset:464
	scratch_load_b128 v[42:45], off, off offset:320
	ds_load_b128 v[165:168], v1 offset:1280
	scratch_load_b128 v[169:172], off, off offset:480
	s_wait_loadcnt_dscnt 0xa01
	v_mul_f64_e32 v[173:174], v[40:41], v[4:5]
	v_mul_f64_e32 v[4:5], v[38:39], v[4:5]
	s_delay_alu instid0(VALU_DEP_2) | instskip(NEXT) | instid1(VALU_DEP_2)
	v_fma_f64 v[179:180], v[38:39], v[2:3], -v[173:174]
	v_fma_f64 v[181:182], v[40:41], v[2:3], v[4:5]
	ds_load_b128 v[2:5], v1 offset:1296
	s_wait_loadcnt_dscnt 0x901
	v_mul_f64_e32 v[177:178], v[165:166], v[8:9]
	v_mul_f64_e32 v[8:9], v[167:168], v[8:9]
	scratch_load_b128 v[38:41], off, off offset:496
	ds_load_b128 v[173:176], v1 offset:1312
	s_wait_loadcnt_dscnt 0x901
	v_mul_f64_e32 v[183:184], v[2:3], v[12:13]
	v_mul_f64_e32 v[12:13], v[4:5], v[12:13]
	v_fma_f64 v[167:168], v[167:168], v[6:7], v[177:178]
	v_fma_f64 v[165:166], v[165:166], v[6:7], -v[8:9]
	v_add_f64_e32 v[177:178], 0, v[179:180]
	v_add_f64_e32 v[179:180], 0, v[181:182]
	scratch_load_b128 v[6:9], off, off offset:512
	v_fma_f64 v[183:184], v[4:5], v[10:11], v[183:184]
	v_fma_f64 v[185:186], v[2:3], v[10:11], -v[12:13]
	ds_load_b128 v[2:5], v1 offset:1328
	s_wait_loadcnt_dscnt 0x901
	v_mul_f64_e32 v[181:182], v[173:174], v[16:17]
	v_mul_f64_e32 v[16:17], v[175:176], v[16:17]
	scratch_load_b128 v[10:13], off, off offset:528
	v_add_f64_e32 v[177:178], v[177:178], v[165:166]
	v_add_f64_e32 v[179:180], v[179:180], v[167:168]
	s_wait_loadcnt_dscnt 0x900
	v_mul_f64_e32 v[187:188], v[2:3], v[20:21]
	v_mul_f64_e32 v[20:21], v[4:5], v[20:21]
	ds_load_b128 v[165:168], v1 offset:1344
	v_fma_f64 v[175:176], v[175:176], v[14:15], v[181:182]
	v_fma_f64 v[173:174], v[173:174], v[14:15], -v[16:17]
	scratch_load_b128 v[14:17], off, off offset:544
	v_add_f64_e32 v[177:178], v[177:178], v[185:186]
	v_add_f64_e32 v[179:180], v[179:180], v[183:184]
	v_fma_f64 v[183:184], v[4:5], v[18:19], v[187:188]
	v_fma_f64 v[185:186], v[2:3], v[18:19], -v[20:21]
	ds_load_b128 v[2:5], v1 offset:1360
	s_wait_loadcnt_dscnt 0x901
	v_mul_f64_e32 v[181:182], v[165:166], v[24:25]
	v_mul_f64_e32 v[24:25], v[167:168], v[24:25]
	scratch_load_b128 v[18:21], off, off offset:560
	s_wait_loadcnt_dscnt 0x900
	v_mul_f64_e32 v[187:188], v[2:3], v[28:29]
	v_mul_f64_e32 v[28:29], v[4:5], v[28:29]
	v_add_f64_e32 v[177:178], v[177:178], v[173:174]
	v_add_f64_e32 v[179:180], v[179:180], v[175:176]
	ds_load_b128 v[173:176], v1 offset:1376
	v_fma_f64 v[167:168], v[167:168], v[22:23], v[181:182]
	v_fma_f64 v[165:166], v[165:166], v[22:23], -v[24:25]
	scratch_load_b128 v[22:25], off, off offset:576
	v_add_f64_e32 v[177:178], v[177:178], v[185:186]
	v_add_f64_e32 v[179:180], v[179:180], v[183:184]
	v_fma_f64 v[183:184], v[4:5], v[26:27], v[187:188]
	v_fma_f64 v[185:186], v[2:3], v[26:27], -v[28:29]
	ds_load_b128 v[2:5], v1 offset:1392
	s_wait_loadcnt_dscnt 0x901
	v_mul_f64_e32 v[181:182], v[173:174], v[32:33]
	v_mul_f64_e32 v[32:33], v[175:176], v[32:33]
	scratch_load_b128 v[26:29], off, off offset:592
	s_wait_loadcnt_dscnt 0x900
	v_mul_f64_e32 v[187:188], v[2:3], v[36:37]
	v_mul_f64_e32 v[36:37], v[4:5], v[36:37]
	v_add_f64_e32 v[177:178], v[177:178], v[165:166]
	v_add_f64_e32 v[179:180], v[179:180], v[167:168]
	ds_load_b128 v[165:168], v1 offset:1408
	v_fma_f64 v[175:176], v[175:176], v[30:31], v[181:182]
	v_fma_f64 v[173:174], v[173:174], v[30:31], -v[32:33]
	scratch_load_b128 v[30:33], off, off offset:608
	v_add_f64_e32 v[177:178], v[177:178], v[185:186]
	v_add_f64_e32 v[179:180], v[179:180], v[183:184]
	v_fma_f64 v[185:186], v[4:5], v[34:35], v[187:188]
	v_fma_f64 v[187:188], v[2:3], v[34:35], -v[36:37]
	ds_load_b128 v[2:5], v1 offset:1424
	s_wait_loadcnt_dscnt 0x801
	v_mul_f64_e32 v[181:182], v[165:166], v[171:172]
	v_mul_f64_e32 v[183:184], v[167:168], v[171:172]
	scratch_load_b128 v[34:37], off, off offset:624
	v_add_f64_e32 v[177:178], v[177:178], v[173:174]
	v_add_f64_e32 v[175:176], v[179:180], v[175:176]
	ds_load_b128 v[171:174], v1 offset:1440
	v_fma_f64 v[181:182], v[167:168], v[169:170], v[181:182]
	v_fma_f64 v[169:170], v[165:166], v[169:170], -v[183:184]
	scratch_load_b128 v[165:168], off, off offset:640
	s_wait_loadcnt_dscnt 0x901
	v_mul_f64_e32 v[179:180], v[2:3], v[40:41]
	v_mul_f64_e32 v[40:41], v[4:5], v[40:41]
	v_add_f64_e32 v[177:178], v[177:178], v[187:188]
	v_add_f64_e32 v[175:176], v[175:176], v[185:186]
	s_delay_alu instid0(VALU_DEP_4) | instskip(NEXT) | instid1(VALU_DEP_4)
	v_fma_f64 v[179:180], v[4:5], v[38:39], v[179:180]
	v_fma_f64 v[185:186], v[2:3], v[38:39], -v[40:41]
	ds_load_b128 v[2:5], v1 offset:1456
	s_wait_loadcnt_dscnt 0x801
	v_mul_f64_e32 v[183:184], v[171:172], v[8:9]
	v_mul_f64_e32 v[8:9], v[173:174], v[8:9]
	scratch_load_b128 v[38:41], off, off offset:656
	s_wait_loadcnt_dscnt 0x800
	v_mul_f64_e32 v[187:188], v[2:3], v[12:13]
	v_add_f64_e32 v[169:170], v[177:178], v[169:170]
	v_add_f64_e32 v[181:182], v[175:176], v[181:182]
	v_mul_f64_e32 v[12:13], v[4:5], v[12:13]
	ds_load_b128 v[175:178], v1 offset:1472
	v_fma_f64 v[173:174], v[173:174], v[6:7], v[183:184]
	v_fma_f64 v[171:172], v[171:172], v[6:7], -v[8:9]
	scratch_load_b128 v[6:9], off, off offset:672
	v_fma_f64 v[183:184], v[4:5], v[10:11], v[187:188]
	v_add_f64_e32 v[169:170], v[169:170], v[185:186]
	v_add_f64_e32 v[179:180], v[181:182], v[179:180]
	v_fma_f64 v[185:186], v[2:3], v[10:11], -v[12:13]
	ds_load_b128 v[2:5], v1 offset:1488
	s_wait_loadcnt_dscnt 0x801
	v_mul_f64_e32 v[181:182], v[175:176], v[16:17]
	v_mul_f64_e32 v[16:17], v[177:178], v[16:17]
	scratch_load_b128 v[10:13], off, off offset:688
	v_add_f64_e32 v[187:188], v[169:170], v[171:172]
	v_add_f64_e32 v[173:174], v[179:180], v[173:174]
	s_wait_loadcnt_dscnt 0x800
	v_mul_f64_e32 v[179:180], v[2:3], v[20:21]
	v_mul_f64_e32 v[20:21], v[4:5], v[20:21]
	v_fma_f64 v[177:178], v[177:178], v[14:15], v[181:182]
	v_fma_f64 v[175:176], v[175:176], v[14:15], -v[16:17]
	ds_load_b128 v[169:172], v1 offset:1504
	scratch_load_b128 v[14:17], off, off offset:704
	v_add_f64_e32 v[181:182], v[187:188], v[185:186]
	v_add_f64_e32 v[173:174], v[173:174], v[183:184]
	v_fma_f64 v[179:180], v[4:5], v[18:19], v[179:180]
	v_fma_f64 v[185:186], v[2:3], v[18:19], -v[20:21]
	ds_load_b128 v[2:5], v1 offset:1520
	s_wait_loadcnt_dscnt 0x801
	v_mul_f64_e32 v[183:184], v[169:170], v[24:25]
	v_mul_f64_e32 v[24:25], v[171:172], v[24:25]
	scratch_load_b128 v[18:21], off, off offset:720
	s_wait_loadcnt_dscnt 0x800
	v_mul_f64_e32 v[187:188], v[2:3], v[28:29]
	v_mul_f64_e32 v[28:29], v[4:5], v[28:29]
	v_add_f64_e32 v[181:182], v[181:182], v[175:176]
	v_add_f64_e32 v[177:178], v[173:174], v[177:178]
	ds_load_b128 v[173:176], v1 offset:1536
	v_fma_f64 v[171:172], v[171:172], v[22:23], v[183:184]
	v_fma_f64 v[169:170], v[169:170], v[22:23], -v[24:25]
	scratch_load_b128 v[22:25], off, off offset:736
	v_fma_f64 v[183:184], v[4:5], v[26:27], v[187:188]
	v_add_f64_e32 v[181:182], v[181:182], v[185:186]
	v_add_f64_e32 v[177:178], v[177:178], v[179:180]
	v_fma_f64 v[185:186], v[2:3], v[26:27], -v[28:29]
	ds_load_b128 v[2:5], v1 offset:1552
	s_wait_loadcnt_dscnt 0x801
	v_mul_f64_e32 v[179:180], v[173:174], v[32:33]
	v_mul_f64_e32 v[32:33], v[175:176], v[32:33]
	scratch_load_b128 v[26:29], off, off offset:752
	s_wait_loadcnt_dscnt 0x800
	v_mul_f64_e32 v[187:188], v[2:3], v[36:37]
	v_mul_f64_e32 v[36:37], v[4:5], v[36:37]
	v_add_f64_e32 v[181:182], v[181:182], v[169:170]
	v_add_f64_e32 v[177:178], v[177:178], v[171:172]
	ds_load_b128 v[169:172], v1 offset:1568
	v_fma_f64 v[175:176], v[175:176], v[30:31], v[179:180]
	v_fma_f64 v[173:174], v[173:174], v[30:31], -v[32:33]
	scratch_load_b128 v[30:33], off, off offset:768
	v_add_f64_e32 v[179:180], v[181:182], v[185:186]
	v_add_f64_e32 v[177:178], v[177:178], v[183:184]
	v_fma_f64 v[183:184], v[4:5], v[34:35], v[187:188]
	v_fma_f64 v[185:186], v[2:3], v[34:35], -v[36:37]
	ds_load_b128 v[2:5], v1 offset:1584
	s_wait_loadcnt_dscnt 0x801
	v_mul_f64_e32 v[181:182], v[169:170], v[167:168]
	v_mul_f64_e32 v[167:168], v[171:172], v[167:168]
	scratch_load_b128 v[34:37], off, off offset:784
	s_wait_loadcnt_dscnt 0x800
	v_mul_f64_e32 v[187:188], v[2:3], v[40:41]
	v_mul_f64_e32 v[40:41], v[4:5], v[40:41]
	v_add_f64_e32 v[179:180], v[179:180], v[173:174]
	v_add_f64_e32 v[177:178], v[177:178], v[175:176]
	ds_load_b128 v[173:176], v1 offset:1600
	v_fma_f64 v[171:172], v[171:172], v[165:166], v[181:182]
	v_fma_f64 v[169:170], v[169:170], v[165:166], -v[167:168]
	scratch_load_b128 v[165:168], off, off offset:800
	v_add_f64_e32 v[179:180], v[179:180], v[185:186]
	v_add_f64_e32 v[177:178], v[177:178], v[183:184]
	v_fma_f64 v[183:184], v[4:5], v[38:39], v[187:188]
	;; [unrolled: 18-line block ×6, first 2 shown]
	v_fma_f64 v[187:188], v[2:3], v[34:35], -v[36:37]
	ds_load_b128 v[2:5], v1 offset:1744
	s_wait_loadcnt_dscnt 0x801
	v_mul_f64_e32 v[181:182], v[173:174], v[167:168]
	v_mul_f64_e32 v[183:184], v[175:176], v[167:168]
	scratch_load_b128 v[34:37], off, off offset:944
	v_add_f64_e32 v[179:180], v[179:180], v[169:170]
	v_add_f64_e32 v[171:172], v[177:178], v[171:172]
	s_wait_loadcnt_dscnt 0x800
	v_mul_f64_e32 v[177:178], v[2:3], v[40:41]
	v_mul_f64_e32 v[40:41], v[4:5], v[40:41]
	ds_load_b128 v[167:170], v1 offset:1760
	v_fma_f64 v[175:176], v[175:176], v[165:166], v[181:182]
	v_fma_f64 v[165:166], v[173:174], v[165:166], -v[183:184]
	v_add_f64_e32 v[173:174], v[179:180], v[187:188]
	v_add_f64_e32 v[171:172], v[171:172], v[185:186]
	s_wait_loadcnt_dscnt 0x700
	v_mul_f64_e32 v[179:180], v[167:168], v[8:9]
	v_mul_f64_e32 v[8:9], v[169:170], v[8:9]
	v_fma_f64 v[177:178], v[4:5], v[38:39], v[177:178]
	v_fma_f64 v[181:182], v[2:3], v[38:39], -v[40:41]
	ds_load_b128 v[2:5], v1 offset:1776
	ds_load_b128 v[38:41], v1 offset:1792
	v_add_f64_e32 v[165:166], v[173:174], v[165:166]
	v_add_f64_e32 v[171:172], v[171:172], v[175:176]
	s_wait_loadcnt_dscnt 0x601
	v_mul_f64_e32 v[173:174], v[2:3], v[12:13]
	v_mul_f64_e32 v[12:13], v[4:5], v[12:13]
	v_fma_f64 v[169:170], v[169:170], v[6:7], v[179:180]
	v_fma_f64 v[6:7], v[167:168], v[6:7], -v[8:9]
	s_wait_loadcnt_dscnt 0x500
	v_mul_f64_e32 v[167:168], v[38:39], v[16:17]
	v_mul_f64_e32 v[16:17], v[40:41], v[16:17]
	v_add_f64_e32 v[8:9], v[165:166], v[181:182]
	v_add_f64_e32 v[165:166], v[171:172], v[177:178]
	v_fma_f64 v[171:172], v[4:5], v[10:11], v[173:174]
	v_fma_f64 v[10:11], v[2:3], v[10:11], -v[12:13]
	v_fma_f64 v[40:41], v[40:41], v[14:15], v[167:168]
	v_fma_f64 v[14:15], v[38:39], v[14:15], -v[16:17]
	v_add_f64_e32 v[12:13], v[8:9], v[6:7]
	v_add_f64_e32 v[165:166], v[165:166], v[169:170]
	ds_load_b128 v[2:5], v1 offset:1808
	ds_load_b128 v[6:9], v1 offset:1824
	s_wait_loadcnt_dscnt 0x401
	v_mul_f64_e32 v[169:170], v[2:3], v[20:21]
	v_mul_f64_e32 v[20:21], v[4:5], v[20:21]
	s_wait_loadcnt_dscnt 0x300
	v_mul_f64_e32 v[16:17], v[6:7], v[24:25]
	v_mul_f64_e32 v[24:25], v[8:9], v[24:25]
	v_add_f64_e32 v[10:11], v[12:13], v[10:11]
	v_add_f64_e32 v[12:13], v[165:166], v[171:172]
	v_fma_f64 v[38:39], v[4:5], v[18:19], v[169:170]
	v_fma_f64 v[18:19], v[2:3], v[18:19], -v[20:21]
	v_fma_f64 v[8:9], v[8:9], v[22:23], v[16:17]
	v_fma_f64 v[6:7], v[6:7], v[22:23], -v[24:25]
	v_add_f64_e32 v[14:15], v[10:11], v[14:15]
	v_add_f64_e32 v[20:21], v[12:13], v[40:41]
	ds_load_b128 v[2:5], v1 offset:1840
	ds_load_b128 v[10:13], v1 offset:1856
	s_wait_loadcnt_dscnt 0x201
	v_mul_f64_e32 v[40:41], v[2:3], v[28:29]
	v_mul_f64_e32 v[28:29], v[4:5], v[28:29]
	v_add_f64_e32 v[14:15], v[14:15], v[18:19]
	v_add_f64_e32 v[16:17], v[20:21], v[38:39]
	s_wait_loadcnt_dscnt 0x100
	v_mul_f64_e32 v[18:19], v[10:11], v[32:33]
	v_mul_f64_e32 v[20:21], v[12:13], v[32:33]
	v_fma_f64 v[22:23], v[4:5], v[26:27], v[40:41]
	v_fma_f64 v[24:25], v[2:3], v[26:27], -v[28:29]
	ds_load_b128 v[2:5], v1 offset:1872
	v_add_f64_e32 v[6:7], v[14:15], v[6:7]
	v_add_f64_e32 v[8:9], v[16:17], v[8:9]
	v_fma_f64 v[12:13], v[12:13], v[30:31], v[18:19]
	v_fma_f64 v[10:11], v[10:11], v[30:31], -v[20:21]
	s_wait_loadcnt_dscnt 0x0
	v_mul_f64_e32 v[14:15], v[2:3], v[36:37]
	v_mul_f64_e32 v[16:17], v[4:5], v[36:37]
	v_add_f64_e32 v[6:7], v[6:7], v[24:25]
	v_add_f64_e32 v[8:9], v[8:9], v[22:23]
	s_delay_alu instid0(VALU_DEP_4) | instskip(NEXT) | instid1(VALU_DEP_4)
	v_fma_f64 v[4:5], v[4:5], v[34:35], v[14:15]
	v_fma_f64 v[2:3], v[2:3], v[34:35], -v[16:17]
	s_delay_alu instid0(VALU_DEP_4) | instskip(NEXT) | instid1(VALU_DEP_4)
	v_add_f64_e32 v[6:7], v[6:7], v[10:11]
	v_add_f64_e32 v[8:9], v[8:9], v[12:13]
	s_delay_alu instid0(VALU_DEP_2) | instskip(NEXT) | instid1(VALU_DEP_2)
	v_add_f64_e32 v[2:3], v[6:7], v[2:3]
	v_add_f64_e32 v[4:5], v[8:9], v[4:5]
	s_delay_alu instid0(VALU_DEP_2) | instskip(NEXT) | instid1(VALU_DEP_2)
	v_add_f64_e64 v[2:3], v[42:43], -v[2:3]
	v_add_f64_e64 v[4:5], v[44:45], -v[4:5]
	scratch_store_b128 off, v[2:5], off offset:320
	v_cmpx_lt_u32_e32 18, v0
	s_cbranch_execz .LBB122_331
; %bb.330:
	scratch_load_b128 v[5:8], off, s54
	v_dual_mov_b32 v2, v1 :: v_dual_mov_b32 v3, v1
	v_mov_b32_e32 v4, v1
	scratch_store_b128 off, v[1:4], off offset:304
	s_wait_loadcnt 0x0
	ds_store_b128 v164, v[5:8]
.LBB122_331:
	s_wait_alu 0xfffe
	s_or_b32 exec_lo, exec_lo, s0
	s_wait_storecnt_dscnt 0x0
	s_barrier_signal -1
	s_barrier_wait -1
	global_inv scope:SCOPE_SE
	s_clause 0x8
	scratch_load_b128 v[2:5], off, off offset:320
	scratch_load_b128 v[6:9], off, off offset:336
	;; [unrolled: 1-line block ×9, first 2 shown]
	ds_load_b128 v[42:45], v1 offset:1248
	ds_load_b128 v[38:41], v1 offset:1264
	s_clause 0x1
	scratch_load_b128 v[165:168], off, off offset:304
	scratch_load_b128 v[169:172], off, off offset:464
	s_mov_b32 s0, exec_lo
	s_wait_loadcnt_dscnt 0xa01
	v_mul_f64_e32 v[173:174], v[44:45], v[4:5]
	v_mul_f64_e32 v[4:5], v[42:43], v[4:5]
	s_wait_loadcnt_dscnt 0x900
	v_mul_f64_e32 v[177:178], v[38:39], v[8:9]
	v_mul_f64_e32 v[8:9], v[40:41], v[8:9]
	s_delay_alu instid0(VALU_DEP_4) | instskip(NEXT) | instid1(VALU_DEP_4)
	v_fma_f64 v[179:180], v[42:43], v[2:3], -v[173:174]
	v_fma_f64 v[181:182], v[44:45], v[2:3], v[4:5]
	ds_load_b128 v[2:5], v1 offset:1280
	ds_load_b128 v[173:176], v1 offset:1296
	scratch_load_b128 v[42:45], off, off offset:480
	v_fma_f64 v[40:41], v[40:41], v[6:7], v[177:178]
	v_fma_f64 v[38:39], v[38:39], v[6:7], -v[8:9]
	scratch_load_b128 v[6:9], off, off offset:496
	s_wait_loadcnt_dscnt 0xa01
	v_mul_f64_e32 v[183:184], v[2:3], v[12:13]
	v_mul_f64_e32 v[12:13], v[4:5], v[12:13]
	v_add_f64_e32 v[177:178], 0, v[179:180]
	v_add_f64_e32 v[179:180], 0, v[181:182]
	s_wait_loadcnt_dscnt 0x900
	v_mul_f64_e32 v[181:182], v[173:174], v[16:17]
	v_mul_f64_e32 v[16:17], v[175:176], v[16:17]
	v_fma_f64 v[183:184], v[4:5], v[10:11], v[183:184]
	v_fma_f64 v[185:186], v[2:3], v[10:11], -v[12:13]
	ds_load_b128 v[2:5], v1 offset:1312
	scratch_load_b128 v[10:13], off, off offset:512
	v_add_f64_e32 v[177:178], v[177:178], v[38:39]
	v_add_f64_e32 v[179:180], v[179:180], v[40:41]
	ds_load_b128 v[38:41], v1 offset:1328
	v_fma_f64 v[175:176], v[175:176], v[14:15], v[181:182]
	v_fma_f64 v[173:174], v[173:174], v[14:15], -v[16:17]
	scratch_load_b128 v[14:17], off, off offset:528
	s_wait_loadcnt_dscnt 0xa01
	v_mul_f64_e32 v[187:188], v[2:3], v[20:21]
	v_mul_f64_e32 v[20:21], v[4:5], v[20:21]
	s_wait_loadcnt_dscnt 0x900
	v_mul_f64_e32 v[181:182], v[38:39], v[24:25]
	v_mul_f64_e32 v[24:25], v[40:41], v[24:25]
	v_add_f64_e32 v[177:178], v[177:178], v[185:186]
	v_add_f64_e32 v[179:180], v[179:180], v[183:184]
	v_fma_f64 v[183:184], v[4:5], v[18:19], v[187:188]
	v_fma_f64 v[185:186], v[2:3], v[18:19], -v[20:21]
	ds_load_b128 v[2:5], v1 offset:1344
	scratch_load_b128 v[18:21], off, off offset:544
	v_fma_f64 v[40:41], v[40:41], v[22:23], v[181:182]
	v_fma_f64 v[38:39], v[38:39], v[22:23], -v[24:25]
	scratch_load_b128 v[22:25], off, off offset:560
	v_add_f64_e32 v[177:178], v[177:178], v[173:174]
	v_add_f64_e32 v[179:180], v[179:180], v[175:176]
	ds_load_b128 v[173:176], v1 offset:1360
	s_wait_loadcnt_dscnt 0xa01
	v_mul_f64_e32 v[187:188], v[2:3], v[28:29]
	v_mul_f64_e32 v[28:29], v[4:5], v[28:29]
	s_wait_loadcnt_dscnt 0x900
	v_mul_f64_e32 v[181:182], v[173:174], v[32:33]
	v_mul_f64_e32 v[32:33], v[175:176], v[32:33]
	v_add_f64_e32 v[177:178], v[177:178], v[185:186]
	v_add_f64_e32 v[179:180], v[179:180], v[183:184]
	v_fma_f64 v[183:184], v[4:5], v[26:27], v[187:188]
	v_fma_f64 v[185:186], v[2:3], v[26:27], -v[28:29]
	ds_load_b128 v[2:5], v1 offset:1376
	scratch_load_b128 v[26:29], off, off offset:576
	v_fma_f64 v[175:176], v[175:176], v[30:31], v[181:182]
	v_fma_f64 v[173:174], v[173:174], v[30:31], -v[32:33]
	scratch_load_b128 v[30:33], off, off offset:592
	v_add_f64_e32 v[177:178], v[177:178], v[38:39]
	v_add_f64_e32 v[179:180], v[179:180], v[40:41]
	ds_load_b128 v[38:41], v1 offset:1392
	s_wait_loadcnt_dscnt 0xa01
	v_mul_f64_e32 v[187:188], v[2:3], v[36:37]
	v_mul_f64_e32 v[36:37], v[4:5], v[36:37]
	s_wait_loadcnt_dscnt 0x800
	v_mul_f64_e32 v[181:182], v[38:39], v[171:172]
	v_add_f64_e32 v[177:178], v[177:178], v[185:186]
	v_add_f64_e32 v[179:180], v[179:180], v[183:184]
	v_mul_f64_e32 v[183:184], v[40:41], v[171:172]
	v_fma_f64 v[185:186], v[4:5], v[34:35], v[187:188]
	v_fma_f64 v[187:188], v[2:3], v[34:35], -v[36:37]
	ds_load_b128 v[2:5], v1 offset:1408
	scratch_load_b128 v[34:37], off, off offset:608
	v_fma_f64 v[181:182], v[40:41], v[169:170], v[181:182]
	v_add_f64_e32 v[177:178], v[177:178], v[173:174]
	v_add_f64_e32 v[175:176], v[179:180], v[175:176]
	ds_load_b128 v[171:174], v1 offset:1424
	v_fma_f64 v[169:170], v[38:39], v[169:170], -v[183:184]
	scratch_load_b128 v[38:41], off, off offset:624
	s_wait_loadcnt_dscnt 0x901
	v_mul_f64_e32 v[179:180], v[2:3], v[44:45]
	v_mul_f64_e32 v[44:45], v[4:5], v[44:45]
	s_wait_loadcnt_dscnt 0x800
	v_mul_f64_e32 v[183:184], v[171:172], v[8:9]
	v_mul_f64_e32 v[8:9], v[173:174], v[8:9]
	v_add_f64_e32 v[177:178], v[177:178], v[187:188]
	v_add_f64_e32 v[175:176], v[175:176], v[185:186]
	v_fma_f64 v[179:180], v[4:5], v[42:43], v[179:180]
	v_fma_f64 v[185:186], v[2:3], v[42:43], -v[44:45]
	ds_load_b128 v[2:5], v1 offset:1440
	scratch_load_b128 v[42:45], off, off offset:640
	v_fma_f64 v[173:174], v[173:174], v[6:7], v[183:184]
	v_fma_f64 v[171:172], v[171:172], v[6:7], -v[8:9]
	scratch_load_b128 v[6:9], off, off offset:656
	v_add_f64_e32 v[169:170], v[177:178], v[169:170]
	v_add_f64_e32 v[181:182], v[175:176], v[181:182]
	ds_load_b128 v[175:178], v1 offset:1456
	s_wait_loadcnt_dscnt 0x901
	v_mul_f64_e32 v[187:188], v[2:3], v[12:13]
	v_mul_f64_e32 v[12:13], v[4:5], v[12:13]
	v_add_f64_e32 v[169:170], v[169:170], v[185:186]
	v_add_f64_e32 v[179:180], v[181:182], v[179:180]
	s_wait_loadcnt_dscnt 0x800
	v_mul_f64_e32 v[181:182], v[175:176], v[16:17]
	v_mul_f64_e32 v[16:17], v[177:178], v[16:17]
	v_fma_f64 v[183:184], v[4:5], v[10:11], v[187:188]
	v_fma_f64 v[185:186], v[2:3], v[10:11], -v[12:13]
	ds_load_b128 v[2:5], v1 offset:1472
	scratch_load_b128 v[10:13], off, off offset:672
	v_add_f64_e32 v[187:188], v[169:170], v[171:172]
	v_add_f64_e32 v[173:174], v[179:180], v[173:174]
	ds_load_b128 v[169:172], v1 offset:1488
	s_wait_loadcnt_dscnt 0x801
	v_mul_f64_e32 v[179:180], v[2:3], v[20:21]
	v_mul_f64_e32 v[20:21], v[4:5], v[20:21]
	v_fma_f64 v[177:178], v[177:178], v[14:15], v[181:182]
	v_fma_f64 v[175:176], v[175:176], v[14:15], -v[16:17]
	scratch_load_b128 v[14:17], off, off offset:688
	v_add_f64_e32 v[181:182], v[187:188], v[185:186]
	v_add_f64_e32 v[173:174], v[173:174], v[183:184]
	s_wait_loadcnt_dscnt 0x800
	v_mul_f64_e32 v[183:184], v[169:170], v[24:25]
	v_mul_f64_e32 v[24:25], v[171:172], v[24:25]
	v_fma_f64 v[179:180], v[4:5], v[18:19], v[179:180]
	v_fma_f64 v[185:186], v[2:3], v[18:19], -v[20:21]
	ds_load_b128 v[2:5], v1 offset:1504
	scratch_load_b128 v[18:21], off, off offset:704
	v_add_f64_e32 v[181:182], v[181:182], v[175:176]
	v_add_f64_e32 v[177:178], v[173:174], v[177:178]
	ds_load_b128 v[173:176], v1 offset:1520
	s_wait_loadcnt_dscnt 0x801
	v_mul_f64_e32 v[187:188], v[2:3], v[28:29]
	v_mul_f64_e32 v[28:29], v[4:5], v[28:29]
	v_fma_f64 v[171:172], v[171:172], v[22:23], v[183:184]
	v_fma_f64 v[169:170], v[169:170], v[22:23], -v[24:25]
	scratch_load_b128 v[22:25], off, off offset:720
	;; [unrolled: 18-line block ×4, first 2 shown]
	s_wait_loadcnt_dscnt 0x800
	v_mul_f64_e32 v[181:182], v[173:174], v[8:9]
	v_mul_f64_e32 v[8:9], v[175:176], v[8:9]
	v_add_f64_e32 v[179:180], v[179:180], v[185:186]
	v_add_f64_e32 v[177:178], v[177:178], v[183:184]
	v_fma_f64 v[183:184], v[4:5], v[42:43], v[187:188]
	v_fma_f64 v[185:186], v[2:3], v[42:43], -v[44:45]
	ds_load_b128 v[2:5], v1 offset:1600
	scratch_load_b128 v[42:45], off, off offset:800
	v_fma_f64 v[175:176], v[175:176], v[6:7], v[181:182]
	v_fma_f64 v[173:174], v[173:174], v[6:7], -v[8:9]
	scratch_load_b128 v[6:9], off, off offset:816
	v_add_f64_e32 v[179:180], v[179:180], v[169:170]
	v_add_f64_e32 v[177:178], v[177:178], v[171:172]
	ds_load_b128 v[169:172], v1 offset:1616
	s_wait_loadcnt_dscnt 0x901
	v_mul_f64_e32 v[187:188], v[2:3], v[12:13]
	v_mul_f64_e32 v[12:13], v[4:5], v[12:13]
	s_wait_loadcnt_dscnt 0x800
	v_mul_f64_e32 v[181:182], v[169:170], v[16:17]
	v_mul_f64_e32 v[16:17], v[171:172], v[16:17]
	v_add_f64_e32 v[179:180], v[179:180], v[185:186]
	v_add_f64_e32 v[177:178], v[177:178], v[183:184]
	v_fma_f64 v[183:184], v[4:5], v[10:11], v[187:188]
	v_fma_f64 v[185:186], v[2:3], v[10:11], -v[12:13]
	ds_load_b128 v[2:5], v1 offset:1632
	scratch_load_b128 v[10:13], off, off offset:832
	v_fma_f64 v[171:172], v[171:172], v[14:15], v[181:182]
	v_fma_f64 v[169:170], v[169:170], v[14:15], -v[16:17]
	scratch_load_b128 v[14:17], off, off offset:848
	v_add_f64_e32 v[179:180], v[179:180], v[173:174]
	v_add_f64_e32 v[177:178], v[177:178], v[175:176]
	ds_load_b128 v[173:176], v1 offset:1648
	s_wait_loadcnt_dscnt 0x901
	v_mul_f64_e32 v[187:188], v[2:3], v[20:21]
	v_mul_f64_e32 v[20:21], v[4:5], v[20:21]
	;; [unrolled: 18-line block ×5, first 2 shown]
	s_wait_loadcnt_dscnt 0x800
	v_mul_f64_e32 v[181:182], v[169:170], v[8:9]
	v_mul_f64_e32 v[8:9], v[171:172], v[8:9]
	v_add_f64_e32 v[179:180], v[179:180], v[185:186]
	v_add_f64_e32 v[177:178], v[177:178], v[183:184]
	v_fma_f64 v[183:184], v[4:5], v[42:43], v[187:188]
	v_fma_f64 v[185:186], v[2:3], v[42:43], -v[44:45]
	ds_load_b128 v[2:5], v1 offset:1760
	ds_load_b128 v[42:45], v1 offset:1776
	v_fma_f64 v[171:172], v[171:172], v[6:7], v[181:182]
	v_fma_f64 v[6:7], v[169:170], v[6:7], -v[8:9]
	v_add_f64_e32 v[173:174], v[179:180], v[173:174]
	v_add_f64_e32 v[175:176], v[177:178], v[175:176]
	s_wait_loadcnt_dscnt 0x701
	v_mul_f64_e32 v[177:178], v[2:3], v[12:13]
	v_mul_f64_e32 v[12:13], v[4:5], v[12:13]
	s_delay_alu instid0(VALU_DEP_4) | instskip(NEXT) | instid1(VALU_DEP_4)
	v_add_f64_e32 v[8:9], v[173:174], v[185:186]
	v_add_f64_e32 v[169:170], v[175:176], v[183:184]
	s_wait_loadcnt_dscnt 0x600
	v_mul_f64_e32 v[173:174], v[42:43], v[16:17]
	v_mul_f64_e32 v[16:17], v[44:45], v[16:17]
	v_fma_f64 v[175:176], v[4:5], v[10:11], v[177:178]
	v_fma_f64 v[10:11], v[2:3], v[10:11], -v[12:13]
	v_add_f64_e32 v[12:13], v[8:9], v[6:7]
	v_add_f64_e32 v[169:170], v[169:170], v[171:172]
	ds_load_b128 v[2:5], v1 offset:1792
	ds_load_b128 v[6:9], v1 offset:1808
	v_fma_f64 v[44:45], v[44:45], v[14:15], v[173:174]
	v_fma_f64 v[14:15], v[42:43], v[14:15], -v[16:17]
	s_wait_loadcnt_dscnt 0x501
	v_mul_f64_e32 v[171:172], v[2:3], v[20:21]
	v_mul_f64_e32 v[20:21], v[4:5], v[20:21]
	s_wait_loadcnt_dscnt 0x400
	v_mul_f64_e32 v[16:17], v[6:7], v[24:25]
	v_mul_f64_e32 v[24:25], v[8:9], v[24:25]
	v_add_f64_e32 v[10:11], v[12:13], v[10:11]
	v_add_f64_e32 v[12:13], v[169:170], v[175:176]
	v_fma_f64 v[42:43], v[4:5], v[18:19], v[171:172]
	v_fma_f64 v[18:19], v[2:3], v[18:19], -v[20:21]
	v_fma_f64 v[8:9], v[8:9], v[22:23], v[16:17]
	v_fma_f64 v[6:7], v[6:7], v[22:23], -v[24:25]
	v_add_f64_e32 v[14:15], v[10:11], v[14:15]
	v_add_f64_e32 v[20:21], v[12:13], v[44:45]
	ds_load_b128 v[2:5], v1 offset:1824
	ds_load_b128 v[10:13], v1 offset:1840
	s_wait_loadcnt_dscnt 0x301
	v_mul_f64_e32 v[44:45], v[2:3], v[28:29]
	v_mul_f64_e32 v[28:29], v[4:5], v[28:29]
	v_add_f64_e32 v[14:15], v[14:15], v[18:19]
	v_add_f64_e32 v[16:17], v[20:21], v[42:43]
	s_wait_loadcnt_dscnt 0x200
	v_mul_f64_e32 v[18:19], v[10:11], v[32:33]
	v_mul_f64_e32 v[20:21], v[12:13], v[32:33]
	v_fma_f64 v[22:23], v[4:5], v[26:27], v[44:45]
	v_fma_f64 v[24:25], v[2:3], v[26:27], -v[28:29]
	v_add_f64_e32 v[14:15], v[14:15], v[6:7]
	v_add_f64_e32 v[16:17], v[16:17], v[8:9]
	ds_load_b128 v[2:5], v1 offset:1856
	ds_load_b128 v[6:9], v1 offset:1872
	v_fma_f64 v[12:13], v[12:13], v[30:31], v[18:19]
	v_fma_f64 v[10:11], v[10:11], v[30:31], -v[20:21]
	s_wait_loadcnt_dscnt 0x101
	v_mul_f64_e32 v[26:27], v[2:3], v[36:37]
	v_mul_f64_e32 v[28:29], v[4:5], v[36:37]
	s_wait_loadcnt_dscnt 0x0
	v_mul_f64_e32 v[18:19], v[6:7], v[40:41]
	v_mul_f64_e32 v[20:21], v[8:9], v[40:41]
	v_add_f64_e32 v[14:15], v[14:15], v[24:25]
	v_add_f64_e32 v[16:17], v[16:17], v[22:23]
	v_fma_f64 v[4:5], v[4:5], v[34:35], v[26:27]
	v_fma_f64 v[1:2], v[2:3], v[34:35], -v[28:29]
	v_fma_f64 v[8:9], v[8:9], v[38:39], v[18:19]
	v_fma_f64 v[6:7], v[6:7], v[38:39], -v[20:21]
	v_add_f64_e32 v[10:11], v[14:15], v[10:11]
	v_add_f64_e32 v[12:13], v[16:17], v[12:13]
	s_delay_alu instid0(VALU_DEP_2) | instskip(NEXT) | instid1(VALU_DEP_2)
	v_add_f64_e32 v[1:2], v[10:11], v[1:2]
	v_add_f64_e32 v[3:4], v[12:13], v[4:5]
	s_delay_alu instid0(VALU_DEP_2) | instskip(NEXT) | instid1(VALU_DEP_2)
	;; [unrolled: 3-line block ×3, first 2 shown]
	v_add_f64_e64 v[1:2], v[165:166], -v[1:2]
	v_add_f64_e64 v[3:4], v[167:168], -v[3:4]
	scratch_store_b128 off, v[1:4], off offset:304
	v_cmpx_lt_u32_e32 17, v0
	s_cbranch_execz .LBB122_333
; %bb.332:
	scratch_load_b128 v[1:4], off, s55
	v_mov_b32_e32 v5, 0
	s_delay_alu instid0(VALU_DEP_1)
	v_dual_mov_b32 v6, v5 :: v_dual_mov_b32 v7, v5
	v_mov_b32_e32 v8, v5
	scratch_store_b128 off, v[5:8], off offset:288
	s_wait_loadcnt 0x0
	ds_store_b128 v164, v[1:4]
.LBB122_333:
	s_wait_alu 0xfffe
	s_or_b32 exec_lo, exec_lo, s0
	s_wait_storecnt_dscnt 0x0
	s_barrier_signal -1
	s_barrier_wait -1
	global_inv scope:SCOPE_SE
	s_clause 0x7
	scratch_load_b128 v[2:5], off, off offset:304
	scratch_load_b128 v[6:9], off, off offset:320
	;; [unrolled: 1-line block ×8, first 2 shown]
	v_mov_b32_e32 v1, 0
	s_mov_b32 s0, exec_lo
	ds_load_b128 v[38:41], v1 offset:1232
	s_clause 0x1
	scratch_load_b128 v[34:37], off, off offset:432
	scratch_load_b128 v[42:45], off, off offset:288
	ds_load_b128 v[165:168], v1 offset:1248
	scratch_load_b128 v[169:172], off, off offset:448
	s_wait_loadcnt_dscnt 0xa01
	v_mul_f64_e32 v[173:174], v[40:41], v[4:5]
	v_mul_f64_e32 v[4:5], v[38:39], v[4:5]
	s_delay_alu instid0(VALU_DEP_2) | instskip(NEXT) | instid1(VALU_DEP_2)
	v_fma_f64 v[179:180], v[38:39], v[2:3], -v[173:174]
	v_fma_f64 v[181:182], v[40:41], v[2:3], v[4:5]
	ds_load_b128 v[2:5], v1 offset:1264
	s_wait_loadcnt_dscnt 0x901
	v_mul_f64_e32 v[177:178], v[165:166], v[8:9]
	v_mul_f64_e32 v[8:9], v[167:168], v[8:9]
	scratch_load_b128 v[38:41], off, off offset:464
	ds_load_b128 v[173:176], v1 offset:1280
	s_wait_loadcnt_dscnt 0x901
	v_mul_f64_e32 v[183:184], v[2:3], v[12:13]
	v_mul_f64_e32 v[12:13], v[4:5], v[12:13]
	v_fma_f64 v[167:168], v[167:168], v[6:7], v[177:178]
	v_fma_f64 v[165:166], v[165:166], v[6:7], -v[8:9]
	v_add_f64_e32 v[177:178], 0, v[179:180]
	v_add_f64_e32 v[179:180], 0, v[181:182]
	scratch_load_b128 v[6:9], off, off offset:480
	v_fma_f64 v[183:184], v[4:5], v[10:11], v[183:184]
	v_fma_f64 v[185:186], v[2:3], v[10:11], -v[12:13]
	ds_load_b128 v[2:5], v1 offset:1296
	s_wait_loadcnt_dscnt 0x901
	v_mul_f64_e32 v[181:182], v[173:174], v[16:17]
	v_mul_f64_e32 v[16:17], v[175:176], v[16:17]
	scratch_load_b128 v[10:13], off, off offset:496
	v_add_f64_e32 v[177:178], v[177:178], v[165:166]
	v_add_f64_e32 v[179:180], v[179:180], v[167:168]
	s_wait_loadcnt_dscnt 0x900
	v_mul_f64_e32 v[187:188], v[2:3], v[20:21]
	v_mul_f64_e32 v[20:21], v[4:5], v[20:21]
	ds_load_b128 v[165:168], v1 offset:1312
	v_fma_f64 v[175:176], v[175:176], v[14:15], v[181:182]
	v_fma_f64 v[173:174], v[173:174], v[14:15], -v[16:17]
	scratch_load_b128 v[14:17], off, off offset:512
	v_add_f64_e32 v[177:178], v[177:178], v[185:186]
	v_add_f64_e32 v[179:180], v[179:180], v[183:184]
	v_fma_f64 v[183:184], v[4:5], v[18:19], v[187:188]
	v_fma_f64 v[185:186], v[2:3], v[18:19], -v[20:21]
	ds_load_b128 v[2:5], v1 offset:1328
	s_wait_loadcnt_dscnt 0x901
	v_mul_f64_e32 v[181:182], v[165:166], v[24:25]
	v_mul_f64_e32 v[24:25], v[167:168], v[24:25]
	scratch_load_b128 v[18:21], off, off offset:528
	s_wait_loadcnt_dscnt 0x900
	v_mul_f64_e32 v[187:188], v[2:3], v[28:29]
	v_mul_f64_e32 v[28:29], v[4:5], v[28:29]
	v_add_f64_e32 v[177:178], v[177:178], v[173:174]
	v_add_f64_e32 v[179:180], v[179:180], v[175:176]
	ds_load_b128 v[173:176], v1 offset:1344
	v_fma_f64 v[167:168], v[167:168], v[22:23], v[181:182]
	v_fma_f64 v[165:166], v[165:166], v[22:23], -v[24:25]
	scratch_load_b128 v[22:25], off, off offset:544
	v_add_f64_e32 v[177:178], v[177:178], v[185:186]
	v_add_f64_e32 v[179:180], v[179:180], v[183:184]
	v_fma_f64 v[183:184], v[4:5], v[26:27], v[187:188]
	v_fma_f64 v[185:186], v[2:3], v[26:27], -v[28:29]
	ds_load_b128 v[2:5], v1 offset:1360
	s_wait_loadcnt_dscnt 0x901
	v_mul_f64_e32 v[181:182], v[173:174], v[32:33]
	v_mul_f64_e32 v[32:33], v[175:176], v[32:33]
	scratch_load_b128 v[26:29], off, off offset:560
	s_wait_loadcnt_dscnt 0x900
	v_mul_f64_e32 v[187:188], v[2:3], v[36:37]
	v_mul_f64_e32 v[36:37], v[4:5], v[36:37]
	v_add_f64_e32 v[177:178], v[177:178], v[165:166]
	v_add_f64_e32 v[179:180], v[179:180], v[167:168]
	ds_load_b128 v[165:168], v1 offset:1376
	v_fma_f64 v[175:176], v[175:176], v[30:31], v[181:182]
	v_fma_f64 v[173:174], v[173:174], v[30:31], -v[32:33]
	scratch_load_b128 v[30:33], off, off offset:576
	v_add_f64_e32 v[177:178], v[177:178], v[185:186]
	v_add_f64_e32 v[179:180], v[179:180], v[183:184]
	v_fma_f64 v[185:186], v[4:5], v[34:35], v[187:188]
	v_fma_f64 v[187:188], v[2:3], v[34:35], -v[36:37]
	ds_load_b128 v[2:5], v1 offset:1392
	s_wait_loadcnt_dscnt 0x801
	v_mul_f64_e32 v[181:182], v[165:166], v[171:172]
	v_mul_f64_e32 v[183:184], v[167:168], v[171:172]
	scratch_load_b128 v[34:37], off, off offset:592
	v_add_f64_e32 v[177:178], v[177:178], v[173:174]
	v_add_f64_e32 v[175:176], v[179:180], v[175:176]
	ds_load_b128 v[171:174], v1 offset:1408
	v_fma_f64 v[181:182], v[167:168], v[169:170], v[181:182]
	v_fma_f64 v[169:170], v[165:166], v[169:170], -v[183:184]
	scratch_load_b128 v[165:168], off, off offset:608
	s_wait_loadcnt_dscnt 0x901
	v_mul_f64_e32 v[179:180], v[2:3], v[40:41]
	v_mul_f64_e32 v[40:41], v[4:5], v[40:41]
	v_add_f64_e32 v[177:178], v[177:178], v[187:188]
	v_add_f64_e32 v[175:176], v[175:176], v[185:186]
	s_delay_alu instid0(VALU_DEP_4) | instskip(NEXT) | instid1(VALU_DEP_4)
	v_fma_f64 v[179:180], v[4:5], v[38:39], v[179:180]
	v_fma_f64 v[185:186], v[2:3], v[38:39], -v[40:41]
	ds_load_b128 v[2:5], v1 offset:1424
	s_wait_loadcnt_dscnt 0x801
	v_mul_f64_e32 v[183:184], v[171:172], v[8:9]
	v_mul_f64_e32 v[8:9], v[173:174], v[8:9]
	scratch_load_b128 v[38:41], off, off offset:624
	s_wait_loadcnt_dscnt 0x800
	v_mul_f64_e32 v[187:188], v[2:3], v[12:13]
	v_add_f64_e32 v[169:170], v[177:178], v[169:170]
	v_add_f64_e32 v[181:182], v[175:176], v[181:182]
	v_mul_f64_e32 v[12:13], v[4:5], v[12:13]
	ds_load_b128 v[175:178], v1 offset:1440
	v_fma_f64 v[173:174], v[173:174], v[6:7], v[183:184]
	v_fma_f64 v[171:172], v[171:172], v[6:7], -v[8:9]
	scratch_load_b128 v[6:9], off, off offset:640
	v_fma_f64 v[183:184], v[4:5], v[10:11], v[187:188]
	v_add_f64_e32 v[169:170], v[169:170], v[185:186]
	v_add_f64_e32 v[179:180], v[181:182], v[179:180]
	v_fma_f64 v[185:186], v[2:3], v[10:11], -v[12:13]
	ds_load_b128 v[2:5], v1 offset:1456
	s_wait_loadcnt_dscnt 0x801
	v_mul_f64_e32 v[181:182], v[175:176], v[16:17]
	v_mul_f64_e32 v[16:17], v[177:178], v[16:17]
	scratch_load_b128 v[10:13], off, off offset:656
	v_add_f64_e32 v[187:188], v[169:170], v[171:172]
	v_add_f64_e32 v[173:174], v[179:180], v[173:174]
	s_wait_loadcnt_dscnt 0x800
	v_mul_f64_e32 v[179:180], v[2:3], v[20:21]
	v_mul_f64_e32 v[20:21], v[4:5], v[20:21]
	v_fma_f64 v[177:178], v[177:178], v[14:15], v[181:182]
	v_fma_f64 v[175:176], v[175:176], v[14:15], -v[16:17]
	ds_load_b128 v[169:172], v1 offset:1472
	scratch_load_b128 v[14:17], off, off offset:672
	v_add_f64_e32 v[181:182], v[187:188], v[185:186]
	v_add_f64_e32 v[173:174], v[173:174], v[183:184]
	v_fma_f64 v[179:180], v[4:5], v[18:19], v[179:180]
	v_fma_f64 v[185:186], v[2:3], v[18:19], -v[20:21]
	ds_load_b128 v[2:5], v1 offset:1488
	s_wait_loadcnt_dscnt 0x801
	v_mul_f64_e32 v[183:184], v[169:170], v[24:25]
	v_mul_f64_e32 v[24:25], v[171:172], v[24:25]
	scratch_load_b128 v[18:21], off, off offset:688
	s_wait_loadcnt_dscnt 0x800
	v_mul_f64_e32 v[187:188], v[2:3], v[28:29]
	v_mul_f64_e32 v[28:29], v[4:5], v[28:29]
	v_add_f64_e32 v[181:182], v[181:182], v[175:176]
	v_add_f64_e32 v[177:178], v[173:174], v[177:178]
	ds_load_b128 v[173:176], v1 offset:1504
	v_fma_f64 v[171:172], v[171:172], v[22:23], v[183:184]
	v_fma_f64 v[169:170], v[169:170], v[22:23], -v[24:25]
	scratch_load_b128 v[22:25], off, off offset:704
	v_fma_f64 v[183:184], v[4:5], v[26:27], v[187:188]
	v_add_f64_e32 v[181:182], v[181:182], v[185:186]
	v_add_f64_e32 v[177:178], v[177:178], v[179:180]
	v_fma_f64 v[185:186], v[2:3], v[26:27], -v[28:29]
	ds_load_b128 v[2:5], v1 offset:1520
	s_wait_loadcnt_dscnt 0x801
	v_mul_f64_e32 v[179:180], v[173:174], v[32:33]
	v_mul_f64_e32 v[32:33], v[175:176], v[32:33]
	scratch_load_b128 v[26:29], off, off offset:720
	s_wait_loadcnt_dscnt 0x800
	v_mul_f64_e32 v[187:188], v[2:3], v[36:37]
	v_mul_f64_e32 v[36:37], v[4:5], v[36:37]
	v_add_f64_e32 v[181:182], v[181:182], v[169:170]
	v_add_f64_e32 v[177:178], v[177:178], v[171:172]
	ds_load_b128 v[169:172], v1 offset:1536
	v_fma_f64 v[175:176], v[175:176], v[30:31], v[179:180]
	v_fma_f64 v[173:174], v[173:174], v[30:31], -v[32:33]
	scratch_load_b128 v[30:33], off, off offset:736
	v_add_f64_e32 v[179:180], v[181:182], v[185:186]
	v_add_f64_e32 v[177:178], v[177:178], v[183:184]
	v_fma_f64 v[183:184], v[4:5], v[34:35], v[187:188]
	v_fma_f64 v[185:186], v[2:3], v[34:35], -v[36:37]
	ds_load_b128 v[2:5], v1 offset:1552
	s_wait_loadcnt_dscnt 0x801
	v_mul_f64_e32 v[181:182], v[169:170], v[167:168]
	v_mul_f64_e32 v[167:168], v[171:172], v[167:168]
	scratch_load_b128 v[34:37], off, off offset:752
	s_wait_loadcnt_dscnt 0x800
	v_mul_f64_e32 v[187:188], v[2:3], v[40:41]
	v_mul_f64_e32 v[40:41], v[4:5], v[40:41]
	v_add_f64_e32 v[179:180], v[179:180], v[173:174]
	v_add_f64_e32 v[177:178], v[177:178], v[175:176]
	ds_load_b128 v[173:176], v1 offset:1568
	v_fma_f64 v[171:172], v[171:172], v[165:166], v[181:182]
	v_fma_f64 v[169:170], v[169:170], v[165:166], -v[167:168]
	scratch_load_b128 v[165:168], off, off offset:768
	v_add_f64_e32 v[179:180], v[179:180], v[185:186]
	v_add_f64_e32 v[177:178], v[177:178], v[183:184]
	v_fma_f64 v[183:184], v[4:5], v[38:39], v[187:188]
	;; [unrolled: 18-line block ×6, first 2 shown]
	v_fma_f64 v[187:188], v[2:3], v[34:35], -v[36:37]
	ds_load_b128 v[2:5], v1 offset:1712
	s_wait_loadcnt_dscnt 0x801
	v_mul_f64_e32 v[181:182], v[173:174], v[167:168]
	v_mul_f64_e32 v[183:184], v[175:176], v[167:168]
	scratch_load_b128 v[34:37], off, off offset:912
	v_add_f64_e32 v[179:180], v[179:180], v[169:170]
	v_add_f64_e32 v[171:172], v[177:178], v[171:172]
	s_wait_loadcnt_dscnt 0x800
	v_mul_f64_e32 v[177:178], v[2:3], v[40:41]
	v_mul_f64_e32 v[40:41], v[4:5], v[40:41]
	ds_load_b128 v[167:170], v1 offset:1728
	v_fma_f64 v[175:176], v[175:176], v[165:166], v[181:182]
	v_fma_f64 v[165:166], v[173:174], v[165:166], -v[183:184]
	v_add_f64_e32 v[179:180], v[179:180], v[187:188]
	v_add_f64_e32 v[181:182], v[171:172], v[185:186]
	scratch_load_b128 v[171:174], off, off offset:928
	v_fma_f64 v[185:186], v[4:5], v[38:39], v[177:178]
	v_fma_f64 v[187:188], v[2:3], v[38:39], -v[40:41]
	ds_load_b128 v[2:5], v1 offset:1744
	s_wait_loadcnt_dscnt 0x801
	v_mul_f64_e32 v[183:184], v[167:168], v[8:9]
	v_mul_f64_e32 v[8:9], v[169:170], v[8:9]
	scratch_load_b128 v[38:41], off, off offset:944
	v_add_f64_e32 v[165:166], v[179:180], v[165:166]
	v_add_f64_e32 v[179:180], v[181:182], v[175:176]
	s_wait_loadcnt_dscnt 0x800
	v_mul_f64_e32 v[181:182], v[2:3], v[12:13]
	v_mul_f64_e32 v[12:13], v[4:5], v[12:13]
	ds_load_b128 v[175:178], v1 offset:1760
	v_fma_f64 v[169:170], v[169:170], v[6:7], v[183:184]
	v_fma_f64 v[6:7], v[167:168], v[6:7], -v[8:9]
	s_wait_loadcnt_dscnt 0x700
	v_mul_f64_e32 v[167:168], v[175:176], v[16:17]
	v_mul_f64_e32 v[16:17], v[177:178], v[16:17]
	v_add_f64_e32 v[8:9], v[165:166], v[187:188]
	v_add_f64_e32 v[165:166], v[179:180], v[185:186]
	v_fma_f64 v[179:180], v[4:5], v[10:11], v[181:182]
	v_fma_f64 v[10:11], v[2:3], v[10:11], -v[12:13]
	v_fma_f64 v[167:168], v[177:178], v[14:15], v[167:168]
	v_fma_f64 v[14:15], v[175:176], v[14:15], -v[16:17]
	v_add_f64_e32 v[12:13], v[8:9], v[6:7]
	v_add_f64_e32 v[165:166], v[165:166], v[169:170]
	ds_load_b128 v[2:5], v1 offset:1776
	ds_load_b128 v[6:9], v1 offset:1792
	s_wait_loadcnt_dscnt 0x601
	v_mul_f64_e32 v[169:170], v[2:3], v[20:21]
	v_mul_f64_e32 v[20:21], v[4:5], v[20:21]
	s_wait_loadcnt_dscnt 0x500
	v_mul_f64_e32 v[16:17], v[6:7], v[24:25]
	v_mul_f64_e32 v[24:25], v[8:9], v[24:25]
	v_add_f64_e32 v[10:11], v[12:13], v[10:11]
	v_add_f64_e32 v[12:13], v[165:166], v[179:180]
	v_fma_f64 v[165:166], v[4:5], v[18:19], v[169:170]
	v_fma_f64 v[18:19], v[2:3], v[18:19], -v[20:21]
	v_fma_f64 v[8:9], v[8:9], v[22:23], v[16:17]
	v_fma_f64 v[6:7], v[6:7], v[22:23], -v[24:25]
	v_add_f64_e32 v[14:15], v[10:11], v[14:15]
	v_add_f64_e32 v[20:21], v[12:13], v[167:168]
	ds_load_b128 v[2:5], v1 offset:1808
	ds_load_b128 v[10:13], v1 offset:1824
	s_wait_loadcnt_dscnt 0x401
	v_mul_f64_e32 v[167:168], v[2:3], v[28:29]
	v_mul_f64_e32 v[28:29], v[4:5], v[28:29]
	v_add_f64_e32 v[14:15], v[14:15], v[18:19]
	v_add_f64_e32 v[16:17], v[20:21], v[165:166]
	s_wait_loadcnt_dscnt 0x300
	v_mul_f64_e32 v[18:19], v[10:11], v[32:33]
	v_mul_f64_e32 v[20:21], v[12:13], v[32:33]
	v_fma_f64 v[22:23], v[4:5], v[26:27], v[167:168]
	v_fma_f64 v[24:25], v[2:3], v[26:27], -v[28:29]
	v_add_f64_e32 v[14:15], v[14:15], v[6:7]
	v_add_f64_e32 v[16:17], v[16:17], v[8:9]
	ds_load_b128 v[2:5], v1 offset:1840
	ds_load_b128 v[6:9], v1 offset:1856
	v_fma_f64 v[12:13], v[12:13], v[30:31], v[18:19]
	v_fma_f64 v[10:11], v[10:11], v[30:31], -v[20:21]
	s_wait_loadcnt_dscnt 0x201
	v_mul_f64_e32 v[26:27], v[2:3], v[36:37]
	v_mul_f64_e32 v[28:29], v[4:5], v[36:37]
	v_add_f64_e32 v[14:15], v[14:15], v[24:25]
	v_add_f64_e32 v[16:17], v[16:17], v[22:23]
	s_wait_loadcnt_dscnt 0x100
	v_mul_f64_e32 v[18:19], v[6:7], v[173:174]
	v_mul_f64_e32 v[20:21], v[8:9], v[173:174]
	v_fma_f64 v[22:23], v[4:5], v[34:35], v[26:27]
	v_fma_f64 v[24:25], v[2:3], v[34:35], -v[28:29]
	ds_load_b128 v[2:5], v1 offset:1872
	v_add_f64_e32 v[10:11], v[14:15], v[10:11]
	v_add_f64_e32 v[12:13], v[16:17], v[12:13]
	s_wait_loadcnt_dscnt 0x0
	v_mul_f64_e32 v[14:15], v[2:3], v[40:41]
	v_mul_f64_e32 v[16:17], v[4:5], v[40:41]
	v_fma_f64 v[8:9], v[8:9], v[171:172], v[18:19]
	v_fma_f64 v[6:7], v[6:7], v[171:172], -v[20:21]
	v_add_f64_e32 v[10:11], v[10:11], v[24:25]
	v_add_f64_e32 v[12:13], v[12:13], v[22:23]
	v_fma_f64 v[4:5], v[4:5], v[38:39], v[14:15]
	v_fma_f64 v[2:3], v[2:3], v[38:39], -v[16:17]
	s_delay_alu instid0(VALU_DEP_4) | instskip(NEXT) | instid1(VALU_DEP_4)
	v_add_f64_e32 v[6:7], v[10:11], v[6:7]
	v_add_f64_e32 v[8:9], v[12:13], v[8:9]
	s_delay_alu instid0(VALU_DEP_2) | instskip(NEXT) | instid1(VALU_DEP_2)
	v_add_f64_e32 v[2:3], v[6:7], v[2:3]
	v_add_f64_e32 v[4:5], v[8:9], v[4:5]
	s_delay_alu instid0(VALU_DEP_2) | instskip(NEXT) | instid1(VALU_DEP_2)
	v_add_f64_e64 v[2:3], v[42:43], -v[2:3]
	v_add_f64_e64 v[4:5], v[44:45], -v[4:5]
	scratch_store_b128 off, v[2:5], off offset:288
	v_cmpx_lt_u32_e32 16, v0
	s_cbranch_execz .LBB122_335
; %bb.334:
	scratch_load_b128 v[5:8], off, s56
	v_dual_mov_b32 v2, v1 :: v_dual_mov_b32 v3, v1
	v_mov_b32_e32 v4, v1
	scratch_store_b128 off, v[1:4], off offset:272
	s_wait_loadcnt 0x0
	ds_store_b128 v164, v[5:8]
.LBB122_335:
	s_wait_alu 0xfffe
	s_or_b32 exec_lo, exec_lo, s0
	s_wait_storecnt_dscnt 0x0
	s_barrier_signal -1
	s_barrier_wait -1
	global_inv scope:SCOPE_SE
	s_clause 0x8
	scratch_load_b128 v[2:5], off, off offset:288
	scratch_load_b128 v[6:9], off, off offset:304
	;; [unrolled: 1-line block ×9, first 2 shown]
	ds_load_b128 v[42:45], v1 offset:1216
	ds_load_b128 v[38:41], v1 offset:1232
	s_clause 0x1
	scratch_load_b128 v[165:168], off, off offset:272
	scratch_load_b128 v[169:172], off, off offset:432
	s_mov_b32 s0, exec_lo
	s_wait_loadcnt_dscnt 0xa01
	v_mul_f64_e32 v[173:174], v[44:45], v[4:5]
	v_mul_f64_e32 v[4:5], v[42:43], v[4:5]
	s_wait_loadcnt_dscnt 0x900
	v_mul_f64_e32 v[177:178], v[38:39], v[8:9]
	v_mul_f64_e32 v[8:9], v[40:41], v[8:9]
	s_delay_alu instid0(VALU_DEP_4) | instskip(NEXT) | instid1(VALU_DEP_4)
	v_fma_f64 v[179:180], v[42:43], v[2:3], -v[173:174]
	v_fma_f64 v[181:182], v[44:45], v[2:3], v[4:5]
	ds_load_b128 v[2:5], v1 offset:1248
	ds_load_b128 v[173:176], v1 offset:1264
	scratch_load_b128 v[42:45], off, off offset:448
	v_fma_f64 v[40:41], v[40:41], v[6:7], v[177:178]
	v_fma_f64 v[38:39], v[38:39], v[6:7], -v[8:9]
	scratch_load_b128 v[6:9], off, off offset:464
	s_wait_loadcnt_dscnt 0xa01
	v_mul_f64_e32 v[183:184], v[2:3], v[12:13]
	v_mul_f64_e32 v[12:13], v[4:5], v[12:13]
	v_add_f64_e32 v[177:178], 0, v[179:180]
	v_add_f64_e32 v[179:180], 0, v[181:182]
	s_wait_loadcnt_dscnt 0x900
	v_mul_f64_e32 v[181:182], v[173:174], v[16:17]
	v_mul_f64_e32 v[16:17], v[175:176], v[16:17]
	v_fma_f64 v[183:184], v[4:5], v[10:11], v[183:184]
	v_fma_f64 v[185:186], v[2:3], v[10:11], -v[12:13]
	ds_load_b128 v[2:5], v1 offset:1280
	scratch_load_b128 v[10:13], off, off offset:480
	v_add_f64_e32 v[177:178], v[177:178], v[38:39]
	v_add_f64_e32 v[179:180], v[179:180], v[40:41]
	ds_load_b128 v[38:41], v1 offset:1296
	v_fma_f64 v[175:176], v[175:176], v[14:15], v[181:182]
	v_fma_f64 v[173:174], v[173:174], v[14:15], -v[16:17]
	scratch_load_b128 v[14:17], off, off offset:496
	s_wait_loadcnt_dscnt 0xa01
	v_mul_f64_e32 v[187:188], v[2:3], v[20:21]
	v_mul_f64_e32 v[20:21], v[4:5], v[20:21]
	s_wait_loadcnt_dscnt 0x900
	v_mul_f64_e32 v[181:182], v[38:39], v[24:25]
	v_mul_f64_e32 v[24:25], v[40:41], v[24:25]
	v_add_f64_e32 v[177:178], v[177:178], v[185:186]
	v_add_f64_e32 v[179:180], v[179:180], v[183:184]
	v_fma_f64 v[183:184], v[4:5], v[18:19], v[187:188]
	v_fma_f64 v[185:186], v[2:3], v[18:19], -v[20:21]
	ds_load_b128 v[2:5], v1 offset:1312
	scratch_load_b128 v[18:21], off, off offset:512
	v_fma_f64 v[40:41], v[40:41], v[22:23], v[181:182]
	v_fma_f64 v[38:39], v[38:39], v[22:23], -v[24:25]
	scratch_load_b128 v[22:25], off, off offset:528
	v_add_f64_e32 v[177:178], v[177:178], v[173:174]
	v_add_f64_e32 v[179:180], v[179:180], v[175:176]
	ds_load_b128 v[173:176], v1 offset:1328
	s_wait_loadcnt_dscnt 0xa01
	v_mul_f64_e32 v[187:188], v[2:3], v[28:29]
	v_mul_f64_e32 v[28:29], v[4:5], v[28:29]
	s_wait_loadcnt_dscnt 0x900
	v_mul_f64_e32 v[181:182], v[173:174], v[32:33]
	v_mul_f64_e32 v[32:33], v[175:176], v[32:33]
	v_add_f64_e32 v[177:178], v[177:178], v[185:186]
	v_add_f64_e32 v[179:180], v[179:180], v[183:184]
	v_fma_f64 v[183:184], v[4:5], v[26:27], v[187:188]
	v_fma_f64 v[185:186], v[2:3], v[26:27], -v[28:29]
	ds_load_b128 v[2:5], v1 offset:1344
	scratch_load_b128 v[26:29], off, off offset:544
	v_fma_f64 v[175:176], v[175:176], v[30:31], v[181:182]
	v_fma_f64 v[173:174], v[173:174], v[30:31], -v[32:33]
	scratch_load_b128 v[30:33], off, off offset:560
	v_add_f64_e32 v[177:178], v[177:178], v[38:39]
	v_add_f64_e32 v[179:180], v[179:180], v[40:41]
	ds_load_b128 v[38:41], v1 offset:1360
	s_wait_loadcnt_dscnt 0xa01
	v_mul_f64_e32 v[187:188], v[2:3], v[36:37]
	v_mul_f64_e32 v[36:37], v[4:5], v[36:37]
	s_wait_loadcnt_dscnt 0x800
	v_mul_f64_e32 v[181:182], v[38:39], v[171:172]
	v_add_f64_e32 v[177:178], v[177:178], v[185:186]
	v_add_f64_e32 v[179:180], v[179:180], v[183:184]
	v_mul_f64_e32 v[183:184], v[40:41], v[171:172]
	v_fma_f64 v[185:186], v[4:5], v[34:35], v[187:188]
	v_fma_f64 v[187:188], v[2:3], v[34:35], -v[36:37]
	ds_load_b128 v[2:5], v1 offset:1376
	scratch_load_b128 v[34:37], off, off offset:576
	v_fma_f64 v[181:182], v[40:41], v[169:170], v[181:182]
	v_add_f64_e32 v[177:178], v[177:178], v[173:174]
	v_add_f64_e32 v[175:176], v[179:180], v[175:176]
	ds_load_b128 v[171:174], v1 offset:1392
	v_fma_f64 v[169:170], v[38:39], v[169:170], -v[183:184]
	scratch_load_b128 v[38:41], off, off offset:592
	s_wait_loadcnt_dscnt 0x901
	v_mul_f64_e32 v[179:180], v[2:3], v[44:45]
	v_mul_f64_e32 v[44:45], v[4:5], v[44:45]
	s_wait_loadcnt_dscnt 0x800
	v_mul_f64_e32 v[183:184], v[171:172], v[8:9]
	v_mul_f64_e32 v[8:9], v[173:174], v[8:9]
	v_add_f64_e32 v[177:178], v[177:178], v[187:188]
	v_add_f64_e32 v[175:176], v[175:176], v[185:186]
	v_fma_f64 v[179:180], v[4:5], v[42:43], v[179:180]
	v_fma_f64 v[185:186], v[2:3], v[42:43], -v[44:45]
	ds_load_b128 v[2:5], v1 offset:1408
	scratch_load_b128 v[42:45], off, off offset:608
	v_fma_f64 v[173:174], v[173:174], v[6:7], v[183:184]
	v_fma_f64 v[171:172], v[171:172], v[6:7], -v[8:9]
	scratch_load_b128 v[6:9], off, off offset:624
	v_add_f64_e32 v[169:170], v[177:178], v[169:170]
	v_add_f64_e32 v[181:182], v[175:176], v[181:182]
	ds_load_b128 v[175:178], v1 offset:1424
	s_wait_loadcnt_dscnt 0x901
	v_mul_f64_e32 v[187:188], v[2:3], v[12:13]
	v_mul_f64_e32 v[12:13], v[4:5], v[12:13]
	v_add_f64_e32 v[169:170], v[169:170], v[185:186]
	v_add_f64_e32 v[179:180], v[181:182], v[179:180]
	s_wait_loadcnt_dscnt 0x800
	v_mul_f64_e32 v[181:182], v[175:176], v[16:17]
	v_mul_f64_e32 v[16:17], v[177:178], v[16:17]
	v_fma_f64 v[183:184], v[4:5], v[10:11], v[187:188]
	v_fma_f64 v[185:186], v[2:3], v[10:11], -v[12:13]
	ds_load_b128 v[2:5], v1 offset:1440
	scratch_load_b128 v[10:13], off, off offset:640
	v_add_f64_e32 v[187:188], v[169:170], v[171:172]
	v_add_f64_e32 v[173:174], v[179:180], v[173:174]
	ds_load_b128 v[169:172], v1 offset:1456
	s_wait_loadcnt_dscnt 0x801
	v_mul_f64_e32 v[179:180], v[2:3], v[20:21]
	v_mul_f64_e32 v[20:21], v[4:5], v[20:21]
	v_fma_f64 v[177:178], v[177:178], v[14:15], v[181:182]
	v_fma_f64 v[175:176], v[175:176], v[14:15], -v[16:17]
	scratch_load_b128 v[14:17], off, off offset:656
	v_add_f64_e32 v[181:182], v[187:188], v[185:186]
	v_add_f64_e32 v[173:174], v[173:174], v[183:184]
	s_wait_loadcnt_dscnt 0x800
	v_mul_f64_e32 v[183:184], v[169:170], v[24:25]
	v_mul_f64_e32 v[24:25], v[171:172], v[24:25]
	v_fma_f64 v[179:180], v[4:5], v[18:19], v[179:180]
	v_fma_f64 v[185:186], v[2:3], v[18:19], -v[20:21]
	ds_load_b128 v[2:5], v1 offset:1472
	scratch_load_b128 v[18:21], off, off offset:672
	v_add_f64_e32 v[181:182], v[181:182], v[175:176]
	v_add_f64_e32 v[177:178], v[173:174], v[177:178]
	ds_load_b128 v[173:176], v1 offset:1488
	s_wait_loadcnt_dscnt 0x801
	v_mul_f64_e32 v[187:188], v[2:3], v[28:29]
	v_mul_f64_e32 v[28:29], v[4:5], v[28:29]
	v_fma_f64 v[171:172], v[171:172], v[22:23], v[183:184]
	v_fma_f64 v[169:170], v[169:170], v[22:23], -v[24:25]
	scratch_load_b128 v[22:25], off, off offset:688
	;; [unrolled: 18-line block ×4, first 2 shown]
	s_wait_loadcnt_dscnt 0x800
	v_mul_f64_e32 v[181:182], v[173:174], v[8:9]
	v_mul_f64_e32 v[8:9], v[175:176], v[8:9]
	v_add_f64_e32 v[179:180], v[179:180], v[185:186]
	v_add_f64_e32 v[177:178], v[177:178], v[183:184]
	v_fma_f64 v[183:184], v[4:5], v[42:43], v[187:188]
	v_fma_f64 v[185:186], v[2:3], v[42:43], -v[44:45]
	ds_load_b128 v[2:5], v1 offset:1568
	scratch_load_b128 v[42:45], off, off offset:768
	v_fma_f64 v[175:176], v[175:176], v[6:7], v[181:182]
	v_fma_f64 v[173:174], v[173:174], v[6:7], -v[8:9]
	scratch_load_b128 v[6:9], off, off offset:784
	v_add_f64_e32 v[179:180], v[179:180], v[169:170]
	v_add_f64_e32 v[177:178], v[177:178], v[171:172]
	ds_load_b128 v[169:172], v1 offset:1584
	s_wait_loadcnt_dscnt 0x901
	v_mul_f64_e32 v[187:188], v[2:3], v[12:13]
	v_mul_f64_e32 v[12:13], v[4:5], v[12:13]
	s_wait_loadcnt_dscnt 0x800
	v_mul_f64_e32 v[181:182], v[169:170], v[16:17]
	v_mul_f64_e32 v[16:17], v[171:172], v[16:17]
	v_add_f64_e32 v[179:180], v[179:180], v[185:186]
	v_add_f64_e32 v[177:178], v[177:178], v[183:184]
	v_fma_f64 v[183:184], v[4:5], v[10:11], v[187:188]
	v_fma_f64 v[185:186], v[2:3], v[10:11], -v[12:13]
	ds_load_b128 v[2:5], v1 offset:1600
	scratch_load_b128 v[10:13], off, off offset:800
	v_fma_f64 v[171:172], v[171:172], v[14:15], v[181:182]
	v_fma_f64 v[169:170], v[169:170], v[14:15], -v[16:17]
	scratch_load_b128 v[14:17], off, off offset:816
	v_add_f64_e32 v[179:180], v[179:180], v[173:174]
	v_add_f64_e32 v[177:178], v[177:178], v[175:176]
	ds_load_b128 v[173:176], v1 offset:1616
	s_wait_loadcnt_dscnt 0x901
	v_mul_f64_e32 v[187:188], v[2:3], v[20:21]
	v_mul_f64_e32 v[20:21], v[4:5], v[20:21]
	;; [unrolled: 18-line block ×6, first 2 shown]
	s_wait_loadcnt_dscnt 0x800
	v_mul_f64_e32 v[181:182], v[173:174], v[16:17]
	v_mul_f64_e32 v[16:17], v[175:176], v[16:17]
	v_add_f64_e32 v[179:180], v[179:180], v[185:186]
	v_add_f64_e32 v[177:178], v[177:178], v[183:184]
	v_fma_f64 v[183:184], v[4:5], v[10:11], v[187:188]
	v_fma_f64 v[185:186], v[2:3], v[10:11], -v[12:13]
	ds_load_b128 v[2:5], v1 offset:1760
	ds_load_b128 v[10:13], v1 offset:1776
	v_fma_f64 v[175:176], v[175:176], v[14:15], v[181:182]
	v_fma_f64 v[14:15], v[173:174], v[14:15], -v[16:17]
	v_add_f64_e32 v[169:170], v[179:180], v[169:170]
	v_add_f64_e32 v[171:172], v[177:178], v[171:172]
	s_wait_loadcnt_dscnt 0x701
	v_mul_f64_e32 v[177:178], v[2:3], v[20:21]
	v_mul_f64_e32 v[20:21], v[4:5], v[20:21]
	s_delay_alu instid0(VALU_DEP_4) | instskip(NEXT) | instid1(VALU_DEP_4)
	v_add_f64_e32 v[16:17], v[169:170], v[185:186]
	v_add_f64_e32 v[169:170], v[171:172], v[183:184]
	s_wait_loadcnt_dscnt 0x600
	v_mul_f64_e32 v[171:172], v[10:11], v[24:25]
	v_mul_f64_e32 v[24:25], v[12:13], v[24:25]
	v_fma_f64 v[173:174], v[4:5], v[18:19], v[177:178]
	v_fma_f64 v[18:19], v[2:3], v[18:19], -v[20:21]
	v_add_f64_e32 v[20:21], v[16:17], v[14:15]
	v_add_f64_e32 v[169:170], v[169:170], v[175:176]
	ds_load_b128 v[2:5], v1 offset:1792
	ds_load_b128 v[14:17], v1 offset:1808
	v_fma_f64 v[12:13], v[12:13], v[22:23], v[171:172]
	v_fma_f64 v[10:11], v[10:11], v[22:23], -v[24:25]
	s_wait_loadcnt_dscnt 0x501
	v_mul_f64_e32 v[175:176], v[2:3], v[28:29]
	v_mul_f64_e32 v[28:29], v[4:5], v[28:29]
	s_wait_loadcnt_dscnt 0x400
	v_mul_f64_e32 v[22:23], v[14:15], v[32:33]
	v_mul_f64_e32 v[24:25], v[16:17], v[32:33]
	v_add_f64_e32 v[18:19], v[20:21], v[18:19]
	v_add_f64_e32 v[20:21], v[169:170], v[173:174]
	v_fma_f64 v[32:33], v[4:5], v[26:27], v[175:176]
	v_fma_f64 v[26:27], v[2:3], v[26:27], -v[28:29]
	v_fma_f64 v[16:17], v[16:17], v[30:31], v[22:23]
	v_fma_f64 v[14:15], v[14:15], v[30:31], -v[24:25]
	v_add_f64_e32 v[18:19], v[18:19], v[10:11]
	v_add_f64_e32 v[20:21], v[20:21], v[12:13]
	ds_load_b128 v[2:5], v1 offset:1824
	ds_load_b128 v[10:13], v1 offset:1840
	s_wait_loadcnt_dscnt 0x301
	v_mul_f64_e32 v[28:29], v[2:3], v[36:37]
	v_mul_f64_e32 v[36:37], v[4:5], v[36:37]
	s_wait_loadcnt_dscnt 0x200
	v_mul_f64_e32 v[22:23], v[10:11], v[40:41]
	v_mul_f64_e32 v[24:25], v[12:13], v[40:41]
	v_add_f64_e32 v[18:19], v[18:19], v[26:27]
	v_add_f64_e32 v[20:21], v[20:21], v[32:33]
	v_fma_f64 v[26:27], v[4:5], v[34:35], v[28:29]
	v_fma_f64 v[28:29], v[2:3], v[34:35], -v[36:37]
	v_fma_f64 v[12:13], v[12:13], v[38:39], v[22:23]
	v_fma_f64 v[10:11], v[10:11], v[38:39], -v[24:25]
	v_add_f64_e32 v[18:19], v[18:19], v[14:15]
	v_add_f64_e32 v[20:21], v[20:21], v[16:17]
	ds_load_b128 v[2:5], v1 offset:1856
	ds_load_b128 v[14:17], v1 offset:1872
	s_wait_loadcnt_dscnt 0x101
	v_mul_f64_e32 v[30:31], v[2:3], v[44:45]
	v_mul_f64_e32 v[32:33], v[4:5], v[44:45]
	s_wait_loadcnt_dscnt 0x0
	v_mul_f64_e32 v[22:23], v[14:15], v[8:9]
	v_mul_f64_e32 v[8:9], v[16:17], v[8:9]
	v_add_f64_e32 v[18:19], v[18:19], v[28:29]
	v_add_f64_e32 v[20:21], v[20:21], v[26:27]
	v_fma_f64 v[4:5], v[4:5], v[42:43], v[30:31]
	v_fma_f64 v[1:2], v[2:3], v[42:43], -v[32:33]
	v_fma_f64 v[16:17], v[16:17], v[6:7], v[22:23]
	v_fma_f64 v[6:7], v[14:15], v[6:7], -v[8:9]
	v_add_f64_e32 v[10:11], v[18:19], v[10:11]
	v_add_f64_e32 v[12:13], v[20:21], v[12:13]
	s_delay_alu instid0(VALU_DEP_2) | instskip(NEXT) | instid1(VALU_DEP_2)
	v_add_f64_e32 v[1:2], v[10:11], v[1:2]
	v_add_f64_e32 v[3:4], v[12:13], v[4:5]
	s_delay_alu instid0(VALU_DEP_2) | instskip(NEXT) | instid1(VALU_DEP_2)
	;; [unrolled: 3-line block ×3, first 2 shown]
	v_add_f64_e64 v[1:2], v[165:166], -v[1:2]
	v_add_f64_e64 v[3:4], v[167:168], -v[3:4]
	scratch_store_b128 off, v[1:4], off offset:272
	v_cmpx_lt_u32_e32 15, v0
	s_cbranch_execz .LBB122_337
; %bb.336:
	scratch_load_b128 v[1:4], off, s57
	v_mov_b32_e32 v5, 0
	s_delay_alu instid0(VALU_DEP_1)
	v_dual_mov_b32 v6, v5 :: v_dual_mov_b32 v7, v5
	v_mov_b32_e32 v8, v5
	scratch_store_b128 off, v[5:8], off offset:256
	s_wait_loadcnt 0x0
	ds_store_b128 v164, v[1:4]
.LBB122_337:
	s_wait_alu 0xfffe
	s_or_b32 exec_lo, exec_lo, s0
	s_wait_storecnt_dscnt 0x0
	s_barrier_signal -1
	s_barrier_wait -1
	global_inv scope:SCOPE_SE
	s_clause 0x7
	scratch_load_b128 v[2:5], off, off offset:272
	scratch_load_b128 v[6:9], off, off offset:288
	;; [unrolled: 1-line block ×8, first 2 shown]
	v_mov_b32_e32 v1, 0
	s_mov_b32 s0, exec_lo
	ds_load_b128 v[38:41], v1 offset:1200
	s_clause 0x1
	scratch_load_b128 v[34:37], off, off offset:400
	scratch_load_b128 v[42:45], off, off offset:256
	ds_load_b128 v[165:168], v1 offset:1216
	scratch_load_b128 v[169:172], off, off offset:416
	s_wait_loadcnt_dscnt 0xa01
	v_mul_f64_e32 v[173:174], v[40:41], v[4:5]
	v_mul_f64_e32 v[4:5], v[38:39], v[4:5]
	s_delay_alu instid0(VALU_DEP_2) | instskip(NEXT) | instid1(VALU_DEP_2)
	v_fma_f64 v[179:180], v[38:39], v[2:3], -v[173:174]
	v_fma_f64 v[181:182], v[40:41], v[2:3], v[4:5]
	ds_load_b128 v[2:5], v1 offset:1232
	s_wait_loadcnt_dscnt 0x901
	v_mul_f64_e32 v[177:178], v[165:166], v[8:9]
	v_mul_f64_e32 v[8:9], v[167:168], v[8:9]
	scratch_load_b128 v[38:41], off, off offset:432
	ds_load_b128 v[173:176], v1 offset:1248
	s_wait_loadcnt_dscnt 0x901
	v_mul_f64_e32 v[183:184], v[2:3], v[12:13]
	v_mul_f64_e32 v[12:13], v[4:5], v[12:13]
	v_fma_f64 v[167:168], v[167:168], v[6:7], v[177:178]
	v_fma_f64 v[165:166], v[165:166], v[6:7], -v[8:9]
	v_add_f64_e32 v[177:178], 0, v[179:180]
	v_add_f64_e32 v[179:180], 0, v[181:182]
	scratch_load_b128 v[6:9], off, off offset:448
	v_fma_f64 v[183:184], v[4:5], v[10:11], v[183:184]
	v_fma_f64 v[185:186], v[2:3], v[10:11], -v[12:13]
	ds_load_b128 v[2:5], v1 offset:1264
	s_wait_loadcnt_dscnt 0x901
	v_mul_f64_e32 v[181:182], v[173:174], v[16:17]
	v_mul_f64_e32 v[16:17], v[175:176], v[16:17]
	scratch_load_b128 v[10:13], off, off offset:464
	v_add_f64_e32 v[177:178], v[177:178], v[165:166]
	v_add_f64_e32 v[179:180], v[179:180], v[167:168]
	s_wait_loadcnt_dscnt 0x900
	v_mul_f64_e32 v[187:188], v[2:3], v[20:21]
	v_mul_f64_e32 v[20:21], v[4:5], v[20:21]
	ds_load_b128 v[165:168], v1 offset:1280
	v_fma_f64 v[175:176], v[175:176], v[14:15], v[181:182]
	v_fma_f64 v[173:174], v[173:174], v[14:15], -v[16:17]
	scratch_load_b128 v[14:17], off, off offset:480
	v_add_f64_e32 v[177:178], v[177:178], v[185:186]
	v_add_f64_e32 v[179:180], v[179:180], v[183:184]
	v_fma_f64 v[183:184], v[4:5], v[18:19], v[187:188]
	v_fma_f64 v[185:186], v[2:3], v[18:19], -v[20:21]
	ds_load_b128 v[2:5], v1 offset:1296
	s_wait_loadcnt_dscnt 0x901
	v_mul_f64_e32 v[181:182], v[165:166], v[24:25]
	v_mul_f64_e32 v[24:25], v[167:168], v[24:25]
	scratch_load_b128 v[18:21], off, off offset:496
	s_wait_loadcnt_dscnt 0x900
	v_mul_f64_e32 v[187:188], v[2:3], v[28:29]
	v_mul_f64_e32 v[28:29], v[4:5], v[28:29]
	v_add_f64_e32 v[177:178], v[177:178], v[173:174]
	v_add_f64_e32 v[179:180], v[179:180], v[175:176]
	ds_load_b128 v[173:176], v1 offset:1312
	v_fma_f64 v[167:168], v[167:168], v[22:23], v[181:182]
	v_fma_f64 v[165:166], v[165:166], v[22:23], -v[24:25]
	scratch_load_b128 v[22:25], off, off offset:512
	v_add_f64_e32 v[177:178], v[177:178], v[185:186]
	v_add_f64_e32 v[179:180], v[179:180], v[183:184]
	v_fma_f64 v[183:184], v[4:5], v[26:27], v[187:188]
	v_fma_f64 v[185:186], v[2:3], v[26:27], -v[28:29]
	ds_load_b128 v[2:5], v1 offset:1328
	s_wait_loadcnt_dscnt 0x901
	v_mul_f64_e32 v[181:182], v[173:174], v[32:33]
	v_mul_f64_e32 v[32:33], v[175:176], v[32:33]
	scratch_load_b128 v[26:29], off, off offset:528
	s_wait_loadcnt_dscnt 0x900
	v_mul_f64_e32 v[187:188], v[2:3], v[36:37]
	v_mul_f64_e32 v[36:37], v[4:5], v[36:37]
	v_add_f64_e32 v[177:178], v[177:178], v[165:166]
	v_add_f64_e32 v[179:180], v[179:180], v[167:168]
	ds_load_b128 v[165:168], v1 offset:1344
	v_fma_f64 v[175:176], v[175:176], v[30:31], v[181:182]
	v_fma_f64 v[173:174], v[173:174], v[30:31], -v[32:33]
	scratch_load_b128 v[30:33], off, off offset:544
	v_add_f64_e32 v[177:178], v[177:178], v[185:186]
	v_add_f64_e32 v[179:180], v[179:180], v[183:184]
	v_fma_f64 v[185:186], v[4:5], v[34:35], v[187:188]
	v_fma_f64 v[187:188], v[2:3], v[34:35], -v[36:37]
	ds_load_b128 v[2:5], v1 offset:1360
	s_wait_loadcnt_dscnt 0x801
	v_mul_f64_e32 v[181:182], v[165:166], v[171:172]
	v_mul_f64_e32 v[183:184], v[167:168], v[171:172]
	scratch_load_b128 v[34:37], off, off offset:560
	v_add_f64_e32 v[177:178], v[177:178], v[173:174]
	v_add_f64_e32 v[175:176], v[179:180], v[175:176]
	ds_load_b128 v[171:174], v1 offset:1376
	v_fma_f64 v[181:182], v[167:168], v[169:170], v[181:182]
	v_fma_f64 v[169:170], v[165:166], v[169:170], -v[183:184]
	scratch_load_b128 v[165:168], off, off offset:576
	s_wait_loadcnt_dscnt 0x901
	v_mul_f64_e32 v[179:180], v[2:3], v[40:41]
	v_mul_f64_e32 v[40:41], v[4:5], v[40:41]
	v_add_f64_e32 v[177:178], v[177:178], v[187:188]
	v_add_f64_e32 v[175:176], v[175:176], v[185:186]
	s_delay_alu instid0(VALU_DEP_4) | instskip(NEXT) | instid1(VALU_DEP_4)
	v_fma_f64 v[179:180], v[4:5], v[38:39], v[179:180]
	v_fma_f64 v[185:186], v[2:3], v[38:39], -v[40:41]
	ds_load_b128 v[2:5], v1 offset:1392
	s_wait_loadcnt_dscnt 0x801
	v_mul_f64_e32 v[183:184], v[171:172], v[8:9]
	v_mul_f64_e32 v[8:9], v[173:174], v[8:9]
	scratch_load_b128 v[38:41], off, off offset:592
	s_wait_loadcnt_dscnt 0x800
	v_mul_f64_e32 v[187:188], v[2:3], v[12:13]
	v_add_f64_e32 v[169:170], v[177:178], v[169:170]
	v_add_f64_e32 v[181:182], v[175:176], v[181:182]
	v_mul_f64_e32 v[12:13], v[4:5], v[12:13]
	ds_load_b128 v[175:178], v1 offset:1408
	v_fma_f64 v[173:174], v[173:174], v[6:7], v[183:184]
	v_fma_f64 v[171:172], v[171:172], v[6:7], -v[8:9]
	scratch_load_b128 v[6:9], off, off offset:608
	v_fma_f64 v[183:184], v[4:5], v[10:11], v[187:188]
	v_add_f64_e32 v[169:170], v[169:170], v[185:186]
	v_add_f64_e32 v[179:180], v[181:182], v[179:180]
	v_fma_f64 v[185:186], v[2:3], v[10:11], -v[12:13]
	ds_load_b128 v[2:5], v1 offset:1424
	s_wait_loadcnt_dscnt 0x801
	v_mul_f64_e32 v[181:182], v[175:176], v[16:17]
	v_mul_f64_e32 v[16:17], v[177:178], v[16:17]
	scratch_load_b128 v[10:13], off, off offset:624
	v_add_f64_e32 v[187:188], v[169:170], v[171:172]
	v_add_f64_e32 v[173:174], v[179:180], v[173:174]
	s_wait_loadcnt_dscnt 0x800
	v_mul_f64_e32 v[179:180], v[2:3], v[20:21]
	v_mul_f64_e32 v[20:21], v[4:5], v[20:21]
	v_fma_f64 v[177:178], v[177:178], v[14:15], v[181:182]
	v_fma_f64 v[175:176], v[175:176], v[14:15], -v[16:17]
	ds_load_b128 v[169:172], v1 offset:1440
	scratch_load_b128 v[14:17], off, off offset:640
	v_add_f64_e32 v[181:182], v[187:188], v[185:186]
	v_add_f64_e32 v[173:174], v[173:174], v[183:184]
	v_fma_f64 v[179:180], v[4:5], v[18:19], v[179:180]
	v_fma_f64 v[185:186], v[2:3], v[18:19], -v[20:21]
	ds_load_b128 v[2:5], v1 offset:1456
	s_wait_loadcnt_dscnt 0x801
	v_mul_f64_e32 v[183:184], v[169:170], v[24:25]
	v_mul_f64_e32 v[24:25], v[171:172], v[24:25]
	scratch_load_b128 v[18:21], off, off offset:656
	s_wait_loadcnt_dscnt 0x800
	v_mul_f64_e32 v[187:188], v[2:3], v[28:29]
	v_mul_f64_e32 v[28:29], v[4:5], v[28:29]
	v_add_f64_e32 v[181:182], v[181:182], v[175:176]
	v_add_f64_e32 v[177:178], v[173:174], v[177:178]
	ds_load_b128 v[173:176], v1 offset:1472
	v_fma_f64 v[171:172], v[171:172], v[22:23], v[183:184]
	v_fma_f64 v[169:170], v[169:170], v[22:23], -v[24:25]
	scratch_load_b128 v[22:25], off, off offset:672
	v_fma_f64 v[183:184], v[4:5], v[26:27], v[187:188]
	v_add_f64_e32 v[181:182], v[181:182], v[185:186]
	v_add_f64_e32 v[177:178], v[177:178], v[179:180]
	v_fma_f64 v[185:186], v[2:3], v[26:27], -v[28:29]
	ds_load_b128 v[2:5], v1 offset:1488
	s_wait_loadcnt_dscnt 0x801
	v_mul_f64_e32 v[179:180], v[173:174], v[32:33]
	v_mul_f64_e32 v[32:33], v[175:176], v[32:33]
	scratch_load_b128 v[26:29], off, off offset:688
	s_wait_loadcnt_dscnt 0x800
	v_mul_f64_e32 v[187:188], v[2:3], v[36:37]
	v_mul_f64_e32 v[36:37], v[4:5], v[36:37]
	v_add_f64_e32 v[181:182], v[181:182], v[169:170]
	v_add_f64_e32 v[177:178], v[177:178], v[171:172]
	ds_load_b128 v[169:172], v1 offset:1504
	v_fma_f64 v[175:176], v[175:176], v[30:31], v[179:180]
	v_fma_f64 v[173:174], v[173:174], v[30:31], -v[32:33]
	scratch_load_b128 v[30:33], off, off offset:704
	v_add_f64_e32 v[179:180], v[181:182], v[185:186]
	v_add_f64_e32 v[177:178], v[177:178], v[183:184]
	v_fma_f64 v[183:184], v[4:5], v[34:35], v[187:188]
	v_fma_f64 v[185:186], v[2:3], v[34:35], -v[36:37]
	ds_load_b128 v[2:5], v1 offset:1520
	s_wait_loadcnt_dscnt 0x801
	v_mul_f64_e32 v[181:182], v[169:170], v[167:168]
	v_mul_f64_e32 v[167:168], v[171:172], v[167:168]
	scratch_load_b128 v[34:37], off, off offset:720
	s_wait_loadcnt_dscnt 0x800
	v_mul_f64_e32 v[187:188], v[2:3], v[40:41]
	v_mul_f64_e32 v[40:41], v[4:5], v[40:41]
	v_add_f64_e32 v[179:180], v[179:180], v[173:174]
	v_add_f64_e32 v[177:178], v[177:178], v[175:176]
	ds_load_b128 v[173:176], v1 offset:1536
	v_fma_f64 v[171:172], v[171:172], v[165:166], v[181:182]
	v_fma_f64 v[169:170], v[169:170], v[165:166], -v[167:168]
	scratch_load_b128 v[165:168], off, off offset:736
	v_add_f64_e32 v[179:180], v[179:180], v[185:186]
	v_add_f64_e32 v[177:178], v[177:178], v[183:184]
	v_fma_f64 v[183:184], v[4:5], v[38:39], v[187:188]
	;; [unrolled: 18-line block ×6, first 2 shown]
	v_fma_f64 v[187:188], v[2:3], v[34:35], -v[36:37]
	ds_load_b128 v[2:5], v1 offset:1680
	s_wait_loadcnt_dscnt 0x801
	v_mul_f64_e32 v[181:182], v[173:174], v[167:168]
	v_mul_f64_e32 v[183:184], v[175:176], v[167:168]
	scratch_load_b128 v[34:37], off, off offset:880
	v_add_f64_e32 v[179:180], v[179:180], v[169:170]
	v_add_f64_e32 v[171:172], v[177:178], v[171:172]
	s_wait_loadcnt_dscnt 0x800
	v_mul_f64_e32 v[177:178], v[2:3], v[40:41]
	v_mul_f64_e32 v[40:41], v[4:5], v[40:41]
	ds_load_b128 v[167:170], v1 offset:1696
	v_fma_f64 v[175:176], v[175:176], v[165:166], v[181:182]
	v_fma_f64 v[165:166], v[173:174], v[165:166], -v[183:184]
	v_add_f64_e32 v[179:180], v[179:180], v[187:188]
	v_add_f64_e32 v[181:182], v[171:172], v[185:186]
	scratch_load_b128 v[171:174], off, off offset:896
	v_fma_f64 v[185:186], v[4:5], v[38:39], v[177:178]
	v_fma_f64 v[187:188], v[2:3], v[38:39], -v[40:41]
	ds_load_b128 v[2:5], v1 offset:1712
	s_wait_loadcnt_dscnt 0x801
	v_mul_f64_e32 v[183:184], v[167:168], v[8:9]
	v_mul_f64_e32 v[8:9], v[169:170], v[8:9]
	scratch_load_b128 v[38:41], off, off offset:912
	v_add_f64_e32 v[165:166], v[179:180], v[165:166]
	v_add_f64_e32 v[179:180], v[181:182], v[175:176]
	s_wait_loadcnt_dscnt 0x800
	v_mul_f64_e32 v[181:182], v[2:3], v[12:13]
	v_mul_f64_e32 v[12:13], v[4:5], v[12:13]
	ds_load_b128 v[175:178], v1 offset:1728
	v_fma_f64 v[169:170], v[169:170], v[6:7], v[183:184]
	v_fma_f64 v[167:168], v[167:168], v[6:7], -v[8:9]
	scratch_load_b128 v[6:9], off, off offset:928
	v_add_f64_e32 v[165:166], v[165:166], v[187:188]
	v_add_f64_e32 v[179:180], v[179:180], v[185:186]
	v_fma_f64 v[181:182], v[4:5], v[10:11], v[181:182]
	v_fma_f64 v[185:186], v[2:3], v[10:11], -v[12:13]
	ds_load_b128 v[2:5], v1 offset:1744
	s_wait_loadcnt_dscnt 0x801
	v_mul_f64_e32 v[183:184], v[175:176], v[16:17]
	v_mul_f64_e32 v[16:17], v[177:178], v[16:17]
	scratch_load_b128 v[10:13], off, off offset:944
	v_add_f64_e32 v[187:188], v[165:166], v[167:168]
	v_add_f64_e32 v[169:170], v[179:180], v[169:170]
	s_wait_loadcnt_dscnt 0x800
	v_mul_f64_e32 v[179:180], v[2:3], v[20:21]
	v_mul_f64_e32 v[20:21], v[4:5], v[20:21]
	ds_load_b128 v[165:168], v1 offset:1760
	v_fma_f64 v[177:178], v[177:178], v[14:15], v[183:184]
	v_fma_f64 v[14:15], v[175:176], v[14:15], -v[16:17]
	s_wait_loadcnt_dscnt 0x700
	v_mul_f64_e32 v[175:176], v[165:166], v[24:25]
	v_mul_f64_e32 v[24:25], v[167:168], v[24:25]
	v_add_f64_e32 v[16:17], v[187:188], v[185:186]
	v_add_f64_e32 v[169:170], v[169:170], v[181:182]
	v_fma_f64 v[179:180], v[4:5], v[18:19], v[179:180]
	v_fma_f64 v[18:19], v[2:3], v[18:19], -v[20:21]
	v_fma_f64 v[167:168], v[167:168], v[22:23], v[175:176]
	v_fma_f64 v[22:23], v[165:166], v[22:23], -v[24:25]
	v_add_f64_e32 v[20:21], v[16:17], v[14:15]
	v_add_f64_e32 v[169:170], v[169:170], v[177:178]
	ds_load_b128 v[2:5], v1 offset:1776
	ds_load_b128 v[14:17], v1 offset:1792
	s_wait_loadcnt_dscnt 0x601
	v_mul_f64_e32 v[177:178], v[2:3], v[28:29]
	v_mul_f64_e32 v[28:29], v[4:5], v[28:29]
	s_wait_loadcnt_dscnt 0x500
	v_mul_f64_e32 v[24:25], v[14:15], v[32:33]
	v_mul_f64_e32 v[32:33], v[16:17], v[32:33]
	v_add_f64_e32 v[18:19], v[20:21], v[18:19]
	v_add_f64_e32 v[20:21], v[169:170], v[179:180]
	v_fma_f64 v[165:166], v[4:5], v[26:27], v[177:178]
	v_fma_f64 v[26:27], v[2:3], v[26:27], -v[28:29]
	v_fma_f64 v[16:17], v[16:17], v[30:31], v[24:25]
	v_fma_f64 v[14:15], v[14:15], v[30:31], -v[32:33]
	v_add_f64_e32 v[22:23], v[18:19], v[22:23]
	v_add_f64_e32 v[28:29], v[20:21], v[167:168]
	ds_load_b128 v[2:5], v1 offset:1808
	ds_load_b128 v[18:21], v1 offset:1824
	s_wait_loadcnt_dscnt 0x401
	v_mul_f64_e32 v[167:168], v[2:3], v[36:37]
	v_mul_f64_e32 v[36:37], v[4:5], v[36:37]
	v_add_f64_e32 v[22:23], v[22:23], v[26:27]
	v_add_f64_e32 v[24:25], v[28:29], v[165:166]
	s_wait_loadcnt_dscnt 0x300
	v_mul_f64_e32 v[26:27], v[18:19], v[173:174]
	v_mul_f64_e32 v[28:29], v[20:21], v[173:174]
	v_fma_f64 v[30:31], v[4:5], v[34:35], v[167:168]
	v_fma_f64 v[32:33], v[2:3], v[34:35], -v[36:37]
	v_add_f64_e32 v[22:23], v[22:23], v[14:15]
	v_add_f64_e32 v[24:25], v[24:25], v[16:17]
	ds_load_b128 v[2:5], v1 offset:1840
	ds_load_b128 v[14:17], v1 offset:1856
	v_fma_f64 v[20:21], v[20:21], v[171:172], v[26:27]
	v_fma_f64 v[18:19], v[18:19], v[171:172], -v[28:29]
	s_wait_loadcnt_dscnt 0x201
	v_mul_f64_e32 v[34:35], v[2:3], v[40:41]
	v_mul_f64_e32 v[36:37], v[4:5], v[40:41]
	s_wait_loadcnt_dscnt 0x100
	v_mul_f64_e32 v[26:27], v[14:15], v[8:9]
	v_mul_f64_e32 v[8:9], v[16:17], v[8:9]
	v_add_f64_e32 v[22:23], v[22:23], v[32:33]
	v_add_f64_e32 v[24:25], v[24:25], v[30:31]
	v_fma_f64 v[28:29], v[4:5], v[38:39], v[34:35]
	v_fma_f64 v[30:31], v[2:3], v[38:39], -v[36:37]
	ds_load_b128 v[2:5], v1 offset:1872
	v_fma_f64 v[16:17], v[16:17], v[6:7], v[26:27]
	v_fma_f64 v[6:7], v[14:15], v[6:7], -v[8:9]
	v_add_f64_e32 v[18:19], v[22:23], v[18:19]
	v_add_f64_e32 v[20:21], v[24:25], v[20:21]
	s_wait_loadcnt_dscnt 0x0
	v_mul_f64_e32 v[22:23], v[2:3], v[12:13]
	v_mul_f64_e32 v[12:13], v[4:5], v[12:13]
	s_delay_alu instid0(VALU_DEP_4) | instskip(NEXT) | instid1(VALU_DEP_4)
	v_add_f64_e32 v[8:9], v[18:19], v[30:31]
	v_add_f64_e32 v[14:15], v[20:21], v[28:29]
	s_delay_alu instid0(VALU_DEP_4) | instskip(NEXT) | instid1(VALU_DEP_4)
	v_fma_f64 v[4:5], v[4:5], v[10:11], v[22:23]
	v_fma_f64 v[2:3], v[2:3], v[10:11], -v[12:13]
	s_delay_alu instid0(VALU_DEP_4) | instskip(NEXT) | instid1(VALU_DEP_4)
	v_add_f64_e32 v[6:7], v[8:9], v[6:7]
	v_add_f64_e32 v[8:9], v[14:15], v[16:17]
	s_delay_alu instid0(VALU_DEP_2) | instskip(NEXT) | instid1(VALU_DEP_2)
	v_add_f64_e32 v[2:3], v[6:7], v[2:3]
	v_add_f64_e32 v[4:5], v[8:9], v[4:5]
	s_delay_alu instid0(VALU_DEP_2) | instskip(NEXT) | instid1(VALU_DEP_2)
	v_add_f64_e64 v[2:3], v[42:43], -v[2:3]
	v_add_f64_e64 v[4:5], v[44:45], -v[4:5]
	scratch_store_b128 off, v[2:5], off offset:256
	v_cmpx_lt_u32_e32 14, v0
	s_cbranch_execz .LBB122_339
; %bb.338:
	scratch_load_b128 v[5:8], off, s58
	v_dual_mov_b32 v2, v1 :: v_dual_mov_b32 v3, v1
	v_mov_b32_e32 v4, v1
	scratch_store_b128 off, v[1:4], off offset:240
	s_wait_loadcnt 0x0
	ds_store_b128 v164, v[5:8]
.LBB122_339:
	s_wait_alu 0xfffe
	s_or_b32 exec_lo, exec_lo, s0
	s_wait_storecnt_dscnt 0x0
	s_barrier_signal -1
	s_barrier_wait -1
	global_inv scope:SCOPE_SE
	s_clause 0x8
	scratch_load_b128 v[2:5], off, off offset:256
	scratch_load_b128 v[6:9], off, off offset:272
	;; [unrolled: 1-line block ×9, first 2 shown]
	ds_load_b128 v[42:45], v1 offset:1184
	ds_load_b128 v[38:41], v1 offset:1200
	s_clause 0x1
	scratch_load_b128 v[165:168], off, off offset:240
	scratch_load_b128 v[169:172], off, off offset:400
	s_mov_b32 s0, exec_lo
	s_wait_loadcnt_dscnt 0xa01
	v_mul_f64_e32 v[173:174], v[44:45], v[4:5]
	v_mul_f64_e32 v[4:5], v[42:43], v[4:5]
	s_wait_loadcnt_dscnt 0x900
	v_mul_f64_e32 v[177:178], v[38:39], v[8:9]
	v_mul_f64_e32 v[8:9], v[40:41], v[8:9]
	s_delay_alu instid0(VALU_DEP_4) | instskip(NEXT) | instid1(VALU_DEP_4)
	v_fma_f64 v[179:180], v[42:43], v[2:3], -v[173:174]
	v_fma_f64 v[181:182], v[44:45], v[2:3], v[4:5]
	ds_load_b128 v[2:5], v1 offset:1216
	ds_load_b128 v[173:176], v1 offset:1232
	scratch_load_b128 v[42:45], off, off offset:416
	v_fma_f64 v[40:41], v[40:41], v[6:7], v[177:178]
	v_fma_f64 v[38:39], v[38:39], v[6:7], -v[8:9]
	scratch_load_b128 v[6:9], off, off offset:432
	s_wait_loadcnt_dscnt 0xa01
	v_mul_f64_e32 v[183:184], v[2:3], v[12:13]
	v_mul_f64_e32 v[12:13], v[4:5], v[12:13]
	v_add_f64_e32 v[177:178], 0, v[179:180]
	v_add_f64_e32 v[179:180], 0, v[181:182]
	s_wait_loadcnt_dscnt 0x900
	v_mul_f64_e32 v[181:182], v[173:174], v[16:17]
	v_mul_f64_e32 v[16:17], v[175:176], v[16:17]
	v_fma_f64 v[183:184], v[4:5], v[10:11], v[183:184]
	v_fma_f64 v[185:186], v[2:3], v[10:11], -v[12:13]
	ds_load_b128 v[2:5], v1 offset:1248
	scratch_load_b128 v[10:13], off, off offset:448
	v_add_f64_e32 v[177:178], v[177:178], v[38:39]
	v_add_f64_e32 v[179:180], v[179:180], v[40:41]
	ds_load_b128 v[38:41], v1 offset:1264
	v_fma_f64 v[175:176], v[175:176], v[14:15], v[181:182]
	v_fma_f64 v[173:174], v[173:174], v[14:15], -v[16:17]
	scratch_load_b128 v[14:17], off, off offset:464
	s_wait_loadcnt_dscnt 0xa01
	v_mul_f64_e32 v[187:188], v[2:3], v[20:21]
	v_mul_f64_e32 v[20:21], v[4:5], v[20:21]
	s_wait_loadcnt_dscnt 0x900
	v_mul_f64_e32 v[181:182], v[38:39], v[24:25]
	v_mul_f64_e32 v[24:25], v[40:41], v[24:25]
	v_add_f64_e32 v[177:178], v[177:178], v[185:186]
	v_add_f64_e32 v[179:180], v[179:180], v[183:184]
	v_fma_f64 v[183:184], v[4:5], v[18:19], v[187:188]
	v_fma_f64 v[185:186], v[2:3], v[18:19], -v[20:21]
	ds_load_b128 v[2:5], v1 offset:1280
	scratch_load_b128 v[18:21], off, off offset:480
	v_fma_f64 v[40:41], v[40:41], v[22:23], v[181:182]
	v_fma_f64 v[38:39], v[38:39], v[22:23], -v[24:25]
	scratch_load_b128 v[22:25], off, off offset:496
	v_add_f64_e32 v[177:178], v[177:178], v[173:174]
	v_add_f64_e32 v[179:180], v[179:180], v[175:176]
	ds_load_b128 v[173:176], v1 offset:1296
	s_wait_loadcnt_dscnt 0xa01
	v_mul_f64_e32 v[187:188], v[2:3], v[28:29]
	v_mul_f64_e32 v[28:29], v[4:5], v[28:29]
	s_wait_loadcnt_dscnt 0x900
	v_mul_f64_e32 v[181:182], v[173:174], v[32:33]
	v_mul_f64_e32 v[32:33], v[175:176], v[32:33]
	v_add_f64_e32 v[177:178], v[177:178], v[185:186]
	v_add_f64_e32 v[179:180], v[179:180], v[183:184]
	v_fma_f64 v[183:184], v[4:5], v[26:27], v[187:188]
	v_fma_f64 v[185:186], v[2:3], v[26:27], -v[28:29]
	ds_load_b128 v[2:5], v1 offset:1312
	scratch_load_b128 v[26:29], off, off offset:512
	v_fma_f64 v[175:176], v[175:176], v[30:31], v[181:182]
	v_fma_f64 v[173:174], v[173:174], v[30:31], -v[32:33]
	scratch_load_b128 v[30:33], off, off offset:528
	v_add_f64_e32 v[177:178], v[177:178], v[38:39]
	v_add_f64_e32 v[179:180], v[179:180], v[40:41]
	ds_load_b128 v[38:41], v1 offset:1328
	s_wait_loadcnt_dscnt 0xa01
	v_mul_f64_e32 v[187:188], v[2:3], v[36:37]
	v_mul_f64_e32 v[36:37], v[4:5], v[36:37]
	s_wait_loadcnt_dscnt 0x800
	v_mul_f64_e32 v[181:182], v[38:39], v[171:172]
	v_add_f64_e32 v[177:178], v[177:178], v[185:186]
	v_add_f64_e32 v[179:180], v[179:180], v[183:184]
	v_mul_f64_e32 v[183:184], v[40:41], v[171:172]
	v_fma_f64 v[185:186], v[4:5], v[34:35], v[187:188]
	v_fma_f64 v[187:188], v[2:3], v[34:35], -v[36:37]
	ds_load_b128 v[2:5], v1 offset:1344
	scratch_load_b128 v[34:37], off, off offset:544
	v_fma_f64 v[181:182], v[40:41], v[169:170], v[181:182]
	v_add_f64_e32 v[177:178], v[177:178], v[173:174]
	v_add_f64_e32 v[175:176], v[179:180], v[175:176]
	ds_load_b128 v[171:174], v1 offset:1360
	v_fma_f64 v[169:170], v[38:39], v[169:170], -v[183:184]
	scratch_load_b128 v[38:41], off, off offset:560
	s_wait_loadcnt_dscnt 0x901
	v_mul_f64_e32 v[179:180], v[2:3], v[44:45]
	v_mul_f64_e32 v[44:45], v[4:5], v[44:45]
	s_wait_loadcnt_dscnt 0x800
	v_mul_f64_e32 v[183:184], v[171:172], v[8:9]
	v_mul_f64_e32 v[8:9], v[173:174], v[8:9]
	v_add_f64_e32 v[177:178], v[177:178], v[187:188]
	v_add_f64_e32 v[175:176], v[175:176], v[185:186]
	v_fma_f64 v[179:180], v[4:5], v[42:43], v[179:180]
	v_fma_f64 v[185:186], v[2:3], v[42:43], -v[44:45]
	ds_load_b128 v[2:5], v1 offset:1376
	scratch_load_b128 v[42:45], off, off offset:576
	v_fma_f64 v[173:174], v[173:174], v[6:7], v[183:184]
	v_fma_f64 v[171:172], v[171:172], v[6:7], -v[8:9]
	scratch_load_b128 v[6:9], off, off offset:592
	v_add_f64_e32 v[169:170], v[177:178], v[169:170]
	v_add_f64_e32 v[181:182], v[175:176], v[181:182]
	ds_load_b128 v[175:178], v1 offset:1392
	s_wait_loadcnt_dscnt 0x901
	v_mul_f64_e32 v[187:188], v[2:3], v[12:13]
	v_mul_f64_e32 v[12:13], v[4:5], v[12:13]
	v_add_f64_e32 v[169:170], v[169:170], v[185:186]
	v_add_f64_e32 v[179:180], v[181:182], v[179:180]
	s_wait_loadcnt_dscnt 0x800
	v_mul_f64_e32 v[181:182], v[175:176], v[16:17]
	v_mul_f64_e32 v[16:17], v[177:178], v[16:17]
	v_fma_f64 v[183:184], v[4:5], v[10:11], v[187:188]
	v_fma_f64 v[185:186], v[2:3], v[10:11], -v[12:13]
	ds_load_b128 v[2:5], v1 offset:1408
	scratch_load_b128 v[10:13], off, off offset:608
	v_add_f64_e32 v[187:188], v[169:170], v[171:172]
	v_add_f64_e32 v[173:174], v[179:180], v[173:174]
	ds_load_b128 v[169:172], v1 offset:1424
	s_wait_loadcnt_dscnt 0x801
	v_mul_f64_e32 v[179:180], v[2:3], v[20:21]
	v_mul_f64_e32 v[20:21], v[4:5], v[20:21]
	v_fma_f64 v[177:178], v[177:178], v[14:15], v[181:182]
	v_fma_f64 v[175:176], v[175:176], v[14:15], -v[16:17]
	scratch_load_b128 v[14:17], off, off offset:624
	v_add_f64_e32 v[181:182], v[187:188], v[185:186]
	v_add_f64_e32 v[173:174], v[173:174], v[183:184]
	s_wait_loadcnt_dscnt 0x800
	v_mul_f64_e32 v[183:184], v[169:170], v[24:25]
	v_mul_f64_e32 v[24:25], v[171:172], v[24:25]
	v_fma_f64 v[179:180], v[4:5], v[18:19], v[179:180]
	v_fma_f64 v[185:186], v[2:3], v[18:19], -v[20:21]
	ds_load_b128 v[2:5], v1 offset:1440
	scratch_load_b128 v[18:21], off, off offset:640
	v_add_f64_e32 v[181:182], v[181:182], v[175:176]
	v_add_f64_e32 v[177:178], v[173:174], v[177:178]
	ds_load_b128 v[173:176], v1 offset:1456
	s_wait_loadcnt_dscnt 0x801
	v_mul_f64_e32 v[187:188], v[2:3], v[28:29]
	v_mul_f64_e32 v[28:29], v[4:5], v[28:29]
	v_fma_f64 v[171:172], v[171:172], v[22:23], v[183:184]
	v_fma_f64 v[169:170], v[169:170], v[22:23], -v[24:25]
	scratch_load_b128 v[22:25], off, off offset:656
	;; [unrolled: 18-line block ×4, first 2 shown]
	s_wait_loadcnt_dscnt 0x800
	v_mul_f64_e32 v[181:182], v[173:174], v[8:9]
	v_mul_f64_e32 v[8:9], v[175:176], v[8:9]
	v_add_f64_e32 v[179:180], v[179:180], v[185:186]
	v_add_f64_e32 v[177:178], v[177:178], v[183:184]
	v_fma_f64 v[183:184], v[4:5], v[42:43], v[187:188]
	v_fma_f64 v[185:186], v[2:3], v[42:43], -v[44:45]
	ds_load_b128 v[2:5], v1 offset:1536
	scratch_load_b128 v[42:45], off, off offset:736
	v_fma_f64 v[175:176], v[175:176], v[6:7], v[181:182]
	v_fma_f64 v[173:174], v[173:174], v[6:7], -v[8:9]
	scratch_load_b128 v[6:9], off, off offset:752
	v_add_f64_e32 v[179:180], v[179:180], v[169:170]
	v_add_f64_e32 v[177:178], v[177:178], v[171:172]
	ds_load_b128 v[169:172], v1 offset:1552
	s_wait_loadcnt_dscnt 0x901
	v_mul_f64_e32 v[187:188], v[2:3], v[12:13]
	v_mul_f64_e32 v[12:13], v[4:5], v[12:13]
	s_wait_loadcnt_dscnt 0x800
	v_mul_f64_e32 v[181:182], v[169:170], v[16:17]
	v_mul_f64_e32 v[16:17], v[171:172], v[16:17]
	v_add_f64_e32 v[179:180], v[179:180], v[185:186]
	v_add_f64_e32 v[177:178], v[177:178], v[183:184]
	v_fma_f64 v[183:184], v[4:5], v[10:11], v[187:188]
	v_fma_f64 v[185:186], v[2:3], v[10:11], -v[12:13]
	ds_load_b128 v[2:5], v1 offset:1568
	scratch_load_b128 v[10:13], off, off offset:768
	v_fma_f64 v[171:172], v[171:172], v[14:15], v[181:182]
	v_fma_f64 v[169:170], v[169:170], v[14:15], -v[16:17]
	scratch_load_b128 v[14:17], off, off offset:784
	v_add_f64_e32 v[179:180], v[179:180], v[173:174]
	v_add_f64_e32 v[177:178], v[177:178], v[175:176]
	ds_load_b128 v[173:176], v1 offset:1584
	s_wait_loadcnt_dscnt 0x901
	v_mul_f64_e32 v[187:188], v[2:3], v[20:21]
	v_mul_f64_e32 v[20:21], v[4:5], v[20:21]
	;; [unrolled: 18-line block ×7, first 2 shown]
	s_wait_loadcnt_dscnt 0x800
	v_mul_f64_e32 v[181:182], v[169:170], v[24:25]
	v_mul_f64_e32 v[24:25], v[171:172], v[24:25]
	v_add_f64_e32 v[179:180], v[179:180], v[185:186]
	v_add_f64_e32 v[177:178], v[177:178], v[183:184]
	v_fma_f64 v[183:184], v[4:5], v[18:19], v[187:188]
	v_fma_f64 v[185:186], v[2:3], v[18:19], -v[20:21]
	ds_load_b128 v[2:5], v1 offset:1760
	ds_load_b128 v[18:21], v1 offset:1776
	v_fma_f64 v[171:172], v[171:172], v[22:23], v[181:182]
	v_fma_f64 v[22:23], v[169:170], v[22:23], -v[24:25]
	v_add_f64_e32 v[173:174], v[179:180], v[173:174]
	v_add_f64_e32 v[175:176], v[177:178], v[175:176]
	s_wait_loadcnt_dscnt 0x701
	v_mul_f64_e32 v[177:178], v[2:3], v[28:29]
	v_mul_f64_e32 v[28:29], v[4:5], v[28:29]
	s_delay_alu instid0(VALU_DEP_4) | instskip(NEXT) | instid1(VALU_DEP_4)
	v_add_f64_e32 v[24:25], v[173:174], v[185:186]
	v_add_f64_e32 v[169:170], v[175:176], v[183:184]
	s_wait_loadcnt_dscnt 0x600
	v_mul_f64_e32 v[173:174], v[18:19], v[32:33]
	v_mul_f64_e32 v[32:33], v[20:21], v[32:33]
	v_fma_f64 v[175:176], v[4:5], v[26:27], v[177:178]
	v_fma_f64 v[26:27], v[2:3], v[26:27], -v[28:29]
	v_add_f64_e32 v[28:29], v[24:25], v[22:23]
	v_add_f64_e32 v[169:170], v[169:170], v[171:172]
	ds_load_b128 v[2:5], v1 offset:1792
	ds_load_b128 v[22:25], v1 offset:1808
	v_fma_f64 v[20:21], v[20:21], v[30:31], v[173:174]
	v_fma_f64 v[18:19], v[18:19], v[30:31], -v[32:33]
	s_wait_loadcnt_dscnt 0x501
	v_mul_f64_e32 v[171:172], v[2:3], v[36:37]
	v_mul_f64_e32 v[36:37], v[4:5], v[36:37]
	s_wait_loadcnt_dscnt 0x400
	v_mul_f64_e32 v[30:31], v[22:23], v[40:41]
	v_mul_f64_e32 v[32:33], v[24:25], v[40:41]
	v_add_f64_e32 v[26:27], v[28:29], v[26:27]
	v_add_f64_e32 v[28:29], v[169:170], v[175:176]
	v_fma_f64 v[40:41], v[4:5], v[34:35], v[171:172]
	v_fma_f64 v[34:35], v[2:3], v[34:35], -v[36:37]
	v_fma_f64 v[24:25], v[24:25], v[38:39], v[30:31]
	v_fma_f64 v[22:23], v[22:23], v[38:39], -v[32:33]
	v_add_f64_e32 v[26:27], v[26:27], v[18:19]
	v_add_f64_e32 v[28:29], v[28:29], v[20:21]
	ds_load_b128 v[2:5], v1 offset:1824
	ds_load_b128 v[18:21], v1 offset:1840
	s_wait_loadcnt_dscnt 0x301
	v_mul_f64_e32 v[36:37], v[2:3], v[44:45]
	v_mul_f64_e32 v[44:45], v[4:5], v[44:45]
	s_wait_loadcnt_dscnt 0x200
	v_mul_f64_e32 v[30:31], v[18:19], v[8:9]
	v_mul_f64_e32 v[8:9], v[20:21], v[8:9]
	v_add_f64_e32 v[26:27], v[26:27], v[34:35]
	v_add_f64_e32 v[28:29], v[28:29], v[40:41]
	v_fma_f64 v[32:33], v[4:5], v[42:43], v[36:37]
	v_fma_f64 v[34:35], v[2:3], v[42:43], -v[44:45]
	v_fma_f64 v[20:21], v[20:21], v[6:7], v[30:31]
	v_fma_f64 v[6:7], v[18:19], v[6:7], -v[8:9]
	v_add_f64_e32 v[26:27], v[26:27], v[22:23]
	v_add_f64_e32 v[28:29], v[28:29], v[24:25]
	ds_load_b128 v[2:5], v1 offset:1856
	ds_load_b128 v[22:25], v1 offset:1872
	s_wait_loadcnt_dscnt 0x101
	v_mul_f64_e32 v[36:37], v[2:3], v[12:13]
	v_mul_f64_e32 v[12:13], v[4:5], v[12:13]
	v_add_f64_e32 v[8:9], v[26:27], v[34:35]
	v_add_f64_e32 v[18:19], v[28:29], v[32:33]
	s_wait_loadcnt_dscnt 0x0
	v_mul_f64_e32 v[26:27], v[22:23], v[16:17]
	v_mul_f64_e32 v[16:17], v[24:25], v[16:17]
	v_fma_f64 v[4:5], v[4:5], v[10:11], v[36:37]
	v_fma_f64 v[1:2], v[2:3], v[10:11], -v[12:13]
	v_add_f64_e32 v[6:7], v[8:9], v[6:7]
	v_add_f64_e32 v[8:9], v[18:19], v[20:21]
	v_fma_f64 v[10:11], v[24:25], v[14:15], v[26:27]
	v_fma_f64 v[12:13], v[22:23], v[14:15], -v[16:17]
	s_delay_alu instid0(VALU_DEP_4) | instskip(NEXT) | instid1(VALU_DEP_4)
	v_add_f64_e32 v[1:2], v[6:7], v[1:2]
	v_add_f64_e32 v[3:4], v[8:9], v[4:5]
	s_delay_alu instid0(VALU_DEP_2) | instskip(NEXT) | instid1(VALU_DEP_2)
	v_add_f64_e32 v[1:2], v[1:2], v[12:13]
	v_add_f64_e32 v[3:4], v[3:4], v[10:11]
	s_delay_alu instid0(VALU_DEP_2) | instskip(NEXT) | instid1(VALU_DEP_2)
	v_add_f64_e64 v[1:2], v[165:166], -v[1:2]
	v_add_f64_e64 v[3:4], v[167:168], -v[3:4]
	scratch_store_b128 off, v[1:4], off offset:240
	v_cmpx_lt_u32_e32 13, v0
	s_cbranch_execz .LBB122_341
; %bb.340:
	scratch_load_b128 v[1:4], off, s59
	v_mov_b32_e32 v5, 0
	s_delay_alu instid0(VALU_DEP_1)
	v_dual_mov_b32 v6, v5 :: v_dual_mov_b32 v7, v5
	v_mov_b32_e32 v8, v5
	scratch_store_b128 off, v[5:8], off offset:224
	s_wait_loadcnt 0x0
	ds_store_b128 v164, v[1:4]
.LBB122_341:
	s_wait_alu 0xfffe
	s_or_b32 exec_lo, exec_lo, s0
	s_wait_storecnt_dscnt 0x0
	s_barrier_signal -1
	s_barrier_wait -1
	global_inv scope:SCOPE_SE
	s_clause 0x7
	scratch_load_b128 v[2:5], off, off offset:240
	scratch_load_b128 v[6:9], off, off offset:256
	;; [unrolled: 1-line block ×8, first 2 shown]
	v_mov_b32_e32 v1, 0
	s_mov_b32 s0, exec_lo
	ds_load_b128 v[38:41], v1 offset:1168
	s_clause 0x1
	scratch_load_b128 v[34:37], off, off offset:368
	scratch_load_b128 v[42:45], off, off offset:224
	ds_load_b128 v[165:168], v1 offset:1184
	scratch_load_b128 v[169:172], off, off offset:384
	s_wait_loadcnt_dscnt 0xa01
	v_mul_f64_e32 v[173:174], v[40:41], v[4:5]
	v_mul_f64_e32 v[4:5], v[38:39], v[4:5]
	s_delay_alu instid0(VALU_DEP_2) | instskip(NEXT) | instid1(VALU_DEP_2)
	v_fma_f64 v[179:180], v[38:39], v[2:3], -v[173:174]
	v_fma_f64 v[181:182], v[40:41], v[2:3], v[4:5]
	ds_load_b128 v[2:5], v1 offset:1200
	s_wait_loadcnt_dscnt 0x901
	v_mul_f64_e32 v[177:178], v[165:166], v[8:9]
	v_mul_f64_e32 v[8:9], v[167:168], v[8:9]
	scratch_load_b128 v[38:41], off, off offset:400
	ds_load_b128 v[173:176], v1 offset:1216
	s_wait_loadcnt_dscnt 0x901
	v_mul_f64_e32 v[183:184], v[2:3], v[12:13]
	v_mul_f64_e32 v[12:13], v[4:5], v[12:13]
	v_fma_f64 v[167:168], v[167:168], v[6:7], v[177:178]
	v_fma_f64 v[165:166], v[165:166], v[6:7], -v[8:9]
	v_add_f64_e32 v[177:178], 0, v[179:180]
	v_add_f64_e32 v[179:180], 0, v[181:182]
	scratch_load_b128 v[6:9], off, off offset:416
	v_fma_f64 v[183:184], v[4:5], v[10:11], v[183:184]
	v_fma_f64 v[185:186], v[2:3], v[10:11], -v[12:13]
	ds_load_b128 v[2:5], v1 offset:1232
	s_wait_loadcnt_dscnt 0x901
	v_mul_f64_e32 v[181:182], v[173:174], v[16:17]
	v_mul_f64_e32 v[16:17], v[175:176], v[16:17]
	scratch_load_b128 v[10:13], off, off offset:432
	v_add_f64_e32 v[177:178], v[177:178], v[165:166]
	v_add_f64_e32 v[179:180], v[179:180], v[167:168]
	s_wait_loadcnt_dscnt 0x900
	v_mul_f64_e32 v[187:188], v[2:3], v[20:21]
	v_mul_f64_e32 v[20:21], v[4:5], v[20:21]
	ds_load_b128 v[165:168], v1 offset:1248
	v_fma_f64 v[175:176], v[175:176], v[14:15], v[181:182]
	v_fma_f64 v[173:174], v[173:174], v[14:15], -v[16:17]
	scratch_load_b128 v[14:17], off, off offset:448
	v_add_f64_e32 v[177:178], v[177:178], v[185:186]
	v_add_f64_e32 v[179:180], v[179:180], v[183:184]
	v_fma_f64 v[183:184], v[4:5], v[18:19], v[187:188]
	v_fma_f64 v[185:186], v[2:3], v[18:19], -v[20:21]
	ds_load_b128 v[2:5], v1 offset:1264
	s_wait_loadcnt_dscnt 0x901
	v_mul_f64_e32 v[181:182], v[165:166], v[24:25]
	v_mul_f64_e32 v[24:25], v[167:168], v[24:25]
	scratch_load_b128 v[18:21], off, off offset:464
	s_wait_loadcnt_dscnt 0x900
	v_mul_f64_e32 v[187:188], v[2:3], v[28:29]
	v_mul_f64_e32 v[28:29], v[4:5], v[28:29]
	v_add_f64_e32 v[177:178], v[177:178], v[173:174]
	v_add_f64_e32 v[179:180], v[179:180], v[175:176]
	ds_load_b128 v[173:176], v1 offset:1280
	v_fma_f64 v[167:168], v[167:168], v[22:23], v[181:182]
	v_fma_f64 v[165:166], v[165:166], v[22:23], -v[24:25]
	scratch_load_b128 v[22:25], off, off offset:480
	v_add_f64_e32 v[177:178], v[177:178], v[185:186]
	v_add_f64_e32 v[179:180], v[179:180], v[183:184]
	v_fma_f64 v[183:184], v[4:5], v[26:27], v[187:188]
	v_fma_f64 v[185:186], v[2:3], v[26:27], -v[28:29]
	ds_load_b128 v[2:5], v1 offset:1296
	s_wait_loadcnt_dscnt 0x901
	v_mul_f64_e32 v[181:182], v[173:174], v[32:33]
	v_mul_f64_e32 v[32:33], v[175:176], v[32:33]
	scratch_load_b128 v[26:29], off, off offset:496
	s_wait_loadcnt_dscnt 0x900
	v_mul_f64_e32 v[187:188], v[2:3], v[36:37]
	v_mul_f64_e32 v[36:37], v[4:5], v[36:37]
	v_add_f64_e32 v[177:178], v[177:178], v[165:166]
	v_add_f64_e32 v[179:180], v[179:180], v[167:168]
	ds_load_b128 v[165:168], v1 offset:1312
	v_fma_f64 v[175:176], v[175:176], v[30:31], v[181:182]
	v_fma_f64 v[173:174], v[173:174], v[30:31], -v[32:33]
	scratch_load_b128 v[30:33], off, off offset:512
	v_add_f64_e32 v[177:178], v[177:178], v[185:186]
	v_add_f64_e32 v[179:180], v[179:180], v[183:184]
	v_fma_f64 v[185:186], v[4:5], v[34:35], v[187:188]
	v_fma_f64 v[187:188], v[2:3], v[34:35], -v[36:37]
	ds_load_b128 v[2:5], v1 offset:1328
	s_wait_loadcnt_dscnt 0x801
	v_mul_f64_e32 v[181:182], v[165:166], v[171:172]
	v_mul_f64_e32 v[183:184], v[167:168], v[171:172]
	scratch_load_b128 v[34:37], off, off offset:528
	v_add_f64_e32 v[177:178], v[177:178], v[173:174]
	v_add_f64_e32 v[175:176], v[179:180], v[175:176]
	ds_load_b128 v[171:174], v1 offset:1344
	v_fma_f64 v[181:182], v[167:168], v[169:170], v[181:182]
	v_fma_f64 v[169:170], v[165:166], v[169:170], -v[183:184]
	scratch_load_b128 v[165:168], off, off offset:544
	s_wait_loadcnt_dscnt 0x901
	v_mul_f64_e32 v[179:180], v[2:3], v[40:41]
	v_mul_f64_e32 v[40:41], v[4:5], v[40:41]
	v_add_f64_e32 v[177:178], v[177:178], v[187:188]
	v_add_f64_e32 v[175:176], v[175:176], v[185:186]
	s_delay_alu instid0(VALU_DEP_4) | instskip(NEXT) | instid1(VALU_DEP_4)
	v_fma_f64 v[179:180], v[4:5], v[38:39], v[179:180]
	v_fma_f64 v[185:186], v[2:3], v[38:39], -v[40:41]
	ds_load_b128 v[2:5], v1 offset:1360
	s_wait_loadcnt_dscnt 0x801
	v_mul_f64_e32 v[183:184], v[171:172], v[8:9]
	v_mul_f64_e32 v[8:9], v[173:174], v[8:9]
	scratch_load_b128 v[38:41], off, off offset:560
	s_wait_loadcnt_dscnt 0x800
	v_mul_f64_e32 v[187:188], v[2:3], v[12:13]
	v_add_f64_e32 v[169:170], v[177:178], v[169:170]
	v_add_f64_e32 v[181:182], v[175:176], v[181:182]
	v_mul_f64_e32 v[12:13], v[4:5], v[12:13]
	ds_load_b128 v[175:178], v1 offset:1376
	v_fma_f64 v[173:174], v[173:174], v[6:7], v[183:184]
	v_fma_f64 v[171:172], v[171:172], v[6:7], -v[8:9]
	scratch_load_b128 v[6:9], off, off offset:576
	v_fma_f64 v[183:184], v[4:5], v[10:11], v[187:188]
	v_add_f64_e32 v[169:170], v[169:170], v[185:186]
	v_add_f64_e32 v[179:180], v[181:182], v[179:180]
	v_fma_f64 v[185:186], v[2:3], v[10:11], -v[12:13]
	ds_load_b128 v[2:5], v1 offset:1392
	s_wait_loadcnt_dscnt 0x801
	v_mul_f64_e32 v[181:182], v[175:176], v[16:17]
	v_mul_f64_e32 v[16:17], v[177:178], v[16:17]
	scratch_load_b128 v[10:13], off, off offset:592
	v_add_f64_e32 v[187:188], v[169:170], v[171:172]
	v_add_f64_e32 v[173:174], v[179:180], v[173:174]
	s_wait_loadcnt_dscnt 0x800
	v_mul_f64_e32 v[179:180], v[2:3], v[20:21]
	v_mul_f64_e32 v[20:21], v[4:5], v[20:21]
	v_fma_f64 v[177:178], v[177:178], v[14:15], v[181:182]
	v_fma_f64 v[175:176], v[175:176], v[14:15], -v[16:17]
	ds_load_b128 v[169:172], v1 offset:1408
	scratch_load_b128 v[14:17], off, off offset:608
	v_add_f64_e32 v[181:182], v[187:188], v[185:186]
	v_add_f64_e32 v[173:174], v[173:174], v[183:184]
	v_fma_f64 v[179:180], v[4:5], v[18:19], v[179:180]
	v_fma_f64 v[185:186], v[2:3], v[18:19], -v[20:21]
	ds_load_b128 v[2:5], v1 offset:1424
	s_wait_loadcnt_dscnt 0x801
	v_mul_f64_e32 v[183:184], v[169:170], v[24:25]
	v_mul_f64_e32 v[24:25], v[171:172], v[24:25]
	scratch_load_b128 v[18:21], off, off offset:624
	s_wait_loadcnt_dscnt 0x800
	v_mul_f64_e32 v[187:188], v[2:3], v[28:29]
	v_mul_f64_e32 v[28:29], v[4:5], v[28:29]
	v_add_f64_e32 v[181:182], v[181:182], v[175:176]
	v_add_f64_e32 v[177:178], v[173:174], v[177:178]
	ds_load_b128 v[173:176], v1 offset:1440
	v_fma_f64 v[171:172], v[171:172], v[22:23], v[183:184]
	v_fma_f64 v[169:170], v[169:170], v[22:23], -v[24:25]
	scratch_load_b128 v[22:25], off, off offset:640
	v_fma_f64 v[183:184], v[4:5], v[26:27], v[187:188]
	v_add_f64_e32 v[181:182], v[181:182], v[185:186]
	v_add_f64_e32 v[177:178], v[177:178], v[179:180]
	v_fma_f64 v[185:186], v[2:3], v[26:27], -v[28:29]
	ds_load_b128 v[2:5], v1 offset:1456
	s_wait_loadcnt_dscnt 0x801
	v_mul_f64_e32 v[179:180], v[173:174], v[32:33]
	v_mul_f64_e32 v[32:33], v[175:176], v[32:33]
	scratch_load_b128 v[26:29], off, off offset:656
	s_wait_loadcnt_dscnt 0x800
	v_mul_f64_e32 v[187:188], v[2:3], v[36:37]
	v_mul_f64_e32 v[36:37], v[4:5], v[36:37]
	v_add_f64_e32 v[181:182], v[181:182], v[169:170]
	v_add_f64_e32 v[177:178], v[177:178], v[171:172]
	ds_load_b128 v[169:172], v1 offset:1472
	v_fma_f64 v[175:176], v[175:176], v[30:31], v[179:180]
	v_fma_f64 v[173:174], v[173:174], v[30:31], -v[32:33]
	scratch_load_b128 v[30:33], off, off offset:672
	v_add_f64_e32 v[179:180], v[181:182], v[185:186]
	v_add_f64_e32 v[177:178], v[177:178], v[183:184]
	v_fma_f64 v[183:184], v[4:5], v[34:35], v[187:188]
	v_fma_f64 v[185:186], v[2:3], v[34:35], -v[36:37]
	ds_load_b128 v[2:5], v1 offset:1488
	s_wait_loadcnt_dscnt 0x801
	v_mul_f64_e32 v[181:182], v[169:170], v[167:168]
	v_mul_f64_e32 v[167:168], v[171:172], v[167:168]
	scratch_load_b128 v[34:37], off, off offset:688
	s_wait_loadcnt_dscnt 0x800
	v_mul_f64_e32 v[187:188], v[2:3], v[40:41]
	v_mul_f64_e32 v[40:41], v[4:5], v[40:41]
	v_add_f64_e32 v[179:180], v[179:180], v[173:174]
	v_add_f64_e32 v[177:178], v[177:178], v[175:176]
	ds_load_b128 v[173:176], v1 offset:1504
	v_fma_f64 v[171:172], v[171:172], v[165:166], v[181:182]
	v_fma_f64 v[169:170], v[169:170], v[165:166], -v[167:168]
	scratch_load_b128 v[165:168], off, off offset:704
	v_add_f64_e32 v[179:180], v[179:180], v[185:186]
	v_add_f64_e32 v[177:178], v[177:178], v[183:184]
	v_fma_f64 v[183:184], v[4:5], v[38:39], v[187:188]
	;; [unrolled: 18-line block ×6, first 2 shown]
	v_fma_f64 v[187:188], v[2:3], v[34:35], -v[36:37]
	ds_load_b128 v[2:5], v1 offset:1648
	s_wait_loadcnt_dscnt 0x801
	v_mul_f64_e32 v[181:182], v[173:174], v[167:168]
	v_mul_f64_e32 v[183:184], v[175:176], v[167:168]
	scratch_load_b128 v[34:37], off, off offset:848
	v_add_f64_e32 v[179:180], v[179:180], v[169:170]
	v_add_f64_e32 v[171:172], v[177:178], v[171:172]
	s_wait_loadcnt_dscnt 0x800
	v_mul_f64_e32 v[177:178], v[2:3], v[40:41]
	v_mul_f64_e32 v[40:41], v[4:5], v[40:41]
	ds_load_b128 v[167:170], v1 offset:1664
	v_fma_f64 v[175:176], v[175:176], v[165:166], v[181:182]
	v_fma_f64 v[165:166], v[173:174], v[165:166], -v[183:184]
	v_add_f64_e32 v[179:180], v[179:180], v[187:188]
	v_add_f64_e32 v[181:182], v[171:172], v[185:186]
	scratch_load_b128 v[171:174], off, off offset:864
	v_fma_f64 v[185:186], v[4:5], v[38:39], v[177:178]
	v_fma_f64 v[187:188], v[2:3], v[38:39], -v[40:41]
	ds_load_b128 v[2:5], v1 offset:1680
	s_wait_loadcnt_dscnt 0x801
	v_mul_f64_e32 v[183:184], v[167:168], v[8:9]
	v_mul_f64_e32 v[8:9], v[169:170], v[8:9]
	scratch_load_b128 v[38:41], off, off offset:880
	v_add_f64_e32 v[165:166], v[179:180], v[165:166]
	v_add_f64_e32 v[179:180], v[181:182], v[175:176]
	s_wait_loadcnt_dscnt 0x800
	v_mul_f64_e32 v[181:182], v[2:3], v[12:13]
	v_mul_f64_e32 v[12:13], v[4:5], v[12:13]
	ds_load_b128 v[175:178], v1 offset:1696
	v_fma_f64 v[169:170], v[169:170], v[6:7], v[183:184]
	v_fma_f64 v[167:168], v[167:168], v[6:7], -v[8:9]
	scratch_load_b128 v[6:9], off, off offset:896
	v_add_f64_e32 v[165:166], v[165:166], v[187:188]
	v_add_f64_e32 v[179:180], v[179:180], v[185:186]
	v_fma_f64 v[181:182], v[4:5], v[10:11], v[181:182]
	v_fma_f64 v[185:186], v[2:3], v[10:11], -v[12:13]
	ds_load_b128 v[2:5], v1 offset:1712
	s_wait_loadcnt_dscnt 0x801
	v_mul_f64_e32 v[183:184], v[175:176], v[16:17]
	v_mul_f64_e32 v[16:17], v[177:178], v[16:17]
	scratch_load_b128 v[10:13], off, off offset:912
	v_add_f64_e32 v[187:188], v[165:166], v[167:168]
	v_add_f64_e32 v[169:170], v[179:180], v[169:170]
	s_wait_loadcnt_dscnt 0x800
	v_mul_f64_e32 v[179:180], v[2:3], v[20:21]
	v_mul_f64_e32 v[20:21], v[4:5], v[20:21]
	ds_load_b128 v[165:168], v1 offset:1728
	v_fma_f64 v[177:178], v[177:178], v[14:15], v[183:184]
	v_fma_f64 v[175:176], v[175:176], v[14:15], -v[16:17]
	scratch_load_b128 v[14:17], off, off offset:928
	v_add_f64_e32 v[183:184], v[187:188], v[185:186]
	v_add_f64_e32 v[169:170], v[169:170], v[181:182]
	v_fma_f64 v[179:180], v[4:5], v[18:19], v[179:180]
	v_fma_f64 v[185:186], v[2:3], v[18:19], -v[20:21]
	ds_load_b128 v[2:5], v1 offset:1744
	s_wait_loadcnt_dscnt 0x801
	v_mul_f64_e32 v[181:182], v[165:166], v[24:25]
	v_mul_f64_e32 v[24:25], v[167:168], v[24:25]
	scratch_load_b128 v[18:21], off, off offset:944
	s_wait_loadcnt_dscnt 0x800
	v_mul_f64_e32 v[187:188], v[2:3], v[28:29]
	v_mul_f64_e32 v[28:29], v[4:5], v[28:29]
	v_add_f64_e32 v[183:184], v[183:184], v[175:176]
	v_add_f64_e32 v[169:170], v[169:170], v[177:178]
	ds_load_b128 v[175:178], v1 offset:1760
	v_fma_f64 v[167:168], v[167:168], v[22:23], v[181:182]
	v_fma_f64 v[22:23], v[165:166], v[22:23], -v[24:25]
	v_add_f64_e32 v[24:25], v[183:184], v[185:186]
	v_add_f64_e32 v[165:166], v[169:170], v[179:180]
	s_wait_loadcnt_dscnt 0x700
	v_mul_f64_e32 v[169:170], v[175:176], v[32:33]
	v_mul_f64_e32 v[32:33], v[177:178], v[32:33]
	v_fma_f64 v[179:180], v[4:5], v[26:27], v[187:188]
	v_fma_f64 v[26:27], v[2:3], v[26:27], -v[28:29]
	v_add_f64_e32 v[28:29], v[24:25], v[22:23]
	v_add_f64_e32 v[165:166], v[165:166], v[167:168]
	ds_load_b128 v[2:5], v1 offset:1776
	ds_load_b128 v[22:25], v1 offset:1792
	v_fma_f64 v[169:170], v[177:178], v[30:31], v[169:170]
	v_fma_f64 v[30:31], v[175:176], v[30:31], -v[32:33]
	s_wait_loadcnt_dscnt 0x601
	v_mul_f64_e32 v[167:168], v[2:3], v[36:37]
	v_mul_f64_e32 v[36:37], v[4:5], v[36:37]
	v_add_f64_e32 v[26:27], v[28:29], v[26:27]
	v_add_f64_e32 v[28:29], v[165:166], v[179:180]
	s_wait_loadcnt_dscnt 0x500
	v_mul_f64_e32 v[32:33], v[22:23], v[173:174]
	v_mul_f64_e32 v[165:166], v[24:25], v[173:174]
	v_fma_f64 v[167:168], v[4:5], v[34:35], v[167:168]
	v_fma_f64 v[34:35], v[2:3], v[34:35], -v[36:37]
	v_add_f64_e32 v[30:31], v[26:27], v[30:31]
	v_add_f64_e32 v[36:37], v[28:29], v[169:170]
	ds_load_b128 v[2:5], v1 offset:1808
	ds_load_b128 v[26:29], v1 offset:1824
	v_fma_f64 v[24:25], v[24:25], v[171:172], v[32:33]
	v_fma_f64 v[22:23], v[22:23], v[171:172], -v[165:166]
	s_wait_loadcnt_dscnt 0x401
	v_mul_f64_e32 v[169:170], v[2:3], v[40:41]
	v_mul_f64_e32 v[40:41], v[4:5], v[40:41]
	;; [unrolled: 16-line block ×3, first 2 shown]
	v_add_f64_e32 v[8:9], v[30:31], v[38:39]
	v_add_f64_e32 v[26:27], v[32:33], v[36:37]
	s_wait_loadcnt_dscnt 0x100
	v_mul_f64_e32 v[30:31], v[22:23], v[16:17]
	v_mul_f64_e32 v[16:17], v[24:25], v[16:17]
	v_fma_f64 v[32:33], v[4:5], v[10:11], v[40:41]
	v_fma_f64 v[10:11], v[2:3], v[10:11], -v[12:13]
	ds_load_b128 v[2:5], v1 offset:1872
	v_add_f64_e32 v[6:7], v[8:9], v[6:7]
	v_add_f64_e32 v[8:9], v[26:27], v[28:29]
	v_fma_f64 v[24:25], v[24:25], v[14:15], v[30:31]
	v_fma_f64 v[14:15], v[22:23], v[14:15], -v[16:17]
	s_wait_loadcnt_dscnt 0x0
	v_mul_f64_e32 v[12:13], v[2:3], v[20:21]
	v_mul_f64_e32 v[20:21], v[4:5], v[20:21]
	v_add_f64_e32 v[6:7], v[6:7], v[10:11]
	v_add_f64_e32 v[8:9], v[8:9], v[32:33]
	s_delay_alu instid0(VALU_DEP_4) | instskip(NEXT) | instid1(VALU_DEP_4)
	v_fma_f64 v[4:5], v[4:5], v[18:19], v[12:13]
	v_fma_f64 v[2:3], v[2:3], v[18:19], -v[20:21]
	s_delay_alu instid0(VALU_DEP_4) | instskip(NEXT) | instid1(VALU_DEP_4)
	v_add_f64_e32 v[6:7], v[6:7], v[14:15]
	v_add_f64_e32 v[8:9], v[8:9], v[24:25]
	s_delay_alu instid0(VALU_DEP_2) | instskip(NEXT) | instid1(VALU_DEP_2)
	v_add_f64_e32 v[2:3], v[6:7], v[2:3]
	v_add_f64_e32 v[4:5], v[8:9], v[4:5]
	s_delay_alu instid0(VALU_DEP_2) | instskip(NEXT) | instid1(VALU_DEP_2)
	v_add_f64_e64 v[2:3], v[42:43], -v[2:3]
	v_add_f64_e64 v[4:5], v[44:45], -v[4:5]
	scratch_store_b128 off, v[2:5], off offset:224
	v_cmpx_lt_u32_e32 12, v0
	s_cbranch_execz .LBB122_343
; %bb.342:
	scratch_load_b128 v[5:8], off, s60
	v_dual_mov_b32 v2, v1 :: v_dual_mov_b32 v3, v1
	v_mov_b32_e32 v4, v1
	scratch_store_b128 off, v[1:4], off offset:208
	s_wait_loadcnt 0x0
	ds_store_b128 v164, v[5:8]
.LBB122_343:
	s_wait_alu 0xfffe
	s_or_b32 exec_lo, exec_lo, s0
	s_wait_storecnt_dscnt 0x0
	s_barrier_signal -1
	s_barrier_wait -1
	global_inv scope:SCOPE_SE
	s_clause 0x8
	scratch_load_b128 v[2:5], off, off offset:224
	scratch_load_b128 v[6:9], off, off offset:240
	;; [unrolled: 1-line block ×9, first 2 shown]
	ds_load_b128 v[42:45], v1 offset:1152
	ds_load_b128 v[38:41], v1 offset:1168
	s_clause 0x1
	scratch_load_b128 v[165:168], off, off offset:208
	scratch_load_b128 v[169:172], off, off offset:368
	s_mov_b32 s0, exec_lo
	s_wait_loadcnt_dscnt 0xa01
	v_mul_f64_e32 v[173:174], v[44:45], v[4:5]
	v_mul_f64_e32 v[4:5], v[42:43], v[4:5]
	s_wait_loadcnt_dscnt 0x900
	v_mul_f64_e32 v[177:178], v[38:39], v[8:9]
	v_mul_f64_e32 v[8:9], v[40:41], v[8:9]
	s_delay_alu instid0(VALU_DEP_4) | instskip(NEXT) | instid1(VALU_DEP_4)
	v_fma_f64 v[179:180], v[42:43], v[2:3], -v[173:174]
	v_fma_f64 v[181:182], v[44:45], v[2:3], v[4:5]
	ds_load_b128 v[2:5], v1 offset:1184
	ds_load_b128 v[173:176], v1 offset:1200
	scratch_load_b128 v[42:45], off, off offset:384
	v_fma_f64 v[40:41], v[40:41], v[6:7], v[177:178]
	v_fma_f64 v[38:39], v[38:39], v[6:7], -v[8:9]
	scratch_load_b128 v[6:9], off, off offset:400
	s_wait_loadcnt_dscnt 0xa01
	v_mul_f64_e32 v[183:184], v[2:3], v[12:13]
	v_mul_f64_e32 v[12:13], v[4:5], v[12:13]
	v_add_f64_e32 v[177:178], 0, v[179:180]
	v_add_f64_e32 v[179:180], 0, v[181:182]
	s_wait_loadcnt_dscnt 0x900
	v_mul_f64_e32 v[181:182], v[173:174], v[16:17]
	v_mul_f64_e32 v[16:17], v[175:176], v[16:17]
	v_fma_f64 v[183:184], v[4:5], v[10:11], v[183:184]
	v_fma_f64 v[185:186], v[2:3], v[10:11], -v[12:13]
	ds_load_b128 v[2:5], v1 offset:1216
	scratch_load_b128 v[10:13], off, off offset:416
	v_add_f64_e32 v[177:178], v[177:178], v[38:39]
	v_add_f64_e32 v[179:180], v[179:180], v[40:41]
	ds_load_b128 v[38:41], v1 offset:1232
	v_fma_f64 v[175:176], v[175:176], v[14:15], v[181:182]
	v_fma_f64 v[173:174], v[173:174], v[14:15], -v[16:17]
	scratch_load_b128 v[14:17], off, off offset:432
	s_wait_loadcnt_dscnt 0xa01
	v_mul_f64_e32 v[187:188], v[2:3], v[20:21]
	v_mul_f64_e32 v[20:21], v[4:5], v[20:21]
	s_wait_loadcnt_dscnt 0x900
	v_mul_f64_e32 v[181:182], v[38:39], v[24:25]
	v_mul_f64_e32 v[24:25], v[40:41], v[24:25]
	v_add_f64_e32 v[177:178], v[177:178], v[185:186]
	v_add_f64_e32 v[179:180], v[179:180], v[183:184]
	v_fma_f64 v[183:184], v[4:5], v[18:19], v[187:188]
	v_fma_f64 v[185:186], v[2:3], v[18:19], -v[20:21]
	ds_load_b128 v[2:5], v1 offset:1248
	scratch_load_b128 v[18:21], off, off offset:448
	v_fma_f64 v[40:41], v[40:41], v[22:23], v[181:182]
	v_fma_f64 v[38:39], v[38:39], v[22:23], -v[24:25]
	scratch_load_b128 v[22:25], off, off offset:464
	v_add_f64_e32 v[177:178], v[177:178], v[173:174]
	v_add_f64_e32 v[179:180], v[179:180], v[175:176]
	ds_load_b128 v[173:176], v1 offset:1264
	s_wait_loadcnt_dscnt 0xa01
	v_mul_f64_e32 v[187:188], v[2:3], v[28:29]
	v_mul_f64_e32 v[28:29], v[4:5], v[28:29]
	s_wait_loadcnt_dscnt 0x900
	v_mul_f64_e32 v[181:182], v[173:174], v[32:33]
	v_mul_f64_e32 v[32:33], v[175:176], v[32:33]
	v_add_f64_e32 v[177:178], v[177:178], v[185:186]
	v_add_f64_e32 v[179:180], v[179:180], v[183:184]
	v_fma_f64 v[183:184], v[4:5], v[26:27], v[187:188]
	v_fma_f64 v[185:186], v[2:3], v[26:27], -v[28:29]
	ds_load_b128 v[2:5], v1 offset:1280
	scratch_load_b128 v[26:29], off, off offset:480
	v_fma_f64 v[175:176], v[175:176], v[30:31], v[181:182]
	v_fma_f64 v[173:174], v[173:174], v[30:31], -v[32:33]
	scratch_load_b128 v[30:33], off, off offset:496
	v_add_f64_e32 v[177:178], v[177:178], v[38:39]
	v_add_f64_e32 v[179:180], v[179:180], v[40:41]
	ds_load_b128 v[38:41], v1 offset:1296
	s_wait_loadcnt_dscnt 0xa01
	v_mul_f64_e32 v[187:188], v[2:3], v[36:37]
	v_mul_f64_e32 v[36:37], v[4:5], v[36:37]
	s_wait_loadcnt_dscnt 0x800
	v_mul_f64_e32 v[181:182], v[38:39], v[171:172]
	v_add_f64_e32 v[177:178], v[177:178], v[185:186]
	v_add_f64_e32 v[179:180], v[179:180], v[183:184]
	v_mul_f64_e32 v[183:184], v[40:41], v[171:172]
	v_fma_f64 v[185:186], v[4:5], v[34:35], v[187:188]
	v_fma_f64 v[187:188], v[2:3], v[34:35], -v[36:37]
	ds_load_b128 v[2:5], v1 offset:1312
	scratch_load_b128 v[34:37], off, off offset:512
	v_fma_f64 v[181:182], v[40:41], v[169:170], v[181:182]
	v_add_f64_e32 v[177:178], v[177:178], v[173:174]
	v_add_f64_e32 v[175:176], v[179:180], v[175:176]
	ds_load_b128 v[171:174], v1 offset:1328
	v_fma_f64 v[169:170], v[38:39], v[169:170], -v[183:184]
	scratch_load_b128 v[38:41], off, off offset:528
	s_wait_loadcnt_dscnt 0x901
	v_mul_f64_e32 v[179:180], v[2:3], v[44:45]
	v_mul_f64_e32 v[44:45], v[4:5], v[44:45]
	s_wait_loadcnt_dscnt 0x800
	v_mul_f64_e32 v[183:184], v[171:172], v[8:9]
	v_mul_f64_e32 v[8:9], v[173:174], v[8:9]
	v_add_f64_e32 v[177:178], v[177:178], v[187:188]
	v_add_f64_e32 v[175:176], v[175:176], v[185:186]
	v_fma_f64 v[179:180], v[4:5], v[42:43], v[179:180]
	v_fma_f64 v[185:186], v[2:3], v[42:43], -v[44:45]
	ds_load_b128 v[2:5], v1 offset:1344
	scratch_load_b128 v[42:45], off, off offset:544
	v_fma_f64 v[173:174], v[173:174], v[6:7], v[183:184]
	v_fma_f64 v[171:172], v[171:172], v[6:7], -v[8:9]
	scratch_load_b128 v[6:9], off, off offset:560
	v_add_f64_e32 v[169:170], v[177:178], v[169:170]
	v_add_f64_e32 v[181:182], v[175:176], v[181:182]
	ds_load_b128 v[175:178], v1 offset:1360
	s_wait_loadcnt_dscnt 0x901
	v_mul_f64_e32 v[187:188], v[2:3], v[12:13]
	v_mul_f64_e32 v[12:13], v[4:5], v[12:13]
	v_add_f64_e32 v[169:170], v[169:170], v[185:186]
	v_add_f64_e32 v[179:180], v[181:182], v[179:180]
	s_wait_loadcnt_dscnt 0x800
	v_mul_f64_e32 v[181:182], v[175:176], v[16:17]
	v_mul_f64_e32 v[16:17], v[177:178], v[16:17]
	v_fma_f64 v[183:184], v[4:5], v[10:11], v[187:188]
	v_fma_f64 v[185:186], v[2:3], v[10:11], -v[12:13]
	ds_load_b128 v[2:5], v1 offset:1376
	scratch_load_b128 v[10:13], off, off offset:576
	v_add_f64_e32 v[187:188], v[169:170], v[171:172]
	v_add_f64_e32 v[173:174], v[179:180], v[173:174]
	ds_load_b128 v[169:172], v1 offset:1392
	s_wait_loadcnt_dscnt 0x801
	v_mul_f64_e32 v[179:180], v[2:3], v[20:21]
	v_mul_f64_e32 v[20:21], v[4:5], v[20:21]
	v_fma_f64 v[177:178], v[177:178], v[14:15], v[181:182]
	v_fma_f64 v[175:176], v[175:176], v[14:15], -v[16:17]
	scratch_load_b128 v[14:17], off, off offset:592
	v_add_f64_e32 v[181:182], v[187:188], v[185:186]
	v_add_f64_e32 v[173:174], v[173:174], v[183:184]
	s_wait_loadcnt_dscnt 0x800
	v_mul_f64_e32 v[183:184], v[169:170], v[24:25]
	v_mul_f64_e32 v[24:25], v[171:172], v[24:25]
	v_fma_f64 v[179:180], v[4:5], v[18:19], v[179:180]
	v_fma_f64 v[185:186], v[2:3], v[18:19], -v[20:21]
	ds_load_b128 v[2:5], v1 offset:1408
	scratch_load_b128 v[18:21], off, off offset:608
	v_add_f64_e32 v[181:182], v[181:182], v[175:176]
	v_add_f64_e32 v[177:178], v[173:174], v[177:178]
	ds_load_b128 v[173:176], v1 offset:1424
	s_wait_loadcnt_dscnt 0x801
	v_mul_f64_e32 v[187:188], v[2:3], v[28:29]
	v_mul_f64_e32 v[28:29], v[4:5], v[28:29]
	v_fma_f64 v[171:172], v[171:172], v[22:23], v[183:184]
	v_fma_f64 v[169:170], v[169:170], v[22:23], -v[24:25]
	scratch_load_b128 v[22:25], off, off offset:624
	;; [unrolled: 18-line block ×4, first 2 shown]
	s_wait_loadcnt_dscnt 0x800
	v_mul_f64_e32 v[181:182], v[173:174], v[8:9]
	v_mul_f64_e32 v[8:9], v[175:176], v[8:9]
	v_add_f64_e32 v[179:180], v[179:180], v[185:186]
	v_add_f64_e32 v[177:178], v[177:178], v[183:184]
	v_fma_f64 v[183:184], v[4:5], v[42:43], v[187:188]
	v_fma_f64 v[185:186], v[2:3], v[42:43], -v[44:45]
	ds_load_b128 v[2:5], v1 offset:1504
	scratch_load_b128 v[42:45], off, off offset:704
	v_fma_f64 v[175:176], v[175:176], v[6:7], v[181:182]
	v_fma_f64 v[173:174], v[173:174], v[6:7], -v[8:9]
	scratch_load_b128 v[6:9], off, off offset:720
	v_add_f64_e32 v[179:180], v[179:180], v[169:170]
	v_add_f64_e32 v[177:178], v[177:178], v[171:172]
	ds_load_b128 v[169:172], v1 offset:1520
	s_wait_loadcnt_dscnt 0x901
	v_mul_f64_e32 v[187:188], v[2:3], v[12:13]
	v_mul_f64_e32 v[12:13], v[4:5], v[12:13]
	s_wait_loadcnt_dscnt 0x800
	v_mul_f64_e32 v[181:182], v[169:170], v[16:17]
	v_mul_f64_e32 v[16:17], v[171:172], v[16:17]
	v_add_f64_e32 v[179:180], v[179:180], v[185:186]
	v_add_f64_e32 v[177:178], v[177:178], v[183:184]
	v_fma_f64 v[183:184], v[4:5], v[10:11], v[187:188]
	v_fma_f64 v[185:186], v[2:3], v[10:11], -v[12:13]
	ds_load_b128 v[2:5], v1 offset:1536
	scratch_load_b128 v[10:13], off, off offset:736
	v_fma_f64 v[171:172], v[171:172], v[14:15], v[181:182]
	v_fma_f64 v[169:170], v[169:170], v[14:15], -v[16:17]
	scratch_load_b128 v[14:17], off, off offset:752
	v_add_f64_e32 v[179:180], v[179:180], v[173:174]
	v_add_f64_e32 v[177:178], v[177:178], v[175:176]
	ds_load_b128 v[173:176], v1 offset:1552
	s_wait_loadcnt_dscnt 0x901
	v_mul_f64_e32 v[187:188], v[2:3], v[20:21]
	v_mul_f64_e32 v[20:21], v[4:5], v[20:21]
	;; [unrolled: 18-line block ×8, first 2 shown]
	s_wait_loadcnt_dscnt 0x800
	v_mul_f64_e32 v[181:182], v[173:174], v[32:33]
	v_mul_f64_e32 v[32:33], v[175:176], v[32:33]
	v_add_f64_e32 v[179:180], v[179:180], v[185:186]
	v_add_f64_e32 v[177:178], v[177:178], v[183:184]
	v_fma_f64 v[183:184], v[4:5], v[26:27], v[187:188]
	v_fma_f64 v[185:186], v[2:3], v[26:27], -v[28:29]
	ds_load_b128 v[2:5], v1 offset:1760
	ds_load_b128 v[26:29], v1 offset:1776
	v_fma_f64 v[175:176], v[175:176], v[30:31], v[181:182]
	v_fma_f64 v[30:31], v[173:174], v[30:31], -v[32:33]
	v_add_f64_e32 v[169:170], v[179:180], v[169:170]
	v_add_f64_e32 v[171:172], v[177:178], v[171:172]
	s_wait_loadcnt_dscnt 0x701
	v_mul_f64_e32 v[177:178], v[2:3], v[36:37]
	v_mul_f64_e32 v[36:37], v[4:5], v[36:37]
	s_delay_alu instid0(VALU_DEP_4) | instskip(NEXT) | instid1(VALU_DEP_4)
	v_add_f64_e32 v[32:33], v[169:170], v[185:186]
	v_add_f64_e32 v[169:170], v[171:172], v[183:184]
	s_wait_loadcnt_dscnt 0x600
	v_mul_f64_e32 v[171:172], v[26:27], v[40:41]
	v_mul_f64_e32 v[40:41], v[28:29], v[40:41]
	v_fma_f64 v[173:174], v[4:5], v[34:35], v[177:178]
	v_fma_f64 v[34:35], v[2:3], v[34:35], -v[36:37]
	v_add_f64_e32 v[36:37], v[32:33], v[30:31]
	v_add_f64_e32 v[169:170], v[169:170], v[175:176]
	ds_load_b128 v[2:5], v1 offset:1792
	ds_load_b128 v[30:33], v1 offset:1808
	v_fma_f64 v[28:29], v[28:29], v[38:39], v[171:172]
	v_fma_f64 v[26:27], v[26:27], v[38:39], -v[40:41]
	s_wait_loadcnt_dscnt 0x501
	v_mul_f64_e32 v[175:176], v[2:3], v[44:45]
	v_mul_f64_e32 v[44:45], v[4:5], v[44:45]
	s_wait_loadcnt_dscnt 0x400
	v_mul_f64_e32 v[38:39], v[30:31], v[8:9]
	v_mul_f64_e32 v[8:9], v[32:33], v[8:9]
	v_add_f64_e32 v[34:35], v[36:37], v[34:35]
	v_add_f64_e32 v[36:37], v[169:170], v[173:174]
	v_fma_f64 v[40:41], v[4:5], v[42:43], v[175:176]
	v_fma_f64 v[42:43], v[2:3], v[42:43], -v[44:45]
	v_fma_f64 v[32:33], v[32:33], v[6:7], v[38:39]
	v_fma_f64 v[6:7], v[30:31], v[6:7], -v[8:9]
	v_add_f64_e32 v[34:35], v[34:35], v[26:27]
	v_add_f64_e32 v[36:37], v[36:37], v[28:29]
	ds_load_b128 v[2:5], v1 offset:1824
	ds_load_b128 v[26:29], v1 offset:1840
	s_wait_loadcnt_dscnt 0x301
	v_mul_f64_e32 v[44:45], v[2:3], v[12:13]
	v_mul_f64_e32 v[12:13], v[4:5], v[12:13]
	v_add_f64_e32 v[8:9], v[34:35], v[42:43]
	v_add_f64_e32 v[30:31], v[36:37], v[40:41]
	s_wait_loadcnt_dscnt 0x200
	v_mul_f64_e32 v[34:35], v[26:27], v[16:17]
	v_mul_f64_e32 v[16:17], v[28:29], v[16:17]
	v_fma_f64 v[36:37], v[4:5], v[10:11], v[44:45]
	v_fma_f64 v[10:11], v[2:3], v[10:11], -v[12:13]
	v_add_f64_e32 v[12:13], v[8:9], v[6:7]
	v_add_f64_e32 v[30:31], v[30:31], v[32:33]
	ds_load_b128 v[2:5], v1 offset:1856
	ds_load_b128 v[6:9], v1 offset:1872
	v_fma_f64 v[28:29], v[28:29], v[14:15], v[34:35]
	v_fma_f64 v[14:15], v[26:27], v[14:15], -v[16:17]
	s_wait_loadcnt_dscnt 0x101
	v_mul_f64_e32 v[32:33], v[2:3], v[20:21]
	v_mul_f64_e32 v[20:21], v[4:5], v[20:21]
	s_wait_loadcnt_dscnt 0x0
	v_mul_f64_e32 v[16:17], v[6:7], v[24:25]
	v_mul_f64_e32 v[24:25], v[8:9], v[24:25]
	v_add_f64_e32 v[10:11], v[12:13], v[10:11]
	v_add_f64_e32 v[12:13], v[30:31], v[36:37]
	v_fma_f64 v[4:5], v[4:5], v[18:19], v[32:33]
	v_fma_f64 v[1:2], v[2:3], v[18:19], -v[20:21]
	v_fma_f64 v[8:9], v[8:9], v[22:23], v[16:17]
	v_fma_f64 v[6:7], v[6:7], v[22:23], -v[24:25]
	v_add_f64_e32 v[10:11], v[10:11], v[14:15]
	v_add_f64_e32 v[12:13], v[12:13], v[28:29]
	s_delay_alu instid0(VALU_DEP_2) | instskip(NEXT) | instid1(VALU_DEP_2)
	v_add_f64_e32 v[1:2], v[10:11], v[1:2]
	v_add_f64_e32 v[3:4], v[12:13], v[4:5]
	s_delay_alu instid0(VALU_DEP_2) | instskip(NEXT) | instid1(VALU_DEP_2)
	;; [unrolled: 3-line block ×3, first 2 shown]
	v_add_f64_e64 v[1:2], v[165:166], -v[1:2]
	v_add_f64_e64 v[3:4], v[167:168], -v[3:4]
	scratch_store_b128 off, v[1:4], off offset:208
	v_cmpx_lt_u32_e32 11, v0
	s_cbranch_execz .LBB122_345
; %bb.344:
	scratch_load_b128 v[1:4], off, s61
	v_mov_b32_e32 v5, 0
	s_delay_alu instid0(VALU_DEP_1)
	v_dual_mov_b32 v6, v5 :: v_dual_mov_b32 v7, v5
	v_mov_b32_e32 v8, v5
	scratch_store_b128 off, v[5:8], off offset:192
	s_wait_loadcnt 0x0
	ds_store_b128 v164, v[1:4]
.LBB122_345:
	s_wait_alu 0xfffe
	s_or_b32 exec_lo, exec_lo, s0
	s_wait_storecnt_dscnt 0x0
	s_barrier_signal -1
	s_barrier_wait -1
	global_inv scope:SCOPE_SE
	s_clause 0x7
	scratch_load_b128 v[2:5], off, off offset:208
	scratch_load_b128 v[6:9], off, off offset:224
	;; [unrolled: 1-line block ×8, first 2 shown]
	v_mov_b32_e32 v1, 0
	s_mov_b32 s0, exec_lo
	ds_load_b128 v[38:41], v1 offset:1136
	s_clause 0x1
	scratch_load_b128 v[34:37], off, off offset:336
	scratch_load_b128 v[42:45], off, off offset:192
	ds_load_b128 v[165:168], v1 offset:1152
	scratch_load_b128 v[169:172], off, off offset:352
	s_wait_loadcnt_dscnt 0xa01
	v_mul_f64_e32 v[173:174], v[40:41], v[4:5]
	v_mul_f64_e32 v[4:5], v[38:39], v[4:5]
	s_delay_alu instid0(VALU_DEP_2) | instskip(NEXT) | instid1(VALU_DEP_2)
	v_fma_f64 v[179:180], v[38:39], v[2:3], -v[173:174]
	v_fma_f64 v[181:182], v[40:41], v[2:3], v[4:5]
	ds_load_b128 v[2:5], v1 offset:1168
	s_wait_loadcnt_dscnt 0x901
	v_mul_f64_e32 v[177:178], v[165:166], v[8:9]
	v_mul_f64_e32 v[8:9], v[167:168], v[8:9]
	scratch_load_b128 v[38:41], off, off offset:368
	ds_load_b128 v[173:176], v1 offset:1184
	s_wait_loadcnt_dscnt 0x901
	v_mul_f64_e32 v[183:184], v[2:3], v[12:13]
	v_mul_f64_e32 v[12:13], v[4:5], v[12:13]
	v_fma_f64 v[167:168], v[167:168], v[6:7], v[177:178]
	v_fma_f64 v[165:166], v[165:166], v[6:7], -v[8:9]
	v_add_f64_e32 v[177:178], 0, v[179:180]
	v_add_f64_e32 v[179:180], 0, v[181:182]
	scratch_load_b128 v[6:9], off, off offset:384
	v_fma_f64 v[183:184], v[4:5], v[10:11], v[183:184]
	v_fma_f64 v[185:186], v[2:3], v[10:11], -v[12:13]
	ds_load_b128 v[2:5], v1 offset:1200
	s_wait_loadcnt_dscnt 0x901
	v_mul_f64_e32 v[181:182], v[173:174], v[16:17]
	v_mul_f64_e32 v[16:17], v[175:176], v[16:17]
	scratch_load_b128 v[10:13], off, off offset:400
	v_add_f64_e32 v[177:178], v[177:178], v[165:166]
	v_add_f64_e32 v[179:180], v[179:180], v[167:168]
	s_wait_loadcnt_dscnt 0x900
	v_mul_f64_e32 v[187:188], v[2:3], v[20:21]
	v_mul_f64_e32 v[20:21], v[4:5], v[20:21]
	ds_load_b128 v[165:168], v1 offset:1216
	v_fma_f64 v[175:176], v[175:176], v[14:15], v[181:182]
	v_fma_f64 v[173:174], v[173:174], v[14:15], -v[16:17]
	scratch_load_b128 v[14:17], off, off offset:416
	v_add_f64_e32 v[177:178], v[177:178], v[185:186]
	v_add_f64_e32 v[179:180], v[179:180], v[183:184]
	v_fma_f64 v[183:184], v[4:5], v[18:19], v[187:188]
	v_fma_f64 v[185:186], v[2:3], v[18:19], -v[20:21]
	ds_load_b128 v[2:5], v1 offset:1232
	s_wait_loadcnt_dscnt 0x901
	v_mul_f64_e32 v[181:182], v[165:166], v[24:25]
	v_mul_f64_e32 v[24:25], v[167:168], v[24:25]
	scratch_load_b128 v[18:21], off, off offset:432
	s_wait_loadcnt_dscnt 0x900
	v_mul_f64_e32 v[187:188], v[2:3], v[28:29]
	v_mul_f64_e32 v[28:29], v[4:5], v[28:29]
	v_add_f64_e32 v[177:178], v[177:178], v[173:174]
	v_add_f64_e32 v[179:180], v[179:180], v[175:176]
	ds_load_b128 v[173:176], v1 offset:1248
	v_fma_f64 v[167:168], v[167:168], v[22:23], v[181:182]
	v_fma_f64 v[165:166], v[165:166], v[22:23], -v[24:25]
	scratch_load_b128 v[22:25], off, off offset:448
	v_add_f64_e32 v[177:178], v[177:178], v[185:186]
	v_add_f64_e32 v[179:180], v[179:180], v[183:184]
	v_fma_f64 v[183:184], v[4:5], v[26:27], v[187:188]
	v_fma_f64 v[185:186], v[2:3], v[26:27], -v[28:29]
	ds_load_b128 v[2:5], v1 offset:1264
	s_wait_loadcnt_dscnt 0x901
	v_mul_f64_e32 v[181:182], v[173:174], v[32:33]
	v_mul_f64_e32 v[32:33], v[175:176], v[32:33]
	scratch_load_b128 v[26:29], off, off offset:464
	s_wait_loadcnt_dscnt 0x900
	v_mul_f64_e32 v[187:188], v[2:3], v[36:37]
	v_mul_f64_e32 v[36:37], v[4:5], v[36:37]
	v_add_f64_e32 v[177:178], v[177:178], v[165:166]
	v_add_f64_e32 v[179:180], v[179:180], v[167:168]
	ds_load_b128 v[165:168], v1 offset:1280
	v_fma_f64 v[175:176], v[175:176], v[30:31], v[181:182]
	v_fma_f64 v[173:174], v[173:174], v[30:31], -v[32:33]
	scratch_load_b128 v[30:33], off, off offset:480
	v_add_f64_e32 v[177:178], v[177:178], v[185:186]
	v_add_f64_e32 v[179:180], v[179:180], v[183:184]
	v_fma_f64 v[185:186], v[4:5], v[34:35], v[187:188]
	v_fma_f64 v[187:188], v[2:3], v[34:35], -v[36:37]
	ds_load_b128 v[2:5], v1 offset:1296
	s_wait_loadcnt_dscnt 0x801
	v_mul_f64_e32 v[181:182], v[165:166], v[171:172]
	v_mul_f64_e32 v[183:184], v[167:168], v[171:172]
	scratch_load_b128 v[34:37], off, off offset:496
	v_add_f64_e32 v[177:178], v[177:178], v[173:174]
	v_add_f64_e32 v[175:176], v[179:180], v[175:176]
	ds_load_b128 v[171:174], v1 offset:1312
	v_fma_f64 v[181:182], v[167:168], v[169:170], v[181:182]
	v_fma_f64 v[169:170], v[165:166], v[169:170], -v[183:184]
	scratch_load_b128 v[165:168], off, off offset:512
	s_wait_loadcnt_dscnt 0x901
	v_mul_f64_e32 v[179:180], v[2:3], v[40:41]
	v_mul_f64_e32 v[40:41], v[4:5], v[40:41]
	v_add_f64_e32 v[177:178], v[177:178], v[187:188]
	v_add_f64_e32 v[175:176], v[175:176], v[185:186]
	s_delay_alu instid0(VALU_DEP_4) | instskip(NEXT) | instid1(VALU_DEP_4)
	v_fma_f64 v[179:180], v[4:5], v[38:39], v[179:180]
	v_fma_f64 v[185:186], v[2:3], v[38:39], -v[40:41]
	ds_load_b128 v[2:5], v1 offset:1328
	s_wait_loadcnt_dscnt 0x801
	v_mul_f64_e32 v[183:184], v[171:172], v[8:9]
	v_mul_f64_e32 v[8:9], v[173:174], v[8:9]
	scratch_load_b128 v[38:41], off, off offset:528
	s_wait_loadcnt_dscnt 0x800
	v_mul_f64_e32 v[187:188], v[2:3], v[12:13]
	v_add_f64_e32 v[169:170], v[177:178], v[169:170]
	v_add_f64_e32 v[181:182], v[175:176], v[181:182]
	v_mul_f64_e32 v[12:13], v[4:5], v[12:13]
	ds_load_b128 v[175:178], v1 offset:1344
	v_fma_f64 v[173:174], v[173:174], v[6:7], v[183:184]
	v_fma_f64 v[171:172], v[171:172], v[6:7], -v[8:9]
	scratch_load_b128 v[6:9], off, off offset:544
	v_fma_f64 v[183:184], v[4:5], v[10:11], v[187:188]
	v_add_f64_e32 v[169:170], v[169:170], v[185:186]
	v_add_f64_e32 v[179:180], v[181:182], v[179:180]
	v_fma_f64 v[185:186], v[2:3], v[10:11], -v[12:13]
	ds_load_b128 v[2:5], v1 offset:1360
	s_wait_loadcnt_dscnt 0x801
	v_mul_f64_e32 v[181:182], v[175:176], v[16:17]
	v_mul_f64_e32 v[16:17], v[177:178], v[16:17]
	scratch_load_b128 v[10:13], off, off offset:560
	v_add_f64_e32 v[187:188], v[169:170], v[171:172]
	v_add_f64_e32 v[173:174], v[179:180], v[173:174]
	s_wait_loadcnt_dscnt 0x800
	v_mul_f64_e32 v[179:180], v[2:3], v[20:21]
	v_mul_f64_e32 v[20:21], v[4:5], v[20:21]
	v_fma_f64 v[177:178], v[177:178], v[14:15], v[181:182]
	v_fma_f64 v[175:176], v[175:176], v[14:15], -v[16:17]
	ds_load_b128 v[169:172], v1 offset:1376
	scratch_load_b128 v[14:17], off, off offset:576
	v_add_f64_e32 v[181:182], v[187:188], v[185:186]
	v_add_f64_e32 v[173:174], v[173:174], v[183:184]
	v_fma_f64 v[179:180], v[4:5], v[18:19], v[179:180]
	v_fma_f64 v[185:186], v[2:3], v[18:19], -v[20:21]
	ds_load_b128 v[2:5], v1 offset:1392
	s_wait_loadcnt_dscnt 0x801
	v_mul_f64_e32 v[183:184], v[169:170], v[24:25]
	v_mul_f64_e32 v[24:25], v[171:172], v[24:25]
	scratch_load_b128 v[18:21], off, off offset:592
	s_wait_loadcnt_dscnt 0x800
	v_mul_f64_e32 v[187:188], v[2:3], v[28:29]
	v_mul_f64_e32 v[28:29], v[4:5], v[28:29]
	v_add_f64_e32 v[181:182], v[181:182], v[175:176]
	v_add_f64_e32 v[177:178], v[173:174], v[177:178]
	ds_load_b128 v[173:176], v1 offset:1408
	v_fma_f64 v[171:172], v[171:172], v[22:23], v[183:184]
	v_fma_f64 v[169:170], v[169:170], v[22:23], -v[24:25]
	scratch_load_b128 v[22:25], off, off offset:608
	v_fma_f64 v[183:184], v[4:5], v[26:27], v[187:188]
	v_add_f64_e32 v[181:182], v[181:182], v[185:186]
	v_add_f64_e32 v[177:178], v[177:178], v[179:180]
	v_fma_f64 v[185:186], v[2:3], v[26:27], -v[28:29]
	ds_load_b128 v[2:5], v1 offset:1424
	s_wait_loadcnt_dscnt 0x801
	v_mul_f64_e32 v[179:180], v[173:174], v[32:33]
	v_mul_f64_e32 v[32:33], v[175:176], v[32:33]
	scratch_load_b128 v[26:29], off, off offset:624
	s_wait_loadcnt_dscnt 0x800
	v_mul_f64_e32 v[187:188], v[2:3], v[36:37]
	v_mul_f64_e32 v[36:37], v[4:5], v[36:37]
	v_add_f64_e32 v[181:182], v[181:182], v[169:170]
	v_add_f64_e32 v[177:178], v[177:178], v[171:172]
	ds_load_b128 v[169:172], v1 offset:1440
	v_fma_f64 v[175:176], v[175:176], v[30:31], v[179:180]
	v_fma_f64 v[173:174], v[173:174], v[30:31], -v[32:33]
	scratch_load_b128 v[30:33], off, off offset:640
	v_add_f64_e32 v[179:180], v[181:182], v[185:186]
	v_add_f64_e32 v[177:178], v[177:178], v[183:184]
	v_fma_f64 v[183:184], v[4:5], v[34:35], v[187:188]
	v_fma_f64 v[185:186], v[2:3], v[34:35], -v[36:37]
	ds_load_b128 v[2:5], v1 offset:1456
	s_wait_loadcnt_dscnt 0x801
	v_mul_f64_e32 v[181:182], v[169:170], v[167:168]
	v_mul_f64_e32 v[167:168], v[171:172], v[167:168]
	scratch_load_b128 v[34:37], off, off offset:656
	s_wait_loadcnt_dscnt 0x800
	v_mul_f64_e32 v[187:188], v[2:3], v[40:41]
	v_mul_f64_e32 v[40:41], v[4:5], v[40:41]
	v_add_f64_e32 v[179:180], v[179:180], v[173:174]
	v_add_f64_e32 v[177:178], v[177:178], v[175:176]
	ds_load_b128 v[173:176], v1 offset:1472
	v_fma_f64 v[171:172], v[171:172], v[165:166], v[181:182]
	v_fma_f64 v[169:170], v[169:170], v[165:166], -v[167:168]
	scratch_load_b128 v[165:168], off, off offset:672
	v_add_f64_e32 v[179:180], v[179:180], v[185:186]
	v_add_f64_e32 v[177:178], v[177:178], v[183:184]
	v_fma_f64 v[183:184], v[4:5], v[38:39], v[187:188]
	;; [unrolled: 18-line block ×6, first 2 shown]
	v_fma_f64 v[187:188], v[2:3], v[34:35], -v[36:37]
	ds_load_b128 v[2:5], v1 offset:1616
	s_wait_loadcnt_dscnt 0x801
	v_mul_f64_e32 v[181:182], v[173:174], v[167:168]
	v_mul_f64_e32 v[183:184], v[175:176], v[167:168]
	scratch_load_b128 v[34:37], off, off offset:816
	v_add_f64_e32 v[179:180], v[179:180], v[169:170]
	v_add_f64_e32 v[171:172], v[177:178], v[171:172]
	s_wait_loadcnt_dscnt 0x800
	v_mul_f64_e32 v[177:178], v[2:3], v[40:41]
	v_mul_f64_e32 v[40:41], v[4:5], v[40:41]
	ds_load_b128 v[167:170], v1 offset:1632
	v_fma_f64 v[175:176], v[175:176], v[165:166], v[181:182]
	v_fma_f64 v[165:166], v[173:174], v[165:166], -v[183:184]
	v_add_f64_e32 v[179:180], v[179:180], v[187:188]
	v_add_f64_e32 v[181:182], v[171:172], v[185:186]
	scratch_load_b128 v[171:174], off, off offset:832
	v_fma_f64 v[185:186], v[4:5], v[38:39], v[177:178]
	v_fma_f64 v[187:188], v[2:3], v[38:39], -v[40:41]
	ds_load_b128 v[2:5], v1 offset:1648
	s_wait_loadcnt_dscnt 0x801
	v_mul_f64_e32 v[183:184], v[167:168], v[8:9]
	v_mul_f64_e32 v[8:9], v[169:170], v[8:9]
	scratch_load_b128 v[38:41], off, off offset:848
	v_add_f64_e32 v[165:166], v[179:180], v[165:166]
	v_add_f64_e32 v[179:180], v[181:182], v[175:176]
	s_wait_loadcnt_dscnt 0x800
	v_mul_f64_e32 v[181:182], v[2:3], v[12:13]
	v_mul_f64_e32 v[12:13], v[4:5], v[12:13]
	ds_load_b128 v[175:178], v1 offset:1664
	v_fma_f64 v[169:170], v[169:170], v[6:7], v[183:184]
	v_fma_f64 v[167:168], v[167:168], v[6:7], -v[8:9]
	scratch_load_b128 v[6:9], off, off offset:864
	v_add_f64_e32 v[165:166], v[165:166], v[187:188]
	v_add_f64_e32 v[179:180], v[179:180], v[185:186]
	v_fma_f64 v[181:182], v[4:5], v[10:11], v[181:182]
	v_fma_f64 v[185:186], v[2:3], v[10:11], -v[12:13]
	ds_load_b128 v[2:5], v1 offset:1680
	s_wait_loadcnt_dscnt 0x801
	v_mul_f64_e32 v[183:184], v[175:176], v[16:17]
	v_mul_f64_e32 v[16:17], v[177:178], v[16:17]
	scratch_load_b128 v[10:13], off, off offset:880
	v_add_f64_e32 v[187:188], v[165:166], v[167:168]
	v_add_f64_e32 v[169:170], v[179:180], v[169:170]
	s_wait_loadcnt_dscnt 0x800
	v_mul_f64_e32 v[179:180], v[2:3], v[20:21]
	v_mul_f64_e32 v[20:21], v[4:5], v[20:21]
	ds_load_b128 v[165:168], v1 offset:1696
	v_fma_f64 v[177:178], v[177:178], v[14:15], v[183:184]
	v_fma_f64 v[175:176], v[175:176], v[14:15], -v[16:17]
	scratch_load_b128 v[14:17], off, off offset:896
	v_add_f64_e32 v[183:184], v[187:188], v[185:186]
	v_add_f64_e32 v[169:170], v[169:170], v[181:182]
	v_fma_f64 v[179:180], v[4:5], v[18:19], v[179:180]
	v_fma_f64 v[185:186], v[2:3], v[18:19], -v[20:21]
	ds_load_b128 v[2:5], v1 offset:1712
	s_wait_loadcnt_dscnt 0x801
	v_mul_f64_e32 v[181:182], v[165:166], v[24:25]
	v_mul_f64_e32 v[24:25], v[167:168], v[24:25]
	scratch_load_b128 v[18:21], off, off offset:912
	s_wait_loadcnt_dscnt 0x800
	v_mul_f64_e32 v[187:188], v[2:3], v[28:29]
	v_mul_f64_e32 v[28:29], v[4:5], v[28:29]
	v_add_f64_e32 v[183:184], v[183:184], v[175:176]
	v_add_f64_e32 v[169:170], v[169:170], v[177:178]
	ds_load_b128 v[175:178], v1 offset:1728
	v_fma_f64 v[167:168], v[167:168], v[22:23], v[181:182]
	v_fma_f64 v[165:166], v[165:166], v[22:23], -v[24:25]
	scratch_load_b128 v[22:25], off, off offset:928
	v_add_f64_e32 v[181:182], v[183:184], v[185:186]
	v_add_f64_e32 v[169:170], v[169:170], v[179:180]
	v_fma_f64 v[183:184], v[4:5], v[26:27], v[187:188]
	v_fma_f64 v[185:186], v[2:3], v[26:27], -v[28:29]
	ds_load_b128 v[2:5], v1 offset:1744
	s_wait_loadcnt_dscnt 0x801
	v_mul_f64_e32 v[179:180], v[175:176], v[32:33]
	v_mul_f64_e32 v[32:33], v[177:178], v[32:33]
	scratch_load_b128 v[26:29], off, off offset:944
	s_wait_loadcnt_dscnt 0x800
	v_mul_f64_e32 v[187:188], v[2:3], v[36:37]
	v_mul_f64_e32 v[36:37], v[4:5], v[36:37]
	v_add_f64_e32 v[181:182], v[181:182], v[165:166]
	v_add_f64_e32 v[169:170], v[169:170], v[167:168]
	ds_load_b128 v[165:168], v1 offset:1760
	v_fma_f64 v[177:178], v[177:178], v[30:31], v[179:180]
	v_fma_f64 v[30:31], v[175:176], v[30:31], -v[32:33]
	v_fma_f64 v[179:180], v[4:5], v[34:35], v[187:188]
	v_fma_f64 v[34:35], v[2:3], v[34:35], -v[36:37]
	v_add_f64_e32 v[32:33], v[181:182], v[185:186]
	v_add_f64_e32 v[169:170], v[169:170], v[183:184]
	s_wait_loadcnt_dscnt 0x700
	v_mul_f64_e32 v[175:176], v[165:166], v[173:174]
	v_mul_f64_e32 v[173:174], v[167:168], v[173:174]
	s_delay_alu instid0(VALU_DEP_4) | instskip(NEXT) | instid1(VALU_DEP_4)
	v_add_f64_e32 v[36:37], v[32:33], v[30:31]
	v_add_f64_e32 v[169:170], v[169:170], v[177:178]
	ds_load_b128 v[2:5], v1 offset:1776
	ds_load_b128 v[30:33], v1 offset:1792
	v_fma_f64 v[167:168], v[167:168], v[171:172], v[175:176]
	v_fma_f64 v[165:166], v[165:166], v[171:172], -v[173:174]
	s_wait_loadcnt_dscnt 0x601
	v_mul_f64_e32 v[177:178], v[2:3], v[40:41]
	v_mul_f64_e32 v[40:41], v[4:5], v[40:41]
	v_add_f64_e32 v[34:35], v[36:37], v[34:35]
	v_add_f64_e32 v[36:37], v[169:170], v[179:180]
	s_wait_loadcnt_dscnt 0x500
	v_mul_f64_e32 v[169:170], v[30:31], v[8:9]
	v_mul_f64_e32 v[8:9], v[32:33], v[8:9]
	v_fma_f64 v[171:172], v[4:5], v[38:39], v[177:178]
	v_fma_f64 v[38:39], v[2:3], v[38:39], -v[40:41]
	v_add_f64_e32 v[40:41], v[34:35], v[165:166]
	v_add_f64_e32 v[165:166], v[36:37], v[167:168]
	ds_load_b128 v[2:5], v1 offset:1808
	ds_load_b128 v[34:37], v1 offset:1824
	v_fma_f64 v[32:33], v[32:33], v[6:7], v[169:170]
	v_fma_f64 v[6:7], v[30:31], v[6:7], -v[8:9]
	s_wait_loadcnt_dscnt 0x401
	v_mul_f64_e32 v[167:168], v[2:3], v[12:13]
	v_mul_f64_e32 v[12:13], v[4:5], v[12:13]
	v_add_f64_e32 v[8:9], v[40:41], v[38:39]
	v_add_f64_e32 v[30:31], v[165:166], v[171:172]
	s_wait_loadcnt_dscnt 0x300
	v_mul_f64_e32 v[38:39], v[34:35], v[16:17]
	v_mul_f64_e32 v[16:17], v[36:37], v[16:17]
	v_fma_f64 v[40:41], v[4:5], v[10:11], v[167:168]
	v_fma_f64 v[10:11], v[2:3], v[10:11], -v[12:13]
	v_add_f64_e32 v[12:13], v[8:9], v[6:7]
	v_add_f64_e32 v[30:31], v[30:31], v[32:33]
	ds_load_b128 v[2:5], v1 offset:1840
	ds_load_b128 v[6:9], v1 offset:1856
	v_fma_f64 v[36:37], v[36:37], v[14:15], v[38:39]
	v_fma_f64 v[14:15], v[34:35], v[14:15], -v[16:17]
	s_wait_loadcnt_dscnt 0x201
	v_mul_f64_e32 v[32:33], v[2:3], v[20:21]
	v_mul_f64_e32 v[20:21], v[4:5], v[20:21]
	s_wait_loadcnt_dscnt 0x100
	v_mul_f64_e32 v[16:17], v[6:7], v[24:25]
	v_mul_f64_e32 v[24:25], v[8:9], v[24:25]
	v_add_f64_e32 v[10:11], v[12:13], v[10:11]
	v_add_f64_e32 v[12:13], v[30:31], v[40:41]
	v_fma_f64 v[30:31], v[4:5], v[18:19], v[32:33]
	v_fma_f64 v[18:19], v[2:3], v[18:19], -v[20:21]
	ds_load_b128 v[2:5], v1 offset:1872
	v_fma_f64 v[8:9], v[8:9], v[22:23], v[16:17]
	v_fma_f64 v[6:7], v[6:7], v[22:23], -v[24:25]
	v_add_f64_e32 v[10:11], v[10:11], v[14:15]
	v_add_f64_e32 v[12:13], v[12:13], v[36:37]
	s_wait_loadcnt_dscnt 0x0
	v_mul_f64_e32 v[14:15], v[2:3], v[28:29]
	v_mul_f64_e32 v[20:21], v[4:5], v[28:29]
	s_delay_alu instid0(VALU_DEP_4) | instskip(NEXT) | instid1(VALU_DEP_4)
	v_add_f64_e32 v[10:11], v[10:11], v[18:19]
	v_add_f64_e32 v[12:13], v[12:13], v[30:31]
	s_delay_alu instid0(VALU_DEP_4) | instskip(NEXT) | instid1(VALU_DEP_4)
	v_fma_f64 v[4:5], v[4:5], v[26:27], v[14:15]
	v_fma_f64 v[2:3], v[2:3], v[26:27], -v[20:21]
	s_delay_alu instid0(VALU_DEP_4) | instskip(NEXT) | instid1(VALU_DEP_4)
	v_add_f64_e32 v[6:7], v[10:11], v[6:7]
	v_add_f64_e32 v[8:9], v[12:13], v[8:9]
	s_delay_alu instid0(VALU_DEP_2) | instskip(NEXT) | instid1(VALU_DEP_2)
	v_add_f64_e32 v[2:3], v[6:7], v[2:3]
	v_add_f64_e32 v[4:5], v[8:9], v[4:5]
	s_delay_alu instid0(VALU_DEP_2) | instskip(NEXT) | instid1(VALU_DEP_2)
	v_add_f64_e64 v[2:3], v[42:43], -v[2:3]
	v_add_f64_e64 v[4:5], v[44:45], -v[4:5]
	scratch_store_b128 off, v[2:5], off offset:192
	v_cmpx_lt_u32_e32 10, v0
	s_cbranch_execz .LBB122_347
; %bb.346:
	scratch_load_b128 v[5:8], off, s62
	v_dual_mov_b32 v2, v1 :: v_dual_mov_b32 v3, v1
	v_mov_b32_e32 v4, v1
	scratch_store_b128 off, v[1:4], off offset:176
	s_wait_loadcnt 0x0
	ds_store_b128 v164, v[5:8]
.LBB122_347:
	s_wait_alu 0xfffe
	s_or_b32 exec_lo, exec_lo, s0
	s_wait_storecnt_dscnt 0x0
	s_barrier_signal -1
	s_barrier_wait -1
	global_inv scope:SCOPE_SE
	s_clause 0x8
	scratch_load_b128 v[2:5], off, off offset:192
	scratch_load_b128 v[6:9], off, off offset:208
	scratch_load_b128 v[10:13], off, off offset:224
	scratch_load_b128 v[14:17], off, off offset:240
	scratch_load_b128 v[18:21], off, off offset:256
	scratch_load_b128 v[22:25], off, off offset:272
	scratch_load_b128 v[26:29], off, off offset:288
	scratch_load_b128 v[30:33], off, off offset:304
	scratch_load_b128 v[34:37], off, off offset:320
	ds_load_b128 v[42:45], v1 offset:1120
	ds_load_b128 v[38:41], v1 offset:1136
	s_clause 0x1
	scratch_load_b128 v[165:168], off, off offset:176
	scratch_load_b128 v[169:172], off, off offset:336
	s_mov_b32 s0, exec_lo
	s_wait_loadcnt_dscnt 0xa01
	v_mul_f64_e32 v[173:174], v[44:45], v[4:5]
	v_mul_f64_e32 v[4:5], v[42:43], v[4:5]
	s_wait_loadcnt_dscnt 0x900
	v_mul_f64_e32 v[177:178], v[38:39], v[8:9]
	v_mul_f64_e32 v[8:9], v[40:41], v[8:9]
	s_delay_alu instid0(VALU_DEP_4) | instskip(NEXT) | instid1(VALU_DEP_4)
	v_fma_f64 v[179:180], v[42:43], v[2:3], -v[173:174]
	v_fma_f64 v[181:182], v[44:45], v[2:3], v[4:5]
	ds_load_b128 v[2:5], v1 offset:1152
	ds_load_b128 v[173:176], v1 offset:1168
	scratch_load_b128 v[42:45], off, off offset:352
	v_fma_f64 v[40:41], v[40:41], v[6:7], v[177:178]
	v_fma_f64 v[38:39], v[38:39], v[6:7], -v[8:9]
	scratch_load_b128 v[6:9], off, off offset:368
	s_wait_loadcnt_dscnt 0xa01
	v_mul_f64_e32 v[183:184], v[2:3], v[12:13]
	v_mul_f64_e32 v[12:13], v[4:5], v[12:13]
	v_add_f64_e32 v[177:178], 0, v[179:180]
	v_add_f64_e32 v[179:180], 0, v[181:182]
	s_wait_loadcnt_dscnt 0x900
	v_mul_f64_e32 v[181:182], v[173:174], v[16:17]
	v_mul_f64_e32 v[16:17], v[175:176], v[16:17]
	v_fma_f64 v[183:184], v[4:5], v[10:11], v[183:184]
	v_fma_f64 v[185:186], v[2:3], v[10:11], -v[12:13]
	ds_load_b128 v[2:5], v1 offset:1184
	scratch_load_b128 v[10:13], off, off offset:384
	v_add_f64_e32 v[177:178], v[177:178], v[38:39]
	v_add_f64_e32 v[179:180], v[179:180], v[40:41]
	ds_load_b128 v[38:41], v1 offset:1200
	v_fma_f64 v[175:176], v[175:176], v[14:15], v[181:182]
	v_fma_f64 v[173:174], v[173:174], v[14:15], -v[16:17]
	scratch_load_b128 v[14:17], off, off offset:400
	s_wait_loadcnt_dscnt 0xa01
	v_mul_f64_e32 v[187:188], v[2:3], v[20:21]
	v_mul_f64_e32 v[20:21], v[4:5], v[20:21]
	s_wait_loadcnt_dscnt 0x900
	v_mul_f64_e32 v[181:182], v[38:39], v[24:25]
	v_mul_f64_e32 v[24:25], v[40:41], v[24:25]
	v_add_f64_e32 v[177:178], v[177:178], v[185:186]
	v_add_f64_e32 v[179:180], v[179:180], v[183:184]
	v_fma_f64 v[183:184], v[4:5], v[18:19], v[187:188]
	v_fma_f64 v[185:186], v[2:3], v[18:19], -v[20:21]
	ds_load_b128 v[2:5], v1 offset:1216
	scratch_load_b128 v[18:21], off, off offset:416
	v_fma_f64 v[40:41], v[40:41], v[22:23], v[181:182]
	v_fma_f64 v[38:39], v[38:39], v[22:23], -v[24:25]
	scratch_load_b128 v[22:25], off, off offset:432
	v_add_f64_e32 v[177:178], v[177:178], v[173:174]
	v_add_f64_e32 v[179:180], v[179:180], v[175:176]
	ds_load_b128 v[173:176], v1 offset:1232
	s_wait_loadcnt_dscnt 0xa01
	v_mul_f64_e32 v[187:188], v[2:3], v[28:29]
	v_mul_f64_e32 v[28:29], v[4:5], v[28:29]
	s_wait_loadcnt_dscnt 0x900
	v_mul_f64_e32 v[181:182], v[173:174], v[32:33]
	v_mul_f64_e32 v[32:33], v[175:176], v[32:33]
	v_add_f64_e32 v[177:178], v[177:178], v[185:186]
	v_add_f64_e32 v[179:180], v[179:180], v[183:184]
	v_fma_f64 v[183:184], v[4:5], v[26:27], v[187:188]
	v_fma_f64 v[185:186], v[2:3], v[26:27], -v[28:29]
	ds_load_b128 v[2:5], v1 offset:1248
	scratch_load_b128 v[26:29], off, off offset:448
	v_fma_f64 v[175:176], v[175:176], v[30:31], v[181:182]
	v_fma_f64 v[173:174], v[173:174], v[30:31], -v[32:33]
	scratch_load_b128 v[30:33], off, off offset:464
	v_add_f64_e32 v[177:178], v[177:178], v[38:39]
	v_add_f64_e32 v[179:180], v[179:180], v[40:41]
	ds_load_b128 v[38:41], v1 offset:1264
	s_wait_loadcnt_dscnt 0xa01
	v_mul_f64_e32 v[187:188], v[2:3], v[36:37]
	v_mul_f64_e32 v[36:37], v[4:5], v[36:37]
	s_wait_loadcnt_dscnt 0x800
	v_mul_f64_e32 v[181:182], v[38:39], v[171:172]
	v_add_f64_e32 v[177:178], v[177:178], v[185:186]
	v_add_f64_e32 v[179:180], v[179:180], v[183:184]
	v_mul_f64_e32 v[183:184], v[40:41], v[171:172]
	v_fma_f64 v[185:186], v[4:5], v[34:35], v[187:188]
	v_fma_f64 v[187:188], v[2:3], v[34:35], -v[36:37]
	ds_load_b128 v[2:5], v1 offset:1280
	scratch_load_b128 v[34:37], off, off offset:480
	v_fma_f64 v[181:182], v[40:41], v[169:170], v[181:182]
	v_add_f64_e32 v[177:178], v[177:178], v[173:174]
	v_add_f64_e32 v[175:176], v[179:180], v[175:176]
	ds_load_b128 v[171:174], v1 offset:1296
	v_fma_f64 v[169:170], v[38:39], v[169:170], -v[183:184]
	scratch_load_b128 v[38:41], off, off offset:496
	s_wait_loadcnt_dscnt 0x901
	v_mul_f64_e32 v[179:180], v[2:3], v[44:45]
	v_mul_f64_e32 v[44:45], v[4:5], v[44:45]
	s_wait_loadcnt_dscnt 0x800
	v_mul_f64_e32 v[183:184], v[171:172], v[8:9]
	v_mul_f64_e32 v[8:9], v[173:174], v[8:9]
	v_add_f64_e32 v[177:178], v[177:178], v[187:188]
	v_add_f64_e32 v[175:176], v[175:176], v[185:186]
	v_fma_f64 v[179:180], v[4:5], v[42:43], v[179:180]
	v_fma_f64 v[185:186], v[2:3], v[42:43], -v[44:45]
	ds_load_b128 v[2:5], v1 offset:1312
	scratch_load_b128 v[42:45], off, off offset:512
	v_fma_f64 v[173:174], v[173:174], v[6:7], v[183:184]
	v_fma_f64 v[171:172], v[171:172], v[6:7], -v[8:9]
	scratch_load_b128 v[6:9], off, off offset:528
	v_add_f64_e32 v[169:170], v[177:178], v[169:170]
	v_add_f64_e32 v[181:182], v[175:176], v[181:182]
	ds_load_b128 v[175:178], v1 offset:1328
	s_wait_loadcnt_dscnt 0x901
	v_mul_f64_e32 v[187:188], v[2:3], v[12:13]
	v_mul_f64_e32 v[12:13], v[4:5], v[12:13]
	v_add_f64_e32 v[169:170], v[169:170], v[185:186]
	v_add_f64_e32 v[179:180], v[181:182], v[179:180]
	s_wait_loadcnt_dscnt 0x800
	v_mul_f64_e32 v[181:182], v[175:176], v[16:17]
	v_mul_f64_e32 v[16:17], v[177:178], v[16:17]
	v_fma_f64 v[183:184], v[4:5], v[10:11], v[187:188]
	v_fma_f64 v[185:186], v[2:3], v[10:11], -v[12:13]
	ds_load_b128 v[2:5], v1 offset:1344
	scratch_load_b128 v[10:13], off, off offset:544
	v_add_f64_e32 v[187:188], v[169:170], v[171:172]
	v_add_f64_e32 v[173:174], v[179:180], v[173:174]
	ds_load_b128 v[169:172], v1 offset:1360
	s_wait_loadcnt_dscnt 0x801
	v_mul_f64_e32 v[179:180], v[2:3], v[20:21]
	v_mul_f64_e32 v[20:21], v[4:5], v[20:21]
	v_fma_f64 v[177:178], v[177:178], v[14:15], v[181:182]
	v_fma_f64 v[175:176], v[175:176], v[14:15], -v[16:17]
	scratch_load_b128 v[14:17], off, off offset:560
	v_add_f64_e32 v[181:182], v[187:188], v[185:186]
	v_add_f64_e32 v[173:174], v[173:174], v[183:184]
	s_wait_loadcnt_dscnt 0x800
	v_mul_f64_e32 v[183:184], v[169:170], v[24:25]
	v_mul_f64_e32 v[24:25], v[171:172], v[24:25]
	v_fma_f64 v[179:180], v[4:5], v[18:19], v[179:180]
	v_fma_f64 v[185:186], v[2:3], v[18:19], -v[20:21]
	ds_load_b128 v[2:5], v1 offset:1376
	scratch_load_b128 v[18:21], off, off offset:576
	v_add_f64_e32 v[181:182], v[181:182], v[175:176]
	v_add_f64_e32 v[177:178], v[173:174], v[177:178]
	ds_load_b128 v[173:176], v1 offset:1392
	s_wait_loadcnt_dscnt 0x801
	v_mul_f64_e32 v[187:188], v[2:3], v[28:29]
	v_mul_f64_e32 v[28:29], v[4:5], v[28:29]
	v_fma_f64 v[171:172], v[171:172], v[22:23], v[183:184]
	v_fma_f64 v[169:170], v[169:170], v[22:23], -v[24:25]
	scratch_load_b128 v[22:25], off, off offset:592
	;; [unrolled: 18-line block ×4, first 2 shown]
	s_wait_loadcnt_dscnt 0x800
	v_mul_f64_e32 v[181:182], v[173:174], v[8:9]
	v_mul_f64_e32 v[8:9], v[175:176], v[8:9]
	v_add_f64_e32 v[179:180], v[179:180], v[185:186]
	v_add_f64_e32 v[177:178], v[177:178], v[183:184]
	v_fma_f64 v[183:184], v[4:5], v[42:43], v[187:188]
	v_fma_f64 v[185:186], v[2:3], v[42:43], -v[44:45]
	ds_load_b128 v[2:5], v1 offset:1472
	scratch_load_b128 v[42:45], off, off offset:672
	v_fma_f64 v[175:176], v[175:176], v[6:7], v[181:182]
	v_fma_f64 v[173:174], v[173:174], v[6:7], -v[8:9]
	scratch_load_b128 v[6:9], off, off offset:688
	v_add_f64_e32 v[179:180], v[179:180], v[169:170]
	v_add_f64_e32 v[177:178], v[177:178], v[171:172]
	ds_load_b128 v[169:172], v1 offset:1488
	s_wait_loadcnt_dscnt 0x901
	v_mul_f64_e32 v[187:188], v[2:3], v[12:13]
	v_mul_f64_e32 v[12:13], v[4:5], v[12:13]
	s_wait_loadcnt_dscnt 0x800
	v_mul_f64_e32 v[181:182], v[169:170], v[16:17]
	v_mul_f64_e32 v[16:17], v[171:172], v[16:17]
	v_add_f64_e32 v[179:180], v[179:180], v[185:186]
	v_add_f64_e32 v[177:178], v[177:178], v[183:184]
	v_fma_f64 v[183:184], v[4:5], v[10:11], v[187:188]
	v_fma_f64 v[185:186], v[2:3], v[10:11], -v[12:13]
	ds_load_b128 v[2:5], v1 offset:1504
	scratch_load_b128 v[10:13], off, off offset:704
	v_fma_f64 v[171:172], v[171:172], v[14:15], v[181:182]
	v_fma_f64 v[169:170], v[169:170], v[14:15], -v[16:17]
	scratch_load_b128 v[14:17], off, off offset:720
	v_add_f64_e32 v[179:180], v[179:180], v[173:174]
	v_add_f64_e32 v[177:178], v[177:178], v[175:176]
	ds_load_b128 v[173:176], v1 offset:1520
	s_wait_loadcnt_dscnt 0x901
	v_mul_f64_e32 v[187:188], v[2:3], v[20:21]
	v_mul_f64_e32 v[20:21], v[4:5], v[20:21]
	;; [unrolled: 18-line block ×9, first 2 shown]
	s_wait_loadcnt_dscnt 0x800
	v_mul_f64_e32 v[181:182], v[169:170], v[40:41]
	v_mul_f64_e32 v[40:41], v[171:172], v[40:41]
	v_add_f64_e32 v[179:180], v[179:180], v[185:186]
	v_add_f64_e32 v[177:178], v[177:178], v[183:184]
	v_fma_f64 v[183:184], v[4:5], v[34:35], v[187:188]
	v_fma_f64 v[185:186], v[2:3], v[34:35], -v[36:37]
	ds_load_b128 v[2:5], v1 offset:1760
	ds_load_b128 v[34:37], v1 offset:1776
	v_fma_f64 v[171:172], v[171:172], v[38:39], v[181:182]
	v_fma_f64 v[38:39], v[169:170], v[38:39], -v[40:41]
	v_add_f64_e32 v[173:174], v[179:180], v[173:174]
	v_add_f64_e32 v[175:176], v[177:178], v[175:176]
	s_wait_loadcnt_dscnt 0x701
	v_mul_f64_e32 v[177:178], v[2:3], v[44:45]
	v_mul_f64_e32 v[44:45], v[4:5], v[44:45]
	s_delay_alu instid0(VALU_DEP_4) | instskip(NEXT) | instid1(VALU_DEP_4)
	v_add_f64_e32 v[40:41], v[173:174], v[185:186]
	v_add_f64_e32 v[169:170], v[175:176], v[183:184]
	s_wait_loadcnt_dscnt 0x600
	v_mul_f64_e32 v[173:174], v[34:35], v[8:9]
	v_mul_f64_e32 v[8:9], v[36:37], v[8:9]
	v_fma_f64 v[175:176], v[4:5], v[42:43], v[177:178]
	v_fma_f64 v[42:43], v[2:3], v[42:43], -v[44:45]
	v_add_f64_e32 v[44:45], v[40:41], v[38:39]
	v_add_f64_e32 v[169:170], v[169:170], v[171:172]
	ds_load_b128 v[2:5], v1 offset:1792
	ds_load_b128 v[38:41], v1 offset:1808
	v_fma_f64 v[36:37], v[36:37], v[6:7], v[173:174]
	v_fma_f64 v[6:7], v[34:35], v[6:7], -v[8:9]
	s_wait_loadcnt_dscnt 0x501
	v_mul_f64_e32 v[171:172], v[2:3], v[12:13]
	v_mul_f64_e32 v[12:13], v[4:5], v[12:13]
	v_add_f64_e32 v[8:9], v[44:45], v[42:43]
	v_add_f64_e32 v[34:35], v[169:170], v[175:176]
	s_wait_loadcnt_dscnt 0x400
	v_mul_f64_e32 v[42:43], v[38:39], v[16:17]
	v_mul_f64_e32 v[16:17], v[40:41], v[16:17]
	v_fma_f64 v[44:45], v[4:5], v[10:11], v[171:172]
	v_fma_f64 v[10:11], v[2:3], v[10:11], -v[12:13]
	v_add_f64_e32 v[12:13], v[8:9], v[6:7]
	v_add_f64_e32 v[34:35], v[34:35], v[36:37]
	ds_load_b128 v[2:5], v1 offset:1824
	ds_load_b128 v[6:9], v1 offset:1840
	v_fma_f64 v[40:41], v[40:41], v[14:15], v[42:43]
	v_fma_f64 v[14:15], v[38:39], v[14:15], -v[16:17]
	s_wait_loadcnt_dscnt 0x301
	v_mul_f64_e32 v[36:37], v[2:3], v[20:21]
	v_mul_f64_e32 v[20:21], v[4:5], v[20:21]
	s_wait_loadcnt_dscnt 0x200
	v_mul_f64_e32 v[16:17], v[6:7], v[24:25]
	v_mul_f64_e32 v[24:25], v[8:9], v[24:25]
	v_add_f64_e32 v[10:11], v[12:13], v[10:11]
	v_add_f64_e32 v[12:13], v[34:35], v[44:45]
	v_fma_f64 v[34:35], v[4:5], v[18:19], v[36:37]
	v_fma_f64 v[18:19], v[2:3], v[18:19], -v[20:21]
	v_fma_f64 v[8:9], v[8:9], v[22:23], v[16:17]
	v_fma_f64 v[6:7], v[6:7], v[22:23], -v[24:25]
	v_add_f64_e32 v[14:15], v[10:11], v[14:15]
	v_add_f64_e32 v[20:21], v[12:13], v[40:41]
	ds_load_b128 v[2:5], v1 offset:1856
	ds_load_b128 v[10:13], v1 offset:1872
	s_wait_loadcnt_dscnt 0x101
	v_mul_f64_e32 v[36:37], v[2:3], v[28:29]
	v_mul_f64_e32 v[28:29], v[4:5], v[28:29]
	v_add_f64_e32 v[14:15], v[14:15], v[18:19]
	v_add_f64_e32 v[16:17], v[20:21], v[34:35]
	s_wait_loadcnt_dscnt 0x0
	v_mul_f64_e32 v[18:19], v[10:11], v[32:33]
	v_mul_f64_e32 v[20:21], v[12:13], v[32:33]
	v_fma_f64 v[4:5], v[4:5], v[26:27], v[36:37]
	v_fma_f64 v[1:2], v[2:3], v[26:27], -v[28:29]
	v_add_f64_e32 v[6:7], v[14:15], v[6:7]
	v_add_f64_e32 v[8:9], v[16:17], v[8:9]
	v_fma_f64 v[12:13], v[12:13], v[30:31], v[18:19]
	v_fma_f64 v[10:11], v[10:11], v[30:31], -v[20:21]
	s_delay_alu instid0(VALU_DEP_4) | instskip(NEXT) | instid1(VALU_DEP_4)
	v_add_f64_e32 v[1:2], v[6:7], v[1:2]
	v_add_f64_e32 v[3:4], v[8:9], v[4:5]
	s_delay_alu instid0(VALU_DEP_2) | instskip(NEXT) | instid1(VALU_DEP_2)
	v_add_f64_e32 v[1:2], v[1:2], v[10:11]
	v_add_f64_e32 v[3:4], v[3:4], v[12:13]
	s_delay_alu instid0(VALU_DEP_2) | instskip(NEXT) | instid1(VALU_DEP_2)
	v_add_f64_e64 v[1:2], v[165:166], -v[1:2]
	v_add_f64_e64 v[3:4], v[167:168], -v[3:4]
	scratch_store_b128 off, v[1:4], off offset:176
	v_cmpx_lt_u32_e32 9, v0
	s_cbranch_execz .LBB122_349
; %bb.348:
	scratch_load_b128 v[1:4], off, s63
	v_mov_b32_e32 v5, 0
	s_delay_alu instid0(VALU_DEP_1)
	v_dual_mov_b32 v6, v5 :: v_dual_mov_b32 v7, v5
	v_mov_b32_e32 v8, v5
	scratch_store_b128 off, v[5:8], off offset:160
	s_wait_loadcnt 0x0
	ds_store_b128 v164, v[1:4]
.LBB122_349:
	s_wait_alu 0xfffe
	s_or_b32 exec_lo, exec_lo, s0
	s_wait_storecnt_dscnt 0x0
	s_barrier_signal -1
	s_barrier_wait -1
	global_inv scope:SCOPE_SE
	s_clause 0x7
	scratch_load_b128 v[2:5], off, off offset:176
	scratch_load_b128 v[6:9], off, off offset:192
	;; [unrolled: 1-line block ×8, first 2 shown]
	v_mov_b32_e32 v1, 0
	s_mov_b32 s0, exec_lo
	ds_load_b128 v[38:41], v1 offset:1104
	s_clause 0x1
	scratch_load_b128 v[34:37], off, off offset:304
	scratch_load_b128 v[42:45], off, off offset:160
	ds_load_b128 v[165:168], v1 offset:1120
	scratch_load_b128 v[169:172], off, off offset:320
	s_wait_loadcnt_dscnt 0xa01
	v_mul_f64_e32 v[173:174], v[40:41], v[4:5]
	v_mul_f64_e32 v[4:5], v[38:39], v[4:5]
	s_delay_alu instid0(VALU_DEP_2) | instskip(NEXT) | instid1(VALU_DEP_2)
	v_fma_f64 v[179:180], v[38:39], v[2:3], -v[173:174]
	v_fma_f64 v[181:182], v[40:41], v[2:3], v[4:5]
	ds_load_b128 v[2:5], v1 offset:1136
	s_wait_loadcnt_dscnt 0x901
	v_mul_f64_e32 v[177:178], v[165:166], v[8:9]
	v_mul_f64_e32 v[8:9], v[167:168], v[8:9]
	scratch_load_b128 v[38:41], off, off offset:336
	ds_load_b128 v[173:176], v1 offset:1152
	s_wait_loadcnt_dscnt 0x901
	v_mul_f64_e32 v[183:184], v[2:3], v[12:13]
	v_mul_f64_e32 v[12:13], v[4:5], v[12:13]
	v_fma_f64 v[167:168], v[167:168], v[6:7], v[177:178]
	v_fma_f64 v[165:166], v[165:166], v[6:7], -v[8:9]
	v_add_f64_e32 v[177:178], 0, v[179:180]
	v_add_f64_e32 v[179:180], 0, v[181:182]
	scratch_load_b128 v[6:9], off, off offset:352
	v_fma_f64 v[183:184], v[4:5], v[10:11], v[183:184]
	v_fma_f64 v[185:186], v[2:3], v[10:11], -v[12:13]
	ds_load_b128 v[2:5], v1 offset:1168
	s_wait_loadcnt_dscnt 0x901
	v_mul_f64_e32 v[181:182], v[173:174], v[16:17]
	v_mul_f64_e32 v[16:17], v[175:176], v[16:17]
	scratch_load_b128 v[10:13], off, off offset:368
	v_add_f64_e32 v[177:178], v[177:178], v[165:166]
	v_add_f64_e32 v[179:180], v[179:180], v[167:168]
	s_wait_loadcnt_dscnt 0x900
	v_mul_f64_e32 v[187:188], v[2:3], v[20:21]
	v_mul_f64_e32 v[20:21], v[4:5], v[20:21]
	ds_load_b128 v[165:168], v1 offset:1184
	v_fma_f64 v[175:176], v[175:176], v[14:15], v[181:182]
	v_fma_f64 v[173:174], v[173:174], v[14:15], -v[16:17]
	scratch_load_b128 v[14:17], off, off offset:384
	v_add_f64_e32 v[177:178], v[177:178], v[185:186]
	v_add_f64_e32 v[179:180], v[179:180], v[183:184]
	v_fma_f64 v[183:184], v[4:5], v[18:19], v[187:188]
	v_fma_f64 v[185:186], v[2:3], v[18:19], -v[20:21]
	ds_load_b128 v[2:5], v1 offset:1200
	s_wait_loadcnt_dscnt 0x901
	v_mul_f64_e32 v[181:182], v[165:166], v[24:25]
	v_mul_f64_e32 v[24:25], v[167:168], v[24:25]
	scratch_load_b128 v[18:21], off, off offset:400
	s_wait_loadcnt_dscnt 0x900
	v_mul_f64_e32 v[187:188], v[2:3], v[28:29]
	v_mul_f64_e32 v[28:29], v[4:5], v[28:29]
	v_add_f64_e32 v[177:178], v[177:178], v[173:174]
	v_add_f64_e32 v[179:180], v[179:180], v[175:176]
	ds_load_b128 v[173:176], v1 offset:1216
	v_fma_f64 v[167:168], v[167:168], v[22:23], v[181:182]
	v_fma_f64 v[165:166], v[165:166], v[22:23], -v[24:25]
	scratch_load_b128 v[22:25], off, off offset:416
	v_add_f64_e32 v[177:178], v[177:178], v[185:186]
	v_add_f64_e32 v[179:180], v[179:180], v[183:184]
	v_fma_f64 v[183:184], v[4:5], v[26:27], v[187:188]
	v_fma_f64 v[185:186], v[2:3], v[26:27], -v[28:29]
	ds_load_b128 v[2:5], v1 offset:1232
	s_wait_loadcnt_dscnt 0x901
	v_mul_f64_e32 v[181:182], v[173:174], v[32:33]
	v_mul_f64_e32 v[32:33], v[175:176], v[32:33]
	scratch_load_b128 v[26:29], off, off offset:432
	s_wait_loadcnt_dscnt 0x900
	v_mul_f64_e32 v[187:188], v[2:3], v[36:37]
	v_mul_f64_e32 v[36:37], v[4:5], v[36:37]
	v_add_f64_e32 v[177:178], v[177:178], v[165:166]
	v_add_f64_e32 v[179:180], v[179:180], v[167:168]
	ds_load_b128 v[165:168], v1 offset:1248
	v_fma_f64 v[175:176], v[175:176], v[30:31], v[181:182]
	v_fma_f64 v[173:174], v[173:174], v[30:31], -v[32:33]
	scratch_load_b128 v[30:33], off, off offset:448
	v_add_f64_e32 v[177:178], v[177:178], v[185:186]
	v_add_f64_e32 v[179:180], v[179:180], v[183:184]
	v_fma_f64 v[185:186], v[4:5], v[34:35], v[187:188]
	v_fma_f64 v[187:188], v[2:3], v[34:35], -v[36:37]
	ds_load_b128 v[2:5], v1 offset:1264
	s_wait_loadcnt_dscnt 0x801
	v_mul_f64_e32 v[181:182], v[165:166], v[171:172]
	v_mul_f64_e32 v[183:184], v[167:168], v[171:172]
	scratch_load_b128 v[34:37], off, off offset:464
	v_add_f64_e32 v[177:178], v[177:178], v[173:174]
	v_add_f64_e32 v[175:176], v[179:180], v[175:176]
	ds_load_b128 v[171:174], v1 offset:1280
	v_fma_f64 v[181:182], v[167:168], v[169:170], v[181:182]
	v_fma_f64 v[169:170], v[165:166], v[169:170], -v[183:184]
	scratch_load_b128 v[165:168], off, off offset:480
	s_wait_loadcnt_dscnt 0x901
	v_mul_f64_e32 v[179:180], v[2:3], v[40:41]
	v_mul_f64_e32 v[40:41], v[4:5], v[40:41]
	v_add_f64_e32 v[177:178], v[177:178], v[187:188]
	v_add_f64_e32 v[175:176], v[175:176], v[185:186]
	s_delay_alu instid0(VALU_DEP_4) | instskip(NEXT) | instid1(VALU_DEP_4)
	v_fma_f64 v[179:180], v[4:5], v[38:39], v[179:180]
	v_fma_f64 v[185:186], v[2:3], v[38:39], -v[40:41]
	ds_load_b128 v[2:5], v1 offset:1296
	s_wait_loadcnt_dscnt 0x801
	v_mul_f64_e32 v[183:184], v[171:172], v[8:9]
	v_mul_f64_e32 v[8:9], v[173:174], v[8:9]
	scratch_load_b128 v[38:41], off, off offset:496
	s_wait_loadcnt_dscnt 0x800
	v_mul_f64_e32 v[187:188], v[2:3], v[12:13]
	v_add_f64_e32 v[169:170], v[177:178], v[169:170]
	v_add_f64_e32 v[181:182], v[175:176], v[181:182]
	v_mul_f64_e32 v[12:13], v[4:5], v[12:13]
	ds_load_b128 v[175:178], v1 offset:1312
	v_fma_f64 v[173:174], v[173:174], v[6:7], v[183:184]
	v_fma_f64 v[171:172], v[171:172], v[6:7], -v[8:9]
	scratch_load_b128 v[6:9], off, off offset:512
	v_fma_f64 v[183:184], v[4:5], v[10:11], v[187:188]
	v_add_f64_e32 v[169:170], v[169:170], v[185:186]
	v_add_f64_e32 v[179:180], v[181:182], v[179:180]
	v_fma_f64 v[185:186], v[2:3], v[10:11], -v[12:13]
	ds_load_b128 v[2:5], v1 offset:1328
	s_wait_loadcnt_dscnt 0x801
	v_mul_f64_e32 v[181:182], v[175:176], v[16:17]
	v_mul_f64_e32 v[16:17], v[177:178], v[16:17]
	scratch_load_b128 v[10:13], off, off offset:528
	v_add_f64_e32 v[187:188], v[169:170], v[171:172]
	v_add_f64_e32 v[173:174], v[179:180], v[173:174]
	s_wait_loadcnt_dscnt 0x800
	v_mul_f64_e32 v[179:180], v[2:3], v[20:21]
	v_mul_f64_e32 v[20:21], v[4:5], v[20:21]
	v_fma_f64 v[177:178], v[177:178], v[14:15], v[181:182]
	v_fma_f64 v[175:176], v[175:176], v[14:15], -v[16:17]
	ds_load_b128 v[169:172], v1 offset:1344
	scratch_load_b128 v[14:17], off, off offset:544
	v_add_f64_e32 v[181:182], v[187:188], v[185:186]
	v_add_f64_e32 v[173:174], v[173:174], v[183:184]
	v_fma_f64 v[179:180], v[4:5], v[18:19], v[179:180]
	v_fma_f64 v[185:186], v[2:3], v[18:19], -v[20:21]
	ds_load_b128 v[2:5], v1 offset:1360
	s_wait_loadcnt_dscnt 0x801
	v_mul_f64_e32 v[183:184], v[169:170], v[24:25]
	v_mul_f64_e32 v[24:25], v[171:172], v[24:25]
	scratch_load_b128 v[18:21], off, off offset:560
	s_wait_loadcnt_dscnt 0x800
	v_mul_f64_e32 v[187:188], v[2:3], v[28:29]
	v_mul_f64_e32 v[28:29], v[4:5], v[28:29]
	v_add_f64_e32 v[181:182], v[181:182], v[175:176]
	v_add_f64_e32 v[177:178], v[173:174], v[177:178]
	ds_load_b128 v[173:176], v1 offset:1376
	v_fma_f64 v[171:172], v[171:172], v[22:23], v[183:184]
	v_fma_f64 v[169:170], v[169:170], v[22:23], -v[24:25]
	scratch_load_b128 v[22:25], off, off offset:576
	v_fma_f64 v[183:184], v[4:5], v[26:27], v[187:188]
	v_add_f64_e32 v[181:182], v[181:182], v[185:186]
	v_add_f64_e32 v[177:178], v[177:178], v[179:180]
	v_fma_f64 v[185:186], v[2:3], v[26:27], -v[28:29]
	ds_load_b128 v[2:5], v1 offset:1392
	s_wait_loadcnt_dscnt 0x801
	v_mul_f64_e32 v[179:180], v[173:174], v[32:33]
	v_mul_f64_e32 v[32:33], v[175:176], v[32:33]
	scratch_load_b128 v[26:29], off, off offset:592
	s_wait_loadcnt_dscnt 0x800
	v_mul_f64_e32 v[187:188], v[2:3], v[36:37]
	v_mul_f64_e32 v[36:37], v[4:5], v[36:37]
	v_add_f64_e32 v[181:182], v[181:182], v[169:170]
	v_add_f64_e32 v[177:178], v[177:178], v[171:172]
	ds_load_b128 v[169:172], v1 offset:1408
	v_fma_f64 v[175:176], v[175:176], v[30:31], v[179:180]
	v_fma_f64 v[173:174], v[173:174], v[30:31], -v[32:33]
	scratch_load_b128 v[30:33], off, off offset:608
	v_add_f64_e32 v[179:180], v[181:182], v[185:186]
	v_add_f64_e32 v[177:178], v[177:178], v[183:184]
	v_fma_f64 v[183:184], v[4:5], v[34:35], v[187:188]
	v_fma_f64 v[185:186], v[2:3], v[34:35], -v[36:37]
	ds_load_b128 v[2:5], v1 offset:1424
	s_wait_loadcnt_dscnt 0x801
	v_mul_f64_e32 v[181:182], v[169:170], v[167:168]
	v_mul_f64_e32 v[167:168], v[171:172], v[167:168]
	scratch_load_b128 v[34:37], off, off offset:624
	s_wait_loadcnt_dscnt 0x800
	v_mul_f64_e32 v[187:188], v[2:3], v[40:41]
	v_mul_f64_e32 v[40:41], v[4:5], v[40:41]
	v_add_f64_e32 v[179:180], v[179:180], v[173:174]
	v_add_f64_e32 v[177:178], v[177:178], v[175:176]
	ds_load_b128 v[173:176], v1 offset:1440
	v_fma_f64 v[171:172], v[171:172], v[165:166], v[181:182]
	v_fma_f64 v[169:170], v[169:170], v[165:166], -v[167:168]
	scratch_load_b128 v[165:168], off, off offset:640
	v_add_f64_e32 v[179:180], v[179:180], v[185:186]
	v_add_f64_e32 v[177:178], v[177:178], v[183:184]
	v_fma_f64 v[183:184], v[4:5], v[38:39], v[187:188]
	;; [unrolled: 18-line block ×6, first 2 shown]
	v_fma_f64 v[187:188], v[2:3], v[34:35], -v[36:37]
	ds_load_b128 v[2:5], v1 offset:1584
	s_wait_loadcnt_dscnt 0x801
	v_mul_f64_e32 v[181:182], v[173:174], v[167:168]
	v_mul_f64_e32 v[183:184], v[175:176], v[167:168]
	scratch_load_b128 v[34:37], off, off offset:784
	v_add_f64_e32 v[179:180], v[179:180], v[169:170]
	v_add_f64_e32 v[171:172], v[177:178], v[171:172]
	s_wait_loadcnt_dscnt 0x800
	v_mul_f64_e32 v[177:178], v[2:3], v[40:41]
	v_mul_f64_e32 v[40:41], v[4:5], v[40:41]
	ds_load_b128 v[167:170], v1 offset:1600
	v_fma_f64 v[175:176], v[175:176], v[165:166], v[181:182]
	v_fma_f64 v[165:166], v[173:174], v[165:166], -v[183:184]
	v_add_f64_e32 v[179:180], v[179:180], v[187:188]
	v_add_f64_e32 v[181:182], v[171:172], v[185:186]
	scratch_load_b128 v[171:174], off, off offset:800
	v_fma_f64 v[185:186], v[4:5], v[38:39], v[177:178]
	v_fma_f64 v[187:188], v[2:3], v[38:39], -v[40:41]
	ds_load_b128 v[2:5], v1 offset:1616
	s_wait_loadcnt_dscnt 0x801
	v_mul_f64_e32 v[183:184], v[167:168], v[8:9]
	v_mul_f64_e32 v[8:9], v[169:170], v[8:9]
	scratch_load_b128 v[38:41], off, off offset:816
	v_add_f64_e32 v[165:166], v[179:180], v[165:166]
	v_add_f64_e32 v[179:180], v[181:182], v[175:176]
	s_wait_loadcnt_dscnt 0x800
	v_mul_f64_e32 v[181:182], v[2:3], v[12:13]
	v_mul_f64_e32 v[12:13], v[4:5], v[12:13]
	ds_load_b128 v[175:178], v1 offset:1632
	v_fma_f64 v[169:170], v[169:170], v[6:7], v[183:184]
	v_fma_f64 v[167:168], v[167:168], v[6:7], -v[8:9]
	scratch_load_b128 v[6:9], off, off offset:832
	v_add_f64_e32 v[165:166], v[165:166], v[187:188]
	v_add_f64_e32 v[179:180], v[179:180], v[185:186]
	v_fma_f64 v[181:182], v[4:5], v[10:11], v[181:182]
	v_fma_f64 v[185:186], v[2:3], v[10:11], -v[12:13]
	ds_load_b128 v[2:5], v1 offset:1648
	s_wait_loadcnt_dscnt 0x801
	v_mul_f64_e32 v[183:184], v[175:176], v[16:17]
	v_mul_f64_e32 v[16:17], v[177:178], v[16:17]
	scratch_load_b128 v[10:13], off, off offset:848
	v_add_f64_e32 v[187:188], v[165:166], v[167:168]
	v_add_f64_e32 v[169:170], v[179:180], v[169:170]
	s_wait_loadcnt_dscnt 0x800
	v_mul_f64_e32 v[179:180], v[2:3], v[20:21]
	v_mul_f64_e32 v[20:21], v[4:5], v[20:21]
	ds_load_b128 v[165:168], v1 offset:1664
	v_fma_f64 v[177:178], v[177:178], v[14:15], v[183:184]
	v_fma_f64 v[175:176], v[175:176], v[14:15], -v[16:17]
	scratch_load_b128 v[14:17], off, off offset:864
	v_add_f64_e32 v[183:184], v[187:188], v[185:186]
	v_add_f64_e32 v[169:170], v[169:170], v[181:182]
	v_fma_f64 v[179:180], v[4:5], v[18:19], v[179:180]
	v_fma_f64 v[185:186], v[2:3], v[18:19], -v[20:21]
	ds_load_b128 v[2:5], v1 offset:1680
	s_wait_loadcnt_dscnt 0x801
	v_mul_f64_e32 v[181:182], v[165:166], v[24:25]
	v_mul_f64_e32 v[24:25], v[167:168], v[24:25]
	scratch_load_b128 v[18:21], off, off offset:880
	s_wait_loadcnt_dscnt 0x800
	v_mul_f64_e32 v[187:188], v[2:3], v[28:29]
	v_mul_f64_e32 v[28:29], v[4:5], v[28:29]
	v_add_f64_e32 v[183:184], v[183:184], v[175:176]
	v_add_f64_e32 v[169:170], v[169:170], v[177:178]
	ds_load_b128 v[175:178], v1 offset:1696
	v_fma_f64 v[167:168], v[167:168], v[22:23], v[181:182]
	v_fma_f64 v[165:166], v[165:166], v[22:23], -v[24:25]
	scratch_load_b128 v[22:25], off, off offset:896
	v_add_f64_e32 v[181:182], v[183:184], v[185:186]
	v_add_f64_e32 v[169:170], v[169:170], v[179:180]
	v_fma_f64 v[183:184], v[4:5], v[26:27], v[187:188]
	v_fma_f64 v[185:186], v[2:3], v[26:27], -v[28:29]
	ds_load_b128 v[2:5], v1 offset:1712
	s_wait_loadcnt_dscnt 0x801
	v_mul_f64_e32 v[179:180], v[175:176], v[32:33]
	v_mul_f64_e32 v[32:33], v[177:178], v[32:33]
	scratch_load_b128 v[26:29], off, off offset:912
	s_wait_loadcnt_dscnt 0x800
	v_mul_f64_e32 v[187:188], v[2:3], v[36:37]
	v_mul_f64_e32 v[36:37], v[4:5], v[36:37]
	v_add_f64_e32 v[181:182], v[181:182], v[165:166]
	v_add_f64_e32 v[169:170], v[169:170], v[167:168]
	ds_load_b128 v[165:168], v1 offset:1728
	v_fma_f64 v[177:178], v[177:178], v[30:31], v[179:180]
	v_fma_f64 v[175:176], v[175:176], v[30:31], -v[32:33]
	scratch_load_b128 v[30:33], off, off offset:928
	v_add_f64_e32 v[179:180], v[181:182], v[185:186]
	v_add_f64_e32 v[169:170], v[169:170], v[183:184]
	v_fma_f64 v[185:186], v[4:5], v[34:35], v[187:188]
	v_fma_f64 v[187:188], v[2:3], v[34:35], -v[36:37]
	ds_load_b128 v[2:5], v1 offset:1744
	scratch_load_b128 v[34:37], off, off offset:944
	s_wait_loadcnt_dscnt 0x901
	v_mul_f64_e32 v[181:182], v[165:166], v[173:174]
	v_mul_f64_e32 v[183:184], v[167:168], v[173:174]
	v_add_f64_e32 v[179:180], v[179:180], v[175:176]
	v_add_f64_e32 v[169:170], v[169:170], v[177:178]
	s_wait_loadcnt_dscnt 0x800
	v_mul_f64_e32 v[177:178], v[2:3], v[40:41]
	v_mul_f64_e32 v[40:41], v[4:5], v[40:41]
	ds_load_b128 v[173:176], v1 offset:1760
	v_fma_f64 v[167:168], v[167:168], v[171:172], v[181:182]
	v_fma_f64 v[165:166], v[165:166], v[171:172], -v[183:184]
	v_add_f64_e32 v[171:172], v[179:180], v[187:188]
	v_add_f64_e32 v[169:170], v[169:170], v[185:186]
	s_wait_loadcnt_dscnt 0x700
	v_mul_f64_e32 v[179:180], v[173:174], v[8:9]
	v_mul_f64_e32 v[8:9], v[175:176], v[8:9]
	v_fma_f64 v[177:178], v[4:5], v[38:39], v[177:178]
	v_fma_f64 v[181:182], v[2:3], v[38:39], -v[40:41]
	ds_load_b128 v[2:5], v1 offset:1776
	ds_load_b128 v[38:41], v1 offset:1792
	v_add_f64_e32 v[165:166], v[171:172], v[165:166]
	v_add_f64_e32 v[167:168], v[169:170], v[167:168]
	s_wait_loadcnt_dscnt 0x601
	v_mul_f64_e32 v[169:170], v[2:3], v[12:13]
	v_mul_f64_e32 v[12:13], v[4:5], v[12:13]
	v_fma_f64 v[171:172], v[175:176], v[6:7], v[179:180]
	v_fma_f64 v[6:7], v[173:174], v[6:7], -v[8:9]
	v_add_f64_e32 v[8:9], v[165:166], v[181:182]
	v_add_f64_e32 v[165:166], v[167:168], v[177:178]
	s_wait_loadcnt_dscnt 0x500
	v_mul_f64_e32 v[167:168], v[38:39], v[16:17]
	v_mul_f64_e32 v[16:17], v[40:41], v[16:17]
	v_fma_f64 v[169:170], v[4:5], v[10:11], v[169:170]
	v_fma_f64 v[10:11], v[2:3], v[10:11], -v[12:13]
	v_add_f64_e32 v[12:13], v[8:9], v[6:7]
	v_add_f64_e32 v[165:166], v[165:166], v[171:172]
	ds_load_b128 v[2:5], v1 offset:1808
	ds_load_b128 v[6:9], v1 offset:1824
	v_fma_f64 v[40:41], v[40:41], v[14:15], v[167:168]
	v_fma_f64 v[14:15], v[38:39], v[14:15], -v[16:17]
	s_wait_loadcnt_dscnt 0x401
	v_mul_f64_e32 v[171:172], v[2:3], v[20:21]
	v_mul_f64_e32 v[20:21], v[4:5], v[20:21]
	s_wait_loadcnt_dscnt 0x300
	v_mul_f64_e32 v[16:17], v[6:7], v[24:25]
	v_mul_f64_e32 v[24:25], v[8:9], v[24:25]
	v_add_f64_e32 v[10:11], v[12:13], v[10:11]
	v_add_f64_e32 v[12:13], v[165:166], v[169:170]
	v_fma_f64 v[38:39], v[4:5], v[18:19], v[171:172]
	v_fma_f64 v[18:19], v[2:3], v[18:19], -v[20:21]
	v_fma_f64 v[8:9], v[8:9], v[22:23], v[16:17]
	v_fma_f64 v[6:7], v[6:7], v[22:23], -v[24:25]
	v_add_f64_e32 v[14:15], v[10:11], v[14:15]
	v_add_f64_e32 v[20:21], v[12:13], v[40:41]
	ds_load_b128 v[2:5], v1 offset:1840
	ds_load_b128 v[10:13], v1 offset:1856
	s_wait_loadcnt_dscnt 0x201
	v_mul_f64_e32 v[40:41], v[2:3], v[28:29]
	v_mul_f64_e32 v[28:29], v[4:5], v[28:29]
	v_add_f64_e32 v[14:15], v[14:15], v[18:19]
	v_add_f64_e32 v[16:17], v[20:21], v[38:39]
	s_wait_loadcnt_dscnt 0x100
	v_mul_f64_e32 v[18:19], v[10:11], v[32:33]
	v_mul_f64_e32 v[20:21], v[12:13], v[32:33]
	v_fma_f64 v[22:23], v[4:5], v[26:27], v[40:41]
	v_fma_f64 v[24:25], v[2:3], v[26:27], -v[28:29]
	ds_load_b128 v[2:5], v1 offset:1872
	v_add_f64_e32 v[6:7], v[14:15], v[6:7]
	v_add_f64_e32 v[8:9], v[16:17], v[8:9]
	v_fma_f64 v[12:13], v[12:13], v[30:31], v[18:19]
	v_fma_f64 v[10:11], v[10:11], v[30:31], -v[20:21]
	s_wait_loadcnt_dscnt 0x0
	v_mul_f64_e32 v[14:15], v[2:3], v[36:37]
	v_mul_f64_e32 v[16:17], v[4:5], v[36:37]
	v_add_f64_e32 v[6:7], v[6:7], v[24:25]
	v_add_f64_e32 v[8:9], v[8:9], v[22:23]
	s_delay_alu instid0(VALU_DEP_4) | instskip(NEXT) | instid1(VALU_DEP_4)
	v_fma_f64 v[4:5], v[4:5], v[34:35], v[14:15]
	v_fma_f64 v[2:3], v[2:3], v[34:35], -v[16:17]
	s_delay_alu instid0(VALU_DEP_4) | instskip(NEXT) | instid1(VALU_DEP_4)
	v_add_f64_e32 v[6:7], v[6:7], v[10:11]
	v_add_f64_e32 v[8:9], v[8:9], v[12:13]
	s_delay_alu instid0(VALU_DEP_2) | instskip(NEXT) | instid1(VALU_DEP_2)
	v_add_f64_e32 v[2:3], v[6:7], v[2:3]
	v_add_f64_e32 v[4:5], v[8:9], v[4:5]
	s_delay_alu instid0(VALU_DEP_2) | instskip(NEXT) | instid1(VALU_DEP_2)
	v_add_f64_e64 v[2:3], v[42:43], -v[2:3]
	v_add_f64_e64 v[4:5], v[44:45], -v[4:5]
	scratch_store_b128 off, v[2:5], off offset:160
	v_cmpx_lt_u32_e32 8, v0
	s_cbranch_execz .LBB122_351
; %bb.350:
	scratch_load_b128 v[5:8], off, s64
	v_dual_mov_b32 v2, v1 :: v_dual_mov_b32 v3, v1
	v_mov_b32_e32 v4, v1
	scratch_store_b128 off, v[1:4], off offset:144
	s_wait_loadcnt 0x0
	ds_store_b128 v164, v[5:8]
.LBB122_351:
	s_wait_alu 0xfffe
	s_or_b32 exec_lo, exec_lo, s0
	s_wait_storecnt_dscnt 0x0
	s_barrier_signal -1
	s_barrier_wait -1
	global_inv scope:SCOPE_SE
	s_clause 0x8
	scratch_load_b128 v[2:5], off, off offset:160
	scratch_load_b128 v[6:9], off, off offset:176
	;; [unrolled: 1-line block ×9, first 2 shown]
	ds_load_b128 v[42:45], v1 offset:1088
	ds_load_b128 v[38:41], v1 offset:1104
	s_clause 0x1
	scratch_load_b128 v[165:168], off, off offset:144
	scratch_load_b128 v[169:172], off, off offset:304
	s_mov_b32 s0, exec_lo
	s_wait_loadcnt_dscnt 0xa01
	v_mul_f64_e32 v[173:174], v[44:45], v[4:5]
	v_mul_f64_e32 v[4:5], v[42:43], v[4:5]
	s_wait_loadcnt_dscnt 0x900
	v_mul_f64_e32 v[177:178], v[38:39], v[8:9]
	v_mul_f64_e32 v[8:9], v[40:41], v[8:9]
	s_delay_alu instid0(VALU_DEP_4) | instskip(NEXT) | instid1(VALU_DEP_4)
	v_fma_f64 v[179:180], v[42:43], v[2:3], -v[173:174]
	v_fma_f64 v[181:182], v[44:45], v[2:3], v[4:5]
	ds_load_b128 v[2:5], v1 offset:1120
	ds_load_b128 v[173:176], v1 offset:1136
	scratch_load_b128 v[42:45], off, off offset:320
	v_fma_f64 v[40:41], v[40:41], v[6:7], v[177:178]
	v_fma_f64 v[38:39], v[38:39], v[6:7], -v[8:9]
	scratch_load_b128 v[6:9], off, off offset:336
	s_wait_loadcnt_dscnt 0xa01
	v_mul_f64_e32 v[183:184], v[2:3], v[12:13]
	v_mul_f64_e32 v[12:13], v[4:5], v[12:13]
	v_add_f64_e32 v[177:178], 0, v[179:180]
	v_add_f64_e32 v[179:180], 0, v[181:182]
	s_wait_loadcnt_dscnt 0x900
	v_mul_f64_e32 v[181:182], v[173:174], v[16:17]
	v_mul_f64_e32 v[16:17], v[175:176], v[16:17]
	v_fma_f64 v[183:184], v[4:5], v[10:11], v[183:184]
	v_fma_f64 v[185:186], v[2:3], v[10:11], -v[12:13]
	ds_load_b128 v[2:5], v1 offset:1152
	scratch_load_b128 v[10:13], off, off offset:352
	v_add_f64_e32 v[177:178], v[177:178], v[38:39]
	v_add_f64_e32 v[179:180], v[179:180], v[40:41]
	ds_load_b128 v[38:41], v1 offset:1168
	v_fma_f64 v[175:176], v[175:176], v[14:15], v[181:182]
	v_fma_f64 v[173:174], v[173:174], v[14:15], -v[16:17]
	scratch_load_b128 v[14:17], off, off offset:368
	s_wait_loadcnt_dscnt 0xa01
	v_mul_f64_e32 v[187:188], v[2:3], v[20:21]
	v_mul_f64_e32 v[20:21], v[4:5], v[20:21]
	s_wait_loadcnt_dscnt 0x900
	v_mul_f64_e32 v[181:182], v[38:39], v[24:25]
	v_mul_f64_e32 v[24:25], v[40:41], v[24:25]
	v_add_f64_e32 v[177:178], v[177:178], v[185:186]
	v_add_f64_e32 v[179:180], v[179:180], v[183:184]
	v_fma_f64 v[183:184], v[4:5], v[18:19], v[187:188]
	v_fma_f64 v[185:186], v[2:3], v[18:19], -v[20:21]
	ds_load_b128 v[2:5], v1 offset:1184
	scratch_load_b128 v[18:21], off, off offset:384
	v_fma_f64 v[40:41], v[40:41], v[22:23], v[181:182]
	v_fma_f64 v[38:39], v[38:39], v[22:23], -v[24:25]
	scratch_load_b128 v[22:25], off, off offset:400
	v_add_f64_e32 v[177:178], v[177:178], v[173:174]
	v_add_f64_e32 v[179:180], v[179:180], v[175:176]
	ds_load_b128 v[173:176], v1 offset:1200
	s_wait_loadcnt_dscnt 0xa01
	v_mul_f64_e32 v[187:188], v[2:3], v[28:29]
	v_mul_f64_e32 v[28:29], v[4:5], v[28:29]
	s_wait_loadcnt_dscnt 0x900
	v_mul_f64_e32 v[181:182], v[173:174], v[32:33]
	v_mul_f64_e32 v[32:33], v[175:176], v[32:33]
	v_add_f64_e32 v[177:178], v[177:178], v[185:186]
	v_add_f64_e32 v[179:180], v[179:180], v[183:184]
	v_fma_f64 v[183:184], v[4:5], v[26:27], v[187:188]
	v_fma_f64 v[185:186], v[2:3], v[26:27], -v[28:29]
	ds_load_b128 v[2:5], v1 offset:1216
	scratch_load_b128 v[26:29], off, off offset:416
	v_fma_f64 v[175:176], v[175:176], v[30:31], v[181:182]
	v_fma_f64 v[173:174], v[173:174], v[30:31], -v[32:33]
	scratch_load_b128 v[30:33], off, off offset:432
	v_add_f64_e32 v[177:178], v[177:178], v[38:39]
	v_add_f64_e32 v[179:180], v[179:180], v[40:41]
	ds_load_b128 v[38:41], v1 offset:1232
	s_wait_loadcnt_dscnt 0xa01
	v_mul_f64_e32 v[187:188], v[2:3], v[36:37]
	v_mul_f64_e32 v[36:37], v[4:5], v[36:37]
	s_wait_loadcnt_dscnt 0x800
	v_mul_f64_e32 v[181:182], v[38:39], v[171:172]
	v_add_f64_e32 v[177:178], v[177:178], v[185:186]
	v_add_f64_e32 v[179:180], v[179:180], v[183:184]
	v_mul_f64_e32 v[183:184], v[40:41], v[171:172]
	v_fma_f64 v[185:186], v[4:5], v[34:35], v[187:188]
	v_fma_f64 v[187:188], v[2:3], v[34:35], -v[36:37]
	ds_load_b128 v[2:5], v1 offset:1248
	scratch_load_b128 v[34:37], off, off offset:448
	v_fma_f64 v[181:182], v[40:41], v[169:170], v[181:182]
	v_add_f64_e32 v[177:178], v[177:178], v[173:174]
	v_add_f64_e32 v[175:176], v[179:180], v[175:176]
	ds_load_b128 v[171:174], v1 offset:1264
	v_fma_f64 v[169:170], v[38:39], v[169:170], -v[183:184]
	scratch_load_b128 v[38:41], off, off offset:464
	s_wait_loadcnt_dscnt 0x901
	v_mul_f64_e32 v[179:180], v[2:3], v[44:45]
	v_mul_f64_e32 v[44:45], v[4:5], v[44:45]
	s_wait_loadcnt_dscnt 0x800
	v_mul_f64_e32 v[183:184], v[171:172], v[8:9]
	v_mul_f64_e32 v[8:9], v[173:174], v[8:9]
	v_add_f64_e32 v[177:178], v[177:178], v[187:188]
	v_add_f64_e32 v[175:176], v[175:176], v[185:186]
	v_fma_f64 v[179:180], v[4:5], v[42:43], v[179:180]
	v_fma_f64 v[185:186], v[2:3], v[42:43], -v[44:45]
	ds_load_b128 v[2:5], v1 offset:1280
	scratch_load_b128 v[42:45], off, off offset:480
	v_fma_f64 v[173:174], v[173:174], v[6:7], v[183:184]
	v_fma_f64 v[171:172], v[171:172], v[6:7], -v[8:9]
	scratch_load_b128 v[6:9], off, off offset:496
	v_add_f64_e32 v[169:170], v[177:178], v[169:170]
	v_add_f64_e32 v[181:182], v[175:176], v[181:182]
	ds_load_b128 v[175:178], v1 offset:1296
	s_wait_loadcnt_dscnt 0x901
	v_mul_f64_e32 v[187:188], v[2:3], v[12:13]
	v_mul_f64_e32 v[12:13], v[4:5], v[12:13]
	v_add_f64_e32 v[169:170], v[169:170], v[185:186]
	v_add_f64_e32 v[179:180], v[181:182], v[179:180]
	s_wait_loadcnt_dscnt 0x800
	v_mul_f64_e32 v[181:182], v[175:176], v[16:17]
	v_mul_f64_e32 v[16:17], v[177:178], v[16:17]
	v_fma_f64 v[183:184], v[4:5], v[10:11], v[187:188]
	v_fma_f64 v[185:186], v[2:3], v[10:11], -v[12:13]
	ds_load_b128 v[2:5], v1 offset:1312
	scratch_load_b128 v[10:13], off, off offset:512
	v_add_f64_e32 v[187:188], v[169:170], v[171:172]
	v_add_f64_e32 v[173:174], v[179:180], v[173:174]
	ds_load_b128 v[169:172], v1 offset:1328
	s_wait_loadcnt_dscnt 0x801
	v_mul_f64_e32 v[179:180], v[2:3], v[20:21]
	v_mul_f64_e32 v[20:21], v[4:5], v[20:21]
	v_fma_f64 v[177:178], v[177:178], v[14:15], v[181:182]
	v_fma_f64 v[175:176], v[175:176], v[14:15], -v[16:17]
	scratch_load_b128 v[14:17], off, off offset:528
	v_add_f64_e32 v[181:182], v[187:188], v[185:186]
	v_add_f64_e32 v[173:174], v[173:174], v[183:184]
	s_wait_loadcnt_dscnt 0x800
	v_mul_f64_e32 v[183:184], v[169:170], v[24:25]
	v_mul_f64_e32 v[24:25], v[171:172], v[24:25]
	v_fma_f64 v[179:180], v[4:5], v[18:19], v[179:180]
	v_fma_f64 v[185:186], v[2:3], v[18:19], -v[20:21]
	ds_load_b128 v[2:5], v1 offset:1344
	scratch_load_b128 v[18:21], off, off offset:544
	v_add_f64_e32 v[181:182], v[181:182], v[175:176]
	v_add_f64_e32 v[177:178], v[173:174], v[177:178]
	ds_load_b128 v[173:176], v1 offset:1360
	s_wait_loadcnt_dscnt 0x801
	v_mul_f64_e32 v[187:188], v[2:3], v[28:29]
	v_mul_f64_e32 v[28:29], v[4:5], v[28:29]
	v_fma_f64 v[171:172], v[171:172], v[22:23], v[183:184]
	v_fma_f64 v[169:170], v[169:170], v[22:23], -v[24:25]
	scratch_load_b128 v[22:25], off, off offset:560
	;; [unrolled: 18-line block ×4, first 2 shown]
	s_wait_loadcnt_dscnt 0x800
	v_mul_f64_e32 v[181:182], v[173:174], v[8:9]
	v_mul_f64_e32 v[8:9], v[175:176], v[8:9]
	v_add_f64_e32 v[179:180], v[179:180], v[185:186]
	v_add_f64_e32 v[177:178], v[177:178], v[183:184]
	v_fma_f64 v[183:184], v[4:5], v[42:43], v[187:188]
	v_fma_f64 v[185:186], v[2:3], v[42:43], -v[44:45]
	ds_load_b128 v[2:5], v1 offset:1440
	scratch_load_b128 v[42:45], off, off offset:640
	v_fma_f64 v[175:176], v[175:176], v[6:7], v[181:182]
	v_fma_f64 v[173:174], v[173:174], v[6:7], -v[8:9]
	scratch_load_b128 v[6:9], off, off offset:656
	v_add_f64_e32 v[179:180], v[179:180], v[169:170]
	v_add_f64_e32 v[177:178], v[177:178], v[171:172]
	ds_load_b128 v[169:172], v1 offset:1456
	s_wait_loadcnt_dscnt 0x901
	v_mul_f64_e32 v[187:188], v[2:3], v[12:13]
	v_mul_f64_e32 v[12:13], v[4:5], v[12:13]
	s_wait_loadcnt_dscnt 0x800
	v_mul_f64_e32 v[181:182], v[169:170], v[16:17]
	v_mul_f64_e32 v[16:17], v[171:172], v[16:17]
	v_add_f64_e32 v[179:180], v[179:180], v[185:186]
	v_add_f64_e32 v[177:178], v[177:178], v[183:184]
	v_fma_f64 v[183:184], v[4:5], v[10:11], v[187:188]
	v_fma_f64 v[185:186], v[2:3], v[10:11], -v[12:13]
	ds_load_b128 v[2:5], v1 offset:1472
	scratch_load_b128 v[10:13], off, off offset:672
	v_fma_f64 v[171:172], v[171:172], v[14:15], v[181:182]
	v_fma_f64 v[169:170], v[169:170], v[14:15], -v[16:17]
	scratch_load_b128 v[14:17], off, off offset:688
	v_add_f64_e32 v[179:180], v[179:180], v[173:174]
	v_add_f64_e32 v[177:178], v[177:178], v[175:176]
	ds_load_b128 v[173:176], v1 offset:1488
	s_wait_loadcnt_dscnt 0x901
	v_mul_f64_e32 v[187:188], v[2:3], v[20:21]
	v_mul_f64_e32 v[20:21], v[4:5], v[20:21]
	;; [unrolled: 18-line block ×10, first 2 shown]
	s_wait_loadcnt_dscnt 0x800
	v_mul_f64_e32 v[181:182], v[173:174], v[8:9]
	v_mul_f64_e32 v[8:9], v[175:176], v[8:9]
	v_add_f64_e32 v[179:180], v[179:180], v[185:186]
	v_add_f64_e32 v[177:178], v[177:178], v[183:184]
	v_fma_f64 v[183:184], v[4:5], v[42:43], v[187:188]
	v_fma_f64 v[185:186], v[2:3], v[42:43], -v[44:45]
	ds_load_b128 v[2:5], v1 offset:1760
	ds_load_b128 v[42:45], v1 offset:1776
	v_fma_f64 v[175:176], v[175:176], v[6:7], v[181:182]
	v_fma_f64 v[6:7], v[173:174], v[6:7], -v[8:9]
	v_add_f64_e32 v[169:170], v[179:180], v[169:170]
	v_add_f64_e32 v[171:172], v[177:178], v[171:172]
	s_wait_loadcnt_dscnt 0x701
	v_mul_f64_e32 v[177:178], v[2:3], v[12:13]
	v_mul_f64_e32 v[12:13], v[4:5], v[12:13]
	s_delay_alu instid0(VALU_DEP_4) | instskip(NEXT) | instid1(VALU_DEP_4)
	v_add_f64_e32 v[8:9], v[169:170], v[185:186]
	v_add_f64_e32 v[169:170], v[171:172], v[183:184]
	s_wait_loadcnt_dscnt 0x600
	v_mul_f64_e32 v[171:172], v[42:43], v[16:17]
	v_mul_f64_e32 v[16:17], v[44:45], v[16:17]
	v_fma_f64 v[173:174], v[4:5], v[10:11], v[177:178]
	v_fma_f64 v[10:11], v[2:3], v[10:11], -v[12:13]
	v_add_f64_e32 v[12:13], v[8:9], v[6:7]
	v_add_f64_e32 v[169:170], v[169:170], v[175:176]
	ds_load_b128 v[2:5], v1 offset:1792
	ds_load_b128 v[6:9], v1 offset:1808
	v_fma_f64 v[44:45], v[44:45], v[14:15], v[171:172]
	v_fma_f64 v[14:15], v[42:43], v[14:15], -v[16:17]
	s_wait_loadcnt_dscnt 0x501
	v_mul_f64_e32 v[175:176], v[2:3], v[20:21]
	v_mul_f64_e32 v[20:21], v[4:5], v[20:21]
	s_wait_loadcnt_dscnt 0x400
	v_mul_f64_e32 v[16:17], v[6:7], v[24:25]
	v_mul_f64_e32 v[24:25], v[8:9], v[24:25]
	v_add_f64_e32 v[10:11], v[12:13], v[10:11]
	v_add_f64_e32 v[12:13], v[169:170], v[173:174]
	v_fma_f64 v[42:43], v[4:5], v[18:19], v[175:176]
	v_fma_f64 v[18:19], v[2:3], v[18:19], -v[20:21]
	v_fma_f64 v[8:9], v[8:9], v[22:23], v[16:17]
	v_fma_f64 v[6:7], v[6:7], v[22:23], -v[24:25]
	v_add_f64_e32 v[14:15], v[10:11], v[14:15]
	v_add_f64_e32 v[20:21], v[12:13], v[44:45]
	ds_load_b128 v[2:5], v1 offset:1824
	ds_load_b128 v[10:13], v1 offset:1840
	s_wait_loadcnt_dscnt 0x301
	v_mul_f64_e32 v[44:45], v[2:3], v[28:29]
	v_mul_f64_e32 v[28:29], v[4:5], v[28:29]
	v_add_f64_e32 v[14:15], v[14:15], v[18:19]
	v_add_f64_e32 v[16:17], v[20:21], v[42:43]
	s_wait_loadcnt_dscnt 0x200
	v_mul_f64_e32 v[18:19], v[10:11], v[32:33]
	v_mul_f64_e32 v[20:21], v[12:13], v[32:33]
	v_fma_f64 v[22:23], v[4:5], v[26:27], v[44:45]
	v_fma_f64 v[24:25], v[2:3], v[26:27], -v[28:29]
	v_add_f64_e32 v[14:15], v[14:15], v[6:7]
	v_add_f64_e32 v[16:17], v[16:17], v[8:9]
	ds_load_b128 v[2:5], v1 offset:1856
	ds_load_b128 v[6:9], v1 offset:1872
	v_fma_f64 v[12:13], v[12:13], v[30:31], v[18:19]
	v_fma_f64 v[10:11], v[10:11], v[30:31], -v[20:21]
	s_wait_loadcnt_dscnt 0x101
	v_mul_f64_e32 v[26:27], v[2:3], v[36:37]
	v_mul_f64_e32 v[28:29], v[4:5], v[36:37]
	s_wait_loadcnt_dscnt 0x0
	v_mul_f64_e32 v[18:19], v[6:7], v[40:41]
	v_mul_f64_e32 v[20:21], v[8:9], v[40:41]
	v_add_f64_e32 v[14:15], v[14:15], v[24:25]
	v_add_f64_e32 v[16:17], v[16:17], v[22:23]
	v_fma_f64 v[4:5], v[4:5], v[34:35], v[26:27]
	v_fma_f64 v[1:2], v[2:3], v[34:35], -v[28:29]
	v_fma_f64 v[8:9], v[8:9], v[38:39], v[18:19]
	v_fma_f64 v[6:7], v[6:7], v[38:39], -v[20:21]
	v_add_f64_e32 v[10:11], v[14:15], v[10:11]
	v_add_f64_e32 v[12:13], v[16:17], v[12:13]
	s_delay_alu instid0(VALU_DEP_2) | instskip(NEXT) | instid1(VALU_DEP_2)
	v_add_f64_e32 v[1:2], v[10:11], v[1:2]
	v_add_f64_e32 v[3:4], v[12:13], v[4:5]
	s_delay_alu instid0(VALU_DEP_2) | instskip(NEXT) | instid1(VALU_DEP_2)
	;; [unrolled: 3-line block ×3, first 2 shown]
	v_add_f64_e64 v[1:2], v[165:166], -v[1:2]
	v_add_f64_e64 v[3:4], v[167:168], -v[3:4]
	scratch_store_b128 off, v[1:4], off offset:144
	v_cmpx_lt_u32_e32 7, v0
	s_cbranch_execz .LBB122_353
; %bb.352:
	scratch_load_b128 v[1:4], off, s65
	v_mov_b32_e32 v5, 0
	s_delay_alu instid0(VALU_DEP_1)
	v_dual_mov_b32 v6, v5 :: v_dual_mov_b32 v7, v5
	v_mov_b32_e32 v8, v5
	scratch_store_b128 off, v[5:8], off offset:128
	s_wait_loadcnt 0x0
	ds_store_b128 v164, v[1:4]
.LBB122_353:
	s_wait_alu 0xfffe
	s_or_b32 exec_lo, exec_lo, s0
	s_wait_storecnt_dscnt 0x0
	s_barrier_signal -1
	s_barrier_wait -1
	global_inv scope:SCOPE_SE
	s_clause 0x7
	scratch_load_b128 v[2:5], off, off offset:144
	scratch_load_b128 v[6:9], off, off offset:160
	;; [unrolled: 1-line block ×8, first 2 shown]
	v_mov_b32_e32 v1, 0
	s_mov_b32 s0, exec_lo
	ds_load_b128 v[38:41], v1 offset:1072
	s_clause 0x1
	scratch_load_b128 v[34:37], off, off offset:272
	scratch_load_b128 v[42:45], off, off offset:128
	ds_load_b128 v[165:168], v1 offset:1088
	scratch_load_b128 v[169:172], off, off offset:288
	s_wait_loadcnt_dscnt 0xa01
	v_mul_f64_e32 v[173:174], v[40:41], v[4:5]
	v_mul_f64_e32 v[4:5], v[38:39], v[4:5]
	s_delay_alu instid0(VALU_DEP_2) | instskip(NEXT) | instid1(VALU_DEP_2)
	v_fma_f64 v[179:180], v[38:39], v[2:3], -v[173:174]
	v_fma_f64 v[181:182], v[40:41], v[2:3], v[4:5]
	ds_load_b128 v[2:5], v1 offset:1104
	s_wait_loadcnt_dscnt 0x901
	v_mul_f64_e32 v[177:178], v[165:166], v[8:9]
	v_mul_f64_e32 v[8:9], v[167:168], v[8:9]
	scratch_load_b128 v[38:41], off, off offset:304
	ds_load_b128 v[173:176], v1 offset:1120
	s_wait_loadcnt_dscnt 0x901
	v_mul_f64_e32 v[183:184], v[2:3], v[12:13]
	v_mul_f64_e32 v[12:13], v[4:5], v[12:13]
	v_fma_f64 v[167:168], v[167:168], v[6:7], v[177:178]
	v_fma_f64 v[165:166], v[165:166], v[6:7], -v[8:9]
	v_add_f64_e32 v[177:178], 0, v[179:180]
	v_add_f64_e32 v[179:180], 0, v[181:182]
	scratch_load_b128 v[6:9], off, off offset:320
	v_fma_f64 v[183:184], v[4:5], v[10:11], v[183:184]
	v_fma_f64 v[185:186], v[2:3], v[10:11], -v[12:13]
	ds_load_b128 v[2:5], v1 offset:1136
	s_wait_loadcnt_dscnt 0x901
	v_mul_f64_e32 v[181:182], v[173:174], v[16:17]
	v_mul_f64_e32 v[16:17], v[175:176], v[16:17]
	scratch_load_b128 v[10:13], off, off offset:336
	v_add_f64_e32 v[177:178], v[177:178], v[165:166]
	v_add_f64_e32 v[179:180], v[179:180], v[167:168]
	s_wait_loadcnt_dscnt 0x900
	v_mul_f64_e32 v[187:188], v[2:3], v[20:21]
	v_mul_f64_e32 v[20:21], v[4:5], v[20:21]
	ds_load_b128 v[165:168], v1 offset:1152
	v_fma_f64 v[175:176], v[175:176], v[14:15], v[181:182]
	v_fma_f64 v[173:174], v[173:174], v[14:15], -v[16:17]
	scratch_load_b128 v[14:17], off, off offset:352
	v_add_f64_e32 v[177:178], v[177:178], v[185:186]
	v_add_f64_e32 v[179:180], v[179:180], v[183:184]
	v_fma_f64 v[183:184], v[4:5], v[18:19], v[187:188]
	v_fma_f64 v[185:186], v[2:3], v[18:19], -v[20:21]
	ds_load_b128 v[2:5], v1 offset:1168
	s_wait_loadcnt_dscnt 0x901
	v_mul_f64_e32 v[181:182], v[165:166], v[24:25]
	v_mul_f64_e32 v[24:25], v[167:168], v[24:25]
	scratch_load_b128 v[18:21], off, off offset:368
	s_wait_loadcnt_dscnt 0x900
	v_mul_f64_e32 v[187:188], v[2:3], v[28:29]
	v_mul_f64_e32 v[28:29], v[4:5], v[28:29]
	v_add_f64_e32 v[177:178], v[177:178], v[173:174]
	v_add_f64_e32 v[179:180], v[179:180], v[175:176]
	ds_load_b128 v[173:176], v1 offset:1184
	v_fma_f64 v[167:168], v[167:168], v[22:23], v[181:182]
	v_fma_f64 v[165:166], v[165:166], v[22:23], -v[24:25]
	scratch_load_b128 v[22:25], off, off offset:384
	v_add_f64_e32 v[177:178], v[177:178], v[185:186]
	v_add_f64_e32 v[179:180], v[179:180], v[183:184]
	v_fma_f64 v[183:184], v[4:5], v[26:27], v[187:188]
	v_fma_f64 v[185:186], v[2:3], v[26:27], -v[28:29]
	ds_load_b128 v[2:5], v1 offset:1200
	s_wait_loadcnt_dscnt 0x901
	v_mul_f64_e32 v[181:182], v[173:174], v[32:33]
	v_mul_f64_e32 v[32:33], v[175:176], v[32:33]
	scratch_load_b128 v[26:29], off, off offset:400
	s_wait_loadcnt_dscnt 0x900
	v_mul_f64_e32 v[187:188], v[2:3], v[36:37]
	v_mul_f64_e32 v[36:37], v[4:5], v[36:37]
	v_add_f64_e32 v[177:178], v[177:178], v[165:166]
	v_add_f64_e32 v[179:180], v[179:180], v[167:168]
	ds_load_b128 v[165:168], v1 offset:1216
	v_fma_f64 v[175:176], v[175:176], v[30:31], v[181:182]
	v_fma_f64 v[173:174], v[173:174], v[30:31], -v[32:33]
	scratch_load_b128 v[30:33], off, off offset:416
	v_add_f64_e32 v[177:178], v[177:178], v[185:186]
	v_add_f64_e32 v[179:180], v[179:180], v[183:184]
	v_fma_f64 v[185:186], v[4:5], v[34:35], v[187:188]
	v_fma_f64 v[187:188], v[2:3], v[34:35], -v[36:37]
	ds_load_b128 v[2:5], v1 offset:1232
	s_wait_loadcnt_dscnt 0x801
	v_mul_f64_e32 v[181:182], v[165:166], v[171:172]
	v_mul_f64_e32 v[183:184], v[167:168], v[171:172]
	scratch_load_b128 v[34:37], off, off offset:432
	v_add_f64_e32 v[177:178], v[177:178], v[173:174]
	v_add_f64_e32 v[175:176], v[179:180], v[175:176]
	ds_load_b128 v[171:174], v1 offset:1248
	v_fma_f64 v[181:182], v[167:168], v[169:170], v[181:182]
	v_fma_f64 v[169:170], v[165:166], v[169:170], -v[183:184]
	scratch_load_b128 v[165:168], off, off offset:448
	s_wait_loadcnt_dscnt 0x901
	v_mul_f64_e32 v[179:180], v[2:3], v[40:41]
	v_mul_f64_e32 v[40:41], v[4:5], v[40:41]
	v_add_f64_e32 v[177:178], v[177:178], v[187:188]
	v_add_f64_e32 v[175:176], v[175:176], v[185:186]
	s_delay_alu instid0(VALU_DEP_4) | instskip(NEXT) | instid1(VALU_DEP_4)
	v_fma_f64 v[179:180], v[4:5], v[38:39], v[179:180]
	v_fma_f64 v[185:186], v[2:3], v[38:39], -v[40:41]
	ds_load_b128 v[2:5], v1 offset:1264
	s_wait_loadcnt_dscnt 0x801
	v_mul_f64_e32 v[183:184], v[171:172], v[8:9]
	v_mul_f64_e32 v[8:9], v[173:174], v[8:9]
	scratch_load_b128 v[38:41], off, off offset:464
	s_wait_loadcnt_dscnt 0x800
	v_mul_f64_e32 v[187:188], v[2:3], v[12:13]
	v_add_f64_e32 v[169:170], v[177:178], v[169:170]
	v_add_f64_e32 v[181:182], v[175:176], v[181:182]
	v_mul_f64_e32 v[12:13], v[4:5], v[12:13]
	ds_load_b128 v[175:178], v1 offset:1280
	v_fma_f64 v[173:174], v[173:174], v[6:7], v[183:184]
	v_fma_f64 v[171:172], v[171:172], v[6:7], -v[8:9]
	scratch_load_b128 v[6:9], off, off offset:480
	v_fma_f64 v[183:184], v[4:5], v[10:11], v[187:188]
	v_add_f64_e32 v[169:170], v[169:170], v[185:186]
	v_add_f64_e32 v[179:180], v[181:182], v[179:180]
	v_fma_f64 v[185:186], v[2:3], v[10:11], -v[12:13]
	ds_load_b128 v[2:5], v1 offset:1296
	s_wait_loadcnt_dscnt 0x801
	v_mul_f64_e32 v[181:182], v[175:176], v[16:17]
	v_mul_f64_e32 v[16:17], v[177:178], v[16:17]
	scratch_load_b128 v[10:13], off, off offset:496
	v_add_f64_e32 v[187:188], v[169:170], v[171:172]
	v_add_f64_e32 v[173:174], v[179:180], v[173:174]
	s_wait_loadcnt_dscnt 0x800
	v_mul_f64_e32 v[179:180], v[2:3], v[20:21]
	v_mul_f64_e32 v[20:21], v[4:5], v[20:21]
	v_fma_f64 v[177:178], v[177:178], v[14:15], v[181:182]
	v_fma_f64 v[175:176], v[175:176], v[14:15], -v[16:17]
	ds_load_b128 v[169:172], v1 offset:1312
	scratch_load_b128 v[14:17], off, off offset:512
	v_add_f64_e32 v[181:182], v[187:188], v[185:186]
	v_add_f64_e32 v[173:174], v[173:174], v[183:184]
	v_fma_f64 v[179:180], v[4:5], v[18:19], v[179:180]
	v_fma_f64 v[185:186], v[2:3], v[18:19], -v[20:21]
	ds_load_b128 v[2:5], v1 offset:1328
	s_wait_loadcnt_dscnt 0x801
	v_mul_f64_e32 v[183:184], v[169:170], v[24:25]
	v_mul_f64_e32 v[24:25], v[171:172], v[24:25]
	scratch_load_b128 v[18:21], off, off offset:528
	s_wait_loadcnt_dscnt 0x800
	v_mul_f64_e32 v[187:188], v[2:3], v[28:29]
	v_mul_f64_e32 v[28:29], v[4:5], v[28:29]
	v_add_f64_e32 v[181:182], v[181:182], v[175:176]
	v_add_f64_e32 v[177:178], v[173:174], v[177:178]
	ds_load_b128 v[173:176], v1 offset:1344
	v_fma_f64 v[171:172], v[171:172], v[22:23], v[183:184]
	v_fma_f64 v[169:170], v[169:170], v[22:23], -v[24:25]
	scratch_load_b128 v[22:25], off, off offset:544
	v_fma_f64 v[183:184], v[4:5], v[26:27], v[187:188]
	v_add_f64_e32 v[181:182], v[181:182], v[185:186]
	v_add_f64_e32 v[177:178], v[177:178], v[179:180]
	v_fma_f64 v[185:186], v[2:3], v[26:27], -v[28:29]
	ds_load_b128 v[2:5], v1 offset:1360
	s_wait_loadcnt_dscnt 0x801
	v_mul_f64_e32 v[179:180], v[173:174], v[32:33]
	v_mul_f64_e32 v[32:33], v[175:176], v[32:33]
	scratch_load_b128 v[26:29], off, off offset:560
	s_wait_loadcnt_dscnt 0x800
	v_mul_f64_e32 v[187:188], v[2:3], v[36:37]
	v_mul_f64_e32 v[36:37], v[4:5], v[36:37]
	v_add_f64_e32 v[181:182], v[181:182], v[169:170]
	v_add_f64_e32 v[177:178], v[177:178], v[171:172]
	ds_load_b128 v[169:172], v1 offset:1376
	v_fma_f64 v[175:176], v[175:176], v[30:31], v[179:180]
	v_fma_f64 v[173:174], v[173:174], v[30:31], -v[32:33]
	scratch_load_b128 v[30:33], off, off offset:576
	v_add_f64_e32 v[179:180], v[181:182], v[185:186]
	v_add_f64_e32 v[177:178], v[177:178], v[183:184]
	v_fma_f64 v[183:184], v[4:5], v[34:35], v[187:188]
	v_fma_f64 v[185:186], v[2:3], v[34:35], -v[36:37]
	ds_load_b128 v[2:5], v1 offset:1392
	s_wait_loadcnt_dscnt 0x801
	v_mul_f64_e32 v[181:182], v[169:170], v[167:168]
	v_mul_f64_e32 v[167:168], v[171:172], v[167:168]
	scratch_load_b128 v[34:37], off, off offset:592
	s_wait_loadcnt_dscnt 0x800
	v_mul_f64_e32 v[187:188], v[2:3], v[40:41]
	v_mul_f64_e32 v[40:41], v[4:5], v[40:41]
	v_add_f64_e32 v[179:180], v[179:180], v[173:174]
	v_add_f64_e32 v[177:178], v[177:178], v[175:176]
	ds_load_b128 v[173:176], v1 offset:1408
	v_fma_f64 v[171:172], v[171:172], v[165:166], v[181:182]
	v_fma_f64 v[169:170], v[169:170], v[165:166], -v[167:168]
	scratch_load_b128 v[165:168], off, off offset:608
	v_add_f64_e32 v[179:180], v[179:180], v[185:186]
	v_add_f64_e32 v[177:178], v[177:178], v[183:184]
	v_fma_f64 v[183:184], v[4:5], v[38:39], v[187:188]
	;; [unrolled: 18-line block ×6, first 2 shown]
	v_fma_f64 v[187:188], v[2:3], v[34:35], -v[36:37]
	ds_load_b128 v[2:5], v1 offset:1552
	s_wait_loadcnt_dscnt 0x801
	v_mul_f64_e32 v[181:182], v[173:174], v[167:168]
	v_mul_f64_e32 v[183:184], v[175:176], v[167:168]
	scratch_load_b128 v[34:37], off, off offset:752
	v_add_f64_e32 v[179:180], v[179:180], v[169:170]
	v_add_f64_e32 v[171:172], v[177:178], v[171:172]
	s_wait_loadcnt_dscnt 0x800
	v_mul_f64_e32 v[177:178], v[2:3], v[40:41]
	v_mul_f64_e32 v[40:41], v[4:5], v[40:41]
	ds_load_b128 v[167:170], v1 offset:1568
	v_fma_f64 v[175:176], v[175:176], v[165:166], v[181:182]
	v_fma_f64 v[165:166], v[173:174], v[165:166], -v[183:184]
	v_add_f64_e32 v[179:180], v[179:180], v[187:188]
	v_add_f64_e32 v[181:182], v[171:172], v[185:186]
	scratch_load_b128 v[171:174], off, off offset:768
	v_fma_f64 v[185:186], v[4:5], v[38:39], v[177:178]
	v_fma_f64 v[187:188], v[2:3], v[38:39], -v[40:41]
	ds_load_b128 v[2:5], v1 offset:1584
	s_wait_loadcnt_dscnt 0x801
	v_mul_f64_e32 v[183:184], v[167:168], v[8:9]
	v_mul_f64_e32 v[8:9], v[169:170], v[8:9]
	scratch_load_b128 v[38:41], off, off offset:784
	v_add_f64_e32 v[165:166], v[179:180], v[165:166]
	v_add_f64_e32 v[179:180], v[181:182], v[175:176]
	s_wait_loadcnt_dscnt 0x800
	v_mul_f64_e32 v[181:182], v[2:3], v[12:13]
	v_mul_f64_e32 v[12:13], v[4:5], v[12:13]
	ds_load_b128 v[175:178], v1 offset:1600
	v_fma_f64 v[169:170], v[169:170], v[6:7], v[183:184]
	v_fma_f64 v[167:168], v[167:168], v[6:7], -v[8:9]
	scratch_load_b128 v[6:9], off, off offset:800
	v_add_f64_e32 v[165:166], v[165:166], v[187:188]
	v_add_f64_e32 v[179:180], v[179:180], v[185:186]
	v_fma_f64 v[181:182], v[4:5], v[10:11], v[181:182]
	v_fma_f64 v[185:186], v[2:3], v[10:11], -v[12:13]
	ds_load_b128 v[2:5], v1 offset:1616
	s_wait_loadcnt_dscnt 0x801
	v_mul_f64_e32 v[183:184], v[175:176], v[16:17]
	v_mul_f64_e32 v[16:17], v[177:178], v[16:17]
	scratch_load_b128 v[10:13], off, off offset:816
	v_add_f64_e32 v[187:188], v[165:166], v[167:168]
	v_add_f64_e32 v[169:170], v[179:180], v[169:170]
	s_wait_loadcnt_dscnt 0x800
	v_mul_f64_e32 v[179:180], v[2:3], v[20:21]
	v_mul_f64_e32 v[20:21], v[4:5], v[20:21]
	ds_load_b128 v[165:168], v1 offset:1632
	v_fma_f64 v[177:178], v[177:178], v[14:15], v[183:184]
	v_fma_f64 v[175:176], v[175:176], v[14:15], -v[16:17]
	scratch_load_b128 v[14:17], off, off offset:832
	v_add_f64_e32 v[183:184], v[187:188], v[185:186]
	v_add_f64_e32 v[169:170], v[169:170], v[181:182]
	v_fma_f64 v[179:180], v[4:5], v[18:19], v[179:180]
	v_fma_f64 v[185:186], v[2:3], v[18:19], -v[20:21]
	ds_load_b128 v[2:5], v1 offset:1648
	s_wait_loadcnt_dscnt 0x801
	v_mul_f64_e32 v[181:182], v[165:166], v[24:25]
	v_mul_f64_e32 v[24:25], v[167:168], v[24:25]
	scratch_load_b128 v[18:21], off, off offset:848
	s_wait_loadcnt_dscnt 0x800
	v_mul_f64_e32 v[187:188], v[2:3], v[28:29]
	v_mul_f64_e32 v[28:29], v[4:5], v[28:29]
	v_add_f64_e32 v[183:184], v[183:184], v[175:176]
	v_add_f64_e32 v[169:170], v[169:170], v[177:178]
	ds_load_b128 v[175:178], v1 offset:1664
	v_fma_f64 v[167:168], v[167:168], v[22:23], v[181:182]
	v_fma_f64 v[165:166], v[165:166], v[22:23], -v[24:25]
	scratch_load_b128 v[22:25], off, off offset:864
	v_add_f64_e32 v[181:182], v[183:184], v[185:186]
	v_add_f64_e32 v[169:170], v[169:170], v[179:180]
	v_fma_f64 v[183:184], v[4:5], v[26:27], v[187:188]
	v_fma_f64 v[185:186], v[2:3], v[26:27], -v[28:29]
	ds_load_b128 v[2:5], v1 offset:1680
	s_wait_loadcnt_dscnt 0x801
	v_mul_f64_e32 v[179:180], v[175:176], v[32:33]
	v_mul_f64_e32 v[32:33], v[177:178], v[32:33]
	scratch_load_b128 v[26:29], off, off offset:880
	s_wait_loadcnt_dscnt 0x800
	v_mul_f64_e32 v[187:188], v[2:3], v[36:37]
	v_mul_f64_e32 v[36:37], v[4:5], v[36:37]
	v_add_f64_e32 v[181:182], v[181:182], v[165:166]
	v_add_f64_e32 v[169:170], v[169:170], v[167:168]
	ds_load_b128 v[165:168], v1 offset:1696
	v_fma_f64 v[177:178], v[177:178], v[30:31], v[179:180]
	v_fma_f64 v[175:176], v[175:176], v[30:31], -v[32:33]
	scratch_load_b128 v[30:33], off, off offset:896
	v_add_f64_e32 v[179:180], v[181:182], v[185:186]
	v_add_f64_e32 v[169:170], v[169:170], v[183:184]
	v_fma_f64 v[185:186], v[4:5], v[34:35], v[187:188]
	v_fma_f64 v[187:188], v[2:3], v[34:35], -v[36:37]
	ds_load_b128 v[2:5], v1 offset:1712
	scratch_load_b128 v[34:37], off, off offset:912
	s_wait_loadcnt_dscnt 0x901
	v_mul_f64_e32 v[181:182], v[165:166], v[173:174]
	v_mul_f64_e32 v[183:184], v[167:168], v[173:174]
	v_add_f64_e32 v[179:180], v[179:180], v[175:176]
	v_add_f64_e32 v[169:170], v[169:170], v[177:178]
	s_wait_loadcnt_dscnt 0x800
	v_mul_f64_e32 v[177:178], v[2:3], v[40:41]
	v_mul_f64_e32 v[40:41], v[4:5], v[40:41]
	ds_load_b128 v[173:176], v1 offset:1728
	v_fma_f64 v[181:182], v[167:168], v[171:172], v[181:182]
	v_fma_f64 v[171:172], v[165:166], v[171:172], -v[183:184]
	scratch_load_b128 v[165:168], off, off offset:928
	v_add_f64_e32 v[179:180], v[179:180], v[187:188]
	v_add_f64_e32 v[169:170], v[169:170], v[185:186]
	v_fma_f64 v[177:178], v[4:5], v[38:39], v[177:178]
	v_fma_f64 v[185:186], v[2:3], v[38:39], -v[40:41]
	ds_load_b128 v[2:5], v1 offset:1744
	s_wait_loadcnt_dscnt 0x801
	v_mul_f64_e32 v[183:184], v[173:174], v[8:9]
	v_mul_f64_e32 v[8:9], v[175:176], v[8:9]
	scratch_load_b128 v[38:41], off, off offset:944
	s_wait_loadcnt_dscnt 0x800
	v_mul_f64_e32 v[187:188], v[2:3], v[12:13]
	v_mul_f64_e32 v[12:13], v[4:5], v[12:13]
	v_add_f64_e32 v[179:180], v[179:180], v[171:172]
	v_add_f64_e32 v[181:182], v[169:170], v[181:182]
	ds_load_b128 v[169:172], v1 offset:1760
	v_fma_f64 v[175:176], v[175:176], v[6:7], v[183:184]
	v_fma_f64 v[6:7], v[173:174], v[6:7], -v[8:9]
	v_add_f64_e32 v[8:9], v[179:180], v[185:186]
	v_add_f64_e32 v[173:174], v[181:182], v[177:178]
	s_wait_loadcnt_dscnt 0x700
	v_mul_f64_e32 v[177:178], v[169:170], v[16:17]
	v_mul_f64_e32 v[16:17], v[171:172], v[16:17]
	v_fma_f64 v[179:180], v[4:5], v[10:11], v[187:188]
	v_fma_f64 v[10:11], v[2:3], v[10:11], -v[12:13]
	v_add_f64_e32 v[12:13], v[8:9], v[6:7]
	v_add_f64_e32 v[173:174], v[173:174], v[175:176]
	ds_load_b128 v[2:5], v1 offset:1776
	ds_load_b128 v[6:9], v1 offset:1792
	v_fma_f64 v[171:172], v[171:172], v[14:15], v[177:178]
	v_fma_f64 v[14:15], v[169:170], v[14:15], -v[16:17]
	s_wait_loadcnt_dscnt 0x601
	v_mul_f64_e32 v[175:176], v[2:3], v[20:21]
	v_mul_f64_e32 v[20:21], v[4:5], v[20:21]
	s_wait_loadcnt_dscnt 0x500
	v_mul_f64_e32 v[16:17], v[6:7], v[24:25]
	v_mul_f64_e32 v[24:25], v[8:9], v[24:25]
	v_add_f64_e32 v[10:11], v[12:13], v[10:11]
	v_add_f64_e32 v[12:13], v[173:174], v[179:180]
	v_fma_f64 v[169:170], v[4:5], v[18:19], v[175:176]
	v_fma_f64 v[18:19], v[2:3], v[18:19], -v[20:21]
	v_fma_f64 v[8:9], v[8:9], v[22:23], v[16:17]
	v_fma_f64 v[6:7], v[6:7], v[22:23], -v[24:25]
	v_add_f64_e32 v[14:15], v[10:11], v[14:15]
	v_add_f64_e32 v[20:21], v[12:13], v[171:172]
	ds_load_b128 v[2:5], v1 offset:1808
	ds_load_b128 v[10:13], v1 offset:1824
	s_wait_loadcnt_dscnt 0x401
	v_mul_f64_e32 v[171:172], v[2:3], v[28:29]
	v_mul_f64_e32 v[28:29], v[4:5], v[28:29]
	v_add_f64_e32 v[14:15], v[14:15], v[18:19]
	v_add_f64_e32 v[16:17], v[20:21], v[169:170]
	s_wait_loadcnt_dscnt 0x300
	v_mul_f64_e32 v[18:19], v[10:11], v[32:33]
	v_mul_f64_e32 v[20:21], v[12:13], v[32:33]
	v_fma_f64 v[22:23], v[4:5], v[26:27], v[171:172]
	v_fma_f64 v[24:25], v[2:3], v[26:27], -v[28:29]
	v_add_f64_e32 v[14:15], v[14:15], v[6:7]
	v_add_f64_e32 v[16:17], v[16:17], v[8:9]
	ds_load_b128 v[2:5], v1 offset:1840
	ds_load_b128 v[6:9], v1 offset:1856
	v_fma_f64 v[12:13], v[12:13], v[30:31], v[18:19]
	v_fma_f64 v[10:11], v[10:11], v[30:31], -v[20:21]
	s_wait_loadcnt_dscnt 0x201
	v_mul_f64_e32 v[26:27], v[2:3], v[36:37]
	v_mul_f64_e32 v[28:29], v[4:5], v[36:37]
	s_wait_loadcnt_dscnt 0x100
	v_mul_f64_e32 v[18:19], v[6:7], v[167:168]
	v_mul_f64_e32 v[20:21], v[8:9], v[167:168]
	v_add_f64_e32 v[14:15], v[14:15], v[24:25]
	v_add_f64_e32 v[16:17], v[16:17], v[22:23]
	v_fma_f64 v[22:23], v[4:5], v[34:35], v[26:27]
	v_fma_f64 v[24:25], v[2:3], v[34:35], -v[28:29]
	ds_load_b128 v[2:5], v1 offset:1872
	v_fma_f64 v[8:9], v[8:9], v[165:166], v[18:19]
	v_fma_f64 v[6:7], v[6:7], v[165:166], -v[20:21]
	v_add_f64_e32 v[10:11], v[14:15], v[10:11]
	v_add_f64_e32 v[12:13], v[16:17], v[12:13]
	s_wait_loadcnt_dscnt 0x0
	v_mul_f64_e32 v[14:15], v[2:3], v[40:41]
	v_mul_f64_e32 v[16:17], v[4:5], v[40:41]
	s_delay_alu instid0(VALU_DEP_4) | instskip(NEXT) | instid1(VALU_DEP_4)
	v_add_f64_e32 v[10:11], v[10:11], v[24:25]
	v_add_f64_e32 v[12:13], v[12:13], v[22:23]
	s_delay_alu instid0(VALU_DEP_4) | instskip(NEXT) | instid1(VALU_DEP_4)
	v_fma_f64 v[4:5], v[4:5], v[38:39], v[14:15]
	v_fma_f64 v[2:3], v[2:3], v[38:39], -v[16:17]
	s_delay_alu instid0(VALU_DEP_4) | instskip(NEXT) | instid1(VALU_DEP_4)
	v_add_f64_e32 v[6:7], v[10:11], v[6:7]
	v_add_f64_e32 v[8:9], v[12:13], v[8:9]
	s_delay_alu instid0(VALU_DEP_2) | instskip(NEXT) | instid1(VALU_DEP_2)
	v_add_f64_e32 v[2:3], v[6:7], v[2:3]
	v_add_f64_e32 v[4:5], v[8:9], v[4:5]
	s_delay_alu instid0(VALU_DEP_2) | instskip(NEXT) | instid1(VALU_DEP_2)
	v_add_f64_e64 v[2:3], v[42:43], -v[2:3]
	v_add_f64_e64 v[4:5], v[44:45], -v[4:5]
	scratch_store_b128 off, v[2:5], off offset:128
	v_cmpx_lt_u32_e32 6, v0
	s_cbranch_execz .LBB122_355
; %bb.354:
	scratch_load_b128 v[5:8], off, s66
	v_dual_mov_b32 v2, v1 :: v_dual_mov_b32 v3, v1
	v_mov_b32_e32 v4, v1
	scratch_store_b128 off, v[1:4], off offset:112
	s_wait_loadcnt 0x0
	ds_store_b128 v164, v[5:8]
.LBB122_355:
	s_wait_alu 0xfffe
	s_or_b32 exec_lo, exec_lo, s0
	s_wait_storecnt_dscnt 0x0
	s_barrier_signal -1
	s_barrier_wait -1
	global_inv scope:SCOPE_SE
	s_clause 0x8
	scratch_load_b128 v[2:5], off, off offset:128
	scratch_load_b128 v[6:9], off, off offset:144
	;; [unrolled: 1-line block ×9, first 2 shown]
	ds_load_b128 v[42:45], v1 offset:1056
	ds_load_b128 v[38:41], v1 offset:1072
	s_clause 0x1
	scratch_load_b128 v[165:168], off, off offset:112
	scratch_load_b128 v[169:172], off, off offset:272
	s_mov_b32 s0, exec_lo
	s_wait_loadcnt_dscnt 0xa01
	v_mul_f64_e32 v[173:174], v[44:45], v[4:5]
	v_mul_f64_e32 v[4:5], v[42:43], v[4:5]
	s_wait_loadcnt_dscnt 0x900
	v_mul_f64_e32 v[177:178], v[38:39], v[8:9]
	v_mul_f64_e32 v[8:9], v[40:41], v[8:9]
	s_delay_alu instid0(VALU_DEP_4) | instskip(NEXT) | instid1(VALU_DEP_4)
	v_fma_f64 v[179:180], v[42:43], v[2:3], -v[173:174]
	v_fma_f64 v[181:182], v[44:45], v[2:3], v[4:5]
	ds_load_b128 v[2:5], v1 offset:1088
	ds_load_b128 v[173:176], v1 offset:1104
	scratch_load_b128 v[42:45], off, off offset:288
	v_fma_f64 v[40:41], v[40:41], v[6:7], v[177:178]
	v_fma_f64 v[38:39], v[38:39], v[6:7], -v[8:9]
	scratch_load_b128 v[6:9], off, off offset:304
	s_wait_loadcnt_dscnt 0xa01
	v_mul_f64_e32 v[183:184], v[2:3], v[12:13]
	v_mul_f64_e32 v[12:13], v[4:5], v[12:13]
	v_add_f64_e32 v[177:178], 0, v[179:180]
	v_add_f64_e32 v[179:180], 0, v[181:182]
	s_wait_loadcnt_dscnt 0x900
	v_mul_f64_e32 v[181:182], v[173:174], v[16:17]
	v_mul_f64_e32 v[16:17], v[175:176], v[16:17]
	v_fma_f64 v[183:184], v[4:5], v[10:11], v[183:184]
	v_fma_f64 v[185:186], v[2:3], v[10:11], -v[12:13]
	ds_load_b128 v[2:5], v1 offset:1120
	scratch_load_b128 v[10:13], off, off offset:320
	v_add_f64_e32 v[177:178], v[177:178], v[38:39]
	v_add_f64_e32 v[179:180], v[179:180], v[40:41]
	ds_load_b128 v[38:41], v1 offset:1136
	v_fma_f64 v[175:176], v[175:176], v[14:15], v[181:182]
	v_fma_f64 v[173:174], v[173:174], v[14:15], -v[16:17]
	scratch_load_b128 v[14:17], off, off offset:336
	s_wait_loadcnt_dscnt 0xa01
	v_mul_f64_e32 v[187:188], v[2:3], v[20:21]
	v_mul_f64_e32 v[20:21], v[4:5], v[20:21]
	s_wait_loadcnt_dscnt 0x900
	v_mul_f64_e32 v[181:182], v[38:39], v[24:25]
	v_mul_f64_e32 v[24:25], v[40:41], v[24:25]
	v_add_f64_e32 v[177:178], v[177:178], v[185:186]
	v_add_f64_e32 v[179:180], v[179:180], v[183:184]
	v_fma_f64 v[183:184], v[4:5], v[18:19], v[187:188]
	v_fma_f64 v[185:186], v[2:3], v[18:19], -v[20:21]
	ds_load_b128 v[2:5], v1 offset:1152
	scratch_load_b128 v[18:21], off, off offset:352
	v_fma_f64 v[40:41], v[40:41], v[22:23], v[181:182]
	v_fma_f64 v[38:39], v[38:39], v[22:23], -v[24:25]
	scratch_load_b128 v[22:25], off, off offset:368
	v_add_f64_e32 v[177:178], v[177:178], v[173:174]
	v_add_f64_e32 v[179:180], v[179:180], v[175:176]
	ds_load_b128 v[173:176], v1 offset:1168
	s_wait_loadcnt_dscnt 0xa01
	v_mul_f64_e32 v[187:188], v[2:3], v[28:29]
	v_mul_f64_e32 v[28:29], v[4:5], v[28:29]
	s_wait_loadcnt_dscnt 0x900
	v_mul_f64_e32 v[181:182], v[173:174], v[32:33]
	v_mul_f64_e32 v[32:33], v[175:176], v[32:33]
	v_add_f64_e32 v[177:178], v[177:178], v[185:186]
	v_add_f64_e32 v[179:180], v[179:180], v[183:184]
	v_fma_f64 v[183:184], v[4:5], v[26:27], v[187:188]
	v_fma_f64 v[185:186], v[2:3], v[26:27], -v[28:29]
	ds_load_b128 v[2:5], v1 offset:1184
	scratch_load_b128 v[26:29], off, off offset:384
	v_fma_f64 v[175:176], v[175:176], v[30:31], v[181:182]
	v_fma_f64 v[173:174], v[173:174], v[30:31], -v[32:33]
	scratch_load_b128 v[30:33], off, off offset:400
	v_add_f64_e32 v[177:178], v[177:178], v[38:39]
	v_add_f64_e32 v[179:180], v[179:180], v[40:41]
	ds_load_b128 v[38:41], v1 offset:1200
	s_wait_loadcnt_dscnt 0xa01
	v_mul_f64_e32 v[187:188], v[2:3], v[36:37]
	v_mul_f64_e32 v[36:37], v[4:5], v[36:37]
	s_wait_loadcnt_dscnt 0x800
	v_mul_f64_e32 v[181:182], v[38:39], v[171:172]
	v_add_f64_e32 v[177:178], v[177:178], v[185:186]
	v_add_f64_e32 v[179:180], v[179:180], v[183:184]
	v_mul_f64_e32 v[183:184], v[40:41], v[171:172]
	v_fma_f64 v[185:186], v[4:5], v[34:35], v[187:188]
	v_fma_f64 v[187:188], v[2:3], v[34:35], -v[36:37]
	ds_load_b128 v[2:5], v1 offset:1216
	scratch_load_b128 v[34:37], off, off offset:416
	v_fma_f64 v[181:182], v[40:41], v[169:170], v[181:182]
	v_add_f64_e32 v[177:178], v[177:178], v[173:174]
	v_add_f64_e32 v[175:176], v[179:180], v[175:176]
	ds_load_b128 v[171:174], v1 offset:1232
	v_fma_f64 v[169:170], v[38:39], v[169:170], -v[183:184]
	scratch_load_b128 v[38:41], off, off offset:432
	s_wait_loadcnt_dscnt 0x901
	v_mul_f64_e32 v[179:180], v[2:3], v[44:45]
	v_mul_f64_e32 v[44:45], v[4:5], v[44:45]
	s_wait_loadcnt_dscnt 0x800
	v_mul_f64_e32 v[183:184], v[171:172], v[8:9]
	v_mul_f64_e32 v[8:9], v[173:174], v[8:9]
	v_add_f64_e32 v[177:178], v[177:178], v[187:188]
	v_add_f64_e32 v[175:176], v[175:176], v[185:186]
	v_fma_f64 v[179:180], v[4:5], v[42:43], v[179:180]
	v_fma_f64 v[185:186], v[2:3], v[42:43], -v[44:45]
	ds_load_b128 v[2:5], v1 offset:1248
	scratch_load_b128 v[42:45], off, off offset:448
	v_fma_f64 v[173:174], v[173:174], v[6:7], v[183:184]
	v_fma_f64 v[171:172], v[171:172], v[6:7], -v[8:9]
	scratch_load_b128 v[6:9], off, off offset:464
	v_add_f64_e32 v[169:170], v[177:178], v[169:170]
	v_add_f64_e32 v[181:182], v[175:176], v[181:182]
	ds_load_b128 v[175:178], v1 offset:1264
	s_wait_loadcnt_dscnt 0x901
	v_mul_f64_e32 v[187:188], v[2:3], v[12:13]
	v_mul_f64_e32 v[12:13], v[4:5], v[12:13]
	v_add_f64_e32 v[169:170], v[169:170], v[185:186]
	v_add_f64_e32 v[179:180], v[181:182], v[179:180]
	s_wait_loadcnt_dscnt 0x800
	v_mul_f64_e32 v[181:182], v[175:176], v[16:17]
	v_mul_f64_e32 v[16:17], v[177:178], v[16:17]
	v_fma_f64 v[183:184], v[4:5], v[10:11], v[187:188]
	v_fma_f64 v[185:186], v[2:3], v[10:11], -v[12:13]
	ds_load_b128 v[2:5], v1 offset:1280
	scratch_load_b128 v[10:13], off, off offset:480
	v_add_f64_e32 v[187:188], v[169:170], v[171:172]
	v_add_f64_e32 v[173:174], v[179:180], v[173:174]
	ds_load_b128 v[169:172], v1 offset:1296
	s_wait_loadcnt_dscnt 0x801
	v_mul_f64_e32 v[179:180], v[2:3], v[20:21]
	v_mul_f64_e32 v[20:21], v[4:5], v[20:21]
	v_fma_f64 v[177:178], v[177:178], v[14:15], v[181:182]
	v_fma_f64 v[175:176], v[175:176], v[14:15], -v[16:17]
	scratch_load_b128 v[14:17], off, off offset:496
	v_add_f64_e32 v[181:182], v[187:188], v[185:186]
	v_add_f64_e32 v[173:174], v[173:174], v[183:184]
	s_wait_loadcnt_dscnt 0x800
	v_mul_f64_e32 v[183:184], v[169:170], v[24:25]
	v_mul_f64_e32 v[24:25], v[171:172], v[24:25]
	v_fma_f64 v[179:180], v[4:5], v[18:19], v[179:180]
	v_fma_f64 v[185:186], v[2:3], v[18:19], -v[20:21]
	ds_load_b128 v[2:5], v1 offset:1312
	scratch_load_b128 v[18:21], off, off offset:512
	v_add_f64_e32 v[181:182], v[181:182], v[175:176]
	v_add_f64_e32 v[177:178], v[173:174], v[177:178]
	ds_load_b128 v[173:176], v1 offset:1328
	s_wait_loadcnt_dscnt 0x801
	v_mul_f64_e32 v[187:188], v[2:3], v[28:29]
	v_mul_f64_e32 v[28:29], v[4:5], v[28:29]
	v_fma_f64 v[171:172], v[171:172], v[22:23], v[183:184]
	v_fma_f64 v[169:170], v[169:170], v[22:23], -v[24:25]
	scratch_load_b128 v[22:25], off, off offset:528
	;; [unrolled: 18-line block ×4, first 2 shown]
	s_wait_loadcnt_dscnt 0x800
	v_mul_f64_e32 v[181:182], v[173:174], v[8:9]
	v_mul_f64_e32 v[8:9], v[175:176], v[8:9]
	v_add_f64_e32 v[179:180], v[179:180], v[185:186]
	v_add_f64_e32 v[177:178], v[177:178], v[183:184]
	v_fma_f64 v[183:184], v[4:5], v[42:43], v[187:188]
	v_fma_f64 v[185:186], v[2:3], v[42:43], -v[44:45]
	ds_load_b128 v[2:5], v1 offset:1408
	scratch_load_b128 v[42:45], off, off offset:608
	v_fma_f64 v[175:176], v[175:176], v[6:7], v[181:182]
	v_fma_f64 v[173:174], v[173:174], v[6:7], -v[8:9]
	scratch_load_b128 v[6:9], off, off offset:624
	v_add_f64_e32 v[179:180], v[179:180], v[169:170]
	v_add_f64_e32 v[177:178], v[177:178], v[171:172]
	ds_load_b128 v[169:172], v1 offset:1424
	s_wait_loadcnt_dscnt 0x901
	v_mul_f64_e32 v[187:188], v[2:3], v[12:13]
	v_mul_f64_e32 v[12:13], v[4:5], v[12:13]
	s_wait_loadcnt_dscnt 0x800
	v_mul_f64_e32 v[181:182], v[169:170], v[16:17]
	v_mul_f64_e32 v[16:17], v[171:172], v[16:17]
	v_add_f64_e32 v[179:180], v[179:180], v[185:186]
	v_add_f64_e32 v[177:178], v[177:178], v[183:184]
	v_fma_f64 v[183:184], v[4:5], v[10:11], v[187:188]
	v_fma_f64 v[185:186], v[2:3], v[10:11], -v[12:13]
	ds_load_b128 v[2:5], v1 offset:1440
	scratch_load_b128 v[10:13], off, off offset:640
	v_fma_f64 v[171:172], v[171:172], v[14:15], v[181:182]
	v_fma_f64 v[169:170], v[169:170], v[14:15], -v[16:17]
	scratch_load_b128 v[14:17], off, off offset:656
	v_add_f64_e32 v[179:180], v[179:180], v[173:174]
	v_add_f64_e32 v[177:178], v[177:178], v[175:176]
	ds_load_b128 v[173:176], v1 offset:1456
	s_wait_loadcnt_dscnt 0x901
	v_mul_f64_e32 v[187:188], v[2:3], v[20:21]
	v_mul_f64_e32 v[20:21], v[4:5], v[20:21]
	;; [unrolled: 18-line block ×11, first 2 shown]
	s_wait_loadcnt_dscnt 0x800
	v_mul_f64_e32 v[181:182], v[169:170], v[16:17]
	v_mul_f64_e32 v[16:17], v[171:172], v[16:17]
	v_add_f64_e32 v[179:180], v[179:180], v[185:186]
	v_add_f64_e32 v[177:178], v[177:178], v[183:184]
	v_fma_f64 v[183:184], v[4:5], v[10:11], v[187:188]
	v_fma_f64 v[185:186], v[2:3], v[10:11], -v[12:13]
	ds_load_b128 v[2:5], v1 offset:1760
	ds_load_b128 v[10:13], v1 offset:1776
	v_fma_f64 v[171:172], v[171:172], v[14:15], v[181:182]
	v_fma_f64 v[14:15], v[169:170], v[14:15], -v[16:17]
	v_add_f64_e32 v[173:174], v[179:180], v[173:174]
	v_add_f64_e32 v[175:176], v[177:178], v[175:176]
	s_wait_loadcnt_dscnt 0x701
	v_mul_f64_e32 v[177:178], v[2:3], v[20:21]
	v_mul_f64_e32 v[20:21], v[4:5], v[20:21]
	s_delay_alu instid0(VALU_DEP_4) | instskip(NEXT) | instid1(VALU_DEP_4)
	v_add_f64_e32 v[16:17], v[173:174], v[185:186]
	v_add_f64_e32 v[169:170], v[175:176], v[183:184]
	s_wait_loadcnt_dscnt 0x600
	v_mul_f64_e32 v[173:174], v[10:11], v[24:25]
	v_mul_f64_e32 v[24:25], v[12:13], v[24:25]
	v_fma_f64 v[175:176], v[4:5], v[18:19], v[177:178]
	v_fma_f64 v[18:19], v[2:3], v[18:19], -v[20:21]
	v_add_f64_e32 v[20:21], v[16:17], v[14:15]
	v_add_f64_e32 v[169:170], v[169:170], v[171:172]
	ds_load_b128 v[2:5], v1 offset:1792
	ds_load_b128 v[14:17], v1 offset:1808
	v_fma_f64 v[12:13], v[12:13], v[22:23], v[173:174]
	v_fma_f64 v[10:11], v[10:11], v[22:23], -v[24:25]
	s_wait_loadcnt_dscnt 0x501
	v_mul_f64_e32 v[171:172], v[2:3], v[28:29]
	v_mul_f64_e32 v[28:29], v[4:5], v[28:29]
	s_wait_loadcnt_dscnt 0x400
	v_mul_f64_e32 v[22:23], v[14:15], v[32:33]
	v_mul_f64_e32 v[24:25], v[16:17], v[32:33]
	v_add_f64_e32 v[18:19], v[20:21], v[18:19]
	v_add_f64_e32 v[20:21], v[169:170], v[175:176]
	v_fma_f64 v[32:33], v[4:5], v[26:27], v[171:172]
	v_fma_f64 v[26:27], v[2:3], v[26:27], -v[28:29]
	v_fma_f64 v[16:17], v[16:17], v[30:31], v[22:23]
	v_fma_f64 v[14:15], v[14:15], v[30:31], -v[24:25]
	v_add_f64_e32 v[18:19], v[18:19], v[10:11]
	v_add_f64_e32 v[20:21], v[20:21], v[12:13]
	ds_load_b128 v[2:5], v1 offset:1824
	ds_load_b128 v[10:13], v1 offset:1840
	s_wait_loadcnt_dscnt 0x301
	v_mul_f64_e32 v[28:29], v[2:3], v[36:37]
	v_mul_f64_e32 v[36:37], v[4:5], v[36:37]
	s_wait_loadcnt_dscnt 0x200
	v_mul_f64_e32 v[22:23], v[10:11], v[40:41]
	v_mul_f64_e32 v[24:25], v[12:13], v[40:41]
	v_add_f64_e32 v[18:19], v[18:19], v[26:27]
	v_add_f64_e32 v[20:21], v[20:21], v[32:33]
	v_fma_f64 v[26:27], v[4:5], v[34:35], v[28:29]
	v_fma_f64 v[28:29], v[2:3], v[34:35], -v[36:37]
	v_fma_f64 v[12:13], v[12:13], v[38:39], v[22:23]
	v_fma_f64 v[10:11], v[10:11], v[38:39], -v[24:25]
	v_add_f64_e32 v[18:19], v[18:19], v[14:15]
	v_add_f64_e32 v[20:21], v[20:21], v[16:17]
	ds_load_b128 v[2:5], v1 offset:1856
	ds_load_b128 v[14:17], v1 offset:1872
	s_wait_loadcnt_dscnt 0x101
	v_mul_f64_e32 v[30:31], v[2:3], v[44:45]
	v_mul_f64_e32 v[32:33], v[4:5], v[44:45]
	s_wait_loadcnt_dscnt 0x0
	v_mul_f64_e32 v[22:23], v[14:15], v[8:9]
	v_mul_f64_e32 v[8:9], v[16:17], v[8:9]
	v_add_f64_e32 v[18:19], v[18:19], v[28:29]
	v_add_f64_e32 v[20:21], v[20:21], v[26:27]
	v_fma_f64 v[4:5], v[4:5], v[42:43], v[30:31]
	v_fma_f64 v[1:2], v[2:3], v[42:43], -v[32:33]
	v_fma_f64 v[16:17], v[16:17], v[6:7], v[22:23]
	v_fma_f64 v[6:7], v[14:15], v[6:7], -v[8:9]
	v_add_f64_e32 v[10:11], v[18:19], v[10:11]
	v_add_f64_e32 v[12:13], v[20:21], v[12:13]
	s_delay_alu instid0(VALU_DEP_2) | instskip(NEXT) | instid1(VALU_DEP_2)
	v_add_f64_e32 v[1:2], v[10:11], v[1:2]
	v_add_f64_e32 v[3:4], v[12:13], v[4:5]
	s_delay_alu instid0(VALU_DEP_2) | instskip(NEXT) | instid1(VALU_DEP_2)
	;; [unrolled: 3-line block ×3, first 2 shown]
	v_add_f64_e64 v[1:2], v[165:166], -v[1:2]
	v_add_f64_e64 v[3:4], v[167:168], -v[3:4]
	scratch_store_b128 off, v[1:4], off offset:112
	v_cmpx_lt_u32_e32 5, v0
	s_cbranch_execz .LBB122_357
; %bb.356:
	scratch_load_b128 v[1:4], off, s67
	v_mov_b32_e32 v5, 0
	s_delay_alu instid0(VALU_DEP_1)
	v_dual_mov_b32 v6, v5 :: v_dual_mov_b32 v7, v5
	v_mov_b32_e32 v8, v5
	scratch_store_b128 off, v[5:8], off offset:96
	s_wait_loadcnt 0x0
	ds_store_b128 v164, v[1:4]
.LBB122_357:
	s_wait_alu 0xfffe
	s_or_b32 exec_lo, exec_lo, s0
	s_wait_storecnt_dscnt 0x0
	s_barrier_signal -1
	s_barrier_wait -1
	global_inv scope:SCOPE_SE
	s_clause 0x7
	scratch_load_b128 v[2:5], off, off offset:112
	scratch_load_b128 v[6:9], off, off offset:128
	;; [unrolled: 1-line block ×8, first 2 shown]
	v_mov_b32_e32 v1, 0
	s_mov_b32 s0, exec_lo
	ds_load_b128 v[38:41], v1 offset:1040
	s_clause 0x1
	scratch_load_b128 v[34:37], off, off offset:240
	scratch_load_b128 v[42:45], off, off offset:96
	ds_load_b128 v[165:168], v1 offset:1056
	scratch_load_b128 v[169:172], off, off offset:256
	s_wait_loadcnt_dscnt 0xa01
	v_mul_f64_e32 v[173:174], v[40:41], v[4:5]
	v_mul_f64_e32 v[4:5], v[38:39], v[4:5]
	s_delay_alu instid0(VALU_DEP_2) | instskip(NEXT) | instid1(VALU_DEP_2)
	v_fma_f64 v[179:180], v[38:39], v[2:3], -v[173:174]
	v_fma_f64 v[181:182], v[40:41], v[2:3], v[4:5]
	ds_load_b128 v[2:5], v1 offset:1072
	s_wait_loadcnt_dscnt 0x901
	v_mul_f64_e32 v[177:178], v[165:166], v[8:9]
	v_mul_f64_e32 v[8:9], v[167:168], v[8:9]
	scratch_load_b128 v[38:41], off, off offset:272
	ds_load_b128 v[173:176], v1 offset:1088
	s_wait_loadcnt_dscnt 0x901
	v_mul_f64_e32 v[183:184], v[2:3], v[12:13]
	v_mul_f64_e32 v[12:13], v[4:5], v[12:13]
	v_fma_f64 v[167:168], v[167:168], v[6:7], v[177:178]
	v_fma_f64 v[165:166], v[165:166], v[6:7], -v[8:9]
	v_add_f64_e32 v[177:178], 0, v[179:180]
	v_add_f64_e32 v[179:180], 0, v[181:182]
	scratch_load_b128 v[6:9], off, off offset:288
	v_fma_f64 v[183:184], v[4:5], v[10:11], v[183:184]
	v_fma_f64 v[185:186], v[2:3], v[10:11], -v[12:13]
	ds_load_b128 v[2:5], v1 offset:1104
	s_wait_loadcnt_dscnt 0x901
	v_mul_f64_e32 v[181:182], v[173:174], v[16:17]
	v_mul_f64_e32 v[16:17], v[175:176], v[16:17]
	scratch_load_b128 v[10:13], off, off offset:304
	v_add_f64_e32 v[177:178], v[177:178], v[165:166]
	v_add_f64_e32 v[179:180], v[179:180], v[167:168]
	s_wait_loadcnt_dscnt 0x900
	v_mul_f64_e32 v[187:188], v[2:3], v[20:21]
	v_mul_f64_e32 v[20:21], v[4:5], v[20:21]
	ds_load_b128 v[165:168], v1 offset:1120
	v_fma_f64 v[175:176], v[175:176], v[14:15], v[181:182]
	v_fma_f64 v[173:174], v[173:174], v[14:15], -v[16:17]
	scratch_load_b128 v[14:17], off, off offset:320
	v_add_f64_e32 v[177:178], v[177:178], v[185:186]
	v_add_f64_e32 v[179:180], v[179:180], v[183:184]
	v_fma_f64 v[183:184], v[4:5], v[18:19], v[187:188]
	v_fma_f64 v[185:186], v[2:3], v[18:19], -v[20:21]
	ds_load_b128 v[2:5], v1 offset:1136
	s_wait_loadcnt_dscnt 0x901
	v_mul_f64_e32 v[181:182], v[165:166], v[24:25]
	v_mul_f64_e32 v[24:25], v[167:168], v[24:25]
	scratch_load_b128 v[18:21], off, off offset:336
	s_wait_loadcnt_dscnt 0x900
	v_mul_f64_e32 v[187:188], v[2:3], v[28:29]
	v_mul_f64_e32 v[28:29], v[4:5], v[28:29]
	v_add_f64_e32 v[177:178], v[177:178], v[173:174]
	v_add_f64_e32 v[179:180], v[179:180], v[175:176]
	ds_load_b128 v[173:176], v1 offset:1152
	v_fma_f64 v[167:168], v[167:168], v[22:23], v[181:182]
	v_fma_f64 v[165:166], v[165:166], v[22:23], -v[24:25]
	scratch_load_b128 v[22:25], off, off offset:352
	v_add_f64_e32 v[177:178], v[177:178], v[185:186]
	v_add_f64_e32 v[179:180], v[179:180], v[183:184]
	v_fma_f64 v[183:184], v[4:5], v[26:27], v[187:188]
	v_fma_f64 v[185:186], v[2:3], v[26:27], -v[28:29]
	ds_load_b128 v[2:5], v1 offset:1168
	s_wait_loadcnt_dscnt 0x901
	v_mul_f64_e32 v[181:182], v[173:174], v[32:33]
	v_mul_f64_e32 v[32:33], v[175:176], v[32:33]
	scratch_load_b128 v[26:29], off, off offset:368
	s_wait_loadcnt_dscnt 0x900
	v_mul_f64_e32 v[187:188], v[2:3], v[36:37]
	v_mul_f64_e32 v[36:37], v[4:5], v[36:37]
	v_add_f64_e32 v[177:178], v[177:178], v[165:166]
	v_add_f64_e32 v[179:180], v[179:180], v[167:168]
	ds_load_b128 v[165:168], v1 offset:1184
	v_fma_f64 v[175:176], v[175:176], v[30:31], v[181:182]
	v_fma_f64 v[173:174], v[173:174], v[30:31], -v[32:33]
	scratch_load_b128 v[30:33], off, off offset:384
	v_add_f64_e32 v[177:178], v[177:178], v[185:186]
	v_add_f64_e32 v[179:180], v[179:180], v[183:184]
	v_fma_f64 v[185:186], v[4:5], v[34:35], v[187:188]
	v_fma_f64 v[187:188], v[2:3], v[34:35], -v[36:37]
	ds_load_b128 v[2:5], v1 offset:1200
	s_wait_loadcnt_dscnt 0x801
	v_mul_f64_e32 v[181:182], v[165:166], v[171:172]
	v_mul_f64_e32 v[183:184], v[167:168], v[171:172]
	scratch_load_b128 v[34:37], off, off offset:400
	v_add_f64_e32 v[177:178], v[177:178], v[173:174]
	v_add_f64_e32 v[175:176], v[179:180], v[175:176]
	ds_load_b128 v[171:174], v1 offset:1216
	v_fma_f64 v[181:182], v[167:168], v[169:170], v[181:182]
	v_fma_f64 v[169:170], v[165:166], v[169:170], -v[183:184]
	scratch_load_b128 v[165:168], off, off offset:416
	s_wait_loadcnt_dscnt 0x901
	v_mul_f64_e32 v[179:180], v[2:3], v[40:41]
	v_mul_f64_e32 v[40:41], v[4:5], v[40:41]
	v_add_f64_e32 v[177:178], v[177:178], v[187:188]
	v_add_f64_e32 v[175:176], v[175:176], v[185:186]
	s_delay_alu instid0(VALU_DEP_4) | instskip(NEXT) | instid1(VALU_DEP_4)
	v_fma_f64 v[179:180], v[4:5], v[38:39], v[179:180]
	v_fma_f64 v[185:186], v[2:3], v[38:39], -v[40:41]
	ds_load_b128 v[2:5], v1 offset:1232
	s_wait_loadcnt_dscnt 0x801
	v_mul_f64_e32 v[183:184], v[171:172], v[8:9]
	v_mul_f64_e32 v[8:9], v[173:174], v[8:9]
	scratch_load_b128 v[38:41], off, off offset:432
	s_wait_loadcnt_dscnt 0x800
	v_mul_f64_e32 v[187:188], v[2:3], v[12:13]
	v_add_f64_e32 v[169:170], v[177:178], v[169:170]
	v_add_f64_e32 v[181:182], v[175:176], v[181:182]
	v_mul_f64_e32 v[12:13], v[4:5], v[12:13]
	ds_load_b128 v[175:178], v1 offset:1248
	v_fma_f64 v[173:174], v[173:174], v[6:7], v[183:184]
	v_fma_f64 v[171:172], v[171:172], v[6:7], -v[8:9]
	scratch_load_b128 v[6:9], off, off offset:448
	v_fma_f64 v[183:184], v[4:5], v[10:11], v[187:188]
	v_add_f64_e32 v[169:170], v[169:170], v[185:186]
	v_add_f64_e32 v[179:180], v[181:182], v[179:180]
	v_fma_f64 v[185:186], v[2:3], v[10:11], -v[12:13]
	ds_load_b128 v[2:5], v1 offset:1264
	s_wait_loadcnt_dscnt 0x801
	v_mul_f64_e32 v[181:182], v[175:176], v[16:17]
	v_mul_f64_e32 v[16:17], v[177:178], v[16:17]
	scratch_load_b128 v[10:13], off, off offset:464
	v_add_f64_e32 v[187:188], v[169:170], v[171:172]
	v_add_f64_e32 v[173:174], v[179:180], v[173:174]
	s_wait_loadcnt_dscnt 0x800
	v_mul_f64_e32 v[179:180], v[2:3], v[20:21]
	v_mul_f64_e32 v[20:21], v[4:5], v[20:21]
	v_fma_f64 v[177:178], v[177:178], v[14:15], v[181:182]
	v_fma_f64 v[175:176], v[175:176], v[14:15], -v[16:17]
	ds_load_b128 v[169:172], v1 offset:1280
	scratch_load_b128 v[14:17], off, off offset:480
	v_add_f64_e32 v[181:182], v[187:188], v[185:186]
	v_add_f64_e32 v[173:174], v[173:174], v[183:184]
	v_fma_f64 v[179:180], v[4:5], v[18:19], v[179:180]
	v_fma_f64 v[185:186], v[2:3], v[18:19], -v[20:21]
	ds_load_b128 v[2:5], v1 offset:1296
	s_wait_loadcnt_dscnt 0x801
	v_mul_f64_e32 v[183:184], v[169:170], v[24:25]
	v_mul_f64_e32 v[24:25], v[171:172], v[24:25]
	scratch_load_b128 v[18:21], off, off offset:496
	s_wait_loadcnt_dscnt 0x800
	v_mul_f64_e32 v[187:188], v[2:3], v[28:29]
	v_mul_f64_e32 v[28:29], v[4:5], v[28:29]
	v_add_f64_e32 v[181:182], v[181:182], v[175:176]
	v_add_f64_e32 v[177:178], v[173:174], v[177:178]
	ds_load_b128 v[173:176], v1 offset:1312
	v_fma_f64 v[171:172], v[171:172], v[22:23], v[183:184]
	v_fma_f64 v[169:170], v[169:170], v[22:23], -v[24:25]
	scratch_load_b128 v[22:25], off, off offset:512
	v_fma_f64 v[183:184], v[4:5], v[26:27], v[187:188]
	v_add_f64_e32 v[181:182], v[181:182], v[185:186]
	v_add_f64_e32 v[177:178], v[177:178], v[179:180]
	v_fma_f64 v[185:186], v[2:3], v[26:27], -v[28:29]
	ds_load_b128 v[2:5], v1 offset:1328
	s_wait_loadcnt_dscnt 0x801
	v_mul_f64_e32 v[179:180], v[173:174], v[32:33]
	v_mul_f64_e32 v[32:33], v[175:176], v[32:33]
	scratch_load_b128 v[26:29], off, off offset:528
	s_wait_loadcnt_dscnt 0x800
	v_mul_f64_e32 v[187:188], v[2:3], v[36:37]
	v_mul_f64_e32 v[36:37], v[4:5], v[36:37]
	v_add_f64_e32 v[181:182], v[181:182], v[169:170]
	v_add_f64_e32 v[177:178], v[177:178], v[171:172]
	ds_load_b128 v[169:172], v1 offset:1344
	v_fma_f64 v[175:176], v[175:176], v[30:31], v[179:180]
	v_fma_f64 v[173:174], v[173:174], v[30:31], -v[32:33]
	scratch_load_b128 v[30:33], off, off offset:544
	v_add_f64_e32 v[179:180], v[181:182], v[185:186]
	v_add_f64_e32 v[177:178], v[177:178], v[183:184]
	v_fma_f64 v[183:184], v[4:5], v[34:35], v[187:188]
	v_fma_f64 v[185:186], v[2:3], v[34:35], -v[36:37]
	ds_load_b128 v[2:5], v1 offset:1360
	s_wait_loadcnt_dscnt 0x801
	v_mul_f64_e32 v[181:182], v[169:170], v[167:168]
	v_mul_f64_e32 v[167:168], v[171:172], v[167:168]
	scratch_load_b128 v[34:37], off, off offset:560
	s_wait_loadcnt_dscnt 0x800
	v_mul_f64_e32 v[187:188], v[2:3], v[40:41]
	v_mul_f64_e32 v[40:41], v[4:5], v[40:41]
	v_add_f64_e32 v[179:180], v[179:180], v[173:174]
	v_add_f64_e32 v[177:178], v[177:178], v[175:176]
	ds_load_b128 v[173:176], v1 offset:1376
	v_fma_f64 v[171:172], v[171:172], v[165:166], v[181:182]
	v_fma_f64 v[169:170], v[169:170], v[165:166], -v[167:168]
	scratch_load_b128 v[165:168], off, off offset:576
	v_add_f64_e32 v[179:180], v[179:180], v[185:186]
	v_add_f64_e32 v[177:178], v[177:178], v[183:184]
	v_fma_f64 v[183:184], v[4:5], v[38:39], v[187:188]
	;; [unrolled: 18-line block ×6, first 2 shown]
	v_fma_f64 v[187:188], v[2:3], v[34:35], -v[36:37]
	ds_load_b128 v[2:5], v1 offset:1520
	s_wait_loadcnt_dscnt 0x801
	v_mul_f64_e32 v[181:182], v[173:174], v[167:168]
	v_mul_f64_e32 v[183:184], v[175:176], v[167:168]
	scratch_load_b128 v[34:37], off, off offset:720
	v_add_f64_e32 v[179:180], v[179:180], v[169:170]
	v_add_f64_e32 v[171:172], v[177:178], v[171:172]
	s_wait_loadcnt_dscnt 0x800
	v_mul_f64_e32 v[177:178], v[2:3], v[40:41]
	v_mul_f64_e32 v[40:41], v[4:5], v[40:41]
	ds_load_b128 v[167:170], v1 offset:1536
	v_fma_f64 v[175:176], v[175:176], v[165:166], v[181:182]
	v_fma_f64 v[165:166], v[173:174], v[165:166], -v[183:184]
	v_add_f64_e32 v[179:180], v[179:180], v[187:188]
	v_add_f64_e32 v[181:182], v[171:172], v[185:186]
	scratch_load_b128 v[171:174], off, off offset:736
	v_fma_f64 v[185:186], v[4:5], v[38:39], v[177:178]
	v_fma_f64 v[187:188], v[2:3], v[38:39], -v[40:41]
	ds_load_b128 v[2:5], v1 offset:1552
	s_wait_loadcnt_dscnt 0x801
	v_mul_f64_e32 v[183:184], v[167:168], v[8:9]
	v_mul_f64_e32 v[8:9], v[169:170], v[8:9]
	scratch_load_b128 v[38:41], off, off offset:752
	v_add_f64_e32 v[165:166], v[179:180], v[165:166]
	v_add_f64_e32 v[179:180], v[181:182], v[175:176]
	s_wait_loadcnt_dscnt 0x800
	v_mul_f64_e32 v[181:182], v[2:3], v[12:13]
	v_mul_f64_e32 v[12:13], v[4:5], v[12:13]
	ds_load_b128 v[175:178], v1 offset:1568
	v_fma_f64 v[169:170], v[169:170], v[6:7], v[183:184]
	v_fma_f64 v[167:168], v[167:168], v[6:7], -v[8:9]
	scratch_load_b128 v[6:9], off, off offset:768
	v_add_f64_e32 v[165:166], v[165:166], v[187:188]
	v_add_f64_e32 v[179:180], v[179:180], v[185:186]
	v_fma_f64 v[181:182], v[4:5], v[10:11], v[181:182]
	v_fma_f64 v[185:186], v[2:3], v[10:11], -v[12:13]
	ds_load_b128 v[2:5], v1 offset:1584
	s_wait_loadcnt_dscnt 0x801
	v_mul_f64_e32 v[183:184], v[175:176], v[16:17]
	v_mul_f64_e32 v[16:17], v[177:178], v[16:17]
	scratch_load_b128 v[10:13], off, off offset:784
	v_add_f64_e32 v[187:188], v[165:166], v[167:168]
	v_add_f64_e32 v[169:170], v[179:180], v[169:170]
	s_wait_loadcnt_dscnt 0x800
	v_mul_f64_e32 v[179:180], v[2:3], v[20:21]
	v_mul_f64_e32 v[20:21], v[4:5], v[20:21]
	ds_load_b128 v[165:168], v1 offset:1600
	v_fma_f64 v[177:178], v[177:178], v[14:15], v[183:184]
	v_fma_f64 v[175:176], v[175:176], v[14:15], -v[16:17]
	scratch_load_b128 v[14:17], off, off offset:800
	v_add_f64_e32 v[183:184], v[187:188], v[185:186]
	v_add_f64_e32 v[169:170], v[169:170], v[181:182]
	v_fma_f64 v[179:180], v[4:5], v[18:19], v[179:180]
	v_fma_f64 v[185:186], v[2:3], v[18:19], -v[20:21]
	ds_load_b128 v[2:5], v1 offset:1616
	s_wait_loadcnt_dscnt 0x801
	v_mul_f64_e32 v[181:182], v[165:166], v[24:25]
	v_mul_f64_e32 v[24:25], v[167:168], v[24:25]
	scratch_load_b128 v[18:21], off, off offset:816
	s_wait_loadcnt_dscnt 0x800
	v_mul_f64_e32 v[187:188], v[2:3], v[28:29]
	v_mul_f64_e32 v[28:29], v[4:5], v[28:29]
	v_add_f64_e32 v[183:184], v[183:184], v[175:176]
	v_add_f64_e32 v[169:170], v[169:170], v[177:178]
	ds_load_b128 v[175:178], v1 offset:1632
	v_fma_f64 v[167:168], v[167:168], v[22:23], v[181:182]
	v_fma_f64 v[165:166], v[165:166], v[22:23], -v[24:25]
	scratch_load_b128 v[22:25], off, off offset:832
	v_add_f64_e32 v[181:182], v[183:184], v[185:186]
	v_add_f64_e32 v[169:170], v[169:170], v[179:180]
	v_fma_f64 v[183:184], v[4:5], v[26:27], v[187:188]
	v_fma_f64 v[185:186], v[2:3], v[26:27], -v[28:29]
	ds_load_b128 v[2:5], v1 offset:1648
	s_wait_loadcnt_dscnt 0x801
	v_mul_f64_e32 v[179:180], v[175:176], v[32:33]
	v_mul_f64_e32 v[32:33], v[177:178], v[32:33]
	scratch_load_b128 v[26:29], off, off offset:848
	s_wait_loadcnt_dscnt 0x800
	v_mul_f64_e32 v[187:188], v[2:3], v[36:37]
	v_mul_f64_e32 v[36:37], v[4:5], v[36:37]
	v_add_f64_e32 v[181:182], v[181:182], v[165:166]
	v_add_f64_e32 v[169:170], v[169:170], v[167:168]
	ds_load_b128 v[165:168], v1 offset:1664
	v_fma_f64 v[177:178], v[177:178], v[30:31], v[179:180]
	v_fma_f64 v[175:176], v[175:176], v[30:31], -v[32:33]
	scratch_load_b128 v[30:33], off, off offset:864
	v_add_f64_e32 v[179:180], v[181:182], v[185:186]
	v_add_f64_e32 v[169:170], v[169:170], v[183:184]
	v_fma_f64 v[185:186], v[4:5], v[34:35], v[187:188]
	v_fma_f64 v[187:188], v[2:3], v[34:35], -v[36:37]
	ds_load_b128 v[2:5], v1 offset:1680
	scratch_load_b128 v[34:37], off, off offset:880
	s_wait_loadcnt_dscnt 0x901
	v_mul_f64_e32 v[181:182], v[165:166], v[173:174]
	v_mul_f64_e32 v[183:184], v[167:168], v[173:174]
	v_add_f64_e32 v[179:180], v[179:180], v[175:176]
	v_add_f64_e32 v[169:170], v[169:170], v[177:178]
	s_wait_loadcnt_dscnt 0x800
	v_mul_f64_e32 v[177:178], v[2:3], v[40:41]
	v_mul_f64_e32 v[40:41], v[4:5], v[40:41]
	ds_load_b128 v[173:176], v1 offset:1696
	v_fma_f64 v[181:182], v[167:168], v[171:172], v[181:182]
	v_fma_f64 v[171:172], v[165:166], v[171:172], -v[183:184]
	scratch_load_b128 v[165:168], off, off offset:896
	v_add_f64_e32 v[179:180], v[179:180], v[187:188]
	v_add_f64_e32 v[169:170], v[169:170], v[185:186]
	v_fma_f64 v[177:178], v[4:5], v[38:39], v[177:178]
	v_fma_f64 v[185:186], v[2:3], v[38:39], -v[40:41]
	ds_load_b128 v[2:5], v1 offset:1712
	s_wait_loadcnt_dscnt 0x801
	v_mul_f64_e32 v[183:184], v[173:174], v[8:9]
	v_mul_f64_e32 v[8:9], v[175:176], v[8:9]
	scratch_load_b128 v[38:41], off, off offset:912
	s_wait_loadcnt_dscnt 0x800
	v_mul_f64_e32 v[187:188], v[2:3], v[12:13]
	v_mul_f64_e32 v[12:13], v[4:5], v[12:13]
	v_add_f64_e32 v[179:180], v[179:180], v[171:172]
	v_add_f64_e32 v[181:182], v[169:170], v[181:182]
	ds_load_b128 v[169:172], v1 offset:1728
	v_fma_f64 v[175:176], v[175:176], v[6:7], v[183:184]
	v_fma_f64 v[173:174], v[173:174], v[6:7], -v[8:9]
	scratch_load_b128 v[6:9], off, off offset:928
	v_fma_f64 v[183:184], v[4:5], v[10:11], v[187:188]
	v_add_f64_e32 v[179:180], v[179:180], v[185:186]
	v_add_f64_e32 v[177:178], v[181:182], v[177:178]
	v_fma_f64 v[185:186], v[2:3], v[10:11], -v[12:13]
	ds_load_b128 v[2:5], v1 offset:1744
	s_wait_loadcnt_dscnt 0x801
	v_mul_f64_e32 v[181:182], v[169:170], v[16:17]
	v_mul_f64_e32 v[16:17], v[171:172], v[16:17]
	scratch_load_b128 v[10:13], off, off offset:944
	s_wait_loadcnt_dscnt 0x800
	v_mul_f64_e32 v[187:188], v[2:3], v[20:21]
	v_mul_f64_e32 v[20:21], v[4:5], v[20:21]
	v_add_f64_e32 v[179:180], v[179:180], v[173:174]
	v_add_f64_e32 v[177:178], v[177:178], v[175:176]
	ds_load_b128 v[173:176], v1 offset:1760
	v_fma_f64 v[171:172], v[171:172], v[14:15], v[181:182]
	v_fma_f64 v[14:15], v[169:170], v[14:15], -v[16:17]
	v_add_f64_e32 v[16:17], v[179:180], v[185:186]
	v_add_f64_e32 v[169:170], v[177:178], v[183:184]
	s_wait_loadcnt_dscnt 0x700
	v_mul_f64_e32 v[177:178], v[173:174], v[24:25]
	v_mul_f64_e32 v[24:25], v[175:176], v[24:25]
	v_fma_f64 v[179:180], v[4:5], v[18:19], v[187:188]
	v_fma_f64 v[18:19], v[2:3], v[18:19], -v[20:21]
	v_add_f64_e32 v[20:21], v[16:17], v[14:15]
	v_add_f64_e32 v[169:170], v[169:170], v[171:172]
	ds_load_b128 v[2:5], v1 offset:1776
	ds_load_b128 v[14:17], v1 offset:1792
	v_fma_f64 v[175:176], v[175:176], v[22:23], v[177:178]
	v_fma_f64 v[22:23], v[173:174], v[22:23], -v[24:25]
	s_wait_loadcnt_dscnt 0x601
	v_mul_f64_e32 v[171:172], v[2:3], v[28:29]
	v_mul_f64_e32 v[28:29], v[4:5], v[28:29]
	s_wait_loadcnt_dscnt 0x500
	v_mul_f64_e32 v[24:25], v[14:15], v[32:33]
	v_mul_f64_e32 v[32:33], v[16:17], v[32:33]
	v_add_f64_e32 v[18:19], v[20:21], v[18:19]
	v_add_f64_e32 v[20:21], v[169:170], v[179:180]
	v_fma_f64 v[169:170], v[4:5], v[26:27], v[171:172]
	v_fma_f64 v[26:27], v[2:3], v[26:27], -v[28:29]
	v_fma_f64 v[16:17], v[16:17], v[30:31], v[24:25]
	v_fma_f64 v[14:15], v[14:15], v[30:31], -v[32:33]
	v_add_f64_e32 v[22:23], v[18:19], v[22:23]
	v_add_f64_e32 v[28:29], v[20:21], v[175:176]
	ds_load_b128 v[2:5], v1 offset:1808
	ds_load_b128 v[18:21], v1 offset:1824
	s_wait_loadcnt_dscnt 0x401
	v_mul_f64_e32 v[171:172], v[2:3], v[36:37]
	v_mul_f64_e32 v[36:37], v[4:5], v[36:37]
	v_add_f64_e32 v[22:23], v[22:23], v[26:27]
	v_add_f64_e32 v[24:25], v[28:29], v[169:170]
	s_wait_loadcnt_dscnt 0x300
	v_mul_f64_e32 v[26:27], v[18:19], v[167:168]
	v_mul_f64_e32 v[28:29], v[20:21], v[167:168]
	v_fma_f64 v[30:31], v[4:5], v[34:35], v[171:172]
	v_fma_f64 v[32:33], v[2:3], v[34:35], -v[36:37]
	v_add_f64_e32 v[22:23], v[22:23], v[14:15]
	v_add_f64_e32 v[24:25], v[24:25], v[16:17]
	ds_load_b128 v[2:5], v1 offset:1840
	ds_load_b128 v[14:17], v1 offset:1856
	v_fma_f64 v[20:21], v[20:21], v[165:166], v[26:27]
	v_fma_f64 v[18:19], v[18:19], v[165:166], -v[28:29]
	s_wait_loadcnt_dscnt 0x201
	v_mul_f64_e32 v[34:35], v[2:3], v[40:41]
	v_mul_f64_e32 v[36:37], v[4:5], v[40:41]
	s_wait_loadcnt_dscnt 0x100
	v_mul_f64_e32 v[26:27], v[14:15], v[8:9]
	v_mul_f64_e32 v[8:9], v[16:17], v[8:9]
	v_add_f64_e32 v[22:23], v[22:23], v[32:33]
	v_add_f64_e32 v[24:25], v[24:25], v[30:31]
	v_fma_f64 v[28:29], v[4:5], v[38:39], v[34:35]
	v_fma_f64 v[30:31], v[2:3], v[38:39], -v[36:37]
	ds_load_b128 v[2:5], v1 offset:1872
	v_fma_f64 v[16:17], v[16:17], v[6:7], v[26:27]
	v_fma_f64 v[6:7], v[14:15], v[6:7], -v[8:9]
	v_add_f64_e32 v[18:19], v[22:23], v[18:19]
	v_add_f64_e32 v[20:21], v[24:25], v[20:21]
	s_wait_loadcnt_dscnt 0x0
	v_mul_f64_e32 v[22:23], v[2:3], v[12:13]
	v_mul_f64_e32 v[12:13], v[4:5], v[12:13]
	s_delay_alu instid0(VALU_DEP_4) | instskip(NEXT) | instid1(VALU_DEP_4)
	v_add_f64_e32 v[8:9], v[18:19], v[30:31]
	v_add_f64_e32 v[14:15], v[20:21], v[28:29]
	s_delay_alu instid0(VALU_DEP_4) | instskip(NEXT) | instid1(VALU_DEP_4)
	v_fma_f64 v[4:5], v[4:5], v[10:11], v[22:23]
	v_fma_f64 v[2:3], v[2:3], v[10:11], -v[12:13]
	s_delay_alu instid0(VALU_DEP_4) | instskip(NEXT) | instid1(VALU_DEP_4)
	v_add_f64_e32 v[6:7], v[8:9], v[6:7]
	v_add_f64_e32 v[8:9], v[14:15], v[16:17]
	s_delay_alu instid0(VALU_DEP_2) | instskip(NEXT) | instid1(VALU_DEP_2)
	v_add_f64_e32 v[2:3], v[6:7], v[2:3]
	v_add_f64_e32 v[4:5], v[8:9], v[4:5]
	s_delay_alu instid0(VALU_DEP_2) | instskip(NEXT) | instid1(VALU_DEP_2)
	v_add_f64_e64 v[2:3], v[42:43], -v[2:3]
	v_add_f64_e64 v[4:5], v[44:45], -v[4:5]
	scratch_store_b128 off, v[2:5], off offset:96
	v_cmpx_lt_u32_e32 4, v0
	s_cbranch_execz .LBB122_359
; %bb.358:
	scratch_load_b128 v[5:8], off, s4
	v_dual_mov_b32 v2, v1 :: v_dual_mov_b32 v3, v1
	v_mov_b32_e32 v4, v1
	scratch_store_b128 off, v[1:4], off offset:80
	s_wait_loadcnt 0x0
	ds_store_b128 v164, v[5:8]
.LBB122_359:
	s_wait_alu 0xfffe
	s_or_b32 exec_lo, exec_lo, s0
	s_wait_storecnt_dscnt 0x0
	s_barrier_signal -1
	s_barrier_wait -1
	global_inv scope:SCOPE_SE
	s_clause 0x8
	scratch_load_b128 v[2:5], off, off offset:96
	scratch_load_b128 v[6:9], off, off offset:112
	;; [unrolled: 1-line block ×9, first 2 shown]
	ds_load_b128 v[42:45], v1 offset:1024
	ds_load_b128 v[38:41], v1 offset:1040
	s_clause 0x1
	scratch_load_b128 v[165:168], off, off offset:80
	scratch_load_b128 v[169:172], off, off offset:240
	s_mov_b32 s0, exec_lo
	s_wait_loadcnt_dscnt 0xa01
	v_mul_f64_e32 v[173:174], v[44:45], v[4:5]
	v_mul_f64_e32 v[4:5], v[42:43], v[4:5]
	s_wait_loadcnt_dscnt 0x900
	v_mul_f64_e32 v[177:178], v[38:39], v[8:9]
	v_mul_f64_e32 v[8:9], v[40:41], v[8:9]
	s_delay_alu instid0(VALU_DEP_4) | instskip(NEXT) | instid1(VALU_DEP_4)
	v_fma_f64 v[179:180], v[42:43], v[2:3], -v[173:174]
	v_fma_f64 v[181:182], v[44:45], v[2:3], v[4:5]
	ds_load_b128 v[2:5], v1 offset:1056
	ds_load_b128 v[173:176], v1 offset:1072
	scratch_load_b128 v[42:45], off, off offset:256
	v_fma_f64 v[40:41], v[40:41], v[6:7], v[177:178]
	v_fma_f64 v[38:39], v[38:39], v[6:7], -v[8:9]
	scratch_load_b128 v[6:9], off, off offset:272
	s_wait_loadcnt_dscnt 0xa01
	v_mul_f64_e32 v[183:184], v[2:3], v[12:13]
	v_mul_f64_e32 v[12:13], v[4:5], v[12:13]
	v_add_f64_e32 v[177:178], 0, v[179:180]
	v_add_f64_e32 v[179:180], 0, v[181:182]
	s_wait_loadcnt_dscnt 0x900
	v_mul_f64_e32 v[181:182], v[173:174], v[16:17]
	v_mul_f64_e32 v[16:17], v[175:176], v[16:17]
	v_fma_f64 v[183:184], v[4:5], v[10:11], v[183:184]
	v_fma_f64 v[185:186], v[2:3], v[10:11], -v[12:13]
	ds_load_b128 v[2:5], v1 offset:1088
	scratch_load_b128 v[10:13], off, off offset:288
	v_add_f64_e32 v[177:178], v[177:178], v[38:39]
	v_add_f64_e32 v[179:180], v[179:180], v[40:41]
	ds_load_b128 v[38:41], v1 offset:1104
	v_fma_f64 v[175:176], v[175:176], v[14:15], v[181:182]
	v_fma_f64 v[173:174], v[173:174], v[14:15], -v[16:17]
	scratch_load_b128 v[14:17], off, off offset:304
	s_wait_loadcnt_dscnt 0xa01
	v_mul_f64_e32 v[187:188], v[2:3], v[20:21]
	v_mul_f64_e32 v[20:21], v[4:5], v[20:21]
	s_wait_loadcnt_dscnt 0x900
	v_mul_f64_e32 v[181:182], v[38:39], v[24:25]
	v_mul_f64_e32 v[24:25], v[40:41], v[24:25]
	v_add_f64_e32 v[177:178], v[177:178], v[185:186]
	v_add_f64_e32 v[179:180], v[179:180], v[183:184]
	v_fma_f64 v[183:184], v[4:5], v[18:19], v[187:188]
	v_fma_f64 v[185:186], v[2:3], v[18:19], -v[20:21]
	ds_load_b128 v[2:5], v1 offset:1120
	scratch_load_b128 v[18:21], off, off offset:320
	v_fma_f64 v[40:41], v[40:41], v[22:23], v[181:182]
	v_fma_f64 v[38:39], v[38:39], v[22:23], -v[24:25]
	scratch_load_b128 v[22:25], off, off offset:336
	v_add_f64_e32 v[177:178], v[177:178], v[173:174]
	v_add_f64_e32 v[179:180], v[179:180], v[175:176]
	ds_load_b128 v[173:176], v1 offset:1136
	s_wait_loadcnt_dscnt 0xa01
	v_mul_f64_e32 v[187:188], v[2:3], v[28:29]
	v_mul_f64_e32 v[28:29], v[4:5], v[28:29]
	s_wait_loadcnt_dscnt 0x900
	v_mul_f64_e32 v[181:182], v[173:174], v[32:33]
	v_mul_f64_e32 v[32:33], v[175:176], v[32:33]
	v_add_f64_e32 v[177:178], v[177:178], v[185:186]
	v_add_f64_e32 v[179:180], v[179:180], v[183:184]
	v_fma_f64 v[183:184], v[4:5], v[26:27], v[187:188]
	v_fma_f64 v[185:186], v[2:3], v[26:27], -v[28:29]
	ds_load_b128 v[2:5], v1 offset:1152
	scratch_load_b128 v[26:29], off, off offset:352
	v_fma_f64 v[175:176], v[175:176], v[30:31], v[181:182]
	v_fma_f64 v[173:174], v[173:174], v[30:31], -v[32:33]
	scratch_load_b128 v[30:33], off, off offset:368
	v_add_f64_e32 v[177:178], v[177:178], v[38:39]
	v_add_f64_e32 v[179:180], v[179:180], v[40:41]
	ds_load_b128 v[38:41], v1 offset:1168
	s_wait_loadcnt_dscnt 0xa01
	v_mul_f64_e32 v[187:188], v[2:3], v[36:37]
	v_mul_f64_e32 v[36:37], v[4:5], v[36:37]
	s_wait_loadcnt_dscnt 0x800
	v_mul_f64_e32 v[181:182], v[38:39], v[171:172]
	v_add_f64_e32 v[177:178], v[177:178], v[185:186]
	v_add_f64_e32 v[179:180], v[179:180], v[183:184]
	v_mul_f64_e32 v[183:184], v[40:41], v[171:172]
	v_fma_f64 v[185:186], v[4:5], v[34:35], v[187:188]
	v_fma_f64 v[187:188], v[2:3], v[34:35], -v[36:37]
	ds_load_b128 v[2:5], v1 offset:1184
	scratch_load_b128 v[34:37], off, off offset:384
	v_fma_f64 v[181:182], v[40:41], v[169:170], v[181:182]
	v_add_f64_e32 v[177:178], v[177:178], v[173:174]
	v_add_f64_e32 v[175:176], v[179:180], v[175:176]
	ds_load_b128 v[171:174], v1 offset:1200
	v_fma_f64 v[169:170], v[38:39], v[169:170], -v[183:184]
	scratch_load_b128 v[38:41], off, off offset:400
	s_wait_loadcnt_dscnt 0x901
	v_mul_f64_e32 v[179:180], v[2:3], v[44:45]
	v_mul_f64_e32 v[44:45], v[4:5], v[44:45]
	s_wait_loadcnt_dscnt 0x800
	v_mul_f64_e32 v[183:184], v[171:172], v[8:9]
	v_mul_f64_e32 v[8:9], v[173:174], v[8:9]
	v_add_f64_e32 v[177:178], v[177:178], v[187:188]
	v_add_f64_e32 v[175:176], v[175:176], v[185:186]
	v_fma_f64 v[179:180], v[4:5], v[42:43], v[179:180]
	v_fma_f64 v[185:186], v[2:3], v[42:43], -v[44:45]
	ds_load_b128 v[2:5], v1 offset:1216
	scratch_load_b128 v[42:45], off, off offset:416
	v_fma_f64 v[173:174], v[173:174], v[6:7], v[183:184]
	v_fma_f64 v[171:172], v[171:172], v[6:7], -v[8:9]
	scratch_load_b128 v[6:9], off, off offset:432
	v_add_f64_e32 v[169:170], v[177:178], v[169:170]
	v_add_f64_e32 v[181:182], v[175:176], v[181:182]
	ds_load_b128 v[175:178], v1 offset:1232
	s_wait_loadcnt_dscnt 0x901
	v_mul_f64_e32 v[187:188], v[2:3], v[12:13]
	v_mul_f64_e32 v[12:13], v[4:5], v[12:13]
	v_add_f64_e32 v[169:170], v[169:170], v[185:186]
	v_add_f64_e32 v[179:180], v[181:182], v[179:180]
	s_wait_loadcnt_dscnt 0x800
	v_mul_f64_e32 v[181:182], v[175:176], v[16:17]
	v_mul_f64_e32 v[16:17], v[177:178], v[16:17]
	v_fma_f64 v[183:184], v[4:5], v[10:11], v[187:188]
	v_fma_f64 v[185:186], v[2:3], v[10:11], -v[12:13]
	ds_load_b128 v[2:5], v1 offset:1248
	scratch_load_b128 v[10:13], off, off offset:448
	v_add_f64_e32 v[187:188], v[169:170], v[171:172]
	v_add_f64_e32 v[173:174], v[179:180], v[173:174]
	ds_load_b128 v[169:172], v1 offset:1264
	s_wait_loadcnt_dscnt 0x801
	v_mul_f64_e32 v[179:180], v[2:3], v[20:21]
	v_mul_f64_e32 v[20:21], v[4:5], v[20:21]
	v_fma_f64 v[177:178], v[177:178], v[14:15], v[181:182]
	v_fma_f64 v[175:176], v[175:176], v[14:15], -v[16:17]
	scratch_load_b128 v[14:17], off, off offset:464
	v_add_f64_e32 v[181:182], v[187:188], v[185:186]
	v_add_f64_e32 v[173:174], v[173:174], v[183:184]
	s_wait_loadcnt_dscnt 0x800
	v_mul_f64_e32 v[183:184], v[169:170], v[24:25]
	v_mul_f64_e32 v[24:25], v[171:172], v[24:25]
	v_fma_f64 v[179:180], v[4:5], v[18:19], v[179:180]
	v_fma_f64 v[185:186], v[2:3], v[18:19], -v[20:21]
	ds_load_b128 v[2:5], v1 offset:1280
	scratch_load_b128 v[18:21], off, off offset:480
	v_add_f64_e32 v[181:182], v[181:182], v[175:176]
	v_add_f64_e32 v[177:178], v[173:174], v[177:178]
	ds_load_b128 v[173:176], v1 offset:1296
	s_wait_loadcnt_dscnt 0x801
	v_mul_f64_e32 v[187:188], v[2:3], v[28:29]
	v_mul_f64_e32 v[28:29], v[4:5], v[28:29]
	v_fma_f64 v[171:172], v[171:172], v[22:23], v[183:184]
	v_fma_f64 v[169:170], v[169:170], v[22:23], -v[24:25]
	scratch_load_b128 v[22:25], off, off offset:496
	;; [unrolled: 18-line block ×4, first 2 shown]
	s_wait_loadcnt_dscnt 0x800
	v_mul_f64_e32 v[181:182], v[173:174], v[8:9]
	v_mul_f64_e32 v[8:9], v[175:176], v[8:9]
	v_add_f64_e32 v[179:180], v[179:180], v[185:186]
	v_add_f64_e32 v[177:178], v[177:178], v[183:184]
	v_fma_f64 v[183:184], v[4:5], v[42:43], v[187:188]
	v_fma_f64 v[185:186], v[2:3], v[42:43], -v[44:45]
	ds_load_b128 v[2:5], v1 offset:1376
	scratch_load_b128 v[42:45], off, off offset:576
	v_fma_f64 v[175:176], v[175:176], v[6:7], v[181:182]
	v_fma_f64 v[173:174], v[173:174], v[6:7], -v[8:9]
	scratch_load_b128 v[6:9], off, off offset:592
	v_add_f64_e32 v[179:180], v[179:180], v[169:170]
	v_add_f64_e32 v[177:178], v[177:178], v[171:172]
	ds_load_b128 v[169:172], v1 offset:1392
	s_wait_loadcnt_dscnt 0x901
	v_mul_f64_e32 v[187:188], v[2:3], v[12:13]
	v_mul_f64_e32 v[12:13], v[4:5], v[12:13]
	s_wait_loadcnt_dscnt 0x800
	v_mul_f64_e32 v[181:182], v[169:170], v[16:17]
	v_mul_f64_e32 v[16:17], v[171:172], v[16:17]
	v_add_f64_e32 v[179:180], v[179:180], v[185:186]
	v_add_f64_e32 v[177:178], v[177:178], v[183:184]
	v_fma_f64 v[183:184], v[4:5], v[10:11], v[187:188]
	v_fma_f64 v[185:186], v[2:3], v[10:11], -v[12:13]
	ds_load_b128 v[2:5], v1 offset:1408
	scratch_load_b128 v[10:13], off, off offset:608
	v_fma_f64 v[171:172], v[171:172], v[14:15], v[181:182]
	v_fma_f64 v[169:170], v[169:170], v[14:15], -v[16:17]
	scratch_load_b128 v[14:17], off, off offset:624
	v_add_f64_e32 v[179:180], v[179:180], v[173:174]
	v_add_f64_e32 v[177:178], v[177:178], v[175:176]
	ds_load_b128 v[173:176], v1 offset:1424
	s_wait_loadcnt_dscnt 0x901
	v_mul_f64_e32 v[187:188], v[2:3], v[20:21]
	v_mul_f64_e32 v[20:21], v[4:5], v[20:21]
	;; [unrolled: 18-line block ×12, first 2 shown]
	s_wait_loadcnt_dscnt 0x800
	v_mul_f64_e32 v[181:182], v[173:174], v[24:25]
	v_mul_f64_e32 v[24:25], v[175:176], v[24:25]
	v_add_f64_e32 v[179:180], v[179:180], v[185:186]
	v_add_f64_e32 v[177:178], v[177:178], v[183:184]
	v_fma_f64 v[183:184], v[4:5], v[18:19], v[187:188]
	v_fma_f64 v[185:186], v[2:3], v[18:19], -v[20:21]
	ds_load_b128 v[2:5], v1 offset:1760
	ds_load_b128 v[18:21], v1 offset:1776
	v_fma_f64 v[175:176], v[175:176], v[22:23], v[181:182]
	v_fma_f64 v[22:23], v[173:174], v[22:23], -v[24:25]
	v_add_f64_e32 v[169:170], v[179:180], v[169:170]
	v_add_f64_e32 v[171:172], v[177:178], v[171:172]
	s_wait_loadcnt_dscnt 0x701
	v_mul_f64_e32 v[177:178], v[2:3], v[28:29]
	v_mul_f64_e32 v[28:29], v[4:5], v[28:29]
	s_delay_alu instid0(VALU_DEP_4) | instskip(NEXT) | instid1(VALU_DEP_4)
	v_add_f64_e32 v[24:25], v[169:170], v[185:186]
	v_add_f64_e32 v[169:170], v[171:172], v[183:184]
	s_wait_loadcnt_dscnt 0x600
	v_mul_f64_e32 v[171:172], v[18:19], v[32:33]
	v_mul_f64_e32 v[32:33], v[20:21], v[32:33]
	v_fma_f64 v[173:174], v[4:5], v[26:27], v[177:178]
	v_fma_f64 v[26:27], v[2:3], v[26:27], -v[28:29]
	v_add_f64_e32 v[28:29], v[24:25], v[22:23]
	v_add_f64_e32 v[169:170], v[169:170], v[175:176]
	ds_load_b128 v[2:5], v1 offset:1792
	ds_load_b128 v[22:25], v1 offset:1808
	v_fma_f64 v[20:21], v[20:21], v[30:31], v[171:172]
	v_fma_f64 v[18:19], v[18:19], v[30:31], -v[32:33]
	s_wait_loadcnt_dscnt 0x501
	v_mul_f64_e32 v[175:176], v[2:3], v[36:37]
	v_mul_f64_e32 v[36:37], v[4:5], v[36:37]
	s_wait_loadcnt_dscnt 0x400
	v_mul_f64_e32 v[30:31], v[22:23], v[40:41]
	v_mul_f64_e32 v[32:33], v[24:25], v[40:41]
	v_add_f64_e32 v[26:27], v[28:29], v[26:27]
	v_add_f64_e32 v[28:29], v[169:170], v[173:174]
	v_fma_f64 v[40:41], v[4:5], v[34:35], v[175:176]
	v_fma_f64 v[34:35], v[2:3], v[34:35], -v[36:37]
	v_fma_f64 v[24:25], v[24:25], v[38:39], v[30:31]
	v_fma_f64 v[22:23], v[22:23], v[38:39], -v[32:33]
	v_add_f64_e32 v[26:27], v[26:27], v[18:19]
	v_add_f64_e32 v[28:29], v[28:29], v[20:21]
	ds_load_b128 v[2:5], v1 offset:1824
	ds_load_b128 v[18:21], v1 offset:1840
	s_wait_loadcnt_dscnt 0x301
	v_mul_f64_e32 v[36:37], v[2:3], v[44:45]
	v_mul_f64_e32 v[44:45], v[4:5], v[44:45]
	s_wait_loadcnt_dscnt 0x200
	v_mul_f64_e32 v[30:31], v[18:19], v[8:9]
	v_mul_f64_e32 v[8:9], v[20:21], v[8:9]
	v_add_f64_e32 v[26:27], v[26:27], v[34:35]
	v_add_f64_e32 v[28:29], v[28:29], v[40:41]
	v_fma_f64 v[32:33], v[4:5], v[42:43], v[36:37]
	v_fma_f64 v[34:35], v[2:3], v[42:43], -v[44:45]
	v_fma_f64 v[20:21], v[20:21], v[6:7], v[30:31]
	v_fma_f64 v[6:7], v[18:19], v[6:7], -v[8:9]
	v_add_f64_e32 v[26:27], v[26:27], v[22:23]
	v_add_f64_e32 v[28:29], v[28:29], v[24:25]
	ds_load_b128 v[2:5], v1 offset:1856
	ds_load_b128 v[22:25], v1 offset:1872
	s_wait_loadcnt_dscnt 0x101
	v_mul_f64_e32 v[36:37], v[2:3], v[12:13]
	v_mul_f64_e32 v[12:13], v[4:5], v[12:13]
	v_add_f64_e32 v[8:9], v[26:27], v[34:35]
	v_add_f64_e32 v[18:19], v[28:29], v[32:33]
	s_wait_loadcnt_dscnt 0x0
	v_mul_f64_e32 v[26:27], v[22:23], v[16:17]
	v_mul_f64_e32 v[16:17], v[24:25], v[16:17]
	v_fma_f64 v[4:5], v[4:5], v[10:11], v[36:37]
	v_fma_f64 v[1:2], v[2:3], v[10:11], -v[12:13]
	v_add_f64_e32 v[6:7], v[8:9], v[6:7]
	v_add_f64_e32 v[8:9], v[18:19], v[20:21]
	v_fma_f64 v[10:11], v[24:25], v[14:15], v[26:27]
	v_fma_f64 v[12:13], v[22:23], v[14:15], -v[16:17]
	s_delay_alu instid0(VALU_DEP_4) | instskip(NEXT) | instid1(VALU_DEP_4)
	v_add_f64_e32 v[1:2], v[6:7], v[1:2]
	v_add_f64_e32 v[3:4], v[8:9], v[4:5]
	s_delay_alu instid0(VALU_DEP_2) | instskip(NEXT) | instid1(VALU_DEP_2)
	v_add_f64_e32 v[1:2], v[1:2], v[12:13]
	v_add_f64_e32 v[3:4], v[3:4], v[10:11]
	s_delay_alu instid0(VALU_DEP_2) | instskip(NEXT) | instid1(VALU_DEP_2)
	v_add_f64_e64 v[1:2], v[165:166], -v[1:2]
	v_add_f64_e64 v[3:4], v[167:168], -v[3:4]
	scratch_store_b128 off, v[1:4], off offset:80
	v_cmpx_lt_u32_e32 3, v0
	s_cbranch_execz .LBB122_361
; %bb.360:
	scratch_load_b128 v[1:4], off, s10
	v_mov_b32_e32 v5, 0
	s_delay_alu instid0(VALU_DEP_1)
	v_dual_mov_b32 v6, v5 :: v_dual_mov_b32 v7, v5
	v_mov_b32_e32 v8, v5
	scratch_store_b128 off, v[5:8], off offset:64
	s_wait_loadcnt 0x0
	ds_store_b128 v164, v[1:4]
.LBB122_361:
	s_wait_alu 0xfffe
	s_or_b32 exec_lo, exec_lo, s0
	s_wait_storecnt_dscnt 0x0
	s_barrier_signal -1
	s_barrier_wait -1
	global_inv scope:SCOPE_SE
	s_clause 0x7
	scratch_load_b128 v[2:5], off, off offset:80
	scratch_load_b128 v[6:9], off, off offset:96
	;; [unrolled: 1-line block ×8, first 2 shown]
	v_mov_b32_e32 v1, 0
	s_mov_b32 s0, exec_lo
	ds_load_b128 v[38:41], v1 offset:1008
	s_clause 0x1
	scratch_load_b128 v[34:37], off, off offset:208
	scratch_load_b128 v[42:45], off, off offset:64
	ds_load_b128 v[165:168], v1 offset:1024
	scratch_load_b128 v[169:172], off, off offset:224
	s_wait_loadcnt_dscnt 0xa01
	v_mul_f64_e32 v[173:174], v[40:41], v[4:5]
	v_mul_f64_e32 v[4:5], v[38:39], v[4:5]
	s_delay_alu instid0(VALU_DEP_2) | instskip(NEXT) | instid1(VALU_DEP_2)
	v_fma_f64 v[179:180], v[38:39], v[2:3], -v[173:174]
	v_fma_f64 v[181:182], v[40:41], v[2:3], v[4:5]
	ds_load_b128 v[2:5], v1 offset:1040
	s_wait_loadcnt_dscnt 0x901
	v_mul_f64_e32 v[177:178], v[165:166], v[8:9]
	v_mul_f64_e32 v[8:9], v[167:168], v[8:9]
	scratch_load_b128 v[38:41], off, off offset:240
	ds_load_b128 v[173:176], v1 offset:1056
	s_wait_loadcnt_dscnt 0x901
	v_mul_f64_e32 v[183:184], v[2:3], v[12:13]
	v_mul_f64_e32 v[12:13], v[4:5], v[12:13]
	v_fma_f64 v[167:168], v[167:168], v[6:7], v[177:178]
	v_fma_f64 v[165:166], v[165:166], v[6:7], -v[8:9]
	v_add_f64_e32 v[177:178], 0, v[179:180]
	v_add_f64_e32 v[179:180], 0, v[181:182]
	scratch_load_b128 v[6:9], off, off offset:256
	v_fma_f64 v[183:184], v[4:5], v[10:11], v[183:184]
	v_fma_f64 v[185:186], v[2:3], v[10:11], -v[12:13]
	ds_load_b128 v[2:5], v1 offset:1072
	s_wait_loadcnt_dscnt 0x901
	v_mul_f64_e32 v[181:182], v[173:174], v[16:17]
	v_mul_f64_e32 v[16:17], v[175:176], v[16:17]
	scratch_load_b128 v[10:13], off, off offset:272
	v_add_f64_e32 v[177:178], v[177:178], v[165:166]
	v_add_f64_e32 v[179:180], v[179:180], v[167:168]
	s_wait_loadcnt_dscnt 0x900
	v_mul_f64_e32 v[187:188], v[2:3], v[20:21]
	v_mul_f64_e32 v[20:21], v[4:5], v[20:21]
	ds_load_b128 v[165:168], v1 offset:1088
	v_fma_f64 v[175:176], v[175:176], v[14:15], v[181:182]
	v_fma_f64 v[173:174], v[173:174], v[14:15], -v[16:17]
	scratch_load_b128 v[14:17], off, off offset:288
	v_add_f64_e32 v[177:178], v[177:178], v[185:186]
	v_add_f64_e32 v[179:180], v[179:180], v[183:184]
	v_fma_f64 v[183:184], v[4:5], v[18:19], v[187:188]
	v_fma_f64 v[185:186], v[2:3], v[18:19], -v[20:21]
	ds_load_b128 v[2:5], v1 offset:1104
	s_wait_loadcnt_dscnt 0x901
	v_mul_f64_e32 v[181:182], v[165:166], v[24:25]
	v_mul_f64_e32 v[24:25], v[167:168], v[24:25]
	scratch_load_b128 v[18:21], off, off offset:304
	s_wait_loadcnt_dscnt 0x900
	v_mul_f64_e32 v[187:188], v[2:3], v[28:29]
	v_mul_f64_e32 v[28:29], v[4:5], v[28:29]
	v_add_f64_e32 v[177:178], v[177:178], v[173:174]
	v_add_f64_e32 v[179:180], v[179:180], v[175:176]
	ds_load_b128 v[173:176], v1 offset:1120
	v_fma_f64 v[167:168], v[167:168], v[22:23], v[181:182]
	v_fma_f64 v[165:166], v[165:166], v[22:23], -v[24:25]
	scratch_load_b128 v[22:25], off, off offset:320
	v_add_f64_e32 v[177:178], v[177:178], v[185:186]
	v_add_f64_e32 v[179:180], v[179:180], v[183:184]
	v_fma_f64 v[183:184], v[4:5], v[26:27], v[187:188]
	v_fma_f64 v[185:186], v[2:3], v[26:27], -v[28:29]
	ds_load_b128 v[2:5], v1 offset:1136
	s_wait_loadcnt_dscnt 0x901
	v_mul_f64_e32 v[181:182], v[173:174], v[32:33]
	v_mul_f64_e32 v[32:33], v[175:176], v[32:33]
	scratch_load_b128 v[26:29], off, off offset:336
	s_wait_loadcnt_dscnt 0x900
	v_mul_f64_e32 v[187:188], v[2:3], v[36:37]
	v_mul_f64_e32 v[36:37], v[4:5], v[36:37]
	v_add_f64_e32 v[177:178], v[177:178], v[165:166]
	v_add_f64_e32 v[179:180], v[179:180], v[167:168]
	ds_load_b128 v[165:168], v1 offset:1152
	v_fma_f64 v[175:176], v[175:176], v[30:31], v[181:182]
	v_fma_f64 v[173:174], v[173:174], v[30:31], -v[32:33]
	scratch_load_b128 v[30:33], off, off offset:352
	v_add_f64_e32 v[177:178], v[177:178], v[185:186]
	v_add_f64_e32 v[179:180], v[179:180], v[183:184]
	v_fma_f64 v[185:186], v[4:5], v[34:35], v[187:188]
	v_fma_f64 v[187:188], v[2:3], v[34:35], -v[36:37]
	ds_load_b128 v[2:5], v1 offset:1168
	s_wait_loadcnt_dscnt 0x801
	v_mul_f64_e32 v[181:182], v[165:166], v[171:172]
	v_mul_f64_e32 v[183:184], v[167:168], v[171:172]
	scratch_load_b128 v[34:37], off, off offset:368
	v_add_f64_e32 v[177:178], v[177:178], v[173:174]
	v_add_f64_e32 v[175:176], v[179:180], v[175:176]
	ds_load_b128 v[171:174], v1 offset:1184
	v_fma_f64 v[181:182], v[167:168], v[169:170], v[181:182]
	v_fma_f64 v[169:170], v[165:166], v[169:170], -v[183:184]
	scratch_load_b128 v[165:168], off, off offset:384
	s_wait_loadcnt_dscnt 0x901
	v_mul_f64_e32 v[179:180], v[2:3], v[40:41]
	v_mul_f64_e32 v[40:41], v[4:5], v[40:41]
	v_add_f64_e32 v[177:178], v[177:178], v[187:188]
	v_add_f64_e32 v[175:176], v[175:176], v[185:186]
	s_delay_alu instid0(VALU_DEP_4) | instskip(NEXT) | instid1(VALU_DEP_4)
	v_fma_f64 v[179:180], v[4:5], v[38:39], v[179:180]
	v_fma_f64 v[185:186], v[2:3], v[38:39], -v[40:41]
	ds_load_b128 v[2:5], v1 offset:1200
	s_wait_loadcnt_dscnt 0x801
	v_mul_f64_e32 v[183:184], v[171:172], v[8:9]
	v_mul_f64_e32 v[8:9], v[173:174], v[8:9]
	scratch_load_b128 v[38:41], off, off offset:400
	s_wait_loadcnt_dscnt 0x800
	v_mul_f64_e32 v[187:188], v[2:3], v[12:13]
	v_add_f64_e32 v[169:170], v[177:178], v[169:170]
	v_add_f64_e32 v[181:182], v[175:176], v[181:182]
	v_mul_f64_e32 v[12:13], v[4:5], v[12:13]
	ds_load_b128 v[175:178], v1 offset:1216
	v_fma_f64 v[173:174], v[173:174], v[6:7], v[183:184]
	v_fma_f64 v[171:172], v[171:172], v[6:7], -v[8:9]
	scratch_load_b128 v[6:9], off, off offset:416
	v_fma_f64 v[183:184], v[4:5], v[10:11], v[187:188]
	v_add_f64_e32 v[169:170], v[169:170], v[185:186]
	v_add_f64_e32 v[179:180], v[181:182], v[179:180]
	v_fma_f64 v[185:186], v[2:3], v[10:11], -v[12:13]
	ds_load_b128 v[2:5], v1 offset:1232
	s_wait_loadcnt_dscnt 0x801
	v_mul_f64_e32 v[181:182], v[175:176], v[16:17]
	v_mul_f64_e32 v[16:17], v[177:178], v[16:17]
	scratch_load_b128 v[10:13], off, off offset:432
	v_add_f64_e32 v[187:188], v[169:170], v[171:172]
	v_add_f64_e32 v[173:174], v[179:180], v[173:174]
	s_wait_loadcnt_dscnt 0x800
	v_mul_f64_e32 v[179:180], v[2:3], v[20:21]
	v_mul_f64_e32 v[20:21], v[4:5], v[20:21]
	v_fma_f64 v[177:178], v[177:178], v[14:15], v[181:182]
	v_fma_f64 v[175:176], v[175:176], v[14:15], -v[16:17]
	ds_load_b128 v[169:172], v1 offset:1248
	scratch_load_b128 v[14:17], off, off offset:448
	v_add_f64_e32 v[181:182], v[187:188], v[185:186]
	v_add_f64_e32 v[173:174], v[173:174], v[183:184]
	v_fma_f64 v[179:180], v[4:5], v[18:19], v[179:180]
	v_fma_f64 v[185:186], v[2:3], v[18:19], -v[20:21]
	ds_load_b128 v[2:5], v1 offset:1264
	s_wait_loadcnt_dscnt 0x801
	v_mul_f64_e32 v[183:184], v[169:170], v[24:25]
	v_mul_f64_e32 v[24:25], v[171:172], v[24:25]
	scratch_load_b128 v[18:21], off, off offset:464
	s_wait_loadcnt_dscnt 0x800
	v_mul_f64_e32 v[187:188], v[2:3], v[28:29]
	v_mul_f64_e32 v[28:29], v[4:5], v[28:29]
	v_add_f64_e32 v[181:182], v[181:182], v[175:176]
	v_add_f64_e32 v[177:178], v[173:174], v[177:178]
	ds_load_b128 v[173:176], v1 offset:1280
	v_fma_f64 v[171:172], v[171:172], v[22:23], v[183:184]
	v_fma_f64 v[169:170], v[169:170], v[22:23], -v[24:25]
	scratch_load_b128 v[22:25], off, off offset:480
	v_fma_f64 v[183:184], v[4:5], v[26:27], v[187:188]
	v_add_f64_e32 v[181:182], v[181:182], v[185:186]
	v_add_f64_e32 v[177:178], v[177:178], v[179:180]
	v_fma_f64 v[185:186], v[2:3], v[26:27], -v[28:29]
	ds_load_b128 v[2:5], v1 offset:1296
	s_wait_loadcnt_dscnt 0x801
	v_mul_f64_e32 v[179:180], v[173:174], v[32:33]
	v_mul_f64_e32 v[32:33], v[175:176], v[32:33]
	scratch_load_b128 v[26:29], off, off offset:496
	s_wait_loadcnt_dscnt 0x800
	v_mul_f64_e32 v[187:188], v[2:3], v[36:37]
	v_mul_f64_e32 v[36:37], v[4:5], v[36:37]
	v_add_f64_e32 v[181:182], v[181:182], v[169:170]
	v_add_f64_e32 v[177:178], v[177:178], v[171:172]
	ds_load_b128 v[169:172], v1 offset:1312
	v_fma_f64 v[175:176], v[175:176], v[30:31], v[179:180]
	v_fma_f64 v[173:174], v[173:174], v[30:31], -v[32:33]
	scratch_load_b128 v[30:33], off, off offset:512
	v_add_f64_e32 v[179:180], v[181:182], v[185:186]
	v_add_f64_e32 v[177:178], v[177:178], v[183:184]
	v_fma_f64 v[183:184], v[4:5], v[34:35], v[187:188]
	v_fma_f64 v[185:186], v[2:3], v[34:35], -v[36:37]
	ds_load_b128 v[2:5], v1 offset:1328
	s_wait_loadcnt_dscnt 0x801
	v_mul_f64_e32 v[181:182], v[169:170], v[167:168]
	v_mul_f64_e32 v[167:168], v[171:172], v[167:168]
	scratch_load_b128 v[34:37], off, off offset:528
	s_wait_loadcnt_dscnt 0x800
	v_mul_f64_e32 v[187:188], v[2:3], v[40:41]
	v_mul_f64_e32 v[40:41], v[4:5], v[40:41]
	v_add_f64_e32 v[179:180], v[179:180], v[173:174]
	v_add_f64_e32 v[177:178], v[177:178], v[175:176]
	ds_load_b128 v[173:176], v1 offset:1344
	v_fma_f64 v[171:172], v[171:172], v[165:166], v[181:182]
	v_fma_f64 v[169:170], v[169:170], v[165:166], -v[167:168]
	scratch_load_b128 v[165:168], off, off offset:544
	v_add_f64_e32 v[179:180], v[179:180], v[185:186]
	v_add_f64_e32 v[177:178], v[177:178], v[183:184]
	v_fma_f64 v[183:184], v[4:5], v[38:39], v[187:188]
	;; [unrolled: 18-line block ×6, first 2 shown]
	v_fma_f64 v[187:188], v[2:3], v[34:35], -v[36:37]
	ds_load_b128 v[2:5], v1 offset:1488
	s_wait_loadcnt_dscnt 0x801
	v_mul_f64_e32 v[181:182], v[173:174], v[167:168]
	v_mul_f64_e32 v[183:184], v[175:176], v[167:168]
	scratch_load_b128 v[34:37], off, off offset:688
	v_add_f64_e32 v[179:180], v[179:180], v[169:170]
	v_add_f64_e32 v[171:172], v[177:178], v[171:172]
	s_wait_loadcnt_dscnt 0x800
	v_mul_f64_e32 v[177:178], v[2:3], v[40:41]
	v_mul_f64_e32 v[40:41], v[4:5], v[40:41]
	ds_load_b128 v[167:170], v1 offset:1504
	v_fma_f64 v[175:176], v[175:176], v[165:166], v[181:182]
	v_fma_f64 v[165:166], v[173:174], v[165:166], -v[183:184]
	v_add_f64_e32 v[179:180], v[179:180], v[187:188]
	v_add_f64_e32 v[181:182], v[171:172], v[185:186]
	scratch_load_b128 v[171:174], off, off offset:704
	v_fma_f64 v[185:186], v[4:5], v[38:39], v[177:178]
	v_fma_f64 v[187:188], v[2:3], v[38:39], -v[40:41]
	ds_load_b128 v[2:5], v1 offset:1520
	s_wait_loadcnt_dscnt 0x801
	v_mul_f64_e32 v[183:184], v[167:168], v[8:9]
	v_mul_f64_e32 v[8:9], v[169:170], v[8:9]
	scratch_load_b128 v[38:41], off, off offset:720
	v_add_f64_e32 v[165:166], v[179:180], v[165:166]
	v_add_f64_e32 v[179:180], v[181:182], v[175:176]
	s_wait_loadcnt_dscnt 0x800
	v_mul_f64_e32 v[181:182], v[2:3], v[12:13]
	v_mul_f64_e32 v[12:13], v[4:5], v[12:13]
	ds_load_b128 v[175:178], v1 offset:1536
	v_fma_f64 v[169:170], v[169:170], v[6:7], v[183:184]
	v_fma_f64 v[167:168], v[167:168], v[6:7], -v[8:9]
	scratch_load_b128 v[6:9], off, off offset:736
	v_add_f64_e32 v[165:166], v[165:166], v[187:188]
	v_add_f64_e32 v[179:180], v[179:180], v[185:186]
	v_fma_f64 v[181:182], v[4:5], v[10:11], v[181:182]
	v_fma_f64 v[185:186], v[2:3], v[10:11], -v[12:13]
	ds_load_b128 v[2:5], v1 offset:1552
	s_wait_loadcnt_dscnt 0x801
	v_mul_f64_e32 v[183:184], v[175:176], v[16:17]
	v_mul_f64_e32 v[16:17], v[177:178], v[16:17]
	scratch_load_b128 v[10:13], off, off offset:752
	v_add_f64_e32 v[187:188], v[165:166], v[167:168]
	v_add_f64_e32 v[169:170], v[179:180], v[169:170]
	s_wait_loadcnt_dscnt 0x800
	v_mul_f64_e32 v[179:180], v[2:3], v[20:21]
	v_mul_f64_e32 v[20:21], v[4:5], v[20:21]
	ds_load_b128 v[165:168], v1 offset:1568
	v_fma_f64 v[177:178], v[177:178], v[14:15], v[183:184]
	v_fma_f64 v[175:176], v[175:176], v[14:15], -v[16:17]
	scratch_load_b128 v[14:17], off, off offset:768
	v_add_f64_e32 v[183:184], v[187:188], v[185:186]
	v_add_f64_e32 v[169:170], v[169:170], v[181:182]
	v_fma_f64 v[179:180], v[4:5], v[18:19], v[179:180]
	v_fma_f64 v[185:186], v[2:3], v[18:19], -v[20:21]
	ds_load_b128 v[2:5], v1 offset:1584
	s_wait_loadcnt_dscnt 0x801
	v_mul_f64_e32 v[181:182], v[165:166], v[24:25]
	v_mul_f64_e32 v[24:25], v[167:168], v[24:25]
	scratch_load_b128 v[18:21], off, off offset:784
	s_wait_loadcnt_dscnt 0x800
	v_mul_f64_e32 v[187:188], v[2:3], v[28:29]
	v_mul_f64_e32 v[28:29], v[4:5], v[28:29]
	v_add_f64_e32 v[183:184], v[183:184], v[175:176]
	v_add_f64_e32 v[169:170], v[169:170], v[177:178]
	ds_load_b128 v[175:178], v1 offset:1600
	v_fma_f64 v[167:168], v[167:168], v[22:23], v[181:182]
	v_fma_f64 v[165:166], v[165:166], v[22:23], -v[24:25]
	scratch_load_b128 v[22:25], off, off offset:800
	v_add_f64_e32 v[181:182], v[183:184], v[185:186]
	v_add_f64_e32 v[169:170], v[169:170], v[179:180]
	v_fma_f64 v[183:184], v[4:5], v[26:27], v[187:188]
	v_fma_f64 v[185:186], v[2:3], v[26:27], -v[28:29]
	ds_load_b128 v[2:5], v1 offset:1616
	s_wait_loadcnt_dscnt 0x801
	v_mul_f64_e32 v[179:180], v[175:176], v[32:33]
	v_mul_f64_e32 v[32:33], v[177:178], v[32:33]
	scratch_load_b128 v[26:29], off, off offset:816
	s_wait_loadcnt_dscnt 0x800
	v_mul_f64_e32 v[187:188], v[2:3], v[36:37]
	v_mul_f64_e32 v[36:37], v[4:5], v[36:37]
	v_add_f64_e32 v[181:182], v[181:182], v[165:166]
	v_add_f64_e32 v[169:170], v[169:170], v[167:168]
	ds_load_b128 v[165:168], v1 offset:1632
	v_fma_f64 v[177:178], v[177:178], v[30:31], v[179:180]
	v_fma_f64 v[175:176], v[175:176], v[30:31], -v[32:33]
	scratch_load_b128 v[30:33], off, off offset:832
	v_add_f64_e32 v[179:180], v[181:182], v[185:186]
	v_add_f64_e32 v[169:170], v[169:170], v[183:184]
	v_fma_f64 v[185:186], v[4:5], v[34:35], v[187:188]
	v_fma_f64 v[187:188], v[2:3], v[34:35], -v[36:37]
	ds_load_b128 v[2:5], v1 offset:1648
	scratch_load_b128 v[34:37], off, off offset:848
	s_wait_loadcnt_dscnt 0x901
	v_mul_f64_e32 v[181:182], v[165:166], v[173:174]
	v_mul_f64_e32 v[183:184], v[167:168], v[173:174]
	v_add_f64_e32 v[179:180], v[179:180], v[175:176]
	v_add_f64_e32 v[169:170], v[169:170], v[177:178]
	s_wait_loadcnt_dscnt 0x800
	v_mul_f64_e32 v[177:178], v[2:3], v[40:41]
	v_mul_f64_e32 v[40:41], v[4:5], v[40:41]
	ds_load_b128 v[173:176], v1 offset:1664
	v_fma_f64 v[181:182], v[167:168], v[171:172], v[181:182]
	v_fma_f64 v[171:172], v[165:166], v[171:172], -v[183:184]
	scratch_load_b128 v[165:168], off, off offset:864
	v_add_f64_e32 v[179:180], v[179:180], v[187:188]
	v_add_f64_e32 v[169:170], v[169:170], v[185:186]
	v_fma_f64 v[177:178], v[4:5], v[38:39], v[177:178]
	v_fma_f64 v[185:186], v[2:3], v[38:39], -v[40:41]
	ds_load_b128 v[2:5], v1 offset:1680
	s_wait_loadcnt_dscnt 0x801
	v_mul_f64_e32 v[183:184], v[173:174], v[8:9]
	v_mul_f64_e32 v[8:9], v[175:176], v[8:9]
	scratch_load_b128 v[38:41], off, off offset:880
	s_wait_loadcnt_dscnt 0x800
	v_mul_f64_e32 v[187:188], v[2:3], v[12:13]
	v_mul_f64_e32 v[12:13], v[4:5], v[12:13]
	v_add_f64_e32 v[179:180], v[179:180], v[171:172]
	v_add_f64_e32 v[181:182], v[169:170], v[181:182]
	ds_load_b128 v[169:172], v1 offset:1696
	v_fma_f64 v[175:176], v[175:176], v[6:7], v[183:184]
	v_fma_f64 v[173:174], v[173:174], v[6:7], -v[8:9]
	scratch_load_b128 v[6:9], off, off offset:896
	v_fma_f64 v[183:184], v[4:5], v[10:11], v[187:188]
	v_add_f64_e32 v[179:180], v[179:180], v[185:186]
	v_add_f64_e32 v[177:178], v[181:182], v[177:178]
	v_fma_f64 v[185:186], v[2:3], v[10:11], -v[12:13]
	ds_load_b128 v[2:5], v1 offset:1712
	s_wait_loadcnt_dscnt 0x801
	v_mul_f64_e32 v[181:182], v[169:170], v[16:17]
	v_mul_f64_e32 v[16:17], v[171:172], v[16:17]
	scratch_load_b128 v[10:13], off, off offset:912
	s_wait_loadcnt_dscnt 0x800
	v_mul_f64_e32 v[187:188], v[2:3], v[20:21]
	v_mul_f64_e32 v[20:21], v[4:5], v[20:21]
	v_add_f64_e32 v[179:180], v[179:180], v[173:174]
	v_add_f64_e32 v[177:178], v[177:178], v[175:176]
	ds_load_b128 v[173:176], v1 offset:1728
	v_fma_f64 v[171:172], v[171:172], v[14:15], v[181:182]
	v_fma_f64 v[169:170], v[169:170], v[14:15], -v[16:17]
	scratch_load_b128 v[14:17], off, off offset:928
	v_add_f64_e32 v[179:180], v[179:180], v[185:186]
	v_add_f64_e32 v[177:178], v[177:178], v[183:184]
	v_fma_f64 v[183:184], v[4:5], v[18:19], v[187:188]
	v_fma_f64 v[185:186], v[2:3], v[18:19], -v[20:21]
	ds_load_b128 v[2:5], v1 offset:1744
	s_wait_loadcnt_dscnt 0x801
	v_mul_f64_e32 v[181:182], v[173:174], v[24:25]
	v_mul_f64_e32 v[24:25], v[175:176], v[24:25]
	scratch_load_b128 v[18:21], off, off offset:944
	s_wait_loadcnt_dscnt 0x800
	v_mul_f64_e32 v[187:188], v[2:3], v[28:29]
	v_mul_f64_e32 v[28:29], v[4:5], v[28:29]
	v_add_f64_e32 v[179:180], v[179:180], v[169:170]
	v_add_f64_e32 v[177:178], v[177:178], v[171:172]
	ds_load_b128 v[169:172], v1 offset:1760
	v_fma_f64 v[175:176], v[175:176], v[22:23], v[181:182]
	v_fma_f64 v[22:23], v[173:174], v[22:23], -v[24:25]
	v_add_f64_e32 v[24:25], v[179:180], v[185:186]
	v_add_f64_e32 v[173:174], v[177:178], v[183:184]
	s_wait_loadcnt_dscnt 0x700
	v_mul_f64_e32 v[177:178], v[169:170], v[32:33]
	v_mul_f64_e32 v[32:33], v[171:172], v[32:33]
	v_fma_f64 v[179:180], v[4:5], v[26:27], v[187:188]
	v_fma_f64 v[26:27], v[2:3], v[26:27], -v[28:29]
	v_add_f64_e32 v[28:29], v[24:25], v[22:23]
	v_add_f64_e32 v[173:174], v[173:174], v[175:176]
	ds_load_b128 v[2:5], v1 offset:1776
	ds_load_b128 v[22:25], v1 offset:1792
	v_fma_f64 v[171:172], v[171:172], v[30:31], v[177:178]
	v_fma_f64 v[30:31], v[169:170], v[30:31], -v[32:33]
	s_wait_loadcnt_dscnt 0x601
	v_mul_f64_e32 v[175:176], v[2:3], v[36:37]
	v_mul_f64_e32 v[36:37], v[4:5], v[36:37]
	s_wait_loadcnt_dscnt 0x500
	v_mul_f64_e32 v[32:33], v[22:23], v[167:168]
	v_mul_f64_e32 v[167:168], v[24:25], v[167:168]
	v_add_f64_e32 v[26:27], v[28:29], v[26:27]
	v_add_f64_e32 v[28:29], v[173:174], v[179:180]
	v_fma_f64 v[169:170], v[4:5], v[34:35], v[175:176]
	v_fma_f64 v[34:35], v[2:3], v[34:35], -v[36:37]
	v_fma_f64 v[24:25], v[24:25], v[165:166], v[32:33]
	v_fma_f64 v[22:23], v[22:23], v[165:166], -v[167:168]
	v_add_f64_e32 v[30:31], v[26:27], v[30:31]
	v_add_f64_e32 v[36:37], v[28:29], v[171:172]
	ds_load_b128 v[2:5], v1 offset:1808
	ds_load_b128 v[26:29], v1 offset:1824
	s_wait_loadcnt_dscnt 0x401
	v_mul_f64_e32 v[171:172], v[2:3], v[40:41]
	v_mul_f64_e32 v[40:41], v[4:5], v[40:41]
	v_add_f64_e32 v[30:31], v[30:31], v[34:35]
	v_add_f64_e32 v[32:33], v[36:37], v[169:170]
	s_wait_loadcnt_dscnt 0x300
	v_mul_f64_e32 v[34:35], v[26:27], v[8:9]
	v_mul_f64_e32 v[8:9], v[28:29], v[8:9]
	v_fma_f64 v[36:37], v[4:5], v[38:39], v[171:172]
	v_fma_f64 v[38:39], v[2:3], v[38:39], -v[40:41]
	v_add_f64_e32 v[30:31], v[30:31], v[22:23]
	v_add_f64_e32 v[32:33], v[32:33], v[24:25]
	ds_load_b128 v[2:5], v1 offset:1840
	ds_load_b128 v[22:25], v1 offset:1856
	v_fma_f64 v[28:29], v[28:29], v[6:7], v[34:35]
	v_fma_f64 v[6:7], v[26:27], v[6:7], -v[8:9]
	s_wait_loadcnt_dscnt 0x201
	v_mul_f64_e32 v[40:41], v[2:3], v[12:13]
	v_mul_f64_e32 v[12:13], v[4:5], v[12:13]
	v_add_f64_e32 v[8:9], v[30:31], v[38:39]
	v_add_f64_e32 v[26:27], v[32:33], v[36:37]
	s_wait_loadcnt_dscnt 0x100
	v_mul_f64_e32 v[30:31], v[22:23], v[16:17]
	v_mul_f64_e32 v[16:17], v[24:25], v[16:17]
	v_fma_f64 v[32:33], v[4:5], v[10:11], v[40:41]
	v_fma_f64 v[10:11], v[2:3], v[10:11], -v[12:13]
	ds_load_b128 v[2:5], v1 offset:1872
	v_add_f64_e32 v[6:7], v[8:9], v[6:7]
	v_add_f64_e32 v[8:9], v[26:27], v[28:29]
	v_fma_f64 v[24:25], v[24:25], v[14:15], v[30:31]
	v_fma_f64 v[14:15], v[22:23], v[14:15], -v[16:17]
	s_wait_loadcnt_dscnt 0x0
	v_mul_f64_e32 v[12:13], v[2:3], v[20:21]
	v_mul_f64_e32 v[20:21], v[4:5], v[20:21]
	v_add_f64_e32 v[6:7], v[6:7], v[10:11]
	v_add_f64_e32 v[8:9], v[8:9], v[32:33]
	s_delay_alu instid0(VALU_DEP_4) | instskip(NEXT) | instid1(VALU_DEP_4)
	v_fma_f64 v[4:5], v[4:5], v[18:19], v[12:13]
	v_fma_f64 v[2:3], v[2:3], v[18:19], -v[20:21]
	s_delay_alu instid0(VALU_DEP_4) | instskip(NEXT) | instid1(VALU_DEP_4)
	v_add_f64_e32 v[6:7], v[6:7], v[14:15]
	v_add_f64_e32 v[8:9], v[8:9], v[24:25]
	s_delay_alu instid0(VALU_DEP_2) | instskip(NEXT) | instid1(VALU_DEP_2)
	v_add_f64_e32 v[2:3], v[6:7], v[2:3]
	v_add_f64_e32 v[4:5], v[8:9], v[4:5]
	s_delay_alu instid0(VALU_DEP_2) | instskip(NEXT) | instid1(VALU_DEP_2)
	v_add_f64_e64 v[2:3], v[42:43], -v[2:3]
	v_add_f64_e64 v[4:5], v[44:45], -v[4:5]
	scratch_store_b128 off, v[2:5], off offset:64
	v_cmpx_lt_u32_e32 2, v0
	s_cbranch_execz .LBB122_363
; %bb.362:
	scratch_load_b128 v[5:8], off, s13
	v_dual_mov_b32 v2, v1 :: v_dual_mov_b32 v3, v1
	v_mov_b32_e32 v4, v1
	scratch_store_b128 off, v[1:4], off offset:48
	s_wait_loadcnt 0x0
	ds_store_b128 v164, v[5:8]
.LBB122_363:
	s_wait_alu 0xfffe
	s_or_b32 exec_lo, exec_lo, s0
	s_wait_storecnt_dscnt 0x0
	s_barrier_signal -1
	s_barrier_wait -1
	global_inv scope:SCOPE_SE
	s_clause 0x8
	scratch_load_b128 v[2:5], off, off offset:64
	scratch_load_b128 v[6:9], off, off offset:80
	;; [unrolled: 1-line block ×9, first 2 shown]
	ds_load_b128 v[42:45], v1 offset:992
	ds_load_b128 v[38:41], v1 offset:1008
	s_clause 0x1
	scratch_load_b128 v[165:168], off, off offset:48
	scratch_load_b128 v[169:172], off, off offset:208
	s_mov_b32 s0, exec_lo
	s_wait_loadcnt_dscnt 0xa01
	v_mul_f64_e32 v[173:174], v[44:45], v[4:5]
	v_mul_f64_e32 v[4:5], v[42:43], v[4:5]
	s_wait_loadcnt_dscnt 0x900
	v_mul_f64_e32 v[177:178], v[38:39], v[8:9]
	v_mul_f64_e32 v[8:9], v[40:41], v[8:9]
	s_delay_alu instid0(VALU_DEP_4) | instskip(NEXT) | instid1(VALU_DEP_4)
	v_fma_f64 v[179:180], v[42:43], v[2:3], -v[173:174]
	v_fma_f64 v[181:182], v[44:45], v[2:3], v[4:5]
	ds_load_b128 v[2:5], v1 offset:1024
	ds_load_b128 v[173:176], v1 offset:1040
	scratch_load_b128 v[42:45], off, off offset:224
	v_fma_f64 v[40:41], v[40:41], v[6:7], v[177:178]
	v_fma_f64 v[38:39], v[38:39], v[6:7], -v[8:9]
	scratch_load_b128 v[6:9], off, off offset:240
	s_wait_loadcnt_dscnt 0xa01
	v_mul_f64_e32 v[183:184], v[2:3], v[12:13]
	v_mul_f64_e32 v[12:13], v[4:5], v[12:13]
	v_add_f64_e32 v[177:178], 0, v[179:180]
	v_add_f64_e32 v[179:180], 0, v[181:182]
	s_wait_loadcnt_dscnt 0x900
	v_mul_f64_e32 v[181:182], v[173:174], v[16:17]
	v_mul_f64_e32 v[16:17], v[175:176], v[16:17]
	v_fma_f64 v[183:184], v[4:5], v[10:11], v[183:184]
	v_fma_f64 v[185:186], v[2:3], v[10:11], -v[12:13]
	ds_load_b128 v[2:5], v1 offset:1056
	scratch_load_b128 v[10:13], off, off offset:256
	v_add_f64_e32 v[177:178], v[177:178], v[38:39]
	v_add_f64_e32 v[179:180], v[179:180], v[40:41]
	ds_load_b128 v[38:41], v1 offset:1072
	v_fma_f64 v[175:176], v[175:176], v[14:15], v[181:182]
	v_fma_f64 v[173:174], v[173:174], v[14:15], -v[16:17]
	scratch_load_b128 v[14:17], off, off offset:272
	s_wait_loadcnt_dscnt 0xa01
	v_mul_f64_e32 v[187:188], v[2:3], v[20:21]
	v_mul_f64_e32 v[20:21], v[4:5], v[20:21]
	s_wait_loadcnt_dscnt 0x900
	v_mul_f64_e32 v[181:182], v[38:39], v[24:25]
	v_mul_f64_e32 v[24:25], v[40:41], v[24:25]
	v_add_f64_e32 v[177:178], v[177:178], v[185:186]
	v_add_f64_e32 v[179:180], v[179:180], v[183:184]
	v_fma_f64 v[183:184], v[4:5], v[18:19], v[187:188]
	v_fma_f64 v[185:186], v[2:3], v[18:19], -v[20:21]
	ds_load_b128 v[2:5], v1 offset:1088
	scratch_load_b128 v[18:21], off, off offset:288
	v_fma_f64 v[40:41], v[40:41], v[22:23], v[181:182]
	v_fma_f64 v[38:39], v[38:39], v[22:23], -v[24:25]
	scratch_load_b128 v[22:25], off, off offset:304
	v_add_f64_e32 v[177:178], v[177:178], v[173:174]
	v_add_f64_e32 v[179:180], v[179:180], v[175:176]
	ds_load_b128 v[173:176], v1 offset:1104
	s_wait_loadcnt_dscnt 0xa01
	v_mul_f64_e32 v[187:188], v[2:3], v[28:29]
	v_mul_f64_e32 v[28:29], v[4:5], v[28:29]
	s_wait_loadcnt_dscnt 0x900
	v_mul_f64_e32 v[181:182], v[173:174], v[32:33]
	v_mul_f64_e32 v[32:33], v[175:176], v[32:33]
	v_add_f64_e32 v[177:178], v[177:178], v[185:186]
	v_add_f64_e32 v[179:180], v[179:180], v[183:184]
	v_fma_f64 v[183:184], v[4:5], v[26:27], v[187:188]
	v_fma_f64 v[185:186], v[2:3], v[26:27], -v[28:29]
	ds_load_b128 v[2:5], v1 offset:1120
	scratch_load_b128 v[26:29], off, off offset:320
	v_fma_f64 v[175:176], v[175:176], v[30:31], v[181:182]
	v_fma_f64 v[173:174], v[173:174], v[30:31], -v[32:33]
	scratch_load_b128 v[30:33], off, off offset:336
	v_add_f64_e32 v[177:178], v[177:178], v[38:39]
	v_add_f64_e32 v[179:180], v[179:180], v[40:41]
	ds_load_b128 v[38:41], v1 offset:1136
	s_wait_loadcnt_dscnt 0xa01
	v_mul_f64_e32 v[187:188], v[2:3], v[36:37]
	v_mul_f64_e32 v[36:37], v[4:5], v[36:37]
	s_wait_loadcnt_dscnt 0x800
	v_mul_f64_e32 v[181:182], v[38:39], v[171:172]
	v_add_f64_e32 v[177:178], v[177:178], v[185:186]
	v_add_f64_e32 v[179:180], v[179:180], v[183:184]
	v_mul_f64_e32 v[183:184], v[40:41], v[171:172]
	v_fma_f64 v[185:186], v[4:5], v[34:35], v[187:188]
	v_fma_f64 v[187:188], v[2:3], v[34:35], -v[36:37]
	ds_load_b128 v[2:5], v1 offset:1152
	scratch_load_b128 v[34:37], off, off offset:352
	v_fma_f64 v[181:182], v[40:41], v[169:170], v[181:182]
	v_add_f64_e32 v[177:178], v[177:178], v[173:174]
	v_add_f64_e32 v[175:176], v[179:180], v[175:176]
	ds_load_b128 v[171:174], v1 offset:1168
	v_fma_f64 v[169:170], v[38:39], v[169:170], -v[183:184]
	scratch_load_b128 v[38:41], off, off offset:368
	s_wait_loadcnt_dscnt 0x901
	v_mul_f64_e32 v[179:180], v[2:3], v[44:45]
	v_mul_f64_e32 v[44:45], v[4:5], v[44:45]
	s_wait_loadcnt_dscnt 0x800
	v_mul_f64_e32 v[183:184], v[171:172], v[8:9]
	v_mul_f64_e32 v[8:9], v[173:174], v[8:9]
	v_add_f64_e32 v[177:178], v[177:178], v[187:188]
	v_add_f64_e32 v[175:176], v[175:176], v[185:186]
	v_fma_f64 v[179:180], v[4:5], v[42:43], v[179:180]
	v_fma_f64 v[185:186], v[2:3], v[42:43], -v[44:45]
	ds_load_b128 v[2:5], v1 offset:1184
	scratch_load_b128 v[42:45], off, off offset:384
	v_fma_f64 v[173:174], v[173:174], v[6:7], v[183:184]
	v_fma_f64 v[171:172], v[171:172], v[6:7], -v[8:9]
	scratch_load_b128 v[6:9], off, off offset:400
	v_add_f64_e32 v[169:170], v[177:178], v[169:170]
	v_add_f64_e32 v[181:182], v[175:176], v[181:182]
	ds_load_b128 v[175:178], v1 offset:1200
	s_wait_loadcnt_dscnt 0x901
	v_mul_f64_e32 v[187:188], v[2:3], v[12:13]
	v_mul_f64_e32 v[12:13], v[4:5], v[12:13]
	v_add_f64_e32 v[169:170], v[169:170], v[185:186]
	v_add_f64_e32 v[179:180], v[181:182], v[179:180]
	s_wait_loadcnt_dscnt 0x800
	v_mul_f64_e32 v[181:182], v[175:176], v[16:17]
	v_mul_f64_e32 v[16:17], v[177:178], v[16:17]
	v_fma_f64 v[183:184], v[4:5], v[10:11], v[187:188]
	v_fma_f64 v[185:186], v[2:3], v[10:11], -v[12:13]
	ds_load_b128 v[2:5], v1 offset:1216
	scratch_load_b128 v[10:13], off, off offset:416
	v_add_f64_e32 v[187:188], v[169:170], v[171:172]
	v_add_f64_e32 v[173:174], v[179:180], v[173:174]
	ds_load_b128 v[169:172], v1 offset:1232
	s_wait_loadcnt_dscnt 0x801
	v_mul_f64_e32 v[179:180], v[2:3], v[20:21]
	v_mul_f64_e32 v[20:21], v[4:5], v[20:21]
	v_fma_f64 v[177:178], v[177:178], v[14:15], v[181:182]
	v_fma_f64 v[175:176], v[175:176], v[14:15], -v[16:17]
	scratch_load_b128 v[14:17], off, off offset:432
	v_add_f64_e32 v[181:182], v[187:188], v[185:186]
	v_add_f64_e32 v[173:174], v[173:174], v[183:184]
	s_wait_loadcnt_dscnt 0x800
	v_mul_f64_e32 v[183:184], v[169:170], v[24:25]
	v_mul_f64_e32 v[24:25], v[171:172], v[24:25]
	v_fma_f64 v[179:180], v[4:5], v[18:19], v[179:180]
	v_fma_f64 v[185:186], v[2:3], v[18:19], -v[20:21]
	ds_load_b128 v[2:5], v1 offset:1248
	scratch_load_b128 v[18:21], off, off offset:448
	v_add_f64_e32 v[181:182], v[181:182], v[175:176]
	v_add_f64_e32 v[177:178], v[173:174], v[177:178]
	ds_load_b128 v[173:176], v1 offset:1264
	s_wait_loadcnt_dscnt 0x801
	v_mul_f64_e32 v[187:188], v[2:3], v[28:29]
	v_mul_f64_e32 v[28:29], v[4:5], v[28:29]
	v_fma_f64 v[171:172], v[171:172], v[22:23], v[183:184]
	v_fma_f64 v[169:170], v[169:170], v[22:23], -v[24:25]
	scratch_load_b128 v[22:25], off, off offset:464
	;; [unrolled: 18-line block ×4, first 2 shown]
	s_wait_loadcnt_dscnt 0x800
	v_mul_f64_e32 v[181:182], v[173:174], v[8:9]
	v_mul_f64_e32 v[8:9], v[175:176], v[8:9]
	v_add_f64_e32 v[179:180], v[179:180], v[185:186]
	v_add_f64_e32 v[177:178], v[177:178], v[183:184]
	v_fma_f64 v[183:184], v[4:5], v[42:43], v[187:188]
	v_fma_f64 v[185:186], v[2:3], v[42:43], -v[44:45]
	ds_load_b128 v[2:5], v1 offset:1344
	scratch_load_b128 v[42:45], off, off offset:544
	v_fma_f64 v[175:176], v[175:176], v[6:7], v[181:182]
	v_fma_f64 v[173:174], v[173:174], v[6:7], -v[8:9]
	scratch_load_b128 v[6:9], off, off offset:560
	v_add_f64_e32 v[179:180], v[179:180], v[169:170]
	v_add_f64_e32 v[177:178], v[177:178], v[171:172]
	ds_load_b128 v[169:172], v1 offset:1360
	s_wait_loadcnt_dscnt 0x901
	v_mul_f64_e32 v[187:188], v[2:3], v[12:13]
	v_mul_f64_e32 v[12:13], v[4:5], v[12:13]
	s_wait_loadcnt_dscnt 0x800
	v_mul_f64_e32 v[181:182], v[169:170], v[16:17]
	v_mul_f64_e32 v[16:17], v[171:172], v[16:17]
	v_add_f64_e32 v[179:180], v[179:180], v[185:186]
	v_add_f64_e32 v[177:178], v[177:178], v[183:184]
	v_fma_f64 v[183:184], v[4:5], v[10:11], v[187:188]
	v_fma_f64 v[185:186], v[2:3], v[10:11], -v[12:13]
	ds_load_b128 v[2:5], v1 offset:1376
	scratch_load_b128 v[10:13], off, off offset:576
	v_fma_f64 v[171:172], v[171:172], v[14:15], v[181:182]
	v_fma_f64 v[169:170], v[169:170], v[14:15], -v[16:17]
	scratch_load_b128 v[14:17], off, off offset:592
	v_add_f64_e32 v[179:180], v[179:180], v[173:174]
	v_add_f64_e32 v[177:178], v[177:178], v[175:176]
	ds_load_b128 v[173:176], v1 offset:1392
	s_wait_loadcnt_dscnt 0x901
	v_mul_f64_e32 v[187:188], v[2:3], v[20:21]
	v_mul_f64_e32 v[20:21], v[4:5], v[20:21]
	;; [unrolled: 18-line block ×13, first 2 shown]
	s_wait_loadcnt_dscnt 0x800
	v_mul_f64_e32 v[181:182], v[169:170], v[32:33]
	v_mul_f64_e32 v[32:33], v[171:172], v[32:33]
	v_add_f64_e32 v[179:180], v[179:180], v[185:186]
	v_add_f64_e32 v[177:178], v[177:178], v[183:184]
	v_fma_f64 v[183:184], v[4:5], v[26:27], v[187:188]
	v_fma_f64 v[185:186], v[2:3], v[26:27], -v[28:29]
	ds_load_b128 v[2:5], v1 offset:1760
	ds_load_b128 v[26:29], v1 offset:1776
	v_fma_f64 v[171:172], v[171:172], v[30:31], v[181:182]
	v_fma_f64 v[30:31], v[169:170], v[30:31], -v[32:33]
	v_add_f64_e32 v[173:174], v[179:180], v[173:174]
	v_add_f64_e32 v[175:176], v[177:178], v[175:176]
	s_wait_loadcnt_dscnt 0x701
	v_mul_f64_e32 v[177:178], v[2:3], v[36:37]
	v_mul_f64_e32 v[36:37], v[4:5], v[36:37]
	s_delay_alu instid0(VALU_DEP_4) | instskip(NEXT) | instid1(VALU_DEP_4)
	v_add_f64_e32 v[32:33], v[173:174], v[185:186]
	v_add_f64_e32 v[169:170], v[175:176], v[183:184]
	s_wait_loadcnt_dscnt 0x600
	v_mul_f64_e32 v[173:174], v[26:27], v[40:41]
	v_mul_f64_e32 v[40:41], v[28:29], v[40:41]
	v_fma_f64 v[175:176], v[4:5], v[34:35], v[177:178]
	v_fma_f64 v[34:35], v[2:3], v[34:35], -v[36:37]
	v_add_f64_e32 v[36:37], v[32:33], v[30:31]
	v_add_f64_e32 v[169:170], v[169:170], v[171:172]
	ds_load_b128 v[2:5], v1 offset:1792
	ds_load_b128 v[30:33], v1 offset:1808
	v_fma_f64 v[28:29], v[28:29], v[38:39], v[173:174]
	v_fma_f64 v[26:27], v[26:27], v[38:39], -v[40:41]
	s_wait_loadcnt_dscnt 0x501
	v_mul_f64_e32 v[171:172], v[2:3], v[44:45]
	v_mul_f64_e32 v[44:45], v[4:5], v[44:45]
	s_wait_loadcnt_dscnt 0x400
	v_mul_f64_e32 v[38:39], v[30:31], v[8:9]
	v_mul_f64_e32 v[8:9], v[32:33], v[8:9]
	v_add_f64_e32 v[34:35], v[36:37], v[34:35]
	v_add_f64_e32 v[36:37], v[169:170], v[175:176]
	v_fma_f64 v[40:41], v[4:5], v[42:43], v[171:172]
	v_fma_f64 v[42:43], v[2:3], v[42:43], -v[44:45]
	v_fma_f64 v[32:33], v[32:33], v[6:7], v[38:39]
	v_fma_f64 v[6:7], v[30:31], v[6:7], -v[8:9]
	v_add_f64_e32 v[34:35], v[34:35], v[26:27]
	v_add_f64_e32 v[36:37], v[36:37], v[28:29]
	ds_load_b128 v[2:5], v1 offset:1824
	ds_load_b128 v[26:29], v1 offset:1840
	s_wait_loadcnt_dscnt 0x301
	v_mul_f64_e32 v[44:45], v[2:3], v[12:13]
	v_mul_f64_e32 v[12:13], v[4:5], v[12:13]
	v_add_f64_e32 v[8:9], v[34:35], v[42:43]
	v_add_f64_e32 v[30:31], v[36:37], v[40:41]
	s_wait_loadcnt_dscnt 0x200
	v_mul_f64_e32 v[34:35], v[26:27], v[16:17]
	v_mul_f64_e32 v[16:17], v[28:29], v[16:17]
	v_fma_f64 v[36:37], v[4:5], v[10:11], v[44:45]
	v_fma_f64 v[10:11], v[2:3], v[10:11], -v[12:13]
	v_add_f64_e32 v[12:13], v[8:9], v[6:7]
	v_add_f64_e32 v[30:31], v[30:31], v[32:33]
	ds_load_b128 v[2:5], v1 offset:1856
	ds_load_b128 v[6:9], v1 offset:1872
	v_fma_f64 v[28:29], v[28:29], v[14:15], v[34:35]
	v_fma_f64 v[14:15], v[26:27], v[14:15], -v[16:17]
	s_wait_loadcnt_dscnt 0x101
	v_mul_f64_e32 v[32:33], v[2:3], v[20:21]
	v_mul_f64_e32 v[20:21], v[4:5], v[20:21]
	s_wait_loadcnt_dscnt 0x0
	v_mul_f64_e32 v[16:17], v[6:7], v[24:25]
	v_mul_f64_e32 v[24:25], v[8:9], v[24:25]
	v_add_f64_e32 v[10:11], v[12:13], v[10:11]
	v_add_f64_e32 v[12:13], v[30:31], v[36:37]
	v_fma_f64 v[4:5], v[4:5], v[18:19], v[32:33]
	v_fma_f64 v[1:2], v[2:3], v[18:19], -v[20:21]
	v_fma_f64 v[8:9], v[8:9], v[22:23], v[16:17]
	v_fma_f64 v[6:7], v[6:7], v[22:23], -v[24:25]
	v_add_f64_e32 v[10:11], v[10:11], v[14:15]
	v_add_f64_e32 v[12:13], v[12:13], v[28:29]
	s_delay_alu instid0(VALU_DEP_2) | instskip(NEXT) | instid1(VALU_DEP_2)
	v_add_f64_e32 v[1:2], v[10:11], v[1:2]
	v_add_f64_e32 v[3:4], v[12:13], v[4:5]
	s_delay_alu instid0(VALU_DEP_2) | instskip(NEXT) | instid1(VALU_DEP_2)
	;; [unrolled: 3-line block ×3, first 2 shown]
	v_add_f64_e64 v[1:2], v[165:166], -v[1:2]
	v_add_f64_e64 v[3:4], v[167:168], -v[3:4]
	scratch_store_b128 off, v[1:4], off offset:48
	v_cmpx_lt_u32_e32 1, v0
	s_cbranch_execz .LBB122_365
; %bb.364:
	scratch_load_b128 v[1:4], off, s15
	v_mov_b32_e32 v5, 0
	s_delay_alu instid0(VALU_DEP_1)
	v_dual_mov_b32 v6, v5 :: v_dual_mov_b32 v7, v5
	v_mov_b32_e32 v8, v5
	scratch_store_b128 off, v[5:8], off offset:32
	s_wait_loadcnt 0x0
	ds_store_b128 v164, v[1:4]
.LBB122_365:
	s_wait_alu 0xfffe
	s_or_b32 exec_lo, exec_lo, s0
	s_wait_storecnt_dscnt 0x0
	s_barrier_signal -1
	s_barrier_wait -1
	global_inv scope:SCOPE_SE
	s_clause 0x7
	scratch_load_b128 v[2:5], off, off offset:48
	scratch_load_b128 v[6:9], off, off offset:64
	;; [unrolled: 1-line block ×8, first 2 shown]
	v_mov_b32_e32 v1, 0
	s_mov_b32 s0, exec_lo
	ds_load_b128 v[38:41], v1 offset:976
	s_clause 0x1
	scratch_load_b128 v[34:37], off, off offset:176
	scratch_load_b128 v[42:45], off, off offset:32
	ds_load_b128 v[165:168], v1 offset:992
	scratch_load_b128 v[169:172], off, off offset:192
	s_wait_loadcnt_dscnt 0xa01
	v_mul_f64_e32 v[173:174], v[40:41], v[4:5]
	v_mul_f64_e32 v[4:5], v[38:39], v[4:5]
	s_delay_alu instid0(VALU_DEP_2) | instskip(NEXT) | instid1(VALU_DEP_2)
	v_fma_f64 v[179:180], v[38:39], v[2:3], -v[173:174]
	v_fma_f64 v[181:182], v[40:41], v[2:3], v[4:5]
	ds_load_b128 v[2:5], v1 offset:1008
	s_wait_loadcnt_dscnt 0x901
	v_mul_f64_e32 v[177:178], v[165:166], v[8:9]
	v_mul_f64_e32 v[8:9], v[167:168], v[8:9]
	scratch_load_b128 v[38:41], off, off offset:208
	ds_load_b128 v[173:176], v1 offset:1024
	s_wait_loadcnt_dscnt 0x901
	v_mul_f64_e32 v[183:184], v[2:3], v[12:13]
	v_mul_f64_e32 v[12:13], v[4:5], v[12:13]
	v_fma_f64 v[167:168], v[167:168], v[6:7], v[177:178]
	v_fma_f64 v[165:166], v[165:166], v[6:7], -v[8:9]
	v_add_f64_e32 v[177:178], 0, v[179:180]
	v_add_f64_e32 v[179:180], 0, v[181:182]
	scratch_load_b128 v[6:9], off, off offset:224
	v_fma_f64 v[183:184], v[4:5], v[10:11], v[183:184]
	v_fma_f64 v[185:186], v[2:3], v[10:11], -v[12:13]
	ds_load_b128 v[2:5], v1 offset:1040
	s_wait_loadcnt_dscnt 0x901
	v_mul_f64_e32 v[181:182], v[173:174], v[16:17]
	v_mul_f64_e32 v[16:17], v[175:176], v[16:17]
	scratch_load_b128 v[10:13], off, off offset:240
	v_add_f64_e32 v[177:178], v[177:178], v[165:166]
	v_add_f64_e32 v[179:180], v[179:180], v[167:168]
	s_wait_loadcnt_dscnt 0x900
	v_mul_f64_e32 v[187:188], v[2:3], v[20:21]
	v_mul_f64_e32 v[20:21], v[4:5], v[20:21]
	ds_load_b128 v[165:168], v1 offset:1056
	v_fma_f64 v[175:176], v[175:176], v[14:15], v[181:182]
	v_fma_f64 v[173:174], v[173:174], v[14:15], -v[16:17]
	scratch_load_b128 v[14:17], off, off offset:256
	v_add_f64_e32 v[177:178], v[177:178], v[185:186]
	v_add_f64_e32 v[179:180], v[179:180], v[183:184]
	v_fma_f64 v[183:184], v[4:5], v[18:19], v[187:188]
	v_fma_f64 v[185:186], v[2:3], v[18:19], -v[20:21]
	ds_load_b128 v[2:5], v1 offset:1072
	s_wait_loadcnt_dscnt 0x901
	v_mul_f64_e32 v[181:182], v[165:166], v[24:25]
	v_mul_f64_e32 v[24:25], v[167:168], v[24:25]
	scratch_load_b128 v[18:21], off, off offset:272
	s_wait_loadcnt_dscnt 0x900
	v_mul_f64_e32 v[187:188], v[2:3], v[28:29]
	v_mul_f64_e32 v[28:29], v[4:5], v[28:29]
	v_add_f64_e32 v[177:178], v[177:178], v[173:174]
	v_add_f64_e32 v[179:180], v[179:180], v[175:176]
	ds_load_b128 v[173:176], v1 offset:1088
	v_fma_f64 v[167:168], v[167:168], v[22:23], v[181:182]
	v_fma_f64 v[165:166], v[165:166], v[22:23], -v[24:25]
	scratch_load_b128 v[22:25], off, off offset:288
	v_add_f64_e32 v[177:178], v[177:178], v[185:186]
	v_add_f64_e32 v[179:180], v[179:180], v[183:184]
	v_fma_f64 v[183:184], v[4:5], v[26:27], v[187:188]
	v_fma_f64 v[185:186], v[2:3], v[26:27], -v[28:29]
	ds_load_b128 v[2:5], v1 offset:1104
	s_wait_loadcnt_dscnt 0x901
	v_mul_f64_e32 v[181:182], v[173:174], v[32:33]
	v_mul_f64_e32 v[32:33], v[175:176], v[32:33]
	scratch_load_b128 v[26:29], off, off offset:304
	s_wait_loadcnt_dscnt 0x900
	v_mul_f64_e32 v[187:188], v[2:3], v[36:37]
	v_mul_f64_e32 v[36:37], v[4:5], v[36:37]
	v_add_f64_e32 v[177:178], v[177:178], v[165:166]
	v_add_f64_e32 v[179:180], v[179:180], v[167:168]
	ds_load_b128 v[165:168], v1 offset:1120
	v_fma_f64 v[175:176], v[175:176], v[30:31], v[181:182]
	v_fma_f64 v[173:174], v[173:174], v[30:31], -v[32:33]
	scratch_load_b128 v[30:33], off, off offset:320
	v_add_f64_e32 v[177:178], v[177:178], v[185:186]
	v_add_f64_e32 v[179:180], v[179:180], v[183:184]
	v_fma_f64 v[185:186], v[4:5], v[34:35], v[187:188]
	v_fma_f64 v[187:188], v[2:3], v[34:35], -v[36:37]
	ds_load_b128 v[2:5], v1 offset:1136
	s_wait_loadcnt_dscnt 0x801
	v_mul_f64_e32 v[181:182], v[165:166], v[171:172]
	v_mul_f64_e32 v[183:184], v[167:168], v[171:172]
	scratch_load_b128 v[34:37], off, off offset:336
	v_add_f64_e32 v[177:178], v[177:178], v[173:174]
	v_add_f64_e32 v[175:176], v[179:180], v[175:176]
	ds_load_b128 v[171:174], v1 offset:1152
	v_fma_f64 v[181:182], v[167:168], v[169:170], v[181:182]
	v_fma_f64 v[169:170], v[165:166], v[169:170], -v[183:184]
	scratch_load_b128 v[165:168], off, off offset:352
	s_wait_loadcnt_dscnt 0x901
	v_mul_f64_e32 v[179:180], v[2:3], v[40:41]
	v_mul_f64_e32 v[40:41], v[4:5], v[40:41]
	v_add_f64_e32 v[177:178], v[177:178], v[187:188]
	v_add_f64_e32 v[175:176], v[175:176], v[185:186]
	s_delay_alu instid0(VALU_DEP_4) | instskip(NEXT) | instid1(VALU_DEP_4)
	v_fma_f64 v[179:180], v[4:5], v[38:39], v[179:180]
	v_fma_f64 v[185:186], v[2:3], v[38:39], -v[40:41]
	ds_load_b128 v[2:5], v1 offset:1168
	s_wait_loadcnt_dscnt 0x801
	v_mul_f64_e32 v[183:184], v[171:172], v[8:9]
	v_mul_f64_e32 v[8:9], v[173:174], v[8:9]
	scratch_load_b128 v[38:41], off, off offset:368
	s_wait_loadcnt_dscnt 0x800
	v_mul_f64_e32 v[187:188], v[2:3], v[12:13]
	v_add_f64_e32 v[169:170], v[177:178], v[169:170]
	v_add_f64_e32 v[181:182], v[175:176], v[181:182]
	v_mul_f64_e32 v[12:13], v[4:5], v[12:13]
	ds_load_b128 v[175:178], v1 offset:1184
	v_fma_f64 v[173:174], v[173:174], v[6:7], v[183:184]
	v_fma_f64 v[171:172], v[171:172], v[6:7], -v[8:9]
	scratch_load_b128 v[6:9], off, off offset:384
	v_fma_f64 v[183:184], v[4:5], v[10:11], v[187:188]
	v_add_f64_e32 v[169:170], v[169:170], v[185:186]
	v_add_f64_e32 v[179:180], v[181:182], v[179:180]
	v_fma_f64 v[185:186], v[2:3], v[10:11], -v[12:13]
	ds_load_b128 v[2:5], v1 offset:1200
	s_wait_loadcnt_dscnt 0x801
	v_mul_f64_e32 v[181:182], v[175:176], v[16:17]
	v_mul_f64_e32 v[16:17], v[177:178], v[16:17]
	scratch_load_b128 v[10:13], off, off offset:400
	v_add_f64_e32 v[187:188], v[169:170], v[171:172]
	v_add_f64_e32 v[173:174], v[179:180], v[173:174]
	s_wait_loadcnt_dscnt 0x800
	v_mul_f64_e32 v[179:180], v[2:3], v[20:21]
	v_mul_f64_e32 v[20:21], v[4:5], v[20:21]
	v_fma_f64 v[177:178], v[177:178], v[14:15], v[181:182]
	v_fma_f64 v[175:176], v[175:176], v[14:15], -v[16:17]
	ds_load_b128 v[169:172], v1 offset:1216
	scratch_load_b128 v[14:17], off, off offset:416
	v_add_f64_e32 v[181:182], v[187:188], v[185:186]
	v_add_f64_e32 v[173:174], v[173:174], v[183:184]
	v_fma_f64 v[179:180], v[4:5], v[18:19], v[179:180]
	v_fma_f64 v[185:186], v[2:3], v[18:19], -v[20:21]
	ds_load_b128 v[2:5], v1 offset:1232
	s_wait_loadcnt_dscnt 0x801
	v_mul_f64_e32 v[183:184], v[169:170], v[24:25]
	v_mul_f64_e32 v[24:25], v[171:172], v[24:25]
	scratch_load_b128 v[18:21], off, off offset:432
	s_wait_loadcnt_dscnt 0x800
	v_mul_f64_e32 v[187:188], v[2:3], v[28:29]
	v_mul_f64_e32 v[28:29], v[4:5], v[28:29]
	v_add_f64_e32 v[181:182], v[181:182], v[175:176]
	v_add_f64_e32 v[177:178], v[173:174], v[177:178]
	ds_load_b128 v[173:176], v1 offset:1248
	v_fma_f64 v[171:172], v[171:172], v[22:23], v[183:184]
	v_fma_f64 v[169:170], v[169:170], v[22:23], -v[24:25]
	scratch_load_b128 v[22:25], off, off offset:448
	v_fma_f64 v[183:184], v[4:5], v[26:27], v[187:188]
	v_add_f64_e32 v[181:182], v[181:182], v[185:186]
	v_add_f64_e32 v[177:178], v[177:178], v[179:180]
	v_fma_f64 v[185:186], v[2:3], v[26:27], -v[28:29]
	ds_load_b128 v[2:5], v1 offset:1264
	s_wait_loadcnt_dscnt 0x801
	v_mul_f64_e32 v[179:180], v[173:174], v[32:33]
	v_mul_f64_e32 v[32:33], v[175:176], v[32:33]
	scratch_load_b128 v[26:29], off, off offset:464
	s_wait_loadcnt_dscnt 0x800
	v_mul_f64_e32 v[187:188], v[2:3], v[36:37]
	v_mul_f64_e32 v[36:37], v[4:5], v[36:37]
	v_add_f64_e32 v[181:182], v[181:182], v[169:170]
	v_add_f64_e32 v[177:178], v[177:178], v[171:172]
	ds_load_b128 v[169:172], v1 offset:1280
	v_fma_f64 v[175:176], v[175:176], v[30:31], v[179:180]
	v_fma_f64 v[173:174], v[173:174], v[30:31], -v[32:33]
	scratch_load_b128 v[30:33], off, off offset:480
	v_add_f64_e32 v[179:180], v[181:182], v[185:186]
	v_add_f64_e32 v[177:178], v[177:178], v[183:184]
	v_fma_f64 v[183:184], v[4:5], v[34:35], v[187:188]
	v_fma_f64 v[185:186], v[2:3], v[34:35], -v[36:37]
	ds_load_b128 v[2:5], v1 offset:1296
	s_wait_loadcnt_dscnt 0x801
	v_mul_f64_e32 v[181:182], v[169:170], v[167:168]
	v_mul_f64_e32 v[167:168], v[171:172], v[167:168]
	scratch_load_b128 v[34:37], off, off offset:496
	s_wait_loadcnt_dscnt 0x800
	v_mul_f64_e32 v[187:188], v[2:3], v[40:41]
	v_mul_f64_e32 v[40:41], v[4:5], v[40:41]
	v_add_f64_e32 v[179:180], v[179:180], v[173:174]
	v_add_f64_e32 v[177:178], v[177:178], v[175:176]
	ds_load_b128 v[173:176], v1 offset:1312
	v_fma_f64 v[171:172], v[171:172], v[165:166], v[181:182]
	v_fma_f64 v[169:170], v[169:170], v[165:166], -v[167:168]
	scratch_load_b128 v[165:168], off, off offset:512
	v_add_f64_e32 v[179:180], v[179:180], v[185:186]
	v_add_f64_e32 v[177:178], v[177:178], v[183:184]
	v_fma_f64 v[183:184], v[4:5], v[38:39], v[187:188]
	v_fma_f64 v[185:186], v[2:3], v[38:39], -v[40:41]
	ds_load_b128 v[2:5], v1 offset:1328
	s_wait_loadcnt_dscnt 0x801
	v_mul_f64_e32 v[181:182], v[173:174], v[8:9]
	v_mul_f64_e32 v[8:9], v[175:176], v[8:9]
	scratch_load_b128 v[38:41], off, off offset:528
	s_wait_loadcnt_dscnt 0x800
	v_mul_f64_e32 v[187:188], v[2:3], v[12:13]
	v_mul_f64_e32 v[12:13], v[4:5], v[12:13]
	v_add_f64_e32 v[179:180], v[179:180], v[169:170]
	v_add_f64_e32 v[177:178], v[177:178], v[171:172]
	ds_load_b128 v[169:172], v1 offset:1344
	v_fma_f64 v[175:176], v[175:176], v[6:7], v[181:182]
	v_fma_f64 v[173:174], v[173:174], v[6:7], -v[8:9]
	scratch_load_b128 v[6:9], off, off offset:544
	v_add_f64_e32 v[179:180], v[179:180], v[185:186]
	v_add_f64_e32 v[177:178], v[177:178], v[183:184]
	v_fma_f64 v[183:184], v[4:5], v[10:11], v[187:188]
	v_fma_f64 v[185:186], v[2:3], v[10:11], -v[12:13]
	ds_load_b128 v[2:5], v1 offset:1360
	s_wait_loadcnt_dscnt 0x801
	v_mul_f64_e32 v[181:182], v[169:170], v[16:17]
	v_mul_f64_e32 v[16:17], v[171:172], v[16:17]
	scratch_load_b128 v[10:13], off, off offset:560
	s_wait_loadcnt_dscnt 0x800
	v_mul_f64_e32 v[187:188], v[2:3], v[20:21]
	v_mul_f64_e32 v[20:21], v[4:5], v[20:21]
	v_add_f64_e32 v[179:180], v[179:180], v[173:174]
	v_add_f64_e32 v[177:178], v[177:178], v[175:176]
	ds_load_b128 v[173:176], v1 offset:1376
	v_fma_f64 v[171:172], v[171:172], v[14:15], v[181:182]
	v_fma_f64 v[169:170], v[169:170], v[14:15], -v[16:17]
	scratch_load_b128 v[14:17], off, off offset:576
	v_add_f64_e32 v[179:180], v[179:180], v[185:186]
	v_add_f64_e32 v[177:178], v[177:178], v[183:184]
	v_fma_f64 v[183:184], v[4:5], v[18:19], v[187:188]
	v_fma_f64 v[185:186], v[2:3], v[18:19], -v[20:21]
	ds_load_b128 v[2:5], v1 offset:1392
	s_wait_loadcnt_dscnt 0x801
	v_mul_f64_e32 v[181:182], v[173:174], v[24:25]
	v_mul_f64_e32 v[24:25], v[175:176], v[24:25]
	scratch_load_b128 v[18:21], off, off offset:592
	s_wait_loadcnt_dscnt 0x800
	v_mul_f64_e32 v[187:188], v[2:3], v[28:29]
	v_mul_f64_e32 v[28:29], v[4:5], v[28:29]
	v_add_f64_e32 v[179:180], v[179:180], v[169:170]
	v_add_f64_e32 v[177:178], v[177:178], v[171:172]
	ds_load_b128 v[169:172], v1 offset:1408
	v_fma_f64 v[175:176], v[175:176], v[22:23], v[181:182]
	v_fma_f64 v[173:174], v[173:174], v[22:23], -v[24:25]
	scratch_load_b128 v[22:25], off, off offset:608
	v_add_f64_e32 v[179:180], v[179:180], v[185:186]
	v_add_f64_e32 v[177:178], v[177:178], v[183:184]
	v_fma_f64 v[183:184], v[4:5], v[26:27], v[187:188]
	v_fma_f64 v[185:186], v[2:3], v[26:27], -v[28:29]
	ds_load_b128 v[2:5], v1 offset:1424
	s_wait_loadcnt_dscnt 0x801
	v_mul_f64_e32 v[181:182], v[169:170], v[32:33]
	v_mul_f64_e32 v[32:33], v[171:172], v[32:33]
	scratch_load_b128 v[26:29], off, off offset:624
	s_wait_loadcnt_dscnt 0x800
	v_mul_f64_e32 v[187:188], v[2:3], v[36:37]
	v_mul_f64_e32 v[36:37], v[4:5], v[36:37]
	v_add_f64_e32 v[179:180], v[179:180], v[173:174]
	v_add_f64_e32 v[177:178], v[177:178], v[175:176]
	ds_load_b128 v[173:176], v1 offset:1440
	v_fma_f64 v[171:172], v[171:172], v[30:31], v[181:182]
	v_fma_f64 v[169:170], v[169:170], v[30:31], -v[32:33]
	scratch_load_b128 v[30:33], off, off offset:640
	v_add_f64_e32 v[179:180], v[179:180], v[185:186]
	v_add_f64_e32 v[177:178], v[177:178], v[183:184]
	v_fma_f64 v[185:186], v[4:5], v[34:35], v[187:188]
	v_fma_f64 v[187:188], v[2:3], v[34:35], -v[36:37]
	ds_load_b128 v[2:5], v1 offset:1456
	s_wait_loadcnt_dscnt 0x801
	v_mul_f64_e32 v[181:182], v[173:174], v[167:168]
	v_mul_f64_e32 v[183:184], v[175:176], v[167:168]
	scratch_load_b128 v[34:37], off, off offset:656
	v_add_f64_e32 v[179:180], v[179:180], v[169:170]
	v_add_f64_e32 v[171:172], v[177:178], v[171:172]
	s_wait_loadcnt_dscnt 0x800
	v_mul_f64_e32 v[177:178], v[2:3], v[40:41]
	v_mul_f64_e32 v[40:41], v[4:5], v[40:41]
	ds_load_b128 v[167:170], v1 offset:1472
	v_fma_f64 v[175:176], v[175:176], v[165:166], v[181:182]
	v_fma_f64 v[165:166], v[173:174], v[165:166], -v[183:184]
	v_add_f64_e32 v[179:180], v[179:180], v[187:188]
	v_add_f64_e32 v[181:182], v[171:172], v[185:186]
	scratch_load_b128 v[171:174], off, off offset:672
	v_fma_f64 v[185:186], v[4:5], v[38:39], v[177:178]
	v_fma_f64 v[187:188], v[2:3], v[38:39], -v[40:41]
	ds_load_b128 v[2:5], v1 offset:1488
	s_wait_loadcnt_dscnt 0x801
	v_mul_f64_e32 v[183:184], v[167:168], v[8:9]
	v_mul_f64_e32 v[8:9], v[169:170], v[8:9]
	scratch_load_b128 v[38:41], off, off offset:688
	v_add_f64_e32 v[165:166], v[179:180], v[165:166]
	v_add_f64_e32 v[179:180], v[181:182], v[175:176]
	s_wait_loadcnt_dscnt 0x800
	v_mul_f64_e32 v[181:182], v[2:3], v[12:13]
	v_mul_f64_e32 v[12:13], v[4:5], v[12:13]
	ds_load_b128 v[175:178], v1 offset:1504
	v_fma_f64 v[169:170], v[169:170], v[6:7], v[183:184]
	v_fma_f64 v[167:168], v[167:168], v[6:7], -v[8:9]
	scratch_load_b128 v[6:9], off, off offset:704
	v_add_f64_e32 v[165:166], v[165:166], v[187:188]
	v_add_f64_e32 v[179:180], v[179:180], v[185:186]
	v_fma_f64 v[181:182], v[4:5], v[10:11], v[181:182]
	v_fma_f64 v[185:186], v[2:3], v[10:11], -v[12:13]
	ds_load_b128 v[2:5], v1 offset:1520
	s_wait_loadcnt_dscnt 0x801
	v_mul_f64_e32 v[183:184], v[175:176], v[16:17]
	v_mul_f64_e32 v[16:17], v[177:178], v[16:17]
	scratch_load_b128 v[10:13], off, off offset:720
	v_add_f64_e32 v[187:188], v[165:166], v[167:168]
	v_add_f64_e32 v[169:170], v[179:180], v[169:170]
	s_wait_loadcnt_dscnt 0x800
	v_mul_f64_e32 v[179:180], v[2:3], v[20:21]
	v_mul_f64_e32 v[20:21], v[4:5], v[20:21]
	ds_load_b128 v[165:168], v1 offset:1536
	v_fma_f64 v[177:178], v[177:178], v[14:15], v[183:184]
	v_fma_f64 v[175:176], v[175:176], v[14:15], -v[16:17]
	scratch_load_b128 v[14:17], off, off offset:736
	v_add_f64_e32 v[183:184], v[187:188], v[185:186]
	v_add_f64_e32 v[169:170], v[169:170], v[181:182]
	v_fma_f64 v[179:180], v[4:5], v[18:19], v[179:180]
	v_fma_f64 v[185:186], v[2:3], v[18:19], -v[20:21]
	ds_load_b128 v[2:5], v1 offset:1552
	s_wait_loadcnt_dscnt 0x801
	v_mul_f64_e32 v[181:182], v[165:166], v[24:25]
	v_mul_f64_e32 v[24:25], v[167:168], v[24:25]
	scratch_load_b128 v[18:21], off, off offset:752
	s_wait_loadcnt_dscnt 0x800
	v_mul_f64_e32 v[187:188], v[2:3], v[28:29]
	v_mul_f64_e32 v[28:29], v[4:5], v[28:29]
	v_add_f64_e32 v[183:184], v[183:184], v[175:176]
	v_add_f64_e32 v[169:170], v[169:170], v[177:178]
	ds_load_b128 v[175:178], v1 offset:1568
	v_fma_f64 v[167:168], v[167:168], v[22:23], v[181:182]
	v_fma_f64 v[165:166], v[165:166], v[22:23], -v[24:25]
	scratch_load_b128 v[22:25], off, off offset:768
	v_add_f64_e32 v[181:182], v[183:184], v[185:186]
	v_add_f64_e32 v[169:170], v[169:170], v[179:180]
	v_fma_f64 v[183:184], v[4:5], v[26:27], v[187:188]
	v_fma_f64 v[185:186], v[2:3], v[26:27], -v[28:29]
	ds_load_b128 v[2:5], v1 offset:1584
	s_wait_loadcnt_dscnt 0x801
	v_mul_f64_e32 v[179:180], v[175:176], v[32:33]
	v_mul_f64_e32 v[32:33], v[177:178], v[32:33]
	scratch_load_b128 v[26:29], off, off offset:784
	s_wait_loadcnt_dscnt 0x800
	v_mul_f64_e32 v[187:188], v[2:3], v[36:37]
	v_mul_f64_e32 v[36:37], v[4:5], v[36:37]
	v_add_f64_e32 v[181:182], v[181:182], v[165:166]
	v_add_f64_e32 v[169:170], v[169:170], v[167:168]
	ds_load_b128 v[165:168], v1 offset:1600
	v_fma_f64 v[177:178], v[177:178], v[30:31], v[179:180]
	v_fma_f64 v[175:176], v[175:176], v[30:31], -v[32:33]
	scratch_load_b128 v[30:33], off, off offset:800
	v_add_f64_e32 v[179:180], v[181:182], v[185:186]
	v_add_f64_e32 v[169:170], v[169:170], v[183:184]
	v_fma_f64 v[185:186], v[4:5], v[34:35], v[187:188]
	v_fma_f64 v[187:188], v[2:3], v[34:35], -v[36:37]
	ds_load_b128 v[2:5], v1 offset:1616
	scratch_load_b128 v[34:37], off, off offset:816
	s_wait_loadcnt_dscnt 0x901
	v_mul_f64_e32 v[181:182], v[165:166], v[173:174]
	v_mul_f64_e32 v[183:184], v[167:168], v[173:174]
	v_add_f64_e32 v[179:180], v[179:180], v[175:176]
	v_add_f64_e32 v[169:170], v[169:170], v[177:178]
	s_wait_loadcnt_dscnt 0x800
	v_mul_f64_e32 v[177:178], v[2:3], v[40:41]
	v_mul_f64_e32 v[40:41], v[4:5], v[40:41]
	ds_load_b128 v[173:176], v1 offset:1632
	v_fma_f64 v[181:182], v[167:168], v[171:172], v[181:182]
	v_fma_f64 v[171:172], v[165:166], v[171:172], -v[183:184]
	scratch_load_b128 v[165:168], off, off offset:832
	v_add_f64_e32 v[179:180], v[179:180], v[187:188]
	v_add_f64_e32 v[169:170], v[169:170], v[185:186]
	v_fma_f64 v[177:178], v[4:5], v[38:39], v[177:178]
	v_fma_f64 v[185:186], v[2:3], v[38:39], -v[40:41]
	ds_load_b128 v[2:5], v1 offset:1648
	s_wait_loadcnt_dscnt 0x801
	v_mul_f64_e32 v[183:184], v[173:174], v[8:9]
	v_mul_f64_e32 v[8:9], v[175:176], v[8:9]
	scratch_load_b128 v[38:41], off, off offset:848
	s_wait_loadcnt_dscnt 0x800
	v_mul_f64_e32 v[187:188], v[2:3], v[12:13]
	v_mul_f64_e32 v[12:13], v[4:5], v[12:13]
	v_add_f64_e32 v[179:180], v[179:180], v[171:172]
	v_add_f64_e32 v[181:182], v[169:170], v[181:182]
	ds_load_b128 v[169:172], v1 offset:1664
	v_fma_f64 v[175:176], v[175:176], v[6:7], v[183:184]
	v_fma_f64 v[173:174], v[173:174], v[6:7], -v[8:9]
	scratch_load_b128 v[6:9], off, off offset:864
	v_fma_f64 v[183:184], v[4:5], v[10:11], v[187:188]
	v_add_f64_e32 v[179:180], v[179:180], v[185:186]
	v_add_f64_e32 v[177:178], v[181:182], v[177:178]
	v_fma_f64 v[185:186], v[2:3], v[10:11], -v[12:13]
	ds_load_b128 v[2:5], v1 offset:1680
	s_wait_loadcnt_dscnt 0x801
	v_mul_f64_e32 v[181:182], v[169:170], v[16:17]
	v_mul_f64_e32 v[16:17], v[171:172], v[16:17]
	scratch_load_b128 v[10:13], off, off offset:880
	s_wait_loadcnt_dscnt 0x800
	v_mul_f64_e32 v[187:188], v[2:3], v[20:21]
	v_mul_f64_e32 v[20:21], v[4:5], v[20:21]
	v_add_f64_e32 v[179:180], v[179:180], v[173:174]
	v_add_f64_e32 v[177:178], v[177:178], v[175:176]
	ds_load_b128 v[173:176], v1 offset:1696
	v_fma_f64 v[171:172], v[171:172], v[14:15], v[181:182]
	v_fma_f64 v[169:170], v[169:170], v[14:15], -v[16:17]
	scratch_load_b128 v[14:17], off, off offset:896
	v_add_f64_e32 v[179:180], v[179:180], v[185:186]
	v_add_f64_e32 v[177:178], v[177:178], v[183:184]
	v_fma_f64 v[183:184], v[4:5], v[18:19], v[187:188]
	v_fma_f64 v[185:186], v[2:3], v[18:19], -v[20:21]
	ds_load_b128 v[2:5], v1 offset:1712
	s_wait_loadcnt_dscnt 0x801
	v_mul_f64_e32 v[181:182], v[173:174], v[24:25]
	v_mul_f64_e32 v[24:25], v[175:176], v[24:25]
	scratch_load_b128 v[18:21], off, off offset:912
	s_wait_loadcnt_dscnt 0x800
	v_mul_f64_e32 v[187:188], v[2:3], v[28:29]
	v_mul_f64_e32 v[28:29], v[4:5], v[28:29]
	v_add_f64_e32 v[179:180], v[179:180], v[169:170]
	v_add_f64_e32 v[177:178], v[177:178], v[171:172]
	ds_load_b128 v[169:172], v1 offset:1728
	v_fma_f64 v[175:176], v[175:176], v[22:23], v[181:182]
	v_fma_f64 v[173:174], v[173:174], v[22:23], -v[24:25]
	scratch_load_b128 v[22:25], off, off offset:928
	v_add_f64_e32 v[179:180], v[179:180], v[185:186]
	v_add_f64_e32 v[177:178], v[177:178], v[183:184]
	v_fma_f64 v[183:184], v[4:5], v[26:27], v[187:188]
	v_fma_f64 v[185:186], v[2:3], v[26:27], -v[28:29]
	ds_load_b128 v[2:5], v1 offset:1744
	s_wait_loadcnt_dscnt 0x801
	v_mul_f64_e32 v[181:182], v[169:170], v[32:33]
	v_mul_f64_e32 v[32:33], v[171:172], v[32:33]
	scratch_load_b128 v[26:29], off, off offset:944
	s_wait_loadcnt_dscnt 0x800
	v_mul_f64_e32 v[187:188], v[2:3], v[36:37]
	v_mul_f64_e32 v[36:37], v[4:5], v[36:37]
	v_add_f64_e32 v[179:180], v[179:180], v[173:174]
	v_add_f64_e32 v[177:178], v[177:178], v[175:176]
	ds_load_b128 v[173:176], v1 offset:1760
	v_fma_f64 v[171:172], v[171:172], v[30:31], v[181:182]
	v_fma_f64 v[30:31], v[169:170], v[30:31], -v[32:33]
	v_add_f64_e32 v[32:33], v[179:180], v[185:186]
	v_add_f64_e32 v[169:170], v[177:178], v[183:184]
	s_wait_loadcnt_dscnt 0x700
	v_mul_f64_e32 v[177:178], v[173:174], v[167:168]
	v_mul_f64_e32 v[167:168], v[175:176], v[167:168]
	v_fma_f64 v[179:180], v[4:5], v[34:35], v[187:188]
	v_fma_f64 v[34:35], v[2:3], v[34:35], -v[36:37]
	v_add_f64_e32 v[36:37], v[32:33], v[30:31]
	v_add_f64_e32 v[169:170], v[169:170], v[171:172]
	ds_load_b128 v[2:5], v1 offset:1776
	ds_load_b128 v[30:33], v1 offset:1792
	v_fma_f64 v[175:176], v[175:176], v[165:166], v[177:178]
	v_fma_f64 v[165:166], v[173:174], v[165:166], -v[167:168]
	s_wait_loadcnt_dscnt 0x601
	v_mul_f64_e32 v[171:172], v[2:3], v[40:41]
	v_mul_f64_e32 v[40:41], v[4:5], v[40:41]
	s_wait_loadcnt_dscnt 0x500
	v_mul_f64_e32 v[167:168], v[30:31], v[8:9]
	v_mul_f64_e32 v[8:9], v[32:33], v[8:9]
	v_add_f64_e32 v[34:35], v[36:37], v[34:35]
	v_add_f64_e32 v[36:37], v[169:170], v[179:180]
	v_fma_f64 v[169:170], v[4:5], v[38:39], v[171:172]
	v_fma_f64 v[38:39], v[2:3], v[38:39], -v[40:41]
	v_fma_f64 v[32:33], v[32:33], v[6:7], v[167:168]
	v_fma_f64 v[6:7], v[30:31], v[6:7], -v[8:9]
	v_add_f64_e32 v[40:41], v[34:35], v[165:166]
	v_add_f64_e32 v[165:166], v[36:37], v[175:176]
	ds_load_b128 v[2:5], v1 offset:1808
	ds_load_b128 v[34:37], v1 offset:1824
	s_wait_loadcnt_dscnt 0x401
	v_mul_f64_e32 v[171:172], v[2:3], v[12:13]
	v_mul_f64_e32 v[12:13], v[4:5], v[12:13]
	v_add_f64_e32 v[8:9], v[40:41], v[38:39]
	v_add_f64_e32 v[30:31], v[165:166], v[169:170]
	s_wait_loadcnt_dscnt 0x300
	v_mul_f64_e32 v[38:39], v[34:35], v[16:17]
	v_mul_f64_e32 v[16:17], v[36:37], v[16:17]
	v_fma_f64 v[40:41], v[4:5], v[10:11], v[171:172]
	v_fma_f64 v[10:11], v[2:3], v[10:11], -v[12:13]
	v_add_f64_e32 v[12:13], v[8:9], v[6:7]
	v_add_f64_e32 v[30:31], v[30:31], v[32:33]
	ds_load_b128 v[2:5], v1 offset:1840
	ds_load_b128 v[6:9], v1 offset:1856
	v_fma_f64 v[36:37], v[36:37], v[14:15], v[38:39]
	v_fma_f64 v[14:15], v[34:35], v[14:15], -v[16:17]
	s_wait_loadcnt_dscnt 0x201
	v_mul_f64_e32 v[32:33], v[2:3], v[20:21]
	v_mul_f64_e32 v[20:21], v[4:5], v[20:21]
	s_wait_loadcnt_dscnt 0x100
	v_mul_f64_e32 v[16:17], v[6:7], v[24:25]
	v_mul_f64_e32 v[24:25], v[8:9], v[24:25]
	v_add_f64_e32 v[10:11], v[12:13], v[10:11]
	v_add_f64_e32 v[12:13], v[30:31], v[40:41]
	v_fma_f64 v[30:31], v[4:5], v[18:19], v[32:33]
	v_fma_f64 v[18:19], v[2:3], v[18:19], -v[20:21]
	ds_load_b128 v[2:5], v1 offset:1872
	v_fma_f64 v[8:9], v[8:9], v[22:23], v[16:17]
	v_fma_f64 v[6:7], v[6:7], v[22:23], -v[24:25]
	v_add_f64_e32 v[10:11], v[10:11], v[14:15]
	v_add_f64_e32 v[12:13], v[12:13], v[36:37]
	s_wait_loadcnt_dscnt 0x0
	v_mul_f64_e32 v[14:15], v[2:3], v[28:29]
	v_mul_f64_e32 v[20:21], v[4:5], v[28:29]
	s_delay_alu instid0(VALU_DEP_4) | instskip(NEXT) | instid1(VALU_DEP_4)
	v_add_f64_e32 v[10:11], v[10:11], v[18:19]
	v_add_f64_e32 v[12:13], v[12:13], v[30:31]
	s_delay_alu instid0(VALU_DEP_4) | instskip(NEXT) | instid1(VALU_DEP_4)
	v_fma_f64 v[4:5], v[4:5], v[26:27], v[14:15]
	v_fma_f64 v[2:3], v[2:3], v[26:27], -v[20:21]
	s_delay_alu instid0(VALU_DEP_4) | instskip(NEXT) | instid1(VALU_DEP_4)
	v_add_f64_e32 v[6:7], v[10:11], v[6:7]
	v_add_f64_e32 v[8:9], v[12:13], v[8:9]
	s_delay_alu instid0(VALU_DEP_2) | instskip(NEXT) | instid1(VALU_DEP_2)
	v_add_f64_e32 v[2:3], v[6:7], v[2:3]
	v_add_f64_e32 v[4:5], v[8:9], v[4:5]
	s_delay_alu instid0(VALU_DEP_2) | instskip(NEXT) | instid1(VALU_DEP_2)
	v_add_f64_e64 v[2:3], v[42:43], -v[2:3]
	v_add_f64_e64 v[4:5], v[44:45], -v[4:5]
	scratch_store_b128 off, v[2:5], off offset:32
	v_cmpx_ne_u32_e32 0, v0
	s_cbranch_execz .LBB122_367
; %bb.366:
	scratch_load_b128 v[5:8], off, off offset:16
	v_dual_mov_b32 v2, v1 :: v_dual_mov_b32 v3, v1
	v_mov_b32_e32 v4, v1
	scratch_store_b128 off, v[1:4], off offset:16
	s_wait_loadcnt 0x0
	ds_store_b128 v164, v[5:8]
.LBB122_367:
	s_wait_alu 0xfffe
	s_or_b32 exec_lo, exec_lo, s0
	s_wait_storecnt_dscnt 0x0
	s_barrier_signal -1
	s_barrier_wait -1
	global_inv scope:SCOPE_SE
	s_clause 0x8
	scratch_load_b128 v[2:5], off, off offset:32
	scratch_load_b128 v[6:9], off, off offset:48
	;; [unrolled: 1-line block ×9, first 2 shown]
	ds_load_b128 v[42:45], v1 offset:960
	ds_load_b128 v[38:41], v1 offset:976
	s_clause 0x1
	scratch_load_b128 v[164:167], off, off offset:16
	scratch_load_b128 v[168:171], off, off offset:176
	s_and_b32 vcc_lo, exec_lo, s12
	s_wait_loadcnt_dscnt 0xa01
	v_mul_f64_e32 v[172:173], v[44:45], v[4:5]
	v_mul_f64_e32 v[4:5], v[42:43], v[4:5]
	s_wait_loadcnt_dscnt 0x900
	v_mul_f64_e32 v[176:177], v[38:39], v[8:9]
	v_mul_f64_e32 v[8:9], v[40:41], v[8:9]
	s_delay_alu instid0(VALU_DEP_4) | instskip(NEXT) | instid1(VALU_DEP_4)
	v_fma_f64 v[178:179], v[42:43], v[2:3], -v[172:173]
	v_fma_f64 v[180:181], v[44:45], v[2:3], v[4:5]
	ds_load_b128 v[2:5], v1 offset:992
	ds_load_b128 v[172:175], v1 offset:1008
	scratch_load_b128 v[42:45], off, off offset:192
	v_fma_f64 v[40:41], v[40:41], v[6:7], v[176:177]
	v_fma_f64 v[38:39], v[38:39], v[6:7], -v[8:9]
	scratch_load_b128 v[6:9], off, off offset:208
	s_wait_loadcnt_dscnt 0xa01
	v_mul_f64_e32 v[182:183], v[2:3], v[12:13]
	v_mul_f64_e32 v[12:13], v[4:5], v[12:13]
	v_add_f64_e32 v[176:177], 0, v[178:179]
	v_add_f64_e32 v[178:179], 0, v[180:181]
	s_wait_loadcnt_dscnt 0x900
	v_mul_f64_e32 v[180:181], v[172:173], v[16:17]
	v_mul_f64_e32 v[16:17], v[174:175], v[16:17]
	v_fma_f64 v[182:183], v[4:5], v[10:11], v[182:183]
	v_fma_f64 v[184:185], v[2:3], v[10:11], -v[12:13]
	ds_load_b128 v[2:5], v1 offset:1024
	scratch_load_b128 v[10:13], off, off offset:224
	v_add_f64_e32 v[176:177], v[176:177], v[38:39]
	v_add_f64_e32 v[178:179], v[178:179], v[40:41]
	ds_load_b128 v[38:41], v1 offset:1040
	v_fma_f64 v[174:175], v[174:175], v[14:15], v[180:181]
	v_fma_f64 v[172:173], v[172:173], v[14:15], -v[16:17]
	scratch_load_b128 v[14:17], off, off offset:240
	s_wait_loadcnt_dscnt 0xa01
	v_mul_f64_e32 v[186:187], v[2:3], v[20:21]
	v_mul_f64_e32 v[20:21], v[4:5], v[20:21]
	s_wait_loadcnt_dscnt 0x900
	v_mul_f64_e32 v[180:181], v[38:39], v[24:25]
	v_mul_f64_e32 v[24:25], v[40:41], v[24:25]
	v_add_f64_e32 v[176:177], v[176:177], v[184:185]
	v_add_f64_e32 v[178:179], v[178:179], v[182:183]
	v_fma_f64 v[182:183], v[4:5], v[18:19], v[186:187]
	v_fma_f64 v[184:185], v[2:3], v[18:19], -v[20:21]
	ds_load_b128 v[2:5], v1 offset:1056
	scratch_load_b128 v[18:21], off, off offset:256
	v_fma_f64 v[40:41], v[40:41], v[22:23], v[180:181]
	v_fma_f64 v[38:39], v[38:39], v[22:23], -v[24:25]
	scratch_load_b128 v[22:25], off, off offset:272
	v_add_f64_e32 v[176:177], v[176:177], v[172:173]
	v_add_f64_e32 v[178:179], v[178:179], v[174:175]
	ds_load_b128 v[172:175], v1 offset:1072
	s_wait_loadcnt_dscnt 0xa01
	v_mul_f64_e32 v[186:187], v[2:3], v[28:29]
	v_mul_f64_e32 v[28:29], v[4:5], v[28:29]
	s_wait_loadcnt_dscnt 0x900
	v_mul_f64_e32 v[180:181], v[172:173], v[32:33]
	v_mul_f64_e32 v[32:33], v[174:175], v[32:33]
	v_add_f64_e32 v[176:177], v[176:177], v[184:185]
	v_add_f64_e32 v[178:179], v[178:179], v[182:183]
	v_fma_f64 v[182:183], v[4:5], v[26:27], v[186:187]
	v_fma_f64 v[184:185], v[2:3], v[26:27], -v[28:29]
	ds_load_b128 v[2:5], v1 offset:1088
	scratch_load_b128 v[26:29], off, off offset:288
	v_fma_f64 v[174:175], v[174:175], v[30:31], v[180:181]
	v_fma_f64 v[172:173], v[172:173], v[30:31], -v[32:33]
	scratch_load_b128 v[30:33], off, off offset:304
	v_add_f64_e32 v[176:177], v[176:177], v[38:39]
	v_add_f64_e32 v[178:179], v[178:179], v[40:41]
	ds_load_b128 v[38:41], v1 offset:1104
	s_wait_loadcnt_dscnt 0xa01
	v_mul_f64_e32 v[186:187], v[2:3], v[36:37]
	v_mul_f64_e32 v[36:37], v[4:5], v[36:37]
	s_wait_loadcnt_dscnt 0x800
	v_mul_f64_e32 v[180:181], v[38:39], v[170:171]
	v_add_f64_e32 v[176:177], v[176:177], v[184:185]
	v_add_f64_e32 v[178:179], v[178:179], v[182:183]
	v_mul_f64_e32 v[182:183], v[40:41], v[170:171]
	v_fma_f64 v[184:185], v[4:5], v[34:35], v[186:187]
	v_fma_f64 v[186:187], v[2:3], v[34:35], -v[36:37]
	ds_load_b128 v[2:5], v1 offset:1120
	scratch_load_b128 v[34:37], off, off offset:320
	v_fma_f64 v[180:181], v[40:41], v[168:169], v[180:181]
	v_add_f64_e32 v[176:177], v[176:177], v[172:173]
	v_add_f64_e32 v[174:175], v[178:179], v[174:175]
	ds_load_b128 v[170:173], v1 offset:1136
	v_fma_f64 v[168:169], v[38:39], v[168:169], -v[182:183]
	scratch_load_b128 v[38:41], off, off offset:336
	s_wait_loadcnt_dscnt 0x901
	v_mul_f64_e32 v[178:179], v[2:3], v[44:45]
	v_mul_f64_e32 v[44:45], v[4:5], v[44:45]
	s_wait_loadcnt_dscnt 0x800
	v_mul_f64_e32 v[182:183], v[170:171], v[8:9]
	v_mul_f64_e32 v[8:9], v[172:173], v[8:9]
	v_add_f64_e32 v[176:177], v[176:177], v[186:187]
	v_add_f64_e32 v[174:175], v[174:175], v[184:185]
	v_fma_f64 v[178:179], v[4:5], v[42:43], v[178:179]
	v_fma_f64 v[184:185], v[2:3], v[42:43], -v[44:45]
	ds_load_b128 v[2:5], v1 offset:1152
	scratch_load_b128 v[42:45], off, off offset:352
	v_fma_f64 v[172:173], v[172:173], v[6:7], v[182:183]
	v_fma_f64 v[170:171], v[170:171], v[6:7], -v[8:9]
	scratch_load_b128 v[6:9], off, off offset:368
	v_add_f64_e32 v[168:169], v[176:177], v[168:169]
	v_add_f64_e32 v[180:181], v[174:175], v[180:181]
	ds_load_b128 v[174:177], v1 offset:1168
	s_wait_loadcnt_dscnt 0x901
	v_mul_f64_e32 v[186:187], v[2:3], v[12:13]
	v_mul_f64_e32 v[12:13], v[4:5], v[12:13]
	v_add_f64_e32 v[168:169], v[168:169], v[184:185]
	v_add_f64_e32 v[178:179], v[180:181], v[178:179]
	s_wait_loadcnt_dscnt 0x800
	v_mul_f64_e32 v[180:181], v[174:175], v[16:17]
	v_mul_f64_e32 v[16:17], v[176:177], v[16:17]
	v_fma_f64 v[182:183], v[4:5], v[10:11], v[186:187]
	v_fma_f64 v[184:185], v[2:3], v[10:11], -v[12:13]
	ds_load_b128 v[2:5], v1 offset:1184
	scratch_load_b128 v[10:13], off, off offset:384
	v_add_f64_e32 v[186:187], v[168:169], v[170:171]
	v_add_f64_e32 v[172:173], v[178:179], v[172:173]
	ds_load_b128 v[168:171], v1 offset:1200
	s_wait_loadcnt_dscnt 0x801
	v_mul_f64_e32 v[178:179], v[2:3], v[20:21]
	v_mul_f64_e32 v[20:21], v[4:5], v[20:21]
	v_fma_f64 v[176:177], v[176:177], v[14:15], v[180:181]
	v_fma_f64 v[174:175], v[174:175], v[14:15], -v[16:17]
	scratch_load_b128 v[14:17], off, off offset:400
	v_add_f64_e32 v[180:181], v[186:187], v[184:185]
	v_add_f64_e32 v[172:173], v[172:173], v[182:183]
	s_wait_loadcnt_dscnt 0x800
	v_mul_f64_e32 v[182:183], v[168:169], v[24:25]
	v_mul_f64_e32 v[24:25], v[170:171], v[24:25]
	v_fma_f64 v[178:179], v[4:5], v[18:19], v[178:179]
	v_fma_f64 v[184:185], v[2:3], v[18:19], -v[20:21]
	ds_load_b128 v[2:5], v1 offset:1216
	scratch_load_b128 v[18:21], off, off offset:416
	v_add_f64_e32 v[180:181], v[180:181], v[174:175]
	v_add_f64_e32 v[176:177], v[172:173], v[176:177]
	ds_load_b128 v[172:175], v1 offset:1232
	s_wait_loadcnt_dscnt 0x801
	v_mul_f64_e32 v[186:187], v[2:3], v[28:29]
	v_mul_f64_e32 v[28:29], v[4:5], v[28:29]
	v_fma_f64 v[170:171], v[170:171], v[22:23], v[182:183]
	v_fma_f64 v[168:169], v[168:169], v[22:23], -v[24:25]
	scratch_load_b128 v[22:25], off, off offset:432
	;; [unrolled: 18-line block ×4, first 2 shown]
	s_wait_loadcnt_dscnt 0x800
	v_mul_f64_e32 v[180:181], v[172:173], v[8:9]
	v_mul_f64_e32 v[8:9], v[174:175], v[8:9]
	v_add_f64_e32 v[178:179], v[178:179], v[184:185]
	v_add_f64_e32 v[176:177], v[176:177], v[182:183]
	v_fma_f64 v[182:183], v[4:5], v[42:43], v[186:187]
	v_fma_f64 v[184:185], v[2:3], v[42:43], -v[44:45]
	ds_load_b128 v[2:5], v1 offset:1312
	scratch_load_b128 v[42:45], off, off offset:512
	v_fma_f64 v[174:175], v[174:175], v[6:7], v[180:181]
	v_fma_f64 v[172:173], v[172:173], v[6:7], -v[8:9]
	scratch_load_b128 v[6:9], off, off offset:528
	v_add_f64_e32 v[178:179], v[178:179], v[168:169]
	v_add_f64_e32 v[176:177], v[176:177], v[170:171]
	ds_load_b128 v[168:171], v1 offset:1328
	s_wait_loadcnt_dscnt 0x901
	v_mul_f64_e32 v[186:187], v[2:3], v[12:13]
	v_mul_f64_e32 v[12:13], v[4:5], v[12:13]
	s_wait_loadcnt_dscnt 0x800
	v_mul_f64_e32 v[180:181], v[168:169], v[16:17]
	v_mul_f64_e32 v[16:17], v[170:171], v[16:17]
	v_add_f64_e32 v[178:179], v[178:179], v[184:185]
	v_add_f64_e32 v[176:177], v[176:177], v[182:183]
	v_fma_f64 v[182:183], v[4:5], v[10:11], v[186:187]
	v_fma_f64 v[184:185], v[2:3], v[10:11], -v[12:13]
	ds_load_b128 v[2:5], v1 offset:1344
	scratch_load_b128 v[10:13], off, off offset:544
	v_fma_f64 v[170:171], v[170:171], v[14:15], v[180:181]
	v_fma_f64 v[168:169], v[168:169], v[14:15], -v[16:17]
	scratch_load_b128 v[14:17], off, off offset:560
	v_add_f64_e32 v[178:179], v[178:179], v[172:173]
	v_add_f64_e32 v[176:177], v[176:177], v[174:175]
	ds_load_b128 v[172:175], v1 offset:1360
	s_wait_loadcnt_dscnt 0x901
	v_mul_f64_e32 v[186:187], v[2:3], v[20:21]
	v_mul_f64_e32 v[20:21], v[4:5], v[20:21]
	;; [unrolled: 18-line block ×14, first 2 shown]
	s_wait_loadcnt_dscnt 0x800
	v_mul_f64_e32 v[180:181], v[172:173], v[40:41]
	v_mul_f64_e32 v[40:41], v[174:175], v[40:41]
	v_add_f64_e32 v[178:179], v[178:179], v[184:185]
	v_add_f64_e32 v[176:177], v[176:177], v[182:183]
	v_fma_f64 v[182:183], v[4:5], v[34:35], v[186:187]
	v_fma_f64 v[184:185], v[2:3], v[34:35], -v[36:37]
	ds_load_b128 v[2:5], v1 offset:1760
	ds_load_b128 v[34:37], v1 offset:1776
	v_fma_f64 v[174:175], v[174:175], v[38:39], v[180:181]
	v_fma_f64 v[38:39], v[172:173], v[38:39], -v[40:41]
	v_add_f64_e32 v[168:169], v[178:179], v[168:169]
	v_add_f64_e32 v[170:171], v[176:177], v[170:171]
	s_wait_loadcnt_dscnt 0x701
	v_mul_f64_e32 v[176:177], v[2:3], v[44:45]
	v_mul_f64_e32 v[44:45], v[4:5], v[44:45]
	s_delay_alu instid0(VALU_DEP_4) | instskip(NEXT) | instid1(VALU_DEP_4)
	v_add_f64_e32 v[40:41], v[168:169], v[184:185]
	v_add_f64_e32 v[168:169], v[170:171], v[182:183]
	s_wait_loadcnt_dscnt 0x600
	v_mul_f64_e32 v[170:171], v[34:35], v[8:9]
	v_mul_f64_e32 v[8:9], v[36:37], v[8:9]
	v_fma_f64 v[172:173], v[4:5], v[42:43], v[176:177]
	v_fma_f64 v[42:43], v[2:3], v[42:43], -v[44:45]
	v_add_f64_e32 v[44:45], v[40:41], v[38:39]
	v_add_f64_e32 v[168:169], v[168:169], v[174:175]
	ds_load_b128 v[2:5], v1 offset:1792
	ds_load_b128 v[38:41], v1 offset:1808
	v_fma_f64 v[36:37], v[36:37], v[6:7], v[170:171]
	v_fma_f64 v[6:7], v[34:35], v[6:7], -v[8:9]
	s_wait_loadcnt_dscnt 0x501
	v_mul_f64_e32 v[174:175], v[2:3], v[12:13]
	v_mul_f64_e32 v[12:13], v[4:5], v[12:13]
	v_add_f64_e32 v[8:9], v[44:45], v[42:43]
	v_add_f64_e32 v[34:35], v[168:169], v[172:173]
	s_wait_loadcnt_dscnt 0x400
	v_mul_f64_e32 v[42:43], v[38:39], v[16:17]
	v_mul_f64_e32 v[16:17], v[40:41], v[16:17]
	v_fma_f64 v[44:45], v[4:5], v[10:11], v[174:175]
	v_fma_f64 v[10:11], v[2:3], v[10:11], -v[12:13]
	v_add_f64_e32 v[12:13], v[8:9], v[6:7]
	v_add_f64_e32 v[34:35], v[34:35], v[36:37]
	ds_load_b128 v[2:5], v1 offset:1824
	ds_load_b128 v[6:9], v1 offset:1840
	v_fma_f64 v[40:41], v[40:41], v[14:15], v[42:43]
	v_fma_f64 v[14:15], v[38:39], v[14:15], -v[16:17]
	s_wait_loadcnt_dscnt 0x301
	v_mul_f64_e32 v[36:37], v[2:3], v[20:21]
	v_mul_f64_e32 v[20:21], v[4:5], v[20:21]
	s_wait_loadcnt_dscnt 0x200
	v_mul_f64_e32 v[16:17], v[6:7], v[24:25]
	v_mul_f64_e32 v[24:25], v[8:9], v[24:25]
	v_add_f64_e32 v[10:11], v[12:13], v[10:11]
	v_add_f64_e32 v[12:13], v[34:35], v[44:45]
	v_fma_f64 v[34:35], v[4:5], v[18:19], v[36:37]
	v_fma_f64 v[18:19], v[2:3], v[18:19], -v[20:21]
	v_fma_f64 v[8:9], v[8:9], v[22:23], v[16:17]
	v_fma_f64 v[6:7], v[6:7], v[22:23], -v[24:25]
	v_add_f64_e32 v[14:15], v[10:11], v[14:15]
	v_add_f64_e32 v[20:21], v[12:13], v[40:41]
	ds_load_b128 v[2:5], v1 offset:1856
	ds_load_b128 v[10:13], v1 offset:1872
	s_wait_loadcnt_dscnt 0x101
	v_mul_f64_e32 v[0:1], v[2:3], v[28:29]
	v_mul_f64_e32 v[28:29], v[4:5], v[28:29]
	v_add_f64_e32 v[14:15], v[14:15], v[18:19]
	v_add_f64_e32 v[16:17], v[20:21], v[34:35]
	s_wait_loadcnt_dscnt 0x0
	v_mul_f64_e32 v[18:19], v[10:11], v[32:33]
	v_mul_f64_e32 v[20:21], v[12:13], v[32:33]
	v_fma_f64 v[0:1], v[4:5], v[26:27], v[0:1]
	v_fma_f64 v[2:3], v[2:3], v[26:27], -v[28:29]
	v_add_f64_e32 v[4:5], v[14:15], v[6:7]
	v_add_f64_e32 v[6:7], v[16:17], v[8:9]
	v_fma_f64 v[8:9], v[12:13], v[30:31], v[18:19]
	v_fma_f64 v[10:11], v[10:11], v[30:31], -v[20:21]
	s_delay_alu instid0(VALU_DEP_4) | instskip(NEXT) | instid1(VALU_DEP_4)
	v_add_f64_e32 v[2:3], v[4:5], v[2:3]
	v_add_f64_e32 v[0:1], v[6:7], v[0:1]
	s_delay_alu instid0(VALU_DEP_2) | instskip(NEXT) | instid1(VALU_DEP_2)
	v_add_f64_e32 v[2:3], v[2:3], v[10:11]
	v_add_f64_e32 v[4:5], v[0:1], v[8:9]
	s_delay_alu instid0(VALU_DEP_2) | instskip(NEXT) | instid1(VALU_DEP_2)
	v_add_f64_e64 v[0:1], v[164:165], -v[2:3]
	v_add_f64_e64 v[2:3], v[166:167], -v[4:5]
	scratch_store_b128 off, v[0:3], off offset:16
	s_wait_alu 0xfffe
	s_cbranch_vccz .LBB122_484
; %bb.368:
	v_mov_b32_e32 v0, 0
	global_load_b32 v1, v0, s[2:3] offset:228
	s_wait_loadcnt 0x0
	v_cmp_ne_u32_e32 vcc_lo, 58, v1
	s_cbranch_vccz .LBB122_370
; %bb.369:
	v_lshlrev_b32_e32 v1, 4, v1
	s_delay_alu instid0(VALU_DEP_1)
	v_add_nc_u32_e32 v9, 16, v1
	s_clause 0x1
	scratch_load_b128 v[1:4], v9, off offset:-16
	scratch_load_b128 v[5:8], off, s11
	s_wait_loadcnt 0x1
	scratch_store_b128 off, v[1:4], s11
	s_wait_loadcnt 0x0
	scratch_store_b128 v9, v[5:8], off offset:-16
.LBB122_370:
	global_load_b32 v0, v0, s[2:3] offset:224
	s_wait_loadcnt 0x0
	v_cmp_eq_u32_e32 vcc_lo, 57, v0
	s_cbranch_vccnz .LBB122_372
; %bb.371:
	v_lshlrev_b32_e32 v0, 4, v0
	s_delay_alu instid0(VALU_DEP_1)
	v_add_nc_u32_e32 v8, 16, v0
	s_clause 0x1
	scratch_load_b128 v[0:3], v8, off offset:-16
	scratch_load_b128 v[4:7], off, s14
	s_wait_loadcnt 0x1
	scratch_store_b128 off, v[0:3], s14
	s_wait_loadcnt 0x0
	scratch_store_b128 v8, v[4:7], off offset:-16
.LBB122_372:
	v_mov_b32_e32 v0, 0
	global_load_b32 v1, v0, s[2:3] offset:220
	s_wait_loadcnt 0x0
	v_cmp_eq_u32_e32 vcc_lo, 56, v1
	s_cbranch_vccnz .LBB122_374
; %bb.373:
	v_lshlrev_b32_e32 v1, 4, v1
	s_delay_alu instid0(VALU_DEP_1)
	v_add_nc_u32_e32 v9, 16, v1
	s_clause 0x1
	scratch_load_b128 v[1:4], v9, off offset:-16
	scratch_load_b128 v[5:8], off, s16
	s_wait_loadcnt 0x1
	scratch_store_b128 off, v[1:4], s16
	s_wait_loadcnt 0x0
	scratch_store_b128 v9, v[5:8], off offset:-16
.LBB122_374:
	global_load_b32 v0, v0, s[2:3] offset:216
	s_wait_loadcnt 0x0
	v_cmp_eq_u32_e32 vcc_lo, 55, v0
	s_cbranch_vccnz .LBB122_376
; %bb.375:
	v_lshlrev_b32_e32 v0, 4, v0
	s_delay_alu instid0(VALU_DEP_1)
	v_add_nc_u32_e32 v8, 16, v0
	s_clause 0x1
	scratch_load_b128 v[0:3], v8, off offset:-16
	scratch_load_b128 v[4:7], off, s17
	s_wait_loadcnt 0x1
	scratch_store_b128 off, v[0:3], s17
	s_wait_loadcnt 0x0
	scratch_store_b128 v8, v[4:7], off offset:-16
.LBB122_376:
	v_mov_b32_e32 v0, 0
	global_load_b32 v1, v0, s[2:3] offset:212
	s_wait_loadcnt 0x0
	v_cmp_eq_u32_e32 vcc_lo, 54, v1
	s_cbranch_vccnz .LBB122_378
; %bb.377:
	v_lshlrev_b32_e32 v1, 4, v1
	s_delay_alu instid0(VALU_DEP_1)
	v_add_nc_u32_e32 v9, 16, v1
	s_clause 0x1
	scratch_load_b128 v[1:4], v9, off offset:-16
	scratch_load_b128 v[5:8], off, s18
	s_wait_loadcnt 0x1
	scratch_store_b128 off, v[1:4], s18
	s_wait_loadcnt 0x0
	scratch_store_b128 v9, v[5:8], off offset:-16
.LBB122_378:
	global_load_b32 v0, v0, s[2:3] offset:208
	s_wait_loadcnt 0x0
	v_cmp_eq_u32_e32 vcc_lo, 53, v0
	s_cbranch_vccnz .LBB122_380
; %bb.379:
	v_lshlrev_b32_e32 v0, 4, v0
	s_delay_alu instid0(VALU_DEP_1)
	v_add_nc_u32_e32 v8, 16, v0
	s_clause 0x1
	scratch_load_b128 v[0:3], v8, off offset:-16
	scratch_load_b128 v[4:7], off, s19
	s_wait_loadcnt 0x1
	scratch_store_b128 off, v[0:3], s19
	s_wait_loadcnt 0x0
	scratch_store_b128 v8, v[4:7], off offset:-16
.LBB122_380:
	v_mov_b32_e32 v0, 0
	global_load_b32 v1, v0, s[2:3] offset:204
	s_wait_loadcnt 0x0
	v_cmp_eq_u32_e32 vcc_lo, 52, v1
	s_cbranch_vccnz .LBB122_382
; %bb.381:
	v_lshlrev_b32_e32 v1, 4, v1
	s_delay_alu instid0(VALU_DEP_1)
	v_add_nc_u32_e32 v9, 16, v1
	s_clause 0x1
	scratch_load_b128 v[1:4], v9, off offset:-16
	scratch_load_b128 v[5:8], off, s20
	s_wait_loadcnt 0x1
	scratch_store_b128 off, v[1:4], s20
	s_wait_loadcnt 0x0
	scratch_store_b128 v9, v[5:8], off offset:-16
.LBB122_382:
	global_load_b32 v0, v0, s[2:3] offset:200
	s_wait_loadcnt 0x0
	v_cmp_eq_u32_e32 vcc_lo, 51, v0
	s_cbranch_vccnz .LBB122_384
; %bb.383:
	v_lshlrev_b32_e32 v0, 4, v0
	s_delay_alu instid0(VALU_DEP_1)
	v_add_nc_u32_e32 v8, 16, v0
	s_clause 0x1
	scratch_load_b128 v[0:3], v8, off offset:-16
	scratch_load_b128 v[4:7], off, s21
	s_wait_loadcnt 0x1
	scratch_store_b128 off, v[0:3], s21
	s_wait_loadcnt 0x0
	scratch_store_b128 v8, v[4:7], off offset:-16
.LBB122_384:
	v_mov_b32_e32 v0, 0
	global_load_b32 v1, v0, s[2:3] offset:196
	s_wait_loadcnt 0x0
	v_cmp_eq_u32_e32 vcc_lo, 50, v1
	s_cbranch_vccnz .LBB122_386
; %bb.385:
	v_lshlrev_b32_e32 v1, 4, v1
	s_delay_alu instid0(VALU_DEP_1)
	v_add_nc_u32_e32 v9, 16, v1
	s_clause 0x1
	scratch_load_b128 v[1:4], v9, off offset:-16
	scratch_load_b128 v[5:8], off, s22
	s_wait_loadcnt 0x1
	scratch_store_b128 off, v[1:4], s22
	s_wait_loadcnt 0x0
	scratch_store_b128 v9, v[5:8], off offset:-16
.LBB122_386:
	global_load_b32 v0, v0, s[2:3] offset:192
	s_wait_loadcnt 0x0
	v_cmp_eq_u32_e32 vcc_lo, 49, v0
	s_cbranch_vccnz .LBB122_388
; %bb.387:
	v_lshlrev_b32_e32 v0, 4, v0
	s_delay_alu instid0(VALU_DEP_1)
	v_add_nc_u32_e32 v8, 16, v0
	s_clause 0x1
	scratch_load_b128 v[0:3], v8, off offset:-16
	scratch_load_b128 v[4:7], off, s23
	s_wait_loadcnt 0x1
	scratch_store_b128 off, v[0:3], s23
	s_wait_loadcnt 0x0
	scratch_store_b128 v8, v[4:7], off offset:-16
.LBB122_388:
	v_mov_b32_e32 v0, 0
	global_load_b32 v1, v0, s[2:3] offset:188
	s_wait_loadcnt 0x0
	v_cmp_eq_u32_e32 vcc_lo, 48, v1
	s_cbranch_vccnz .LBB122_390
; %bb.389:
	v_lshlrev_b32_e32 v1, 4, v1
	s_delay_alu instid0(VALU_DEP_1)
	v_add_nc_u32_e32 v9, 16, v1
	s_clause 0x1
	scratch_load_b128 v[1:4], v9, off offset:-16
	scratch_load_b128 v[5:8], off, s24
	s_wait_loadcnt 0x1
	scratch_store_b128 off, v[1:4], s24
	s_wait_loadcnt 0x0
	scratch_store_b128 v9, v[5:8], off offset:-16
.LBB122_390:
	global_load_b32 v0, v0, s[2:3] offset:184
	s_wait_loadcnt 0x0
	v_cmp_eq_u32_e32 vcc_lo, 47, v0
	s_cbranch_vccnz .LBB122_392
; %bb.391:
	v_lshlrev_b32_e32 v0, 4, v0
	s_delay_alu instid0(VALU_DEP_1)
	v_add_nc_u32_e32 v8, 16, v0
	s_clause 0x1
	scratch_load_b128 v[0:3], v8, off offset:-16
	scratch_load_b128 v[4:7], off, s25
	s_wait_loadcnt 0x1
	scratch_store_b128 off, v[0:3], s25
	s_wait_loadcnt 0x0
	scratch_store_b128 v8, v[4:7], off offset:-16
.LBB122_392:
	v_mov_b32_e32 v0, 0
	global_load_b32 v1, v0, s[2:3] offset:180
	s_wait_loadcnt 0x0
	v_cmp_eq_u32_e32 vcc_lo, 46, v1
	s_cbranch_vccnz .LBB122_394
; %bb.393:
	v_lshlrev_b32_e32 v1, 4, v1
	s_delay_alu instid0(VALU_DEP_1)
	v_add_nc_u32_e32 v9, 16, v1
	s_clause 0x1
	scratch_load_b128 v[1:4], v9, off offset:-16
	scratch_load_b128 v[5:8], off, s26
	s_wait_loadcnt 0x1
	scratch_store_b128 off, v[1:4], s26
	s_wait_loadcnt 0x0
	scratch_store_b128 v9, v[5:8], off offset:-16
.LBB122_394:
	global_load_b32 v0, v0, s[2:3] offset:176
	s_wait_loadcnt 0x0
	v_cmp_eq_u32_e32 vcc_lo, 45, v0
	s_cbranch_vccnz .LBB122_396
; %bb.395:
	v_lshlrev_b32_e32 v0, 4, v0
	s_delay_alu instid0(VALU_DEP_1)
	v_add_nc_u32_e32 v8, 16, v0
	s_clause 0x1
	scratch_load_b128 v[0:3], v8, off offset:-16
	scratch_load_b128 v[4:7], off, s27
	s_wait_loadcnt 0x1
	scratch_store_b128 off, v[0:3], s27
	s_wait_loadcnt 0x0
	scratch_store_b128 v8, v[4:7], off offset:-16
.LBB122_396:
	v_mov_b32_e32 v0, 0
	global_load_b32 v1, v0, s[2:3] offset:172
	s_wait_loadcnt 0x0
	v_cmp_eq_u32_e32 vcc_lo, 44, v1
	s_cbranch_vccnz .LBB122_398
; %bb.397:
	v_lshlrev_b32_e32 v1, 4, v1
	s_delay_alu instid0(VALU_DEP_1)
	v_add_nc_u32_e32 v9, 16, v1
	s_clause 0x1
	scratch_load_b128 v[1:4], v9, off offset:-16
	scratch_load_b128 v[5:8], off, s28
	s_wait_loadcnt 0x1
	scratch_store_b128 off, v[1:4], s28
	s_wait_loadcnt 0x0
	scratch_store_b128 v9, v[5:8], off offset:-16
.LBB122_398:
	global_load_b32 v0, v0, s[2:3] offset:168
	s_wait_loadcnt 0x0
	v_cmp_eq_u32_e32 vcc_lo, 43, v0
	s_cbranch_vccnz .LBB122_400
; %bb.399:
	v_lshlrev_b32_e32 v0, 4, v0
	s_delay_alu instid0(VALU_DEP_1)
	v_add_nc_u32_e32 v8, 16, v0
	s_clause 0x1
	scratch_load_b128 v[0:3], v8, off offset:-16
	scratch_load_b128 v[4:7], off, s29
	s_wait_loadcnt 0x1
	scratch_store_b128 off, v[0:3], s29
	s_wait_loadcnt 0x0
	scratch_store_b128 v8, v[4:7], off offset:-16
.LBB122_400:
	v_mov_b32_e32 v0, 0
	global_load_b32 v1, v0, s[2:3] offset:164
	s_wait_loadcnt 0x0
	v_cmp_eq_u32_e32 vcc_lo, 42, v1
	s_cbranch_vccnz .LBB122_402
; %bb.401:
	v_lshlrev_b32_e32 v1, 4, v1
	s_delay_alu instid0(VALU_DEP_1)
	v_add_nc_u32_e32 v9, 16, v1
	s_clause 0x1
	scratch_load_b128 v[1:4], v9, off offset:-16
	scratch_load_b128 v[5:8], off, s30
	s_wait_loadcnt 0x1
	scratch_store_b128 off, v[1:4], s30
	s_wait_loadcnt 0x0
	scratch_store_b128 v9, v[5:8], off offset:-16
.LBB122_402:
	global_load_b32 v0, v0, s[2:3] offset:160
	s_wait_loadcnt 0x0
	v_cmp_eq_u32_e32 vcc_lo, 41, v0
	s_cbranch_vccnz .LBB122_404
; %bb.403:
	v_lshlrev_b32_e32 v0, 4, v0
	s_delay_alu instid0(VALU_DEP_1)
	v_add_nc_u32_e32 v8, 16, v0
	s_clause 0x1
	scratch_load_b128 v[0:3], v8, off offset:-16
	scratch_load_b128 v[4:7], off, s31
	s_wait_loadcnt 0x1
	scratch_store_b128 off, v[0:3], s31
	s_wait_loadcnt 0x0
	scratch_store_b128 v8, v[4:7], off offset:-16
.LBB122_404:
	v_mov_b32_e32 v0, 0
	global_load_b32 v1, v0, s[2:3] offset:156
	s_wait_loadcnt 0x0
	v_cmp_eq_u32_e32 vcc_lo, 40, v1
	s_cbranch_vccnz .LBB122_406
; %bb.405:
	v_lshlrev_b32_e32 v1, 4, v1
	s_delay_alu instid0(VALU_DEP_1)
	v_add_nc_u32_e32 v9, 16, v1
	s_clause 0x1
	scratch_load_b128 v[1:4], v9, off offset:-16
	scratch_load_b128 v[5:8], off, s33
	s_wait_loadcnt 0x1
	scratch_store_b128 off, v[1:4], s33
	s_wait_loadcnt 0x0
	scratch_store_b128 v9, v[5:8], off offset:-16
.LBB122_406:
	global_load_b32 v0, v0, s[2:3] offset:152
	s_wait_loadcnt 0x0
	v_cmp_eq_u32_e32 vcc_lo, 39, v0
	s_cbranch_vccnz .LBB122_408
; %bb.407:
	v_lshlrev_b32_e32 v0, 4, v0
	s_delay_alu instid0(VALU_DEP_1)
	v_add_nc_u32_e32 v8, 16, v0
	s_clause 0x1
	scratch_load_b128 v[0:3], v8, off offset:-16
	scratch_load_b128 v[4:7], off, s34
	s_wait_loadcnt 0x1
	scratch_store_b128 off, v[0:3], s34
	s_wait_loadcnt 0x0
	scratch_store_b128 v8, v[4:7], off offset:-16
.LBB122_408:
	v_mov_b32_e32 v0, 0
	global_load_b32 v1, v0, s[2:3] offset:148
	s_wait_loadcnt 0x0
	v_cmp_eq_u32_e32 vcc_lo, 38, v1
	s_cbranch_vccnz .LBB122_410
; %bb.409:
	v_lshlrev_b32_e32 v1, 4, v1
	s_delay_alu instid0(VALU_DEP_1)
	v_add_nc_u32_e32 v9, 16, v1
	s_clause 0x1
	scratch_load_b128 v[1:4], v9, off offset:-16
	scratch_load_b128 v[5:8], off, s35
	s_wait_loadcnt 0x1
	scratch_store_b128 off, v[1:4], s35
	s_wait_loadcnt 0x0
	scratch_store_b128 v9, v[5:8], off offset:-16
.LBB122_410:
	global_load_b32 v0, v0, s[2:3] offset:144
	s_wait_loadcnt 0x0
	v_cmp_eq_u32_e32 vcc_lo, 37, v0
	s_cbranch_vccnz .LBB122_412
; %bb.411:
	v_lshlrev_b32_e32 v0, 4, v0
	s_delay_alu instid0(VALU_DEP_1)
	v_add_nc_u32_e32 v8, 16, v0
	s_clause 0x1
	scratch_load_b128 v[0:3], v8, off offset:-16
	scratch_load_b128 v[4:7], off, s36
	s_wait_loadcnt 0x1
	scratch_store_b128 off, v[0:3], s36
	s_wait_loadcnt 0x0
	scratch_store_b128 v8, v[4:7], off offset:-16
.LBB122_412:
	v_mov_b32_e32 v0, 0
	global_load_b32 v1, v0, s[2:3] offset:140
	s_wait_loadcnt 0x0
	v_cmp_eq_u32_e32 vcc_lo, 36, v1
	s_cbranch_vccnz .LBB122_414
; %bb.413:
	v_lshlrev_b32_e32 v1, 4, v1
	s_delay_alu instid0(VALU_DEP_1)
	v_add_nc_u32_e32 v9, 16, v1
	s_clause 0x1
	scratch_load_b128 v[1:4], v9, off offset:-16
	scratch_load_b128 v[5:8], off, s37
	s_wait_loadcnt 0x1
	scratch_store_b128 off, v[1:4], s37
	s_wait_loadcnt 0x0
	scratch_store_b128 v9, v[5:8], off offset:-16
.LBB122_414:
	global_load_b32 v0, v0, s[2:3] offset:136
	s_wait_loadcnt 0x0
	v_cmp_eq_u32_e32 vcc_lo, 35, v0
	s_cbranch_vccnz .LBB122_416
; %bb.415:
	v_lshlrev_b32_e32 v0, 4, v0
	s_delay_alu instid0(VALU_DEP_1)
	v_add_nc_u32_e32 v8, 16, v0
	s_clause 0x1
	scratch_load_b128 v[0:3], v8, off offset:-16
	scratch_load_b128 v[4:7], off, s38
	s_wait_loadcnt 0x1
	scratch_store_b128 off, v[0:3], s38
	s_wait_loadcnt 0x0
	scratch_store_b128 v8, v[4:7], off offset:-16
.LBB122_416:
	v_mov_b32_e32 v0, 0
	global_load_b32 v1, v0, s[2:3] offset:132
	s_wait_loadcnt 0x0
	v_cmp_eq_u32_e32 vcc_lo, 34, v1
	s_cbranch_vccnz .LBB122_418
; %bb.417:
	v_lshlrev_b32_e32 v1, 4, v1
	s_delay_alu instid0(VALU_DEP_1)
	v_add_nc_u32_e32 v9, 16, v1
	s_clause 0x1
	scratch_load_b128 v[1:4], v9, off offset:-16
	scratch_load_b128 v[5:8], off, s39
	s_wait_loadcnt 0x1
	scratch_store_b128 off, v[1:4], s39
	s_wait_loadcnt 0x0
	scratch_store_b128 v9, v[5:8], off offset:-16
.LBB122_418:
	global_load_b32 v0, v0, s[2:3] offset:128
	s_wait_loadcnt 0x0
	v_cmp_eq_u32_e32 vcc_lo, 33, v0
	s_cbranch_vccnz .LBB122_420
; %bb.419:
	v_lshlrev_b32_e32 v0, 4, v0
	s_delay_alu instid0(VALU_DEP_1)
	v_add_nc_u32_e32 v8, 16, v0
	s_clause 0x1
	scratch_load_b128 v[0:3], v8, off offset:-16
	scratch_load_b128 v[4:7], off, s40
	s_wait_loadcnt 0x1
	scratch_store_b128 off, v[0:3], s40
	s_wait_loadcnt 0x0
	scratch_store_b128 v8, v[4:7], off offset:-16
.LBB122_420:
	v_mov_b32_e32 v0, 0
	global_load_b32 v1, v0, s[2:3] offset:124
	s_wait_loadcnt 0x0
	v_cmp_eq_u32_e32 vcc_lo, 32, v1
	s_cbranch_vccnz .LBB122_422
; %bb.421:
	v_lshlrev_b32_e32 v1, 4, v1
	s_delay_alu instid0(VALU_DEP_1)
	v_add_nc_u32_e32 v9, 16, v1
	s_clause 0x1
	scratch_load_b128 v[1:4], v9, off offset:-16
	scratch_load_b128 v[5:8], off, s41
	s_wait_loadcnt 0x1
	scratch_store_b128 off, v[1:4], s41
	s_wait_loadcnt 0x0
	scratch_store_b128 v9, v[5:8], off offset:-16
.LBB122_422:
	global_load_b32 v0, v0, s[2:3] offset:120
	s_wait_loadcnt 0x0
	v_cmp_eq_u32_e32 vcc_lo, 31, v0
	s_cbranch_vccnz .LBB122_424
; %bb.423:
	v_lshlrev_b32_e32 v0, 4, v0
	s_delay_alu instid0(VALU_DEP_1)
	v_add_nc_u32_e32 v8, 16, v0
	s_clause 0x1
	scratch_load_b128 v[0:3], v8, off offset:-16
	scratch_load_b128 v[4:7], off, s42
	s_wait_loadcnt 0x1
	scratch_store_b128 off, v[0:3], s42
	s_wait_loadcnt 0x0
	scratch_store_b128 v8, v[4:7], off offset:-16
.LBB122_424:
	v_mov_b32_e32 v0, 0
	global_load_b32 v1, v0, s[2:3] offset:116
	s_wait_loadcnt 0x0
	v_cmp_eq_u32_e32 vcc_lo, 30, v1
	s_cbranch_vccnz .LBB122_426
; %bb.425:
	v_lshlrev_b32_e32 v1, 4, v1
	s_delay_alu instid0(VALU_DEP_1)
	v_add_nc_u32_e32 v9, 16, v1
	s_clause 0x1
	scratch_load_b128 v[1:4], v9, off offset:-16
	scratch_load_b128 v[5:8], off, s43
	s_wait_loadcnt 0x1
	scratch_store_b128 off, v[1:4], s43
	s_wait_loadcnt 0x0
	scratch_store_b128 v9, v[5:8], off offset:-16
.LBB122_426:
	global_load_b32 v0, v0, s[2:3] offset:112
	s_wait_loadcnt 0x0
	v_cmp_eq_u32_e32 vcc_lo, 29, v0
	s_cbranch_vccnz .LBB122_428
; %bb.427:
	v_lshlrev_b32_e32 v0, 4, v0
	s_delay_alu instid0(VALU_DEP_1)
	v_add_nc_u32_e32 v8, 16, v0
	s_clause 0x1
	scratch_load_b128 v[0:3], v8, off offset:-16
	scratch_load_b128 v[4:7], off, s44
	s_wait_loadcnt 0x1
	scratch_store_b128 off, v[0:3], s44
	s_wait_loadcnt 0x0
	scratch_store_b128 v8, v[4:7], off offset:-16
.LBB122_428:
	v_mov_b32_e32 v0, 0
	global_load_b32 v1, v0, s[2:3] offset:108
	s_wait_loadcnt 0x0
	v_cmp_eq_u32_e32 vcc_lo, 28, v1
	s_cbranch_vccnz .LBB122_430
; %bb.429:
	v_lshlrev_b32_e32 v1, 4, v1
	s_delay_alu instid0(VALU_DEP_1)
	v_add_nc_u32_e32 v9, 16, v1
	s_clause 0x1
	scratch_load_b128 v[1:4], v9, off offset:-16
	scratch_load_b128 v[5:8], off, s45
	s_wait_loadcnt 0x1
	scratch_store_b128 off, v[1:4], s45
	s_wait_loadcnt 0x0
	scratch_store_b128 v9, v[5:8], off offset:-16
.LBB122_430:
	global_load_b32 v0, v0, s[2:3] offset:104
	s_wait_loadcnt 0x0
	v_cmp_eq_u32_e32 vcc_lo, 27, v0
	s_cbranch_vccnz .LBB122_432
; %bb.431:
	v_lshlrev_b32_e32 v0, 4, v0
	s_delay_alu instid0(VALU_DEP_1)
	v_add_nc_u32_e32 v8, 16, v0
	s_clause 0x1
	scratch_load_b128 v[0:3], v8, off offset:-16
	scratch_load_b128 v[4:7], off, s46
	s_wait_loadcnt 0x1
	scratch_store_b128 off, v[0:3], s46
	s_wait_loadcnt 0x0
	scratch_store_b128 v8, v[4:7], off offset:-16
.LBB122_432:
	v_mov_b32_e32 v0, 0
	global_load_b32 v1, v0, s[2:3] offset:100
	s_wait_loadcnt 0x0
	v_cmp_eq_u32_e32 vcc_lo, 26, v1
	s_cbranch_vccnz .LBB122_434
; %bb.433:
	v_lshlrev_b32_e32 v1, 4, v1
	s_delay_alu instid0(VALU_DEP_1)
	v_add_nc_u32_e32 v9, 16, v1
	s_clause 0x1
	scratch_load_b128 v[1:4], v9, off offset:-16
	scratch_load_b128 v[5:8], off, s47
	s_wait_loadcnt 0x1
	scratch_store_b128 off, v[1:4], s47
	s_wait_loadcnt 0x0
	scratch_store_b128 v9, v[5:8], off offset:-16
.LBB122_434:
	global_load_b32 v0, v0, s[2:3] offset:96
	s_wait_loadcnt 0x0
	v_cmp_eq_u32_e32 vcc_lo, 25, v0
	s_cbranch_vccnz .LBB122_436
; %bb.435:
	v_lshlrev_b32_e32 v0, 4, v0
	s_delay_alu instid0(VALU_DEP_1)
	v_add_nc_u32_e32 v8, 16, v0
	s_clause 0x1
	scratch_load_b128 v[0:3], v8, off offset:-16
	scratch_load_b128 v[4:7], off, s48
	s_wait_loadcnt 0x1
	scratch_store_b128 off, v[0:3], s48
	s_wait_loadcnt 0x0
	scratch_store_b128 v8, v[4:7], off offset:-16
.LBB122_436:
	v_mov_b32_e32 v0, 0
	global_load_b32 v1, v0, s[2:3] offset:92
	s_wait_loadcnt 0x0
	v_cmp_eq_u32_e32 vcc_lo, 24, v1
	s_cbranch_vccnz .LBB122_438
; %bb.437:
	v_lshlrev_b32_e32 v1, 4, v1
	s_delay_alu instid0(VALU_DEP_1)
	v_add_nc_u32_e32 v9, 16, v1
	s_clause 0x1
	scratch_load_b128 v[1:4], v9, off offset:-16
	scratch_load_b128 v[5:8], off, s49
	s_wait_loadcnt 0x1
	scratch_store_b128 off, v[1:4], s49
	s_wait_loadcnt 0x0
	scratch_store_b128 v9, v[5:8], off offset:-16
.LBB122_438:
	global_load_b32 v0, v0, s[2:3] offset:88
	s_wait_loadcnt 0x0
	v_cmp_eq_u32_e32 vcc_lo, 23, v0
	s_cbranch_vccnz .LBB122_440
; %bb.439:
	v_lshlrev_b32_e32 v0, 4, v0
	s_delay_alu instid0(VALU_DEP_1)
	v_add_nc_u32_e32 v8, 16, v0
	s_clause 0x1
	scratch_load_b128 v[0:3], v8, off offset:-16
	scratch_load_b128 v[4:7], off, s50
	s_wait_loadcnt 0x1
	scratch_store_b128 off, v[0:3], s50
	s_wait_loadcnt 0x0
	scratch_store_b128 v8, v[4:7], off offset:-16
.LBB122_440:
	v_mov_b32_e32 v0, 0
	global_load_b32 v1, v0, s[2:3] offset:84
	s_wait_loadcnt 0x0
	v_cmp_eq_u32_e32 vcc_lo, 22, v1
	s_cbranch_vccnz .LBB122_442
; %bb.441:
	v_lshlrev_b32_e32 v1, 4, v1
	s_delay_alu instid0(VALU_DEP_1)
	v_add_nc_u32_e32 v9, 16, v1
	s_clause 0x1
	scratch_load_b128 v[1:4], v9, off offset:-16
	scratch_load_b128 v[5:8], off, s51
	s_wait_loadcnt 0x1
	scratch_store_b128 off, v[1:4], s51
	s_wait_loadcnt 0x0
	scratch_store_b128 v9, v[5:8], off offset:-16
.LBB122_442:
	global_load_b32 v0, v0, s[2:3] offset:80
	s_wait_loadcnt 0x0
	v_cmp_eq_u32_e32 vcc_lo, 21, v0
	s_cbranch_vccnz .LBB122_444
; %bb.443:
	v_lshlrev_b32_e32 v0, 4, v0
	s_delay_alu instid0(VALU_DEP_1)
	v_add_nc_u32_e32 v8, 16, v0
	s_clause 0x1
	scratch_load_b128 v[0:3], v8, off offset:-16
	scratch_load_b128 v[4:7], off, s52
	s_wait_loadcnt 0x1
	scratch_store_b128 off, v[0:3], s52
	s_wait_loadcnt 0x0
	scratch_store_b128 v8, v[4:7], off offset:-16
.LBB122_444:
	v_mov_b32_e32 v0, 0
	global_load_b32 v1, v0, s[2:3] offset:76
	s_wait_loadcnt 0x0
	v_cmp_eq_u32_e32 vcc_lo, 20, v1
	s_cbranch_vccnz .LBB122_446
; %bb.445:
	v_lshlrev_b32_e32 v1, 4, v1
	s_delay_alu instid0(VALU_DEP_1)
	v_add_nc_u32_e32 v9, 16, v1
	s_clause 0x1
	scratch_load_b128 v[1:4], v9, off offset:-16
	scratch_load_b128 v[5:8], off, s53
	s_wait_loadcnt 0x1
	scratch_store_b128 off, v[1:4], s53
	s_wait_loadcnt 0x0
	scratch_store_b128 v9, v[5:8], off offset:-16
.LBB122_446:
	global_load_b32 v0, v0, s[2:3] offset:72
	s_wait_loadcnt 0x0
	v_cmp_eq_u32_e32 vcc_lo, 19, v0
	s_cbranch_vccnz .LBB122_448
; %bb.447:
	v_lshlrev_b32_e32 v0, 4, v0
	s_delay_alu instid0(VALU_DEP_1)
	v_add_nc_u32_e32 v8, 16, v0
	s_clause 0x1
	scratch_load_b128 v[0:3], v8, off offset:-16
	scratch_load_b128 v[4:7], off, s54
	s_wait_loadcnt 0x1
	scratch_store_b128 off, v[0:3], s54
	s_wait_loadcnt 0x0
	scratch_store_b128 v8, v[4:7], off offset:-16
.LBB122_448:
	v_mov_b32_e32 v0, 0
	global_load_b32 v1, v0, s[2:3] offset:68
	s_wait_loadcnt 0x0
	v_cmp_eq_u32_e32 vcc_lo, 18, v1
	s_cbranch_vccnz .LBB122_450
; %bb.449:
	v_lshlrev_b32_e32 v1, 4, v1
	s_delay_alu instid0(VALU_DEP_1)
	v_add_nc_u32_e32 v9, 16, v1
	s_clause 0x1
	scratch_load_b128 v[1:4], v9, off offset:-16
	scratch_load_b128 v[5:8], off, s55
	s_wait_loadcnt 0x1
	scratch_store_b128 off, v[1:4], s55
	s_wait_loadcnt 0x0
	scratch_store_b128 v9, v[5:8], off offset:-16
.LBB122_450:
	global_load_b32 v0, v0, s[2:3] offset:64
	s_wait_loadcnt 0x0
	v_cmp_eq_u32_e32 vcc_lo, 17, v0
	s_cbranch_vccnz .LBB122_452
; %bb.451:
	v_lshlrev_b32_e32 v0, 4, v0
	s_delay_alu instid0(VALU_DEP_1)
	v_add_nc_u32_e32 v8, 16, v0
	s_clause 0x1
	scratch_load_b128 v[0:3], v8, off offset:-16
	scratch_load_b128 v[4:7], off, s56
	s_wait_loadcnt 0x1
	scratch_store_b128 off, v[0:3], s56
	s_wait_loadcnt 0x0
	scratch_store_b128 v8, v[4:7], off offset:-16
.LBB122_452:
	v_mov_b32_e32 v0, 0
	global_load_b32 v1, v0, s[2:3] offset:60
	s_wait_loadcnt 0x0
	v_cmp_eq_u32_e32 vcc_lo, 16, v1
	s_cbranch_vccnz .LBB122_454
; %bb.453:
	v_lshlrev_b32_e32 v1, 4, v1
	s_delay_alu instid0(VALU_DEP_1)
	v_add_nc_u32_e32 v9, 16, v1
	s_clause 0x1
	scratch_load_b128 v[1:4], v9, off offset:-16
	scratch_load_b128 v[5:8], off, s57
	s_wait_loadcnt 0x1
	scratch_store_b128 off, v[1:4], s57
	s_wait_loadcnt 0x0
	scratch_store_b128 v9, v[5:8], off offset:-16
.LBB122_454:
	global_load_b32 v0, v0, s[2:3] offset:56
	s_wait_loadcnt 0x0
	v_cmp_eq_u32_e32 vcc_lo, 15, v0
	s_cbranch_vccnz .LBB122_456
; %bb.455:
	v_lshlrev_b32_e32 v0, 4, v0
	s_delay_alu instid0(VALU_DEP_1)
	v_add_nc_u32_e32 v8, 16, v0
	s_clause 0x1
	scratch_load_b128 v[0:3], v8, off offset:-16
	scratch_load_b128 v[4:7], off, s58
	s_wait_loadcnt 0x1
	scratch_store_b128 off, v[0:3], s58
	s_wait_loadcnt 0x0
	scratch_store_b128 v8, v[4:7], off offset:-16
.LBB122_456:
	v_mov_b32_e32 v0, 0
	global_load_b32 v1, v0, s[2:3] offset:52
	s_wait_loadcnt 0x0
	v_cmp_eq_u32_e32 vcc_lo, 14, v1
	s_cbranch_vccnz .LBB122_458
; %bb.457:
	v_lshlrev_b32_e32 v1, 4, v1
	s_delay_alu instid0(VALU_DEP_1)
	v_add_nc_u32_e32 v9, 16, v1
	s_clause 0x1
	scratch_load_b128 v[1:4], v9, off offset:-16
	scratch_load_b128 v[5:8], off, s59
	s_wait_loadcnt 0x1
	scratch_store_b128 off, v[1:4], s59
	s_wait_loadcnt 0x0
	scratch_store_b128 v9, v[5:8], off offset:-16
.LBB122_458:
	global_load_b32 v0, v0, s[2:3] offset:48
	s_wait_loadcnt 0x0
	v_cmp_eq_u32_e32 vcc_lo, 13, v0
	s_cbranch_vccnz .LBB122_460
; %bb.459:
	v_lshlrev_b32_e32 v0, 4, v0
	s_delay_alu instid0(VALU_DEP_1)
	v_add_nc_u32_e32 v8, 16, v0
	s_clause 0x1
	scratch_load_b128 v[0:3], v8, off offset:-16
	scratch_load_b128 v[4:7], off, s60
	s_wait_loadcnt 0x1
	scratch_store_b128 off, v[0:3], s60
	s_wait_loadcnt 0x0
	scratch_store_b128 v8, v[4:7], off offset:-16
.LBB122_460:
	v_mov_b32_e32 v0, 0
	global_load_b32 v1, v0, s[2:3] offset:44
	s_wait_loadcnt 0x0
	v_cmp_eq_u32_e32 vcc_lo, 12, v1
	s_cbranch_vccnz .LBB122_462
; %bb.461:
	v_lshlrev_b32_e32 v1, 4, v1
	s_delay_alu instid0(VALU_DEP_1)
	v_add_nc_u32_e32 v9, 16, v1
	s_clause 0x1
	scratch_load_b128 v[1:4], v9, off offset:-16
	scratch_load_b128 v[5:8], off, s61
	s_wait_loadcnt 0x1
	scratch_store_b128 off, v[1:4], s61
	s_wait_loadcnt 0x0
	scratch_store_b128 v9, v[5:8], off offset:-16
.LBB122_462:
	global_load_b32 v0, v0, s[2:3] offset:40
	s_wait_loadcnt 0x0
	v_cmp_eq_u32_e32 vcc_lo, 11, v0
	s_cbranch_vccnz .LBB122_464
; %bb.463:
	v_lshlrev_b32_e32 v0, 4, v0
	s_delay_alu instid0(VALU_DEP_1)
	v_add_nc_u32_e32 v8, 16, v0
	s_clause 0x1
	scratch_load_b128 v[0:3], v8, off offset:-16
	scratch_load_b128 v[4:7], off, s62
	s_wait_loadcnt 0x1
	scratch_store_b128 off, v[0:3], s62
	s_wait_loadcnt 0x0
	scratch_store_b128 v8, v[4:7], off offset:-16
.LBB122_464:
	v_mov_b32_e32 v0, 0
	global_load_b32 v1, v0, s[2:3] offset:36
	s_wait_loadcnt 0x0
	v_cmp_eq_u32_e32 vcc_lo, 10, v1
	s_cbranch_vccnz .LBB122_466
; %bb.465:
	v_lshlrev_b32_e32 v1, 4, v1
	s_delay_alu instid0(VALU_DEP_1)
	v_add_nc_u32_e32 v9, 16, v1
	s_clause 0x1
	scratch_load_b128 v[1:4], v9, off offset:-16
	scratch_load_b128 v[5:8], off, s63
	s_wait_loadcnt 0x1
	scratch_store_b128 off, v[1:4], s63
	s_wait_loadcnt 0x0
	scratch_store_b128 v9, v[5:8], off offset:-16
.LBB122_466:
	global_load_b32 v0, v0, s[2:3] offset:32
	s_wait_loadcnt 0x0
	v_cmp_eq_u32_e32 vcc_lo, 9, v0
	s_cbranch_vccnz .LBB122_468
; %bb.467:
	v_lshlrev_b32_e32 v0, 4, v0
	s_delay_alu instid0(VALU_DEP_1)
	v_add_nc_u32_e32 v8, 16, v0
	s_clause 0x1
	scratch_load_b128 v[0:3], v8, off offset:-16
	scratch_load_b128 v[4:7], off, s64
	s_wait_loadcnt 0x1
	scratch_store_b128 off, v[0:3], s64
	s_wait_loadcnt 0x0
	scratch_store_b128 v8, v[4:7], off offset:-16
.LBB122_468:
	v_mov_b32_e32 v0, 0
	global_load_b32 v1, v0, s[2:3] offset:28
	s_wait_loadcnt 0x0
	v_cmp_eq_u32_e32 vcc_lo, 8, v1
	s_cbranch_vccnz .LBB122_470
; %bb.469:
	v_lshlrev_b32_e32 v1, 4, v1
	s_delay_alu instid0(VALU_DEP_1)
	v_add_nc_u32_e32 v9, 16, v1
	s_clause 0x1
	scratch_load_b128 v[1:4], v9, off offset:-16
	scratch_load_b128 v[5:8], off, s65
	s_wait_loadcnt 0x1
	scratch_store_b128 off, v[1:4], s65
	s_wait_loadcnt 0x0
	scratch_store_b128 v9, v[5:8], off offset:-16
.LBB122_470:
	global_load_b32 v0, v0, s[2:3] offset:24
	s_wait_loadcnt 0x0
	v_cmp_eq_u32_e32 vcc_lo, 7, v0
	s_cbranch_vccnz .LBB122_472
; %bb.471:
	v_lshlrev_b32_e32 v0, 4, v0
	s_delay_alu instid0(VALU_DEP_1)
	v_add_nc_u32_e32 v8, 16, v0
	s_clause 0x1
	scratch_load_b128 v[0:3], v8, off offset:-16
	scratch_load_b128 v[4:7], off, s66
	s_wait_loadcnt 0x1
	scratch_store_b128 off, v[0:3], s66
	s_wait_loadcnt 0x0
	scratch_store_b128 v8, v[4:7], off offset:-16
.LBB122_472:
	v_mov_b32_e32 v0, 0
	global_load_b32 v1, v0, s[2:3] offset:20
	s_wait_loadcnt 0x0
	v_cmp_eq_u32_e32 vcc_lo, 6, v1
	s_cbranch_vccnz .LBB122_474
; %bb.473:
	v_lshlrev_b32_e32 v1, 4, v1
	s_delay_alu instid0(VALU_DEP_1)
	v_add_nc_u32_e32 v9, 16, v1
	s_clause 0x1
	scratch_load_b128 v[1:4], v9, off offset:-16
	scratch_load_b128 v[5:8], off, s67
	s_wait_loadcnt 0x1
	scratch_store_b128 off, v[1:4], s67
	s_wait_loadcnt 0x0
	scratch_store_b128 v9, v[5:8], off offset:-16
.LBB122_474:
	global_load_b32 v0, v0, s[2:3] offset:16
	s_wait_loadcnt 0x0
	v_cmp_eq_u32_e32 vcc_lo, 5, v0
	s_cbranch_vccnz .LBB122_476
; %bb.475:
	v_lshlrev_b32_e32 v0, 4, v0
	s_delay_alu instid0(VALU_DEP_1)
	v_add_nc_u32_e32 v8, 16, v0
	s_clause 0x1
	scratch_load_b128 v[0:3], v8, off offset:-16
	scratch_load_b128 v[4:7], off, s4
	s_wait_loadcnt 0x1
	scratch_store_b128 off, v[0:3], s4
	s_wait_loadcnt 0x0
	scratch_store_b128 v8, v[4:7], off offset:-16
.LBB122_476:
	v_mov_b32_e32 v0, 0
	global_load_b32 v1, v0, s[2:3] offset:12
	s_wait_loadcnt 0x0
	v_cmp_eq_u32_e32 vcc_lo, 4, v1
	s_cbranch_vccnz .LBB122_478
; %bb.477:
	v_lshlrev_b32_e32 v1, 4, v1
	s_delay_alu instid0(VALU_DEP_1)
	v_add_nc_u32_e32 v9, 16, v1
	s_clause 0x1
	scratch_load_b128 v[1:4], v9, off offset:-16
	scratch_load_b128 v[5:8], off, s10
	s_wait_loadcnt 0x1
	scratch_store_b128 off, v[1:4], s10
	s_wait_loadcnt 0x0
	scratch_store_b128 v9, v[5:8], off offset:-16
.LBB122_478:
	global_load_b32 v0, v0, s[2:3] offset:8
	s_wait_loadcnt 0x0
	v_cmp_eq_u32_e32 vcc_lo, 3, v0
	s_cbranch_vccnz .LBB122_480
; %bb.479:
	v_lshlrev_b32_e32 v0, 4, v0
	s_delay_alu instid0(VALU_DEP_1)
	v_add_nc_u32_e32 v8, 16, v0
	s_clause 0x1
	scratch_load_b128 v[0:3], v8, off offset:-16
	scratch_load_b128 v[4:7], off, s13
	s_wait_loadcnt 0x1
	scratch_store_b128 off, v[0:3], s13
	s_wait_loadcnt 0x0
	scratch_store_b128 v8, v[4:7], off offset:-16
.LBB122_480:
	v_mov_b32_e32 v0, 0
	global_load_b32 v1, v0, s[2:3] offset:4
	s_wait_loadcnt 0x0
	v_cmp_eq_u32_e32 vcc_lo, 2, v1
	s_cbranch_vccnz .LBB122_482
; %bb.481:
	v_lshlrev_b32_e32 v1, 4, v1
	s_delay_alu instid0(VALU_DEP_1)
	v_add_nc_u32_e32 v9, 16, v1
	s_clause 0x1
	scratch_load_b128 v[1:4], v9, off offset:-16
	scratch_load_b128 v[5:8], off, s15
	s_wait_loadcnt 0x1
	scratch_store_b128 off, v[1:4], s15
	s_wait_loadcnt 0x0
	scratch_store_b128 v9, v[5:8], off offset:-16
.LBB122_482:
	global_load_b32 v0, v0, s[2:3]
	s_wait_loadcnt 0x0
	v_cmp_eq_u32_e32 vcc_lo, 1, v0
	s_cbranch_vccnz .LBB122_484
; %bb.483:
	v_lshlrev_b32_e32 v0, 4, v0
	s_delay_alu instid0(VALU_DEP_1)
	v_add_nc_u32_e32 v8, 16, v0
	scratch_load_b128 v[0:3], v8, off offset:-16
	scratch_load_b128 v[4:7], off, off offset:16
	s_wait_loadcnt 0x1
	scratch_store_b128 off, v[0:3], off offset:16
	s_wait_loadcnt 0x0
	scratch_store_b128 v8, v[4:7], off offset:-16
.LBB122_484:
	scratch_load_b128 v[0:3], off, off offset:16
	s_wait_loadcnt 0x0
	flat_store_b128 v[46:47], v[0:3]
	scratch_load_b128 v[0:3], off, s15
	s_wait_loadcnt 0x0
	flat_store_b128 v[48:49], v[0:3]
	scratch_load_b128 v[0:3], off, s13
	;; [unrolled: 3-line block ×58, first 2 shown]
	s_wait_loadcnt 0x0
	flat_store_b128 v[162:163], v[0:3]
	s_nop 0
	s_sendmsg sendmsg(MSG_DEALLOC_VGPRS)
	s_endpgm
	.section	.rodata,"a",@progbits
	.p2align	6, 0x0
	.amdhsa_kernel _ZN9rocsolver6v33100L18getri_kernel_smallILi59E19rocblas_complex_numIdEPKPS3_EEvT1_iilPiilS8_bb
		.amdhsa_group_segment_fixed_size 1896
		.amdhsa_private_segment_fixed_size 976
		.amdhsa_kernarg_size 60
		.amdhsa_user_sgpr_count 2
		.amdhsa_user_sgpr_dispatch_ptr 0
		.amdhsa_user_sgpr_queue_ptr 0
		.amdhsa_user_sgpr_kernarg_segment_ptr 1
		.amdhsa_user_sgpr_dispatch_id 0
		.amdhsa_user_sgpr_private_segment_size 0
		.amdhsa_wavefront_size32 1
		.amdhsa_uses_dynamic_stack 0
		.amdhsa_enable_private_segment 1
		.amdhsa_system_sgpr_workgroup_id_x 1
		.amdhsa_system_sgpr_workgroup_id_y 0
		.amdhsa_system_sgpr_workgroup_id_z 0
		.amdhsa_system_sgpr_workgroup_info 0
		.amdhsa_system_vgpr_workitem_id 0
		.amdhsa_next_free_vgpr 191
		.amdhsa_next_free_sgpr 95
		.amdhsa_reserve_vcc 1
		.amdhsa_float_round_mode_32 0
		.amdhsa_float_round_mode_16_64 0
		.amdhsa_float_denorm_mode_32 3
		.amdhsa_float_denorm_mode_16_64 3
		.amdhsa_fp16_overflow 0
		.amdhsa_workgroup_processor_mode 1
		.amdhsa_memory_ordered 1
		.amdhsa_forward_progress 1
		.amdhsa_inst_pref_size 255
		.amdhsa_round_robin_scheduling 0
		.amdhsa_exception_fp_ieee_invalid_op 0
		.amdhsa_exception_fp_denorm_src 0
		.amdhsa_exception_fp_ieee_div_zero 0
		.amdhsa_exception_fp_ieee_overflow 0
		.amdhsa_exception_fp_ieee_underflow 0
		.amdhsa_exception_fp_ieee_inexact 0
		.amdhsa_exception_int_div_zero 0
	.end_amdhsa_kernel
	.section	.text._ZN9rocsolver6v33100L18getri_kernel_smallILi59E19rocblas_complex_numIdEPKPS3_EEvT1_iilPiilS8_bb,"axG",@progbits,_ZN9rocsolver6v33100L18getri_kernel_smallILi59E19rocblas_complex_numIdEPKPS3_EEvT1_iilPiilS8_bb,comdat
.Lfunc_end122:
	.size	_ZN9rocsolver6v33100L18getri_kernel_smallILi59E19rocblas_complex_numIdEPKPS3_EEvT1_iilPiilS8_bb, .Lfunc_end122-_ZN9rocsolver6v33100L18getri_kernel_smallILi59E19rocblas_complex_numIdEPKPS3_EEvT1_iilPiilS8_bb
                                        ; -- End function
	.set _ZN9rocsolver6v33100L18getri_kernel_smallILi59E19rocblas_complex_numIdEPKPS3_EEvT1_iilPiilS8_bb.num_vgpr, 191
	.set _ZN9rocsolver6v33100L18getri_kernel_smallILi59E19rocblas_complex_numIdEPKPS3_EEvT1_iilPiilS8_bb.num_agpr, 0
	.set _ZN9rocsolver6v33100L18getri_kernel_smallILi59E19rocblas_complex_numIdEPKPS3_EEvT1_iilPiilS8_bb.numbered_sgpr, 95
	.set _ZN9rocsolver6v33100L18getri_kernel_smallILi59E19rocblas_complex_numIdEPKPS3_EEvT1_iilPiilS8_bb.num_named_barrier, 0
	.set _ZN9rocsolver6v33100L18getri_kernel_smallILi59E19rocblas_complex_numIdEPKPS3_EEvT1_iilPiilS8_bb.private_seg_size, 976
	.set _ZN9rocsolver6v33100L18getri_kernel_smallILi59E19rocblas_complex_numIdEPKPS3_EEvT1_iilPiilS8_bb.uses_vcc, 1
	.set _ZN9rocsolver6v33100L18getri_kernel_smallILi59E19rocblas_complex_numIdEPKPS3_EEvT1_iilPiilS8_bb.uses_flat_scratch, 1
	.set _ZN9rocsolver6v33100L18getri_kernel_smallILi59E19rocblas_complex_numIdEPKPS3_EEvT1_iilPiilS8_bb.has_dyn_sized_stack, 0
	.set _ZN9rocsolver6v33100L18getri_kernel_smallILi59E19rocblas_complex_numIdEPKPS3_EEvT1_iilPiilS8_bb.has_recursion, 0
	.set _ZN9rocsolver6v33100L18getri_kernel_smallILi59E19rocblas_complex_numIdEPKPS3_EEvT1_iilPiilS8_bb.has_indirect_call, 0
	.section	.AMDGPU.csdata,"",@progbits
; Kernel info:
; codeLenInByte = 135528
; TotalNumSgprs: 97
; NumVgprs: 191
; ScratchSize: 976
; MemoryBound: 0
; FloatMode: 240
; IeeeMode: 1
; LDSByteSize: 1896 bytes/workgroup (compile time only)
; SGPRBlocks: 0
; VGPRBlocks: 23
; NumSGPRsForWavesPerEU: 97
; NumVGPRsForWavesPerEU: 191
; Occupancy: 8
; WaveLimiterHint : 1
; COMPUTE_PGM_RSRC2:SCRATCH_EN: 1
; COMPUTE_PGM_RSRC2:USER_SGPR: 2
; COMPUTE_PGM_RSRC2:TRAP_HANDLER: 0
; COMPUTE_PGM_RSRC2:TGID_X_EN: 1
; COMPUTE_PGM_RSRC2:TGID_Y_EN: 0
; COMPUTE_PGM_RSRC2:TGID_Z_EN: 0
; COMPUTE_PGM_RSRC2:TIDIG_COMP_CNT: 0
	.section	.text._ZN9rocsolver6v33100L18getri_kernel_smallILi60E19rocblas_complex_numIdEPKPS3_EEvT1_iilPiilS8_bb,"axG",@progbits,_ZN9rocsolver6v33100L18getri_kernel_smallILi60E19rocblas_complex_numIdEPKPS3_EEvT1_iilPiilS8_bb,comdat
	.globl	_ZN9rocsolver6v33100L18getri_kernel_smallILi60E19rocblas_complex_numIdEPKPS3_EEvT1_iilPiilS8_bb ; -- Begin function _ZN9rocsolver6v33100L18getri_kernel_smallILi60E19rocblas_complex_numIdEPKPS3_EEvT1_iilPiilS8_bb
	.p2align	8
	.type	_ZN9rocsolver6v33100L18getri_kernel_smallILi60E19rocblas_complex_numIdEPKPS3_EEvT1_iilPiilS8_bb,@function
_ZN9rocsolver6v33100L18getri_kernel_smallILi60E19rocblas_complex_numIdEPKPS3_EEvT1_iilPiilS8_bb: ; @_ZN9rocsolver6v33100L18getri_kernel_smallILi60E19rocblas_complex_numIdEPKPS3_EEvT1_iilPiilS8_bb
; %bb.0:
	s_mov_b32 s2, exec_lo
	v_cmpx_gt_u32_e32 60, v0
	s_cbranch_execz .LBB123_254
; %bb.1:
	s_clause 0x1
	s_load_b32 s13, s[0:1], 0x38
	s_load_b64 s[2:3], s[0:1], 0x0
	s_mov_b32 s8, ttmp9
	s_load_b128 s[4:7], s[0:1], 0x28
	s_wait_kmcnt 0x0
	s_bitcmp1_b32 s13, 8
	s_cselect_b32 s12, -1, 0
	s_ashr_i32 s9, ttmp9, 31
	s_delay_alu instid0(SALU_CYCLE_1) | instskip(NEXT) | instid1(SALU_CYCLE_1)
	s_lshl_b64 s[10:11], s[8:9], 3
	s_add_nc_u64 s[2:3], s[2:3], s[10:11]
	s_load_b64 s[10:11], s[2:3], 0x0
	s_bfe_u32 s2, s13, 0x10008
	s_delay_alu instid0(SALU_CYCLE_1)
	s_cmp_eq_u32 s2, 0
                                        ; implicit-def: $sgpr2_sgpr3
	s_cbranch_scc1 .LBB123_3
; %bb.2:
	s_load_b96 s[16:18], s[0:1], 0x18
	s_mul_u64 s[2:3], s[4:5], s[8:9]
	s_delay_alu instid0(SALU_CYCLE_1)
	s_lshl_b64 s[2:3], s[2:3], 2
	s_wait_kmcnt 0x0
	s_ashr_i32 s5, s18, 31
	s_mov_b32 s4, s18
	s_add_nc_u64 s[2:3], s[16:17], s[2:3]
	s_lshl_b64 s[4:5], s[4:5], 2
	s_delay_alu instid0(SALU_CYCLE_1)
	s_add_nc_u64 s[2:3], s[2:3], s[4:5]
.LBB123_3:
	s_clause 0x1
	s_load_b64 s[4:5], s[0:1], 0x8
	s_load_b32 s69, s[0:1], 0x38
	v_lshlrev_b32_e32 v13, 4, v0
	s_movk_i32 s14, 0x90
	s_movk_i32 s16, 0xa0
	;; [unrolled: 1-line block ×17, first 2 shown]
	s_wait_kmcnt 0x0
	s_ashr_i32 s1, s4, 31
	s_mov_b32 s0, s4
	v_add3_u32 v5, s5, s5, v0
	s_lshl_b64 s[0:1], s[0:1], 4
	s_movk_i32 s33, 0x1a0
	s_add_nc_u64 s[0:1], s[10:11], s[0:1]
	s_ashr_i32 s11, s5, 31
	v_add_co_u32 v42, s4, s0, v13
	s_wait_alu 0xf1ff
	v_add_co_ci_u32_e64 v43, null, s1, 0, s4
	s_mov_b32 s10, s5
	v_ashrrev_i32_e32 v6, 31, v5
	s_lshl_b64 s[10:11], s[10:11], 4
	flat_load_b128 v[1:4], v[42:43]
	v_add_co_u32 v44, vcc_lo, v42, s10
	s_delay_alu instid0(VALU_DEP_1)
	v_add_co_ci_u32_e64 v45, null, s11, v43, vcc_lo
	v_lshlrev_b64_e32 v[6:7], 4, v[5:6]
	v_add_nc_u32_e32 v5, s5, v5
	s_movk_i32 s11, 0x80
	s_movk_i32 s34, 0x1b0
	s_movk_i32 s35, 0x1c0
	s_movk_i32 s36, 0x1d0
	v_add_co_u32 v46, vcc_lo, s0, v6
	s_wait_alu 0xfffd
	v_add_co_ci_u32_e64 v47, null, s1, v7, vcc_lo
	v_ashrrev_i32_e32 v6, 31, v5
	s_movk_i32 s37, 0x1e0
	s_movk_i32 s38, 0x1f0
	s_movk_i32 s39, 0x200
	s_movk_i32 s40, 0x210
	v_lshlrev_b64_e32 v[6:7], 4, v[5:6]
	v_add_nc_u32_e32 v5, s5, v5
	s_movk_i32 s70, 0x220
	s_movk_i32 s71, 0x230
	s_movk_i32 s72, 0x240
	s_movk_i32 s73, 0x250
	v_add_co_u32 v48, vcc_lo, s0, v6
	s_wait_alu 0xfffd
	v_add_co_ci_u32_e64 v49, null, s1, v7, vcc_lo
	v_ashrrev_i32_e32 v6, 31, v5
	s_movk_i32 s74, 0x260
	s_movk_i32 s75, 0x270
	s_movk_i32 s76, 0x280
	s_movk_i32 s77, 0x290
	;; [unrolled: 14-line block ×4, first 2 shown]
	v_lshlrev_b64_e32 v[6:7], 4, v[5:6]
	v_add_nc_u32_e32 v5, s5, v5
	s_movk_i32 s94, 0x3a0
	s_movk_i32 s95, 0x3b0
	s_wait_alu 0xfffe
	s_add_co_i32 s65, s11, 16
	s_add_co_i32 s64, s14, 16
	v_add_co_u32 v54, vcc_lo, s0, v6
	s_wait_alu 0xfffd
	v_add_co_ci_u32_e64 v55, null, s1, v7, vcc_lo
	v_ashrrev_i32_e32 v6, 31, v5
	s_add_co_i32 s63, s16, 16
	s_add_co_i32 s62, s17, 16
	s_add_co_i32 s61, s18, 16
	s_add_co_i32 s60, s19, 16
	v_lshlrev_b64_e32 v[6:7], 4, v[5:6]
	v_add_nc_u32_e32 v5, s5, v5
	s_add_co_i32 s59, s20, 16
	s_add_co_i32 s58, s21, 16
	s_add_co_i32 s57, s22, 16
	s_add_co_i32 s56, s23, 16
	v_add_co_u32 v56, vcc_lo, s0, v6
	s_wait_alu 0xfffd
	v_add_co_ci_u32_e64 v57, null, s1, v7, vcc_lo
	v_ashrrev_i32_e32 v6, 31, v5
	s_add_co_i32 s55, s24, 16
	s_add_co_i32 s54, s25, 16
	s_add_co_i32 s53, s26, 16
	s_add_co_i32 s52, s27, 16
	v_lshlrev_b64_e32 v[6:7], 4, v[5:6]
	v_add_nc_u32_e32 v5, s5, v5
	s_add_co_i32 s51, s28, 16
	s_add_co_i32 s50, s29, 16
	;; [unrolled: 14-line block ×6, first 2 shown]
	s_add_co_i32 s16, s92, 16
	s_add_co_i32 s14, s93, 16
	v_add_co_u32 v66, vcc_lo, s0, v6
	s_wait_alu 0xfffd
	v_add_co_ci_u32_e64 v67, null, s1, v7, vcc_lo
	v_ashrrev_i32_e32 v6, 31, v5
	s_add_co_i32 s11, s94, 16
	s_mov_b32 s15, 32
	s_mov_b32 s13, 48
	;; [unrolled: 1-line block ×3, first 2 shown]
	v_lshlrev_b64_e32 v[6:7], 4, v[5:6]
	v_add_nc_u32_e32 v5, s5, v5
	s_movk_i32 s4, 0x50
	s_delay_alu instid0(VALU_DEP_2) | instskip(SKIP_1) | instid1(VALU_DEP_3)
	v_add_co_u32 v68, vcc_lo, s0, v6
	s_wait_alu 0xfffd
	v_add_co_ci_u32_e64 v69, null, s1, v7, vcc_lo
	v_ashrrev_i32_e32 v6, 31, v5
	s_delay_alu instid0(VALU_DEP_1) | instskip(SKIP_1) | instid1(VALU_DEP_2)
	v_lshlrev_b64_e32 v[6:7], 4, v[5:6]
	v_add_nc_u32_e32 v5, s5, v5
	v_add_co_u32 v70, vcc_lo, s0, v6
	s_wait_alu 0xfffd
	s_delay_alu instid0(VALU_DEP_3) | instskip(NEXT) | instid1(VALU_DEP_3)
	v_add_co_ci_u32_e64 v71, null, s1, v7, vcc_lo
	v_ashrrev_i32_e32 v6, 31, v5
	s_delay_alu instid0(VALU_DEP_1) | instskip(SKIP_1) | instid1(VALU_DEP_2)
	v_lshlrev_b64_e32 v[6:7], 4, v[5:6]
	v_add_nc_u32_e32 v5, s5, v5
	v_add_co_u32 v72, vcc_lo, s0, v6
	s_wait_alu 0xfffd
	s_delay_alu instid0(VALU_DEP_3) | instskip(NEXT) | instid1(VALU_DEP_3)
	;; [unrolled: 8-line block ×9, first 2 shown]
	v_add_co_ci_u32_e64 v87, null, s1, v7, vcc_lo
	v_ashrrev_i32_e32 v6, 31, v5
	s_delay_alu instid0(VALU_DEP_1)
	v_lshlrev_b64_e32 v[6:7], 4, v[5:6]
	s_wait_loadcnt_dscnt 0x0
	scratch_store_b128 off, v[1:4], off offset:16
	flat_load_b128 v[1:4], v[44:45]
	v_add_nc_u32_e32 v5, s5, v5
	v_add_co_u32 v88, vcc_lo, s0, v6
	s_wait_alu 0xfffd
	v_add_co_ci_u32_e64 v89, null, s1, v7, vcc_lo
	s_delay_alu instid0(VALU_DEP_3) | instskip(NEXT) | instid1(VALU_DEP_1)
	v_ashrrev_i32_e32 v6, 31, v5
	v_lshlrev_b64_e32 v[6:7], 4, v[5:6]
	v_add_nc_u32_e32 v5, s5, v5
	s_delay_alu instid0(VALU_DEP_2) | instskip(SKIP_1) | instid1(VALU_DEP_3)
	v_add_co_u32 v90, vcc_lo, s0, v6
	s_wait_alu 0xfffd
	v_add_co_ci_u32_e64 v91, null, s1, v7, vcc_lo
	s_delay_alu instid0(VALU_DEP_3) | instskip(NEXT) | instid1(VALU_DEP_1)
	v_ashrrev_i32_e32 v6, 31, v5
	v_lshlrev_b64_e32 v[6:7], 4, v[5:6]
	v_add_nc_u32_e32 v5, s5, v5
	s_delay_alu instid0(VALU_DEP_2) | instskip(SKIP_1) | instid1(VALU_DEP_3)
	;; [unrolled: 8-line block ×20, first 2 shown]
	v_add_co_u32 v128, vcc_lo, s0, v6
	s_wait_alu 0xfffd
	v_add_co_ci_u32_e64 v129, null, s1, v7, vcc_lo
	s_delay_alu instid0(VALU_DEP_3) | instskip(NEXT) | instid1(VALU_DEP_1)
	v_ashrrev_i32_e32 v6, 31, v5
	v_lshlrev_b64_e32 v[6:7], 4, v[5:6]
	v_add_nc_u32_e32 v5, s5, v5
	s_delay_alu instid0(VALU_DEP_2)
	v_add_co_u32 v130, vcc_lo, s0, v6
	s_wait_loadcnt_dscnt 0x0
	scratch_store_b128 off, v[1:4], off offset:32
	flat_load_b128 v[1:4], v[46:47]
	s_wait_alu 0xfffd
	v_add_co_ci_u32_e64 v131, null, s1, v7, vcc_lo
	v_ashrrev_i32_e32 v6, 31, v5
	s_delay_alu instid0(VALU_DEP_1) | instskip(SKIP_1) | instid1(VALU_DEP_2)
	v_lshlrev_b64_e32 v[6:7], 4, v[5:6]
	v_add_nc_u32_e32 v5, s5, v5
	v_add_co_u32 v132, vcc_lo, s0, v6
	s_wait_alu 0xfffd
	s_delay_alu instid0(VALU_DEP_3) | instskip(NEXT) | instid1(VALU_DEP_3)
	v_add_co_ci_u32_e64 v133, null, s1, v7, vcc_lo
	v_ashrrev_i32_e32 v6, 31, v5
	s_delay_alu instid0(VALU_DEP_1) | instskip(SKIP_1) | instid1(VALU_DEP_2)
	v_lshlrev_b64_e32 v[6:7], 4, v[5:6]
	v_add_nc_u32_e32 v5, s5, v5
	v_add_co_u32 v134, vcc_lo, s0, v6
	s_wait_alu 0xfffd
	s_delay_alu instid0(VALU_DEP_3) | instskip(NEXT) | instid1(VALU_DEP_3)
	;; [unrolled: 8-line block ×13, first 2 shown]
	v_add_co_ci_u32_e64 v157, null, s1, v7, vcc_lo
	v_ashrrev_i32_e32 v6, 31, v5
	s_delay_alu instid0(VALU_DEP_1)
	v_lshlrev_b64_e32 v[6:7], 4, v[5:6]
	v_add_nc_u32_e32 v5, s5, v5
	s_movk_i32 s5, 0x70
	s_wait_alu 0xfffe
	s_add_co_i32 s66, s5, 16
	s_add_co_i32 s5, s95, 16
	v_add_co_u32 v158, vcc_lo, s0, v6
	s_wait_alu 0xfffd
	v_add_co_ci_u32_e64 v159, null, s1, v7, vcc_lo
	v_ashrrev_i32_e32 v6, 31, v5
	s_delay_alu instid0(VALU_DEP_1) | instskip(NEXT) | instid1(VALU_DEP_1)
	v_lshlrev_b64_e32 v[5:6], 4, v[5:6]
	v_add_co_u32 v160, vcc_lo, s0, v5
	s_wait_alu 0xfffd
	s_delay_alu instid0(VALU_DEP_2)
	v_add_co_ci_u32_e64 v161, null, s1, v6, vcc_lo
	s_movk_i32 s0, 0x50
	s_movk_i32 s1, 0x60
	s_wait_alu 0xfffe
	s_add_co_i32 s68, s0, 16
	s_add_co_i32 s67, s1, 16
	s_bitcmp0_b32 s69, 0
	s_mov_b32 s1, -1
	s_wait_loadcnt_dscnt 0x0
	scratch_store_b128 off, v[1:4], off offset:48
	flat_load_b128 v[1:4], v[48:49]
	s_wait_loadcnt_dscnt 0x0
	scratch_store_b128 off, v[1:4], off offset:64
	flat_load_b128 v[1:4], v[50:51]
	;; [unrolled: 3-line block ×57, first 2 shown]
	s_wait_loadcnt_dscnt 0x0
	scratch_store_b128 off, v[1:4], off offset:960
	s_cbranch_scc1 .LBB123_252
; %bb.4:
	v_cmp_eq_u32_e64 s0, 0, v0
	s_and_saveexec_b32 s1, s0
; %bb.5:
	v_mov_b32_e32 v1, 0
	ds_store_b32 v1, v1 offset:1920
; %bb.6:
	s_wait_alu 0xfffe
	s_or_b32 exec_lo, exec_lo, s1
	s_wait_storecnt_dscnt 0x0
	s_barrier_signal -1
	s_barrier_wait -1
	global_inv scope:SCOPE_SE
	scratch_load_b128 v[1:4], v13, off offset:16
	s_wait_loadcnt 0x0
	v_cmp_eq_f64_e32 vcc_lo, 0, v[1:2]
	v_cmp_eq_f64_e64 s1, 0, v[3:4]
	s_and_b32 s1, vcc_lo, s1
	s_wait_alu 0xfffe
	s_and_saveexec_b32 s69, s1
	s_cbranch_execz .LBB123_10
; %bb.7:
	v_mov_b32_e32 v1, 0
	s_mov_b32 s70, 0
	ds_load_b32 v2, v1 offset:1920
	s_wait_dscnt 0x0
	v_readfirstlane_b32 s1, v2
	v_add_nc_u32_e32 v2, 1, v0
	s_cmp_eq_u32 s1, 0
	s_delay_alu instid0(VALU_DEP_1) | instskip(SKIP_1) | instid1(SALU_CYCLE_1)
	v_cmp_gt_i32_e32 vcc_lo, s1, v2
	s_cselect_b32 s71, -1, 0
	s_or_b32 s71, s71, vcc_lo
	s_delay_alu instid0(SALU_CYCLE_1)
	s_and_b32 exec_lo, exec_lo, s71
	s_cbranch_execz .LBB123_10
; %bb.8:
	v_mov_b32_e32 v3, s1
.LBB123_9:                              ; =>This Inner Loop Header: Depth=1
	ds_cmpstore_rtn_b32 v3, v1, v2, v3 offset:1920
	s_wait_dscnt 0x0
	v_cmp_ne_u32_e32 vcc_lo, 0, v3
	v_cmp_le_i32_e64 s1, v3, v2
	s_and_b32 s1, vcc_lo, s1
	s_wait_alu 0xfffe
	s_and_b32 s1, exec_lo, s1
	s_wait_alu 0xfffe
	s_or_b32 s70, s1, s70
	s_delay_alu instid0(SALU_CYCLE_1)
	s_and_not1_b32 exec_lo, exec_lo, s70
	s_cbranch_execnz .LBB123_9
.LBB123_10:
	s_or_b32 exec_lo, exec_lo, s69
	v_mov_b32_e32 v1, 0
	s_barrier_signal -1
	s_barrier_wait -1
	global_inv scope:SCOPE_SE
	ds_load_b32 v2, v1 offset:1920
	s_and_saveexec_b32 s1, s0
	s_cbranch_execz .LBB123_12
; %bb.11:
	s_lshl_b64 s[70:71], s[8:9], 2
	s_delay_alu instid0(SALU_CYCLE_1)
	s_add_nc_u64 s[70:71], s[6:7], s[70:71]
	s_wait_dscnt 0x0
	global_store_b32 v1, v2, s[70:71]
.LBB123_12:
	s_wait_alu 0xfffe
	s_or_b32 exec_lo, exec_lo, s1
	s_wait_dscnt 0x0
	v_cmp_ne_u32_e32 vcc_lo, 0, v2
	s_mov_b32 s1, 0
	s_cbranch_vccnz .LBB123_252
; %bb.13:
	v_add_nc_u32_e32 v14, 16, v13
                                        ; implicit-def: $vgpr1_vgpr2
                                        ; implicit-def: $vgpr9_vgpr10
	scratch_load_b128 v[5:8], v14, off
	s_wait_loadcnt 0x0
	v_cmp_ngt_f64_e64 s1, |v[5:6]|, |v[7:8]|
	s_wait_alu 0xfffe
	s_and_saveexec_b32 s69, s1
	s_delay_alu instid0(SALU_CYCLE_1)
	s_xor_b32 s1, exec_lo, s69
	s_cbranch_execz .LBB123_15
; %bb.14:
	v_div_scale_f64 v[1:2], null, v[7:8], v[7:8], v[5:6]
	v_div_scale_f64 v[11:12], vcc_lo, v[5:6], v[7:8], v[5:6]
	s_delay_alu instid0(VALU_DEP_2) | instskip(NEXT) | instid1(TRANS32_DEP_1)
	v_rcp_f64_e32 v[3:4], v[1:2]
	v_fma_f64 v[9:10], -v[1:2], v[3:4], 1.0
	s_delay_alu instid0(VALU_DEP_1) | instskip(NEXT) | instid1(VALU_DEP_1)
	v_fma_f64 v[3:4], v[3:4], v[9:10], v[3:4]
	v_fma_f64 v[9:10], -v[1:2], v[3:4], 1.0
	s_delay_alu instid0(VALU_DEP_1) | instskip(NEXT) | instid1(VALU_DEP_1)
	v_fma_f64 v[3:4], v[3:4], v[9:10], v[3:4]
	v_mul_f64_e32 v[9:10], v[11:12], v[3:4]
	s_delay_alu instid0(VALU_DEP_1) | instskip(SKIP_1) | instid1(VALU_DEP_1)
	v_fma_f64 v[1:2], -v[1:2], v[9:10], v[11:12]
	s_wait_alu 0xfffd
	v_div_fmas_f64 v[1:2], v[1:2], v[3:4], v[9:10]
	s_delay_alu instid0(VALU_DEP_1) | instskip(NEXT) | instid1(VALU_DEP_1)
	v_div_fixup_f64 v[1:2], v[1:2], v[7:8], v[5:6]
	v_fma_f64 v[3:4], v[5:6], v[1:2], v[7:8]
	s_delay_alu instid0(VALU_DEP_1) | instskip(SKIP_1) | instid1(VALU_DEP_2)
	v_div_scale_f64 v[5:6], null, v[3:4], v[3:4], 1.0
	v_div_scale_f64 v[11:12], vcc_lo, 1.0, v[3:4], 1.0
	v_rcp_f64_e32 v[7:8], v[5:6]
	s_delay_alu instid0(TRANS32_DEP_1) | instskip(NEXT) | instid1(VALU_DEP_1)
	v_fma_f64 v[9:10], -v[5:6], v[7:8], 1.0
	v_fma_f64 v[7:8], v[7:8], v[9:10], v[7:8]
	s_delay_alu instid0(VALU_DEP_1) | instskip(NEXT) | instid1(VALU_DEP_1)
	v_fma_f64 v[9:10], -v[5:6], v[7:8], 1.0
	v_fma_f64 v[7:8], v[7:8], v[9:10], v[7:8]
	s_delay_alu instid0(VALU_DEP_1) | instskip(NEXT) | instid1(VALU_DEP_1)
	v_mul_f64_e32 v[9:10], v[11:12], v[7:8]
	v_fma_f64 v[5:6], -v[5:6], v[9:10], v[11:12]
	s_wait_alu 0xfffd
	s_delay_alu instid0(VALU_DEP_1) | instskip(NEXT) | instid1(VALU_DEP_1)
	v_div_fmas_f64 v[5:6], v[5:6], v[7:8], v[9:10]
	v_div_fixup_f64 v[3:4], v[5:6], v[3:4], 1.0
                                        ; implicit-def: $vgpr5_vgpr6
	s_delay_alu instid0(VALU_DEP_1) | instskip(SKIP_1) | instid1(VALU_DEP_2)
	v_mul_f64_e32 v[1:2], v[1:2], v[3:4]
	v_xor_b32_e32 v4, 0x80000000, v4
	v_xor_b32_e32 v10, 0x80000000, v2
	s_delay_alu instid0(VALU_DEP_3)
	v_mov_b32_e32 v9, v1
.LBB123_15:
	s_wait_alu 0xfffe
	s_and_not1_saveexec_b32 s1, s1
	s_cbranch_execz .LBB123_17
; %bb.16:
	v_div_scale_f64 v[1:2], null, v[5:6], v[5:6], v[7:8]
	v_div_scale_f64 v[11:12], vcc_lo, v[7:8], v[5:6], v[7:8]
	s_delay_alu instid0(VALU_DEP_2) | instskip(NEXT) | instid1(TRANS32_DEP_1)
	v_rcp_f64_e32 v[3:4], v[1:2]
	v_fma_f64 v[9:10], -v[1:2], v[3:4], 1.0
	s_delay_alu instid0(VALU_DEP_1) | instskip(NEXT) | instid1(VALU_DEP_1)
	v_fma_f64 v[3:4], v[3:4], v[9:10], v[3:4]
	v_fma_f64 v[9:10], -v[1:2], v[3:4], 1.0
	s_delay_alu instid0(VALU_DEP_1) | instskip(NEXT) | instid1(VALU_DEP_1)
	v_fma_f64 v[3:4], v[3:4], v[9:10], v[3:4]
	v_mul_f64_e32 v[9:10], v[11:12], v[3:4]
	s_delay_alu instid0(VALU_DEP_1) | instskip(SKIP_1) | instid1(VALU_DEP_1)
	v_fma_f64 v[1:2], -v[1:2], v[9:10], v[11:12]
	s_wait_alu 0xfffd
	v_div_fmas_f64 v[1:2], v[1:2], v[3:4], v[9:10]
	s_delay_alu instid0(VALU_DEP_1) | instskip(NEXT) | instid1(VALU_DEP_1)
	v_div_fixup_f64 v[3:4], v[1:2], v[5:6], v[7:8]
	v_fma_f64 v[1:2], v[7:8], v[3:4], v[5:6]
	s_delay_alu instid0(VALU_DEP_1) | instskip(NEXT) | instid1(VALU_DEP_1)
	v_div_scale_f64 v[5:6], null, v[1:2], v[1:2], 1.0
	v_rcp_f64_e32 v[7:8], v[5:6]
	s_delay_alu instid0(TRANS32_DEP_1) | instskip(NEXT) | instid1(VALU_DEP_1)
	v_fma_f64 v[9:10], -v[5:6], v[7:8], 1.0
	v_fma_f64 v[7:8], v[7:8], v[9:10], v[7:8]
	s_delay_alu instid0(VALU_DEP_1) | instskip(NEXT) | instid1(VALU_DEP_1)
	v_fma_f64 v[9:10], -v[5:6], v[7:8], 1.0
	v_fma_f64 v[7:8], v[7:8], v[9:10], v[7:8]
	v_div_scale_f64 v[9:10], vcc_lo, 1.0, v[1:2], 1.0
	s_delay_alu instid0(VALU_DEP_1) | instskip(NEXT) | instid1(VALU_DEP_1)
	v_mul_f64_e32 v[11:12], v[9:10], v[7:8]
	v_fma_f64 v[5:6], -v[5:6], v[11:12], v[9:10]
	s_wait_alu 0xfffd
	s_delay_alu instid0(VALU_DEP_1) | instskip(NEXT) | instid1(VALU_DEP_1)
	v_div_fmas_f64 v[5:6], v[5:6], v[7:8], v[11:12]
	v_div_fixup_f64 v[1:2], v[5:6], v[1:2], 1.0
	s_delay_alu instid0(VALU_DEP_1)
	v_mul_f64_e64 v[3:4], v[3:4], -v[1:2]
	v_xor_b32_e32 v10, 0x80000000, v2
	v_mov_b32_e32 v9, v1
.LBB123_17:
	s_wait_alu 0xfffe
	s_or_b32 exec_lo, exec_lo, s1
	scratch_store_b128 v14, v[1:4], off
	scratch_load_b128 v[15:18], off, s15
	v_xor_b32_e32 v12, 0x80000000, v4
	v_mov_b32_e32 v11, v3
	v_add_nc_u32_e32 v5, 0x3c0, v13
	ds_store_b128 v13, v[9:12]
	s_wait_loadcnt 0x0
	ds_store_b128 v13, v[15:18] offset:960
	s_wait_storecnt_dscnt 0x0
	s_barrier_signal -1
	s_barrier_wait -1
	global_inv scope:SCOPE_SE
	s_and_saveexec_b32 s1, s0
	s_cbranch_execz .LBB123_19
; %bb.18:
	scratch_load_b128 v[1:4], v14, off
	ds_load_b128 v[6:9], v5
	v_mov_b32_e32 v10, 0
	ds_load_b128 v[15:18], v10 offset:16
	s_wait_loadcnt_dscnt 0x1
	v_mul_f64_e32 v[10:11], v[6:7], v[3:4]
	v_mul_f64_e32 v[3:4], v[8:9], v[3:4]
	s_delay_alu instid0(VALU_DEP_2) | instskip(NEXT) | instid1(VALU_DEP_2)
	v_fma_f64 v[8:9], v[8:9], v[1:2], v[10:11]
	v_fma_f64 v[1:2], v[6:7], v[1:2], -v[3:4]
	s_delay_alu instid0(VALU_DEP_2) | instskip(NEXT) | instid1(VALU_DEP_2)
	v_add_f64_e32 v[3:4], 0, v[8:9]
	v_add_f64_e32 v[1:2], 0, v[1:2]
	s_wait_dscnt 0x0
	s_delay_alu instid0(VALU_DEP_2) | instskip(NEXT) | instid1(VALU_DEP_2)
	v_mul_f64_e32 v[6:7], v[3:4], v[17:18]
	v_mul_f64_e32 v[8:9], v[1:2], v[17:18]
	s_delay_alu instid0(VALU_DEP_2) | instskip(NEXT) | instid1(VALU_DEP_2)
	v_fma_f64 v[1:2], v[1:2], v[15:16], -v[6:7]
	v_fma_f64 v[3:4], v[3:4], v[15:16], v[8:9]
	scratch_store_b128 off, v[1:4], off offset:32
.LBB123_19:
	s_wait_alu 0xfffe
	s_or_b32 exec_lo, exec_lo, s1
	s_wait_loadcnt 0x0
	s_wait_storecnt 0x0
	s_barrier_signal -1
	s_barrier_wait -1
	global_inv scope:SCOPE_SE
	scratch_load_b128 v[1:4], off, s13
	s_mov_b32 s1, exec_lo
	s_wait_loadcnt 0x0
	ds_store_b128 v5, v[1:4]
	s_wait_dscnt 0x0
	s_barrier_signal -1
	s_barrier_wait -1
	global_inv scope:SCOPE_SE
	v_cmpx_gt_u32_e32 2, v0
	s_cbranch_execz .LBB123_23
; %bb.20:
	scratch_load_b128 v[1:4], v14, off
	ds_load_b128 v[6:9], v5
	s_wait_loadcnt_dscnt 0x0
	v_mul_f64_e32 v[10:11], v[8:9], v[3:4]
	v_mul_f64_e32 v[3:4], v[6:7], v[3:4]
	s_delay_alu instid0(VALU_DEP_2) | instskip(NEXT) | instid1(VALU_DEP_2)
	v_fma_f64 v[6:7], v[6:7], v[1:2], -v[10:11]
	v_fma_f64 v[3:4], v[8:9], v[1:2], v[3:4]
	s_delay_alu instid0(VALU_DEP_2) | instskip(NEXT) | instid1(VALU_DEP_2)
	v_add_f64_e32 v[1:2], 0, v[6:7]
	v_add_f64_e32 v[3:4], 0, v[3:4]
	s_and_saveexec_b32 s69, s0
	s_cbranch_execz .LBB123_22
; %bb.21:
	scratch_load_b128 v[6:9], off, off offset:32
	v_mov_b32_e32 v10, 0
	ds_load_b128 v[15:18], v10 offset:976
	s_wait_loadcnt_dscnt 0x0
	v_mul_f64_e32 v[10:11], v[15:16], v[8:9]
	v_mul_f64_e32 v[8:9], v[17:18], v[8:9]
	s_delay_alu instid0(VALU_DEP_2) | instskip(NEXT) | instid1(VALU_DEP_2)
	v_fma_f64 v[10:11], v[17:18], v[6:7], v[10:11]
	v_fma_f64 v[6:7], v[15:16], v[6:7], -v[8:9]
	s_delay_alu instid0(VALU_DEP_2) | instskip(NEXT) | instid1(VALU_DEP_2)
	v_add_f64_e32 v[3:4], v[3:4], v[10:11]
	v_add_f64_e32 v[1:2], v[1:2], v[6:7]
.LBB123_22:
	s_or_b32 exec_lo, exec_lo, s69
	v_mov_b32_e32 v6, 0
	ds_load_b128 v[6:9], v6 offset:32
	s_wait_dscnt 0x0
	v_mul_f64_e32 v[10:11], v[3:4], v[8:9]
	v_mul_f64_e32 v[8:9], v[1:2], v[8:9]
	s_delay_alu instid0(VALU_DEP_2) | instskip(NEXT) | instid1(VALU_DEP_2)
	v_fma_f64 v[1:2], v[1:2], v[6:7], -v[10:11]
	v_fma_f64 v[3:4], v[3:4], v[6:7], v[8:9]
	scratch_store_b128 off, v[1:4], off offset:48
.LBB123_23:
	s_wait_alu 0xfffe
	s_or_b32 exec_lo, exec_lo, s1
	s_wait_loadcnt 0x0
	s_wait_storecnt 0x0
	s_barrier_signal -1
	s_barrier_wait -1
	global_inv scope:SCOPE_SE
	scratch_load_b128 v[1:4], off, s10
	v_add_nc_u32_e32 v6, -1, v0
	s_mov_b32 s0, exec_lo
	s_wait_loadcnt 0x0
	ds_store_b128 v5, v[1:4]
	s_wait_dscnt 0x0
	s_barrier_signal -1
	s_barrier_wait -1
	global_inv scope:SCOPE_SE
	v_cmpx_gt_u32_e32 3, v0
	s_cbranch_execz .LBB123_27
; %bb.24:
	v_dual_mov_b32 v1, 0 :: v_dual_add_nc_u32 v8, 0x3c0, v13
	v_mov_b32_e32 v3, 0
	v_dual_mov_b32 v2, 0 :: v_dual_add_nc_u32 v7, -1, v0
	v_mov_b32_e32 v4, 0
	v_or_b32_e32 v9, 8, v14
	s_mov_b32 s1, 0
.LBB123_25:                             ; =>This Inner Loop Header: Depth=1
	scratch_load_b128 v[15:18], v9, off offset:-8
	ds_load_b128 v[19:22], v8
	v_add_nc_u32_e32 v7, 1, v7
	v_add_nc_u32_e32 v8, 16, v8
	v_add_nc_u32_e32 v9, 16, v9
	s_delay_alu instid0(VALU_DEP_3)
	v_cmp_lt_u32_e32 vcc_lo, 1, v7
	s_wait_alu 0xfffe
	s_or_b32 s1, vcc_lo, s1
	s_wait_loadcnt_dscnt 0x0
	v_mul_f64_e32 v[10:11], v[21:22], v[17:18]
	v_mul_f64_e32 v[17:18], v[19:20], v[17:18]
	s_delay_alu instid0(VALU_DEP_2) | instskip(NEXT) | instid1(VALU_DEP_2)
	v_fma_f64 v[10:11], v[19:20], v[15:16], -v[10:11]
	v_fma_f64 v[15:16], v[21:22], v[15:16], v[17:18]
	s_delay_alu instid0(VALU_DEP_2) | instskip(NEXT) | instid1(VALU_DEP_2)
	v_add_f64_e32 v[3:4], v[3:4], v[10:11]
	v_add_f64_e32 v[1:2], v[1:2], v[15:16]
	s_wait_alu 0xfffe
	s_and_not1_b32 exec_lo, exec_lo, s1
	s_cbranch_execnz .LBB123_25
; %bb.26:
	s_or_b32 exec_lo, exec_lo, s1
	v_mov_b32_e32 v7, 0
	ds_load_b128 v[7:10], v7 offset:48
	s_wait_dscnt 0x0
	v_mul_f64_e32 v[11:12], v[1:2], v[9:10]
	v_mul_f64_e32 v[15:16], v[3:4], v[9:10]
	s_delay_alu instid0(VALU_DEP_2) | instskip(NEXT) | instid1(VALU_DEP_2)
	v_fma_f64 v[9:10], v[3:4], v[7:8], -v[11:12]
	v_fma_f64 v[11:12], v[1:2], v[7:8], v[15:16]
	scratch_store_b128 off, v[9:12], off offset:64
.LBB123_27:
	s_wait_alu 0xfffe
	s_or_b32 exec_lo, exec_lo, s0
	s_wait_loadcnt 0x0
	s_wait_storecnt 0x0
	s_barrier_signal -1
	s_barrier_wait -1
	global_inv scope:SCOPE_SE
	scratch_load_b128 v[1:4], off, s4
	s_mov_b32 s0, exec_lo
	s_wait_loadcnt 0x0
	ds_store_b128 v5, v[1:4]
	s_wait_dscnt 0x0
	s_barrier_signal -1
	s_barrier_wait -1
	global_inv scope:SCOPE_SE
	v_cmpx_gt_u32_e32 4, v0
	s_cbranch_execz .LBB123_31
; %bb.28:
	v_dual_mov_b32 v1, 0 :: v_dual_add_nc_u32 v8, 0x3c0, v13
	v_mov_b32_e32 v3, 0
	v_dual_mov_b32 v2, 0 :: v_dual_add_nc_u32 v7, -1, v0
	v_mov_b32_e32 v4, 0
	v_or_b32_e32 v9, 8, v14
	s_mov_b32 s1, 0
.LBB123_29:                             ; =>This Inner Loop Header: Depth=1
	scratch_load_b128 v[15:18], v9, off offset:-8
	ds_load_b128 v[19:22], v8
	v_add_nc_u32_e32 v7, 1, v7
	v_add_nc_u32_e32 v8, 16, v8
	v_add_nc_u32_e32 v9, 16, v9
	s_delay_alu instid0(VALU_DEP_3)
	v_cmp_lt_u32_e32 vcc_lo, 2, v7
	s_wait_alu 0xfffe
	s_or_b32 s1, vcc_lo, s1
	s_wait_loadcnt_dscnt 0x0
	v_mul_f64_e32 v[10:11], v[21:22], v[17:18]
	v_mul_f64_e32 v[17:18], v[19:20], v[17:18]
	s_delay_alu instid0(VALU_DEP_2) | instskip(NEXT) | instid1(VALU_DEP_2)
	v_fma_f64 v[10:11], v[19:20], v[15:16], -v[10:11]
	v_fma_f64 v[15:16], v[21:22], v[15:16], v[17:18]
	s_delay_alu instid0(VALU_DEP_2) | instskip(NEXT) | instid1(VALU_DEP_2)
	v_add_f64_e32 v[3:4], v[3:4], v[10:11]
	v_add_f64_e32 v[1:2], v[1:2], v[15:16]
	s_wait_alu 0xfffe
	s_and_not1_b32 exec_lo, exec_lo, s1
	s_cbranch_execnz .LBB123_29
; %bb.30:
	s_or_b32 exec_lo, exec_lo, s1
	v_mov_b32_e32 v7, 0
	ds_load_b128 v[7:10], v7 offset:64
	s_wait_dscnt 0x0
	v_mul_f64_e32 v[11:12], v[1:2], v[9:10]
	v_mul_f64_e32 v[15:16], v[3:4], v[9:10]
	s_delay_alu instid0(VALU_DEP_2) | instskip(NEXT) | instid1(VALU_DEP_2)
	v_fma_f64 v[9:10], v[3:4], v[7:8], -v[11:12]
	v_fma_f64 v[11:12], v[1:2], v[7:8], v[15:16]
	scratch_store_b128 off, v[9:12], off offset:80
.LBB123_31:
	s_wait_alu 0xfffe
	s_or_b32 exec_lo, exec_lo, s0
	s_wait_loadcnt 0x0
	s_wait_storecnt 0x0
	s_barrier_signal -1
	s_barrier_wait -1
	global_inv scope:SCOPE_SE
	scratch_load_b128 v[1:4], off, s68
	;; [unrolled: 58-line block ×19, first 2 shown]
	s_mov_b32 s0, exec_lo
	s_wait_loadcnt 0x0
	ds_store_b128 v5, v[1:4]
	s_wait_dscnt 0x0
	s_barrier_signal -1
	s_barrier_wait -1
	global_inv scope:SCOPE_SE
	v_cmpx_gt_u32_e32 22, v0
	s_cbranch_execz .LBB123_103
; %bb.100:
	v_dual_mov_b32 v1, 0 :: v_dual_add_nc_u32 v8, 0x3c0, v13
	v_mov_b32_e32 v3, 0
	v_dual_mov_b32 v2, 0 :: v_dual_add_nc_u32 v7, -1, v0
	v_mov_b32_e32 v4, 0
	v_or_b32_e32 v9, 8, v14
	s_mov_b32 s1, 0
.LBB123_101:                            ; =>This Inner Loop Header: Depth=1
	scratch_load_b128 v[15:18], v9, off offset:-8
	ds_load_b128 v[19:22], v8
	v_add_nc_u32_e32 v7, 1, v7
	v_add_nc_u32_e32 v8, 16, v8
	v_add_nc_u32_e32 v9, 16, v9
	s_delay_alu instid0(VALU_DEP_3)
	v_cmp_lt_u32_e32 vcc_lo, 20, v7
	s_wait_alu 0xfffe
	s_or_b32 s1, vcc_lo, s1
	s_wait_loadcnt_dscnt 0x0
	v_mul_f64_e32 v[10:11], v[21:22], v[17:18]
	v_mul_f64_e32 v[17:18], v[19:20], v[17:18]
	s_delay_alu instid0(VALU_DEP_2) | instskip(NEXT) | instid1(VALU_DEP_2)
	v_fma_f64 v[10:11], v[19:20], v[15:16], -v[10:11]
	v_fma_f64 v[15:16], v[21:22], v[15:16], v[17:18]
	s_delay_alu instid0(VALU_DEP_2) | instskip(NEXT) | instid1(VALU_DEP_2)
	v_add_f64_e32 v[3:4], v[3:4], v[10:11]
	v_add_f64_e32 v[1:2], v[1:2], v[15:16]
	s_wait_alu 0xfffe
	s_and_not1_b32 exec_lo, exec_lo, s1
	s_cbranch_execnz .LBB123_101
; %bb.102:
	s_or_b32 exec_lo, exec_lo, s1
	v_mov_b32_e32 v7, 0
	ds_load_b128 v[7:10], v7 offset:352
	s_wait_dscnt 0x0
	v_mul_f64_e32 v[11:12], v[1:2], v[9:10]
	v_mul_f64_e32 v[15:16], v[3:4], v[9:10]
	s_delay_alu instid0(VALU_DEP_2) | instskip(NEXT) | instid1(VALU_DEP_2)
	v_fma_f64 v[9:10], v[3:4], v[7:8], -v[11:12]
	v_fma_f64 v[11:12], v[1:2], v[7:8], v[15:16]
	scratch_store_b128 off, v[9:12], off offset:368
.LBB123_103:
	s_wait_alu 0xfffe
	s_or_b32 exec_lo, exec_lo, s0
	s_wait_loadcnt 0x0
	s_wait_storecnt 0x0
	s_barrier_signal -1
	s_barrier_wait -1
	global_inv scope:SCOPE_SE
	scratch_load_b128 v[1:4], off, s50
	s_mov_b32 s0, exec_lo
	s_wait_loadcnt 0x0
	ds_store_b128 v5, v[1:4]
	s_wait_dscnt 0x0
	s_barrier_signal -1
	s_barrier_wait -1
	global_inv scope:SCOPE_SE
	v_cmpx_gt_u32_e32 23, v0
	s_cbranch_execz .LBB123_107
; %bb.104:
	v_dual_mov_b32 v1, 0 :: v_dual_add_nc_u32 v8, 0x3c0, v13
	v_mov_b32_e32 v3, 0
	v_dual_mov_b32 v2, 0 :: v_dual_add_nc_u32 v7, -1, v0
	v_mov_b32_e32 v4, 0
	v_or_b32_e32 v9, 8, v14
	s_mov_b32 s1, 0
.LBB123_105:                            ; =>This Inner Loop Header: Depth=1
	scratch_load_b128 v[15:18], v9, off offset:-8
	ds_load_b128 v[19:22], v8
	v_add_nc_u32_e32 v7, 1, v7
	v_add_nc_u32_e32 v8, 16, v8
	v_add_nc_u32_e32 v9, 16, v9
	s_delay_alu instid0(VALU_DEP_3)
	v_cmp_lt_u32_e32 vcc_lo, 21, v7
	s_wait_alu 0xfffe
	s_or_b32 s1, vcc_lo, s1
	s_wait_loadcnt_dscnt 0x0
	v_mul_f64_e32 v[10:11], v[21:22], v[17:18]
	v_mul_f64_e32 v[17:18], v[19:20], v[17:18]
	s_delay_alu instid0(VALU_DEP_2) | instskip(NEXT) | instid1(VALU_DEP_2)
	v_fma_f64 v[10:11], v[19:20], v[15:16], -v[10:11]
	v_fma_f64 v[15:16], v[21:22], v[15:16], v[17:18]
	s_delay_alu instid0(VALU_DEP_2) | instskip(NEXT) | instid1(VALU_DEP_2)
	v_add_f64_e32 v[3:4], v[3:4], v[10:11]
	v_add_f64_e32 v[1:2], v[1:2], v[15:16]
	s_wait_alu 0xfffe
	s_and_not1_b32 exec_lo, exec_lo, s1
	s_cbranch_execnz .LBB123_105
; %bb.106:
	s_or_b32 exec_lo, exec_lo, s1
	v_mov_b32_e32 v7, 0
	ds_load_b128 v[7:10], v7 offset:368
	s_wait_dscnt 0x0
	v_mul_f64_e32 v[11:12], v[1:2], v[9:10]
	v_mul_f64_e32 v[15:16], v[3:4], v[9:10]
	s_delay_alu instid0(VALU_DEP_2) | instskip(NEXT) | instid1(VALU_DEP_2)
	v_fma_f64 v[9:10], v[3:4], v[7:8], -v[11:12]
	v_fma_f64 v[11:12], v[1:2], v[7:8], v[15:16]
	scratch_store_b128 off, v[9:12], off offset:384
.LBB123_107:
	s_wait_alu 0xfffe
	s_or_b32 exec_lo, exec_lo, s0
	s_wait_loadcnt 0x0
	s_wait_storecnt 0x0
	s_barrier_signal -1
	s_barrier_wait -1
	global_inv scope:SCOPE_SE
	scratch_load_b128 v[1:4], off, s49
	;; [unrolled: 58-line block ×37, first 2 shown]
	s_mov_b32 s0, exec_lo
	s_wait_loadcnt 0x0
	ds_store_b128 v5, v[1:4]
	s_wait_dscnt 0x0
	s_barrier_signal -1
	s_barrier_wait -1
	global_inv scope:SCOPE_SE
	v_cmpx_ne_u32_e32 59, v0
	s_cbranch_execz .LBB123_251
; %bb.248:
	v_mov_b32_e32 v1, 0
	v_dual_mov_b32 v2, 0 :: v_dual_mov_b32 v3, 0
	v_mov_b32_e32 v4, 0
	v_or_b32_e32 v7, 8, v14
	s_mov_b32 s1, 0
.LBB123_249:                            ; =>This Inner Loop Header: Depth=1
	scratch_load_b128 v[8:11], v7, off offset:-8
	ds_load_b128 v[12:15], v5
	v_add_nc_u32_e32 v6, 1, v6
	v_add_nc_u32_e32 v5, 16, v5
	;; [unrolled: 1-line block ×3, first 2 shown]
	s_delay_alu instid0(VALU_DEP_3)
	v_cmp_lt_u32_e32 vcc_lo, 57, v6
	s_wait_alu 0xfffe
	s_or_b32 s1, vcc_lo, s1
	s_wait_loadcnt_dscnt 0x0
	v_mul_f64_e32 v[16:17], v[14:15], v[10:11]
	v_mul_f64_e32 v[10:11], v[12:13], v[10:11]
	s_delay_alu instid0(VALU_DEP_2) | instskip(NEXT) | instid1(VALU_DEP_2)
	v_fma_f64 v[12:13], v[12:13], v[8:9], -v[16:17]
	v_fma_f64 v[8:9], v[14:15], v[8:9], v[10:11]
	s_delay_alu instid0(VALU_DEP_2) | instskip(NEXT) | instid1(VALU_DEP_2)
	v_add_f64_e32 v[3:4], v[3:4], v[12:13]
	v_add_f64_e32 v[1:2], v[1:2], v[8:9]
	s_wait_alu 0xfffe
	s_and_not1_b32 exec_lo, exec_lo, s1
	s_cbranch_execnz .LBB123_249
; %bb.250:
	s_or_b32 exec_lo, exec_lo, s1
	v_mov_b32_e32 v5, 0
	ds_load_b128 v[5:8], v5 offset:944
	s_wait_dscnt 0x0
	v_mul_f64_e32 v[9:10], v[1:2], v[7:8]
	v_mul_f64_e32 v[7:8], v[3:4], v[7:8]
	s_delay_alu instid0(VALU_DEP_2) | instskip(NEXT) | instid1(VALU_DEP_2)
	v_fma_f64 v[3:4], v[3:4], v[5:6], -v[9:10]
	v_fma_f64 v[5:6], v[1:2], v[5:6], v[7:8]
	scratch_store_b128 off, v[3:6], off offset:960
.LBB123_251:
	s_wait_alu 0xfffe
	s_or_b32 exec_lo, exec_lo, s0
	s_mov_b32 s1, -1
	s_wait_loadcnt 0x0
	s_wait_storecnt 0x0
	s_barrier_signal -1
	s_barrier_wait -1
	global_inv scope:SCOPE_SE
.LBB123_252:
	s_wait_alu 0xfffe
	s_and_b32 vcc_lo, exec_lo, s1
	s_wait_alu 0xfffe
	s_cbranch_vccz .LBB123_254
; %bb.253:
	v_mov_b32_e32 v1, 0
	s_lshl_b64 s[0:1], s[8:9], 2
	s_wait_alu 0xfffe
	s_add_nc_u64 s[0:1], s[6:7], s[0:1]
	global_load_b32 v1, v1, s[0:1]
	s_wait_loadcnt 0x0
	v_cmp_ne_u32_e32 vcc_lo, 0, v1
	s_cbranch_vccz .LBB123_255
.LBB123_254:
	s_nop 0
	s_sendmsg sendmsg(MSG_DEALLOC_VGPRS)
	s_endpgm
.LBB123_255:
	v_lshl_add_u32 v162, v0, 4, 0x3c0
	s_mov_b32 s0, exec_lo
	v_cmpx_eq_u32_e32 59, v0
	s_cbranch_execz .LBB123_257
; %bb.256:
	scratch_load_b128 v[1:4], off, s11
	v_mov_b32_e32 v5, 0
	s_delay_alu instid0(VALU_DEP_1)
	v_dual_mov_b32 v6, v5 :: v_dual_mov_b32 v7, v5
	v_mov_b32_e32 v8, v5
	scratch_store_b128 off, v[5:8], off offset:944
	s_wait_loadcnt 0x0
	ds_store_b128 v162, v[1:4]
.LBB123_257:
	s_wait_alu 0xfffe
	s_or_b32 exec_lo, exec_lo, s0
	s_wait_storecnt_dscnt 0x0
	s_barrier_signal -1
	s_barrier_wait -1
	global_inv scope:SCOPE_SE
	s_clause 0x1
	scratch_load_b128 v[2:5], off, off offset:960
	scratch_load_b128 v[6:9], off, off offset:944
	v_mov_b32_e32 v1, 0
	s_mov_b32 s0, exec_lo
	ds_load_b128 v[10:13], v1 offset:1904
	s_wait_loadcnt_dscnt 0x100
	v_mul_f64_e32 v[14:15], v[12:13], v[4:5]
	v_mul_f64_e32 v[4:5], v[10:11], v[4:5]
	s_delay_alu instid0(VALU_DEP_2) | instskip(NEXT) | instid1(VALU_DEP_2)
	v_fma_f64 v[10:11], v[10:11], v[2:3], -v[14:15]
	v_fma_f64 v[2:3], v[12:13], v[2:3], v[4:5]
	s_delay_alu instid0(VALU_DEP_2) | instskip(NEXT) | instid1(VALU_DEP_2)
	v_add_f64_e32 v[4:5], 0, v[10:11]
	v_add_f64_e32 v[10:11], 0, v[2:3]
	s_wait_loadcnt 0x0
	s_delay_alu instid0(VALU_DEP_2) | instskip(NEXT) | instid1(VALU_DEP_2)
	v_add_f64_e64 v[2:3], v[6:7], -v[4:5]
	v_add_f64_e64 v[4:5], v[8:9], -v[10:11]
	scratch_store_b128 off, v[2:5], off offset:944
	v_cmpx_lt_u32_e32 57, v0
	s_cbranch_execz .LBB123_259
; %bb.258:
	scratch_load_b128 v[5:8], off, s14
	v_dual_mov_b32 v2, v1 :: v_dual_mov_b32 v3, v1
	v_mov_b32_e32 v4, v1
	scratch_store_b128 off, v[1:4], off offset:928
	s_wait_loadcnt 0x0
	ds_store_b128 v162, v[5:8]
.LBB123_259:
	s_wait_alu 0xfffe
	s_or_b32 exec_lo, exec_lo, s0
	s_wait_storecnt_dscnt 0x0
	s_barrier_signal -1
	s_barrier_wait -1
	global_inv scope:SCOPE_SE
	s_clause 0x2
	scratch_load_b128 v[2:5], off, off offset:944
	scratch_load_b128 v[6:9], off, off offset:960
	;; [unrolled: 1-line block ×3, first 2 shown]
	ds_load_b128 v[14:17], v1 offset:1888
	ds_load_b128 v[18:21], v1 offset:1904
	s_mov_b32 s0, exec_lo
	s_wait_loadcnt_dscnt 0x201
	v_mul_f64_e32 v[22:23], v[16:17], v[4:5]
	v_mul_f64_e32 v[4:5], v[14:15], v[4:5]
	s_wait_loadcnt_dscnt 0x100
	v_mul_f64_e32 v[24:25], v[18:19], v[8:9]
	v_mul_f64_e32 v[8:9], v[20:21], v[8:9]
	s_delay_alu instid0(VALU_DEP_4) | instskip(NEXT) | instid1(VALU_DEP_4)
	v_fma_f64 v[14:15], v[14:15], v[2:3], -v[22:23]
	v_fma_f64 v[1:2], v[16:17], v[2:3], v[4:5]
	s_delay_alu instid0(VALU_DEP_4) | instskip(NEXT) | instid1(VALU_DEP_4)
	v_fma_f64 v[3:4], v[20:21], v[6:7], v[24:25]
	v_fma_f64 v[5:6], v[18:19], v[6:7], -v[8:9]
	s_delay_alu instid0(VALU_DEP_4) | instskip(NEXT) | instid1(VALU_DEP_4)
	v_add_f64_e32 v[7:8], 0, v[14:15]
	v_add_f64_e32 v[1:2], 0, v[1:2]
	s_delay_alu instid0(VALU_DEP_2) | instskip(NEXT) | instid1(VALU_DEP_2)
	v_add_f64_e32 v[5:6], v[7:8], v[5:6]
	v_add_f64_e32 v[3:4], v[1:2], v[3:4]
	s_wait_loadcnt 0x0
	s_delay_alu instid0(VALU_DEP_2) | instskip(NEXT) | instid1(VALU_DEP_2)
	v_add_f64_e64 v[1:2], v[10:11], -v[5:6]
	v_add_f64_e64 v[3:4], v[12:13], -v[3:4]
	scratch_store_b128 off, v[1:4], off offset:928
	v_cmpx_lt_u32_e32 56, v0
	s_cbranch_execz .LBB123_261
; %bb.260:
	scratch_load_b128 v[1:4], off, s16
	v_mov_b32_e32 v5, 0
	s_delay_alu instid0(VALU_DEP_1)
	v_dual_mov_b32 v6, v5 :: v_dual_mov_b32 v7, v5
	v_mov_b32_e32 v8, v5
	scratch_store_b128 off, v[5:8], off offset:912
	s_wait_loadcnt 0x0
	ds_store_b128 v162, v[1:4]
.LBB123_261:
	s_wait_alu 0xfffe
	s_or_b32 exec_lo, exec_lo, s0
	s_wait_storecnt_dscnt 0x0
	s_barrier_signal -1
	s_barrier_wait -1
	global_inv scope:SCOPE_SE
	s_clause 0x3
	scratch_load_b128 v[2:5], off, off offset:928
	scratch_load_b128 v[6:9], off, off offset:944
	;; [unrolled: 1-line block ×4, first 2 shown]
	v_mov_b32_e32 v1, 0
	ds_load_b128 v[18:21], v1 offset:1872
	ds_load_b128 v[22:25], v1 offset:1888
	s_mov_b32 s0, exec_lo
	s_wait_loadcnt_dscnt 0x301
	v_mul_f64_e32 v[26:27], v[20:21], v[4:5]
	v_mul_f64_e32 v[4:5], v[18:19], v[4:5]
	s_wait_loadcnt_dscnt 0x200
	v_mul_f64_e32 v[28:29], v[22:23], v[8:9]
	v_mul_f64_e32 v[8:9], v[24:25], v[8:9]
	s_delay_alu instid0(VALU_DEP_4) | instskip(NEXT) | instid1(VALU_DEP_4)
	v_fma_f64 v[18:19], v[18:19], v[2:3], -v[26:27]
	v_fma_f64 v[20:21], v[20:21], v[2:3], v[4:5]
	ds_load_b128 v[2:5], v1 offset:1904
	v_fma_f64 v[24:25], v[24:25], v[6:7], v[28:29]
	v_fma_f64 v[6:7], v[22:23], v[6:7], -v[8:9]
	s_wait_loadcnt_dscnt 0x100
	v_mul_f64_e32 v[26:27], v[2:3], v[12:13]
	v_mul_f64_e32 v[12:13], v[4:5], v[12:13]
	v_add_f64_e32 v[8:9], 0, v[18:19]
	v_add_f64_e32 v[18:19], 0, v[20:21]
	s_delay_alu instid0(VALU_DEP_4) | instskip(NEXT) | instid1(VALU_DEP_4)
	v_fma_f64 v[4:5], v[4:5], v[10:11], v[26:27]
	v_fma_f64 v[2:3], v[2:3], v[10:11], -v[12:13]
	s_delay_alu instid0(VALU_DEP_4) | instskip(NEXT) | instid1(VALU_DEP_4)
	v_add_f64_e32 v[6:7], v[8:9], v[6:7]
	v_add_f64_e32 v[8:9], v[18:19], v[24:25]
	s_delay_alu instid0(VALU_DEP_2) | instskip(NEXT) | instid1(VALU_DEP_2)
	v_add_f64_e32 v[2:3], v[6:7], v[2:3]
	v_add_f64_e32 v[4:5], v[8:9], v[4:5]
	s_wait_loadcnt 0x0
	s_delay_alu instid0(VALU_DEP_2) | instskip(NEXT) | instid1(VALU_DEP_2)
	v_add_f64_e64 v[2:3], v[14:15], -v[2:3]
	v_add_f64_e64 v[4:5], v[16:17], -v[4:5]
	scratch_store_b128 off, v[2:5], off offset:912
	v_cmpx_lt_u32_e32 55, v0
	s_cbranch_execz .LBB123_263
; %bb.262:
	scratch_load_b128 v[5:8], off, s17
	v_dual_mov_b32 v2, v1 :: v_dual_mov_b32 v3, v1
	v_mov_b32_e32 v4, v1
	scratch_store_b128 off, v[1:4], off offset:896
	s_wait_loadcnt 0x0
	ds_store_b128 v162, v[5:8]
.LBB123_263:
	s_wait_alu 0xfffe
	s_or_b32 exec_lo, exec_lo, s0
	s_wait_storecnt_dscnt 0x0
	s_barrier_signal -1
	s_barrier_wait -1
	global_inv scope:SCOPE_SE
	s_clause 0x4
	scratch_load_b128 v[2:5], off, off offset:912
	scratch_load_b128 v[6:9], off, off offset:928
	;; [unrolled: 1-line block ×5, first 2 shown]
	ds_load_b128 v[22:25], v1 offset:1856
	ds_load_b128 v[26:29], v1 offset:1872
	s_mov_b32 s0, exec_lo
	s_wait_loadcnt_dscnt 0x401
	v_mul_f64_e32 v[30:31], v[24:25], v[4:5]
	v_mul_f64_e32 v[4:5], v[22:23], v[4:5]
	s_wait_loadcnt_dscnt 0x300
	v_mul_f64_e32 v[32:33], v[26:27], v[8:9]
	v_mul_f64_e32 v[8:9], v[28:29], v[8:9]
	s_delay_alu instid0(VALU_DEP_4) | instskip(NEXT) | instid1(VALU_DEP_4)
	v_fma_f64 v[30:31], v[22:23], v[2:3], -v[30:31]
	v_fma_f64 v[34:35], v[24:25], v[2:3], v[4:5]
	ds_load_b128 v[2:5], v1 offset:1888
	ds_load_b128 v[22:25], v1 offset:1904
	v_fma_f64 v[28:29], v[28:29], v[6:7], v[32:33]
	v_fma_f64 v[6:7], v[26:27], v[6:7], -v[8:9]
	s_wait_loadcnt_dscnt 0x201
	v_mul_f64_e32 v[36:37], v[2:3], v[12:13]
	v_mul_f64_e32 v[12:13], v[4:5], v[12:13]
	v_add_f64_e32 v[8:9], 0, v[30:31]
	v_add_f64_e32 v[26:27], 0, v[34:35]
	s_wait_loadcnt_dscnt 0x100
	v_mul_f64_e32 v[30:31], v[22:23], v[16:17]
	v_mul_f64_e32 v[16:17], v[24:25], v[16:17]
	v_fma_f64 v[4:5], v[4:5], v[10:11], v[36:37]
	v_fma_f64 v[1:2], v[2:3], v[10:11], -v[12:13]
	v_add_f64_e32 v[6:7], v[8:9], v[6:7]
	v_add_f64_e32 v[8:9], v[26:27], v[28:29]
	v_fma_f64 v[10:11], v[24:25], v[14:15], v[30:31]
	v_fma_f64 v[12:13], v[22:23], v[14:15], -v[16:17]
	s_delay_alu instid0(VALU_DEP_4) | instskip(NEXT) | instid1(VALU_DEP_4)
	v_add_f64_e32 v[1:2], v[6:7], v[1:2]
	v_add_f64_e32 v[3:4], v[8:9], v[4:5]
	s_delay_alu instid0(VALU_DEP_2) | instskip(NEXT) | instid1(VALU_DEP_2)
	v_add_f64_e32 v[1:2], v[1:2], v[12:13]
	v_add_f64_e32 v[3:4], v[3:4], v[10:11]
	s_wait_loadcnt 0x0
	s_delay_alu instid0(VALU_DEP_2) | instskip(NEXT) | instid1(VALU_DEP_2)
	v_add_f64_e64 v[1:2], v[18:19], -v[1:2]
	v_add_f64_e64 v[3:4], v[20:21], -v[3:4]
	scratch_store_b128 off, v[1:4], off offset:896
	v_cmpx_lt_u32_e32 54, v0
	s_cbranch_execz .LBB123_265
; %bb.264:
	scratch_load_b128 v[1:4], off, s18
	v_mov_b32_e32 v5, 0
	s_delay_alu instid0(VALU_DEP_1)
	v_dual_mov_b32 v6, v5 :: v_dual_mov_b32 v7, v5
	v_mov_b32_e32 v8, v5
	scratch_store_b128 off, v[5:8], off offset:880
	s_wait_loadcnt 0x0
	ds_store_b128 v162, v[1:4]
.LBB123_265:
	s_wait_alu 0xfffe
	s_or_b32 exec_lo, exec_lo, s0
	s_wait_storecnt_dscnt 0x0
	s_barrier_signal -1
	s_barrier_wait -1
	global_inv scope:SCOPE_SE
	s_clause 0x5
	scratch_load_b128 v[2:5], off, off offset:896
	scratch_load_b128 v[6:9], off, off offset:912
	scratch_load_b128 v[10:13], off, off offset:928
	scratch_load_b128 v[14:17], off, off offset:944
	scratch_load_b128 v[18:21], off, off offset:960
	scratch_load_b128 v[22:25], off, off offset:880
	v_mov_b32_e32 v1, 0
	ds_load_b128 v[26:29], v1 offset:1840
	ds_load_b128 v[30:33], v1 offset:1856
	s_mov_b32 s0, exec_lo
	s_wait_loadcnt_dscnt 0x501
	v_mul_f64_e32 v[34:35], v[28:29], v[4:5]
	v_mul_f64_e32 v[4:5], v[26:27], v[4:5]
	s_wait_loadcnt_dscnt 0x400
	v_mul_f64_e32 v[36:37], v[30:31], v[8:9]
	v_mul_f64_e32 v[8:9], v[32:33], v[8:9]
	s_delay_alu instid0(VALU_DEP_4) | instskip(NEXT) | instid1(VALU_DEP_4)
	v_fma_f64 v[34:35], v[26:27], v[2:3], -v[34:35]
	v_fma_f64 v[38:39], v[28:29], v[2:3], v[4:5]
	ds_load_b128 v[2:5], v1 offset:1872
	ds_load_b128 v[26:29], v1 offset:1888
	v_fma_f64 v[32:33], v[32:33], v[6:7], v[36:37]
	v_fma_f64 v[6:7], v[30:31], v[6:7], -v[8:9]
	s_wait_loadcnt_dscnt 0x301
	v_mul_f64_e32 v[40:41], v[2:3], v[12:13]
	v_mul_f64_e32 v[12:13], v[4:5], v[12:13]
	v_add_f64_e32 v[8:9], 0, v[34:35]
	v_add_f64_e32 v[30:31], 0, v[38:39]
	s_wait_loadcnt_dscnt 0x200
	v_mul_f64_e32 v[34:35], v[26:27], v[16:17]
	v_mul_f64_e32 v[16:17], v[28:29], v[16:17]
	v_fma_f64 v[36:37], v[4:5], v[10:11], v[40:41]
	v_fma_f64 v[10:11], v[2:3], v[10:11], -v[12:13]
	ds_load_b128 v[2:5], v1 offset:1904
	v_add_f64_e32 v[6:7], v[8:9], v[6:7]
	v_add_f64_e32 v[8:9], v[30:31], v[32:33]
	v_fma_f64 v[28:29], v[28:29], v[14:15], v[34:35]
	v_fma_f64 v[14:15], v[26:27], v[14:15], -v[16:17]
	s_wait_loadcnt_dscnt 0x100
	v_mul_f64_e32 v[12:13], v[2:3], v[20:21]
	v_mul_f64_e32 v[20:21], v[4:5], v[20:21]
	v_add_f64_e32 v[6:7], v[6:7], v[10:11]
	v_add_f64_e32 v[8:9], v[8:9], v[36:37]
	s_delay_alu instid0(VALU_DEP_4) | instskip(NEXT) | instid1(VALU_DEP_4)
	v_fma_f64 v[4:5], v[4:5], v[18:19], v[12:13]
	v_fma_f64 v[2:3], v[2:3], v[18:19], -v[20:21]
	s_delay_alu instid0(VALU_DEP_4) | instskip(NEXT) | instid1(VALU_DEP_4)
	v_add_f64_e32 v[6:7], v[6:7], v[14:15]
	v_add_f64_e32 v[8:9], v[8:9], v[28:29]
	s_delay_alu instid0(VALU_DEP_2) | instskip(NEXT) | instid1(VALU_DEP_2)
	v_add_f64_e32 v[2:3], v[6:7], v[2:3]
	v_add_f64_e32 v[4:5], v[8:9], v[4:5]
	s_wait_loadcnt 0x0
	s_delay_alu instid0(VALU_DEP_2) | instskip(NEXT) | instid1(VALU_DEP_2)
	v_add_f64_e64 v[2:3], v[22:23], -v[2:3]
	v_add_f64_e64 v[4:5], v[24:25], -v[4:5]
	scratch_store_b128 off, v[2:5], off offset:880
	v_cmpx_lt_u32_e32 53, v0
	s_cbranch_execz .LBB123_267
; %bb.266:
	scratch_load_b128 v[5:8], off, s19
	v_dual_mov_b32 v2, v1 :: v_dual_mov_b32 v3, v1
	v_mov_b32_e32 v4, v1
	scratch_store_b128 off, v[1:4], off offset:864
	s_wait_loadcnt 0x0
	ds_store_b128 v162, v[5:8]
.LBB123_267:
	s_wait_alu 0xfffe
	s_or_b32 exec_lo, exec_lo, s0
	s_wait_storecnt_dscnt 0x0
	s_barrier_signal -1
	s_barrier_wait -1
	global_inv scope:SCOPE_SE
	s_clause 0x5
	scratch_load_b128 v[2:5], off, off offset:880
	scratch_load_b128 v[6:9], off, off offset:896
	;; [unrolled: 1-line block ×6, first 2 shown]
	ds_load_b128 v[26:29], v1 offset:1824
	ds_load_b128 v[34:37], v1 offset:1840
	scratch_load_b128 v[30:33], off, off offset:864
	s_mov_b32 s0, exec_lo
	s_wait_loadcnt_dscnt 0x601
	v_mul_f64_e32 v[38:39], v[28:29], v[4:5]
	v_mul_f64_e32 v[4:5], v[26:27], v[4:5]
	s_wait_loadcnt_dscnt 0x500
	v_mul_f64_e32 v[40:41], v[34:35], v[8:9]
	v_mul_f64_e32 v[8:9], v[36:37], v[8:9]
	s_delay_alu instid0(VALU_DEP_4) | instskip(NEXT) | instid1(VALU_DEP_4)
	v_fma_f64 v[38:39], v[26:27], v[2:3], -v[38:39]
	v_fma_f64 v[163:164], v[28:29], v[2:3], v[4:5]
	ds_load_b128 v[2:5], v1 offset:1856
	ds_load_b128 v[26:29], v1 offset:1872
	v_fma_f64 v[36:37], v[36:37], v[6:7], v[40:41]
	v_fma_f64 v[6:7], v[34:35], v[6:7], -v[8:9]
	s_wait_loadcnt_dscnt 0x401
	v_mul_f64_e32 v[165:166], v[2:3], v[12:13]
	v_mul_f64_e32 v[12:13], v[4:5], v[12:13]
	v_add_f64_e32 v[8:9], 0, v[38:39]
	v_add_f64_e32 v[34:35], 0, v[163:164]
	s_wait_loadcnt_dscnt 0x300
	v_mul_f64_e32 v[38:39], v[26:27], v[16:17]
	v_mul_f64_e32 v[16:17], v[28:29], v[16:17]
	v_fma_f64 v[40:41], v[4:5], v[10:11], v[165:166]
	v_fma_f64 v[10:11], v[2:3], v[10:11], -v[12:13]
	v_add_f64_e32 v[12:13], v[8:9], v[6:7]
	v_add_f64_e32 v[34:35], v[34:35], v[36:37]
	ds_load_b128 v[2:5], v1 offset:1888
	ds_load_b128 v[6:9], v1 offset:1904
	v_fma_f64 v[28:29], v[28:29], v[14:15], v[38:39]
	v_fma_f64 v[14:15], v[26:27], v[14:15], -v[16:17]
	s_wait_loadcnt_dscnt 0x201
	v_mul_f64_e32 v[36:37], v[2:3], v[20:21]
	v_mul_f64_e32 v[20:21], v[4:5], v[20:21]
	s_wait_loadcnt_dscnt 0x100
	v_mul_f64_e32 v[16:17], v[6:7], v[24:25]
	v_mul_f64_e32 v[24:25], v[8:9], v[24:25]
	v_add_f64_e32 v[10:11], v[12:13], v[10:11]
	v_add_f64_e32 v[12:13], v[34:35], v[40:41]
	v_fma_f64 v[4:5], v[4:5], v[18:19], v[36:37]
	v_fma_f64 v[1:2], v[2:3], v[18:19], -v[20:21]
	v_fma_f64 v[8:9], v[8:9], v[22:23], v[16:17]
	v_fma_f64 v[6:7], v[6:7], v[22:23], -v[24:25]
	v_add_f64_e32 v[10:11], v[10:11], v[14:15]
	v_add_f64_e32 v[12:13], v[12:13], v[28:29]
	s_delay_alu instid0(VALU_DEP_2) | instskip(NEXT) | instid1(VALU_DEP_2)
	v_add_f64_e32 v[1:2], v[10:11], v[1:2]
	v_add_f64_e32 v[3:4], v[12:13], v[4:5]
	s_delay_alu instid0(VALU_DEP_2) | instskip(NEXT) | instid1(VALU_DEP_2)
	v_add_f64_e32 v[1:2], v[1:2], v[6:7]
	v_add_f64_e32 v[3:4], v[3:4], v[8:9]
	s_wait_loadcnt 0x0
	s_delay_alu instid0(VALU_DEP_2) | instskip(NEXT) | instid1(VALU_DEP_2)
	v_add_f64_e64 v[1:2], v[30:31], -v[1:2]
	v_add_f64_e64 v[3:4], v[32:33], -v[3:4]
	scratch_store_b128 off, v[1:4], off offset:864
	v_cmpx_lt_u32_e32 52, v0
	s_cbranch_execz .LBB123_269
; %bb.268:
	scratch_load_b128 v[1:4], off, s20
	v_mov_b32_e32 v5, 0
	s_delay_alu instid0(VALU_DEP_1)
	v_dual_mov_b32 v6, v5 :: v_dual_mov_b32 v7, v5
	v_mov_b32_e32 v8, v5
	scratch_store_b128 off, v[5:8], off offset:848
	s_wait_loadcnt 0x0
	ds_store_b128 v162, v[1:4]
.LBB123_269:
	s_wait_alu 0xfffe
	s_or_b32 exec_lo, exec_lo, s0
	s_wait_storecnt_dscnt 0x0
	s_barrier_signal -1
	s_barrier_wait -1
	global_inv scope:SCOPE_SE
	s_clause 0x6
	scratch_load_b128 v[2:5], off, off offset:864
	scratch_load_b128 v[6:9], off, off offset:880
	;; [unrolled: 1-line block ×7, first 2 shown]
	v_mov_b32_e32 v1, 0
	scratch_load_b128 v[34:37], off, off offset:848
	s_mov_b32 s0, exec_lo
	ds_load_b128 v[30:33], v1 offset:1808
	ds_load_b128 v[38:41], v1 offset:1824
	s_wait_loadcnt_dscnt 0x701
	v_mul_f64_e32 v[163:164], v[32:33], v[4:5]
	v_mul_f64_e32 v[4:5], v[30:31], v[4:5]
	s_wait_loadcnt_dscnt 0x600
	v_mul_f64_e32 v[165:166], v[38:39], v[8:9]
	v_mul_f64_e32 v[8:9], v[40:41], v[8:9]
	s_delay_alu instid0(VALU_DEP_4) | instskip(NEXT) | instid1(VALU_DEP_4)
	v_fma_f64 v[163:164], v[30:31], v[2:3], -v[163:164]
	v_fma_f64 v[167:168], v[32:33], v[2:3], v[4:5]
	ds_load_b128 v[2:5], v1 offset:1840
	ds_load_b128 v[30:33], v1 offset:1856
	v_fma_f64 v[40:41], v[40:41], v[6:7], v[165:166]
	v_fma_f64 v[6:7], v[38:39], v[6:7], -v[8:9]
	s_wait_loadcnt_dscnt 0x501
	v_mul_f64_e32 v[169:170], v[2:3], v[12:13]
	v_mul_f64_e32 v[12:13], v[4:5], v[12:13]
	v_add_f64_e32 v[8:9], 0, v[163:164]
	v_add_f64_e32 v[38:39], 0, v[167:168]
	s_wait_loadcnt_dscnt 0x400
	v_mul_f64_e32 v[163:164], v[30:31], v[16:17]
	v_mul_f64_e32 v[16:17], v[32:33], v[16:17]
	v_fma_f64 v[165:166], v[4:5], v[10:11], v[169:170]
	v_fma_f64 v[10:11], v[2:3], v[10:11], -v[12:13]
	v_add_f64_e32 v[12:13], v[8:9], v[6:7]
	v_add_f64_e32 v[38:39], v[38:39], v[40:41]
	ds_load_b128 v[2:5], v1 offset:1872
	ds_load_b128 v[6:9], v1 offset:1888
	v_fma_f64 v[32:33], v[32:33], v[14:15], v[163:164]
	v_fma_f64 v[14:15], v[30:31], v[14:15], -v[16:17]
	s_wait_loadcnt_dscnt 0x301
	v_mul_f64_e32 v[40:41], v[2:3], v[20:21]
	v_mul_f64_e32 v[20:21], v[4:5], v[20:21]
	s_wait_loadcnt_dscnt 0x200
	v_mul_f64_e32 v[16:17], v[6:7], v[24:25]
	v_mul_f64_e32 v[24:25], v[8:9], v[24:25]
	v_add_f64_e32 v[10:11], v[12:13], v[10:11]
	v_add_f64_e32 v[12:13], v[38:39], v[165:166]
	v_fma_f64 v[30:31], v[4:5], v[18:19], v[40:41]
	v_fma_f64 v[18:19], v[2:3], v[18:19], -v[20:21]
	ds_load_b128 v[2:5], v1 offset:1904
	v_fma_f64 v[8:9], v[8:9], v[22:23], v[16:17]
	v_fma_f64 v[6:7], v[6:7], v[22:23], -v[24:25]
	v_add_f64_e32 v[10:11], v[10:11], v[14:15]
	v_add_f64_e32 v[12:13], v[12:13], v[32:33]
	s_wait_loadcnt_dscnt 0x100
	v_mul_f64_e32 v[14:15], v[2:3], v[28:29]
	v_mul_f64_e32 v[20:21], v[4:5], v[28:29]
	s_delay_alu instid0(VALU_DEP_4) | instskip(NEXT) | instid1(VALU_DEP_4)
	v_add_f64_e32 v[10:11], v[10:11], v[18:19]
	v_add_f64_e32 v[12:13], v[12:13], v[30:31]
	s_delay_alu instid0(VALU_DEP_4) | instskip(NEXT) | instid1(VALU_DEP_4)
	v_fma_f64 v[4:5], v[4:5], v[26:27], v[14:15]
	v_fma_f64 v[2:3], v[2:3], v[26:27], -v[20:21]
	s_delay_alu instid0(VALU_DEP_4) | instskip(NEXT) | instid1(VALU_DEP_4)
	v_add_f64_e32 v[6:7], v[10:11], v[6:7]
	v_add_f64_e32 v[8:9], v[12:13], v[8:9]
	s_delay_alu instid0(VALU_DEP_2) | instskip(NEXT) | instid1(VALU_DEP_2)
	v_add_f64_e32 v[2:3], v[6:7], v[2:3]
	v_add_f64_e32 v[4:5], v[8:9], v[4:5]
	s_wait_loadcnt 0x0
	s_delay_alu instid0(VALU_DEP_2) | instskip(NEXT) | instid1(VALU_DEP_2)
	v_add_f64_e64 v[2:3], v[34:35], -v[2:3]
	v_add_f64_e64 v[4:5], v[36:37], -v[4:5]
	scratch_store_b128 off, v[2:5], off offset:848
	v_cmpx_lt_u32_e32 51, v0
	s_cbranch_execz .LBB123_271
; %bb.270:
	scratch_load_b128 v[5:8], off, s21
	v_dual_mov_b32 v2, v1 :: v_dual_mov_b32 v3, v1
	v_mov_b32_e32 v4, v1
	scratch_store_b128 off, v[1:4], off offset:832
	s_wait_loadcnt 0x0
	ds_store_b128 v162, v[5:8]
.LBB123_271:
	s_wait_alu 0xfffe
	s_or_b32 exec_lo, exec_lo, s0
	s_wait_storecnt_dscnt 0x0
	s_barrier_signal -1
	s_barrier_wait -1
	global_inv scope:SCOPE_SE
	s_clause 0x7
	scratch_load_b128 v[2:5], off, off offset:848
	scratch_load_b128 v[6:9], off, off offset:864
	;; [unrolled: 1-line block ×8, first 2 shown]
	ds_load_b128 v[34:37], v1 offset:1792
	ds_load_b128 v[38:41], v1 offset:1808
	scratch_load_b128 v[163:166], off, off offset:832
	s_mov_b32 s0, exec_lo
	s_wait_loadcnt_dscnt 0x801
	v_mul_f64_e32 v[167:168], v[36:37], v[4:5]
	v_mul_f64_e32 v[4:5], v[34:35], v[4:5]
	s_wait_loadcnt_dscnt 0x700
	v_mul_f64_e32 v[169:170], v[38:39], v[8:9]
	v_mul_f64_e32 v[8:9], v[40:41], v[8:9]
	s_delay_alu instid0(VALU_DEP_4) | instskip(NEXT) | instid1(VALU_DEP_4)
	v_fma_f64 v[167:168], v[34:35], v[2:3], -v[167:168]
	v_fma_f64 v[171:172], v[36:37], v[2:3], v[4:5]
	ds_load_b128 v[2:5], v1 offset:1824
	ds_load_b128 v[34:37], v1 offset:1840
	v_fma_f64 v[40:41], v[40:41], v[6:7], v[169:170]
	v_fma_f64 v[6:7], v[38:39], v[6:7], -v[8:9]
	s_wait_loadcnt_dscnt 0x601
	v_mul_f64_e32 v[173:174], v[2:3], v[12:13]
	v_mul_f64_e32 v[12:13], v[4:5], v[12:13]
	v_add_f64_e32 v[8:9], 0, v[167:168]
	v_add_f64_e32 v[38:39], 0, v[171:172]
	s_wait_loadcnt_dscnt 0x500
	v_mul_f64_e32 v[167:168], v[34:35], v[16:17]
	v_mul_f64_e32 v[16:17], v[36:37], v[16:17]
	v_fma_f64 v[169:170], v[4:5], v[10:11], v[173:174]
	v_fma_f64 v[10:11], v[2:3], v[10:11], -v[12:13]
	v_add_f64_e32 v[12:13], v[8:9], v[6:7]
	v_add_f64_e32 v[38:39], v[38:39], v[40:41]
	ds_load_b128 v[2:5], v1 offset:1856
	ds_load_b128 v[6:9], v1 offset:1872
	v_fma_f64 v[36:37], v[36:37], v[14:15], v[167:168]
	v_fma_f64 v[14:15], v[34:35], v[14:15], -v[16:17]
	s_wait_loadcnt_dscnt 0x401
	v_mul_f64_e32 v[40:41], v[2:3], v[20:21]
	v_mul_f64_e32 v[20:21], v[4:5], v[20:21]
	s_wait_loadcnt_dscnt 0x300
	v_mul_f64_e32 v[16:17], v[6:7], v[24:25]
	v_mul_f64_e32 v[24:25], v[8:9], v[24:25]
	v_add_f64_e32 v[10:11], v[12:13], v[10:11]
	v_add_f64_e32 v[12:13], v[38:39], v[169:170]
	v_fma_f64 v[34:35], v[4:5], v[18:19], v[40:41]
	v_fma_f64 v[18:19], v[2:3], v[18:19], -v[20:21]
	v_fma_f64 v[8:9], v[8:9], v[22:23], v[16:17]
	v_fma_f64 v[6:7], v[6:7], v[22:23], -v[24:25]
	v_add_f64_e32 v[14:15], v[10:11], v[14:15]
	v_add_f64_e32 v[20:21], v[12:13], v[36:37]
	ds_load_b128 v[2:5], v1 offset:1888
	ds_load_b128 v[10:13], v1 offset:1904
	s_wait_loadcnt_dscnt 0x201
	v_mul_f64_e32 v[36:37], v[2:3], v[28:29]
	v_mul_f64_e32 v[28:29], v[4:5], v[28:29]
	v_add_f64_e32 v[14:15], v[14:15], v[18:19]
	v_add_f64_e32 v[16:17], v[20:21], v[34:35]
	s_wait_loadcnt_dscnt 0x100
	v_mul_f64_e32 v[18:19], v[10:11], v[32:33]
	v_mul_f64_e32 v[20:21], v[12:13], v[32:33]
	v_fma_f64 v[4:5], v[4:5], v[26:27], v[36:37]
	v_fma_f64 v[1:2], v[2:3], v[26:27], -v[28:29]
	v_add_f64_e32 v[6:7], v[14:15], v[6:7]
	v_add_f64_e32 v[8:9], v[16:17], v[8:9]
	v_fma_f64 v[12:13], v[12:13], v[30:31], v[18:19]
	v_fma_f64 v[10:11], v[10:11], v[30:31], -v[20:21]
	s_delay_alu instid0(VALU_DEP_4) | instskip(NEXT) | instid1(VALU_DEP_4)
	v_add_f64_e32 v[1:2], v[6:7], v[1:2]
	v_add_f64_e32 v[3:4], v[8:9], v[4:5]
	s_delay_alu instid0(VALU_DEP_2) | instskip(NEXT) | instid1(VALU_DEP_2)
	v_add_f64_e32 v[1:2], v[1:2], v[10:11]
	v_add_f64_e32 v[3:4], v[3:4], v[12:13]
	s_wait_loadcnt 0x0
	s_delay_alu instid0(VALU_DEP_2) | instskip(NEXT) | instid1(VALU_DEP_2)
	v_add_f64_e64 v[1:2], v[163:164], -v[1:2]
	v_add_f64_e64 v[3:4], v[165:166], -v[3:4]
	scratch_store_b128 off, v[1:4], off offset:832
	v_cmpx_lt_u32_e32 50, v0
	s_cbranch_execz .LBB123_273
; %bb.272:
	scratch_load_b128 v[1:4], off, s22
	v_mov_b32_e32 v5, 0
	s_delay_alu instid0(VALU_DEP_1)
	v_dual_mov_b32 v6, v5 :: v_dual_mov_b32 v7, v5
	v_mov_b32_e32 v8, v5
	scratch_store_b128 off, v[5:8], off offset:816
	s_wait_loadcnt 0x0
	ds_store_b128 v162, v[1:4]
.LBB123_273:
	s_wait_alu 0xfffe
	s_or_b32 exec_lo, exec_lo, s0
	s_wait_storecnt_dscnt 0x0
	s_barrier_signal -1
	s_barrier_wait -1
	global_inv scope:SCOPE_SE
	s_clause 0x7
	scratch_load_b128 v[2:5], off, off offset:832
	scratch_load_b128 v[6:9], off, off offset:848
	;; [unrolled: 1-line block ×8, first 2 shown]
	v_mov_b32_e32 v1, 0
	s_mov_b32 s0, exec_lo
	ds_load_b128 v[34:37], v1 offset:1776
	s_clause 0x1
	scratch_load_b128 v[38:41], off, off offset:960
	scratch_load_b128 v[163:166], off, off offset:816
	ds_load_b128 v[167:170], v1 offset:1792
	s_wait_loadcnt_dscnt 0x901
	v_mul_f64_e32 v[171:172], v[36:37], v[4:5]
	v_mul_f64_e32 v[4:5], v[34:35], v[4:5]
	s_wait_loadcnt_dscnt 0x800
	v_mul_f64_e32 v[173:174], v[167:168], v[8:9]
	v_mul_f64_e32 v[8:9], v[169:170], v[8:9]
	s_delay_alu instid0(VALU_DEP_4) | instskip(NEXT) | instid1(VALU_DEP_4)
	v_fma_f64 v[171:172], v[34:35], v[2:3], -v[171:172]
	v_fma_f64 v[175:176], v[36:37], v[2:3], v[4:5]
	ds_load_b128 v[2:5], v1 offset:1808
	ds_load_b128 v[34:37], v1 offset:1824
	v_fma_f64 v[169:170], v[169:170], v[6:7], v[173:174]
	v_fma_f64 v[6:7], v[167:168], v[6:7], -v[8:9]
	s_wait_loadcnt_dscnt 0x701
	v_mul_f64_e32 v[177:178], v[2:3], v[12:13]
	v_mul_f64_e32 v[12:13], v[4:5], v[12:13]
	v_add_f64_e32 v[8:9], 0, v[171:172]
	v_add_f64_e32 v[167:168], 0, v[175:176]
	s_wait_loadcnt_dscnt 0x600
	v_mul_f64_e32 v[171:172], v[34:35], v[16:17]
	v_mul_f64_e32 v[16:17], v[36:37], v[16:17]
	v_fma_f64 v[173:174], v[4:5], v[10:11], v[177:178]
	v_fma_f64 v[10:11], v[2:3], v[10:11], -v[12:13]
	v_add_f64_e32 v[12:13], v[8:9], v[6:7]
	v_add_f64_e32 v[167:168], v[167:168], v[169:170]
	ds_load_b128 v[2:5], v1 offset:1840
	ds_load_b128 v[6:9], v1 offset:1856
	v_fma_f64 v[36:37], v[36:37], v[14:15], v[171:172]
	v_fma_f64 v[14:15], v[34:35], v[14:15], -v[16:17]
	s_wait_loadcnt_dscnt 0x501
	v_mul_f64_e32 v[169:170], v[2:3], v[20:21]
	v_mul_f64_e32 v[20:21], v[4:5], v[20:21]
	s_wait_loadcnt_dscnt 0x400
	v_mul_f64_e32 v[16:17], v[6:7], v[24:25]
	v_mul_f64_e32 v[24:25], v[8:9], v[24:25]
	v_add_f64_e32 v[10:11], v[12:13], v[10:11]
	v_add_f64_e32 v[12:13], v[167:168], v[173:174]
	v_fma_f64 v[34:35], v[4:5], v[18:19], v[169:170]
	v_fma_f64 v[18:19], v[2:3], v[18:19], -v[20:21]
	v_fma_f64 v[8:9], v[8:9], v[22:23], v[16:17]
	v_fma_f64 v[6:7], v[6:7], v[22:23], -v[24:25]
	v_add_f64_e32 v[14:15], v[10:11], v[14:15]
	v_add_f64_e32 v[20:21], v[12:13], v[36:37]
	ds_load_b128 v[2:5], v1 offset:1872
	ds_load_b128 v[10:13], v1 offset:1888
	s_wait_loadcnt_dscnt 0x301
	v_mul_f64_e32 v[36:37], v[2:3], v[28:29]
	v_mul_f64_e32 v[28:29], v[4:5], v[28:29]
	v_add_f64_e32 v[14:15], v[14:15], v[18:19]
	v_add_f64_e32 v[16:17], v[20:21], v[34:35]
	s_wait_loadcnt_dscnt 0x200
	v_mul_f64_e32 v[18:19], v[10:11], v[32:33]
	v_mul_f64_e32 v[20:21], v[12:13], v[32:33]
	v_fma_f64 v[22:23], v[4:5], v[26:27], v[36:37]
	v_fma_f64 v[24:25], v[2:3], v[26:27], -v[28:29]
	ds_load_b128 v[2:5], v1 offset:1904
	v_add_f64_e32 v[6:7], v[14:15], v[6:7]
	v_add_f64_e32 v[8:9], v[16:17], v[8:9]
	v_fma_f64 v[12:13], v[12:13], v[30:31], v[18:19]
	v_fma_f64 v[10:11], v[10:11], v[30:31], -v[20:21]
	s_wait_loadcnt_dscnt 0x100
	v_mul_f64_e32 v[14:15], v[2:3], v[40:41]
	v_mul_f64_e32 v[16:17], v[4:5], v[40:41]
	v_add_f64_e32 v[6:7], v[6:7], v[24:25]
	v_add_f64_e32 v[8:9], v[8:9], v[22:23]
	s_delay_alu instid0(VALU_DEP_4) | instskip(NEXT) | instid1(VALU_DEP_4)
	v_fma_f64 v[4:5], v[4:5], v[38:39], v[14:15]
	v_fma_f64 v[2:3], v[2:3], v[38:39], -v[16:17]
	s_delay_alu instid0(VALU_DEP_4) | instskip(NEXT) | instid1(VALU_DEP_4)
	v_add_f64_e32 v[6:7], v[6:7], v[10:11]
	v_add_f64_e32 v[8:9], v[8:9], v[12:13]
	s_delay_alu instid0(VALU_DEP_2) | instskip(NEXT) | instid1(VALU_DEP_2)
	v_add_f64_e32 v[2:3], v[6:7], v[2:3]
	v_add_f64_e32 v[4:5], v[8:9], v[4:5]
	s_wait_loadcnt 0x0
	s_delay_alu instid0(VALU_DEP_2) | instskip(NEXT) | instid1(VALU_DEP_2)
	v_add_f64_e64 v[2:3], v[163:164], -v[2:3]
	v_add_f64_e64 v[4:5], v[165:166], -v[4:5]
	scratch_store_b128 off, v[2:5], off offset:816
	v_cmpx_lt_u32_e32 49, v0
	s_cbranch_execz .LBB123_275
; %bb.274:
	scratch_load_b128 v[5:8], off, s23
	v_dual_mov_b32 v2, v1 :: v_dual_mov_b32 v3, v1
	v_mov_b32_e32 v4, v1
	scratch_store_b128 off, v[1:4], off offset:800
	s_wait_loadcnt 0x0
	ds_store_b128 v162, v[5:8]
.LBB123_275:
	s_wait_alu 0xfffe
	s_or_b32 exec_lo, exec_lo, s0
	s_wait_storecnt_dscnt 0x0
	s_barrier_signal -1
	s_barrier_wait -1
	global_inv scope:SCOPE_SE
	s_clause 0x8
	scratch_load_b128 v[2:5], off, off offset:816
	scratch_load_b128 v[6:9], off, off offset:832
	;; [unrolled: 1-line block ×9, first 2 shown]
	ds_load_b128 v[38:41], v1 offset:1760
	ds_load_b128 v[163:166], v1 offset:1776
	s_clause 0x1
	scratch_load_b128 v[167:170], off, off offset:800
	scratch_load_b128 v[171:174], off, off offset:960
	s_mov_b32 s0, exec_lo
	s_wait_loadcnt_dscnt 0xa01
	v_mul_f64_e32 v[175:176], v[40:41], v[4:5]
	v_mul_f64_e32 v[4:5], v[38:39], v[4:5]
	s_wait_loadcnt_dscnt 0x900
	v_mul_f64_e32 v[177:178], v[163:164], v[8:9]
	v_mul_f64_e32 v[8:9], v[165:166], v[8:9]
	s_delay_alu instid0(VALU_DEP_4) | instskip(NEXT) | instid1(VALU_DEP_4)
	v_fma_f64 v[175:176], v[38:39], v[2:3], -v[175:176]
	v_fma_f64 v[179:180], v[40:41], v[2:3], v[4:5]
	ds_load_b128 v[2:5], v1 offset:1792
	ds_load_b128 v[38:41], v1 offset:1808
	v_fma_f64 v[165:166], v[165:166], v[6:7], v[177:178]
	v_fma_f64 v[6:7], v[163:164], v[6:7], -v[8:9]
	s_wait_loadcnt_dscnt 0x801
	v_mul_f64_e32 v[181:182], v[2:3], v[12:13]
	v_mul_f64_e32 v[12:13], v[4:5], v[12:13]
	v_add_f64_e32 v[8:9], 0, v[175:176]
	v_add_f64_e32 v[163:164], 0, v[179:180]
	s_wait_loadcnt_dscnt 0x700
	v_mul_f64_e32 v[175:176], v[38:39], v[16:17]
	v_mul_f64_e32 v[16:17], v[40:41], v[16:17]
	v_fma_f64 v[177:178], v[4:5], v[10:11], v[181:182]
	v_fma_f64 v[10:11], v[2:3], v[10:11], -v[12:13]
	v_add_f64_e32 v[12:13], v[8:9], v[6:7]
	v_add_f64_e32 v[163:164], v[163:164], v[165:166]
	ds_load_b128 v[2:5], v1 offset:1824
	ds_load_b128 v[6:9], v1 offset:1840
	v_fma_f64 v[40:41], v[40:41], v[14:15], v[175:176]
	v_fma_f64 v[14:15], v[38:39], v[14:15], -v[16:17]
	s_wait_loadcnt_dscnt 0x601
	v_mul_f64_e32 v[165:166], v[2:3], v[20:21]
	v_mul_f64_e32 v[20:21], v[4:5], v[20:21]
	s_wait_loadcnt_dscnt 0x500
	v_mul_f64_e32 v[16:17], v[6:7], v[24:25]
	v_mul_f64_e32 v[24:25], v[8:9], v[24:25]
	v_add_f64_e32 v[10:11], v[12:13], v[10:11]
	v_add_f64_e32 v[12:13], v[163:164], v[177:178]
	v_fma_f64 v[38:39], v[4:5], v[18:19], v[165:166]
	v_fma_f64 v[18:19], v[2:3], v[18:19], -v[20:21]
	v_fma_f64 v[8:9], v[8:9], v[22:23], v[16:17]
	v_fma_f64 v[6:7], v[6:7], v[22:23], -v[24:25]
	v_add_f64_e32 v[14:15], v[10:11], v[14:15]
	v_add_f64_e32 v[20:21], v[12:13], v[40:41]
	ds_load_b128 v[2:5], v1 offset:1856
	ds_load_b128 v[10:13], v1 offset:1872
	s_wait_loadcnt_dscnt 0x401
	v_mul_f64_e32 v[40:41], v[2:3], v[28:29]
	v_mul_f64_e32 v[28:29], v[4:5], v[28:29]
	v_add_f64_e32 v[14:15], v[14:15], v[18:19]
	v_add_f64_e32 v[16:17], v[20:21], v[38:39]
	s_wait_loadcnt_dscnt 0x300
	v_mul_f64_e32 v[18:19], v[10:11], v[32:33]
	v_mul_f64_e32 v[20:21], v[12:13], v[32:33]
	v_fma_f64 v[22:23], v[4:5], v[26:27], v[40:41]
	v_fma_f64 v[24:25], v[2:3], v[26:27], -v[28:29]
	v_add_f64_e32 v[14:15], v[14:15], v[6:7]
	v_add_f64_e32 v[16:17], v[16:17], v[8:9]
	ds_load_b128 v[2:5], v1 offset:1888
	ds_load_b128 v[6:9], v1 offset:1904
	v_fma_f64 v[12:13], v[12:13], v[30:31], v[18:19]
	v_fma_f64 v[10:11], v[10:11], v[30:31], -v[20:21]
	s_wait_loadcnt_dscnt 0x201
	v_mul_f64_e32 v[26:27], v[2:3], v[36:37]
	v_mul_f64_e32 v[28:29], v[4:5], v[36:37]
	s_wait_loadcnt_dscnt 0x0
	v_mul_f64_e32 v[18:19], v[6:7], v[173:174]
	v_mul_f64_e32 v[20:21], v[8:9], v[173:174]
	v_add_f64_e32 v[14:15], v[14:15], v[24:25]
	v_add_f64_e32 v[16:17], v[16:17], v[22:23]
	v_fma_f64 v[4:5], v[4:5], v[34:35], v[26:27]
	v_fma_f64 v[1:2], v[2:3], v[34:35], -v[28:29]
	v_fma_f64 v[8:9], v[8:9], v[171:172], v[18:19]
	v_fma_f64 v[6:7], v[6:7], v[171:172], -v[20:21]
	v_add_f64_e32 v[10:11], v[14:15], v[10:11]
	v_add_f64_e32 v[12:13], v[16:17], v[12:13]
	s_delay_alu instid0(VALU_DEP_2) | instskip(NEXT) | instid1(VALU_DEP_2)
	v_add_f64_e32 v[1:2], v[10:11], v[1:2]
	v_add_f64_e32 v[3:4], v[12:13], v[4:5]
	s_delay_alu instid0(VALU_DEP_2) | instskip(NEXT) | instid1(VALU_DEP_2)
	;; [unrolled: 3-line block ×3, first 2 shown]
	v_add_f64_e64 v[1:2], v[167:168], -v[1:2]
	v_add_f64_e64 v[3:4], v[169:170], -v[3:4]
	scratch_store_b128 off, v[1:4], off offset:800
	v_cmpx_lt_u32_e32 48, v0
	s_cbranch_execz .LBB123_277
; %bb.276:
	scratch_load_b128 v[1:4], off, s24
	v_mov_b32_e32 v5, 0
	s_delay_alu instid0(VALU_DEP_1)
	v_dual_mov_b32 v6, v5 :: v_dual_mov_b32 v7, v5
	v_mov_b32_e32 v8, v5
	scratch_store_b128 off, v[5:8], off offset:784
	s_wait_loadcnt 0x0
	ds_store_b128 v162, v[1:4]
.LBB123_277:
	s_wait_alu 0xfffe
	s_or_b32 exec_lo, exec_lo, s0
	s_wait_storecnt_dscnt 0x0
	s_barrier_signal -1
	s_barrier_wait -1
	global_inv scope:SCOPE_SE
	s_clause 0x7
	scratch_load_b128 v[2:5], off, off offset:800
	scratch_load_b128 v[6:9], off, off offset:816
	;; [unrolled: 1-line block ×8, first 2 shown]
	v_mov_b32_e32 v1, 0
	s_mov_b32 s0, exec_lo
	ds_load_b128 v[34:37], v1 offset:1744
	s_clause 0x1
	scratch_load_b128 v[38:41], off, off offset:928
	scratch_load_b128 v[163:166], off, off offset:784
	ds_load_b128 v[167:170], v1 offset:1760
	scratch_load_b128 v[171:174], off, off offset:944
	s_wait_loadcnt_dscnt 0xa01
	v_mul_f64_e32 v[175:176], v[36:37], v[4:5]
	v_mul_f64_e32 v[4:5], v[34:35], v[4:5]
	s_delay_alu instid0(VALU_DEP_2) | instskip(NEXT) | instid1(VALU_DEP_2)
	v_fma_f64 v[181:182], v[34:35], v[2:3], -v[175:176]
	v_fma_f64 v[183:184], v[36:37], v[2:3], v[4:5]
	ds_load_b128 v[2:5], v1 offset:1776
	s_wait_loadcnt_dscnt 0x901
	v_mul_f64_e32 v[179:180], v[167:168], v[8:9]
	v_mul_f64_e32 v[8:9], v[169:170], v[8:9]
	scratch_load_b128 v[34:37], off, off offset:960
	ds_load_b128 v[175:178], v1 offset:1792
	s_wait_loadcnt_dscnt 0x901
	v_mul_f64_e32 v[185:186], v[2:3], v[12:13]
	v_mul_f64_e32 v[12:13], v[4:5], v[12:13]
	v_fma_f64 v[169:170], v[169:170], v[6:7], v[179:180]
	v_fma_f64 v[6:7], v[167:168], v[6:7], -v[8:9]
	v_add_f64_e32 v[8:9], 0, v[181:182]
	v_add_f64_e32 v[167:168], 0, v[183:184]
	s_wait_loadcnt_dscnt 0x800
	v_mul_f64_e32 v[179:180], v[175:176], v[16:17]
	v_mul_f64_e32 v[16:17], v[177:178], v[16:17]
	v_fma_f64 v[181:182], v[4:5], v[10:11], v[185:186]
	v_fma_f64 v[10:11], v[2:3], v[10:11], -v[12:13]
	v_add_f64_e32 v[12:13], v[8:9], v[6:7]
	v_add_f64_e32 v[167:168], v[167:168], v[169:170]
	ds_load_b128 v[2:5], v1 offset:1808
	ds_load_b128 v[6:9], v1 offset:1824
	v_fma_f64 v[177:178], v[177:178], v[14:15], v[179:180]
	v_fma_f64 v[14:15], v[175:176], v[14:15], -v[16:17]
	s_wait_loadcnt_dscnt 0x701
	v_mul_f64_e32 v[169:170], v[2:3], v[20:21]
	v_mul_f64_e32 v[20:21], v[4:5], v[20:21]
	s_wait_loadcnt_dscnt 0x600
	v_mul_f64_e32 v[16:17], v[6:7], v[24:25]
	v_mul_f64_e32 v[24:25], v[8:9], v[24:25]
	v_add_f64_e32 v[10:11], v[12:13], v[10:11]
	v_add_f64_e32 v[12:13], v[167:168], v[181:182]
	v_fma_f64 v[167:168], v[4:5], v[18:19], v[169:170]
	v_fma_f64 v[18:19], v[2:3], v[18:19], -v[20:21]
	v_fma_f64 v[8:9], v[8:9], v[22:23], v[16:17]
	v_fma_f64 v[6:7], v[6:7], v[22:23], -v[24:25]
	v_add_f64_e32 v[14:15], v[10:11], v[14:15]
	v_add_f64_e32 v[20:21], v[12:13], v[177:178]
	ds_load_b128 v[2:5], v1 offset:1840
	ds_load_b128 v[10:13], v1 offset:1856
	s_wait_loadcnt_dscnt 0x501
	v_mul_f64_e32 v[169:170], v[2:3], v[28:29]
	v_mul_f64_e32 v[28:29], v[4:5], v[28:29]
	v_add_f64_e32 v[14:15], v[14:15], v[18:19]
	v_add_f64_e32 v[16:17], v[20:21], v[167:168]
	s_wait_loadcnt_dscnt 0x400
	v_mul_f64_e32 v[18:19], v[10:11], v[32:33]
	v_mul_f64_e32 v[20:21], v[12:13], v[32:33]
	v_fma_f64 v[22:23], v[4:5], v[26:27], v[169:170]
	v_fma_f64 v[24:25], v[2:3], v[26:27], -v[28:29]
	v_add_f64_e32 v[14:15], v[14:15], v[6:7]
	v_add_f64_e32 v[16:17], v[16:17], v[8:9]
	ds_load_b128 v[2:5], v1 offset:1872
	ds_load_b128 v[6:9], v1 offset:1888
	v_fma_f64 v[12:13], v[12:13], v[30:31], v[18:19]
	v_fma_f64 v[10:11], v[10:11], v[30:31], -v[20:21]
	s_wait_loadcnt_dscnt 0x301
	v_mul_f64_e32 v[26:27], v[2:3], v[40:41]
	v_mul_f64_e32 v[28:29], v[4:5], v[40:41]
	s_wait_loadcnt_dscnt 0x100
	v_mul_f64_e32 v[18:19], v[6:7], v[173:174]
	v_mul_f64_e32 v[20:21], v[8:9], v[173:174]
	v_add_f64_e32 v[14:15], v[14:15], v[24:25]
	v_add_f64_e32 v[16:17], v[16:17], v[22:23]
	v_fma_f64 v[22:23], v[4:5], v[38:39], v[26:27]
	v_fma_f64 v[24:25], v[2:3], v[38:39], -v[28:29]
	ds_load_b128 v[2:5], v1 offset:1904
	v_fma_f64 v[8:9], v[8:9], v[171:172], v[18:19]
	v_fma_f64 v[6:7], v[6:7], v[171:172], -v[20:21]
	v_add_f64_e32 v[10:11], v[14:15], v[10:11]
	v_add_f64_e32 v[12:13], v[16:17], v[12:13]
	s_wait_loadcnt_dscnt 0x0
	v_mul_f64_e32 v[14:15], v[2:3], v[36:37]
	v_mul_f64_e32 v[16:17], v[4:5], v[36:37]
	s_delay_alu instid0(VALU_DEP_4) | instskip(NEXT) | instid1(VALU_DEP_4)
	v_add_f64_e32 v[10:11], v[10:11], v[24:25]
	v_add_f64_e32 v[12:13], v[12:13], v[22:23]
	s_delay_alu instid0(VALU_DEP_4) | instskip(NEXT) | instid1(VALU_DEP_4)
	v_fma_f64 v[4:5], v[4:5], v[34:35], v[14:15]
	v_fma_f64 v[2:3], v[2:3], v[34:35], -v[16:17]
	s_delay_alu instid0(VALU_DEP_4) | instskip(NEXT) | instid1(VALU_DEP_4)
	v_add_f64_e32 v[6:7], v[10:11], v[6:7]
	v_add_f64_e32 v[8:9], v[12:13], v[8:9]
	s_delay_alu instid0(VALU_DEP_2) | instskip(NEXT) | instid1(VALU_DEP_2)
	v_add_f64_e32 v[2:3], v[6:7], v[2:3]
	v_add_f64_e32 v[4:5], v[8:9], v[4:5]
	s_delay_alu instid0(VALU_DEP_2) | instskip(NEXT) | instid1(VALU_DEP_2)
	v_add_f64_e64 v[2:3], v[163:164], -v[2:3]
	v_add_f64_e64 v[4:5], v[165:166], -v[4:5]
	scratch_store_b128 off, v[2:5], off offset:784
	v_cmpx_lt_u32_e32 47, v0
	s_cbranch_execz .LBB123_279
; %bb.278:
	scratch_load_b128 v[5:8], off, s25
	v_dual_mov_b32 v2, v1 :: v_dual_mov_b32 v3, v1
	v_mov_b32_e32 v4, v1
	scratch_store_b128 off, v[1:4], off offset:768
	s_wait_loadcnt 0x0
	ds_store_b128 v162, v[5:8]
.LBB123_279:
	s_wait_alu 0xfffe
	s_or_b32 exec_lo, exec_lo, s0
	s_wait_storecnt_dscnt 0x0
	s_barrier_signal -1
	s_barrier_wait -1
	global_inv scope:SCOPE_SE
	s_clause 0x8
	scratch_load_b128 v[2:5], off, off offset:784
	scratch_load_b128 v[6:9], off, off offset:800
	;; [unrolled: 1-line block ×9, first 2 shown]
	ds_load_b128 v[38:41], v1 offset:1728
	ds_load_b128 v[163:166], v1 offset:1744
	s_clause 0x1
	scratch_load_b128 v[167:170], off, off offset:768
	scratch_load_b128 v[171:174], off, off offset:928
	s_mov_b32 s0, exec_lo
	s_wait_loadcnt_dscnt 0xa01
	v_mul_f64_e32 v[175:176], v[40:41], v[4:5]
	v_mul_f64_e32 v[4:5], v[38:39], v[4:5]
	s_wait_loadcnt_dscnt 0x900
	v_mul_f64_e32 v[179:180], v[163:164], v[8:9]
	v_mul_f64_e32 v[8:9], v[165:166], v[8:9]
	s_delay_alu instid0(VALU_DEP_4) | instskip(NEXT) | instid1(VALU_DEP_4)
	v_fma_f64 v[181:182], v[38:39], v[2:3], -v[175:176]
	v_fma_f64 v[183:184], v[40:41], v[2:3], v[4:5]
	ds_load_b128 v[2:5], v1 offset:1760
	ds_load_b128 v[175:178], v1 offset:1776
	scratch_load_b128 v[38:41], off, off offset:944
	v_fma_f64 v[165:166], v[165:166], v[6:7], v[179:180]
	v_fma_f64 v[163:164], v[163:164], v[6:7], -v[8:9]
	scratch_load_b128 v[6:9], off, off offset:960
	s_wait_loadcnt_dscnt 0xa01
	v_mul_f64_e32 v[185:186], v[2:3], v[12:13]
	v_mul_f64_e32 v[12:13], v[4:5], v[12:13]
	v_add_f64_e32 v[179:180], 0, v[181:182]
	v_add_f64_e32 v[181:182], 0, v[183:184]
	s_wait_loadcnt_dscnt 0x900
	v_mul_f64_e32 v[183:184], v[175:176], v[16:17]
	v_mul_f64_e32 v[16:17], v[177:178], v[16:17]
	v_fma_f64 v[185:186], v[4:5], v[10:11], v[185:186]
	v_fma_f64 v[187:188], v[2:3], v[10:11], -v[12:13]
	ds_load_b128 v[2:5], v1 offset:1792
	ds_load_b128 v[10:13], v1 offset:1808
	v_add_f64_e32 v[163:164], v[179:180], v[163:164]
	v_add_f64_e32 v[165:166], v[181:182], v[165:166]
	v_fma_f64 v[177:178], v[177:178], v[14:15], v[183:184]
	v_fma_f64 v[14:15], v[175:176], v[14:15], -v[16:17]
	s_wait_loadcnt_dscnt 0x801
	v_mul_f64_e32 v[179:180], v[2:3], v[20:21]
	v_mul_f64_e32 v[20:21], v[4:5], v[20:21]
	v_add_f64_e32 v[16:17], v[163:164], v[187:188]
	v_add_f64_e32 v[163:164], v[165:166], v[185:186]
	s_wait_loadcnt_dscnt 0x700
	v_mul_f64_e32 v[165:166], v[10:11], v[24:25]
	v_mul_f64_e32 v[24:25], v[12:13], v[24:25]
	v_fma_f64 v[175:176], v[4:5], v[18:19], v[179:180]
	v_fma_f64 v[18:19], v[2:3], v[18:19], -v[20:21]
	v_add_f64_e32 v[20:21], v[16:17], v[14:15]
	v_add_f64_e32 v[163:164], v[163:164], v[177:178]
	ds_load_b128 v[2:5], v1 offset:1824
	ds_load_b128 v[14:17], v1 offset:1840
	v_fma_f64 v[12:13], v[12:13], v[22:23], v[165:166]
	v_fma_f64 v[10:11], v[10:11], v[22:23], -v[24:25]
	s_wait_loadcnt_dscnt 0x601
	v_mul_f64_e32 v[177:178], v[2:3], v[28:29]
	v_mul_f64_e32 v[28:29], v[4:5], v[28:29]
	s_wait_loadcnt_dscnt 0x500
	v_mul_f64_e32 v[22:23], v[14:15], v[32:33]
	v_mul_f64_e32 v[24:25], v[16:17], v[32:33]
	v_add_f64_e32 v[18:19], v[20:21], v[18:19]
	v_add_f64_e32 v[20:21], v[163:164], v[175:176]
	v_fma_f64 v[32:33], v[4:5], v[26:27], v[177:178]
	v_fma_f64 v[26:27], v[2:3], v[26:27], -v[28:29]
	v_fma_f64 v[16:17], v[16:17], v[30:31], v[22:23]
	v_fma_f64 v[14:15], v[14:15], v[30:31], -v[24:25]
	v_add_f64_e32 v[18:19], v[18:19], v[10:11]
	v_add_f64_e32 v[20:21], v[20:21], v[12:13]
	ds_load_b128 v[2:5], v1 offset:1856
	ds_load_b128 v[10:13], v1 offset:1872
	s_wait_loadcnt_dscnt 0x401
	v_mul_f64_e32 v[28:29], v[2:3], v[36:37]
	v_mul_f64_e32 v[36:37], v[4:5], v[36:37]
	s_wait_loadcnt_dscnt 0x200
	v_mul_f64_e32 v[22:23], v[10:11], v[173:174]
	v_mul_f64_e32 v[24:25], v[12:13], v[173:174]
	v_add_f64_e32 v[18:19], v[18:19], v[26:27]
	v_add_f64_e32 v[20:21], v[20:21], v[32:33]
	v_fma_f64 v[26:27], v[4:5], v[34:35], v[28:29]
	v_fma_f64 v[28:29], v[2:3], v[34:35], -v[36:37]
	v_fma_f64 v[12:13], v[12:13], v[171:172], v[22:23]
	v_fma_f64 v[10:11], v[10:11], v[171:172], -v[24:25]
	v_add_f64_e32 v[18:19], v[18:19], v[14:15]
	v_add_f64_e32 v[20:21], v[20:21], v[16:17]
	ds_load_b128 v[2:5], v1 offset:1888
	ds_load_b128 v[14:17], v1 offset:1904
	s_wait_loadcnt_dscnt 0x101
	v_mul_f64_e32 v[30:31], v[2:3], v[40:41]
	v_mul_f64_e32 v[32:33], v[4:5], v[40:41]
	s_wait_loadcnt_dscnt 0x0
	v_mul_f64_e32 v[22:23], v[14:15], v[8:9]
	v_mul_f64_e32 v[8:9], v[16:17], v[8:9]
	v_add_f64_e32 v[18:19], v[18:19], v[28:29]
	v_add_f64_e32 v[20:21], v[20:21], v[26:27]
	v_fma_f64 v[4:5], v[4:5], v[38:39], v[30:31]
	v_fma_f64 v[1:2], v[2:3], v[38:39], -v[32:33]
	v_fma_f64 v[16:17], v[16:17], v[6:7], v[22:23]
	v_fma_f64 v[6:7], v[14:15], v[6:7], -v[8:9]
	v_add_f64_e32 v[10:11], v[18:19], v[10:11]
	v_add_f64_e32 v[12:13], v[20:21], v[12:13]
	s_delay_alu instid0(VALU_DEP_2) | instskip(NEXT) | instid1(VALU_DEP_2)
	v_add_f64_e32 v[1:2], v[10:11], v[1:2]
	v_add_f64_e32 v[3:4], v[12:13], v[4:5]
	s_delay_alu instid0(VALU_DEP_2) | instskip(NEXT) | instid1(VALU_DEP_2)
	;; [unrolled: 3-line block ×3, first 2 shown]
	v_add_f64_e64 v[1:2], v[167:168], -v[1:2]
	v_add_f64_e64 v[3:4], v[169:170], -v[3:4]
	scratch_store_b128 off, v[1:4], off offset:768
	v_cmpx_lt_u32_e32 46, v0
	s_cbranch_execz .LBB123_281
; %bb.280:
	scratch_load_b128 v[1:4], off, s26
	v_mov_b32_e32 v5, 0
	s_delay_alu instid0(VALU_DEP_1)
	v_dual_mov_b32 v6, v5 :: v_dual_mov_b32 v7, v5
	v_mov_b32_e32 v8, v5
	scratch_store_b128 off, v[5:8], off offset:752
	s_wait_loadcnt 0x0
	ds_store_b128 v162, v[1:4]
.LBB123_281:
	s_wait_alu 0xfffe
	s_or_b32 exec_lo, exec_lo, s0
	s_wait_storecnt_dscnt 0x0
	s_barrier_signal -1
	s_barrier_wait -1
	global_inv scope:SCOPE_SE
	s_clause 0x7
	scratch_load_b128 v[2:5], off, off offset:768
	scratch_load_b128 v[6:9], off, off offset:784
	;; [unrolled: 1-line block ×8, first 2 shown]
	v_mov_b32_e32 v1, 0
	s_clause 0x1
	scratch_load_b128 v[38:41], off, off offset:896
	scratch_load_b128 v[167:170], off, off offset:912
	s_mov_b32 s0, exec_lo
	ds_load_b128 v[34:37], v1 offset:1712
	ds_load_b128 v[163:166], v1 offset:1728
	s_wait_loadcnt_dscnt 0x901
	v_mul_f64_e32 v[171:172], v[36:37], v[4:5]
	v_mul_f64_e32 v[4:5], v[34:35], v[4:5]
	s_wait_loadcnt_dscnt 0x800
	v_mul_f64_e32 v[173:174], v[163:164], v[8:9]
	v_mul_f64_e32 v[8:9], v[165:166], v[8:9]
	s_delay_alu instid0(VALU_DEP_4) | instskip(NEXT) | instid1(VALU_DEP_4)
	v_fma_f64 v[171:172], v[34:35], v[2:3], -v[171:172]
	v_fma_f64 v[175:176], v[36:37], v[2:3], v[4:5]
	ds_load_b128 v[2:5], v1 offset:1744
	scratch_load_b128 v[34:37], off, off offset:928
	v_fma_f64 v[173:174], v[165:166], v[6:7], v[173:174]
	v_fma_f64 v[179:180], v[163:164], v[6:7], -v[8:9]
	ds_load_b128 v[6:9], v1 offset:1760
	scratch_load_b128 v[163:166], off, off offset:944
	s_wait_loadcnt_dscnt 0x901
	v_mul_f64_e32 v[177:178], v[2:3], v[12:13]
	v_mul_f64_e32 v[12:13], v[4:5], v[12:13]
	s_wait_loadcnt_dscnt 0x800
	v_mul_f64_e32 v[181:182], v[6:7], v[16:17]
	v_mul_f64_e32 v[16:17], v[8:9], v[16:17]
	v_add_f64_e32 v[171:172], 0, v[171:172]
	v_add_f64_e32 v[175:176], 0, v[175:176]
	v_fma_f64 v[177:178], v[4:5], v[10:11], v[177:178]
	v_fma_f64 v[183:184], v[2:3], v[10:11], -v[12:13]
	ds_load_b128 v[2:5], v1 offset:1776
	scratch_load_b128 v[10:13], off, off offset:960
	v_add_f64_e32 v[171:172], v[171:172], v[179:180]
	v_add_f64_e32 v[173:174], v[175:176], v[173:174]
	v_fma_f64 v[179:180], v[8:9], v[14:15], v[181:182]
	v_fma_f64 v[14:15], v[6:7], v[14:15], -v[16:17]
	ds_load_b128 v[6:9], v1 offset:1792
	s_wait_loadcnt_dscnt 0x801
	v_mul_f64_e32 v[175:176], v[2:3], v[20:21]
	v_mul_f64_e32 v[20:21], v[4:5], v[20:21]
	v_add_f64_e32 v[16:17], v[171:172], v[183:184]
	v_add_f64_e32 v[171:172], v[173:174], v[177:178]
	s_wait_loadcnt_dscnt 0x700
	v_mul_f64_e32 v[173:174], v[6:7], v[24:25]
	v_mul_f64_e32 v[24:25], v[8:9], v[24:25]
	v_fma_f64 v[175:176], v[4:5], v[18:19], v[175:176]
	v_fma_f64 v[18:19], v[2:3], v[18:19], -v[20:21]
	ds_load_b128 v[2:5], v1 offset:1808
	v_add_f64_e32 v[14:15], v[16:17], v[14:15]
	v_add_f64_e32 v[16:17], v[171:172], v[179:180]
	v_fma_f64 v[171:172], v[8:9], v[22:23], v[173:174]
	v_fma_f64 v[22:23], v[6:7], v[22:23], -v[24:25]
	ds_load_b128 v[6:9], v1 offset:1824
	s_wait_loadcnt_dscnt 0x601
	v_mul_f64_e32 v[20:21], v[2:3], v[28:29]
	v_mul_f64_e32 v[28:29], v[4:5], v[28:29]
	s_wait_loadcnt_dscnt 0x500
	v_mul_f64_e32 v[173:174], v[6:7], v[32:33]
	v_mul_f64_e32 v[32:33], v[8:9], v[32:33]
	v_add_f64_e32 v[18:19], v[14:15], v[18:19]
	v_add_f64_e32 v[24:25], v[16:17], v[175:176]
	scratch_load_b128 v[14:17], off, off offset:752
	v_fma_f64 v[20:21], v[4:5], v[26:27], v[20:21]
	v_fma_f64 v[26:27], v[2:3], v[26:27], -v[28:29]
	ds_load_b128 v[2:5], v1 offset:1840
	s_wait_loadcnt_dscnt 0x500
	v_mul_f64_e32 v[28:29], v[4:5], v[40:41]
	v_add_f64_e32 v[18:19], v[18:19], v[22:23]
	v_add_f64_e32 v[22:23], v[24:25], v[171:172]
	v_mul_f64_e32 v[24:25], v[2:3], v[40:41]
	v_fma_f64 v[40:41], v[8:9], v[30:31], v[173:174]
	v_fma_f64 v[30:31], v[6:7], v[30:31], -v[32:33]
	ds_load_b128 v[6:9], v1 offset:1856
	v_fma_f64 v[28:29], v[2:3], v[38:39], -v[28:29]
	v_add_f64_e32 v[18:19], v[18:19], v[26:27]
	v_add_f64_e32 v[20:21], v[22:23], v[20:21]
	v_fma_f64 v[24:25], v[4:5], v[38:39], v[24:25]
	ds_load_b128 v[2:5], v1 offset:1872
	s_wait_loadcnt_dscnt 0x401
	v_mul_f64_e32 v[22:23], v[6:7], v[169:170]
	v_mul_f64_e32 v[26:27], v[8:9], v[169:170]
	v_add_f64_e32 v[18:19], v[18:19], v[30:31]
	v_add_f64_e32 v[20:21], v[20:21], v[40:41]
	s_delay_alu instid0(VALU_DEP_4) | instskip(NEXT) | instid1(VALU_DEP_4)
	v_fma_f64 v[22:23], v[8:9], v[167:168], v[22:23]
	v_fma_f64 v[26:27], v[6:7], v[167:168], -v[26:27]
	ds_load_b128 v[6:9], v1 offset:1888
	s_wait_loadcnt_dscnt 0x301
	v_mul_f64_e32 v[30:31], v[2:3], v[36:37]
	v_mul_f64_e32 v[32:33], v[4:5], v[36:37]
	v_add_f64_e32 v[18:19], v[18:19], v[28:29]
	v_add_f64_e32 v[20:21], v[20:21], v[24:25]
	s_delay_alu instid0(VALU_DEP_4) | instskip(NEXT) | instid1(VALU_DEP_4)
	v_fma_f64 v[30:31], v[4:5], v[34:35], v[30:31]
	v_fma_f64 v[32:33], v[2:3], v[34:35], -v[32:33]
	ds_load_b128 v[2:5], v1 offset:1904
	s_wait_loadcnt_dscnt 0x201
	v_mul_f64_e32 v[24:25], v[6:7], v[165:166]
	v_mul_f64_e32 v[28:29], v[8:9], v[165:166]
	v_add_f64_e32 v[18:19], v[18:19], v[26:27]
	v_add_f64_e32 v[20:21], v[20:21], v[22:23]
	s_wait_loadcnt_dscnt 0x100
	v_mul_f64_e32 v[22:23], v[2:3], v[12:13]
	v_mul_f64_e32 v[12:13], v[4:5], v[12:13]
	v_fma_f64 v[8:9], v[8:9], v[163:164], v[24:25]
	v_fma_f64 v[6:7], v[6:7], v[163:164], -v[28:29]
	v_add_f64_e32 v[18:19], v[18:19], v[32:33]
	v_add_f64_e32 v[20:21], v[20:21], v[30:31]
	v_fma_f64 v[4:5], v[4:5], v[10:11], v[22:23]
	v_fma_f64 v[2:3], v[2:3], v[10:11], -v[12:13]
	s_delay_alu instid0(VALU_DEP_4) | instskip(NEXT) | instid1(VALU_DEP_4)
	v_add_f64_e32 v[6:7], v[18:19], v[6:7]
	v_add_f64_e32 v[8:9], v[20:21], v[8:9]
	s_delay_alu instid0(VALU_DEP_2) | instskip(NEXT) | instid1(VALU_DEP_2)
	v_add_f64_e32 v[2:3], v[6:7], v[2:3]
	v_add_f64_e32 v[4:5], v[8:9], v[4:5]
	s_wait_loadcnt 0x0
	s_delay_alu instid0(VALU_DEP_2) | instskip(NEXT) | instid1(VALU_DEP_2)
	v_add_f64_e64 v[2:3], v[14:15], -v[2:3]
	v_add_f64_e64 v[4:5], v[16:17], -v[4:5]
	scratch_store_b128 off, v[2:5], off offset:752
	v_cmpx_lt_u32_e32 45, v0
	s_cbranch_execz .LBB123_283
; %bb.282:
	scratch_load_b128 v[5:8], off, s27
	v_dual_mov_b32 v2, v1 :: v_dual_mov_b32 v3, v1
	v_mov_b32_e32 v4, v1
	scratch_store_b128 off, v[1:4], off offset:736
	s_wait_loadcnt 0x0
	ds_store_b128 v162, v[5:8]
.LBB123_283:
	s_wait_alu 0xfffe
	s_or_b32 exec_lo, exec_lo, s0
	s_wait_storecnt_dscnt 0x0
	s_barrier_signal -1
	s_barrier_wait -1
	global_inv scope:SCOPE_SE
	s_clause 0x7
	scratch_load_b128 v[2:5], off, off offset:752
	scratch_load_b128 v[6:9], off, off offset:768
	;; [unrolled: 1-line block ×8, first 2 shown]
	ds_load_b128 v[34:37], v1 offset:1696
	ds_load_b128 v[163:166], v1 offset:1712
	s_clause 0x1
	scratch_load_b128 v[38:41], off, off offset:880
	scratch_load_b128 v[167:170], off, off offset:896
	s_mov_b32 s0, exec_lo
	s_wait_loadcnt_dscnt 0x901
	v_mul_f64_e32 v[171:172], v[36:37], v[4:5]
	v_mul_f64_e32 v[4:5], v[34:35], v[4:5]
	s_wait_loadcnt_dscnt 0x800
	v_mul_f64_e32 v[173:174], v[163:164], v[8:9]
	v_mul_f64_e32 v[8:9], v[165:166], v[8:9]
	s_delay_alu instid0(VALU_DEP_4) | instskip(NEXT) | instid1(VALU_DEP_4)
	v_fma_f64 v[171:172], v[34:35], v[2:3], -v[171:172]
	v_fma_f64 v[175:176], v[36:37], v[2:3], v[4:5]
	ds_load_b128 v[2:5], v1 offset:1728
	scratch_load_b128 v[34:37], off, off offset:912
	v_fma_f64 v[173:174], v[165:166], v[6:7], v[173:174]
	v_fma_f64 v[179:180], v[163:164], v[6:7], -v[8:9]
	ds_load_b128 v[6:9], v1 offset:1744
	scratch_load_b128 v[163:166], off, off offset:928
	s_wait_loadcnt_dscnt 0x901
	v_mul_f64_e32 v[177:178], v[2:3], v[12:13]
	v_mul_f64_e32 v[12:13], v[4:5], v[12:13]
	s_wait_loadcnt_dscnt 0x800
	v_mul_f64_e32 v[181:182], v[6:7], v[16:17]
	v_mul_f64_e32 v[16:17], v[8:9], v[16:17]
	v_add_f64_e32 v[171:172], 0, v[171:172]
	v_add_f64_e32 v[175:176], 0, v[175:176]
	v_fma_f64 v[177:178], v[4:5], v[10:11], v[177:178]
	v_fma_f64 v[183:184], v[2:3], v[10:11], -v[12:13]
	ds_load_b128 v[2:5], v1 offset:1760
	scratch_load_b128 v[10:13], off, off offset:944
	v_add_f64_e32 v[171:172], v[171:172], v[179:180]
	v_add_f64_e32 v[173:174], v[175:176], v[173:174]
	v_fma_f64 v[179:180], v[8:9], v[14:15], v[181:182]
	v_fma_f64 v[181:182], v[6:7], v[14:15], -v[16:17]
	ds_load_b128 v[6:9], v1 offset:1776
	scratch_load_b128 v[14:17], off, off offset:960
	s_wait_loadcnt_dscnt 0x901
	v_mul_f64_e32 v[175:176], v[2:3], v[20:21]
	v_mul_f64_e32 v[20:21], v[4:5], v[20:21]
	v_add_f64_e32 v[171:172], v[171:172], v[183:184]
	v_add_f64_e32 v[173:174], v[173:174], v[177:178]
	s_wait_loadcnt_dscnt 0x800
	v_mul_f64_e32 v[177:178], v[6:7], v[24:25]
	v_mul_f64_e32 v[24:25], v[8:9], v[24:25]
	v_fma_f64 v[175:176], v[4:5], v[18:19], v[175:176]
	v_fma_f64 v[18:19], v[2:3], v[18:19], -v[20:21]
	ds_load_b128 v[2:5], v1 offset:1792
	v_add_f64_e32 v[20:21], v[171:172], v[181:182]
	v_add_f64_e32 v[171:172], v[173:174], v[179:180]
	v_fma_f64 v[177:178], v[8:9], v[22:23], v[177:178]
	v_fma_f64 v[22:23], v[6:7], v[22:23], -v[24:25]
	ds_load_b128 v[6:9], v1 offset:1808
	s_wait_loadcnt_dscnt 0x701
	v_mul_f64_e32 v[173:174], v[2:3], v[28:29]
	v_mul_f64_e32 v[28:29], v[4:5], v[28:29]
	s_wait_loadcnt_dscnt 0x600
	v_mul_f64_e32 v[24:25], v[6:7], v[32:33]
	v_mul_f64_e32 v[32:33], v[8:9], v[32:33]
	v_add_f64_e32 v[18:19], v[20:21], v[18:19]
	v_add_f64_e32 v[20:21], v[171:172], v[175:176]
	v_fma_f64 v[171:172], v[4:5], v[26:27], v[173:174]
	v_fma_f64 v[26:27], v[2:3], v[26:27], -v[28:29]
	ds_load_b128 v[2:5], v1 offset:1824
	v_fma_f64 v[24:25], v[8:9], v[30:31], v[24:25]
	v_fma_f64 v[30:31], v[6:7], v[30:31], -v[32:33]
	ds_load_b128 v[6:9], v1 offset:1840
	v_add_f64_e32 v[22:23], v[18:19], v[22:23]
	v_add_f64_e32 v[28:29], v[20:21], v[177:178]
	scratch_load_b128 v[18:21], off, off offset:736
	s_wait_loadcnt_dscnt 0x601
	v_mul_f64_e32 v[173:174], v[2:3], v[40:41]
	v_mul_f64_e32 v[40:41], v[4:5], v[40:41]
	s_wait_loadcnt_dscnt 0x500
	v_mul_f64_e32 v[32:33], v[8:9], v[169:170]
	v_add_f64_e32 v[22:23], v[22:23], v[26:27]
	v_add_f64_e32 v[26:27], v[28:29], v[171:172]
	v_mul_f64_e32 v[28:29], v[6:7], v[169:170]
	v_fma_f64 v[169:170], v[4:5], v[38:39], v[173:174]
	v_fma_f64 v[38:39], v[2:3], v[38:39], -v[40:41]
	ds_load_b128 v[2:5], v1 offset:1856
	v_fma_f64 v[32:33], v[6:7], v[167:168], -v[32:33]
	v_add_f64_e32 v[22:23], v[22:23], v[30:31]
	v_add_f64_e32 v[24:25], v[26:27], v[24:25]
	v_fma_f64 v[28:29], v[8:9], v[167:168], v[28:29]
	ds_load_b128 v[6:9], v1 offset:1872
	s_wait_loadcnt_dscnt 0x401
	v_mul_f64_e32 v[26:27], v[2:3], v[36:37]
	v_mul_f64_e32 v[30:31], v[4:5], v[36:37]
	s_wait_loadcnt_dscnt 0x300
	v_mul_f64_e32 v[36:37], v[6:7], v[165:166]
	v_add_f64_e32 v[22:23], v[22:23], v[38:39]
	v_add_f64_e32 v[24:25], v[24:25], v[169:170]
	v_mul_f64_e32 v[38:39], v[8:9], v[165:166]
	v_fma_f64 v[26:27], v[4:5], v[34:35], v[26:27]
	v_fma_f64 v[30:31], v[2:3], v[34:35], -v[30:31]
	ds_load_b128 v[2:5], v1 offset:1888
	v_add_f64_e32 v[22:23], v[22:23], v[32:33]
	v_add_f64_e32 v[24:25], v[24:25], v[28:29]
	v_fma_f64 v[32:33], v[8:9], v[163:164], v[36:37]
	v_fma_f64 v[34:35], v[6:7], v[163:164], -v[38:39]
	ds_load_b128 v[6:9], v1 offset:1904
	s_wait_loadcnt_dscnt 0x201
	v_mul_f64_e32 v[28:29], v[2:3], v[12:13]
	v_mul_f64_e32 v[12:13], v[4:5], v[12:13]
	v_add_f64_e32 v[22:23], v[22:23], v[30:31]
	v_add_f64_e32 v[24:25], v[24:25], v[26:27]
	s_wait_loadcnt_dscnt 0x100
	v_mul_f64_e32 v[26:27], v[6:7], v[16:17]
	v_mul_f64_e32 v[16:17], v[8:9], v[16:17]
	v_fma_f64 v[4:5], v[4:5], v[10:11], v[28:29]
	v_fma_f64 v[1:2], v[2:3], v[10:11], -v[12:13]
	v_add_f64_e32 v[10:11], v[22:23], v[34:35]
	v_add_f64_e32 v[12:13], v[24:25], v[32:33]
	v_fma_f64 v[8:9], v[8:9], v[14:15], v[26:27]
	v_fma_f64 v[6:7], v[6:7], v[14:15], -v[16:17]
	s_delay_alu instid0(VALU_DEP_4) | instskip(NEXT) | instid1(VALU_DEP_4)
	v_add_f64_e32 v[1:2], v[10:11], v[1:2]
	v_add_f64_e32 v[3:4], v[12:13], v[4:5]
	s_delay_alu instid0(VALU_DEP_2) | instskip(NEXT) | instid1(VALU_DEP_2)
	v_add_f64_e32 v[1:2], v[1:2], v[6:7]
	v_add_f64_e32 v[3:4], v[3:4], v[8:9]
	s_wait_loadcnt 0x0
	s_delay_alu instid0(VALU_DEP_2) | instskip(NEXT) | instid1(VALU_DEP_2)
	v_add_f64_e64 v[1:2], v[18:19], -v[1:2]
	v_add_f64_e64 v[3:4], v[20:21], -v[3:4]
	scratch_store_b128 off, v[1:4], off offset:736
	v_cmpx_lt_u32_e32 44, v0
	s_cbranch_execz .LBB123_285
; %bb.284:
	scratch_load_b128 v[1:4], off, s28
	v_mov_b32_e32 v5, 0
	s_delay_alu instid0(VALU_DEP_1)
	v_dual_mov_b32 v6, v5 :: v_dual_mov_b32 v7, v5
	v_mov_b32_e32 v8, v5
	scratch_store_b128 off, v[5:8], off offset:720
	s_wait_loadcnt 0x0
	ds_store_b128 v162, v[1:4]
.LBB123_285:
	s_wait_alu 0xfffe
	s_or_b32 exec_lo, exec_lo, s0
	s_wait_storecnt_dscnt 0x0
	s_barrier_signal -1
	s_barrier_wait -1
	global_inv scope:SCOPE_SE
	s_clause 0x7
	scratch_load_b128 v[2:5], off, off offset:736
	scratch_load_b128 v[6:9], off, off offset:752
	;; [unrolled: 1-line block ×8, first 2 shown]
	v_mov_b32_e32 v1, 0
	s_clause 0x1
	scratch_load_b128 v[38:41], off, off offset:864
	scratch_load_b128 v[167:170], off, off offset:880
	s_mov_b32 s0, exec_lo
	ds_load_b128 v[34:37], v1 offset:1680
	ds_load_b128 v[163:166], v1 offset:1696
	s_wait_loadcnt_dscnt 0x901
	v_mul_f64_e32 v[171:172], v[36:37], v[4:5]
	v_mul_f64_e32 v[4:5], v[34:35], v[4:5]
	s_wait_loadcnt_dscnt 0x800
	v_mul_f64_e32 v[173:174], v[163:164], v[8:9]
	v_mul_f64_e32 v[8:9], v[165:166], v[8:9]
	s_delay_alu instid0(VALU_DEP_4) | instskip(NEXT) | instid1(VALU_DEP_4)
	v_fma_f64 v[171:172], v[34:35], v[2:3], -v[171:172]
	v_fma_f64 v[175:176], v[36:37], v[2:3], v[4:5]
	ds_load_b128 v[2:5], v1 offset:1712
	scratch_load_b128 v[34:37], off, off offset:896
	v_fma_f64 v[173:174], v[165:166], v[6:7], v[173:174]
	v_fma_f64 v[179:180], v[163:164], v[6:7], -v[8:9]
	ds_load_b128 v[6:9], v1 offset:1728
	scratch_load_b128 v[163:166], off, off offset:912
	s_wait_loadcnt_dscnt 0x901
	v_mul_f64_e32 v[177:178], v[2:3], v[12:13]
	v_mul_f64_e32 v[12:13], v[4:5], v[12:13]
	s_wait_loadcnt_dscnt 0x800
	v_mul_f64_e32 v[181:182], v[6:7], v[16:17]
	v_mul_f64_e32 v[16:17], v[8:9], v[16:17]
	v_add_f64_e32 v[171:172], 0, v[171:172]
	v_add_f64_e32 v[175:176], 0, v[175:176]
	v_fma_f64 v[177:178], v[4:5], v[10:11], v[177:178]
	v_fma_f64 v[183:184], v[2:3], v[10:11], -v[12:13]
	ds_load_b128 v[2:5], v1 offset:1744
	scratch_load_b128 v[10:13], off, off offset:928
	v_add_f64_e32 v[171:172], v[171:172], v[179:180]
	v_add_f64_e32 v[173:174], v[175:176], v[173:174]
	v_fma_f64 v[179:180], v[8:9], v[14:15], v[181:182]
	v_fma_f64 v[181:182], v[6:7], v[14:15], -v[16:17]
	ds_load_b128 v[6:9], v1 offset:1760
	scratch_load_b128 v[14:17], off, off offset:944
	s_wait_loadcnt_dscnt 0x901
	v_mul_f64_e32 v[175:176], v[2:3], v[20:21]
	v_mul_f64_e32 v[20:21], v[4:5], v[20:21]
	v_add_f64_e32 v[171:172], v[171:172], v[183:184]
	v_add_f64_e32 v[173:174], v[173:174], v[177:178]
	s_wait_loadcnt_dscnt 0x800
	v_mul_f64_e32 v[177:178], v[6:7], v[24:25]
	v_mul_f64_e32 v[24:25], v[8:9], v[24:25]
	v_fma_f64 v[175:176], v[4:5], v[18:19], v[175:176]
	v_fma_f64 v[183:184], v[2:3], v[18:19], -v[20:21]
	ds_load_b128 v[2:5], v1 offset:1776
	scratch_load_b128 v[18:21], off, off offset:960
	v_add_f64_e32 v[171:172], v[171:172], v[181:182]
	v_add_f64_e32 v[173:174], v[173:174], v[179:180]
	v_fma_f64 v[177:178], v[8:9], v[22:23], v[177:178]
	v_fma_f64 v[22:23], v[6:7], v[22:23], -v[24:25]
	ds_load_b128 v[6:9], v1 offset:1792
	s_wait_loadcnt_dscnt 0x801
	v_mul_f64_e32 v[179:180], v[2:3], v[28:29]
	v_mul_f64_e32 v[28:29], v[4:5], v[28:29]
	v_add_f64_e32 v[24:25], v[171:172], v[183:184]
	v_add_f64_e32 v[171:172], v[173:174], v[175:176]
	s_wait_loadcnt_dscnt 0x700
	v_mul_f64_e32 v[173:174], v[6:7], v[32:33]
	v_mul_f64_e32 v[32:33], v[8:9], v[32:33]
	v_fma_f64 v[175:176], v[4:5], v[26:27], v[179:180]
	v_fma_f64 v[26:27], v[2:3], v[26:27], -v[28:29]
	ds_load_b128 v[2:5], v1 offset:1808
	v_add_f64_e32 v[22:23], v[24:25], v[22:23]
	v_add_f64_e32 v[24:25], v[171:172], v[177:178]
	v_fma_f64 v[171:172], v[8:9], v[30:31], v[173:174]
	v_fma_f64 v[30:31], v[6:7], v[30:31], -v[32:33]
	ds_load_b128 v[6:9], v1 offset:1824
	s_wait_loadcnt_dscnt 0x500
	v_mul_f64_e32 v[173:174], v[6:7], v[169:170]
	v_mul_f64_e32 v[169:170], v[8:9], v[169:170]
	v_add_f64_e32 v[26:27], v[22:23], v[26:27]
	v_add_f64_e32 v[32:33], v[24:25], v[175:176]
	scratch_load_b128 v[22:25], off, off offset:720
	v_mul_f64_e32 v[28:29], v[2:3], v[40:41]
	v_mul_f64_e32 v[40:41], v[4:5], v[40:41]
	v_add_f64_e32 v[26:27], v[26:27], v[30:31]
	v_add_f64_e32 v[30:31], v[32:33], v[171:172]
	s_delay_alu instid0(VALU_DEP_4) | instskip(NEXT) | instid1(VALU_DEP_4)
	v_fma_f64 v[28:29], v[4:5], v[38:39], v[28:29]
	v_fma_f64 v[38:39], v[2:3], v[38:39], -v[40:41]
	ds_load_b128 v[2:5], v1 offset:1840
	v_fma_f64 v[40:41], v[8:9], v[167:168], v[173:174]
	v_fma_f64 v[167:168], v[6:7], v[167:168], -v[169:170]
	ds_load_b128 v[6:9], v1 offset:1856
	s_wait_loadcnt_dscnt 0x501
	v_mul_f64_e32 v[32:33], v[2:3], v[36:37]
	v_mul_f64_e32 v[36:37], v[4:5], v[36:37]
	v_add_f64_e32 v[28:29], v[30:31], v[28:29]
	v_add_f64_e32 v[26:27], v[26:27], v[38:39]
	s_wait_loadcnt_dscnt 0x400
	v_mul_f64_e32 v[30:31], v[6:7], v[165:166]
	v_mul_f64_e32 v[38:39], v[8:9], v[165:166]
	v_fma_f64 v[32:33], v[4:5], v[34:35], v[32:33]
	v_fma_f64 v[34:35], v[2:3], v[34:35], -v[36:37]
	ds_load_b128 v[2:5], v1 offset:1872
	v_add_f64_e32 v[28:29], v[28:29], v[40:41]
	v_add_f64_e32 v[26:27], v[26:27], v[167:168]
	v_fma_f64 v[30:31], v[8:9], v[163:164], v[30:31]
	v_fma_f64 v[38:39], v[6:7], v[163:164], -v[38:39]
	ds_load_b128 v[6:9], v1 offset:1888
	s_wait_loadcnt_dscnt 0x301
	v_mul_f64_e32 v[36:37], v[2:3], v[12:13]
	v_mul_f64_e32 v[12:13], v[4:5], v[12:13]
	v_add_f64_e32 v[28:29], v[28:29], v[32:33]
	v_add_f64_e32 v[26:27], v[26:27], v[34:35]
	s_wait_loadcnt_dscnt 0x200
	v_mul_f64_e32 v[32:33], v[6:7], v[16:17]
	v_mul_f64_e32 v[16:17], v[8:9], v[16:17]
	v_fma_f64 v[34:35], v[4:5], v[10:11], v[36:37]
	v_fma_f64 v[10:11], v[2:3], v[10:11], -v[12:13]
	ds_load_b128 v[2:5], v1 offset:1904
	v_add_f64_e32 v[12:13], v[26:27], v[38:39]
	v_add_f64_e32 v[26:27], v[28:29], v[30:31]
	s_wait_loadcnt_dscnt 0x100
	v_mul_f64_e32 v[28:29], v[2:3], v[20:21]
	v_mul_f64_e32 v[20:21], v[4:5], v[20:21]
	v_fma_f64 v[8:9], v[8:9], v[14:15], v[32:33]
	v_fma_f64 v[6:7], v[6:7], v[14:15], -v[16:17]
	v_add_f64_e32 v[10:11], v[12:13], v[10:11]
	v_add_f64_e32 v[12:13], v[26:27], v[34:35]
	v_fma_f64 v[4:5], v[4:5], v[18:19], v[28:29]
	v_fma_f64 v[2:3], v[2:3], v[18:19], -v[20:21]
	s_delay_alu instid0(VALU_DEP_4) | instskip(NEXT) | instid1(VALU_DEP_4)
	v_add_f64_e32 v[6:7], v[10:11], v[6:7]
	v_add_f64_e32 v[8:9], v[12:13], v[8:9]
	s_delay_alu instid0(VALU_DEP_2) | instskip(NEXT) | instid1(VALU_DEP_2)
	v_add_f64_e32 v[2:3], v[6:7], v[2:3]
	v_add_f64_e32 v[4:5], v[8:9], v[4:5]
	s_wait_loadcnt 0x0
	s_delay_alu instid0(VALU_DEP_2) | instskip(NEXT) | instid1(VALU_DEP_2)
	v_add_f64_e64 v[2:3], v[22:23], -v[2:3]
	v_add_f64_e64 v[4:5], v[24:25], -v[4:5]
	scratch_store_b128 off, v[2:5], off offset:720
	v_cmpx_lt_u32_e32 43, v0
	s_cbranch_execz .LBB123_287
; %bb.286:
	scratch_load_b128 v[5:8], off, s29
	v_dual_mov_b32 v2, v1 :: v_dual_mov_b32 v3, v1
	v_mov_b32_e32 v4, v1
	scratch_store_b128 off, v[1:4], off offset:704
	s_wait_loadcnt 0x0
	ds_store_b128 v162, v[5:8]
.LBB123_287:
	s_wait_alu 0xfffe
	s_or_b32 exec_lo, exec_lo, s0
	s_wait_storecnt_dscnt 0x0
	s_barrier_signal -1
	s_barrier_wait -1
	global_inv scope:SCOPE_SE
	s_clause 0x7
	scratch_load_b128 v[2:5], off, off offset:720
	scratch_load_b128 v[6:9], off, off offset:736
	;; [unrolled: 1-line block ×8, first 2 shown]
	ds_load_b128 v[34:37], v1 offset:1664
	ds_load_b128 v[163:166], v1 offset:1680
	s_clause 0x1
	scratch_load_b128 v[38:41], off, off offset:848
	scratch_load_b128 v[167:170], off, off offset:864
	s_mov_b32 s0, exec_lo
	s_wait_loadcnt_dscnt 0x901
	v_mul_f64_e32 v[171:172], v[36:37], v[4:5]
	v_mul_f64_e32 v[4:5], v[34:35], v[4:5]
	s_wait_loadcnt_dscnt 0x800
	v_mul_f64_e32 v[173:174], v[163:164], v[8:9]
	v_mul_f64_e32 v[8:9], v[165:166], v[8:9]
	s_delay_alu instid0(VALU_DEP_4) | instskip(NEXT) | instid1(VALU_DEP_4)
	v_fma_f64 v[171:172], v[34:35], v[2:3], -v[171:172]
	v_fma_f64 v[175:176], v[36:37], v[2:3], v[4:5]
	ds_load_b128 v[2:5], v1 offset:1696
	scratch_load_b128 v[34:37], off, off offset:880
	v_fma_f64 v[173:174], v[165:166], v[6:7], v[173:174]
	v_fma_f64 v[179:180], v[163:164], v[6:7], -v[8:9]
	ds_load_b128 v[6:9], v1 offset:1712
	scratch_load_b128 v[163:166], off, off offset:896
	s_wait_loadcnt_dscnt 0x901
	v_mul_f64_e32 v[177:178], v[2:3], v[12:13]
	v_mul_f64_e32 v[12:13], v[4:5], v[12:13]
	s_wait_loadcnt_dscnt 0x800
	v_mul_f64_e32 v[181:182], v[6:7], v[16:17]
	v_mul_f64_e32 v[16:17], v[8:9], v[16:17]
	v_add_f64_e32 v[171:172], 0, v[171:172]
	v_add_f64_e32 v[175:176], 0, v[175:176]
	v_fma_f64 v[177:178], v[4:5], v[10:11], v[177:178]
	v_fma_f64 v[183:184], v[2:3], v[10:11], -v[12:13]
	ds_load_b128 v[2:5], v1 offset:1728
	scratch_load_b128 v[10:13], off, off offset:912
	v_add_f64_e32 v[171:172], v[171:172], v[179:180]
	v_add_f64_e32 v[173:174], v[175:176], v[173:174]
	v_fma_f64 v[179:180], v[8:9], v[14:15], v[181:182]
	v_fma_f64 v[181:182], v[6:7], v[14:15], -v[16:17]
	ds_load_b128 v[6:9], v1 offset:1744
	scratch_load_b128 v[14:17], off, off offset:928
	s_wait_loadcnt_dscnt 0x901
	v_mul_f64_e32 v[175:176], v[2:3], v[20:21]
	v_mul_f64_e32 v[20:21], v[4:5], v[20:21]
	v_add_f64_e32 v[171:172], v[171:172], v[183:184]
	v_add_f64_e32 v[173:174], v[173:174], v[177:178]
	s_wait_loadcnt_dscnt 0x800
	v_mul_f64_e32 v[177:178], v[6:7], v[24:25]
	v_mul_f64_e32 v[24:25], v[8:9], v[24:25]
	v_fma_f64 v[175:176], v[4:5], v[18:19], v[175:176]
	v_fma_f64 v[183:184], v[2:3], v[18:19], -v[20:21]
	ds_load_b128 v[2:5], v1 offset:1760
	scratch_load_b128 v[18:21], off, off offset:944
	v_add_f64_e32 v[171:172], v[171:172], v[181:182]
	v_add_f64_e32 v[173:174], v[173:174], v[179:180]
	v_fma_f64 v[177:178], v[8:9], v[22:23], v[177:178]
	v_fma_f64 v[181:182], v[6:7], v[22:23], -v[24:25]
	ds_load_b128 v[6:9], v1 offset:1776
	s_wait_loadcnt_dscnt 0x801
	v_mul_f64_e32 v[179:180], v[2:3], v[28:29]
	v_mul_f64_e32 v[28:29], v[4:5], v[28:29]
	scratch_load_b128 v[22:25], off, off offset:960
	v_add_f64_e32 v[171:172], v[171:172], v[183:184]
	v_add_f64_e32 v[173:174], v[173:174], v[175:176]
	s_wait_loadcnt_dscnt 0x800
	v_mul_f64_e32 v[175:176], v[6:7], v[32:33]
	v_mul_f64_e32 v[32:33], v[8:9], v[32:33]
	v_fma_f64 v[179:180], v[4:5], v[26:27], v[179:180]
	v_fma_f64 v[26:27], v[2:3], v[26:27], -v[28:29]
	ds_load_b128 v[2:5], v1 offset:1792
	v_add_f64_e32 v[28:29], v[171:172], v[181:182]
	v_add_f64_e32 v[171:172], v[173:174], v[177:178]
	v_fma_f64 v[175:176], v[8:9], v[30:31], v[175:176]
	v_fma_f64 v[30:31], v[6:7], v[30:31], -v[32:33]
	ds_load_b128 v[6:9], v1 offset:1808
	s_wait_loadcnt_dscnt 0x701
	v_mul_f64_e32 v[173:174], v[2:3], v[40:41]
	v_mul_f64_e32 v[40:41], v[4:5], v[40:41]
	v_add_f64_e32 v[26:27], v[28:29], v[26:27]
	v_add_f64_e32 v[28:29], v[171:172], v[179:180]
	s_delay_alu instid0(VALU_DEP_4) | instskip(NEXT) | instid1(VALU_DEP_4)
	v_fma_f64 v[171:172], v[4:5], v[38:39], v[173:174]
	v_fma_f64 v[38:39], v[2:3], v[38:39], -v[40:41]
	ds_load_b128 v[2:5], v1 offset:1824
	v_add_f64_e32 v[30:31], v[26:27], v[30:31]
	v_add_f64_e32 v[40:41], v[28:29], v[175:176]
	scratch_load_b128 v[26:29], off, off offset:704
	s_wait_loadcnt_dscnt 0x701
	v_mul_f64_e32 v[32:33], v[6:7], v[169:170]
	v_mul_f64_e32 v[169:170], v[8:9], v[169:170]
	v_add_f64_e32 v[30:31], v[30:31], v[38:39]
	v_add_f64_e32 v[38:39], v[40:41], v[171:172]
	s_delay_alu instid0(VALU_DEP_4) | instskip(NEXT) | instid1(VALU_DEP_4)
	v_fma_f64 v[32:33], v[8:9], v[167:168], v[32:33]
	v_fma_f64 v[167:168], v[6:7], v[167:168], -v[169:170]
	ds_load_b128 v[6:9], v1 offset:1840
	s_wait_loadcnt_dscnt 0x601
	v_mul_f64_e32 v[173:174], v[2:3], v[36:37]
	v_mul_f64_e32 v[36:37], v[4:5], v[36:37]
	s_wait_loadcnt_dscnt 0x500
	v_mul_f64_e32 v[40:41], v[6:7], v[165:166]
	v_mul_f64_e32 v[165:166], v[8:9], v[165:166]
	v_add_f64_e32 v[32:33], v[38:39], v[32:33]
	v_add_f64_e32 v[30:31], v[30:31], v[167:168]
	v_fma_f64 v[169:170], v[4:5], v[34:35], v[173:174]
	v_fma_f64 v[34:35], v[2:3], v[34:35], -v[36:37]
	ds_load_b128 v[2:5], v1 offset:1856
	v_fma_f64 v[38:39], v[8:9], v[163:164], v[40:41]
	v_fma_f64 v[40:41], v[6:7], v[163:164], -v[165:166]
	ds_load_b128 v[6:9], v1 offset:1872
	s_wait_loadcnt_dscnt 0x401
	v_mul_f64_e32 v[36:37], v[2:3], v[12:13]
	v_mul_f64_e32 v[12:13], v[4:5], v[12:13]
	v_add_f64_e32 v[32:33], v[32:33], v[169:170]
	v_add_f64_e32 v[30:31], v[30:31], v[34:35]
	s_wait_loadcnt_dscnt 0x300
	v_mul_f64_e32 v[34:35], v[6:7], v[16:17]
	v_mul_f64_e32 v[16:17], v[8:9], v[16:17]
	v_fma_f64 v[36:37], v[4:5], v[10:11], v[36:37]
	v_fma_f64 v[10:11], v[2:3], v[10:11], -v[12:13]
	ds_load_b128 v[2:5], v1 offset:1888
	v_add_f64_e32 v[12:13], v[30:31], v[40:41]
	v_add_f64_e32 v[30:31], v[32:33], v[38:39]
	v_fma_f64 v[34:35], v[8:9], v[14:15], v[34:35]
	v_fma_f64 v[14:15], v[6:7], v[14:15], -v[16:17]
	ds_load_b128 v[6:9], v1 offset:1904
	s_wait_loadcnt_dscnt 0x201
	v_mul_f64_e32 v[32:33], v[2:3], v[20:21]
	v_mul_f64_e32 v[20:21], v[4:5], v[20:21]
	s_wait_loadcnt_dscnt 0x100
	v_mul_f64_e32 v[16:17], v[6:7], v[24:25]
	v_mul_f64_e32 v[24:25], v[8:9], v[24:25]
	v_add_f64_e32 v[10:11], v[12:13], v[10:11]
	v_add_f64_e32 v[12:13], v[30:31], v[36:37]
	v_fma_f64 v[4:5], v[4:5], v[18:19], v[32:33]
	v_fma_f64 v[1:2], v[2:3], v[18:19], -v[20:21]
	v_fma_f64 v[8:9], v[8:9], v[22:23], v[16:17]
	v_fma_f64 v[6:7], v[6:7], v[22:23], -v[24:25]
	v_add_f64_e32 v[10:11], v[10:11], v[14:15]
	v_add_f64_e32 v[12:13], v[12:13], v[34:35]
	s_delay_alu instid0(VALU_DEP_2) | instskip(NEXT) | instid1(VALU_DEP_2)
	v_add_f64_e32 v[1:2], v[10:11], v[1:2]
	v_add_f64_e32 v[3:4], v[12:13], v[4:5]
	s_delay_alu instid0(VALU_DEP_2) | instskip(NEXT) | instid1(VALU_DEP_2)
	v_add_f64_e32 v[1:2], v[1:2], v[6:7]
	v_add_f64_e32 v[3:4], v[3:4], v[8:9]
	s_wait_loadcnt 0x0
	s_delay_alu instid0(VALU_DEP_2) | instskip(NEXT) | instid1(VALU_DEP_2)
	v_add_f64_e64 v[1:2], v[26:27], -v[1:2]
	v_add_f64_e64 v[3:4], v[28:29], -v[3:4]
	scratch_store_b128 off, v[1:4], off offset:704
	v_cmpx_lt_u32_e32 42, v0
	s_cbranch_execz .LBB123_289
; %bb.288:
	scratch_load_b128 v[1:4], off, s30
	v_mov_b32_e32 v5, 0
	s_delay_alu instid0(VALU_DEP_1)
	v_dual_mov_b32 v6, v5 :: v_dual_mov_b32 v7, v5
	v_mov_b32_e32 v8, v5
	scratch_store_b128 off, v[5:8], off offset:688
	s_wait_loadcnt 0x0
	ds_store_b128 v162, v[1:4]
.LBB123_289:
	s_wait_alu 0xfffe
	s_or_b32 exec_lo, exec_lo, s0
	s_wait_storecnt_dscnt 0x0
	s_barrier_signal -1
	s_barrier_wait -1
	global_inv scope:SCOPE_SE
	s_clause 0x7
	scratch_load_b128 v[2:5], off, off offset:704
	scratch_load_b128 v[6:9], off, off offset:720
	;; [unrolled: 1-line block ×8, first 2 shown]
	v_mov_b32_e32 v1, 0
	s_clause 0x1
	scratch_load_b128 v[38:41], off, off offset:832
	scratch_load_b128 v[167:170], off, off offset:848
	s_mov_b32 s0, exec_lo
	ds_load_b128 v[34:37], v1 offset:1648
	ds_load_b128 v[163:166], v1 offset:1664
	s_wait_loadcnt_dscnt 0x901
	v_mul_f64_e32 v[171:172], v[36:37], v[4:5]
	v_mul_f64_e32 v[4:5], v[34:35], v[4:5]
	s_wait_loadcnt_dscnt 0x800
	v_mul_f64_e32 v[173:174], v[163:164], v[8:9]
	v_mul_f64_e32 v[8:9], v[165:166], v[8:9]
	s_delay_alu instid0(VALU_DEP_4) | instskip(NEXT) | instid1(VALU_DEP_4)
	v_fma_f64 v[171:172], v[34:35], v[2:3], -v[171:172]
	v_fma_f64 v[175:176], v[36:37], v[2:3], v[4:5]
	ds_load_b128 v[2:5], v1 offset:1680
	scratch_load_b128 v[34:37], off, off offset:864
	v_fma_f64 v[173:174], v[165:166], v[6:7], v[173:174]
	v_fma_f64 v[179:180], v[163:164], v[6:7], -v[8:9]
	ds_load_b128 v[6:9], v1 offset:1696
	scratch_load_b128 v[163:166], off, off offset:880
	s_wait_loadcnt_dscnt 0x901
	v_mul_f64_e32 v[177:178], v[2:3], v[12:13]
	v_mul_f64_e32 v[12:13], v[4:5], v[12:13]
	s_wait_loadcnt_dscnt 0x800
	v_mul_f64_e32 v[181:182], v[6:7], v[16:17]
	v_mul_f64_e32 v[16:17], v[8:9], v[16:17]
	v_add_f64_e32 v[171:172], 0, v[171:172]
	v_add_f64_e32 v[175:176], 0, v[175:176]
	v_fma_f64 v[177:178], v[4:5], v[10:11], v[177:178]
	v_fma_f64 v[183:184], v[2:3], v[10:11], -v[12:13]
	ds_load_b128 v[2:5], v1 offset:1712
	scratch_load_b128 v[10:13], off, off offset:896
	v_add_f64_e32 v[171:172], v[171:172], v[179:180]
	v_add_f64_e32 v[173:174], v[175:176], v[173:174]
	v_fma_f64 v[179:180], v[8:9], v[14:15], v[181:182]
	v_fma_f64 v[181:182], v[6:7], v[14:15], -v[16:17]
	ds_load_b128 v[6:9], v1 offset:1728
	scratch_load_b128 v[14:17], off, off offset:912
	s_wait_loadcnt_dscnt 0x901
	v_mul_f64_e32 v[175:176], v[2:3], v[20:21]
	v_mul_f64_e32 v[20:21], v[4:5], v[20:21]
	v_add_f64_e32 v[171:172], v[171:172], v[183:184]
	v_add_f64_e32 v[173:174], v[173:174], v[177:178]
	s_wait_loadcnt_dscnt 0x800
	v_mul_f64_e32 v[177:178], v[6:7], v[24:25]
	v_mul_f64_e32 v[24:25], v[8:9], v[24:25]
	v_fma_f64 v[175:176], v[4:5], v[18:19], v[175:176]
	v_fma_f64 v[183:184], v[2:3], v[18:19], -v[20:21]
	ds_load_b128 v[2:5], v1 offset:1744
	scratch_load_b128 v[18:21], off, off offset:928
	v_add_f64_e32 v[171:172], v[171:172], v[181:182]
	v_add_f64_e32 v[173:174], v[173:174], v[179:180]
	v_fma_f64 v[177:178], v[8:9], v[22:23], v[177:178]
	v_fma_f64 v[181:182], v[6:7], v[22:23], -v[24:25]
	ds_load_b128 v[6:9], v1 offset:1760
	s_wait_loadcnt_dscnt 0x801
	v_mul_f64_e32 v[179:180], v[2:3], v[28:29]
	v_mul_f64_e32 v[28:29], v[4:5], v[28:29]
	scratch_load_b128 v[22:25], off, off offset:944
	v_add_f64_e32 v[171:172], v[171:172], v[183:184]
	v_add_f64_e32 v[173:174], v[173:174], v[175:176]
	s_wait_loadcnt_dscnt 0x800
	v_mul_f64_e32 v[175:176], v[6:7], v[32:33]
	v_mul_f64_e32 v[32:33], v[8:9], v[32:33]
	v_fma_f64 v[179:180], v[4:5], v[26:27], v[179:180]
	v_fma_f64 v[183:184], v[2:3], v[26:27], -v[28:29]
	ds_load_b128 v[2:5], v1 offset:1776
	scratch_load_b128 v[26:29], off, off offset:960
	v_add_f64_e32 v[171:172], v[171:172], v[181:182]
	v_add_f64_e32 v[173:174], v[173:174], v[177:178]
	v_fma_f64 v[175:176], v[8:9], v[30:31], v[175:176]
	v_fma_f64 v[30:31], v[6:7], v[30:31], -v[32:33]
	ds_load_b128 v[6:9], v1 offset:1792
	s_wait_loadcnt_dscnt 0x801
	v_mul_f64_e32 v[177:178], v[2:3], v[40:41]
	v_mul_f64_e32 v[40:41], v[4:5], v[40:41]
	v_add_f64_e32 v[32:33], v[171:172], v[183:184]
	v_add_f64_e32 v[171:172], v[173:174], v[179:180]
	s_wait_loadcnt_dscnt 0x700
	v_mul_f64_e32 v[173:174], v[6:7], v[169:170]
	v_mul_f64_e32 v[169:170], v[8:9], v[169:170]
	v_fma_f64 v[177:178], v[4:5], v[38:39], v[177:178]
	v_fma_f64 v[38:39], v[2:3], v[38:39], -v[40:41]
	ds_load_b128 v[2:5], v1 offset:1808
	v_add_f64_e32 v[30:31], v[32:33], v[30:31]
	v_add_f64_e32 v[32:33], v[171:172], v[175:176]
	v_fma_f64 v[171:172], v[8:9], v[167:168], v[173:174]
	v_fma_f64 v[167:168], v[6:7], v[167:168], -v[169:170]
	ds_load_b128 v[6:9], v1 offset:1824
	s_wait_loadcnt_dscnt 0x500
	v_mul_f64_e32 v[173:174], v[6:7], v[165:166]
	v_mul_f64_e32 v[165:166], v[8:9], v[165:166]
	v_add_f64_e32 v[38:39], v[30:31], v[38:39]
	v_add_f64_e32 v[169:170], v[32:33], v[177:178]
	scratch_load_b128 v[30:33], off, off offset:688
	v_mul_f64_e32 v[40:41], v[2:3], v[36:37]
	v_mul_f64_e32 v[36:37], v[4:5], v[36:37]
	s_delay_alu instid0(VALU_DEP_2) | instskip(NEXT) | instid1(VALU_DEP_2)
	v_fma_f64 v[40:41], v[4:5], v[34:35], v[40:41]
	v_fma_f64 v[34:35], v[2:3], v[34:35], -v[36:37]
	v_add_f64_e32 v[36:37], v[38:39], v[167:168]
	v_add_f64_e32 v[38:39], v[169:170], v[171:172]
	ds_load_b128 v[2:5], v1 offset:1840
	v_fma_f64 v[169:170], v[8:9], v[163:164], v[173:174]
	v_fma_f64 v[163:164], v[6:7], v[163:164], -v[165:166]
	ds_load_b128 v[6:9], v1 offset:1856
	s_wait_loadcnt_dscnt 0x501
	v_mul_f64_e32 v[167:168], v[2:3], v[12:13]
	v_mul_f64_e32 v[12:13], v[4:5], v[12:13]
	v_add_f64_e32 v[34:35], v[36:37], v[34:35]
	v_add_f64_e32 v[36:37], v[38:39], v[40:41]
	s_wait_loadcnt_dscnt 0x400
	v_mul_f64_e32 v[38:39], v[6:7], v[16:17]
	v_mul_f64_e32 v[16:17], v[8:9], v[16:17]
	v_fma_f64 v[40:41], v[4:5], v[10:11], v[167:168]
	v_fma_f64 v[10:11], v[2:3], v[10:11], -v[12:13]
	ds_load_b128 v[2:5], v1 offset:1872
	v_add_f64_e32 v[12:13], v[34:35], v[163:164]
	v_add_f64_e32 v[34:35], v[36:37], v[169:170]
	v_fma_f64 v[38:39], v[8:9], v[14:15], v[38:39]
	v_fma_f64 v[14:15], v[6:7], v[14:15], -v[16:17]
	ds_load_b128 v[6:9], v1 offset:1888
	s_wait_loadcnt_dscnt 0x301
	v_mul_f64_e32 v[36:37], v[2:3], v[20:21]
	v_mul_f64_e32 v[20:21], v[4:5], v[20:21]
	s_wait_loadcnt_dscnt 0x200
	v_mul_f64_e32 v[16:17], v[6:7], v[24:25]
	v_mul_f64_e32 v[24:25], v[8:9], v[24:25]
	v_add_f64_e32 v[10:11], v[12:13], v[10:11]
	v_add_f64_e32 v[12:13], v[34:35], v[40:41]
	v_fma_f64 v[34:35], v[4:5], v[18:19], v[36:37]
	v_fma_f64 v[18:19], v[2:3], v[18:19], -v[20:21]
	ds_load_b128 v[2:5], v1 offset:1904
	v_fma_f64 v[8:9], v[8:9], v[22:23], v[16:17]
	v_fma_f64 v[6:7], v[6:7], v[22:23], -v[24:25]
	s_wait_loadcnt_dscnt 0x100
	v_mul_f64_e32 v[20:21], v[4:5], v[28:29]
	v_add_f64_e32 v[10:11], v[10:11], v[14:15]
	v_add_f64_e32 v[12:13], v[12:13], v[38:39]
	v_mul_f64_e32 v[14:15], v[2:3], v[28:29]
	s_delay_alu instid0(VALU_DEP_4) | instskip(NEXT) | instid1(VALU_DEP_4)
	v_fma_f64 v[2:3], v[2:3], v[26:27], -v[20:21]
	v_add_f64_e32 v[10:11], v[10:11], v[18:19]
	s_delay_alu instid0(VALU_DEP_4) | instskip(NEXT) | instid1(VALU_DEP_4)
	v_add_f64_e32 v[12:13], v[12:13], v[34:35]
	v_fma_f64 v[4:5], v[4:5], v[26:27], v[14:15]
	s_delay_alu instid0(VALU_DEP_3) | instskip(NEXT) | instid1(VALU_DEP_3)
	v_add_f64_e32 v[6:7], v[10:11], v[6:7]
	v_add_f64_e32 v[8:9], v[12:13], v[8:9]
	s_delay_alu instid0(VALU_DEP_2) | instskip(NEXT) | instid1(VALU_DEP_2)
	v_add_f64_e32 v[2:3], v[6:7], v[2:3]
	v_add_f64_e32 v[4:5], v[8:9], v[4:5]
	s_wait_loadcnt 0x0
	s_delay_alu instid0(VALU_DEP_2) | instskip(NEXT) | instid1(VALU_DEP_2)
	v_add_f64_e64 v[2:3], v[30:31], -v[2:3]
	v_add_f64_e64 v[4:5], v[32:33], -v[4:5]
	scratch_store_b128 off, v[2:5], off offset:688
	v_cmpx_lt_u32_e32 41, v0
	s_cbranch_execz .LBB123_291
; %bb.290:
	scratch_load_b128 v[5:8], off, s31
	v_dual_mov_b32 v2, v1 :: v_dual_mov_b32 v3, v1
	v_mov_b32_e32 v4, v1
	scratch_store_b128 off, v[1:4], off offset:672
	s_wait_loadcnt 0x0
	ds_store_b128 v162, v[5:8]
.LBB123_291:
	s_wait_alu 0xfffe
	s_or_b32 exec_lo, exec_lo, s0
	s_wait_storecnt_dscnt 0x0
	s_barrier_signal -1
	s_barrier_wait -1
	global_inv scope:SCOPE_SE
	s_clause 0x7
	scratch_load_b128 v[2:5], off, off offset:688
	scratch_load_b128 v[6:9], off, off offset:704
	;; [unrolled: 1-line block ×8, first 2 shown]
	ds_load_b128 v[34:37], v1 offset:1632
	ds_load_b128 v[163:166], v1 offset:1648
	s_clause 0x1
	scratch_load_b128 v[38:41], off, off offset:816
	scratch_load_b128 v[167:170], off, off offset:832
	s_mov_b32 s0, exec_lo
	s_wait_loadcnt_dscnt 0x901
	v_mul_f64_e32 v[171:172], v[36:37], v[4:5]
	v_mul_f64_e32 v[4:5], v[34:35], v[4:5]
	s_wait_loadcnt_dscnt 0x800
	v_mul_f64_e32 v[173:174], v[163:164], v[8:9]
	v_mul_f64_e32 v[8:9], v[165:166], v[8:9]
	s_delay_alu instid0(VALU_DEP_4) | instskip(NEXT) | instid1(VALU_DEP_4)
	v_fma_f64 v[171:172], v[34:35], v[2:3], -v[171:172]
	v_fma_f64 v[175:176], v[36:37], v[2:3], v[4:5]
	scratch_load_b128 v[34:37], off, off offset:848
	ds_load_b128 v[2:5], v1 offset:1664
	v_fma_f64 v[173:174], v[165:166], v[6:7], v[173:174]
	v_fma_f64 v[179:180], v[163:164], v[6:7], -v[8:9]
	ds_load_b128 v[6:9], v1 offset:1680
	scratch_load_b128 v[163:166], off, off offset:864
	s_wait_loadcnt_dscnt 0x901
	v_mul_f64_e32 v[177:178], v[2:3], v[12:13]
	v_mul_f64_e32 v[12:13], v[4:5], v[12:13]
	s_wait_loadcnt_dscnt 0x800
	v_mul_f64_e32 v[181:182], v[6:7], v[16:17]
	v_mul_f64_e32 v[16:17], v[8:9], v[16:17]
	v_add_f64_e32 v[171:172], 0, v[171:172]
	v_add_f64_e32 v[175:176], 0, v[175:176]
	v_fma_f64 v[177:178], v[4:5], v[10:11], v[177:178]
	v_fma_f64 v[183:184], v[2:3], v[10:11], -v[12:13]
	ds_load_b128 v[2:5], v1 offset:1696
	scratch_load_b128 v[10:13], off, off offset:880
	v_add_f64_e32 v[171:172], v[171:172], v[179:180]
	v_add_f64_e32 v[173:174], v[175:176], v[173:174]
	v_fma_f64 v[179:180], v[8:9], v[14:15], v[181:182]
	v_fma_f64 v[181:182], v[6:7], v[14:15], -v[16:17]
	ds_load_b128 v[6:9], v1 offset:1712
	scratch_load_b128 v[14:17], off, off offset:896
	s_wait_loadcnt_dscnt 0x901
	v_mul_f64_e32 v[175:176], v[2:3], v[20:21]
	v_mul_f64_e32 v[20:21], v[4:5], v[20:21]
	v_add_f64_e32 v[171:172], v[171:172], v[183:184]
	v_add_f64_e32 v[173:174], v[173:174], v[177:178]
	s_wait_loadcnt_dscnt 0x800
	v_mul_f64_e32 v[177:178], v[6:7], v[24:25]
	v_mul_f64_e32 v[24:25], v[8:9], v[24:25]
	v_fma_f64 v[175:176], v[4:5], v[18:19], v[175:176]
	v_fma_f64 v[183:184], v[2:3], v[18:19], -v[20:21]
	ds_load_b128 v[2:5], v1 offset:1728
	scratch_load_b128 v[18:21], off, off offset:912
	v_add_f64_e32 v[171:172], v[171:172], v[181:182]
	v_add_f64_e32 v[173:174], v[173:174], v[179:180]
	v_fma_f64 v[177:178], v[8:9], v[22:23], v[177:178]
	v_fma_f64 v[181:182], v[6:7], v[22:23], -v[24:25]
	ds_load_b128 v[6:9], v1 offset:1744
	s_wait_loadcnt_dscnt 0x801
	v_mul_f64_e32 v[179:180], v[2:3], v[28:29]
	v_mul_f64_e32 v[28:29], v[4:5], v[28:29]
	scratch_load_b128 v[22:25], off, off offset:928
	v_add_f64_e32 v[171:172], v[171:172], v[183:184]
	v_add_f64_e32 v[173:174], v[173:174], v[175:176]
	s_wait_loadcnt_dscnt 0x800
	v_mul_f64_e32 v[175:176], v[6:7], v[32:33]
	v_mul_f64_e32 v[32:33], v[8:9], v[32:33]
	v_fma_f64 v[179:180], v[4:5], v[26:27], v[179:180]
	v_fma_f64 v[183:184], v[2:3], v[26:27], -v[28:29]
	ds_load_b128 v[2:5], v1 offset:1760
	scratch_load_b128 v[26:29], off, off offset:944
	v_add_f64_e32 v[171:172], v[171:172], v[181:182]
	v_add_f64_e32 v[173:174], v[173:174], v[177:178]
	v_fma_f64 v[175:176], v[8:9], v[30:31], v[175:176]
	v_fma_f64 v[181:182], v[6:7], v[30:31], -v[32:33]
	ds_load_b128 v[6:9], v1 offset:1776
	s_wait_loadcnt_dscnt 0x801
	v_mul_f64_e32 v[177:178], v[2:3], v[40:41]
	v_mul_f64_e32 v[40:41], v[4:5], v[40:41]
	scratch_load_b128 v[30:33], off, off offset:960
	v_add_f64_e32 v[171:172], v[171:172], v[183:184]
	v_add_f64_e32 v[173:174], v[173:174], v[179:180]
	v_fma_f64 v[177:178], v[4:5], v[38:39], v[177:178]
	v_fma_f64 v[38:39], v[2:3], v[38:39], -v[40:41]
	ds_load_b128 v[2:5], v1 offset:1792
	v_add_f64_e32 v[40:41], v[171:172], v[181:182]
	v_add_f64_e32 v[171:172], v[173:174], v[175:176]
	s_wait_loadcnt_dscnt 0x700
	v_mul_f64_e32 v[173:174], v[2:3], v[36:37]
	v_mul_f64_e32 v[36:37], v[4:5], v[36:37]
	s_delay_alu instid0(VALU_DEP_4) | instskip(NEXT) | instid1(VALU_DEP_4)
	v_add_f64_e32 v[38:39], v[40:41], v[38:39]
	v_add_f64_e32 v[40:41], v[171:172], v[177:178]
	s_delay_alu instid0(VALU_DEP_4) | instskip(NEXT) | instid1(VALU_DEP_4)
	v_fma_f64 v[171:172], v[4:5], v[34:35], v[173:174]
	v_fma_f64 v[173:174], v[2:3], v[34:35], -v[36:37]
	scratch_load_b128 v[34:37], off, off offset:672
	v_mul_f64_e32 v[179:180], v[6:7], v[169:170]
	v_mul_f64_e32 v[169:170], v[8:9], v[169:170]
	ds_load_b128 v[2:5], v1 offset:1824
	v_fma_f64 v[175:176], v[8:9], v[167:168], v[179:180]
	v_fma_f64 v[167:168], v[6:7], v[167:168], -v[169:170]
	ds_load_b128 v[6:9], v1 offset:1808
	s_wait_loadcnt_dscnt 0x700
	v_mul_f64_e32 v[169:170], v[6:7], v[165:166]
	v_mul_f64_e32 v[165:166], v[8:9], v[165:166]
	v_add_f64_e32 v[40:41], v[40:41], v[175:176]
	v_add_f64_e32 v[38:39], v[38:39], v[167:168]
	s_wait_loadcnt 0x6
	v_mul_f64_e32 v[167:168], v[2:3], v[12:13]
	v_mul_f64_e32 v[12:13], v[4:5], v[12:13]
	v_fma_f64 v[169:170], v[8:9], v[163:164], v[169:170]
	v_fma_f64 v[163:164], v[6:7], v[163:164], -v[165:166]
	ds_load_b128 v[6:9], v1 offset:1840
	v_add_f64_e32 v[40:41], v[40:41], v[171:172]
	v_add_f64_e32 v[38:39], v[38:39], v[173:174]
	v_fma_f64 v[167:168], v[4:5], v[10:11], v[167:168]
	v_fma_f64 v[10:11], v[2:3], v[10:11], -v[12:13]
	ds_load_b128 v[2:5], v1 offset:1856
	s_wait_loadcnt_dscnt 0x501
	v_mul_f64_e32 v[165:166], v[6:7], v[16:17]
	v_mul_f64_e32 v[16:17], v[8:9], v[16:17]
	v_add_f64_e32 v[12:13], v[38:39], v[163:164]
	v_add_f64_e32 v[38:39], v[40:41], v[169:170]
	s_wait_loadcnt_dscnt 0x400
	v_mul_f64_e32 v[40:41], v[2:3], v[20:21]
	v_mul_f64_e32 v[20:21], v[4:5], v[20:21]
	v_fma_f64 v[163:164], v[8:9], v[14:15], v[165:166]
	v_fma_f64 v[14:15], v[6:7], v[14:15], -v[16:17]
	ds_load_b128 v[6:9], v1 offset:1872
	v_add_f64_e32 v[10:11], v[12:13], v[10:11]
	v_add_f64_e32 v[12:13], v[38:39], v[167:168]
	v_fma_f64 v[38:39], v[4:5], v[18:19], v[40:41]
	v_fma_f64 v[18:19], v[2:3], v[18:19], -v[20:21]
	ds_load_b128 v[2:5], v1 offset:1888
	s_wait_loadcnt_dscnt 0x301
	v_mul_f64_e32 v[16:17], v[6:7], v[24:25]
	v_mul_f64_e32 v[24:25], v[8:9], v[24:25]
	s_wait_loadcnt_dscnt 0x200
	v_mul_f64_e32 v[20:21], v[4:5], v[28:29]
	v_add_f64_e32 v[10:11], v[10:11], v[14:15]
	v_add_f64_e32 v[12:13], v[12:13], v[163:164]
	v_mul_f64_e32 v[14:15], v[2:3], v[28:29]
	v_fma_f64 v[16:17], v[8:9], v[22:23], v[16:17]
	v_fma_f64 v[22:23], v[6:7], v[22:23], -v[24:25]
	ds_load_b128 v[6:9], v1 offset:1904
	v_fma_f64 v[1:2], v[2:3], v[26:27], -v[20:21]
	s_wait_loadcnt_dscnt 0x100
	v_mul_f64_e32 v[24:25], v[8:9], v[32:33]
	v_add_f64_e32 v[10:11], v[10:11], v[18:19]
	v_add_f64_e32 v[12:13], v[12:13], v[38:39]
	v_mul_f64_e32 v[18:19], v[6:7], v[32:33]
	v_fma_f64 v[4:5], v[4:5], v[26:27], v[14:15]
	v_fma_f64 v[6:7], v[6:7], v[30:31], -v[24:25]
	v_add_f64_e32 v[10:11], v[10:11], v[22:23]
	v_add_f64_e32 v[12:13], v[12:13], v[16:17]
	v_fma_f64 v[8:9], v[8:9], v[30:31], v[18:19]
	s_delay_alu instid0(VALU_DEP_3) | instskip(NEXT) | instid1(VALU_DEP_3)
	v_add_f64_e32 v[1:2], v[10:11], v[1:2]
	v_add_f64_e32 v[3:4], v[12:13], v[4:5]
	s_delay_alu instid0(VALU_DEP_2) | instskip(NEXT) | instid1(VALU_DEP_2)
	v_add_f64_e32 v[1:2], v[1:2], v[6:7]
	v_add_f64_e32 v[3:4], v[3:4], v[8:9]
	s_wait_loadcnt 0x0
	s_delay_alu instid0(VALU_DEP_2) | instskip(NEXT) | instid1(VALU_DEP_2)
	v_add_f64_e64 v[1:2], v[34:35], -v[1:2]
	v_add_f64_e64 v[3:4], v[36:37], -v[3:4]
	scratch_store_b128 off, v[1:4], off offset:672
	v_cmpx_lt_u32_e32 40, v0
	s_cbranch_execz .LBB123_293
; %bb.292:
	scratch_load_b128 v[1:4], off, s33
	v_mov_b32_e32 v5, 0
	s_delay_alu instid0(VALU_DEP_1)
	v_dual_mov_b32 v6, v5 :: v_dual_mov_b32 v7, v5
	v_mov_b32_e32 v8, v5
	scratch_store_b128 off, v[5:8], off offset:656
	s_wait_loadcnt 0x0
	ds_store_b128 v162, v[1:4]
.LBB123_293:
	s_wait_alu 0xfffe
	s_or_b32 exec_lo, exec_lo, s0
	s_wait_storecnt_dscnt 0x0
	s_barrier_signal -1
	s_barrier_wait -1
	global_inv scope:SCOPE_SE
	s_clause 0x7
	scratch_load_b128 v[2:5], off, off offset:672
	scratch_load_b128 v[6:9], off, off offset:688
	scratch_load_b128 v[10:13], off, off offset:704
	scratch_load_b128 v[14:17], off, off offset:720
	scratch_load_b128 v[18:21], off, off offset:736
	scratch_load_b128 v[22:25], off, off offset:752
	scratch_load_b128 v[26:29], off, off offset:768
	scratch_load_b128 v[30:33], off, off offset:784
	v_mov_b32_e32 v1, 0
	s_clause 0x1
	scratch_load_b128 v[38:41], off, off offset:800
	scratch_load_b128 v[167:170], off, off offset:816
	s_mov_b32 s0, exec_lo
	ds_load_b128 v[34:37], v1 offset:1616
	ds_load_b128 v[163:166], v1 offset:1632
	s_wait_loadcnt_dscnt 0x901
	v_mul_f64_e32 v[171:172], v[36:37], v[4:5]
	v_mul_f64_e32 v[4:5], v[34:35], v[4:5]
	s_wait_loadcnt_dscnt 0x800
	v_mul_f64_e32 v[173:174], v[163:164], v[8:9]
	v_mul_f64_e32 v[8:9], v[165:166], v[8:9]
	s_delay_alu instid0(VALU_DEP_4) | instskip(NEXT) | instid1(VALU_DEP_4)
	v_fma_f64 v[171:172], v[34:35], v[2:3], -v[171:172]
	v_fma_f64 v[175:176], v[36:37], v[2:3], v[4:5]
	ds_load_b128 v[2:5], v1 offset:1648
	scratch_load_b128 v[34:37], off, off offset:832
	v_fma_f64 v[173:174], v[165:166], v[6:7], v[173:174]
	v_fma_f64 v[179:180], v[163:164], v[6:7], -v[8:9]
	ds_load_b128 v[6:9], v1 offset:1664
	scratch_load_b128 v[163:166], off, off offset:848
	s_wait_loadcnt_dscnt 0x901
	v_mul_f64_e32 v[177:178], v[2:3], v[12:13]
	v_mul_f64_e32 v[12:13], v[4:5], v[12:13]
	s_wait_loadcnt_dscnt 0x800
	v_mul_f64_e32 v[181:182], v[6:7], v[16:17]
	v_mul_f64_e32 v[16:17], v[8:9], v[16:17]
	v_add_f64_e32 v[171:172], 0, v[171:172]
	v_add_f64_e32 v[175:176], 0, v[175:176]
	v_fma_f64 v[177:178], v[4:5], v[10:11], v[177:178]
	v_fma_f64 v[183:184], v[2:3], v[10:11], -v[12:13]
	ds_load_b128 v[2:5], v1 offset:1680
	scratch_load_b128 v[10:13], off, off offset:864
	v_add_f64_e32 v[171:172], v[171:172], v[179:180]
	v_add_f64_e32 v[173:174], v[175:176], v[173:174]
	v_fma_f64 v[179:180], v[8:9], v[14:15], v[181:182]
	v_fma_f64 v[181:182], v[6:7], v[14:15], -v[16:17]
	ds_load_b128 v[6:9], v1 offset:1696
	scratch_load_b128 v[14:17], off, off offset:880
	s_wait_loadcnt_dscnt 0x901
	v_mul_f64_e32 v[175:176], v[2:3], v[20:21]
	v_mul_f64_e32 v[20:21], v[4:5], v[20:21]
	v_add_f64_e32 v[171:172], v[171:172], v[183:184]
	v_add_f64_e32 v[173:174], v[173:174], v[177:178]
	s_wait_loadcnt_dscnt 0x800
	v_mul_f64_e32 v[177:178], v[6:7], v[24:25]
	v_mul_f64_e32 v[24:25], v[8:9], v[24:25]
	v_fma_f64 v[175:176], v[4:5], v[18:19], v[175:176]
	v_fma_f64 v[183:184], v[2:3], v[18:19], -v[20:21]
	ds_load_b128 v[2:5], v1 offset:1712
	scratch_load_b128 v[18:21], off, off offset:896
	v_add_f64_e32 v[171:172], v[171:172], v[181:182]
	v_add_f64_e32 v[173:174], v[173:174], v[179:180]
	v_fma_f64 v[177:178], v[8:9], v[22:23], v[177:178]
	v_fma_f64 v[181:182], v[6:7], v[22:23], -v[24:25]
	ds_load_b128 v[6:9], v1 offset:1728
	s_wait_loadcnt_dscnt 0x801
	v_mul_f64_e32 v[179:180], v[2:3], v[28:29]
	v_mul_f64_e32 v[28:29], v[4:5], v[28:29]
	scratch_load_b128 v[22:25], off, off offset:912
	v_add_f64_e32 v[171:172], v[171:172], v[183:184]
	v_add_f64_e32 v[173:174], v[173:174], v[175:176]
	s_wait_loadcnt_dscnt 0x800
	v_mul_f64_e32 v[175:176], v[6:7], v[32:33]
	v_mul_f64_e32 v[32:33], v[8:9], v[32:33]
	v_fma_f64 v[179:180], v[4:5], v[26:27], v[179:180]
	v_fma_f64 v[183:184], v[2:3], v[26:27], -v[28:29]
	ds_load_b128 v[2:5], v1 offset:1744
	scratch_load_b128 v[26:29], off, off offset:928
	v_add_f64_e32 v[171:172], v[171:172], v[181:182]
	v_add_f64_e32 v[173:174], v[173:174], v[177:178]
	v_fma_f64 v[175:176], v[8:9], v[30:31], v[175:176]
	v_fma_f64 v[181:182], v[6:7], v[30:31], -v[32:33]
	ds_load_b128 v[6:9], v1 offset:1760
	s_wait_loadcnt_dscnt 0x801
	v_mul_f64_e32 v[177:178], v[2:3], v[40:41]
	v_mul_f64_e32 v[40:41], v[4:5], v[40:41]
	scratch_load_b128 v[30:33], off, off offset:944
	v_add_f64_e32 v[171:172], v[171:172], v[183:184]
	v_add_f64_e32 v[173:174], v[173:174], v[179:180]
	s_wait_loadcnt_dscnt 0x800
	v_mul_f64_e32 v[179:180], v[6:7], v[169:170]
	v_mul_f64_e32 v[169:170], v[8:9], v[169:170]
	v_fma_f64 v[177:178], v[4:5], v[38:39], v[177:178]
	v_fma_f64 v[183:184], v[2:3], v[38:39], -v[40:41]
	ds_load_b128 v[2:5], v1 offset:1776
	scratch_load_b128 v[38:41], off, off offset:960
	v_add_f64_e32 v[171:172], v[171:172], v[181:182]
	v_add_f64_e32 v[173:174], v[173:174], v[175:176]
	v_fma_f64 v[179:180], v[8:9], v[167:168], v[179:180]
	v_fma_f64 v[167:168], v[6:7], v[167:168], -v[169:170]
	ds_load_b128 v[6:9], v1 offset:1792
	s_wait_loadcnt_dscnt 0x801
	v_mul_f64_e32 v[175:176], v[2:3], v[36:37]
	v_mul_f64_e32 v[36:37], v[4:5], v[36:37]
	v_add_f64_e32 v[169:170], v[171:172], v[183:184]
	v_add_f64_e32 v[171:172], v[173:174], v[177:178]
	s_wait_loadcnt_dscnt 0x700
	v_mul_f64_e32 v[173:174], v[6:7], v[165:166]
	v_mul_f64_e32 v[165:166], v[8:9], v[165:166]
	v_fma_f64 v[175:176], v[4:5], v[34:35], v[175:176]
	v_fma_f64 v[34:35], v[2:3], v[34:35], -v[36:37]
	ds_load_b128 v[2:5], v1 offset:1808
	v_add_f64_e32 v[36:37], v[169:170], v[167:168]
	v_add_f64_e32 v[167:168], v[171:172], v[179:180]
	v_fma_f64 v[171:172], v[8:9], v[163:164], v[173:174]
	v_fma_f64 v[163:164], v[6:7], v[163:164], -v[165:166]
	ds_load_b128 v[6:9], v1 offset:1824
	s_wait_loadcnt_dscnt 0x500
	v_mul_f64_e32 v[173:174], v[6:7], v[16:17]
	v_mul_f64_e32 v[16:17], v[8:9], v[16:17]
	v_add_f64_e32 v[165:166], v[36:37], v[34:35]
	v_add_f64_e32 v[167:168], v[167:168], v[175:176]
	scratch_load_b128 v[34:37], off, off offset:656
	v_mul_f64_e32 v[169:170], v[2:3], v[12:13]
	v_mul_f64_e32 v[12:13], v[4:5], v[12:13]
	s_delay_alu instid0(VALU_DEP_2) | instskip(NEXT) | instid1(VALU_DEP_2)
	v_fma_f64 v[169:170], v[4:5], v[10:11], v[169:170]
	v_fma_f64 v[10:11], v[2:3], v[10:11], -v[12:13]
	v_add_f64_e32 v[12:13], v[165:166], v[163:164]
	v_add_f64_e32 v[163:164], v[167:168], v[171:172]
	ds_load_b128 v[2:5], v1 offset:1840
	v_fma_f64 v[167:168], v[8:9], v[14:15], v[173:174]
	v_fma_f64 v[14:15], v[6:7], v[14:15], -v[16:17]
	ds_load_b128 v[6:9], v1 offset:1856
	s_wait_loadcnt_dscnt 0x501
	v_mul_f64_e32 v[165:166], v[2:3], v[20:21]
	v_mul_f64_e32 v[20:21], v[4:5], v[20:21]
	s_wait_loadcnt_dscnt 0x400
	v_mul_f64_e32 v[16:17], v[6:7], v[24:25]
	v_mul_f64_e32 v[24:25], v[8:9], v[24:25]
	v_add_f64_e32 v[10:11], v[12:13], v[10:11]
	v_add_f64_e32 v[12:13], v[163:164], v[169:170]
	v_fma_f64 v[163:164], v[4:5], v[18:19], v[165:166]
	v_fma_f64 v[18:19], v[2:3], v[18:19], -v[20:21]
	ds_load_b128 v[2:5], v1 offset:1872
	v_fma_f64 v[16:17], v[8:9], v[22:23], v[16:17]
	v_fma_f64 v[22:23], v[6:7], v[22:23], -v[24:25]
	ds_load_b128 v[6:9], v1 offset:1888
	v_add_f64_e32 v[10:11], v[10:11], v[14:15]
	v_add_f64_e32 v[12:13], v[12:13], v[167:168]
	s_wait_loadcnt_dscnt 0x301
	v_mul_f64_e32 v[14:15], v[2:3], v[28:29]
	v_mul_f64_e32 v[20:21], v[4:5], v[28:29]
	s_wait_loadcnt_dscnt 0x200
	v_mul_f64_e32 v[24:25], v[8:9], v[32:33]
	v_add_f64_e32 v[10:11], v[10:11], v[18:19]
	v_add_f64_e32 v[12:13], v[12:13], v[163:164]
	v_mul_f64_e32 v[18:19], v[6:7], v[32:33]
	v_fma_f64 v[14:15], v[4:5], v[26:27], v[14:15]
	v_fma_f64 v[20:21], v[2:3], v[26:27], -v[20:21]
	ds_load_b128 v[2:5], v1 offset:1904
	v_fma_f64 v[6:7], v[6:7], v[30:31], -v[24:25]
	v_add_f64_e32 v[10:11], v[10:11], v[22:23]
	v_add_f64_e32 v[12:13], v[12:13], v[16:17]
	s_wait_loadcnt_dscnt 0x100
	v_mul_f64_e32 v[16:17], v[2:3], v[40:41]
	v_mul_f64_e32 v[22:23], v[4:5], v[40:41]
	v_fma_f64 v[8:9], v[8:9], v[30:31], v[18:19]
	v_add_f64_e32 v[10:11], v[10:11], v[20:21]
	v_add_f64_e32 v[12:13], v[12:13], v[14:15]
	v_fma_f64 v[4:5], v[4:5], v[38:39], v[16:17]
	v_fma_f64 v[2:3], v[2:3], v[38:39], -v[22:23]
	s_delay_alu instid0(VALU_DEP_4) | instskip(NEXT) | instid1(VALU_DEP_4)
	v_add_f64_e32 v[6:7], v[10:11], v[6:7]
	v_add_f64_e32 v[8:9], v[12:13], v[8:9]
	s_delay_alu instid0(VALU_DEP_2) | instskip(NEXT) | instid1(VALU_DEP_2)
	v_add_f64_e32 v[2:3], v[6:7], v[2:3]
	v_add_f64_e32 v[4:5], v[8:9], v[4:5]
	s_wait_loadcnt 0x0
	s_delay_alu instid0(VALU_DEP_2) | instskip(NEXT) | instid1(VALU_DEP_2)
	v_add_f64_e64 v[2:3], v[34:35], -v[2:3]
	v_add_f64_e64 v[4:5], v[36:37], -v[4:5]
	scratch_store_b128 off, v[2:5], off offset:656
	v_cmpx_lt_u32_e32 39, v0
	s_cbranch_execz .LBB123_295
; %bb.294:
	scratch_load_b128 v[5:8], off, s34
	v_dual_mov_b32 v2, v1 :: v_dual_mov_b32 v3, v1
	v_mov_b32_e32 v4, v1
	scratch_store_b128 off, v[1:4], off offset:640
	s_wait_loadcnt 0x0
	ds_store_b128 v162, v[5:8]
.LBB123_295:
	s_wait_alu 0xfffe
	s_or_b32 exec_lo, exec_lo, s0
	s_wait_storecnt_dscnt 0x0
	s_barrier_signal -1
	s_barrier_wait -1
	global_inv scope:SCOPE_SE
	s_clause 0x7
	scratch_load_b128 v[2:5], off, off offset:656
	scratch_load_b128 v[6:9], off, off offset:672
	;; [unrolled: 1-line block ×8, first 2 shown]
	ds_load_b128 v[34:37], v1 offset:1600
	ds_load_b128 v[163:166], v1 offset:1616
	s_clause 0x1
	scratch_load_b128 v[38:41], off, off offset:784
	scratch_load_b128 v[167:170], off, off offset:800
	s_mov_b32 s0, exec_lo
	s_wait_loadcnt_dscnt 0x901
	v_mul_f64_e32 v[171:172], v[36:37], v[4:5]
	v_mul_f64_e32 v[4:5], v[34:35], v[4:5]
	s_wait_loadcnt_dscnt 0x800
	v_mul_f64_e32 v[173:174], v[163:164], v[8:9]
	v_mul_f64_e32 v[8:9], v[165:166], v[8:9]
	s_delay_alu instid0(VALU_DEP_4) | instskip(NEXT) | instid1(VALU_DEP_4)
	v_fma_f64 v[171:172], v[34:35], v[2:3], -v[171:172]
	v_fma_f64 v[175:176], v[36:37], v[2:3], v[4:5]
	ds_load_b128 v[2:5], v1 offset:1632
	scratch_load_b128 v[34:37], off, off offset:816
	v_fma_f64 v[173:174], v[165:166], v[6:7], v[173:174]
	v_fma_f64 v[179:180], v[163:164], v[6:7], -v[8:9]
	ds_load_b128 v[6:9], v1 offset:1648
	scratch_load_b128 v[163:166], off, off offset:832
	s_wait_loadcnt_dscnt 0x901
	v_mul_f64_e32 v[177:178], v[2:3], v[12:13]
	v_mul_f64_e32 v[12:13], v[4:5], v[12:13]
	s_wait_loadcnt_dscnt 0x800
	v_mul_f64_e32 v[181:182], v[6:7], v[16:17]
	v_mul_f64_e32 v[16:17], v[8:9], v[16:17]
	v_add_f64_e32 v[171:172], 0, v[171:172]
	v_add_f64_e32 v[175:176], 0, v[175:176]
	v_fma_f64 v[177:178], v[4:5], v[10:11], v[177:178]
	v_fma_f64 v[183:184], v[2:3], v[10:11], -v[12:13]
	scratch_load_b128 v[10:13], off, off offset:848
	ds_load_b128 v[2:5], v1 offset:1664
	v_add_f64_e32 v[171:172], v[171:172], v[179:180]
	v_add_f64_e32 v[173:174], v[175:176], v[173:174]
	v_fma_f64 v[179:180], v[8:9], v[14:15], v[181:182]
	v_fma_f64 v[181:182], v[6:7], v[14:15], -v[16:17]
	ds_load_b128 v[6:9], v1 offset:1680
	scratch_load_b128 v[14:17], off, off offset:864
	s_wait_loadcnt_dscnt 0x901
	v_mul_f64_e32 v[175:176], v[2:3], v[20:21]
	v_mul_f64_e32 v[20:21], v[4:5], v[20:21]
	v_add_f64_e32 v[171:172], v[171:172], v[183:184]
	v_add_f64_e32 v[173:174], v[173:174], v[177:178]
	s_wait_loadcnt_dscnt 0x800
	v_mul_f64_e32 v[177:178], v[6:7], v[24:25]
	v_mul_f64_e32 v[24:25], v[8:9], v[24:25]
	v_fma_f64 v[175:176], v[4:5], v[18:19], v[175:176]
	v_fma_f64 v[183:184], v[2:3], v[18:19], -v[20:21]
	ds_load_b128 v[2:5], v1 offset:1696
	scratch_load_b128 v[18:21], off, off offset:880
	v_add_f64_e32 v[171:172], v[171:172], v[181:182]
	v_add_f64_e32 v[173:174], v[173:174], v[179:180]
	v_fma_f64 v[177:178], v[8:9], v[22:23], v[177:178]
	v_fma_f64 v[181:182], v[6:7], v[22:23], -v[24:25]
	ds_load_b128 v[6:9], v1 offset:1712
	s_wait_loadcnt_dscnt 0x801
	v_mul_f64_e32 v[179:180], v[2:3], v[28:29]
	v_mul_f64_e32 v[28:29], v[4:5], v[28:29]
	scratch_load_b128 v[22:25], off, off offset:896
	v_add_f64_e32 v[171:172], v[171:172], v[183:184]
	v_add_f64_e32 v[173:174], v[173:174], v[175:176]
	s_wait_loadcnt_dscnt 0x800
	v_mul_f64_e32 v[175:176], v[6:7], v[32:33]
	v_mul_f64_e32 v[32:33], v[8:9], v[32:33]
	v_fma_f64 v[179:180], v[4:5], v[26:27], v[179:180]
	v_fma_f64 v[183:184], v[2:3], v[26:27], -v[28:29]
	ds_load_b128 v[2:5], v1 offset:1728
	scratch_load_b128 v[26:29], off, off offset:912
	v_add_f64_e32 v[171:172], v[171:172], v[181:182]
	v_add_f64_e32 v[173:174], v[173:174], v[177:178]
	v_fma_f64 v[175:176], v[8:9], v[30:31], v[175:176]
	v_fma_f64 v[181:182], v[6:7], v[30:31], -v[32:33]
	ds_load_b128 v[6:9], v1 offset:1744
	s_wait_loadcnt_dscnt 0x801
	v_mul_f64_e32 v[177:178], v[2:3], v[40:41]
	v_mul_f64_e32 v[40:41], v[4:5], v[40:41]
	scratch_load_b128 v[30:33], off, off offset:928
	v_add_f64_e32 v[171:172], v[171:172], v[183:184]
	v_add_f64_e32 v[173:174], v[173:174], v[179:180]
	s_wait_loadcnt_dscnt 0x800
	v_mul_f64_e32 v[179:180], v[6:7], v[169:170]
	v_mul_f64_e32 v[169:170], v[8:9], v[169:170]
	v_fma_f64 v[177:178], v[4:5], v[38:39], v[177:178]
	v_fma_f64 v[183:184], v[2:3], v[38:39], -v[40:41]
	ds_load_b128 v[2:5], v1 offset:1760
	scratch_load_b128 v[38:41], off, off offset:944
	v_add_f64_e32 v[171:172], v[171:172], v[181:182]
	v_add_f64_e32 v[173:174], v[173:174], v[175:176]
	v_fma_f64 v[179:180], v[8:9], v[167:168], v[179:180]
	v_fma_f64 v[181:182], v[6:7], v[167:168], -v[169:170]
	ds_load_b128 v[6:9], v1 offset:1776
	scratch_load_b128 v[167:170], off, off offset:960
	s_wait_loadcnt_dscnt 0x901
	v_mul_f64_e32 v[175:176], v[2:3], v[36:37]
	v_mul_f64_e32 v[36:37], v[4:5], v[36:37]
	v_add_f64_e32 v[171:172], v[171:172], v[183:184]
	v_add_f64_e32 v[173:174], v[173:174], v[177:178]
	s_delay_alu instid0(VALU_DEP_4) | instskip(NEXT) | instid1(VALU_DEP_4)
	v_fma_f64 v[175:176], v[4:5], v[34:35], v[175:176]
	v_fma_f64 v[34:35], v[2:3], v[34:35], -v[36:37]
	ds_load_b128 v[2:5], v1 offset:1792
	v_add_f64_e32 v[36:37], v[171:172], v[181:182]
	v_add_f64_e32 v[171:172], v[173:174], v[179:180]
	s_wait_loadcnt_dscnt 0x700
	v_mul_f64_e32 v[173:174], v[2:3], v[12:13]
	v_mul_f64_e32 v[12:13], v[4:5], v[12:13]
	s_delay_alu instid0(VALU_DEP_4) | instskip(NEXT) | instid1(VALU_DEP_4)
	v_add_f64_e32 v[34:35], v[36:37], v[34:35]
	v_add_f64_e32 v[36:37], v[171:172], v[175:176]
	s_delay_alu instid0(VALU_DEP_4) | instskip(NEXT) | instid1(VALU_DEP_4)
	v_fma_f64 v[171:172], v[4:5], v[10:11], v[173:174]
	v_fma_f64 v[173:174], v[2:3], v[10:11], -v[12:13]
	scratch_load_b128 v[10:13], off, off offset:640
	v_mul_f64_e32 v[177:178], v[6:7], v[165:166]
	v_mul_f64_e32 v[165:166], v[8:9], v[165:166]
	ds_load_b128 v[2:5], v1 offset:1824
	v_fma_f64 v[177:178], v[8:9], v[163:164], v[177:178]
	v_fma_f64 v[163:164], v[6:7], v[163:164], -v[165:166]
	ds_load_b128 v[6:9], v1 offset:1808
	s_wait_loadcnt_dscnt 0x700
	v_mul_f64_e32 v[165:166], v[6:7], v[16:17]
	v_mul_f64_e32 v[16:17], v[8:9], v[16:17]
	v_add_f64_e32 v[36:37], v[36:37], v[177:178]
	v_add_f64_e32 v[34:35], v[34:35], v[163:164]
	s_wait_loadcnt 0x6
	v_mul_f64_e32 v[163:164], v[2:3], v[20:21]
	v_mul_f64_e32 v[20:21], v[4:5], v[20:21]
	v_fma_f64 v[165:166], v[8:9], v[14:15], v[165:166]
	v_fma_f64 v[14:15], v[6:7], v[14:15], -v[16:17]
	ds_load_b128 v[6:9], v1 offset:1840
	v_add_f64_e32 v[16:17], v[34:35], v[173:174]
	v_add_f64_e32 v[34:35], v[36:37], v[171:172]
	v_fma_f64 v[163:164], v[4:5], v[18:19], v[163:164]
	v_fma_f64 v[18:19], v[2:3], v[18:19], -v[20:21]
	ds_load_b128 v[2:5], v1 offset:1856
	s_wait_loadcnt_dscnt 0x501
	v_mul_f64_e32 v[36:37], v[6:7], v[24:25]
	v_mul_f64_e32 v[24:25], v[8:9], v[24:25]
	s_wait_loadcnt_dscnt 0x400
	v_mul_f64_e32 v[20:21], v[2:3], v[28:29]
	v_mul_f64_e32 v[28:29], v[4:5], v[28:29]
	v_add_f64_e32 v[14:15], v[16:17], v[14:15]
	v_add_f64_e32 v[16:17], v[34:35], v[165:166]
	v_fma_f64 v[34:35], v[8:9], v[22:23], v[36:37]
	v_fma_f64 v[22:23], v[6:7], v[22:23], -v[24:25]
	ds_load_b128 v[6:9], v1 offset:1872
	v_fma_f64 v[20:21], v[4:5], v[26:27], v[20:21]
	v_fma_f64 v[26:27], v[2:3], v[26:27], -v[28:29]
	ds_load_b128 v[2:5], v1 offset:1888
	s_wait_loadcnt_dscnt 0x301
	v_mul_f64_e32 v[24:25], v[8:9], v[32:33]
	v_add_f64_e32 v[14:15], v[14:15], v[18:19]
	v_add_f64_e32 v[16:17], v[16:17], v[163:164]
	v_mul_f64_e32 v[18:19], v[6:7], v[32:33]
	s_wait_loadcnt_dscnt 0x200
	v_mul_f64_e32 v[28:29], v[4:5], v[40:41]
	v_fma_f64 v[24:25], v[6:7], v[30:31], -v[24:25]
	v_add_f64_e32 v[14:15], v[14:15], v[22:23]
	v_add_f64_e32 v[16:17], v[16:17], v[34:35]
	v_mul_f64_e32 v[22:23], v[2:3], v[40:41]
	v_fma_f64 v[18:19], v[8:9], v[30:31], v[18:19]
	ds_load_b128 v[6:9], v1 offset:1904
	v_fma_f64 v[1:2], v[2:3], v[38:39], -v[28:29]
	v_add_f64_e32 v[14:15], v[14:15], v[26:27]
	v_add_f64_e32 v[16:17], v[16:17], v[20:21]
	s_wait_loadcnt_dscnt 0x100
	v_mul_f64_e32 v[20:21], v[6:7], v[169:170]
	v_mul_f64_e32 v[26:27], v[8:9], v[169:170]
	v_fma_f64 v[4:5], v[4:5], v[38:39], v[22:23]
	v_add_f64_e32 v[14:15], v[14:15], v[24:25]
	v_add_f64_e32 v[16:17], v[16:17], v[18:19]
	v_fma_f64 v[8:9], v[8:9], v[167:168], v[20:21]
	v_fma_f64 v[6:7], v[6:7], v[167:168], -v[26:27]
	s_delay_alu instid0(VALU_DEP_4) | instskip(NEXT) | instid1(VALU_DEP_4)
	v_add_f64_e32 v[1:2], v[14:15], v[1:2]
	v_add_f64_e32 v[3:4], v[16:17], v[4:5]
	s_delay_alu instid0(VALU_DEP_2) | instskip(NEXT) | instid1(VALU_DEP_2)
	v_add_f64_e32 v[1:2], v[1:2], v[6:7]
	v_add_f64_e32 v[3:4], v[3:4], v[8:9]
	s_wait_loadcnt 0x0
	s_delay_alu instid0(VALU_DEP_2) | instskip(NEXT) | instid1(VALU_DEP_2)
	v_add_f64_e64 v[1:2], v[10:11], -v[1:2]
	v_add_f64_e64 v[3:4], v[12:13], -v[3:4]
	scratch_store_b128 off, v[1:4], off offset:640
	v_cmpx_lt_u32_e32 38, v0
	s_cbranch_execz .LBB123_297
; %bb.296:
	scratch_load_b128 v[1:4], off, s35
	v_mov_b32_e32 v5, 0
	s_delay_alu instid0(VALU_DEP_1)
	v_dual_mov_b32 v6, v5 :: v_dual_mov_b32 v7, v5
	v_mov_b32_e32 v8, v5
	scratch_store_b128 off, v[5:8], off offset:624
	s_wait_loadcnt 0x0
	ds_store_b128 v162, v[1:4]
.LBB123_297:
	s_wait_alu 0xfffe
	s_or_b32 exec_lo, exec_lo, s0
	s_wait_storecnt_dscnt 0x0
	s_barrier_signal -1
	s_barrier_wait -1
	global_inv scope:SCOPE_SE
	s_clause 0x7
	scratch_load_b128 v[2:5], off, off offset:640
	scratch_load_b128 v[6:9], off, off offset:656
	;; [unrolled: 1-line block ×8, first 2 shown]
	v_mov_b32_e32 v1, 0
	s_clause 0x1
	scratch_load_b128 v[38:41], off, off offset:768
	scratch_load_b128 v[167:170], off, off offset:784
	s_mov_b32 s0, exec_lo
	ds_load_b128 v[34:37], v1 offset:1584
	ds_load_b128 v[163:166], v1 offset:1600
	s_wait_loadcnt_dscnt 0x901
	v_mul_f64_e32 v[171:172], v[36:37], v[4:5]
	v_mul_f64_e32 v[4:5], v[34:35], v[4:5]
	s_wait_loadcnt_dscnt 0x800
	v_mul_f64_e32 v[173:174], v[163:164], v[8:9]
	v_mul_f64_e32 v[8:9], v[165:166], v[8:9]
	s_delay_alu instid0(VALU_DEP_4) | instskip(NEXT) | instid1(VALU_DEP_4)
	v_fma_f64 v[171:172], v[34:35], v[2:3], -v[171:172]
	v_fma_f64 v[175:176], v[36:37], v[2:3], v[4:5]
	ds_load_b128 v[2:5], v1 offset:1616
	scratch_load_b128 v[34:37], off, off offset:800
	v_fma_f64 v[173:174], v[165:166], v[6:7], v[173:174]
	v_fma_f64 v[179:180], v[163:164], v[6:7], -v[8:9]
	ds_load_b128 v[6:9], v1 offset:1632
	scratch_load_b128 v[163:166], off, off offset:816
	s_wait_loadcnt_dscnt 0x901
	v_mul_f64_e32 v[177:178], v[2:3], v[12:13]
	v_mul_f64_e32 v[12:13], v[4:5], v[12:13]
	s_wait_loadcnt_dscnt 0x800
	v_mul_f64_e32 v[181:182], v[6:7], v[16:17]
	v_mul_f64_e32 v[16:17], v[8:9], v[16:17]
	v_add_f64_e32 v[171:172], 0, v[171:172]
	v_add_f64_e32 v[175:176], 0, v[175:176]
	v_fma_f64 v[177:178], v[4:5], v[10:11], v[177:178]
	v_fma_f64 v[183:184], v[2:3], v[10:11], -v[12:13]
	ds_load_b128 v[2:5], v1 offset:1648
	scratch_load_b128 v[10:13], off, off offset:832
	v_add_f64_e32 v[171:172], v[171:172], v[179:180]
	v_add_f64_e32 v[173:174], v[175:176], v[173:174]
	v_fma_f64 v[179:180], v[8:9], v[14:15], v[181:182]
	v_fma_f64 v[181:182], v[6:7], v[14:15], -v[16:17]
	ds_load_b128 v[6:9], v1 offset:1664
	scratch_load_b128 v[14:17], off, off offset:848
	s_wait_loadcnt_dscnt 0x901
	v_mul_f64_e32 v[175:176], v[2:3], v[20:21]
	v_mul_f64_e32 v[20:21], v[4:5], v[20:21]
	v_add_f64_e32 v[171:172], v[171:172], v[183:184]
	v_add_f64_e32 v[173:174], v[173:174], v[177:178]
	s_wait_loadcnt_dscnt 0x800
	v_mul_f64_e32 v[177:178], v[6:7], v[24:25]
	v_mul_f64_e32 v[24:25], v[8:9], v[24:25]
	v_fma_f64 v[175:176], v[4:5], v[18:19], v[175:176]
	v_fma_f64 v[183:184], v[2:3], v[18:19], -v[20:21]
	ds_load_b128 v[2:5], v1 offset:1680
	scratch_load_b128 v[18:21], off, off offset:864
	v_add_f64_e32 v[171:172], v[171:172], v[181:182]
	v_add_f64_e32 v[173:174], v[173:174], v[179:180]
	v_fma_f64 v[177:178], v[8:9], v[22:23], v[177:178]
	v_fma_f64 v[181:182], v[6:7], v[22:23], -v[24:25]
	ds_load_b128 v[6:9], v1 offset:1696
	s_wait_loadcnt_dscnt 0x801
	v_mul_f64_e32 v[179:180], v[2:3], v[28:29]
	v_mul_f64_e32 v[28:29], v[4:5], v[28:29]
	scratch_load_b128 v[22:25], off, off offset:880
	v_add_f64_e32 v[171:172], v[171:172], v[183:184]
	v_add_f64_e32 v[173:174], v[173:174], v[175:176]
	s_wait_loadcnt_dscnt 0x800
	v_mul_f64_e32 v[175:176], v[6:7], v[32:33]
	v_mul_f64_e32 v[32:33], v[8:9], v[32:33]
	v_fma_f64 v[179:180], v[4:5], v[26:27], v[179:180]
	v_fma_f64 v[183:184], v[2:3], v[26:27], -v[28:29]
	ds_load_b128 v[2:5], v1 offset:1712
	scratch_load_b128 v[26:29], off, off offset:896
	v_add_f64_e32 v[171:172], v[171:172], v[181:182]
	v_add_f64_e32 v[173:174], v[173:174], v[177:178]
	v_fma_f64 v[175:176], v[8:9], v[30:31], v[175:176]
	v_fma_f64 v[181:182], v[6:7], v[30:31], -v[32:33]
	ds_load_b128 v[6:9], v1 offset:1728
	s_wait_loadcnt_dscnt 0x801
	v_mul_f64_e32 v[177:178], v[2:3], v[40:41]
	v_mul_f64_e32 v[40:41], v[4:5], v[40:41]
	scratch_load_b128 v[30:33], off, off offset:912
	v_add_f64_e32 v[171:172], v[171:172], v[183:184]
	v_add_f64_e32 v[173:174], v[173:174], v[179:180]
	s_wait_loadcnt_dscnt 0x800
	v_mul_f64_e32 v[179:180], v[6:7], v[169:170]
	v_mul_f64_e32 v[169:170], v[8:9], v[169:170]
	v_fma_f64 v[177:178], v[4:5], v[38:39], v[177:178]
	v_fma_f64 v[183:184], v[2:3], v[38:39], -v[40:41]
	ds_load_b128 v[2:5], v1 offset:1744
	scratch_load_b128 v[38:41], off, off offset:928
	v_add_f64_e32 v[171:172], v[171:172], v[181:182]
	v_add_f64_e32 v[173:174], v[173:174], v[175:176]
	v_fma_f64 v[179:180], v[8:9], v[167:168], v[179:180]
	v_fma_f64 v[181:182], v[6:7], v[167:168], -v[169:170]
	ds_load_b128 v[6:9], v1 offset:1760
	scratch_load_b128 v[167:170], off, off offset:944
	s_wait_loadcnt_dscnt 0x901
	v_mul_f64_e32 v[175:176], v[2:3], v[36:37]
	v_mul_f64_e32 v[36:37], v[4:5], v[36:37]
	v_add_f64_e32 v[171:172], v[171:172], v[183:184]
	v_add_f64_e32 v[173:174], v[173:174], v[177:178]
	s_wait_loadcnt_dscnt 0x800
	v_mul_f64_e32 v[177:178], v[6:7], v[165:166]
	v_mul_f64_e32 v[165:166], v[8:9], v[165:166]
	v_fma_f64 v[175:176], v[4:5], v[34:35], v[175:176]
	v_fma_f64 v[183:184], v[2:3], v[34:35], -v[36:37]
	ds_load_b128 v[2:5], v1 offset:1776
	scratch_load_b128 v[34:37], off, off offset:960
	v_add_f64_e32 v[171:172], v[171:172], v[181:182]
	v_add_f64_e32 v[173:174], v[173:174], v[179:180]
	v_fma_f64 v[177:178], v[8:9], v[163:164], v[177:178]
	v_fma_f64 v[163:164], v[6:7], v[163:164], -v[165:166]
	ds_load_b128 v[6:9], v1 offset:1792
	s_wait_loadcnt_dscnt 0x801
	v_mul_f64_e32 v[179:180], v[2:3], v[12:13]
	v_mul_f64_e32 v[12:13], v[4:5], v[12:13]
	v_add_f64_e32 v[165:166], v[171:172], v[183:184]
	v_add_f64_e32 v[171:172], v[173:174], v[175:176]
	s_wait_loadcnt_dscnt 0x700
	v_mul_f64_e32 v[173:174], v[6:7], v[16:17]
	v_mul_f64_e32 v[16:17], v[8:9], v[16:17]
	v_fma_f64 v[175:176], v[4:5], v[10:11], v[179:180]
	v_fma_f64 v[10:11], v[2:3], v[10:11], -v[12:13]
	ds_load_b128 v[2:5], v1 offset:1808
	v_add_f64_e32 v[12:13], v[165:166], v[163:164]
	v_add_f64_e32 v[163:164], v[171:172], v[177:178]
	v_fma_f64 v[171:172], v[8:9], v[14:15], v[173:174]
	v_fma_f64 v[14:15], v[6:7], v[14:15], -v[16:17]
	ds_load_b128 v[6:9], v1 offset:1824
	s_wait_loadcnt_dscnt 0x500
	v_mul_f64_e32 v[173:174], v[6:7], v[24:25]
	v_mul_f64_e32 v[24:25], v[8:9], v[24:25]
	v_add_f64_e32 v[16:17], v[12:13], v[10:11]
	v_add_f64_e32 v[163:164], v[163:164], v[175:176]
	scratch_load_b128 v[10:13], off, off offset:624
	v_mul_f64_e32 v[165:166], v[2:3], v[20:21]
	v_mul_f64_e32 v[20:21], v[4:5], v[20:21]
	v_add_f64_e32 v[14:15], v[16:17], v[14:15]
	v_add_f64_e32 v[16:17], v[163:164], v[171:172]
	v_fma_f64 v[163:164], v[8:9], v[22:23], v[173:174]
	v_fma_f64 v[165:166], v[4:5], v[18:19], v[165:166]
	v_fma_f64 v[18:19], v[2:3], v[18:19], -v[20:21]
	ds_load_b128 v[2:5], v1 offset:1840
	v_fma_f64 v[22:23], v[6:7], v[22:23], -v[24:25]
	ds_load_b128 v[6:9], v1 offset:1856
	s_wait_loadcnt_dscnt 0x501
	v_mul_f64_e32 v[20:21], v[2:3], v[28:29]
	v_mul_f64_e32 v[28:29], v[4:5], v[28:29]
	s_wait_loadcnt_dscnt 0x400
	v_mul_f64_e32 v[24:25], v[8:9], v[32:33]
	v_add_f64_e32 v[16:17], v[16:17], v[165:166]
	v_add_f64_e32 v[14:15], v[14:15], v[18:19]
	v_mul_f64_e32 v[18:19], v[6:7], v[32:33]
	v_fma_f64 v[20:21], v[4:5], v[26:27], v[20:21]
	v_fma_f64 v[26:27], v[2:3], v[26:27], -v[28:29]
	ds_load_b128 v[2:5], v1 offset:1872
	v_fma_f64 v[24:25], v[6:7], v[30:31], -v[24:25]
	v_add_f64_e32 v[16:17], v[16:17], v[163:164]
	v_add_f64_e32 v[14:15], v[14:15], v[22:23]
	v_fma_f64 v[18:19], v[8:9], v[30:31], v[18:19]
	ds_load_b128 v[6:9], v1 offset:1888
	s_wait_loadcnt_dscnt 0x301
	v_mul_f64_e32 v[22:23], v[2:3], v[40:41]
	v_mul_f64_e32 v[28:29], v[4:5], v[40:41]
	v_add_f64_e32 v[16:17], v[16:17], v[20:21]
	v_add_f64_e32 v[14:15], v[14:15], v[26:27]
	s_wait_loadcnt_dscnt 0x200
	v_mul_f64_e32 v[20:21], v[6:7], v[169:170]
	v_mul_f64_e32 v[26:27], v[8:9], v[169:170]
	v_fma_f64 v[22:23], v[4:5], v[38:39], v[22:23]
	v_fma_f64 v[28:29], v[2:3], v[38:39], -v[28:29]
	ds_load_b128 v[2:5], v1 offset:1904
	v_add_f64_e32 v[16:17], v[16:17], v[18:19]
	v_add_f64_e32 v[14:15], v[14:15], v[24:25]
	s_wait_loadcnt_dscnt 0x100
	v_mul_f64_e32 v[18:19], v[2:3], v[36:37]
	v_mul_f64_e32 v[24:25], v[4:5], v[36:37]
	v_fma_f64 v[8:9], v[8:9], v[167:168], v[20:21]
	v_fma_f64 v[6:7], v[6:7], v[167:168], -v[26:27]
	v_add_f64_e32 v[16:17], v[16:17], v[22:23]
	v_add_f64_e32 v[14:15], v[14:15], v[28:29]
	v_fma_f64 v[4:5], v[4:5], v[34:35], v[18:19]
	v_fma_f64 v[2:3], v[2:3], v[34:35], -v[24:25]
	s_delay_alu instid0(VALU_DEP_4) | instskip(NEXT) | instid1(VALU_DEP_4)
	v_add_f64_e32 v[8:9], v[16:17], v[8:9]
	v_add_f64_e32 v[6:7], v[14:15], v[6:7]
	s_delay_alu instid0(VALU_DEP_2) | instskip(NEXT) | instid1(VALU_DEP_2)
	v_add_f64_e32 v[4:5], v[8:9], v[4:5]
	v_add_f64_e32 v[2:3], v[6:7], v[2:3]
	s_wait_loadcnt 0x0
	s_delay_alu instid0(VALU_DEP_2) | instskip(NEXT) | instid1(VALU_DEP_2)
	v_add_f64_e64 v[4:5], v[12:13], -v[4:5]
	v_add_f64_e64 v[2:3], v[10:11], -v[2:3]
	scratch_store_b128 off, v[2:5], off offset:624
	v_cmpx_lt_u32_e32 37, v0
	s_cbranch_execz .LBB123_299
; %bb.298:
	scratch_load_b128 v[5:8], off, s36
	v_dual_mov_b32 v2, v1 :: v_dual_mov_b32 v3, v1
	v_mov_b32_e32 v4, v1
	scratch_store_b128 off, v[1:4], off offset:608
	s_wait_loadcnt 0x0
	ds_store_b128 v162, v[5:8]
.LBB123_299:
	s_wait_alu 0xfffe
	s_or_b32 exec_lo, exec_lo, s0
	s_wait_storecnt_dscnt 0x0
	s_barrier_signal -1
	s_barrier_wait -1
	global_inv scope:SCOPE_SE
	s_clause 0x7
	scratch_load_b128 v[2:5], off, off offset:624
	scratch_load_b128 v[6:9], off, off offset:640
	;; [unrolled: 1-line block ×8, first 2 shown]
	ds_load_b128 v[34:37], v1 offset:1568
	ds_load_b128 v[163:166], v1 offset:1584
	s_clause 0x1
	scratch_load_b128 v[38:41], off, off offset:752
	scratch_load_b128 v[167:170], off, off offset:768
	s_mov_b32 s0, exec_lo
	s_wait_loadcnt_dscnt 0x901
	v_mul_f64_e32 v[171:172], v[36:37], v[4:5]
	v_mul_f64_e32 v[4:5], v[34:35], v[4:5]
	s_wait_loadcnt_dscnt 0x800
	v_mul_f64_e32 v[173:174], v[163:164], v[8:9]
	v_mul_f64_e32 v[8:9], v[165:166], v[8:9]
	s_delay_alu instid0(VALU_DEP_4) | instskip(NEXT) | instid1(VALU_DEP_4)
	v_fma_f64 v[171:172], v[34:35], v[2:3], -v[171:172]
	v_fma_f64 v[175:176], v[36:37], v[2:3], v[4:5]
	ds_load_b128 v[2:5], v1 offset:1600
	scratch_load_b128 v[34:37], off, off offset:784
	v_fma_f64 v[173:174], v[165:166], v[6:7], v[173:174]
	v_fma_f64 v[179:180], v[163:164], v[6:7], -v[8:9]
	ds_load_b128 v[6:9], v1 offset:1616
	scratch_load_b128 v[163:166], off, off offset:800
	s_wait_loadcnt_dscnt 0x901
	v_mul_f64_e32 v[177:178], v[2:3], v[12:13]
	v_mul_f64_e32 v[12:13], v[4:5], v[12:13]
	s_wait_loadcnt_dscnt 0x800
	v_mul_f64_e32 v[181:182], v[6:7], v[16:17]
	v_mul_f64_e32 v[16:17], v[8:9], v[16:17]
	v_add_f64_e32 v[171:172], 0, v[171:172]
	v_add_f64_e32 v[175:176], 0, v[175:176]
	v_fma_f64 v[177:178], v[4:5], v[10:11], v[177:178]
	v_fma_f64 v[183:184], v[2:3], v[10:11], -v[12:13]
	ds_load_b128 v[2:5], v1 offset:1632
	scratch_load_b128 v[10:13], off, off offset:816
	v_add_f64_e32 v[171:172], v[171:172], v[179:180]
	v_add_f64_e32 v[173:174], v[175:176], v[173:174]
	v_fma_f64 v[179:180], v[8:9], v[14:15], v[181:182]
	v_fma_f64 v[181:182], v[6:7], v[14:15], -v[16:17]
	ds_load_b128 v[6:9], v1 offset:1648
	scratch_load_b128 v[14:17], off, off offset:832
	s_wait_loadcnt_dscnt 0x901
	v_mul_f64_e32 v[175:176], v[2:3], v[20:21]
	v_mul_f64_e32 v[20:21], v[4:5], v[20:21]
	v_add_f64_e32 v[171:172], v[171:172], v[183:184]
	v_add_f64_e32 v[173:174], v[173:174], v[177:178]
	s_wait_loadcnt_dscnt 0x800
	v_mul_f64_e32 v[177:178], v[6:7], v[24:25]
	v_mul_f64_e32 v[24:25], v[8:9], v[24:25]
	v_fma_f64 v[175:176], v[4:5], v[18:19], v[175:176]
	v_fma_f64 v[183:184], v[2:3], v[18:19], -v[20:21]
	ds_load_b128 v[2:5], v1 offset:1664
	scratch_load_b128 v[18:21], off, off offset:848
	v_add_f64_e32 v[171:172], v[171:172], v[181:182]
	v_add_f64_e32 v[173:174], v[173:174], v[179:180]
	v_fma_f64 v[177:178], v[8:9], v[22:23], v[177:178]
	v_fma_f64 v[181:182], v[6:7], v[22:23], -v[24:25]
	ds_load_b128 v[6:9], v1 offset:1680
	s_wait_loadcnt_dscnt 0x801
	v_mul_f64_e32 v[179:180], v[2:3], v[28:29]
	v_mul_f64_e32 v[28:29], v[4:5], v[28:29]
	scratch_load_b128 v[22:25], off, off offset:864
	v_add_f64_e32 v[171:172], v[171:172], v[183:184]
	v_add_f64_e32 v[173:174], v[173:174], v[175:176]
	s_wait_loadcnt_dscnt 0x800
	v_mul_f64_e32 v[175:176], v[6:7], v[32:33]
	v_mul_f64_e32 v[32:33], v[8:9], v[32:33]
	v_fma_f64 v[179:180], v[4:5], v[26:27], v[179:180]
	v_fma_f64 v[183:184], v[2:3], v[26:27], -v[28:29]
	ds_load_b128 v[2:5], v1 offset:1696
	scratch_load_b128 v[26:29], off, off offset:880
	v_add_f64_e32 v[171:172], v[171:172], v[181:182]
	v_add_f64_e32 v[173:174], v[173:174], v[177:178]
	v_fma_f64 v[175:176], v[8:9], v[30:31], v[175:176]
	v_fma_f64 v[181:182], v[6:7], v[30:31], -v[32:33]
	ds_load_b128 v[6:9], v1 offset:1712
	s_wait_loadcnt_dscnt 0x801
	v_mul_f64_e32 v[177:178], v[2:3], v[40:41]
	v_mul_f64_e32 v[40:41], v[4:5], v[40:41]
	scratch_load_b128 v[30:33], off, off offset:896
	v_add_f64_e32 v[171:172], v[171:172], v[183:184]
	v_add_f64_e32 v[173:174], v[173:174], v[179:180]
	s_wait_loadcnt_dscnt 0x800
	v_mul_f64_e32 v[179:180], v[6:7], v[169:170]
	v_mul_f64_e32 v[169:170], v[8:9], v[169:170]
	v_fma_f64 v[177:178], v[4:5], v[38:39], v[177:178]
	v_fma_f64 v[183:184], v[2:3], v[38:39], -v[40:41]
	ds_load_b128 v[2:5], v1 offset:1728
	scratch_load_b128 v[38:41], off, off offset:912
	v_add_f64_e32 v[171:172], v[171:172], v[181:182]
	v_add_f64_e32 v[173:174], v[173:174], v[175:176]
	v_fma_f64 v[179:180], v[8:9], v[167:168], v[179:180]
	v_fma_f64 v[181:182], v[6:7], v[167:168], -v[169:170]
	ds_load_b128 v[6:9], v1 offset:1744
	scratch_load_b128 v[167:170], off, off offset:928
	s_wait_loadcnt_dscnt 0x901
	v_mul_f64_e32 v[175:176], v[2:3], v[36:37]
	v_mul_f64_e32 v[36:37], v[4:5], v[36:37]
	v_add_f64_e32 v[171:172], v[171:172], v[183:184]
	v_add_f64_e32 v[173:174], v[173:174], v[177:178]
	s_wait_loadcnt_dscnt 0x800
	v_mul_f64_e32 v[177:178], v[6:7], v[165:166]
	v_mul_f64_e32 v[165:166], v[8:9], v[165:166]
	v_fma_f64 v[175:176], v[4:5], v[34:35], v[175:176]
	v_fma_f64 v[183:184], v[2:3], v[34:35], -v[36:37]
	ds_load_b128 v[2:5], v1 offset:1760
	scratch_load_b128 v[34:37], off, off offset:944
	v_add_f64_e32 v[171:172], v[171:172], v[181:182]
	v_add_f64_e32 v[173:174], v[173:174], v[179:180]
	v_fma_f64 v[177:178], v[8:9], v[163:164], v[177:178]
	v_fma_f64 v[181:182], v[6:7], v[163:164], -v[165:166]
	ds_load_b128 v[6:9], v1 offset:1776
	s_wait_loadcnt_dscnt 0x801
	v_mul_f64_e32 v[179:180], v[2:3], v[12:13]
	v_mul_f64_e32 v[12:13], v[4:5], v[12:13]
	scratch_load_b128 v[163:166], off, off offset:960
	v_add_f64_e32 v[171:172], v[171:172], v[183:184]
	v_add_f64_e32 v[173:174], v[173:174], v[175:176]
	s_wait_loadcnt_dscnt 0x800
	v_mul_f64_e32 v[175:176], v[6:7], v[16:17]
	v_mul_f64_e32 v[16:17], v[8:9], v[16:17]
	v_fma_f64 v[179:180], v[4:5], v[10:11], v[179:180]
	v_fma_f64 v[10:11], v[2:3], v[10:11], -v[12:13]
	ds_load_b128 v[2:5], v1 offset:1792
	v_add_f64_e32 v[12:13], v[171:172], v[181:182]
	v_add_f64_e32 v[171:172], v[173:174], v[177:178]
	v_fma_f64 v[175:176], v[8:9], v[14:15], v[175:176]
	v_fma_f64 v[14:15], v[6:7], v[14:15], -v[16:17]
	ds_load_b128 v[6:9], v1 offset:1808
	s_wait_loadcnt_dscnt 0x701
	v_mul_f64_e32 v[173:174], v[2:3], v[20:21]
	v_mul_f64_e32 v[20:21], v[4:5], v[20:21]
	v_add_f64_e32 v[10:11], v[12:13], v[10:11]
	v_add_f64_e32 v[12:13], v[171:172], v[179:180]
	s_delay_alu instid0(VALU_DEP_4) | instskip(NEXT) | instid1(VALU_DEP_4)
	v_fma_f64 v[171:172], v[4:5], v[18:19], v[173:174]
	v_fma_f64 v[18:19], v[2:3], v[18:19], -v[20:21]
	ds_load_b128 v[2:5], v1 offset:1824
	v_add_f64_e32 v[14:15], v[10:11], v[14:15]
	v_add_f64_e32 v[20:21], v[12:13], v[175:176]
	scratch_load_b128 v[10:13], off, off offset:608
	s_wait_loadcnt_dscnt 0x701
	v_mul_f64_e32 v[16:17], v[6:7], v[24:25]
	v_mul_f64_e32 v[24:25], v[8:9], v[24:25]
	v_add_f64_e32 v[14:15], v[14:15], v[18:19]
	v_add_f64_e32 v[18:19], v[20:21], v[171:172]
	s_delay_alu instid0(VALU_DEP_4) | instskip(NEXT) | instid1(VALU_DEP_4)
	v_fma_f64 v[16:17], v[8:9], v[22:23], v[16:17]
	v_fma_f64 v[22:23], v[6:7], v[22:23], -v[24:25]
	ds_load_b128 v[6:9], v1 offset:1840
	s_wait_loadcnt_dscnt 0x601
	v_mul_f64_e32 v[173:174], v[2:3], v[28:29]
	v_mul_f64_e32 v[28:29], v[4:5], v[28:29]
	s_wait_loadcnt_dscnt 0x500
	v_mul_f64_e32 v[20:21], v[6:7], v[32:33]
	v_mul_f64_e32 v[24:25], v[8:9], v[32:33]
	v_add_f64_e32 v[16:17], v[18:19], v[16:17]
	v_add_f64_e32 v[14:15], v[14:15], v[22:23]
	v_fma_f64 v[32:33], v[4:5], v[26:27], v[173:174]
	v_fma_f64 v[26:27], v[2:3], v[26:27], -v[28:29]
	ds_load_b128 v[2:5], v1 offset:1856
	v_fma_f64 v[20:21], v[8:9], v[30:31], v[20:21]
	v_fma_f64 v[24:25], v[6:7], v[30:31], -v[24:25]
	ds_load_b128 v[6:9], v1 offset:1872
	s_wait_loadcnt_dscnt 0x401
	v_mul_f64_e32 v[18:19], v[2:3], v[40:41]
	v_mul_f64_e32 v[22:23], v[4:5], v[40:41]
	v_add_f64_e32 v[16:17], v[16:17], v[32:33]
	v_add_f64_e32 v[14:15], v[14:15], v[26:27]
	s_wait_loadcnt_dscnt 0x300
	v_mul_f64_e32 v[26:27], v[6:7], v[169:170]
	v_mul_f64_e32 v[28:29], v[8:9], v[169:170]
	v_fma_f64 v[18:19], v[4:5], v[38:39], v[18:19]
	v_fma_f64 v[22:23], v[2:3], v[38:39], -v[22:23]
	ds_load_b128 v[2:5], v1 offset:1888
	v_add_f64_e32 v[16:17], v[16:17], v[20:21]
	v_add_f64_e32 v[14:15], v[14:15], v[24:25]
	v_fma_f64 v[26:27], v[8:9], v[167:168], v[26:27]
	v_fma_f64 v[28:29], v[6:7], v[167:168], -v[28:29]
	ds_load_b128 v[6:9], v1 offset:1904
	s_wait_loadcnt_dscnt 0x201
	v_mul_f64_e32 v[20:21], v[2:3], v[36:37]
	v_mul_f64_e32 v[24:25], v[4:5], v[36:37]
	v_add_f64_e32 v[16:17], v[16:17], v[18:19]
	v_add_f64_e32 v[14:15], v[14:15], v[22:23]
	s_wait_loadcnt_dscnt 0x100
	v_mul_f64_e32 v[18:19], v[6:7], v[165:166]
	v_mul_f64_e32 v[22:23], v[8:9], v[165:166]
	v_fma_f64 v[4:5], v[4:5], v[34:35], v[20:21]
	v_fma_f64 v[1:2], v[2:3], v[34:35], -v[24:25]
	v_add_f64_e32 v[16:17], v[16:17], v[26:27]
	v_add_f64_e32 v[14:15], v[14:15], v[28:29]
	v_fma_f64 v[8:9], v[8:9], v[163:164], v[18:19]
	v_fma_f64 v[6:7], v[6:7], v[163:164], -v[22:23]
	s_delay_alu instid0(VALU_DEP_4) | instskip(NEXT) | instid1(VALU_DEP_4)
	v_add_f64_e32 v[3:4], v[16:17], v[4:5]
	v_add_f64_e32 v[1:2], v[14:15], v[1:2]
	s_delay_alu instid0(VALU_DEP_2) | instskip(NEXT) | instid1(VALU_DEP_2)
	v_add_f64_e32 v[3:4], v[3:4], v[8:9]
	v_add_f64_e32 v[1:2], v[1:2], v[6:7]
	s_wait_loadcnt 0x0
	s_delay_alu instid0(VALU_DEP_2) | instskip(NEXT) | instid1(VALU_DEP_2)
	v_add_f64_e64 v[3:4], v[12:13], -v[3:4]
	v_add_f64_e64 v[1:2], v[10:11], -v[1:2]
	scratch_store_b128 off, v[1:4], off offset:608
	v_cmpx_lt_u32_e32 36, v0
	s_cbranch_execz .LBB123_301
; %bb.300:
	scratch_load_b128 v[1:4], off, s37
	v_mov_b32_e32 v5, 0
	s_delay_alu instid0(VALU_DEP_1)
	v_dual_mov_b32 v6, v5 :: v_dual_mov_b32 v7, v5
	v_mov_b32_e32 v8, v5
	scratch_store_b128 off, v[5:8], off offset:592
	s_wait_loadcnt 0x0
	ds_store_b128 v162, v[1:4]
.LBB123_301:
	s_wait_alu 0xfffe
	s_or_b32 exec_lo, exec_lo, s0
	s_wait_storecnt_dscnt 0x0
	s_barrier_signal -1
	s_barrier_wait -1
	global_inv scope:SCOPE_SE
	s_clause 0x7
	scratch_load_b128 v[2:5], off, off offset:608
	scratch_load_b128 v[6:9], off, off offset:624
	;; [unrolled: 1-line block ×8, first 2 shown]
	v_mov_b32_e32 v1, 0
	s_clause 0x1
	scratch_load_b128 v[38:41], off, off offset:736
	scratch_load_b128 v[167:170], off, off offset:752
	s_mov_b32 s0, exec_lo
	ds_load_b128 v[34:37], v1 offset:1552
	ds_load_b128 v[163:166], v1 offset:1568
	s_wait_loadcnt_dscnt 0x901
	v_mul_f64_e32 v[171:172], v[36:37], v[4:5]
	v_mul_f64_e32 v[4:5], v[34:35], v[4:5]
	s_wait_loadcnt_dscnt 0x800
	v_mul_f64_e32 v[173:174], v[163:164], v[8:9]
	v_mul_f64_e32 v[8:9], v[165:166], v[8:9]
	s_delay_alu instid0(VALU_DEP_4) | instskip(NEXT) | instid1(VALU_DEP_4)
	v_fma_f64 v[171:172], v[34:35], v[2:3], -v[171:172]
	v_fma_f64 v[175:176], v[36:37], v[2:3], v[4:5]
	ds_load_b128 v[2:5], v1 offset:1584
	scratch_load_b128 v[34:37], off, off offset:768
	v_fma_f64 v[173:174], v[165:166], v[6:7], v[173:174]
	v_fma_f64 v[179:180], v[163:164], v[6:7], -v[8:9]
	ds_load_b128 v[6:9], v1 offset:1600
	scratch_load_b128 v[163:166], off, off offset:784
	s_wait_loadcnt_dscnt 0x901
	v_mul_f64_e32 v[177:178], v[2:3], v[12:13]
	v_mul_f64_e32 v[12:13], v[4:5], v[12:13]
	s_wait_loadcnt_dscnt 0x800
	v_mul_f64_e32 v[181:182], v[6:7], v[16:17]
	v_mul_f64_e32 v[16:17], v[8:9], v[16:17]
	v_add_f64_e32 v[171:172], 0, v[171:172]
	v_add_f64_e32 v[175:176], 0, v[175:176]
	v_fma_f64 v[177:178], v[4:5], v[10:11], v[177:178]
	v_fma_f64 v[183:184], v[2:3], v[10:11], -v[12:13]
	ds_load_b128 v[2:5], v1 offset:1616
	scratch_load_b128 v[10:13], off, off offset:800
	v_add_f64_e32 v[171:172], v[171:172], v[179:180]
	v_add_f64_e32 v[173:174], v[175:176], v[173:174]
	v_fma_f64 v[179:180], v[8:9], v[14:15], v[181:182]
	v_fma_f64 v[181:182], v[6:7], v[14:15], -v[16:17]
	ds_load_b128 v[6:9], v1 offset:1632
	scratch_load_b128 v[14:17], off, off offset:816
	s_wait_loadcnt_dscnt 0x901
	v_mul_f64_e32 v[175:176], v[2:3], v[20:21]
	v_mul_f64_e32 v[20:21], v[4:5], v[20:21]
	v_add_f64_e32 v[171:172], v[171:172], v[183:184]
	v_add_f64_e32 v[173:174], v[173:174], v[177:178]
	s_wait_loadcnt_dscnt 0x800
	v_mul_f64_e32 v[177:178], v[6:7], v[24:25]
	v_mul_f64_e32 v[24:25], v[8:9], v[24:25]
	v_fma_f64 v[175:176], v[4:5], v[18:19], v[175:176]
	v_fma_f64 v[183:184], v[2:3], v[18:19], -v[20:21]
	ds_load_b128 v[2:5], v1 offset:1648
	scratch_load_b128 v[18:21], off, off offset:832
	v_add_f64_e32 v[171:172], v[171:172], v[181:182]
	v_add_f64_e32 v[173:174], v[173:174], v[179:180]
	v_fma_f64 v[177:178], v[8:9], v[22:23], v[177:178]
	v_fma_f64 v[181:182], v[6:7], v[22:23], -v[24:25]
	ds_load_b128 v[6:9], v1 offset:1664
	s_wait_loadcnt_dscnt 0x801
	v_mul_f64_e32 v[179:180], v[2:3], v[28:29]
	v_mul_f64_e32 v[28:29], v[4:5], v[28:29]
	scratch_load_b128 v[22:25], off, off offset:848
	v_add_f64_e32 v[171:172], v[171:172], v[183:184]
	v_add_f64_e32 v[173:174], v[173:174], v[175:176]
	s_wait_loadcnt_dscnt 0x800
	v_mul_f64_e32 v[175:176], v[6:7], v[32:33]
	v_mul_f64_e32 v[32:33], v[8:9], v[32:33]
	v_fma_f64 v[179:180], v[4:5], v[26:27], v[179:180]
	v_fma_f64 v[183:184], v[2:3], v[26:27], -v[28:29]
	ds_load_b128 v[2:5], v1 offset:1680
	scratch_load_b128 v[26:29], off, off offset:864
	v_add_f64_e32 v[171:172], v[171:172], v[181:182]
	v_add_f64_e32 v[173:174], v[173:174], v[177:178]
	v_fma_f64 v[175:176], v[8:9], v[30:31], v[175:176]
	v_fma_f64 v[181:182], v[6:7], v[30:31], -v[32:33]
	ds_load_b128 v[6:9], v1 offset:1696
	s_wait_loadcnt_dscnt 0x801
	v_mul_f64_e32 v[177:178], v[2:3], v[40:41]
	v_mul_f64_e32 v[40:41], v[4:5], v[40:41]
	scratch_load_b128 v[30:33], off, off offset:880
	v_add_f64_e32 v[171:172], v[171:172], v[183:184]
	v_add_f64_e32 v[173:174], v[173:174], v[179:180]
	s_wait_loadcnt_dscnt 0x800
	v_mul_f64_e32 v[179:180], v[6:7], v[169:170]
	v_mul_f64_e32 v[169:170], v[8:9], v[169:170]
	v_fma_f64 v[177:178], v[4:5], v[38:39], v[177:178]
	v_fma_f64 v[183:184], v[2:3], v[38:39], -v[40:41]
	ds_load_b128 v[2:5], v1 offset:1712
	scratch_load_b128 v[38:41], off, off offset:896
	v_add_f64_e32 v[171:172], v[171:172], v[181:182]
	v_add_f64_e32 v[173:174], v[173:174], v[175:176]
	v_fma_f64 v[179:180], v[8:9], v[167:168], v[179:180]
	v_fma_f64 v[181:182], v[6:7], v[167:168], -v[169:170]
	ds_load_b128 v[6:9], v1 offset:1728
	scratch_load_b128 v[167:170], off, off offset:912
	s_wait_loadcnt_dscnt 0x901
	v_mul_f64_e32 v[175:176], v[2:3], v[36:37]
	v_mul_f64_e32 v[36:37], v[4:5], v[36:37]
	v_add_f64_e32 v[171:172], v[171:172], v[183:184]
	v_add_f64_e32 v[173:174], v[173:174], v[177:178]
	s_wait_loadcnt_dscnt 0x800
	v_mul_f64_e32 v[177:178], v[6:7], v[165:166]
	v_mul_f64_e32 v[165:166], v[8:9], v[165:166]
	v_fma_f64 v[175:176], v[4:5], v[34:35], v[175:176]
	v_fma_f64 v[183:184], v[2:3], v[34:35], -v[36:37]
	ds_load_b128 v[2:5], v1 offset:1744
	scratch_load_b128 v[34:37], off, off offset:928
	v_add_f64_e32 v[171:172], v[171:172], v[181:182]
	v_add_f64_e32 v[173:174], v[173:174], v[179:180]
	v_fma_f64 v[177:178], v[8:9], v[163:164], v[177:178]
	v_fma_f64 v[181:182], v[6:7], v[163:164], -v[165:166]
	ds_load_b128 v[6:9], v1 offset:1760
	s_wait_loadcnt_dscnt 0x801
	v_mul_f64_e32 v[179:180], v[2:3], v[12:13]
	v_mul_f64_e32 v[12:13], v[4:5], v[12:13]
	scratch_load_b128 v[163:166], off, off offset:944
	v_add_f64_e32 v[171:172], v[171:172], v[183:184]
	v_add_f64_e32 v[173:174], v[173:174], v[175:176]
	s_wait_loadcnt_dscnt 0x800
	v_mul_f64_e32 v[175:176], v[6:7], v[16:17]
	v_mul_f64_e32 v[16:17], v[8:9], v[16:17]
	v_fma_f64 v[179:180], v[4:5], v[10:11], v[179:180]
	v_fma_f64 v[183:184], v[2:3], v[10:11], -v[12:13]
	ds_load_b128 v[2:5], v1 offset:1776
	scratch_load_b128 v[10:13], off, off offset:960
	v_add_f64_e32 v[171:172], v[171:172], v[181:182]
	v_add_f64_e32 v[173:174], v[173:174], v[177:178]
	v_fma_f64 v[175:176], v[8:9], v[14:15], v[175:176]
	v_fma_f64 v[14:15], v[6:7], v[14:15], -v[16:17]
	ds_load_b128 v[6:9], v1 offset:1792
	s_wait_loadcnt_dscnt 0x801
	v_mul_f64_e32 v[177:178], v[2:3], v[20:21]
	v_mul_f64_e32 v[20:21], v[4:5], v[20:21]
	v_add_f64_e32 v[16:17], v[171:172], v[183:184]
	v_add_f64_e32 v[171:172], v[173:174], v[179:180]
	s_wait_loadcnt_dscnt 0x700
	v_mul_f64_e32 v[173:174], v[6:7], v[24:25]
	v_mul_f64_e32 v[24:25], v[8:9], v[24:25]
	v_fma_f64 v[177:178], v[4:5], v[18:19], v[177:178]
	v_fma_f64 v[18:19], v[2:3], v[18:19], -v[20:21]
	ds_load_b128 v[2:5], v1 offset:1808
	v_add_f64_e32 v[14:15], v[16:17], v[14:15]
	v_add_f64_e32 v[16:17], v[171:172], v[175:176]
	v_fma_f64 v[171:172], v[8:9], v[22:23], v[173:174]
	v_fma_f64 v[22:23], v[6:7], v[22:23], -v[24:25]
	ds_load_b128 v[6:9], v1 offset:1824
	s_wait_loadcnt_dscnt 0x500
	v_mul_f64_e32 v[173:174], v[6:7], v[32:33]
	v_mul_f64_e32 v[32:33], v[8:9], v[32:33]
	v_add_f64_e32 v[18:19], v[14:15], v[18:19]
	v_add_f64_e32 v[24:25], v[16:17], v[177:178]
	scratch_load_b128 v[14:17], off, off offset:592
	v_mul_f64_e32 v[20:21], v[2:3], v[28:29]
	v_mul_f64_e32 v[28:29], v[4:5], v[28:29]
	v_add_f64_e32 v[18:19], v[18:19], v[22:23]
	v_add_f64_e32 v[22:23], v[24:25], v[171:172]
	s_delay_alu instid0(VALU_DEP_4) | instskip(NEXT) | instid1(VALU_DEP_4)
	v_fma_f64 v[20:21], v[4:5], v[26:27], v[20:21]
	v_fma_f64 v[26:27], v[2:3], v[26:27], -v[28:29]
	ds_load_b128 v[2:5], v1 offset:1840
	s_wait_loadcnt_dscnt 0x500
	v_mul_f64_e32 v[24:25], v[2:3], v[40:41]
	v_mul_f64_e32 v[28:29], v[4:5], v[40:41]
	v_fma_f64 v[40:41], v[8:9], v[30:31], v[173:174]
	v_fma_f64 v[30:31], v[6:7], v[30:31], -v[32:33]
	ds_load_b128 v[6:9], v1 offset:1856
	v_add_f64_e32 v[20:21], v[22:23], v[20:21]
	v_add_f64_e32 v[18:19], v[18:19], v[26:27]
	v_fma_f64 v[24:25], v[4:5], v[38:39], v[24:25]
	v_fma_f64 v[28:29], v[2:3], v[38:39], -v[28:29]
	ds_load_b128 v[2:5], v1 offset:1872
	s_wait_loadcnt_dscnt 0x401
	v_mul_f64_e32 v[22:23], v[6:7], v[169:170]
	v_mul_f64_e32 v[26:27], v[8:9], v[169:170]
	v_add_f64_e32 v[20:21], v[20:21], v[40:41]
	v_add_f64_e32 v[18:19], v[18:19], v[30:31]
	s_wait_loadcnt_dscnt 0x300
	v_mul_f64_e32 v[30:31], v[2:3], v[36:37]
	v_mul_f64_e32 v[32:33], v[4:5], v[36:37]
	v_fma_f64 v[22:23], v[8:9], v[167:168], v[22:23]
	v_fma_f64 v[26:27], v[6:7], v[167:168], -v[26:27]
	ds_load_b128 v[6:9], v1 offset:1888
	v_add_f64_e32 v[20:21], v[20:21], v[24:25]
	v_add_f64_e32 v[18:19], v[18:19], v[28:29]
	v_fma_f64 v[30:31], v[4:5], v[34:35], v[30:31]
	v_fma_f64 v[32:33], v[2:3], v[34:35], -v[32:33]
	ds_load_b128 v[2:5], v1 offset:1904
	s_wait_loadcnt_dscnt 0x201
	v_mul_f64_e32 v[24:25], v[6:7], v[165:166]
	v_mul_f64_e32 v[28:29], v[8:9], v[165:166]
	v_add_f64_e32 v[20:21], v[20:21], v[22:23]
	v_add_f64_e32 v[18:19], v[18:19], v[26:27]
	s_wait_loadcnt_dscnt 0x100
	v_mul_f64_e32 v[22:23], v[2:3], v[12:13]
	v_mul_f64_e32 v[12:13], v[4:5], v[12:13]
	v_fma_f64 v[8:9], v[8:9], v[163:164], v[24:25]
	v_fma_f64 v[6:7], v[6:7], v[163:164], -v[28:29]
	v_add_f64_e32 v[20:21], v[20:21], v[30:31]
	v_add_f64_e32 v[18:19], v[18:19], v[32:33]
	v_fma_f64 v[4:5], v[4:5], v[10:11], v[22:23]
	v_fma_f64 v[2:3], v[2:3], v[10:11], -v[12:13]
	s_delay_alu instid0(VALU_DEP_4) | instskip(NEXT) | instid1(VALU_DEP_4)
	v_add_f64_e32 v[8:9], v[20:21], v[8:9]
	v_add_f64_e32 v[6:7], v[18:19], v[6:7]
	s_delay_alu instid0(VALU_DEP_2) | instskip(NEXT) | instid1(VALU_DEP_2)
	v_add_f64_e32 v[4:5], v[8:9], v[4:5]
	v_add_f64_e32 v[2:3], v[6:7], v[2:3]
	s_wait_loadcnt 0x0
	s_delay_alu instid0(VALU_DEP_2) | instskip(NEXT) | instid1(VALU_DEP_2)
	v_add_f64_e64 v[4:5], v[16:17], -v[4:5]
	v_add_f64_e64 v[2:3], v[14:15], -v[2:3]
	scratch_store_b128 off, v[2:5], off offset:592
	v_cmpx_lt_u32_e32 35, v0
	s_cbranch_execz .LBB123_303
; %bb.302:
	scratch_load_b128 v[5:8], off, s38
	v_dual_mov_b32 v2, v1 :: v_dual_mov_b32 v3, v1
	v_mov_b32_e32 v4, v1
	scratch_store_b128 off, v[1:4], off offset:576
	s_wait_loadcnt 0x0
	ds_store_b128 v162, v[5:8]
.LBB123_303:
	s_wait_alu 0xfffe
	s_or_b32 exec_lo, exec_lo, s0
	s_wait_storecnt_dscnt 0x0
	s_barrier_signal -1
	s_barrier_wait -1
	global_inv scope:SCOPE_SE
	s_clause 0x7
	scratch_load_b128 v[2:5], off, off offset:592
	scratch_load_b128 v[6:9], off, off offset:608
	;; [unrolled: 1-line block ×8, first 2 shown]
	ds_load_b128 v[34:37], v1 offset:1536
	ds_load_b128 v[163:166], v1 offset:1552
	s_clause 0x1
	scratch_load_b128 v[38:41], off, off offset:720
	scratch_load_b128 v[167:170], off, off offset:736
	s_mov_b32 s0, exec_lo
	s_wait_loadcnt_dscnt 0x901
	v_mul_f64_e32 v[171:172], v[36:37], v[4:5]
	v_mul_f64_e32 v[4:5], v[34:35], v[4:5]
	s_wait_loadcnt_dscnt 0x800
	v_mul_f64_e32 v[173:174], v[163:164], v[8:9]
	v_mul_f64_e32 v[8:9], v[165:166], v[8:9]
	s_delay_alu instid0(VALU_DEP_4) | instskip(NEXT) | instid1(VALU_DEP_4)
	v_fma_f64 v[171:172], v[34:35], v[2:3], -v[171:172]
	v_fma_f64 v[175:176], v[36:37], v[2:3], v[4:5]
	ds_load_b128 v[2:5], v1 offset:1568
	scratch_load_b128 v[34:37], off, off offset:752
	v_fma_f64 v[173:174], v[165:166], v[6:7], v[173:174]
	v_fma_f64 v[179:180], v[163:164], v[6:7], -v[8:9]
	ds_load_b128 v[6:9], v1 offset:1584
	scratch_load_b128 v[163:166], off, off offset:768
	s_wait_loadcnt_dscnt 0x901
	v_mul_f64_e32 v[177:178], v[2:3], v[12:13]
	v_mul_f64_e32 v[12:13], v[4:5], v[12:13]
	s_wait_loadcnt_dscnt 0x800
	v_mul_f64_e32 v[181:182], v[6:7], v[16:17]
	v_mul_f64_e32 v[16:17], v[8:9], v[16:17]
	v_add_f64_e32 v[171:172], 0, v[171:172]
	v_add_f64_e32 v[175:176], 0, v[175:176]
	v_fma_f64 v[177:178], v[4:5], v[10:11], v[177:178]
	v_fma_f64 v[183:184], v[2:3], v[10:11], -v[12:13]
	ds_load_b128 v[2:5], v1 offset:1600
	scratch_load_b128 v[10:13], off, off offset:784
	v_add_f64_e32 v[171:172], v[171:172], v[179:180]
	v_add_f64_e32 v[173:174], v[175:176], v[173:174]
	v_fma_f64 v[179:180], v[8:9], v[14:15], v[181:182]
	v_fma_f64 v[181:182], v[6:7], v[14:15], -v[16:17]
	ds_load_b128 v[6:9], v1 offset:1616
	scratch_load_b128 v[14:17], off, off offset:800
	s_wait_loadcnt_dscnt 0x901
	v_mul_f64_e32 v[175:176], v[2:3], v[20:21]
	v_mul_f64_e32 v[20:21], v[4:5], v[20:21]
	v_add_f64_e32 v[171:172], v[171:172], v[183:184]
	v_add_f64_e32 v[173:174], v[173:174], v[177:178]
	s_wait_loadcnt_dscnt 0x800
	v_mul_f64_e32 v[177:178], v[6:7], v[24:25]
	v_mul_f64_e32 v[24:25], v[8:9], v[24:25]
	v_fma_f64 v[175:176], v[4:5], v[18:19], v[175:176]
	v_fma_f64 v[183:184], v[2:3], v[18:19], -v[20:21]
	ds_load_b128 v[2:5], v1 offset:1632
	scratch_load_b128 v[18:21], off, off offset:816
	v_add_f64_e32 v[171:172], v[171:172], v[181:182]
	v_add_f64_e32 v[173:174], v[173:174], v[179:180]
	v_fma_f64 v[177:178], v[8:9], v[22:23], v[177:178]
	v_fma_f64 v[181:182], v[6:7], v[22:23], -v[24:25]
	ds_load_b128 v[6:9], v1 offset:1648
	s_wait_loadcnt_dscnt 0x801
	v_mul_f64_e32 v[179:180], v[2:3], v[28:29]
	v_mul_f64_e32 v[28:29], v[4:5], v[28:29]
	scratch_load_b128 v[22:25], off, off offset:832
	v_add_f64_e32 v[171:172], v[171:172], v[183:184]
	v_add_f64_e32 v[173:174], v[173:174], v[175:176]
	s_wait_loadcnt_dscnt 0x800
	v_mul_f64_e32 v[175:176], v[6:7], v[32:33]
	v_mul_f64_e32 v[32:33], v[8:9], v[32:33]
	v_fma_f64 v[179:180], v[4:5], v[26:27], v[179:180]
	v_fma_f64 v[183:184], v[2:3], v[26:27], -v[28:29]
	ds_load_b128 v[2:5], v1 offset:1664
	scratch_load_b128 v[26:29], off, off offset:848
	v_add_f64_e32 v[171:172], v[171:172], v[181:182]
	v_add_f64_e32 v[173:174], v[173:174], v[177:178]
	v_fma_f64 v[175:176], v[8:9], v[30:31], v[175:176]
	v_fma_f64 v[181:182], v[6:7], v[30:31], -v[32:33]
	ds_load_b128 v[6:9], v1 offset:1680
	s_wait_loadcnt_dscnt 0x801
	v_mul_f64_e32 v[177:178], v[2:3], v[40:41]
	v_mul_f64_e32 v[40:41], v[4:5], v[40:41]
	scratch_load_b128 v[30:33], off, off offset:864
	v_add_f64_e32 v[171:172], v[171:172], v[183:184]
	v_add_f64_e32 v[173:174], v[173:174], v[179:180]
	s_wait_loadcnt_dscnt 0x800
	v_mul_f64_e32 v[179:180], v[6:7], v[169:170]
	v_mul_f64_e32 v[169:170], v[8:9], v[169:170]
	v_fma_f64 v[177:178], v[4:5], v[38:39], v[177:178]
	v_fma_f64 v[183:184], v[2:3], v[38:39], -v[40:41]
	ds_load_b128 v[2:5], v1 offset:1696
	scratch_load_b128 v[38:41], off, off offset:880
	v_add_f64_e32 v[171:172], v[171:172], v[181:182]
	v_add_f64_e32 v[173:174], v[173:174], v[175:176]
	v_fma_f64 v[179:180], v[8:9], v[167:168], v[179:180]
	v_fma_f64 v[181:182], v[6:7], v[167:168], -v[169:170]
	ds_load_b128 v[6:9], v1 offset:1712
	scratch_load_b128 v[167:170], off, off offset:896
	s_wait_loadcnt_dscnt 0x901
	v_mul_f64_e32 v[175:176], v[2:3], v[36:37]
	v_mul_f64_e32 v[36:37], v[4:5], v[36:37]
	v_add_f64_e32 v[171:172], v[171:172], v[183:184]
	v_add_f64_e32 v[173:174], v[173:174], v[177:178]
	s_wait_loadcnt_dscnt 0x800
	v_mul_f64_e32 v[177:178], v[6:7], v[165:166]
	v_mul_f64_e32 v[165:166], v[8:9], v[165:166]
	v_fma_f64 v[175:176], v[4:5], v[34:35], v[175:176]
	v_fma_f64 v[183:184], v[2:3], v[34:35], -v[36:37]
	ds_load_b128 v[2:5], v1 offset:1728
	scratch_load_b128 v[34:37], off, off offset:912
	v_add_f64_e32 v[171:172], v[171:172], v[181:182]
	v_add_f64_e32 v[173:174], v[173:174], v[179:180]
	v_fma_f64 v[177:178], v[8:9], v[163:164], v[177:178]
	v_fma_f64 v[181:182], v[6:7], v[163:164], -v[165:166]
	ds_load_b128 v[6:9], v1 offset:1744
	s_wait_loadcnt_dscnt 0x801
	v_mul_f64_e32 v[179:180], v[2:3], v[12:13]
	v_mul_f64_e32 v[12:13], v[4:5], v[12:13]
	scratch_load_b128 v[163:166], off, off offset:928
	v_add_f64_e32 v[171:172], v[171:172], v[183:184]
	v_add_f64_e32 v[173:174], v[173:174], v[175:176]
	s_wait_loadcnt_dscnt 0x800
	v_mul_f64_e32 v[175:176], v[6:7], v[16:17]
	v_mul_f64_e32 v[16:17], v[8:9], v[16:17]
	v_fma_f64 v[179:180], v[4:5], v[10:11], v[179:180]
	v_fma_f64 v[183:184], v[2:3], v[10:11], -v[12:13]
	ds_load_b128 v[2:5], v1 offset:1760
	scratch_load_b128 v[10:13], off, off offset:944
	v_add_f64_e32 v[171:172], v[171:172], v[181:182]
	v_add_f64_e32 v[173:174], v[173:174], v[177:178]
	v_fma_f64 v[175:176], v[8:9], v[14:15], v[175:176]
	v_fma_f64 v[181:182], v[6:7], v[14:15], -v[16:17]
	ds_load_b128 v[6:9], v1 offset:1776
	s_wait_loadcnt_dscnt 0x801
	v_mul_f64_e32 v[177:178], v[2:3], v[20:21]
	v_mul_f64_e32 v[20:21], v[4:5], v[20:21]
	scratch_load_b128 v[14:17], off, off offset:960
	v_add_f64_e32 v[171:172], v[171:172], v[183:184]
	v_add_f64_e32 v[173:174], v[173:174], v[179:180]
	s_wait_loadcnt_dscnt 0x800
	v_mul_f64_e32 v[179:180], v[6:7], v[24:25]
	v_mul_f64_e32 v[24:25], v[8:9], v[24:25]
	v_fma_f64 v[177:178], v[4:5], v[18:19], v[177:178]
	v_fma_f64 v[18:19], v[2:3], v[18:19], -v[20:21]
	ds_load_b128 v[2:5], v1 offset:1792
	v_add_f64_e32 v[20:21], v[171:172], v[181:182]
	v_add_f64_e32 v[171:172], v[173:174], v[175:176]
	v_fma_f64 v[175:176], v[8:9], v[22:23], v[179:180]
	v_fma_f64 v[22:23], v[6:7], v[22:23], -v[24:25]
	ds_load_b128 v[6:9], v1 offset:1808
	s_wait_loadcnt_dscnt 0x701
	v_mul_f64_e32 v[173:174], v[2:3], v[28:29]
	v_mul_f64_e32 v[28:29], v[4:5], v[28:29]
	v_add_f64_e32 v[18:19], v[20:21], v[18:19]
	v_add_f64_e32 v[20:21], v[171:172], v[177:178]
	s_delay_alu instid0(VALU_DEP_4) | instskip(NEXT) | instid1(VALU_DEP_4)
	v_fma_f64 v[171:172], v[4:5], v[26:27], v[173:174]
	v_fma_f64 v[26:27], v[2:3], v[26:27], -v[28:29]
	ds_load_b128 v[2:5], v1 offset:1824
	v_add_f64_e32 v[22:23], v[18:19], v[22:23]
	v_add_f64_e32 v[28:29], v[20:21], v[175:176]
	scratch_load_b128 v[18:21], off, off offset:576
	s_wait_loadcnt_dscnt 0x701
	v_mul_f64_e32 v[24:25], v[6:7], v[32:33]
	v_mul_f64_e32 v[32:33], v[8:9], v[32:33]
	v_add_f64_e32 v[22:23], v[22:23], v[26:27]
	v_add_f64_e32 v[26:27], v[28:29], v[171:172]
	s_delay_alu instid0(VALU_DEP_4) | instskip(NEXT) | instid1(VALU_DEP_4)
	v_fma_f64 v[24:25], v[8:9], v[30:31], v[24:25]
	v_fma_f64 v[30:31], v[6:7], v[30:31], -v[32:33]
	ds_load_b128 v[6:9], v1 offset:1840
	s_wait_loadcnt_dscnt 0x601
	v_mul_f64_e32 v[173:174], v[2:3], v[40:41]
	v_mul_f64_e32 v[40:41], v[4:5], v[40:41]
	s_wait_loadcnt_dscnt 0x500
	v_mul_f64_e32 v[28:29], v[6:7], v[169:170]
	v_mul_f64_e32 v[32:33], v[8:9], v[169:170]
	v_add_f64_e32 v[24:25], v[26:27], v[24:25]
	v_add_f64_e32 v[22:23], v[22:23], v[30:31]
	v_fma_f64 v[169:170], v[4:5], v[38:39], v[173:174]
	v_fma_f64 v[38:39], v[2:3], v[38:39], -v[40:41]
	ds_load_b128 v[2:5], v1 offset:1856
	v_fma_f64 v[28:29], v[8:9], v[167:168], v[28:29]
	v_fma_f64 v[32:33], v[6:7], v[167:168], -v[32:33]
	ds_load_b128 v[6:9], v1 offset:1872
	s_wait_loadcnt_dscnt 0x401
	v_mul_f64_e32 v[26:27], v[2:3], v[36:37]
	v_mul_f64_e32 v[30:31], v[4:5], v[36:37]
	v_add_f64_e32 v[24:25], v[24:25], v[169:170]
	v_add_f64_e32 v[22:23], v[22:23], v[38:39]
	s_wait_loadcnt_dscnt 0x300
	v_mul_f64_e32 v[36:37], v[6:7], v[165:166]
	v_mul_f64_e32 v[38:39], v[8:9], v[165:166]
	v_fma_f64 v[26:27], v[4:5], v[34:35], v[26:27]
	v_fma_f64 v[30:31], v[2:3], v[34:35], -v[30:31]
	ds_load_b128 v[2:5], v1 offset:1888
	v_add_f64_e32 v[24:25], v[24:25], v[28:29]
	v_add_f64_e32 v[22:23], v[22:23], v[32:33]
	v_fma_f64 v[32:33], v[8:9], v[163:164], v[36:37]
	v_fma_f64 v[34:35], v[6:7], v[163:164], -v[38:39]
	ds_load_b128 v[6:9], v1 offset:1904
	s_wait_loadcnt_dscnt 0x201
	v_mul_f64_e32 v[28:29], v[2:3], v[12:13]
	v_mul_f64_e32 v[12:13], v[4:5], v[12:13]
	v_add_f64_e32 v[24:25], v[24:25], v[26:27]
	v_add_f64_e32 v[22:23], v[22:23], v[30:31]
	s_wait_loadcnt_dscnt 0x100
	v_mul_f64_e32 v[26:27], v[6:7], v[16:17]
	v_mul_f64_e32 v[16:17], v[8:9], v[16:17]
	v_fma_f64 v[4:5], v[4:5], v[10:11], v[28:29]
	v_fma_f64 v[1:2], v[2:3], v[10:11], -v[12:13]
	v_add_f64_e32 v[12:13], v[24:25], v[32:33]
	v_add_f64_e32 v[10:11], v[22:23], v[34:35]
	v_fma_f64 v[8:9], v[8:9], v[14:15], v[26:27]
	v_fma_f64 v[6:7], v[6:7], v[14:15], -v[16:17]
	s_delay_alu instid0(VALU_DEP_4) | instskip(NEXT) | instid1(VALU_DEP_4)
	v_add_f64_e32 v[3:4], v[12:13], v[4:5]
	v_add_f64_e32 v[1:2], v[10:11], v[1:2]
	s_delay_alu instid0(VALU_DEP_2) | instskip(NEXT) | instid1(VALU_DEP_2)
	v_add_f64_e32 v[3:4], v[3:4], v[8:9]
	v_add_f64_e32 v[1:2], v[1:2], v[6:7]
	s_wait_loadcnt 0x0
	s_delay_alu instid0(VALU_DEP_2) | instskip(NEXT) | instid1(VALU_DEP_2)
	v_add_f64_e64 v[3:4], v[20:21], -v[3:4]
	v_add_f64_e64 v[1:2], v[18:19], -v[1:2]
	scratch_store_b128 off, v[1:4], off offset:576
	v_cmpx_lt_u32_e32 34, v0
	s_cbranch_execz .LBB123_305
; %bb.304:
	scratch_load_b128 v[1:4], off, s39
	v_mov_b32_e32 v5, 0
	s_delay_alu instid0(VALU_DEP_1)
	v_dual_mov_b32 v6, v5 :: v_dual_mov_b32 v7, v5
	v_mov_b32_e32 v8, v5
	scratch_store_b128 off, v[5:8], off offset:560
	s_wait_loadcnt 0x0
	ds_store_b128 v162, v[1:4]
.LBB123_305:
	s_wait_alu 0xfffe
	s_or_b32 exec_lo, exec_lo, s0
	s_wait_storecnt_dscnt 0x0
	s_barrier_signal -1
	s_barrier_wait -1
	global_inv scope:SCOPE_SE
	s_clause 0x7
	scratch_load_b128 v[2:5], off, off offset:576
	scratch_load_b128 v[6:9], off, off offset:592
	;; [unrolled: 1-line block ×8, first 2 shown]
	v_mov_b32_e32 v1, 0
	s_clause 0x1
	scratch_load_b128 v[38:41], off, off offset:704
	scratch_load_b128 v[167:170], off, off offset:720
	s_mov_b32 s0, exec_lo
	ds_load_b128 v[34:37], v1 offset:1520
	ds_load_b128 v[163:166], v1 offset:1536
	s_wait_loadcnt_dscnt 0x901
	v_mul_f64_e32 v[171:172], v[36:37], v[4:5]
	v_mul_f64_e32 v[4:5], v[34:35], v[4:5]
	s_wait_loadcnt_dscnt 0x800
	v_mul_f64_e32 v[173:174], v[163:164], v[8:9]
	v_mul_f64_e32 v[8:9], v[165:166], v[8:9]
	s_delay_alu instid0(VALU_DEP_4) | instskip(NEXT) | instid1(VALU_DEP_4)
	v_fma_f64 v[171:172], v[34:35], v[2:3], -v[171:172]
	v_fma_f64 v[175:176], v[36:37], v[2:3], v[4:5]
	ds_load_b128 v[2:5], v1 offset:1552
	scratch_load_b128 v[34:37], off, off offset:736
	v_fma_f64 v[173:174], v[165:166], v[6:7], v[173:174]
	v_fma_f64 v[179:180], v[163:164], v[6:7], -v[8:9]
	ds_load_b128 v[6:9], v1 offset:1568
	scratch_load_b128 v[163:166], off, off offset:752
	s_wait_loadcnt_dscnt 0x901
	v_mul_f64_e32 v[177:178], v[2:3], v[12:13]
	v_mul_f64_e32 v[12:13], v[4:5], v[12:13]
	s_wait_loadcnt_dscnt 0x800
	v_mul_f64_e32 v[181:182], v[6:7], v[16:17]
	v_mul_f64_e32 v[16:17], v[8:9], v[16:17]
	v_add_f64_e32 v[171:172], 0, v[171:172]
	v_add_f64_e32 v[175:176], 0, v[175:176]
	v_fma_f64 v[177:178], v[4:5], v[10:11], v[177:178]
	v_fma_f64 v[183:184], v[2:3], v[10:11], -v[12:13]
	ds_load_b128 v[2:5], v1 offset:1584
	scratch_load_b128 v[10:13], off, off offset:768
	v_add_f64_e32 v[171:172], v[171:172], v[179:180]
	v_add_f64_e32 v[173:174], v[175:176], v[173:174]
	v_fma_f64 v[179:180], v[8:9], v[14:15], v[181:182]
	v_fma_f64 v[181:182], v[6:7], v[14:15], -v[16:17]
	ds_load_b128 v[6:9], v1 offset:1600
	scratch_load_b128 v[14:17], off, off offset:784
	s_wait_loadcnt_dscnt 0x901
	v_mul_f64_e32 v[175:176], v[2:3], v[20:21]
	v_mul_f64_e32 v[20:21], v[4:5], v[20:21]
	v_add_f64_e32 v[171:172], v[171:172], v[183:184]
	v_add_f64_e32 v[173:174], v[173:174], v[177:178]
	s_wait_loadcnt_dscnt 0x800
	v_mul_f64_e32 v[177:178], v[6:7], v[24:25]
	v_mul_f64_e32 v[24:25], v[8:9], v[24:25]
	v_fma_f64 v[175:176], v[4:5], v[18:19], v[175:176]
	v_fma_f64 v[183:184], v[2:3], v[18:19], -v[20:21]
	ds_load_b128 v[2:5], v1 offset:1616
	scratch_load_b128 v[18:21], off, off offset:800
	v_add_f64_e32 v[171:172], v[171:172], v[181:182]
	v_add_f64_e32 v[173:174], v[173:174], v[179:180]
	v_fma_f64 v[177:178], v[8:9], v[22:23], v[177:178]
	v_fma_f64 v[181:182], v[6:7], v[22:23], -v[24:25]
	ds_load_b128 v[6:9], v1 offset:1632
	s_wait_loadcnt_dscnt 0x801
	v_mul_f64_e32 v[179:180], v[2:3], v[28:29]
	v_mul_f64_e32 v[28:29], v[4:5], v[28:29]
	scratch_load_b128 v[22:25], off, off offset:816
	v_add_f64_e32 v[171:172], v[171:172], v[183:184]
	v_add_f64_e32 v[173:174], v[173:174], v[175:176]
	s_wait_loadcnt_dscnt 0x800
	v_mul_f64_e32 v[175:176], v[6:7], v[32:33]
	v_mul_f64_e32 v[32:33], v[8:9], v[32:33]
	v_fma_f64 v[179:180], v[4:5], v[26:27], v[179:180]
	v_fma_f64 v[183:184], v[2:3], v[26:27], -v[28:29]
	ds_load_b128 v[2:5], v1 offset:1648
	scratch_load_b128 v[26:29], off, off offset:832
	v_add_f64_e32 v[171:172], v[171:172], v[181:182]
	v_add_f64_e32 v[173:174], v[173:174], v[177:178]
	v_fma_f64 v[175:176], v[8:9], v[30:31], v[175:176]
	v_fma_f64 v[181:182], v[6:7], v[30:31], -v[32:33]
	ds_load_b128 v[6:9], v1 offset:1664
	s_wait_loadcnt_dscnt 0x801
	v_mul_f64_e32 v[177:178], v[2:3], v[40:41]
	v_mul_f64_e32 v[40:41], v[4:5], v[40:41]
	scratch_load_b128 v[30:33], off, off offset:848
	v_add_f64_e32 v[171:172], v[171:172], v[183:184]
	v_add_f64_e32 v[173:174], v[173:174], v[179:180]
	s_wait_loadcnt_dscnt 0x800
	v_mul_f64_e32 v[179:180], v[6:7], v[169:170]
	v_mul_f64_e32 v[169:170], v[8:9], v[169:170]
	v_fma_f64 v[177:178], v[4:5], v[38:39], v[177:178]
	v_fma_f64 v[183:184], v[2:3], v[38:39], -v[40:41]
	ds_load_b128 v[2:5], v1 offset:1680
	scratch_load_b128 v[38:41], off, off offset:864
	v_add_f64_e32 v[171:172], v[171:172], v[181:182]
	v_add_f64_e32 v[173:174], v[173:174], v[175:176]
	v_fma_f64 v[179:180], v[8:9], v[167:168], v[179:180]
	v_fma_f64 v[181:182], v[6:7], v[167:168], -v[169:170]
	ds_load_b128 v[6:9], v1 offset:1696
	scratch_load_b128 v[167:170], off, off offset:880
	s_wait_loadcnt_dscnt 0x901
	v_mul_f64_e32 v[175:176], v[2:3], v[36:37]
	v_mul_f64_e32 v[36:37], v[4:5], v[36:37]
	v_add_f64_e32 v[171:172], v[171:172], v[183:184]
	v_add_f64_e32 v[173:174], v[173:174], v[177:178]
	s_wait_loadcnt_dscnt 0x800
	v_mul_f64_e32 v[177:178], v[6:7], v[165:166]
	v_mul_f64_e32 v[165:166], v[8:9], v[165:166]
	v_fma_f64 v[175:176], v[4:5], v[34:35], v[175:176]
	v_fma_f64 v[183:184], v[2:3], v[34:35], -v[36:37]
	ds_load_b128 v[2:5], v1 offset:1712
	scratch_load_b128 v[34:37], off, off offset:896
	v_add_f64_e32 v[171:172], v[171:172], v[181:182]
	v_add_f64_e32 v[173:174], v[173:174], v[179:180]
	v_fma_f64 v[177:178], v[8:9], v[163:164], v[177:178]
	v_fma_f64 v[181:182], v[6:7], v[163:164], -v[165:166]
	ds_load_b128 v[6:9], v1 offset:1728
	s_wait_loadcnt_dscnt 0x801
	v_mul_f64_e32 v[179:180], v[2:3], v[12:13]
	v_mul_f64_e32 v[12:13], v[4:5], v[12:13]
	scratch_load_b128 v[163:166], off, off offset:912
	v_add_f64_e32 v[171:172], v[171:172], v[183:184]
	v_add_f64_e32 v[173:174], v[173:174], v[175:176]
	s_wait_loadcnt_dscnt 0x800
	v_mul_f64_e32 v[175:176], v[6:7], v[16:17]
	v_mul_f64_e32 v[16:17], v[8:9], v[16:17]
	v_fma_f64 v[179:180], v[4:5], v[10:11], v[179:180]
	v_fma_f64 v[183:184], v[2:3], v[10:11], -v[12:13]
	ds_load_b128 v[2:5], v1 offset:1744
	scratch_load_b128 v[10:13], off, off offset:928
	v_add_f64_e32 v[171:172], v[171:172], v[181:182]
	v_add_f64_e32 v[173:174], v[173:174], v[177:178]
	v_fma_f64 v[175:176], v[8:9], v[14:15], v[175:176]
	v_fma_f64 v[181:182], v[6:7], v[14:15], -v[16:17]
	ds_load_b128 v[6:9], v1 offset:1760
	s_wait_loadcnt_dscnt 0x801
	v_mul_f64_e32 v[177:178], v[2:3], v[20:21]
	v_mul_f64_e32 v[20:21], v[4:5], v[20:21]
	scratch_load_b128 v[14:17], off, off offset:944
	v_add_f64_e32 v[171:172], v[171:172], v[183:184]
	v_add_f64_e32 v[173:174], v[173:174], v[179:180]
	s_wait_loadcnt_dscnt 0x800
	v_mul_f64_e32 v[179:180], v[6:7], v[24:25]
	v_mul_f64_e32 v[24:25], v[8:9], v[24:25]
	v_fma_f64 v[177:178], v[4:5], v[18:19], v[177:178]
	v_fma_f64 v[183:184], v[2:3], v[18:19], -v[20:21]
	ds_load_b128 v[2:5], v1 offset:1776
	scratch_load_b128 v[18:21], off, off offset:960
	v_add_f64_e32 v[171:172], v[171:172], v[181:182]
	v_add_f64_e32 v[173:174], v[173:174], v[175:176]
	v_fma_f64 v[179:180], v[8:9], v[22:23], v[179:180]
	v_fma_f64 v[22:23], v[6:7], v[22:23], -v[24:25]
	ds_load_b128 v[6:9], v1 offset:1792
	s_wait_loadcnt_dscnt 0x801
	v_mul_f64_e32 v[175:176], v[2:3], v[28:29]
	v_mul_f64_e32 v[28:29], v[4:5], v[28:29]
	v_add_f64_e32 v[24:25], v[171:172], v[183:184]
	v_add_f64_e32 v[171:172], v[173:174], v[177:178]
	s_wait_loadcnt_dscnt 0x700
	v_mul_f64_e32 v[173:174], v[6:7], v[32:33]
	v_mul_f64_e32 v[32:33], v[8:9], v[32:33]
	v_fma_f64 v[175:176], v[4:5], v[26:27], v[175:176]
	v_fma_f64 v[26:27], v[2:3], v[26:27], -v[28:29]
	ds_load_b128 v[2:5], v1 offset:1808
	v_add_f64_e32 v[22:23], v[24:25], v[22:23]
	v_add_f64_e32 v[24:25], v[171:172], v[179:180]
	v_fma_f64 v[171:172], v[8:9], v[30:31], v[173:174]
	v_fma_f64 v[30:31], v[6:7], v[30:31], -v[32:33]
	ds_load_b128 v[6:9], v1 offset:1824
	s_wait_loadcnt_dscnt 0x500
	v_mul_f64_e32 v[173:174], v[6:7], v[169:170]
	v_mul_f64_e32 v[169:170], v[8:9], v[169:170]
	v_add_f64_e32 v[26:27], v[22:23], v[26:27]
	v_add_f64_e32 v[32:33], v[24:25], v[175:176]
	scratch_load_b128 v[22:25], off, off offset:560
	v_mul_f64_e32 v[28:29], v[2:3], v[40:41]
	v_mul_f64_e32 v[40:41], v[4:5], v[40:41]
	v_add_f64_e32 v[26:27], v[26:27], v[30:31]
	v_add_f64_e32 v[30:31], v[32:33], v[171:172]
	s_delay_alu instid0(VALU_DEP_4) | instskip(NEXT) | instid1(VALU_DEP_4)
	v_fma_f64 v[28:29], v[4:5], v[38:39], v[28:29]
	v_fma_f64 v[38:39], v[2:3], v[38:39], -v[40:41]
	ds_load_b128 v[2:5], v1 offset:1840
	v_fma_f64 v[40:41], v[8:9], v[167:168], v[173:174]
	v_fma_f64 v[167:168], v[6:7], v[167:168], -v[169:170]
	ds_load_b128 v[6:9], v1 offset:1856
	s_wait_loadcnt_dscnt 0x501
	v_mul_f64_e32 v[32:33], v[2:3], v[36:37]
	v_mul_f64_e32 v[36:37], v[4:5], v[36:37]
	v_add_f64_e32 v[28:29], v[30:31], v[28:29]
	v_add_f64_e32 v[26:27], v[26:27], v[38:39]
	s_wait_loadcnt_dscnt 0x400
	v_mul_f64_e32 v[30:31], v[6:7], v[165:166]
	v_mul_f64_e32 v[38:39], v[8:9], v[165:166]
	v_fma_f64 v[32:33], v[4:5], v[34:35], v[32:33]
	v_fma_f64 v[34:35], v[2:3], v[34:35], -v[36:37]
	ds_load_b128 v[2:5], v1 offset:1872
	v_add_f64_e32 v[28:29], v[28:29], v[40:41]
	v_add_f64_e32 v[26:27], v[26:27], v[167:168]
	v_fma_f64 v[30:31], v[8:9], v[163:164], v[30:31]
	v_fma_f64 v[38:39], v[6:7], v[163:164], -v[38:39]
	ds_load_b128 v[6:9], v1 offset:1888
	s_wait_loadcnt_dscnt 0x301
	v_mul_f64_e32 v[36:37], v[2:3], v[12:13]
	v_mul_f64_e32 v[12:13], v[4:5], v[12:13]
	v_add_f64_e32 v[28:29], v[28:29], v[32:33]
	v_add_f64_e32 v[26:27], v[26:27], v[34:35]
	s_wait_loadcnt_dscnt 0x200
	v_mul_f64_e32 v[32:33], v[6:7], v[16:17]
	v_mul_f64_e32 v[16:17], v[8:9], v[16:17]
	v_fma_f64 v[34:35], v[4:5], v[10:11], v[36:37]
	v_fma_f64 v[10:11], v[2:3], v[10:11], -v[12:13]
	ds_load_b128 v[2:5], v1 offset:1904
	v_add_f64_e32 v[12:13], v[26:27], v[38:39]
	v_add_f64_e32 v[26:27], v[28:29], v[30:31]
	s_wait_loadcnt_dscnt 0x100
	v_mul_f64_e32 v[28:29], v[2:3], v[20:21]
	v_mul_f64_e32 v[20:21], v[4:5], v[20:21]
	v_fma_f64 v[8:9], v[8:9], v[14:15], v[32:33]
	v_fma_f64 v[6:7], v[6:7], v[14:15], -v[16:17]
	v_add_f64_e32 v[10:11], v[12:13], v[10:11]
	v_add_f64_e32 v[12:13], v[26:27], v[34:35]
	v_fma_f64 v[4:5], v[4:5], v[18:19], v[28:29]
	v_fma_f64 v[2:3], v[2:3], v[18:19], -v[20:21]
	s_delay_alu instid0(VALU_DEP_4) | instskip(NEXT) | instid1(VALU_DEP_4)
	v_add_f64_e32 v[6:7], v[10:11], v[6:7]
	v_add_f64_e32 v[8:9], v[12:13], v[8:9]
	s_delay_alu instid0(VALU_DEP_2) | instskip(NEXT) | instid1(VALU_DEP_2)
	v_add_f64_e32 v[2:3], v[6:7], v[2:3]
	v_add_f64_e32 v[4:5], v[8:9], v[4:5]
	s_wait_loadcnt 0x0
	s_delay_alu instid0(VALU_DEP_2) | instskip(NEXT) | instid1(VALU_DEP_2)
	v_add_f64_e64 v[2:3], v[22:23], -v[2:3]
	v_add_f64_e64 v[4:5], v[24:25], -v[4:5]
	scratch_store_b128 off, v[2:5], off offset:560
	v_cmpx_lt_u32_e32 33, v0
	s_cbranch_execz .LBB123_307
; %bb.306:
	scratch_load_b128 v[5:8], off, s40
	v_dual_mov_b32 v2, v1 :: v_dual_mov_b32 v3, v1
	v_mov_b32_e32 v4, v1
	scratch_store_b128 off, v[1:4], off offset:544
	s_wait_loadcnt 0x0
	ds_store_b128 v162, v[5:8]
.LBB123_307:
	s_wait_alu 0xfffe
	s_or_b32 exec_lo, exec_lo, s0
	s_wait_storecnt_dscnt 0x0
	s_barrier_signal -1
	s_barrier_wait -1
	global_inv scope:SCOPE_SE
	s_clause 0x7
	scratch_load_b128 v[2:5], off, off offset:560
	scratch_load_b128 v[6:9], off, off offset:576
	;; [unrolled: 1-line block ×8, first 2 shown]
	ds_load_b128 v[34:37], v1 offset:1504
	ds_load_b128 v[163:166], v1 offset:1520
	s_clause 0x1
	scratch_load_b128 v[38:41], off, off offset:688
	scratch_load_b128 v[167:170], off, off offset:704
	s_mov_b32 s0, exec_lo
	s_wait_loadcnt_dscnt 0x901
	v_mul_f64_e32 v[171:172], v[36:37], v[4:5]
	v_mul_f64_e32 v[4:5], v[34:35], v[4:5]
	s_wait_loadcnt_dscnt 0x800
	v_mul_f64_e32 v[173:174], v[163:164], v[8:9]
	v_mul_f64_e32 v[8:9], v[165:166], v[8:9]
	s_delay_alu instid0(VALU_DEP_4) | instskip(NEXT) | instid1(VALU_DEP_4)
	v_fma_f64 v[171:172], v[34:35], v[2:3], -v[171:172]
	v_fma_f64 v[175:176], v[36:37], v[2:3], v[4:5]
	ds_load_b128 v[2:5], v1 offset:1536
	scratch_load_b128 v[34:37], off, off offset:720
	v_fma_f64 v[173:174], v[165:166], v[6:7], v[173:174]
	v_fma_f64 v[179:180], v[163:164], v[6:7], -v[8:9]
	ds_load_b128 v[6:9], v1 offset:1552
	scratch_load_b128 v[163:166], off, off offset:736
	s_wait_loadcnt_dscnt 0x901
	v_mul_f64_e32 v[177:178], v[2:3], v[12:13]
	v_mul_f64_e32 v[12:13], v[4:5], v[12:13]
	s_wait_loadcnt_dscnt 0x800
	v_mul_f64_e32 v[181:182], v[6:7], v[16:17]
	v_mul_f64_e32 v[16:17], v[8:9], v[16:17]
	v_add_f64_e32 v[171:172], 0, v[171:172]
	v_add_f64_e32 v[175:176], 0, v[175:176]
	v_fma_f64 v[177:178], v[4:5], v[10:11], v[177:178]
	v_fma_f64 v[183:184], v[2:3], v[10:11], -v[12:13]
	ds_load_b128 v[2:5], v1 offset:1568
	scratch_load_b128 v[10:13], off, off offset:752
	v_add_f64_e32 v[171:172], v[171:172], v[179:180]
	v_add_f64_e32 v[173:174], v[175:176], v[173:174]
	v_fma_f64 v[179:180], v[8:9], v[14:15], v[181:182]
	v_fma_f64 v[181:182], v[6:7], v[14:15], -v[16:17]
	ds_load_b128 v[6:9], v1 offset:1584
	scratch_load_b128 v[14:17], off, off offset:768
	s_wait_loadcnt_dscnt 0x901
	v_mul_f64_e32 v[175:176], v[2:3], v[20:21]
	v_mul_f64_e32 v[20:21], v[4:5], v[20:21]
	v_add_f64_e32 v[171:172], v[171:172], v[183:184]
	v_add_f64_e32 v[173:174], v[173:174], v[177:178]
	s_wait_loadcnt_dscnt 0x800
	v_mul_f64_e32 v[177:178], v[6:7], v[24:25]
	v_mul_f64_e32 v[24:25], v[8:9], v[24:25]
	v_fma_f64 v[175:176], v[4:5], v[18:19], v[175:176]
	v_fma_f64 v[183:184], v[2:3], v[18:19], -v[20:21]
	ds_load_b128 v[2:5], v1 offset:1600
	scratch_load_b128 v[18:21], off, off offset:784
	v_add_f64_e32 v[171:172], v[171:172], v[181:182]
	v_add_f64_e32 v[173:174], v[173:174], v[179:180]
	v_fma_f64 v[177:178], v[8:9], v[22:23], v[177:178]
	v_fma_f64 v[181:182], v[6:7], v[22:23], -v[24:25]
	ds_load_b128 v[6:9], v1 offset:1616
	s_wait_loadcnt_dscnt 0x801
	v_mul_f64_e32 v[179:180], v[2:3], v[28:29]
	v_mul_f64_e32 v[28:29], v[4:5], v[28:29]
	scratch_load_b128 v[22:25], off, off offset:800
	v_add_f64_e32 v[171:172], v[171:172], v[183:184]
	v_add_f64_e32 v[173:174], v[173:174], v[175:176]
	s_wait_loadcnt_dscnt 0x800
	v_mul_f64_e32 v[175:176], v[6:7], v[32:33]
	v_mul_f64_e32 v[32:33], v[8:9], v[32:33]
	v_fma_f64 v[179:180], v[4:5], v[26:27], v[179:180]
	v_fma_f64 v[183:184], v[2:3], v[26:27], -v[28:29]
	ds_load_b128 v[2:5], v1 offset:1632
	scratch_load_b128 v[26:29], off, off offset:816
	v_add_f64_e32 v[171:172], v[171:172], v[181:182]
	v_add_f64_e32 v[173:174], v[173:174], v[177:178]
	v_fma_f64 v[175:176], v[8:9], v[30:31], v[175:176]
	v_fma_f64 v[181:182], v[6:7], v[30:31], -v[32:33]
	ds_load_b128 v[6:9], v1 offset:1648
	s_wait_loadcnt_dscnt 0x801
	v_mul_f64_e32 v[177:178], v[2:3], v[40:41]
	v_mul_f64_e32 v[40:41], v[4:5], v[40:41]
	scratch_load_b128 v[30:33], off, off offset:832
	v_add_f64_e32 v[171:172], v[171:172], v[183:184]
	v_add_f64_e32 v[173:174], v[173:174], v[179:180]
	s_wait_loadcnt_dscnt 0x800
	v_mul_f64_e32 v[179:180], v[6:7], v[169:170]
	v_mul_f64_e32 v[169:170], v[8:9], v[169:170]
	v_fma_f64 v[177:178], v[4:5], v[38:39], v[177:178]
	v_fma_f64 v[183:184], v[2:3], v[38:39], -v[40:41]
	ds_load_b128 v[2:5], v1 offset:1664
	scratch_load_b128 v[38:41], off, off offset:848
	v_add_f64_e32 v[171:172], v[171:172], v[181:182]
	v_add_f64_e32 v[173:174], v[173:174], v[175:176]
	v_fma_f64 v[179:180], v[8:9], v[167:168], v[179:180]
	v_fma_f64 v[181:182], v[6:7], v[167:168], -v[169:170]
	ds_load_b128 v[6:9], v1 offset:1680
	scratch_load_b128 v[167:170], off, off offset:864
	s_wait_loadcnt_dscnt 0x901
	v_mul_f64_e32 v[175:176], v[2:3], v[36:37]
	v_mul_f64_e32 v[36:37], v[4:5], v[36:37]
	v_add_f64_e32 v[171:172], v[171:172], v[183:184]
	v_add_f64_e32 v[173:174], v[173:174], v[177:178]
	s_wait_loadcnt_dscnt 0x800
	v_mul_f64_e32 v[177:178], v[6:7], v[165:166]
	v_mul_f64_e32 v[165:166], v[8:9], v[165:166]
	v_fma_f64 v[175:176], v[4:5], v[34:35], v[175:176]
	v_fma_f64 v[183:184], v[2:3], v[34:35], -v[36:37]
	ds_load_b128 v[2:5], v1 offset:1696
	scratch_load_b128 v[34:37], off, off offset:880
	v_add_f64_e32 v[171:172], v[171:172], v[181:182]
	v_add_f64_e32 v[173:174], v[173:174], v[179:180]
	v_fma_f64 v[177:178], v[8:9], v[163:164], v[177:178]
	v_fma_f64 v[181:182], v[6:7], v[163:164], -v[165:166]
	ds_load_b128 v[6:9], v1 offset:1712
	s_wait_loadcnt_dscnt 0x801
	v_mul_f64_e32 v[179:180], v[2:3], v[12:13]
	v_mul_f64_e32 v[12:13], v[4:5], v[12:13]
	scratch_load_b128 v[163:166], off, off offset:896
	v_add_f64_e32 v[171:172], v[171:172], v[183:184]
	v_add_f64_e32 v[173:174], v[173:174], v[175:176]
	s_wait_loadcnt_dscnt 0x800
	v_mul_f64_e32 v[175:176], v[6:7], v[16:17]
	v_mul_f64_e32 v[16:17], v[8:9], v[16:17]
	v_fma_f64 v[179:180], v[4:5], v[10:11], v[179:180]
	v_fma_f64 v[183:184], v[2:3], v[10:11], -v[12:13]
	ds_load_b128 v[2:5], v1 offset:1728
	scratch_load_b128 v[10:13], off, off offset:912
	v_add_f64_e32 v[171:172], v[171:172], v[181:182]
	v_add_f64_e32 v[173:174], v[173:174], v[177:178]
	v_fma_f64 v[175:176], v[8:9], v[14:15], v[175:176]
	v_fma_f64 v[181:182], v[6:7], v[14:15], -v[16:17]
	ds_load_b128 v[6:9], v1 offset:1744
	s_wait_loadcnt_dscnt 0x801
	v_mul_f64_e32 v[177:178], v[2:3], v[20:21]
	v_mul_f64_e32 v[20:21], v[4:5], v[20:21]
	scratch_load_b128 v[14:17], off, off offset:928
	;; [unrolled: 18-line block ×3, first 2 shown]
	v_add_f64_e32 v[171:172], v[171:172], v[183:184]
	v_add_f64_e32 v[173:174], v[173:174], v[177:178]
	s_wait_loadcnt_dscnt 0x800
	v_mul_f64_e32 v[177:178], v[6:7], v[32:33]
	v_mul_f64_e32 v[32:33], v[8:9], v[32:33]
	v_fma_f64 v[175:176], v[4:5], v[26:27], v[175:176]
	v_fma_f64 v[26:27], v[2:3], v[26:27], -v[28:29]
	ds_load_b128 v[2:5], v1 offset:1792
	v_add_f64_e32 v[28:29], v[171:172], v[181:182]
	v_add_f64_e32 v[171:172], v[173:174], v[179:180]
	v_fma_f64 v[177:178], v[8:9], v[30:31], v[177:178]
	v_fma_f64 v[30:31], v[6:7], v[30:31], -v[32:33]
	ds_load_b128 v[6:9], v1 offset:1808
	s_wait_loadcnt_dscnt 0x701
	v_mul_f64_e32 v[173:174], v[2:3], v[40:41]
	v_mul_f64_e32 v[40:41], v[4:5], v[40:41]
	v_add_f64_e32 v[26:27], v[28:29], v[26:27]
	v_add_f64_e32 v[28:29], v[171:172], v[175:176]
	s_delay_alu instid0(VALU_DEP_4) | instskip(NEXT) | instid1(VALU_DEP_4)
	v_fma_f64 v[171:172], v[4:5], v[38:39], v[173:174]
	v_fma_f64 v[38:39], v[2:3], v[38:39], -v[40:41]
	ds_load_b128 v[2:5], v1 offset:1824
	v_add_f64_e32 v[30:31], v[26:27], v[30:31]
	v_add_f64_e32 v[40:41], v[28:29], v[177:178]
	scratch_load_b128 v[26:29], off, off offset:544
	s_wait_loadcnt_dscnt 0x701
	v_mul_f64_e32 v[32:33], v[6:7], v[169:170]
	v_mul_f64_e32 v[169:170], v[8:9], v[169:170]
	v_add_f64_e32 v[30:31], v[30:31], v[38:39]
	v_add_f64_e32 v[38:39], v[40:41], v[171:172]
	s_delay_alu instid0(VALU_DEP_4) | instskip(NEXT) | instid1(VALU_DEP_4)
	v_fma_f64 v[32:33], v[8:9], v[167:168], v[32:33]
	v_fma_f64 v[167:168], v[6:7], v[167:168], -v[169:170]
	ds_load_b128 v[6:9], v1 offset:1840
	s_wait_loadcnt_dscnt 0x601
	v_mul_f64_e32 v[173:174], v[2:3], v[36:37]
	v_mul_f64_e32 v[36:37], v[4:5], v[36:37]
	s_wait_loadcnt_dscnt 0x500
	v_mul_f64_e32 v[40:41], v[6:7], v[165:166]
	v_mul_f64_e32 v[165:166], v[8:9], v[165:166]
	v_add_f64_e32 v[32:33], v[38:39], v[32:33]
	v_add_f64_e32 v[30:31], v[30:31], v[167:168]
	v_fma_f64 v[169:170], v[4:5], v[34:35], v[173:174]
	v_fma_f64 v[34:35], v[2:3], v[34:35], -v[36:37]
	ds_load_b128 v[2:5], v1 offset:1856
	v_fma_f64 v[38:39], v[8:9], v[163:164], v[40:41]
	v_fma_f64 v[40:41], v[6:7], v[163:164], -v[165:166]
	ds_load_b128 v[6:9], v1 offset:1872
	s_wait_loadcnt_dscnt 0x401
	v_mul_f64_e32 v[36:37], v[2:3], v[12:13]
	v_mul_f64_e32 v[12:13], v[4:5], v[12:13]
	v_add_f64_e32 v[32:33], v[32:33], v[169:170]
	v_add_f64_e32 v[30:31], v[30:31], v[34:35]
	s_wait_loadcnt_dscnt 0x300
	v_mul_f64_e32 v[34:35], v[6:7], v[16:17]
	v_mul_f64_e32 v[16:17], v[8:9], v[16:17]
	v_fma_f64 v[36:37], v[4:5], v[10:11], v[36:37]
	v_fma_f64 v[10:11], v[2:3], v[10:11], -v[12:13]
	ds_load_b128 v[2:5], v1 offset:1888
	v_add_f64_e32 v[12:13], v[30:31], v[40:41]
	v_add_f64_e32 v[30:31], v[32:33], v[38:39]
	v_fma_f64 v[34:35], v[8:9], v[14:15], v[34:35]
	v_fma_f64 v[14:15], v[6:7], v[14:15], -v[16:17]
	ds_load_b128 v[6:9], v1 offset:1904
	s_wait_loadcnt_dscnt 0x201
	v_mul_f64_e32 v[32:33], v[2:3], v[20:21]
	v_mul_f64_e32 v[20:21], v[4:5], v[20:21]
	s_wait_loadcnt_dscnt 0x100
	v_mul_f64_e32 v[16:17], v[6:7], v[24:25]
	v_mul_f64_e32 v[24:25], v[8:9], v[24:25]
	v_add_f64_e32 v[10:11], v[12:13], v[10:11]
	v_add_f64_e32 v[12:13], v[30:31], v[36:37]
	v_fma_f64 v[4:5], v[4:5], v[18:19], v[32:33]
	v_fma_f64 v[1:2], v[2:3], v[18:19], -v[20:21]
	v_fma_f64 v[8:9], v[8:9], v[22:23], v[16:17]
	v_fma_f64 v[6:7], v[6:7], v[22:23], -v[24:25]
	v_add_f64_e32 v[10:11], v[10:11], v[14:15]
	v_add_f64_e32 v[12:13], v[12:13], v[34:35]
	s_delay_alu instid0(VALU_DEP_2) | instskip(NEXT) | instid1(VALU_DEP_2)
	v_add_f64_e32 v[1:2], v[10:11], v[1:2]
	v_add_f64_e32 v[3:4], v[12:13], v[4:5]
	s_delay_alu instid0(VALU_DEP_2) | instskip(NEXT) | instid1(VALU_DEP_2)
	v_add_f64_e32 v[1:2], v[1:2], v[6:7]
	v_add_f64_e32 v[3:4], v[3:4], v[8:9]
	s_wait_loadcnt 0x0
	s_delay_alu instid0(VALU_DEP_2) | instskip(NEXT) | instid1(VALU_DEP_2)
	v_add_f64_e64 v[1:2], v[26:27], -v[1:2]
	v_add_f64_e64 v[3:4], v[28:29], -v[3:4]
	scratch_store_b128 off, v[1:4], off offset:544
	v_cmpx_lt_u32_e32 32, v0
	s_cbranch_execz .LBB123_309
; %bb.308:
	scratch_load_b128 v[1:4], off, s41
	v_mov_b32_e32 v5, 0
	s_delay_alu instid0(VALU_DEP_1)
	v_dual_mov_b32 v6, v5 :: v_dual_mov_b32 v7, v5
	v_mov_b32_e32 v8, v5
	scratch_store_b128 off, v[5:8], off offset:528
	s_wait_loadcnt 0x0
	ds_store_b128 v162, v[1:4]
.LBB123_309:
	s_wait_alu 0xfffe
	s_or_b32 exec_lo, exec_lo, s0
	s_wait_storecnt_dscnt 0x0
	s_barrier_signal -1
	s_barrier_wait -1
	global_inv scope:SCOPE_SE
	s_clause 0x7
	scratch_load_b128 v[2:5], off, off offset:544
	scratch_load_b128 v[6:9], off, off offset:560
	;; [unrolled: 1-line block ×8, first 2 shown]
	v_mov_b32_e32 v1, 0
	s_clause 0x1
	scratch_load_b128 v[38:41], off, off offset:672
	scratch_load_b128 v[167:170], off, off offset:688
	s_mov_b32 s0, exec_lo
	ds_load_b128 v[34:37], v1 offset:1488
	ds_load_b128 v[163:166], v1 offset:1504
	s_wait_loadcnt_dscnt 0x901
	v_mul_f64_e32 v[171:172], v[36:37], v[4:5]
	v_mul_f64_e32 v[4:5], v[34:35], v[4:5]
	s_wait_loadcnt_dscnt 0x800
	v_mul_f64_e32 v[173:174], v[163:164], v[8:9]
	v_mul_f64_e32 v[8:9], v[165:166], v[8:9]
	s_delay_alu instid0(VALU_DEP_4) | instskip(NEXT) | instid1(VALU_DEP_4)
	v_fma_f64 v[171:172], v[34:35], v[2:3], -v[171:172]
	v_fma_f64 v[175:176], v[36:37], v[2:3], v[4:5]
	ds_load_b128 v[2:5], v1 offset:1520
	scratch_load_b128 v[34:37], off, off offset:704
	v_fma_f64 v[173:174], v[165:166], v[6:7], v[173:174]
	v_fma_f64 v[179:180], v[163:164], v[6:7], -v[8:9]
	ds_load_b128 v[6:9], v1 offset:1536
	scratch_load_b128 v[163:166], off, off offset:720
	s_wait_loadcnt_dscnt 0x901
	v_mul_f64_e32 v[177:178], v[2:3], v[12:13]
	v_mul_f64_e32 v[12:13], v[4:5], v[12:13]
	s_wait_loadcnt_dscnt 0x800
	v_mul_f64_e32 v[181:182], v[6:7], v[16:17]
	v_mul_f64_e32 v[16:17], v[8:9], v[16:17]
	v_add_f64_e32 v[171:172], 0, v[171:172]
	v_add_f64_e32 v[175:176], 0, v[175:176]
	v_fma_f64 v[177:178], v[4:5], v[10:11], v[177:178]
	v_fma_f64 v[183:184], v[2:3], v[10:11], -v[12:13]
	ds_load_b128 v[2:5], v1 offset:1552
	scratch_load_b128 v[10:13], off, off offset:736
	v_add_f64_e32 v[171:172], v[171:172], v[179:180]
	v_add_f64_e32 v[173:174], v[175:176], v[173:174]
	v_fma_f64 v[179:180], v[8:9], v[14:15], v[181:182]
	v_fma_f64 v[181:182], v[6:7], v[14:15], -v[16:17]
	ds_load_b128 v[6:9], v1 offset:1568
	scratch_load_b128 v[14:17], off, off offset:752
	s_wait_loadcnt_dscnt 0x901
	v_mul_f64_e32 v[175:176], v[2:3], v[20:21]
	v_mul_f64_e32 v[20:21], v[4:5], v[20:21]
	v_add_f64_e32 v[171:172], v[171:172], v[183:184]
	v_add_f64_e32 v[173:174], v[173:174], v[177:178]
	s_wait_loadcnt_dscnt 0x800
	v_mul_f64_e32 v[177:178], v[6:7], v[24:25]
	v_mul_f64_e32 v[24:25], v[8:9], v[24:25]
	v_fma_f64 v[175:176], v[4:5], v[18:19], v[175:176]
	v_fma_f64 v[183:184], v[2:3], v[18:19], -v[20:21]
	ds_load_b128 v[2:5], v1 offset:1584
	scratch_load_b128 v[18:21], off, off offset:768
	v_add_f64_e32 v[171:172], v[171:172], v[181:182]
	v_add_f64_e32 v[173:174], v[173:174], v[179:180]
	v_fma_f64 v[177:178], v[8:9], v[22:23], v[177:178]
	v_fma_f64 v[181:182], v[6:7], v[22:23], -v[24:25]
	ds_load_b128 v[6:9], v1 offset:1600
	s_wait_loadcnt_dscnt 0x801
	v_mul_f64_e32 v[179:180], v[2:3], v[28:29]
	v_mul_f64_e32 v[28:29], v[4:5], v[28:29]
	scratch_load_b128 v[22:25], off, off offset:784
	v_add_f64_e32 v[171:172], v[171:172], v[183:184]
	v_add_f64_e32 v[173:174], v[173:174], v[175:176]
	s_wait_loadcnt_dscnt 0x800
	v_mul_f64_e32 v[175:176], v[6:7], v[32:33]
	v_mul_f64_e32 v[32:33], v[8:9], v[32:33]
	v_fma_f64 v[179:180], v[4:5], v[26:27], v[179:180]
	v_fma_f64 v[183:184], v[2:3], v[26:27], -v[28:29]
	ds_load_b128 v[2:5], v1 offset:1616
	scratch_load_b128 v[26:29], off, off offset:800
	v_add_f64_e32 v[171:172], v[171:172], v[181:182]
	v_add_f64_e32 v[173:174], v[173:174], v[177:178]
	v_fma_f64 v[175:176], v[8:9], v[30:31], v[175:176]
	v_fma_f64 v[181:182], v[6:7], v[30:31], -v[32:33]
	ds_load_b128 v[6:9], v1 offset:1632
	s_wait_loadcnt_dscnt 0x801
	v_mul_f64_e32 v[177:178], v[2:3], v[40:41]
	v_mul_f64_e32 v[40:41], v[4:5], v[40:41]
	scratch_load_b128 v[30:33], off, off offset:816
	v_add_f64_e32 v[171:172], v[171:172], v[183:184]
	v_add_f64_e32 v[173:174], v[173:174], v[179:180]
	s_wait_loadcnt_dscnt 0x800
	v_mul_f64_e32 v[179:180], v[6:7], v[169:170]
	v_mul_f64_e32 v[169:170], v[8:9], v[169:170]
	v_fma_f64 v[177:178], v[4:5], v[38:39], v[177:178]
	v_fma_f64 v[183:184], v[2:3], v[38:39], -v[40:41]
	ds_load_b128 v[2:5], v1 offset:1648
	scratch_load_b128 v[38:41], off, off offset:832
	v_add_f64_e32 v[171:172], v[171:172], v[181:182]
	v_add_f64_e32 v[173:174], v[173:174], v[175:176]
	v_fma_f64 v[179:180], v[8:9], v[167:168], v[179:180]
	v_fma_f64 v[181:182], v[6:7], v[167:168], -v[169:170]
	ds_load_b128 v[6:9], v1 offset:1664
	scratch_load_b128 v[167:170], off, off offset:848
	s_wait_loadcnt_dscnt 0x901
	v_mul_f64_e32 v[175:176], v[2:3], v[36:37]
	v_mul_f64_e32 v[36:37], v[4:5], v[36:37]
	v_add_f64_e32 v[171:172], v[171:172], v[183:184]
	v_add_f64_e32 v[173:174], v[173:174], v[177:178]
	s_wait_loadcnt_dscnt 0x800
	v_mul_f64_e32 v[177:178], v[6:7], v[165:166]
	v_mul_f64_e32 v[165:166], v[8:9], v[165:166]
	v_fma_f64 v[175:176], v[4:5], v[34:35], v[175:176]
	v_fma_f64 v[183:184], v[2:3], v[34:35], -v[36:37]
	ds_load_b128 v[2:5], v1 offset:1680
	scratch_load_b128 v[34:37], off, off offset:864
	v_add_f64_e32 v[171:172], v[171:172], v[181:182]
	v_add_f64_e32 v[173:174], v[173:174], v[179:180]
	v_fma_f64 v[177:178], v[8:9], v[163:164], v[177:178]
	v_fma_f64 v[181:182], v[6:7], v[163:164], -v[165:166]
	ds_load_b128 v[6:9], v1 offset:1696
	s_wait_loadcnt_dscnt 0x801
	v_mul_f64_e32 v[179:180], v[2:3], v[12:13]
	v_mul_f64_e32 v[12:13], v[4:5], v[12:13]
	scratch_load_b128 v[163:166], off, off offset:880
	v_add_f64_e32 v[171:172], v[171:172], v[183:184]
	v_add_f64_e32 v[173:174], v[173:174], v[175:176]
	s_wait_loadcnt_dscnt 0x800
	v_mul_f64_e32 v[175:176], v[6:7], v[16:17]
	v_mul_f64_e32 v[16:17], v[8:9], v[16:17]
	v_fma_f64 v[179:180], v[4:5], v[10:11], v[179:180]
	v_fma_f64 v[183:184], v[2:3], v[10:11], -v[12:13]
	ds_load_b128 v[2:5], v1 offset:1712
	scratch_load_b128 v[10:13], off, off offset:896
	v_add_f64_e32 v[171:172], v[171:172], v[181:182]
	v_add_f64_e32 v[173:174], v[173:174], v[177:178]
	v_fma_f64 v[175:176], v[8:9], v[14:15], v[175:176]
	v_fma_f64 v[181:182], v[6:7], v[14:15], -v[16:17]
	ds_load_b128 v[6:9], v1 offset:1728
	s_wait_loadcnt_dscnt 0x801
	v_mul_f64_e32 v[177:178], v[2:3], v[20:21]
	v_mul_f64_e32 v[20:21], v[4:5], v[20:21]
	scratch_load_b128 v[14:17], off, off offset:912
	;; [unrolled: 18-line block ×3, first 2 shown]
	v_add_f64_e32 v[171:172], v[171:172], v[183:184]
	v_add_f64_e32 v[173:174], v[173:174], v[177:178]
	s_wait_loadcnt_dscnt 0x800
	v_mul_f64_e32 v[177:178], v[6:7], v[32:33]
	v_mul_f64_e32 v[32:33], v[8:9], v[32:33]
	v_fma_f64 v[175:176], v[4:5], v[26:27], v[175:176]
	v_fma_f64 v[183:184], v[2:3], v[26:27], -v[28:29]
	ds_load_b128 v[2:5], v1 offset:1776
	scratch_load_b128 v[26:29], off, off offset:960
	v_add_f64_e32 v[171:172], v[171:172], v[181:182]
	v_add_f64_e32 v[173:174], v[173:174], v[179:180]
	v_fma_f64 v[177:178], v[8:9], v[30:31], v[177:178]
	v_fma_f64 v[30:31], v[6:7], v[30:31], -v[32:33]
	ds_load_b128 v[6:9], v1 offset:1792
	s_wait_loadcnt_dscnt 0x801
	v_mul_f64_e32 v[179:180], v[2:3], v[40:41]
	v_mul_f64_e32 v[40:41], v[4:5], v[40:41]
	v_add_f64_e32 v[32:33], v[171:172], v[183:184]
	v_add_f64_e32 v[171:172], v[173:174], v[175:176]
	s_wait_loadcnt_dscnt 0x700
	v_mul_f64_e32 v[173:174], v[6:7], v[169:170]
	v_mul_f64_e32 v[169:170], v[8:9], v[169:170]
	v_fma_f64 v[175:176], v[4:5], v[38:39], v[179:180]
	v_fma_f64 v[38:39], v[2:3], v[38:39], -v[40:41]
	ds_load_b128 v[2:5], v1 offset:1808
	v_add_f64_e32 v[30:31], v[32:33], v[30:31]
	v_add_f64_e32 v[32:33], v[171:172], v[177:178]
	v_fma_f64 v[171:172], v[8:9], v[167:168], v[173:174]
	v_fma_f64 v[167:168], v[6:7], v[167:168], -v[169:170]
	ds_load_b128 v[6:9], v1 offset:1824
	s_wait_loadcnt_dscnt 0x500
	v_mul_f64_e32 v[173:174], v[6:7], v[165:166]
	v_mul_f64_e32 v[165:166], v[8:9], v[165:166]
	v_add_f64_e32 v[38:39], v[30:31], v[38:39]
	v_add_f64_e32 v[169:170], v[32:33], v[175:176]
	scratch_load_b128 v[30:33], off, off offset:528
	v_mul_f64_e32 v[40:41], v[2:3], v[36:37]
	v_mul_f64_e32 v[36:37], v[4:5], v[36:37]
	s_delay_alu instid0(VALU_DEP_2) | instskip(NEXT) | instid1(VALU_DEP_2)
	v_fma_f64 v[40:41], v[4:5], v[34:35], v[40:41]
	v_fma_f64 v[34:35], v[2:3], v[34:35], -v[36:37]
	v_add_f64_e32 v[36:37], v[38:39], v[167:168]
	v_add_f64_e32 v[38:39], v[169:170], v[171:172]
	ds_load_b128 v[2:5], v1 offset:1840
	v_fma_f64 v[169:170], v[8:9], v[163:164], v[173:174]
	v_fma_f64 v[163:164], v[6:7], v[163:164], -v[165:166]
	ds_load_b128 v[6:9], v1 offset:1856
	s_wait_loadcnt_dscnt 0x501
	v_mul_f64_e32 v[167:168], v[2:3], v[12:13]
	v_mul_f64_e32 v[12:13], v[4:5], v[12:13]
	v_add_f64_e32 v[34:35], v[36:37], v[34:35]
	v_add_f64_e32 v[36:37], v[38:39], v[40:41]
	s_wait_loadcnt_dscnt 0x400
	v_mul_f64_e32 v[38:39], v[6:7], v[16:17]
	v_mul_f64_e32 v[16:17], v[8:9], v[16:17]
	v_fma_f64 v[40:41], v[4:5], v[10:11], v[167:168]
	v_fma_f64 v[10:11], v[2:3], v[10:11], -v[12:13]
	ds_load_b128 v[2:5], v1 offset:1872
	v_add_f64_e32 v[12:13], v[34:35], v[163:164]
	v_add_f64_e32 v[34:35], v[36:37], v[169:170]
	v_fma_f64 v[38:39], v[8:9], v[14:15], v[38:39]
	v_fma_f64 v[14:15], v[6:7], v[14:15], -v[16:17]
	ds_load_b128 v[6:9], v1 offset:1888
	s_wait_loadcnt_dscnt 0x301
	v_mul_f64_e32 v[36:37], v[2:3], v[20:21]
	v_mul_f64_e32 v[20:21], v[4:5], v[20:21]
	s_wait_loadcnt_dscnt 0x200
	v_mul_f64_e32 v[16:17], v[6:7], v[24:25]
	v_mul_f64_e32 v[24:25], v[8:9], v[24:25]
	v_add_f64_e32 v[10:11], v[12:13], v[10:11]
	v_add_f64_e32 v[12:13], v[34:35], v[40:41]
	v_fma_f64 v[34:35], v[4:5], v[18:19], v[36:37]
	v_fma_f64 v[18:19], v[2:3], v[18:19], -v[20:21]
	ds_load_b128 v[2:5], v1 offset:1904
	v_fma_f64 v[8:9], v[8:9], v[22:23], v[16:17]
	v_fma_f64 v[6:7], v[6:7], v[22:23], -v[24:25]
	s_wait_loadcnt_dscnt 0x100
	v_mul_f64_e32 v[20:21], v[4:5], v[28:29]
	v_add_f64_e32 v[10:11], v[10:11], v[14:15]
	v_add_f64_e32 v[12:13], v[12:13], v[38:39]
	v_mul_f64_e32 v[14:15], v[2:3], v[28:29]
	s_delay_alu instid0(VALU_DEP_4) | instskip(NEXT) | instid1(VALU_DEP_4)
	v_fma_f64 v[2:3], v[2:3], v[26:27], -v[20:21]
	v_add_f64_e32 v[10:11], v[10:11], v[18:19]
	s_delay_alu instid0(VALU_DEP_4) | instskip(NEXT) | instid1(VALU_DEP_4)
	v_add_f64_e32 v[12:13], v[12:13], v[34:35]
	v_fma_f64 v[4:5], v[4:5], v[26:27], v[14:15]
	s_delay_alu instid0(VALU_DEP_3) | instskip(NEXT) | instid1(VALU_DEP_3)
	v_add_f64_e32 v[6:7], v[10:11], v[6:7]
	v_add_f64_e32 v[8:9], v[12:13], v[8:9]
	s_delay_alu instid0(VALU_DEP_2) | instskip(NEXT) | instid1(VALU_DEP_2)
	v_add_f64_e32 v[2:3], v[6:7], v[2:3]
	v_add_f64_e32 v[4:5], v[8:9], v[4:5]
	s_wait_loadcnt 0x0
	s_delay_alu instid0(VALU_DEP_2) | instskip(NEXT) | instid1(VALU_DEP_2)
	v_add_f64_e64 v[2:3], v[30:31], -v[2:3]
	v_add_f64_e64 v[4:5], v[32:33], -v[4:5]
	scratch_store_b128 off, v[2:5], off offset:528
	v_cmpx_lt_u32_e32 31, v0
	s_cbranch_execz .LBB123_311
; %bb.310:
	scratch_load_b128 v[5:8], off, s42
	v_dual_mov_b32 v2, v1 :: v_dual_mov_b32 v3, v1
	v_mov_b32_e32 v4, v1
	scratch_store_b128 off, v[1:4], off offset:512
	s_wait_loadcnt 0x0
	ds_store_b128 v162, v[5:8]
.LBB123_311:
	s_wait_alu 0xfffe
	s_or_b32 exec_lo, exec_lo, s0
	s_wait_storecnt_dscnt 0x0
	s_barrier_signal -1
	s_barrier_wait -1
	global_inv scope:SCOPE_SE
	s_clause 0x7
	scratch_load_b128 v[2:5], off, off offset:528
	scratch_load_b128 v[6:9], off, off offset:544
	;; [unrolled: 1-line block ×8, first 2 shown]
	ds_load_b128 v[34:37], v1 offset:1472
	ds_load_b128 v[163:166], v1 offset:1488
	s_clause 0x1
	scratch_load_b128 v[38:41], off, off offset:656
	scratch_load_b128 v[167:170], off, off offset:672
	s_mov_b32 s0, exec_lo
	s_wait_loadcnt_dscnt 0x901
	v_mul_f64_e32 v[171:172], v[36:37], v[4:5]
	v_mul_f64_e32 v[4:5], v[34:35], v[4:5]
	s_wait_loadcnt_dscnt 0x800
	v_mul_f64_e32 v[173:174], v[163:164], v[8:9]
	v_mul_f64_e32 v[8:9], v[165:166], v[8:9]
	s_delay_alu instid0(VALU_DEP_4) | instskip(NEXT) | instid1(VALU_DEP_4)
	v_fma_f64 v[171:172], v[34:35], v[2:3], -v[171:172]
	v_fma_f64 v[175:176], v[36:37], v[2:3], v[4:5]
	scratch_load_b128 v[34:37], off, off offset:688
	ds_load_b128 v[2:5], v1 offset:1504
	v_fma_f64 v[173:174], v[165:166], v[6:7], v[173:174]
	v_fma_f64 v[179:180], v[163:164], v[6:7], -v[8:9]
	ds_load_b128 v[6:9], v1 offset:1520
	scratch_load_b128 v[163:166], off, off offset:704
	s_wait_loadcnt_dscnt 0x901
	v_mul_f64_e32 v[177:178], v[2:3], v[12:13]
	v_mul_f64_e32 v[12:13], v[4:5], v[12:13]
	s_wait_loadcnt_dscnt 0x800
	v_mul_f64_e32 v[181:182], v[6:7], v[16:17]
	v_mul_f64_e32 v[16:17], v[8:9], v[16:17]
	v_add_f64_e32 v[171:172], 0, v[171:172]
	v_add_f64_e32 v[175:176], 0, v[175:176]
	v_fma_f64 v[177:178], v[4:5], v[10:11], v[177:178]
	v_fma_f64 v[183:184], v[2:3], v[10:11], -v[12:13]
	ds_load_b128 v[2:5], v1 offset:1536
	scratch_load_b128 v[10:13], off, off offset:720
	v_add_f64_e32 v[171:172], v[171:172], v[179:180]
	v_add_f64_e32 v[173:174], v[175:176], v[173:174]
	v_fma_f64 v[179:180], v[8:9], v[14:15], v[181:182]
	v_fma_f64 v[181:182], v[6:7], v[14:15], -v[16:17]
	ds_load_b128 v[6:9], v1 offset:1552
	scratch_load_b128 v[14:17], off, off offset:736
	s_wait_loadcnt_dscnt 0x901
	v_mul_f64_e32 v[175:176], v[2:3], v[20:21]
	v_mul_f64_e32 v[20:21], v[4:5], v[20:21]
	v_add_f64_e32 v[171:172], v[171:172], v[183:184]
	v_add_f64_e32 v[173:174], v[173:174], v[177:178]
	s_wait_loadcnt_dscnt 0x800
	v_mul_f64_e32 v[177:178], v[6:7], v[24:25]
	v_mul_f64_e32 v[24:25], v[8:9], v[24:25]
	v_fma_f64 v[175:176], v[4:5], v[18:19], v[175:176]
	v_fma_f64 v[183:184], v[2:3], v[18:19], -v[20:21]
	ds_load_b128 v[2:5], v1 offset:1568
	scratch_load_b128 v[18:21], off, off offset:752
	v_add_f64_e32 v[171:172], v[171:172], v[181:182]
	v_add_f64_e32 v[173:174], v[173:174], v[179:180]
	v_fma_f64 v[177:178], v[8:9], v[22:23], v[177:178]
	v_fma_f64 v[181:182], v[6:7], v[22:23], -v[24:25]
	ds_load_b128 v[6:9], v1 offset:1584
	s_wait_loadcnt_dscnt 0x801
	v_mul_f64_e32 v[179:180], v[2:3], v[28:29]
	v_mul_f64_e32 v[28:29], v[4:5], v[28:29]
	scratch_load_b128 v[22:25], off, off offset:768
	v_add_f64_e32 v[171:172], v[171:172], v[183:184]
	v_add_f64_e32 v[173:174], v[173:174], v[175:176]
	s_wait_loadcnt_dscnt 0x800
	v_mul_f64_e32 v[175:176], v[6:7], v[32:33]
	v_mul_f64_e32 v[32:33], v[8:9], v[32:33]
	v_fma_f64 v[179:180], v[4:5], v[26:27], v[179:180]
	v_fma_f64 v[183:184], v[2:3], v[26:27], -v[28:29]
	ds_load_b128 v[2:5], v1 offset:1600
	scratch_load_b128 v[26:29], off, off offset:784
	v_add_f64_e32 v[171:172], v[171:172], v[181:182]
	v_add_f64_e32 v[173:174], v[173:174], v[177:178]
	v_fma_f64 v[175:176], v[8:9], v[30:31], v[175:176]
	v_fma_f64 v[181:182], v[6:7], v[30:31], -v[32:33]
	ds_load_b128 v[6:9], v1 offset:1616
	s_wait_loadcnt_dscnt 0x801
	v_mul_f64_e32 v[177:178], v[2:3], v[40:41]
	v_mul_f64_e32 v[40:41], v[4:5], v[40:41]
	scratch_load_b128 v[30:33], off, off offset:800
	v_add_f64_e32 v[171:172], v[171:172], v[183:184]
	v_add_f64_e32 v[173:174], v[173:174], v[179:180]
	s_wait_loadcnt_dscnt 0x800
	v_mul_f64_e32 v[179:180], v[6:7], v[169:170]
	v_mul_f64_e32 v[169:170], v[8:9], v[169:170]
	v_fma_f64 v[177:178], v[4:5], v[38:39], v[177:178]
	v_fma_f64 v[183:184], v[2:3], v[38:39], -v[40:41]
	ds_load_b128 v[2:5], v1 offset:1632
	scratch_load_b128 v[38:41], off, off offset:816
	v_add_f64_e32 v[171:172], v[171:172], v[181:182]
	v_add_f64_e32 v[173:174], v[173:174], v[175:176]
	v_fma_f64 v[179:180], v[8:9], v[167:168], v[179:180]
	v_fma_f64 v[181:182], v[6:7], v[167:168], -v[169:170]
	ds_load_b128 v[6:9], v1 offset:1648
	scratch_load_b128 v[167:170], off, off offset:832
	s_wait_loadcnt_dscnt 0x901
	v_mul_f64_e32 v[175:176], v[2:3], v[36:37]
	v_mul_f64_e32 v[36:37], v[4:5], v[36:37]
	v_add_f64_e32 v[171:172], v[171:172], v[183:184]
	v_add_f64_e32 v[173:174], v[173:174], v[177:178]
	s_wait_loadcnt_dscnt 0x800
	v_mul_f64_e32 v[177:178], v[6:7], v[165:166]
	v_mul_f64_e32 v[165:166], v[8:9], v[165:166]
	v_fma_f64 v[175:176], v[4:5], v[34:35], v[175:176]
	v_fma_f64 v[183:184], v[2:3], v[34:35], -v[36:37]
	scratch_load_b128 v[34:37], off, off offset:848
	ds_load_b128 v[2:5], v1 offset:1664
	v_add_f64_e32 v[171:172], v[171:172], v[181:182]
	v_add_f64_e32 v[173:174], v[173:174], v[179:180]
	v_fma_f64 v[177:178], v[8:9], v[163:164], v[177:178]
	v_fma_f64 v[181:182], v[6:7], v[163:164], -v[165:166]
	ds_load_b128 v[6:9], v1 offset:1680
	s_wait_loadcnt_dscnt 0x801
	v_mul_f64_e32 v[179:180], v[2:3], v[12:13]
	v_mul_f64_e32 v[12:13], v[4:5], v[12:13]
	scratch_load_b128 v[163:166], off, off offset:864
	v_add_f64_e32 v[171:172], v[171:172], v[183:184]
	v_add_f64_e32 v[173:174], v[173:174], v[175:176]
	s_wait_loadcnt_dscnt 0x800
	v_mul_f64_e32 v[175:176], v[6:7], v[16:17]
	v_mul_f64_e32 v[16:17], v[8:9], v[16:17]
	v_fma_f64 v[179:180], v[4:5], v[10:11], v[179:180]
	v_fma_f64 v[183:184], v[2:3], v[10:11], -v[12:13]
	ds_load_b128 v[2:5], v1 offset:1696
	scratch_load_b128 v[10:13], off, off offset:880
	v_add_f64_e32 v[171:172], v[171:172], v[181:182]
	v_add_f64_e32 v[173:174], v[173:174], v[177:178]
	v_fma_f64 v[175:176], v[8:9], v[14:15], v[175:176]
	v_fma_f64 v[181:182], v[6:7], v[14:15], -v[16:17]
	ds_load_b128 v[6:9], v1 offset:1712
	s_wait_loadcnt_dscnt 0x801
	v_mul_f64_e32 v[177:178], v[2:3], v[20:21]
	v_mul_f64_e32 v[20:21], v[4:5], v[20:21]
	scratch_load_b128 v[14:17], off, off offset:896
	v_add_f64_e32 v[171:172], v[171:172], v[183:184]
	v_add_f64_e32 v[173:174], v[173:174], v[179:180]
	s_wait_loadcnt_dscnt 0x800
	v_mul_f64_e32 v[179:180], v[6:7], v[24:25]
	v_mul_f64_e32 v[24:25], v[8:9], v[24:25]
	v_fma_f64 v[177:178], v[4:5], v[18:19], v[177:178]
	v_fma_f64 v[183:184], v[2:3], v[18:19], -v[20:21]
	ds_load_b128 v[2:5], v1 offset:1728
	scratch_load_b128 v[18:21], off, off offset:912
	;; [unrolled: 18-line block ×3, first 2 shown]
	v_add_f64_e32 v[171:172], v[171:172], v[181:182]
	v_add_f64_e32 v[173:174], v[173:174], v[179:180]
	v_fma_f64 v[177:178], v[8:9], v[30:31], v[177:178]
	v_fma_f64 v[181:182], v[6:7], v[30:31], -v[32:33]
	ds_load_b128 v[6:9], v1 offset:1776
	s_wait_loadcnt_dscnt 0x801
	v_mul_f64_e32 v[179:180], v[2:3], v[40:41]
	v_mul_f64_e32 v[40:41], v[4:5], v[40:41]
	scratch_load_b128 v[30:33], off, off offset:960
	v_add_f64_e32 v[171:172], v[171:172], v[183:184]
	v_add_f64_e32 v[173:174], v[173:174], v[175:176]
	v_fma_f64 v[179:180], v[4:5], v[38:39], v[179:180]
	v_fma_f64 v[38:39], v[2:3], v[38:39], -v[40:41]
	ds_load_b128 v[2:5], v1 offset:1792
	v_add_f64_e32 v[40:41], v[171:172], v[181:182]
	v_add_f64_e32 v[171:172], v[173:174], v[177:178]
	s_wait_loadcnt_dscnt 0x700
	v_mul_f64_e32 v[173:174], v[2:3], v[36:37]
	v_mul_f64_e32 v[36:37], v[4:5], v[36:37]
	s_delay_alu instid0(VALU_DEP_4) | instskip(NEXT) | instid1(VALU_DEP_4)
	v_add_f64_e32 v[38:39], v[40:41], v[38:39]
	v_add_f64_e32 v[40:41], v[171:172], v[179:180]
	s_delay_alu instid0(VALU_DEP_4) | instskip(NEXT) | instid1(VALU_DEP_4)
	v_fma_f64 v[171:172], v[4:5], v[34:35], v[173:174]
	v_fma_f64 v[173:174], v[2:3], v[34:35], -v[36:37]
	scratch_load_b128 v[34:37], off, off offset:512
	v_mul_f64_e32 v[175:176], v[6:7], v[169:170]
	v_mul_f64_e32 v[169:170], v[8:9], v[169:170]
	ds_load_b128 v[2:5], v1 offset:1824
	v_fma_f64 v[175:176], v[8:9], v[167:168], v[175:176]
	v_fma_f64 v[167:168], v[6:7], v[167:168], -v[169:170]
	ds_load_b128 v[6:9], v1 offset:1808
	s_wait_loadcnt_dscnt 0x700
	v_mul_f64_e32 v[169:170], v[6:7], v[165:166]
	v_mul_f64_e32 v[165:166], v[8:9], v[165:166]
	v_add_f64_e32 v[40:41], v[40:41], v[175:176]
	v_add_f64_e32 v[38:39], v[38:39], v[167:168]
	s_wait_loadcnt 0x6
	v_mul_f64_e32 v[167:168], v[2:3], v[12:13]
	v_mul_f64_e32 v[12:13], v[4:5], v[12:13]
	v_fma_f64 v[169:170], v[8:9], v[163:164], v[169:170]
	v_fma_f64 v[163:164], v[6:7], v[163:164], -v[165:166]
	ds_load_b128 v[6:9], v1 offset:1840
	v_add_f64_e32 v[40:41], v[40:41], v[171:172]
	v_add_f64_e32 v[38:39], v[38:39], v[173:174]
	v_fma_f64 v[167:168], v[4:5], v[10:11], v[167:168]
	v_fma_f64 v[10:11], v[2:3], v[10:11], -v[12:13]
	ds_load_b128 v[2:5], v1 offset:1856
	s_wait_loadcnt_dscnt 0x501
	v_mul_f64_e32 v[165:166], v[6:7], v[16:17]
	v_mul_f64_e32 v[16:17], v[8:9], v[16:17]
	v_add_f64_e32 v[12:13], v[38:39], v[163:164]
	v_add_f64_e32 v[38:39], v[40:41], v[169:170]
	s_wait_loadcnt_dscnt 0x400
	v_mul_f64_e32 v[40:41], v[2:3], v[20:21]
	v_mul_f64_e32 v[20:21], v[4:5], v[20:21]
	v_fma_f64 v[163:164], v[8:9], v[14:15], v[165:166]
	v_fma_f64 v[14:15], v[6:7], v[14:15], -v[16:17]
	ds_load_b128 v[6:9], v1 offset:1872
	v_add_f64_e32 v[10:11], v[12:13], v[10:11]
	v_add_f64_e32 v[12:13], v[38:39], v[167:168]
	v_fma_f64 v[38:39], v[4:5], v[18:19], v[40:41]
	v_fma_f64 v[18:19], v[2:3], v[18:19], -v[20:21]
	ds_load_b128 v[2:5], v1 offset:1888
	s_wait_loadcnt_dscnt 0x301
	v_mul_f64_e32 v[16:17], v[6:7], v[24:25]
	v_mul_f64_e32 v[24:25], v[8:9], v[24:25]
	s_wait_loadcnt_dscnt 0x200
	v_mul_f64_e32 v[20:21], v[4:5], v[28:29]
	v_add_f64_e32 v[10:11], v[10:11], v[14:15]
	v_add_f64_e32 v[12:13], v[12:13], v[163:164]
	v_mul_f64_e32 v[14:15], v[2:3], v[28:29]
	v_fma_f64 v[16:17], v[8:9], v[22:23], v[16:17]
	v_fma_f64 v[22:23], v[6:7], v[22:23], -v[24:25]
	ds_load_b128 v[6:9], v1 offset:1904
	v_fma_f64 v[1:2], v[2:3], v[26:27], -v[20:21]
	s_wait_loadcnt_dscnt 0x100
	v_mul_f64_e32 v[24:25], v[8:9], v[32:33]
	v_add_f64_e32 v[10:11], v[10:11], v[18:19]
	v_add_f64_e32 v[12:13], v[12:13], v[38:39]
	v_mul_f64_e32 v[18:19], v[6:7], v[32:33]
	v_fma_f64 v[4:5], v[4:5], v[26:27], v[14:15]
	v_fma_f64 v[6:7], v[6:7], v[30:31], -v[24:25]
	v_add_f64_e32 v[10:11], v[10:11], v[22:23]
	v_add_f64_e32 v[12:13], v[12:13], v[16:17]
	v_fma_f64 v[8:9], v[8:9], v[30:31], v[18:19]
	s_delay_alu instid0(VALU_DEP_3) | instskip(NEXT) | instid1(VALU_DEP_3)
	v_add_f64_e32 v[1:2], v[10:11], v[1:2]
	v_add_f64_e32 v[3:4], v[12:13], v[4:5]
	s_delay_alu instid0(VALU_DEP_2) | instskip(NEXT) | instid1(VALU_DEP_2)
	v_add_f64_e32 v[1:2], v[1:2], v[6:7]
	v_add_f64_e32 v[3:4], v[3:4], v[8:9]
	s_wait_loadcnt 0x0
	s_delay_alu instid0(VALU_DEP_2) | instskip(NEXT) | instid1(VALU_DEP_2)
	v_add_f64_e64 v[1:2], v[34:35], -v[1:2]
	v_add_f64_e64 v[3:4], v[36:37], -v[3:4]
	scratch_store_b128 off, v[1:4], off offset:512
	v_cmpx_lt_u32_e32 30, v0
	s_cbranch_execz .LBB123_313
; %bb.312:
	scratch_load_b128 v[1:4], off, s43
	v_mov_b32_e32 v5, 0
	s_delay_alu instid0(VALU_DEP_1)
	v_dual_mov_b32 v6, v5 :: v_dual_mov_b32 v7, v5
	v_mov_b32_e32 v8, v5
	scratch_store_b128 off, v[5:8], off offset:496
	s_wait_loadcnt 0x0
	ds_store_b128 v162, v[1:4]
.LBB123_313:
	s_wait_alu 0xfffe
	s_or_b32 exec_lo, exec_lo, s0
	s_wait_storecnt_dscnt 0x0
	s_barrier_signal -1
	s_barrier_wait -1
	global_inv scope:SCOPE_SE
	s_clause 0x7
	scratch_load_b128 v[2:5], off, off offset:512
	scratch_load_b128 v[6:9], off, off offset:528
	;; [unrolled: 1-line block ×8, first 2 shown]
	v_mov_b32_e32 v1, 0
	s_clause 0x1
	scratch_load_b128 v[38:41], off, off offset:640
	scratch_load_b128 v[167:170], off, off offset:656
	s_mov_b32 s0, exec_lo
	ds_load_b128 v[34:37], v1 offset:1456
	ds_load_b128 v[163:166], v1 offset:1472
	s_wait_loadcnt_dscnt 0x901
	v_mul_f64_e32 v[171:172], v[36:37], v[4:5]
	v_mul_f64_e32 v[4:5], v[34:35], v[4:5]
	s_wait_loadcnt_dscnt 0x800
	v_mul_f64_e32 v[173:174], v[163:164], v[8:9]
	v_mul_f64_e32 v[8:9], v[165:166], v[8:9]
	s_delay_alu instid0(VALU_DEP_4) | instskip(NEXT) | instid1(VALU_DEP_4)
	v_fma_f64 v[171:172], v[34:35], v[2:3], -v[171:172]
	v_fma_f64 v[175:176], v[36:37], v[2:3], v[4:5]
	ds_load_b128 v[2:5], v1 offset:1488
	scratch_load_b128 v[34:37], off, off offset:672
	v_fma_f64 v[173:174], v[165:166], v[6:7], v[173:174]
	v_fma_f64 v[179:180], v[163:164], v[6:7], -v[8:9]
	ds_load_b128 v[6:9], v1 offset:1504
	scratch_load_b128 v[163:166], off, off offset:688
	s_wait_loadcnt_dscnt 0x901
	v_mul_f64_e32 v[177:178], v[2:3], v[12:13]
	v_mul_f64_e32 v[12:13], v[4:5], v[12:13]
	s_wait_loadcnt_dscnt 0x800
	v_mul_f64_e32 v[181:182], v[6:7], v[16:17]
	v_mul_f64_e32 v[16:17], v[8:9], v[16:17]
	v_add_f64_e32 v[171:172], 0, v[171:172]
	v_add_f64_e32 v[175:176], 0, v[175:176]
	v_fma_f64 v[177:178], v[4:5], v[10:11], v[177:178]
	v_fma_f64 v[183:184], v[2:3], v[10:11], -v[12:13]
	ds_load_b128 v[2:5], v1 offset:1520
	scratch_load_b128 v[10:13], off, off offset:704
	v_add_f64_e32 v[171:172], v[171:172], v[179:180]
	v_add_f64_e32 v[173:174], v[175:176], v[173:174]
	v_fma_f64 v[179:180], v[8:9], v[14:15], v[181:182]
	v_fma_f64 v[181:182], v[6:7], v[14:15], -v[16:17]
	ds_load_b128 v[6:9], v1 offset:1536
	scratch_load_b128 v[14:17], off, off offset:720
	s_wait_loadcnt_dscnt 0x901
	v_mul_f64_e32 v[175:176], v[2:3], v[20:21]
	v_mul_f64_e32 v[20:21], v[4:5], v[20:21]
	v_add_f64_e32 v[171:172], v[171:172], v[183:184]
	v_add_f64_e32 v[173:174], v[173:174], v[177:178]
	s_wait_loadcnt_dscnt 0x800
	v_mul_f64_e32 v[177:178], v[6:7], v[24:25]
	v_mul_f64_e32 v[24:25], v[8:9], v[24:25]
	v_fma_f64 v[175:176], v[4:5], v[18:19], v[175:176]
	v_fma_f64 v[183:184], v[2:3], v[18:19], -v[20:21]
	ds_load_b128 v[2:5], v1 offset:1552
	scratch_load_b128 v[18:21], off, off offset:736
	v_add_f64_e32 v[171:172], v[171:172], v[181:182]
	v_add_f64_e32 v[173:174], v[173:174], v[179:180]
	v_fma_f64 v[177:178], v[8:9], v[22:23], v[177:178]
	v_fma_f64 v[181:182], v[6:7], v[22:23], -v[24:25]
	ds_load_b128 v[6:9], v1 offset:1568
	s_wait_loadcnt_dscnt 0x801
	v_mul_f64_e32 v[179:180], v[2:3], v[28:29]
	v_mul_f64_e32 v[28:29], v[4:5], v[28:29]
	scratch_load_b128 v[22:25], off, off offset:752
	v_add_f64_e32 v[171:172], v[171:172], v[183:184]
	v_add_f64_e32 v[173:174], v[173:174], v[175:176]
	s_wait_loadcnt_dscnt 0x800
	v_mul_f64_e32 v[175:176], v[6:7], v[32:33]
	v_mul_f64_e32 v[32:33], v[8:9], v[32:33]
	v_fma_f64 v[179:180], v[4:5], v[26:27], v[179:180]
	v_fma_f64 v[183:184], v[2:3], v[26:27], -v[28:29]
	ds_load_b128 v[2:5], v1 offset:1584
	scratch_load_b128 v[26:29], off, off offset:768
	v_add_f64_e32 v[171:172], v[171:172], v[181:182]
	v_add_f64_e32 v[173:174], v[173:174], v[177:178]
	v_fma_f64 v[175:176], v[8:9], v[30:31], v[175:176]
	v_fma_f64 v[181:182], v[6:7], v[30:31], -v[32:33]
	ds_load_b128 v[6:9], v1 offset:1600
	s_wait_loadcnt_dscnt 0x801
	v_mul_f64_e32 v[177:178], v[2:3], v[40:41]
	v_mul_f64_e32 v[40:41], v[4:5], v[40:41]
	scratch_load_b128 v[30:33], off, off offset:784
	v_add_f64_e32 v[171:172], v[171:172], v[183:184]
	v_add_f64_e32 v[173:174], v[173:174], v[179:180]
	s_wait_loadcnt_dscnt 0x800
	v_mul_f64_e32 v[179:180], v[6:7], v[169:170]
	v_mul_f64_e32 v[169:170], v[8:9], v[169:170]
	v_fma_f64 v[177:178], v[4:5], v[38:39], v[177:178]
	v_fma_f64 v[183:184], v[2:3], v[38:39], -v[40:41]
	ds_load_b128 v[2:5], v1 offset:1616
	scratch_load_b128 v[38:41], off, off offset:800
	v_add_f64_e32 v[171:172], v[171:172], v[181:182]
	v_add_f64_e32 v[173:174], v[173:174], v[175:176]
	v_fma_f64 v[179:180], v[8:9], v[167:168], v[179:180]
	v_fma_f64 v[181:182], v[6:7], v[167:168], -v[169:170]
	ds_load_b128 v[6:9], v1 offset:1632
	scratch_load_b128 v[167:170], off, off offset:816
	s_wait_loadcnt_dscnt 0x901
	v_mul_f64_e32 v[175:176], v[2:3], v[36:37]
	v_mul_f64_e32 v[36:37], v[4:5], v[36:37]
	v_add_f64_e32 v[171:172], v[171:172], v[183:184]
	v_add_f64_e32 v[173:174], v[173:174], v[177:178]
	s_wait_loadcnt_dscnt 0x800
	v_mul_f64_e32 v[177:178], v[6:7], v[165:166]
	v_mul_f64_e32 v[165:166], v[8:9], v[165:166]
	v_fma_f64 v[175:176], v[4:5], v[34:35], v[175:176]
	v_fma_f64 v[183:184], v[2:3], v[34:35], -v[36:37]
	ds_load_b128 v[2:5], v1 offset:1648
	scratch_load_b128 v[34:37], off, off offset:832
	v_add_f64_e32 v[171:172], v[171:172], v[181:182]
	v_add_f64_e32 v[173:174], v[173:174], v[179:180]
	v_fma_f64 v[177:178], v[8:9], v[163:164], v[177:178]
	v_fma_f64 v[181:182], v[6:7], v[163:164], -v[165:166]
	ds_load_b128 v[6:9], v1 offset:1664
	s_wait_loadcnt_dscnt 0x801
	v_mul_f64_e32 v[179:180], v[2:3], v[12:13]
	v_mul_f64_e32 v[12:13], v[4:5], v[12:13]
	scratch_load_b128 v[163:166], off, off offset:848
	v_add_f64_e32 v[171:172], v[171:172], v[183:184]
	v_add_f64_e32 v[173:174], v[173:174], v[175:176]
	s_wait_loadcnt_dscnt 0x800
	v_mul_f64_e32 v[175:176], v[6:7], v[16:17]
	v_mul_f64_e32 v[16:17], v[8:9], v[16:17]
	v_fma_f64 v[179:180], v[4:5], v[10:11], v[179:180]
	v_fma_f64 v[183:184], v[2:3], v[10:11], -v[12:13]
	ds_load_b128 v[2:5], v1 offset:1680
	scratch_load_b128 v[10:13], off, off offset:864
	v_add_f64_e32 v[171:172], v[171:172], v[181:182]
	v_add_f64_e32 v[173:174], v[173:174], v[177:178]
	v_fma_f64 v[175:176], v[8:9], v[14:15], v[175:176]
	v_fma_f64 v[181:182], v[6:7], v[14:15], -v[16:17]
	ds_load_b128 v[6:9], v1 offset:1696
	s_wait_loadcnt_dscnt 0x801
	v_mul_f64_e32 v[177:178], v[2:3], v[20:21]
	v_mul_f64_e32 v[20:21], v[4:5], v[20:21]
	scratch_load_b128 v[14:17], off, off offset:880
	;; [unrolled: 18-line block ×4, first 2 shown]
	v_add_f64_e32 v[171:172], v[171:172], v[183:184]
	v_add_f64_e32 v[173:174], v[173:174], v[175:176]
	s_wait_loadcnt_dscnt 0x800
	v_mul_f64_e32 v[175:176], v[6:7], v[169:170]
	v_mul_f64_e32 v[169:170], v[8:9], v[169:170]
	v_fma_f64 v[179:180], v[4:5], v[38:39], v[179:180]
	v_fma_f64 v[183:184], v[2:3], v[38:39], -v[40:41]
	ds_load_b128 v[2:5], v1 offset:1776
	scratch_load_b128 v[38:41], off, off offset:960
	v_add_f64_e32 v[171:172], v[171:172], v[181:182]
	v_add_f64_e32 v[173:174], v[173:174], v[177:178]
	v_fma_f64 v[175:176], v[8:9], v[167:168], v[175:176]
	v_fma_f64 v[167:168], v[6:7], v[167:168], -v[169:170]
	ds_load_b128 v[6:9], v1 offset:1792
	s_wait_loadcnt_dscnt 0x801
	v_mul_f64_e32 v[177:178], v[2:3], v[36:37]
	v_mul_f64_e32 v[36:37], v[4:5], v[36:37]
	v_add_f64_e32 v[169:170], v[171:172], v[183:184]
	v_add_f64_e32 v[171:172], v[173:174], v[179:180]
	s_wait_loadcnt_dscnt 0x700
	v_mul_f64_e32 v[173:174], v[6:7], v[165:166]
	v_mul_f64_e32 v[165:166], v[8:9], v[165:166]
	v_fma_f64 v[177:178], v[4:5], v[34:35], v[177:178]
	v_fma_f64 v[34:35], v[2:3], v[34:35], -v[36:37]
	ds_load_b128 v[2:5], v1 offset:1808
	v_add_f64_e32 v[36:37], v[169:170], v[167:168]
	v_add_f64_e32 v[167:168], v[171:172], v[175:176]
	v_fma_f64 v[171:172], v[8:9], v[163:164], v[173:174]
	v_fma_f64 v[163:164], v[6:7], v[163:164], -v[165:166]
	ds_load_b128 v[6:9], v1 offset:1824
	s_wait_loadcnt_dscnt 0x500
	v_mul_f64_e32 v[173:174], v[6:7], v[16:17]
	v_mul_f64_e32 v[16:17], v[8:9], v[16:17]
	v_add_f64_e32 v[165:166], v[36:37], v[34:35]
	v_add_f64_e32 v[167:168], v[167:168], v[177:178]
	scratch_load_b128 v[34:37], off, off offset:496
	v_mul_f64_e32 v[169:170], v[2:3], v[12:13]
	v_mul_f64_e32 v[12:13], v[4:5], v[12:13]
	s_delay_alu instid0(VALU_DEP_2) | instskip(NEXT) | instid1(VALU_DEP_2)
	v_fma_f64 v[169:170], v[4:5], v[10:11], v[169:170]
	v_fma_f64 v[10:11], v[2:3], v[10:11], -v[12:13]
	v_add_f64_e32 v[12:13], v[165:166], v[163:164]
	v_add_f64_e32 v[163:164], v[167:168], v[171:172]
	ds_load_b128 v[2:5], v1 offset:1840
	v_fma_f64 v[167:168], v[8:9], v[14:15], v[173:174]
	v_fma_f64 v[14:15], v[6:7], v[14:15], -v[16:17]
	ds_load_b128 v[6:9], v1 offset:1856
	s_wait_loadcnt_dscnt 0x501
	v_mul_f64_e32 v[165:166], v[2:3], v[20:21]
	v_mul_f64_e32 v[20:21], v[4:5], v[20:21]
	s_wait_loadcnt_dscnt 0x400
	v_mul_f64_e32 v[16:17], v[6:7], v[24:25]
	v_mul_f64_e32 v[24:25], v[8:9], v[24:25]
	v_add_f64_e32 v[10:11], v[12:13], v[10:11]
	v_add_f64_e32 v[12:13], v[163:164], v[169:170]
	v_fma_f64 v[163:164], v[4:5], v[18:19], v[165:166]
	v_fma_f64 v[18:19], v[2:3], v[18:19], -v[20:21]
	ds_load_b128 v[2:5], v1 offset:1872
	v_fma_f64 v[16:17], v[8:9], v[22:23], v[16:17]
	v_fma_f64 v[22:23], v[6:7], v[22:23], -v[24:25]
	ds_load_b128 v[6:9], v1 offset:1888
	v_add_f64_e32 v[10:11], v[10:11], v[14:15]
	v_add_f64_e32 v[12:13], v[12:13], v[167:168]
	s_wait_loadcnt_dscnt 0x301
	v_mul_f64_e32 v[14:15], v[2:3], v[28:29]
	v_mul_f64_e32 v[20:21], v[4:5], v[28:29]
	s_wait_loadcnt_dscnt 0x200
	v_mul_f64_e32 v[24:25], v[8:9], v[32:33]
	v_add_f64_e32 v[10:11], v[10:11], v[18:19]
	v_add_f64_e32 v[12:13], v[12:13], v[163:164]
	v_mul_f64_e32 v[18:19], v[6:7], v[32:33]
	v_fma_f64 v[14:15], v[4:5], v[26:27], v[14:15]
	v_fma_f64 v[20:21], v[2:3], v[26:27], -v[20:21]
	ds_load_b128 v[2:5], v1 offset:1904
	v_fma_f64 v[6:7], v[6:7], v[30:31], -v[24:25]
	v_add_f64_e32 v[10:11], v[10:11], v[22:23]
	v_add_f64_e32 v[12:13], v[12:13], v[16:17]
	s_wait_loadcnt_dscnt 0x100
	v_mul_f64_e32 v[16:17], v[2:3], v[40:41]
	v_mul_f64_e32 v[22:23], v[4:5], v[40:41]
	v_fma_f64 v[8:9], v[8:9], v[30:31], v[18:19]
	v_add_f64_e32 v[10:11], v[10:11], v[20:21]
	v_add_f64_e32 v[12:13], v[12:13], v[14:15]
	v_fma_f64 v[4:5], v[4:5], v[38:39], v[16:17]
	v_fma_f64 v[2:3], v[2:3], v[38:39], -v[22:23]
	s_delay_alu instid0(VALU_DEP_4) | instskip(NEXT) | instid1(VALU_DEP_4)
	v_add_f64_e32 v[6:7], v[10:11], v[6:7]
	v_add_f64_e32 v[8:9], v[12:13], v[8:9]
	s_delay_alu instid0(VALU_DEP_2) | instskip(NEXT) | instid1(VALU_DEP_2)
	v_add_f64_e32 v[2:3], v[6:7], v[2:3]
	v_add_f64_e32 v[4:5], v[8:9], v[4:5]
	s_wait_loadcnt 0x0
	s_delay_alu instid0(VALU_DEP_2) | instskip(NEXT) | instid1(VALU_DEP_2)
	v_add_f64_e64 v[2:3], v[34:35], -v[2:3]
	v_add_f64_e64 v[4:5], v[36:37], -v[4:5]
	scratch_store_b128 off, v[2:5], off offset:496
	v_cmpx_lt_u32_e32 29, v0
	s_cbranch_execz .LBB123_315
; %bb.314:
	scratch_load_b128 v[5:8], off, s44
	v_dual_mov_b32 v2, v1 :: v_dual_mov_b32 v3, v1
	v_mov_b32_e32 v4, v1
	scratch_store_b128 off, v[1:4], off offset:480
	s_wait_loadcnt 0x0
	ds_store_b128 v162, v[5:8]
.LBB123_315:
	s_wait_alu 0xfffe
	s_or_b32 exec_lo, exec_lo, s0
	s_wait_storecnt_dscnt 0x0
	s_barrier_signal -1
	s_barrier_wait -1
	global_inv scope:SCOPE_SE
	s_clause 0x7
	scratch_load_b128 v[2:5], off, off offset:496
	scratch_load_b128 v[6:9], off, off offset:512
	;; [unrolled: 1-line block ×8, first 2 shown]
	ds_load_b128 v[34:37], v1 offset:1440
	ds_load_b128 v[163:166], v1 offset:1456
	s_clause 0x1
	scratch_load_b128 v[38:41], off, off offset:624
	scratch_load_b128 v[167:170], off, off offset:640
	s_mov_b32 s0, exec_lo
	s_wait_loadcnt_dscnt 0x901
	v_mul_f64_e32 v[171:172], v[36:37], v[4:5]
	v_mul_f64_e32 v[4:5], v[34:35], v[4:5]
	s_wait_loadcnt_dscnt 0x800
	v_mul_f64_e32 v[173:174], v[163:164], v[8:9]
	v_mul_f64_e32 v[8:9], v[165:166], v[8:9]
	s_delay_alu instid0(VALU_DEP_4) | instskip(NEXT) | instid1(VALU_DEP_4)
	v_fma_f64 v[171:172], v[34:35], v[2:3], -v[171:172]
	v_fma_f64 v[175:176], v[36:37], v[2:3], v[4:5]
	ds_load_b128 v[2:5], v1 offset:1472
	scratch_load_b128 v[34:37], off, off offset:656
	v_fma_f64 v[173:174], v[165:166], v[6:7], v[173:174]
	v_fma_f64 v[179:180], v[163:164], v[6:7], -v[8:9]
	ds_load_b128 v[6:9], v1 offset:1488
	scratch_load_b128 v[163:166], off, off offset:672
	s_wait_loadcnt_dscnt 0x901
	v_mul_f64_e32 v[177:178], v[2:3], v[12:13]
	v_mul_f64_e32 v[12:13], v[4:5], v[12:13]
	s_wait_loadcnt_dscnt 0x800
	v_mul_f64_e32 v[181:182], v[6:7], v[16:17]
	v_mul_f64_e32 v[16:17], v[8:9], v[16:17]
	v_add_f64_e32 v[171:172], 0, v[171:172]
	v_add_f64_e32 v[175:176], 0, v[175:176]
	v_fma_f64 v[177:178], v[4:5], v[10:11], v[177:178]
	v_fma_f64 v[183:184], v[2:3], v[10:11], -v[12:13]
	scratch_load_b128 v[10:13], off, off offset:688
	ds_load_b128 v[2:5], v1 offset:1504
	v_add_f64_e32 v[171:172], v[171:172], v[179:180]
	v_add_f64_e32 v[173:174], v[175:176], v[173:174]
	v_fma_f64 v[179:180], v[8:9], v[14:15], v[181:182]
	v_fma_f64 v[181:182], v[6:7], v[14:15], -v[16:17]
	ds_load_b128 v[6:9], v1 offset:1520
	scratch_load_b128 v[14:17], off, off offset:704
	s_wait_loadcnt_dscnt 0x901
	v_mul_f64_e32 v[175:176], v[2:3], v[20:21]
	v_mul_f64_e32 v[20:21], v[4:5], v[20:21]
	v_add_f64_e32 v[171:172], v[171:172], v[183:184]
	v_add_f64_e32 v[173:174], v[173:174], v[177:178]
	s_wait_loadcnt_dscnt 0x800
	v_mul_f64_e32 v[177:178], v[6:7], v[24:25]
	v_mul_f64_e32 v[24:25], v[8:9], v[24:25]
	v_fma_f64 v[175:176], v[4:5], v[18:19], v[175:176]
	v_fma_f64 v[183:184], v[2:3], v[18:19], -v[20:21]
	ds_load_b128 v[2:5], v1 offset:1536
	scratch_load_b128 v[18:21], off, off offset:720
	v_add_f64_e32 v[171:172], v[171:172], v[181:182]
	v_add_f64_e32 v[173:174], v[173:174], v[179:180]
	v_fma_f64 v[177:178], v[8:9], v[22:23], v[177:178]
	v_fma_f64 v[181:182], v[6:7], v[22:23], -v[24:25]
	ds_load_b128 v[6:9], v1 offset:1552
	s_wait_loadcnt_dscnt 0x801
	v_mul_f64_e32 v[179:180], v[2:3], v[28:29]
	v_mul_f64_e32 v[28:29], v[4:5], v[28:29]
	scratch_load_b128 v[22:25], off, off offset:736
	v_add_f64_e32 v[171:172], v[171:172], v[183:184]
	v_add_f64_e32 v[173:174], v[173:174], v[175:176]
	s_wait_loadcnt_dscnt 0x800
	v_mul_f64_e32 v[175:176], v[6:7], v[32:33]
	v_mul_f64_e32 v[32:33], v[8:9], v[32:33]
	v_fma_f64 v[179:180], v[4:5], v[26:27], v[179:180]
	v_fma_f64 v[183:184], v[2:3], v[26:27], -v[28:29]
	ds_load_b128 v[2:5], v1 offset:1568
	scratch_load_b128 v[26:29], off, off offset:752
	v_add_f64_e32 v[171:172], v[171:172], v[181:182]
	v_add_f64_e32 v[173:174], v[173:174], v[177:178]
	v_fma_f64 v[175:176], v[8:9], v[30:31], v[175:176]
	v_fma_f64 v[181:182], v[6:7], v[30:31], -v[32:33]
	ds_load_b128 v[6:9], v1 offset:1584
	s_wait_loadcnt_dscnt 0x801
	v_mul_f64_e32 v[177:178], v[2:3], v[40:41]
	v_mul_f64_e32 v[40:41], v[4:5], v[40:41]
	scratch_load_b128 v[30:33], off, off offset:768
	v_add_f64_e32 v[171:172], v[171:172], v[183:184]
	v_add_f64_e32 v[173:174], v[173:174], v[179:180]
	s_wait_loadcnt_dscnt 0x800
	v_mul_f64_e32 v[179:180], v[6:7], v[169:170]
	v_mul_f64_e32 v[169:170], v[8:9], v[169:170]
	v_fma_f64 v[177:178], v[4:5], v[38:39], v[177:178]
	v_fma_f64 v[183:184], v[2:3], v[38:39], -v[40:41]
	ds_load_b128 v[2:5], v1 offset:1600
	scratch_load_b128 v[38:41], off, off offset:784
	v_add_f64_e32 v[171:172], v[171:172], v[181:182]
	v_add_f64_e32 v[173:174], v[173:174], v[175:176]
	v_fma_f64 v[179:180], v[8:9], v[167:168], v[179:180]
	v_fma_f64 v[181:182], v[6:7], v[167:168], -v[169:170]
	ds_load_b128 v[6:9], v1 offset:1616
	scratch_load_b128 v[167:170], off, off offset:800
	s_wait_loadcnt_dscnt 0x901
	v_mul_f64_e32 v[175:176], v[2:3], v[36:37]
	v_mul_f64_e32 v[36:37], v[4:5], v[36:37]
	v_add_f64_e32 v[171:172], v[171:172], v[183:184]
	v_add_f64_e32 v[173:174], v[173:174], v[177:178]
	s_wait_loadcnt_dscnt 0x800
	v_mul_f64_e32 v[177:178], v[6:7], v[165:166]
	v_mul_f64_e32 v[165:166], v[8:9], v[165:166]
	v_fma_f64 v[175:176], v[4:5], v[34:35], v[175:176]
	v_fma_f64 v[183:184], v[2:3], v[34:35], -v[36:37]
	ds_load_b128 v[2:5], v1 offset:1632
	scratch_load_b128 v[34:37], off, off offset:816
	v_add_f64_e32 v[171:172], v[171:172], v[181:182]
	v_add_f64_e32 v[173:174], v[173:174], v[179:180]
	v_fma_f64 v[177:178], v[8:9], v[163:164], v[177:178]
	v_fma_f64 v[181:182], v[6:7], v[163:164], -v[165:166]
	ds_load_b128 v[6:9], v1 offset:1648
	s_wait_loadcnt_dscnt 0x801
	v_mul_f64_e32 v[179:180], v[2:3], v[12:13]
	v_mul_f64_e32 v[12:13], v[4:5], v[12:13]
	scratch_load_b128 v[163:166], off, off offset:832
	v_add_f64_e32 v[171:172], v[171:172], v[183:184]
	v_add_f64_e32 v[173:174], v[173:174], v[175:176]
	s_wait_loadcnt_dscnt 0x800
	v_mul_f64_e32 v[175:176], v[6:7], v[16:17]
	v_mul_f64_e32 v[16:17], v[8:9], v[16:17]
	v_fma_f64 v[179:180], v[4:5], v[10:11], v[179:180]
	v_fma_f64 v[183:184], v[2:3], v[10:11], -v[12:13]
	scratch_load_b128 v[10:13], off, off offset:848
	ds_load_b128 v[2:5], v1 offset:1664
	v_add_f64_e32 v[171:172], v[171:172], v[181:182]
	v_add_f64_e32 v[173:174], v[173:174], v[177:178]
	v_fma_f64 v[175:176], v[8:9], v[14:15], v[175:176]
	v_fma_f64 v[181:182], v[6:7], v[14:15], -v[16:17]
	ds_load_b128 v[6:9], v1 offset:1680
	s_wait_loadcnt_dscnt 0x801
	v_mul_f64_e32 v[177:178], v[2:3], v[20:21]
	v_mul_f64_e32 v[20:21], v[4:5], v[20:21]
	scratch_load_b128 v[14:17], off, off offset:864
	v_add_f64_e32 v[171:172], v[171:172], v[183:184]
	v_add_f64_e32 v[173:174], v[173:174], v[179:180]
	s_wait_loadcnt_dscnt 0x800
	v_mul_f64_e32 v[179:180], v[6:7], v[24:25]
	v_mul_f64_e32 v[24:25], v[8:9], v[24:25]
	v_fma_f64 v[177:178], v[4:5], v[18:19], v[177:178]
	v_fma_f64 v[183:184], v[2:3], v[18:19], -v[20:21]
	ds_load_b128 v[2:5], v1 offset:1696
	scratch_load_b128 v[18:21], off, off offset:880
	v_add_f64_e32 v[171:172], v[171:172], v[181:182]
	v_add_f64_e32 v[173:174], v[173:174], v[175:176]
	v_fma_f64 v[179:180], v[8:9], v[22:23], v[179:180]
	v_fma_f64 v[181:182], v[6:7], v[22:23], -v[24:25]
	ds_load_b128 v[6:9], v1 offset:1712
	s_wait_loadcnt_dscnt 0x801
	v_mul_f64_e32 v[175:176], v[2:3], v[28:29]
	v_mul_f64_e32 v[28:29], v[4:5], v[28:29]
	scratch_load_b128 v[22:25], off, off offset:896
	v_add_f64_e32 v[171:172], v[171:172], v[183:184]
	v_add_f64_e32 v[173:174], v[173:174], v[177:178]
	s_wait_loadcnt_dscnt 0x800
	v_mul_f64_e32 v[177:178], v[6:7], v[32:33]
	v_mul_f64_e32 v[32:33], v[8:9], v[32:33]
	v_fma_f64 v[175:176], v[4:5], v[26:27], v[175:176]
	v_fma_f64 v[183:184], v[2:3], v[26:27], -v[28:29]
	ds_load_b128 v[2:5], v1 offset:1728
	scratch_load_b128 v[26:29], off, off offset:912
	;; [unrolled: 18-line block ×3, first 2 shown]
	v_add_f64_e32 v[171:172], v[171:172], v[181:182]
	v_add_f64_e32 v[173:174], v[173:174], v[177:178]
	v_fma_f64 v[175:176], v[8:9], v[167:168], v[175:176]
	v_fma_f64 v[181:182], v[6:7], v[167:168], -v[169:170]
	ds_load_b128 v[6:9], v1 offset:1776
	s_wait_loadcnt_dscnt 0x801
	v_mul_f64_e32 v[177:178], v[2:3], v[36:37]
	v_mul_f64_e32 v[36:37], v[4:5], v[36:37]
	scratch_load_b128 v[167:170], off, off offset:960
	v_add_f64_e32 v[171:172], v[171:172], v[183:184]
	v_add_f64_e32 v[173:174], v[173:174], v[179:180]
	v_fma_f64 v[177:178], v[4:5], v[34:35], v[177:178]
	v_fma_f64 v[34:35], v[2:3], v[34:35], -v[36:37]
	ds_load_b128 v[2:5], v1 offset:1792
	v_add_f64_e32 v[36:37], v[171:172], v[181:182]
	v_add_f64_e32 v[171:172], v[173:174], v[175:176]
	s_wait_loadcnt_dscnt 0x700
	v_mul_f64_e32 v[173:174], v[2:3], v[12:13]
	v_mul_f64_e32 v[12:13], v[4:5], v[12:13]
	s_delay_alu instid0(VALU_DEP_4) | instskip(NEXT) | instid1(VALU_DEP_4)
	v_add_f64_e32 v[34:35], v[36:37], v[34:35]
	v_add_f64_e32 v[36:37], v[171:172], v[177:178]
	s_delay_alu instid0(VALU_DEP_4) | instskip(NEXT) | instid1(VALU_DEP_4)
	v_fma_f64 v[171:172], v[4:5], v[10:11], v[173:174]
	v_fma_f64 v[173:174], v[2:3], v[10:11], -v[12:13]
	scratch_load_b128 v[10:13], off, off offset:480
	v_mul_f64_e32 v[179:180], v[6:7], v[165:166]
	v_mul_f64_e32 v[165:166], v[8:9], v[165:166]
	ds_load_b128 v[2:5], v1 offset:1824
	v_fma_f64 v[175:176], v[8:9], v[163:164], v[179:180]
	v_fma_f64 v[163:164], v[6:7], v[163:164], -v[165:166]
	ds_load_b128 v[6:9], v1 offset:1808
	s_wait_loadcnt_dscnt 0x700
	v_mul_f64_e32 v[165:166], v[6:7], v[16:17]
	v_mul_f64_e32 v[16:17], v[8:9], v[16:17]
	v_add_f64_e32 v[36:37], v[36:37], v[175:176]
	v_add_f64_e32 v[34:35], v[34:35], v[163:164]
	s_wait_loadcnt 0x6
	v_mul_f64_e32 v[163:164], v[2:3], v[20:21]
	v_mul_f64_e32 v[20:21], v[4:5], v[20:21]
	v_fma_f64 v[165:166], v[8:9], v[14:15], v[165:166]
	v_fma_f64 v[14:15], v[6:7], v[14:15], -v[16:17]
	ds_load_b128 v[6:9], v1 offset:1840
	v_add_f64_e32 v[16:17], v[34:35], v[173:174]
	v_add_f64_e32 v[34:35], v[36:37], v[171:172]
	v_fma_f64 v[163:164], v[4:5], v[18:19], v[163:164]
	v_fma_f64 v[18:19], v[2:3], v[18:19], -v[20:21]
	ds_load_b128 v[2:5], v1 offset:1856
	s_wait_loadcnt_dscnt 0x501
	v_mul_f64_e32 v[36:37], v[6:7], v[24:25]
	v_mul_f64_e32 v[24:25], v[8:9], v[24:25]
	s_wait_loadcnt_dscnt 0x400
	v_mul_f64_e32 v[20:21], v[2:3], v[28:29]
	v_mul_f64_e32 v[28:29], v[4:5], v[28:29]
	v_add_f64_e32 v[14:15], v[16:17], v[14:15]
	v_add_f64_e32 v[16:17], v[34:35], v[165:166]
	v_fma_f64 v[34:35], v[8:9], v[22:23], v[36:37]
	v_fma_f64 v[22:23], v[6:7], v[22:23], -v[24:25]
	ds_load_b128 v[6:9], v1 offset:1872
	v_fma_f64 v[20:21], v[4:5], v[26:27], v[20:21]
	v_fma_f64 v[26:27], v[2:3], v[26:27], -v[28:29]
	ds_load_b128 v[2:5], v1 offset:1888
	s_wait_loadcnt_dscnt 0x301
	v_mul_f64_e32 v[24:25], v[8:9], v[32:33]
	v_add_f64_e32 v[14:15], v[14:15], v[18:19]
	v_add_f64_e32 v[16:17], v[16:17], v[163:164]
	v_mul_f64_e32 v[18:19], v[6:7], v[32:33]
	s_wait_loadcnt_dscnt 0x200
	v_mul_f64_e32 v[28:29], v[4:5], v[40:41]
	v_fma_f64 v[24:25], v[6:7], v[30:31], -v[24:25]
	v_add_f64_e32 v[14:15], v[14:15], v[22:23]
	v_add_f64_e32 v[16:17], v[16:17], v[34:35]
	v_mul_f64_e32 v[22:23], v[2:3], v[40:41]
	v_fma_f64 v[18:19], v[8:9], v[30:31], v[18:19]
	ds_load_b128 v[6:9], v1 offset:1904
	v_fma_f64 v[1:2], v[2:3], v[38:39], -v[28:29]
	v_add_f64_e32 v[14:15], v[14:15], v[26:27]
	v_add_f64_e32 v[16:17], v[16:17], v[20:21]
	s_wait_loadcnt_dscnt 0x100
	v_mul_f64_e32 v[20:21], v[6:7], v[169:170]
	v_mul_f64_e32 v[26:27], v[8:9], v[169:170]
	v_fma_f64 v[4:5], v[4:5], v[38:39], v[22:23]
	v_add_f64_e32 v[14:15], v[14:15], v[24:25]
	v_add_f64_e32 v[16:17], v[16:17], v[18:19]
	v_fma_f64 v[8:9], v[8:9], v[167:168], v[20:21]
	v_fma_f64 v[6:7], v[6:7], v[167:168], -v[26:27]
	s_delay_alu instid0(VALU_DEP_4) | instskip(NEXT) | instid1(VALU_DEP_4)
	v_add_f64_e32 v[1:2], v[14:15], v[1:2]
	v_add_f64_e32 v[3:4], v[16:17], v[4:5]
	s_delay_alu instid0(VALU_DEP_2) | instskip(NEXT) | instid1(VALU_DEP_2)
	v_add_f64_e32 v[1:2], v[1:2], v[6:7]
	v_add_f64_e32 v[3:4], v[3:4], v[8:9]
	s_wait_loadcnt 0x0
	s_delay_alu instid0(VALU_DEP_2) | instskip(NEXT) | instid1(VALU_DEP_2)
	v_add_f64_e64 v[1:2], v[10:11], -v[1:2]
	v_add_f64_e64 v[3:4], v[12:13], -v[3:4]
	scratch_store_b128 off, v[1:4], off offset:480
	v_cmpx_lt_u32_e32 28, v0
	s_cbranch_execz .LBB123_317
; %bb.316:
	scratch_load_b128 v[1:4], off, s45
	v_mov_b32_e32 v5, 0
	s_delay_alu instid0(VALU_DEP_1)
	v_dual_mov_b32 v6, v5 :: v_dual_mov_b32 v7, v5
	v_mov_b32_e32 v8, v5
	scratch_store_b128 off, v[5:8], off offset:464
	s_wait_loadcnt 0x0
	ds_store_b128 v162, v[1:4]
.LBB123_317:
	s_wait_alu 0xfffe
	s_or_b32 exec_lo, exec_lo, s0
	s_wait_storecnt_dscnt 0x0
	s_barrier_signal -1
	s_barrier_wait -1
	global_inv scope:SCOPE_SE
	s_clause 0x7
	scratch_load_b128 v[2:5], off, off offset:480
	scratch_load_b128 v[6:9], off, off offset:496
	;; [unrolled: 1-line block ×8, first 2 shown]
	v_mov_b32_e32 v1, 0
	s_clause 0x1
	scratch_load_b128 v[38:41], off, off offset:608
	scratch_load_b128 v[167:170], off, off offset:624
	s_mov_b32 s0, exec_lo
	ds_load_b128 v[34:37], v1 offset:1424
	ds_load_b128 v[163:166], v1 offset:1440
	s_wait_loadcnt_dscnt 0x901
	v_mul_f64_e32 v[171:172], v[36:37], v[4:5]
	v_mul_f64_e32 v[4:5], v[34:35], v[4:5]
	s_wait_loadcnt_dscnt 0x800
	v_mul_f64_e32 v[173:174], v[163:164], v[8:9]
	v_mul_f64_e32 v[8:9], v[165:166], v[8:9]
	s_delay_alu instid0(VALU_DEP_4) | instskip(NEXT) | instid1(VALU_DEP_4)
	v_fma_f64 v[171:172], v[34:35], v[2:3], -v[171:172]
	v_fma_f64 v[175:176], v[36:37], v[2:3], v[4:5]
	ds_load_b128 v[2:5], v1 offset:1456
	scratch_load_b128 v[34:37], off, off offset:640
	v_fma_f64 v[173:174], v[165:166], v[6:7], v[173:174]
	v_fma_f64 v[179:180], v[163:164], v[6:7], -v[8:9]
	ds_load_b128 v[6:9], v1 offset:1472
	scratch_load_b128 v[163:166], off, off offset:656
	s_wait_loadcnt_dscnt 0x901
	v_mul_f64_e32 v[177:178], v[2:3], v[12:13]
	v_mul_f64_e32 v[12:13], v[4:5], v[12:13]
	s_wait_loadcnt_dscnt 0x800
	v_mul_f64_e32 v[181:182], v[6:7], v[16:17]
	v_mul_f64_e32 v[16:17], v[8:9], v[16:17]
	v_add_f64_e32 v[171:172], 0, v[171:172]
	v_add_f64_e32 v[175:176], 0, v[175:176]
	v_fma_f64 v[177:178], v[4:5], v[10:11], v[177:178]
	v_fma_f64 v[183:184], v[2:3], v[10:11], -v[12:13]
	ds_load_b128 v[2:5], v1 offset:1488
	scratch_load_b128 v[10:13], off, off offset:672
	v_add_f64_e32 v[171:172], v[171:172], v[179:180]
	v_add_f64_e32 v[173:174], v[175:176], v[173:174]
	v_fma_f64 v[179:180], v[8:9], v[14:15], v[181:182]
	v_fma_f64 v[181:182], v[6:7], v[14:15], -v[16:17]
	ds_load_b128 v[6:9], v1 offset:1504
	scratch_load_b128 v[14:17], off, off offset:688
	s_wait_loadcnt_dscnt 0x901
	v_mul_f64_e32 v[175:176], v[2:3], v[20:21]
	v_mul_f64_e32 v[20:21], v[4:5], v[20:21]
	v_add_f64_e32 v[171:172], v[171:172], v[183:184]
	v_add_f64_e32 v[173:174], v[173:174], v[177:178]
	s_wait_loadcnt_dscnt 0x800
	v_mul_f64_e32 v[177:178], v[6:7], v[24:25]
	v_mul_f64_e32 v[24:25], v[8:9], v[24:25]
	v_fma_f64 v[175:176], v[4:5], v[18:19], v[175:176]
	v_fma_f64 v[183:184], v[2:3], v[18:19], -v[20:21]
	ds_load_b128 v[2:5], v1 offset:1520
	scratch_load_b128 v[18:21], off, off offset:704
	v_add_f64_e32 v[171:172], v[171:172], v[181:182]
	v_add_f64_e32 v[173:174], v[173:174], v[179:180]
	v_fma_f64 v[177:178], v[8:9], v[22:23], v[177:178]
	v_fma_f64 v[181:182], v[6:7], v[22:23], -v[24:25]
	ds_load_b128 v[6:9], v1 offset:1536
	s_wait_loadcnt_dscnt 0x801
	v_mul_f64_e32 v[179:180], v[2:3], v[28:29]
	v_mul_f64_e32 v[28:29], v[4:5], v[28:29]
	scratch_load_b128 v[22:25], off, off offset:720
	v_add_f64_e32 v[171:172], v[171:172], v[183:184]
	v_add_f64_e32 v[173:174], v[173:174], v[175:176]
	s_wait_loadcnt_dscnt 0x800
	v_mul_f64_e32 v[175:176], v[6:7], v[32:33]
	v_mul_f64_e32 v[32:33], v[8:9], v[32:33]
	v_fma_f64 v[179:180], v[4:5], v[26:27], v[179:180]
	v_fma_f64 v[183:184], v[2:3], v[26:27], -v[28:29]
	ds_load_b128 v[2:5], v1 offset:1552
	scratch_load_b128 v[26:29], off, off offset:736
	v_add_f64_e32 v[171:172], v[171:172], v[181:182]
	v_add_f64_e32 v[173:174], v[173:174], v[177:178]
	v_fma_f64 v[175:176], v[8:9], v[30:31], v[175:176]
	v_fma_f64 v[181:182], v[6:7], v[30:31], -v[32:33]
	ds_load_b128 v[6:9], v1 offset:1568
	s_wait_loadcnt_dscnt 0x801
	v_mul_f64_e32 v[177:178], v[2:3], v[40:41]
	v_mul_f64_e32 v[40:41], v[4:5], v[40:41]
	scratch_load_b128 v[30:33], off, off offset:752
	v_add_f64_e32 v[171:172], v[171:172], v[183:184]
	v_add_f64_e32 v[173:174], v[173:174], v[179:180]
	s_wait_loadcnt_dscnt 0x800
	v_mul_f64_e32 v[179:180], v[6:7], v[169:170]
	v_mul_f64_e32 v[169:170], v[8:9], v[169:170]
	v_fma_f64 v[177:178], v[4:5], v[38:39], v[177:178]
	v_fma_f64 v[183:184], v[2:3], v[38:39], -v[40:41]
	ds_load_b128 v[2:5], v1 offset:1584
	scratch_load_b128 v[38:41], off, off offset:768
	v_add_f64_e32 v[171:172], v[171:172], v[181:182]
	v_add_f64_e32 v[173:174], v[173:174], v[175:176]
	v_fma_f64 v[179:180], v[8:9], v[167:168], v[179:180]
	v_fma_f64 v[181:182], v[6:7], v[167:168], -v[169:170]
	ds_load_b128 v[6:9], v1 offset:1600
	scratch_load_b128 v[167:170], off, off offset:784
	s_wait_loadcnt_dscnt 0x901
	v_mul_f64_e32 v[175:176], v[2:3], v[36:37]
	v_mul_f64_e32 v[36:37], v[4:5], v[36:37]
	v_add_f64_e32 v[171:172], v[171:172], v[183:184]
	v_add_f64_e32 v[173:174], v[173:174], v[177:178]
	s_wait_loadcnt_dscnt 0x800
	v_mul_f64_e32 v[177:178], v[6:7], v[165:166]
	v_mul_f64_e32 v[165:166], v[8:9], v[165:166]
	v_fma_f64 v[175:176], v[4:5], v[34:35], v[175:176]
	v_fma_f64 v[183:184], v[2:3], v[34:35], -v[36:37]
	ds_load_b128 v[2:5], v1 offset:1616
	scratch_load_b128 v[34:37], off, off offset:800
	v_add_f64_e32 v[171:172], v[171:172], v[181:182]
	v_add_f64_e32 v[173:174], v[173:174], v[179:180]
	v_fma_f64 v[177:178], v[8:9], v[163:164], v[177:178]
	v_fma_f64 v[181:182], v[6:7], v[163:164], -v[165:166]
	ds_load_b128 v[6:9], v1 offset:1632
	s_wait_loadcnt_dscnt 0x801
	v_mul_f64_e32 v[179:180], v[2:3], v[12:13]
	v_mul_f64_e32 v[12:13], v[4:5], v[12:13]
	scratch_load_b128 v[163:166], off, off offset:816
	v_add_f64_e32 v[171:172], v[171:172], v[183:184]
	v_add_f64_e32 v[173:174], v[173:174], v[175:176]
	s_wait_loadcnt_dscnt 0x800
	v_mul_f64_e32 v[175:176], v[6:7], v[16:17]
	v_mul_f64_e32 v[16:17], v[8:9], v[16:17]
	v_fma_f64 v[179:180], v[4:5], v[10:11], v[179:180]
	v_fma_f64 v[183:184], v[2:3], v[10:11], -v[12:13]
	ds_load_b128 v[2:5], v1 offset:1648
	scratch_load_b128 v[10:13], off, off offset:832
	v_add_f64_e32 v[171:172], v[171:172], v[181:182]
	v_add_f64_e32 v[173:174], v[173:174], v[177:178]
	v_fma_f64 v[175:176], v[8:9], v[14:15], v[175:176]
	v_fma_f64 v[181:182], v[6:7], v[14:15], -v[16:17]
	ds_load_b128 v[6:9], v1 offset:1664
	s_wait_loadcnt_dscnt 0x801
	v_mul_f64_e32 v[177:178], v[2:3], v[20:21]
	v_mul_f64_e32 v[20:21], v[4:5], v[20:21]
	scratch_load_b128 v[14:17], off, off offset:848
	;; [unrolled: 18-line block ×5, first 2 shown]
	v_add_f64_e32 v[171:172], v[171:172], v[183:184]
	v_add_f64_e32 v[173:174], v[173:174], v[179:180]
	s_wait_loadcnt_dscnt 0x800
	v_mul_f64_e32 v[179:180], v[6:7], v[165:166]
	v_mul_f64_e32 v[165:166], v[8:9], v[165:166]
	v_fma_f64 v[177:178], v[4:5], v[34:35], v[177:178]
	v_fma_f64 v[183:184], v[2:3], v[34:35], -v[36:37]
	ds_load_b128 v[2:5], v1 offset:1776
	scratch_load_b128 v[34:37], off, off offset:960
	v_add_f64_e32 v[171:172], v[171:172], v[181:182]
	v_add_f64_e32 v[173:174], v[173:174], v[175:176]
	v_fma_f64 v[179:180], v[8:9], v[163:164], v[179:180]
	v_fma_f64 v[163:164], v[6:7], v[163:164], -v[165:166]
	ds_load_b128 v[6:9], v1 offset:1792
	s_wait_loadcnt_dscnt 0x801
	v_mul_f64_e32 v[175:176], v[2:3], v[12:13]
	v_mul_f64_e32 v[12:13], v[4:5], v[12:13]
	v_add_f64_e32 v[165:166], v[171:172], v[183:184]
	v_add_f64_e32 v[171:172], v[173:174], v[177:178]
	s_wait_loadcnt_dscnt 0x700
	v_mul_f64_e32 v[173:174], v[6:7], v[16:17]
	v_mul_f64_e32 v[16:17], v[8:9], v[16:17]
	v_fma_f64 v[175:176], v[4:5], v[10:11], v[175:176]
	v_fma_f64 v[10:11], v[2:3], v[10:11], -v[12:13]
	ds_load_b128 v[2:5], v1 offset:1808
	v_add_f64_e32 v[12:13], v[165:166], v[163:164]
	v_add_f64_e32 v[163:164], v[171:172], v[179:180]
	v_fma_f64 v[171:172], v[8:9], v[14:15], v[173:174]
	v_fma_f64 v[14:15], v[6:7], v[14:15], -v[16:17]
	ds_load_b128 v[6:9], v1 offset:1824
	s_wait_loadcnt_dscnt 0x500
	v_mul_f64_e32 v[173:174], v[6:7], v[24:25]
	v_mul_f64_e32 v[24:25], v[8:9], v[24:25]
	v_add_f64_e32 v[16:17], v[12:13], v[10:11]
	v_add_f64_e32 v[163:164], v[163:164], v[175:176]
	scratch_load_b128 v[10:13], off, off offset:464
	v_mul_f64_e32 v[165:166], v[2:3], v[20:21]
	v_mul_f64_e32 v[20:21], v[4:5], v[20:21]
	v_add_f64_e32 v[14:15], v[16:17], v[14:15]
	v_add_f64_e32 v[16:17], v[163:164], v[171:172]
	v_fma_f64 v[163:164], v[8:9], v[22:23], v[173:174]
	v_fma_f64 v[165:166], v[4:5], v[18:19], v[165:166]
	v_fma_f64 v[18:19], v[2:3], v[18:19], -v[20:21]
	ds_load_b128 v[2:5], v1 offset:1840
	v_fma_f64 v[22:23], v[6:7], v[22:23], -v[24:25]
	ds_load_b128 v[6:9], v1 offset:1856
	s_wait_loadcnt_dscnt 0x501
	v_mul_f64_e32 v[20:21], v[2:3], v[28:29]
	v_mul_f64_e32 v[28:29], v[4:5], v[28:29]
	s_wait_loadcnt_dscnt 0x400
	v_mul_f64_e32 v[24:25], v[8:9], v[32:33]
	v_add_f64_e32 v[16:17], v[16:17], v[165:166]
	v_add_f64_e32 v[14:15], v[14:15], v[18:19]
	v_mul_f64_e32 v[18:19], v[6:7], v[32:33]
	v_fma_f64 v[20:21], v[4:5], v[26:27], v[20:21]
	v_fma_f64 v[26:27], v[2:3], v[26:27], -v[28:29]
	ds_load_b128 v[2:5], v1 offset:1872
	v_fma_f64 v[24:25], v[6:7], v[30:31], -v[24:25]
	v_add_f64_e32 v[16:17], v[16:17], v[163:164]
	v_add_f64_e32 v[14:15], v[14:15], v[22:23]
	v_fma_f64 v[18:19], v[8:9], v[30:31], v[18:19]
	ds_load_b128 v[6:9], v1 offset:1888
	s_wait_loadcnt_dscnt 0x301
	v_mul_f64_e32 v[22:23], v[2:3], v[40:41]
	v_mul_f64_e32 v[28:29], v[4:5], v[40:41]
	v_add_f64_e32 v[16:17], v[16:17], v[20:21]
	v_add_f64_e32 v[14:15], v[14:15], v[26:27]
	s_wait_loadcnt_dscnt 0x200
	v_mul_f64_e32 v[20:21], v[6:7], v[169:170]
	v_mul_f64_e32 v[26:27], v[8:9], v[169:170]
	v_fma_f64 v[22:23], v[4:5], v[38:39], v[22:23]
	v_fma_f64 v[28:29], v[2:3], v[38:39], -v[28:29]
	ds_load_b128 v[2:5], v1 offset:1904
	v_add_f64_e32 v[16:17], v[16:17], v[18:19]
	v_add_f64_e32 v[14:15], v[14:15], v[24:25]
	s_wait_loadcnt_dscnt 0x100
	v_mul_f64_e32 v[18:19], v[2:3], v[36:37]
	v_mul_f64_e32 v[24:25], v[4:5], v[36:37]
	v_fma_f64 v[8:9], v[8:9], v[167:168], v[20:21]
	v_fma_f64 v[6:7], v[6:7], v[167:168], -v[26:27]
	v_add_f64_e32 v[16:17], v[16:17], v[22:23]
	v_add_f64_e32 v[14:15], v[14:15], v[28:29]
	v_fma_f64 v[4:5], v[4:5], v[34:35], v[18:19]
	v_fma_f64 v[2:3], v[2:3], v[34:35], -v[24:25]
	s_delay_alu instid0(VALU_DEP_4) | instskip(NEXT) | instid1(VALU_DEP_4)
	v_add_f64_e32 v[8:9], v[16:17], v[8:9]
	v_add_f64_e32 v[6:7], v[14:15], v[6:7]
	s_delay_alu instid0(VALU_DEP_2) | instskip(NEXT) | instid1(VALU_DEP_2)
	v_add_f64_e32 v[4:5], v[8:9], v[4:5]
	v_add_f64_e32 v[2:3], v[6:7], v[2:3]
	s_wait_loadcnt 0x0
	s_delay_alu instid0(VALU_DEP_2) | instskip(NEXT) | instid1(VALU_DEP_2)
	v_add_f64_e64 v[4:5], v[12:13], -v[4:5]
	v_add_f64_e64 v[2:3], v[10:11], -v[2:3]
	scratch_store_b128 off, v[2:5], off offset:464
	v_cmpx_lt_u32_e32 27, v0
	s_cbranch_execz .LBB123_319
; %bb.318:
	scratch_load_b128 v[5:8], off, s46
	v_dual_mov_b32 v2, v1 :: v_dual_mov_b32 v3, v1
	v_mov_b32_e32 v4, v1
	scratch_store_b128 off, v[1:4], off offset:448
	s_wait_loadcnt 0x0
	ds_store_b128 v162, v[5:8]
.LBB123_319:
	s_wait_alu 0xfffe
	s_or_b32 exec_lo, exec_lo, s0
	s_wait_storecnt_dscnt 0x0
	s_barrier_signal -1
	s_barrier_wait -1
	global_inv scope:SCOPE_SE
	s_clause 0x7
	scratch_load_b128 v[2:5], off, off offset:464
	scratch_load_b128 v[6:9], off, off offset:480
	;; [unrolled: 1-line block ×8, first 2 shown]
	ds_load_b128 v[34:37], v1 offset:1408
	ds_load_b128 v[163:166], v1 offset:1424
	s_clause 0x1
	scratch_load_b128 v[38:41], off, off offset:592
	scratch_load_b128 v[167:170], off, off offset:608
	s_mov_b32 s0, exec_lo
	s_wait_loadcnt_dscnt 0x901
	v_mul_f64_e32 v[171:172], v[36:37], v[4:5]
	v_mul_f64_e32 v[4:5], v[34:35], v[4:5]
	s_wait_loadcnt_dscnt 0x800
	v_mul_f64_e32 v[173:174], v[163:164], v[8:9]
	v_mul_f64_e32 v[8:9], v[165:166], v[8:9]
	s_delay_alu instid0(VALU_DEP_4) | instskip(NEXT) | instid1(VALU_DEP_4)
	v_fma_f64 v[171:172], v[34:35], v[2:3], -v[171:172]
	v_fma_f64 v[175:176], v[36:37], v[2:3], v[4:5]
	ds_load_b128 v[2:5], v1 offset:1440
	scratch_load_b128 v[34:37], off, off offset:624
	v_fma_f64 v[173:174], v[165:166], v[6:7], v[173:174]
	v_fma_f64 v[179:180], v[163:164], v[6:7], -v[8:9]
	ds_load_b128 v[6:9], v1 offset:1456
	scratch_load_b128 v[163:166], off, off offset:640
	s_wait_loadcnt_dscnt 0x901
	v_mul_f64_e32 v[177:178], v[2:3], v[12:13]
	v_mul_f64_e32 v[12:13], v[4:5], v[12:13]
	s_wait_loadcnt_dscnt 0x800
	v_mul_f64_e32 v[181:182], v[6:7], v[16:17]
	v_mul_f64_e32 v[16:17], v[8:9], v[16:17]
	v_add_f64_e32 v[171:172], 0, v[171:172]
	v_add_f64_e32 v[175:176], 0, v[175:176]
	v_fma_f64 v[177:178], v[4:5], v[10:11], v[177:178]
	v_fma_f64 v[183:184], v[2:3], v[10:11], -v[12:13]
	ds_load_b128 v[2:5], v1 offset:1472
	scratch_load_b128 v[10:13], off, off offset:656
	v_add_f64_e32 v[171:172], v[171:172], v[179:180]
	v_add_f64_e32 v[173:174], v[175:176], v[173:174]
	v_fma_f64 v[179:180], v[8:9], v[14:15], v[181:182]
	v_fma_f64 v[181:182], v[6:7], v[14:15], -v[16:17]
	ds_load_b128 v[6:9], v1 offset:1488
	scratch_load_b128 v[14:17], off, off offset:672
	s_wait_loadcnt_dscnt 0x901
	v_mul_f64_e32 v[175:176], v[2:3], v[20:21]
	v_mul_f64_e32 v[20:21], v[4:5], v[20:21]
	v_add_f64_e32 v[171:172], v[171:172], v[183:184]
	v_add_f64_e32 v[173:174], v[173:174], v[177:178]
	s_wait_loadcnt_dscnt 0x800
	v_mul_f64_e32 v[177:178], v[6:7], v[24:25]
	v_mul_f64_e32 v[24:25], v[8:9], v[24:25]
	v_fma_f64 v[175:176], v[4:5], v[18:19], v[175:176]
	v_fma_f64 v[183:184], v[2:3], v[18:19], -v[20:21]
	ds_load_b128 v[2:5], v1 offset:1504
	scratch_load_b128 v[18:21], off, off offset:688
	v_add_f64_e32 v[171:172], v[171:172], v[181:182]
	v_add_f64_e32 v[173:174], v[173:174], v[179:180]
	v_fma_f64 v[177:178], v[8:9], v[22:23], v[177:178]
	v_fma_f64 v[181:182], v[6:7], v[22:23], -v[24:25]
	ds_load_b128 v[6:9], v1 offset:1520
	s_wait_loadcnt_dscnt 0x801
	v_mul_f64_e32 v[179:180], v[2:3], v[28:29]
	v_mul_f64_e32 v[28:29], v[4:5], v[28:29]
	scratch_load_b128 v[22:25], off, off offset:704
	v_add_f64_e32 v[171:172], v[171:172], v[183:184]
	v_add_f64_e32 v[173:174], v[173:174], v[175:176]
	s_wait_loadcnt_dscnt 0x800
	v_mul_f64_e32 v[175:176], v[6:7], v[32:33]
	v_mul_f64_e32 v[32:33], v[8:9], v[32:33]
	v_fma_f64 v[179:180], v[4:5], v[26:27], v[179:180]
	v_fma_f64 v[183:184], v[2:3], v[26:27], -v[28:29]
	ds_load_b128 v[2:5], v1 offset:1536
	scratch_load_b128 v[26:29], off, off offset:720
	v_add_f64_e32 v[171:172], v[171:172], v[181:182]
	v_add_f64_e32 v[173:174], v[173:174], v[177:178]
	v_fma_f64 v[175:176], v[8:9], v[30:31], v[175:176]
	v_fma_f64 v[181:182], v[6:7], v[30:31], -v[32:33]
	ds_load_b128 v[6:9], v1 offset:1552
	s_wait_loadcnt_dscnt 0x801
	v_mul_f64_e32 v[177:178], v[2:3], v[40:41]
	v_mul_f64_e32 v[40:41], v[4:5], v[40:41]
	scratch_load_b128 v[30:33], off, off offset:736
	v_add_f64_e32 v[171:172], v[171:172], v[183:184]
	v_add_f64_e32 v[173:174], v[173:174], v[179:180]
	s_wait_loadcnt_dscnt 0x800
	v_mul_f64_e32 v[179:180], v[6:7], v[169:170]
	v_mul_f64_e32 v[169:170], v[8:9], v[169:170]
	v_fma_f64 v[177:178], v[4:5], v[38:39], v[177:178]
	v_fma_f64 v[183:184], v[2:3], v[38:39], -v[40:41]
	ds_load_b128 v[2:5], v1 offset:1568
	scratch_load_b128 v[38:41], off, off offset:752
	v_add_f64_e32 v[171:172], v[171:172], v[181:182]
	v_add_f64_e32 v[173:174], v[173:174], v[175:176]
	v_fma_f64 v[179:180], v[8:9], v[167:168], v[179:180]
	v_fma_f64 v[181:182], v[6:7], v[167:168], -v[169:170]
	ds_load_b128 v[6:9], v1 offset:1584
	scratch_load_b128 v[167:170], off, off offset:768
	s_wait_loadcnt_dscnt 0x901
	v_mul_f64_e32 v[175:176], v[2:3], v[36:37]
	v_mul_f64_e32 v[36:37], v[4:5], v[36:37]
	v_add_f64_e32 v[171:172], v[171:172], v[183:184]
	v_add_f64_e32 v[173:174], v[173:174], v[177:178]
	s_wait_loadcnt_dscnt 0x800
	v_mul_f64_e32 v[177:178], v[6:7], v[165:166]
	v_mul_f64_e32 v[165:166], v[8:9], v[165:166]
	v_fma_f64 v[175:176], v[4:5], v[34:35], v[175:176]
	v_fma_f64 v[183:184], v[2:3], v[34:35], -v[36:37]
	ds_load_b128 v[2:5], v1 offset:1600
	scratch_load_b128 v[34:37], off, off offset:784
	v_add_f64_e32 v[171:172], v[171:172], v[181:182]
	v_add_f64_e32 v[173:174], v[173:174], v[179:180]
	v_fma_f64 v[177:178], v[8:9], v[163:164], v[177:178]
	v_fma_f64 v[181:182], v[6:7], v[163:164], -v[165:166]
	ds_load_b128 v[6:9], v1 offset:1616
	s_wait_loadcnt_dscnt 0x801
	v_mul_f64_e32 v[179:180], v[2:3], v[12:13]
	v_mul_f64_e32 v[12:13], v[4:5], v[12:13]
	scratch_load_b128 v[163:166], off, off offset:800
	v_add_f64_e32 v[171:172], v[171:172], v[183:184]
	v_add_f64_e32 v[173:174], v[173:174], v[175:176]
	s_wait_loadcnt_dscnt 0x800
	v_mul_f64_e32 v[175:176], v[6:7], v[16:17]
	v_mul_f64_e32 v[16:17], v[8:9], v[16:17]
	v_fma_f64 v[179:180], v[4:5], v[10:11], v[179:180]
	v_fma_f64 v[183:184], v[2:3], v[10:11], -v[12:13]
	ds_load_b128 v[2:5], v1 offset:1632
	scratch_load_b128 v[10:13], off, off offset:816
	v_add_f64_e32 v[171:172], v[171:172], v[181:182]
	v_add_f64_e32 v[173:174], v[173:174], v[177:178]
	v_fma_f64 v[175:176], v[8:9], v[14:15], v[175:176]
	v_fma_f64 v[181:182], v[6:7], v[14:15], -v[16:17]
	ds_load_b128 v[6:9], v1 offset:1648
	s_wait_loadcnt_dscnt 0x801
	v_mul_f64_e32 v[177:178], v[2:3], v[20:21]
	v_mul_f64_e32 v[20:21], v[4:5], v[20:21]
	scratch_load_b128 v[14:17], off, off offset:832
	v_add_f64_e32 v[171:172], v[171:172], v[183:184]
	v_add_f64_e32 v[173:174], v[173:174], v[179:180]
	s_wait_loadcnt_dscnt 0x800
	v_mul_f64_e32 v[179:180], v[6:7], v[24:25]
	v_mul_f64_e32 v[24:25], v[8:9], v[24:25]
	v_fma_f64 v[177:178], v[4:5], v[18:19], v[177:178]
	v_fma_f64 v[183:184], v[2:3], v[18:19], -v[20:21]
	ds_load_b128 v[2:5], v1 offset:1664
	scratch_load_b128 v[18:21], off, off offset:848
	v_add_f64_e32 v[171:172], v[171:172], v[181:182]
	v_add_f64_e32 v[173:174], v[173:174], v[175:176]
	v_fma_f64 v[179:180], v[8:9], v[22:23], v[179:180]
	v_fma_f64 v[181:182], v[6:7], v[22:23], -v[24:25]
	ds_load_b128 v[6:9], v1 offset:1680
	s_wait_loadcnt_dscnt 0x801
	v_mul_f64_e32 v[175:176], v[2:3], v[28:29]
	v_mul_f64_e32 v[28:29], v[4:5], v[28:29]
	scratch_load_b128 v[22:25], off, off offset:864
	v_add_f64_e32 v[171:172], v[171:172], v[183:184]
	v_add_f64_e32 v[173:174], v[173:174], v[177:178]
	s_wait_loadcnt_dscnt 0x800
	v_mul_f64_e32 v[177:178], v[6:7], v[32:33]
	v_mul_f64_e32 v[32:33], v[8:9], v[32:33]
	v_fma_f64 v[175:176], v[4:5], v[26:27], v[175:176]
	v_fma_f64 v[183:184], v[2:3], v[26:27], -v[28:29]
	ds_load_b128 v[2:5], v1 offset:1696
	scratch_load_b128 v[26:29], off, off offset:880
	v_add_f64_e32 v[171:172], v[171:172], v[181:182]
	v_add_f64_e32 v[173:174], v[173:174], v[179:180]
	v_fma_f64 v[177:178], v[8:9], v[30:31], v[177:178]
	v_fma_f64 v[181:182], v[6:7], v[30:31], -v[32:33]
	ds_load_b128 v[6:9], v1 offset:1712
	s_wait_loadcnt_dscnt 0x801
	v_mul_f64_e32 v[179:180], v[2:3], v[40:41]
	v_mul_f64_e32 v[40:41], v[4:5], v[40:41]
	scratch_load_b128 v[30:33], off, off offset:896
	v_add_f64_e32 v[171:172], v[171:172], v[183:184]
	v_add_f64_e32 v[173:174], v[173:174], v[175:176]
	s_wait_loadcnt_dscnt 0x800
	v_mul_f64_e32 v[175:176], v[6:7], v[169:170]
	v_mul_f64_e32 v[169:170], v[8:9], v[169:170]
	v_fma_f64 v[179:180], v[4:5], v[38:39], v[179:180]
	v_fma_f64 v[183:184], v[2:3], v[38:39], -v[40:41]
	ds_load_b128 v[2:5], v1 offset:1728
	scratch_load_b128 v[38:41], off, off offset:912
	v_add_f64_e32 v[171:172], v[171:172], v[181:182]
	v_add_f64_e32 v[173:174], v[173:174], v[177:178]
	v_fma_f64 v[175:176], v[8:9], v[167:168], v[175:176]
	v_fma_f64 v[181:182], v[6:7], v[167:168], -v[169:170]
	ds_load_b128 v[6:9], v1 offset:1744
	s_wait_loadcnt_dscnt 0x801
	v_mul_f64_e32 v[177:178], v[2:3], v[36:37]
	v_mul_f64_e32 v[36:37], v[4:5], v[36:37]
	scratch_load_b128 v[167:170], off, off offset:928
	v_add_f64_e32 v[171:172], v[171:172], v[183:184]
	v_add_f64_e32 v[173:174], v[173:174], v[179:180]
	s_wait_loadcnt_dscnt 0x800
	v_mul_f64_e32 v[179:180], v[6:7], v[165:166]
	v_mul_f64_e32 v[165:166], v[8:9], v[165:166]
	v_fma_f64 v[177:178], v[4:5], v[34:35], v[177:178]
	v_fma_f64 v[183:184], v[2:3], v[34:35], -v[36:37]
	ds_load_b128 v[2:5], v1 offset:1760
	scratch_load_b128 v[34:37], off, off offset:944
	v_add_f64_e32 v[171:172], v[171:172], v[181:182]
	v_add_f64_e32 v[173:174], v[173:174], v[175:176]
	v_fma_f64 v[179:180], v[8:9], v[163:164], v[179:180]
	v_fma_f64 v[181:182], v[6:7], v[163:164], -v[165:166]
	ds_load_b128 v[6:9], v1 offset:1776
	s_wait_loadcnt_dscnt 0x801
	v_mul_f64_e32 v[175:176], v[2:3], v[12:13]
	v_mul_f64_e32 v[12:13], v[4:5], v[12:13]
	scratch_load_b128 v[163:166], off, off offset:960
	v_add_f64_e32 v[171:172], v[171:172], v[183:184]
	v_add_f64_e32 v[173:174], v[173:174], v[177:178]
	s_wait_loadcnt_dscnt 0x800
	v_mul_f64_e32 v[177:178], v[6:7], v[16:17]
	v_mul_f64_e32 v[16:17], v[8:9], v[16:17]
	v_fma_f64 v[175:176], v[4:5], v[10:11], v[175:176]
	v_fma_f64 v[10:11], v[2:3], v[10:11], -v[12:13]
	ds_load_b128 v[2:5], v1 offset:1792
	v_add_f64_e32 v[12:13], v[171:172], v[181:182]
	v_add_f64_e32 v[171:172], v[173:174], v[179:180]
	v_fma_f64 v[177:178], v[8:9], v[14:15], v[177:178]
	v_fma_f64 v[14:15], v[6:7], v[14:15], -v[16:17]
	ds_load_b128 v[6:9], v1 offset:1808
	s_wait_loadcnt_dscnt 0x701
	v_mul_f64_e32 v[173:174], v[2:3], v[20:21]
	v_mul_f64_e32 v[20:21], v[4:5], v[20:21]
	v_add_f64_e32 v[10:11], v[12:13], v[10:11]
	v_add_f64_e32 v[12:13], v[171:172], v[175:176]
	s_delay_alu instid0(VALU_DEP_4) | instskip(NEXT) | instid1(VALU_DEP_4)
	v_fma_f64 v[171:172], v[4:5], v[18:19], v[173:174]
	v_fma_f64 v[18:19], v[2:3], v[18:19], -v[20:21]
	ds_load_b128 v[2:5], v1 offset:1824
	v_add_f64_e32 v[14:15], v[10:11], v[14:15]
	v_add_f64_e32 v[20:21], v[12:13], v[177:178]
	scratch_load_b128 v[10:13], off, off offset:448
	s_wait_loadcnt_dscnt 0x701
	v_mul_f64_e32 v[16:17], v[6:7], v[24:25]
	v_mul_f64_e32 v[24:25], v[8:9], v[24:25]
	v_add_f64_e32 v[14:15], v[14:15], v[18:19]
	v_add_f64_e32 v[18:19], v[20:21], v[171:172]
	s_delay_alu instid0(VALU_DEP_4) | instskip(NEXT) | instid1(VALU_DEP_4)
	v_fma_f64 v[16:17], v[8:9], v[22:23], v[16:17]
	v_fma_f64 v[22:23], v[6:7], v[22:23], -v[24:25]
	ds_load_b128 v[6:9], v1 offset:1840
	s_wait_loadcnt_dscnt 0x601
	v_mul_f64_e32 v[173:174], v[2:3], v[28:29]
	v_mul_f64_e32 v[28:29], v[4:5], v[28:29]
	s_wait_loadcnt_dscnt 0x500
	v_mul_f64_e32 v[20:21], v[6:7], v[32:33]
	v_mul_f64_e32 v[24:25], v[8:9], v[32:33]
	v_add_f64_e32 v[16:17], v[18:19], v[16:17]
	v_add_f64_e32 v[14:15], v[14:15], v[22:23]
	v_fma_f64 v[32:33], v[4:5], v[26:27], v[173:174]
	v_fma_f64 v[26:27], v[2:3], v[26:27], -v[28:29]
	ds_load_b128 v[2:5], v1 offset:1856
	v_fma_f64 v[20:21], v[8:9], v[30:31], v[20:21]
	v_fma_f64 v[24:25], v[6:7], v[30:31], -v[24:25]
	ds_load_b128 v[6:9], v1 offset:1872
	s_wait_loadcnt_dscnt 0x401
	v_mul_f64_e32 v[18:19], v[2:3], v[40:41]
	v_mul_f64_e32 v[22:23], v[4:5], v[40:41]
	v_add_f64_e32 v[16:17], v[16:17], v[32:33]
	v_add_f64_e32 v[14:15], v[14:15], v[26:27]
	s_wait_loadcnt_dscnt 0x300
	v_mul_f64_e32 v[26:27], v[6:7], v[169:170]
	v_mul_f64_e32 v[28:29], v[8:9], v[169:170]
	v_fma_f64 v[18:19], v[4:5], v[38:39], v[18:19]
	v_fma_f64 v[22:23], v[2:3], v[38:39], -v[22:23]
	ds_load_b128 v[2:5], v1 offset:1888
	v_add_f64_e32 v[16:17], v[16:17], v[20:21]
	v_add_f64_e32 v[14:15], v[14:15], v[24:25]
	v_fma_f64 v[26:27], v[8:9], v[167:168], v[26:27]
	v_fma_f64 v[28:29], v[6:7], v[167:168], -v[28:29]
	ds_load_b128 v[6:9], v1 offset:1904
	s_wait_loadcnt_dscnt 0x201
	v_mul_f64_e32 v[20:21], v[2:3], v[36:37]
	v_mul_f64_e32 v[24:25], v[4:5], v[36:37]
	v_add_f64_e32 v[16:17], v[16:17], v[18:19]
	v_add_f64_e32 v[14:15], v[14:15], v[22:23]
	s_wait_loadcnt_dscnt 0x100
	v_mul_f64_e32 v[18:19], v[6:7], v[165:166]
	v_mul_f64_e32 v[22:23], v[8:9], v[165:166]
	v_fma_f64 v[4:5], v[4:5], v[34:35], v[20:21]
	v_fma_f64 v[1:2], v[2:3], v[34:35], -v[24:25]
	v_add_f64_e32 v[16:17], v[16:17], v[26:27]
	v_add_f64_e32 v[14:15], v[14:15], v[28:29]
	v_fma_f64 v[8:9], v[8:9], v[163:164], v[18:19]
	v_fma_f64 v[6:7], v[6:7], v[163:164], -v[22:23]
	s_delay_alu instid0(VALU_DEP_4) | instskip(NEXT) | instid1(VALU_DEP_4)
	v_add_f64_e32 v[3:4], v[16:17], v[4:5]
	v_add_f64_e32 v[1:2], v[14:15], v[1:2]
	s_delay_alu instid0(VALU_DEP_2) | instskip(NEXT) | instid1(VALU_DEP_2)
	v_add_f64_e32 v[3:4], v[3:4], v[8:9]
	v_add_f64_e32 v[1:2], v[1:2], v[6:7]
	s_wait_loadcnt 0x0
	s_delay_alu instid0(VALU_DEP_2) | instskip(NEXT) | instid1(VALU_DEP_2)
	v_add_f64_e64 v[3:4], v[12:13], -v[3:4]
	v_add_f64_e64 v[1:2], v[10:11], -v[1:2]
	scratch_store_b128 off, v[1:4], off offset:448
	v_cmpx_lt_u32_e32 26, v0
	s_cbranch_execz .LBB123_321
; %bb.320:
	scratch_load_b128 v[1:4], off, s47
	v_mov_b32_e32 v5, 0
	s_delay_alu instid0(VALU_DEP_1)
	v_dual_mov_b32 v6, v5 :: v_dual_mov_b32 v7, v5
	v_mov_b32_e32 v8, v5
	scratch_store_b128 off, v[5:8], off offset:432
	s_wait_loadcnt 0x0
	ds_store_b128 v162, v[1:4]
.LBB123_321:
	s_wait_alu 0xfffe
	s_or_b32 exec_lo, exec_lo, s0
	s_wait_storecnt_dscnt 0x0
	s_barrier_signal -1
	s_barrier_wait -1
	global_inv scope:SCOPE_SE
	s_clause 0x7
	scratch_load_b128 v[2:5], off, off offset:448
	scratch_load_b128 v[6:9], off, off offset:464
	;; [unrolled: 1-line block ×8, first 2 shown]
	v_mov_b32_e32 v1, 0
	s_clause 0x1
	scratch_load_b128 v[38:41], off, off offset:576
	scratch_load_b128 v[167:170], off, off offset:592
	s_mov_b32 s0, exec_lo
	ds_load_b128 v[34:37], v1 offset:1392
	ds_load_b128 v[163:166], v1 offset:1408
	s_wait_loadcnt_dscnt 0x901
	v_mul_f64_e32 v[171:172], v[36:37], v[4:5]
	v_mul_f64_e32 v[4:5], v[34:35], v[4:5]
	s_wait_loadcnt_dscnt 0x800
	v_mul_f64_e32 v[173:174], v[163:164], v[8:9]
	v_mul_f64_e32 v[8:9], v[165:166], v[8:9]
	s_delay_alu instid0(VALU_DEP_4) | instskip(NEXT) | instid1(VALU_DEP_4)
	v_fma_f64 v[171:172], v[34:35], v[2:3], -v[171:172]
	v_fma_f64 v[175:176], v[36:37], v[2:3], v[4:5]
	ds_load_b128 v[2:5], v1 offset:1424
	scratch_load_b128 v[34:37], off, off offset:608
	v_fma_f64 v[173:174], v[165:166], v[6:7], v[173:174]
	v_fma_f64 v[179:180], v[163:164], v[6:7], -v[8:9]
	ds_load_b128 v[6:9], v1 offset:1440
	scratch_load_b128 v[163:166], off, off offset:624
	s_wait_loadcnt_dscnt 0x901
	v_mul_f64_e32 v[177:178], v[2:3], v[12:13]
	v_mul_f64_e32 v[12:13], v[4:5], v[12:13]
	s_wait_loadcnt_dscnt 0x800
	v_mul_f64_e32 v[181:182], v[6:7], v[16:17]
	v_mul_f64_e32 v[16:17], v[8:9], v[16:17]
	v_add_f64_e32 v[171:172], 0, v[171:172]
	v_add_f64_e32 v[175:176], 0, v[175:176]
	v_fma_f64 v[177:178], v[4:5], v[10:11], v[177:178]
	v_fma_f64 v[183:184], v[2:3], v[10:11], -v[12:13]
	ds_load_b128 v[2:5], v1 offset:1456
	scratch_load_b128 v[10:13], off, off offset:640
	v_add_f64_e32 v[171:172], v[171:172], v[179:180]
	v_add_f64_e32 v[173:174], v[175:176], v[173:174]
	v_fma_f64 v[179:180], v[8:9], v[14:15], v[181:182]
	v_fma_f64 v[181:182], v[6:7], v[14:15], -v[16:17]
	ds_load_b128 v[6:9], v1 offset:1472
	scratch_load_b128 v[14:17], off, off offset:656
	s_wait_loadcnt_dscnt 0x901
	v_mul_f64_e32 v[175:176], v[2:3], v[20:21]
	v_mul_f64_e32 v[20:21], v[4:5], v[20:21]
	v_add_f64_e32 v[171:172], v[171:172], v[183:184]
	v_add_f64_e32 v[173:174], v[173:174], v[177:178]
	s_wait_loadcnt_dscnt 0x800
	v_mul_f64_e32 v[177:178], v[6:7], v[24:25]
	v_mul_f64_e32 v[24:25], v[8:9], v[24:25]
	v_fma_f64 v[175:176], v[4:5], v[18:19], v[175:176]
	v_fma_f64 v[183:184], v[2:3], v[18:19], -v[20:21]
	ds_load_b128 v[2:5], v1 offset:1488
	scratch_load_b128 v[18:21], off, off offset:672
	v_add_f64_e32 v[171:172], v[171:172], v[181:182]
	v_add_f64_e32 v[173:174], v[173:174], v[179:180]
	v_fma_f64 v[177:178], v[8:9], v[22:23], v[177:178]
	v_fma_f64 v[181:182], v[6:7], v[22:23], -v[24:25]
	ds_load_b128 v[6:9], v1 offset:1504
	s_wait_loadcnt_dscnt 0x801
	v_mul_f64_e32 v[179:180], v[2:3], v[28:29]
	v_mul_f64_e32 v[28:29], v[4:5], v[28:29]
	scratch_load_b128 v[22:25], off, off offset:688
	v_add_f64_e32 v[171:172], v[171:172], v[183:184]
	v_add_f64_e32 v[173:174], v[173:174], v[175:176]
	s_wait_loadcnt_dscnt 0x800
	v_mul_f64_e32 v[175:176], v[6:7], v[32:33]
	v_mul_f64_e32 v[32:33], v[8:9], v[32:33]
	v_fma_f64 v[179:180], v[4:5], v[26:27], v[179:180]
	v_fma_f64 v[183:184], v[2:3], v[26:27], -v[28:29]
	ds_load_b128 v[2:5], v1 offset:1520
	scratch_load_b128 v[26:29], off, off offset:704
	v_add_f64_e32 v[171:172], v[171:172], v[181:182]
	v_add_f64_e32 v[173:174], v[173:174], v[177:178]
	v_fma_f64 v[175:176], v[8:9], v[30:31], v[175:176]
	v_fma_f64 v[181:182], v[6:7], v[30:31], -v[32:33]
	ds_load_b128 v[6:9], v1 offset:1536
	s_wait_loadcnt_dscnt 0x801
	v_mul_f64_e32 v[177:178], v[2:3], v[40:41]
	v_mul_f64_e32 v[40:41], v[4:5], v[40:41]
	scratch_load_b128 v[30:33], off, off offset:720
	v_add_f64_e32 v[171:172], v[171:172], v[183:184]
	v_add_f64_e32 v[173:174], v[173:174], v[179:180]
	s_wait_loadcnt_dscnt 0x800
	v_mul_f64_e32 v[179:180], v[6:7], v[169:170]
	v_mul_f64_e32 v[169:170], v[8:9], v[169:170]
	v_fma_f64 v[177:178], v[4:5], v[38:39], v[177:178]
	v_fma_f64 v[183:184], v[2:3], v[38:39], -v[40:41]
	ds_load_b128 v[2:5], v1 offset:1552
	scratch_load_b128 v[38:41], off, off offset:736
	v_add_f64_e32 v[171:172], v[171:172], v[181:182]
	v_add_f64_e32 v[173:174], v[173:174], v[175:176]
	v_fma_f64 v[179:180], v[8:9], v[167:168], v[179:180]
	v_fma_f64 v[181:182], v[6:7], v[167:168], -v[169:170]
	ds_load_b128 v[6:9], v1 offset:1568
	scratch_load_b128 v[167:170], off, off offset:752
	s_wait_loadcnt_dscnt 0x901
	v_mul_f64_e32 v[175:176], v[2:3], v[36:37]
	v_mul_f64_e32 v[36:37], v[4:5], v[36:37]
	v_add_f64_e32 v[171:172], v[171:172], v[183:184]
	v_add_f64_e32 v[173:174], v[173:174], v[177:178]
	s_wait_loadcnt_dscnt 0x800
	v_mul_f64_e32 v[177:178], v[6:7], v[165:166]
	v_mul_f64_e32 v[165:166], v[8:9], v[165:166]
	v_fma_f64 v[175:176], v[4:5], v[34:35], v[175:176]
	v_fma_f64 v[183:184], v[2:3], v[34:35], -v[36:37]
	ds_load_b128 v[2:5], v1 offset:1584
	scratch_load_b128 v[34:37], off, off offset:768
	v_add_f64_e32 v[171:172], v[171:172], v[181:182]
	v_add_f64_e32 v[173:174], v[173:174], v[179:180]
	v_fma_f64 v[177:178], v[8:9], v[163:164], v[177:178]
	v_fma_f64 v[181:182], v[6:7], v[163:164], -v[165:166]
	ds_load_b128 v[6:9], v1 offset:1600
	s_wait_loadcnt_dscnt 0x801
	v_mul_f64_e32 v[179:180], v[2:3], v[12:13]
	v_mul_f64_e32 v[12:13], v[4:5], v[12:13]
	scratch_load_b128 v[163:166], off, off offset:784
	v_add_f64_e32 v[171:172], v[171:172], v[183:184]
	v_add_f64_e32 v[173:174], v[173:174], v[175:176]
	s_wait_loadcnt_dscnt 0x800
	v_mul_f64_e32 v[175:176], v[6:7], v[16:17]
	v_mul_f64_e32 v[16:17], v[8:9], v[16:17]
	v_fma_f64 v[179:180], v[4:5], v[10:11], v[179:180]
	v_fma_f64 v[183:184], v[2:3], v[10:11], -v[12:13]
	ds_load_b128 v[2:5], v1 offset:1616
	scratch_load_b128 v[10:13], off, off offset:800
	v_add_f64_e32 v[171:172], v[171:172], v[181:182]
	v_add_f64_e32 v[173:174], v[173:174], v[177:178]
	v_fma_f64 v[175:176], v[8:9], v[14:15], v[175:176]
	v_fma_f64 v[181:182], v[6:7], v[14:15], -v[16:17]
	ds_load_b128 v[6:9], v1 offset:1632
	s_wait_loadcnt_dscnt 0x801
	v_mul_f64_e32 v[177:178], v[2:3], v[20:21]
	v_mul_f64_e32 v[20:21], v[4:5], v[20:21]
	scratch_load_b128 v[14:17], off, off offset:816
	;; [unrolled: 18-line block ×6, first 2 shown]
	v_add_f64_e32 v[171:172], v[171:172], v[183:184]
	v_add_f64_e32 v[173:174], v[173:174], v[177:178]
	s_wait_loadcnt_dscnt 0x800
	v_mul_f64_e32 v[177:178], v[6:7], v[16:17]
	v_mul_f64_e32 v[16:17], v[8:9], v[16:17]
	v_fma_f64 v[175:176], v[4:5], v[10:11], v[175:176]
	v_fma_f64 v[183:184], v[2:3], v[10:11], -v[12:13]
	ds_load_b128 v[2:5], v1 offset:1776
	scratch_load_b128 v[10:13], off, off offset:960
	v_add_f64_e32 v[171:172], v[171:172], v[181:182]
	v_add_f64_e32 v[173:174], v[173:174], v[179:180]
	v_fma_f64 v[177:178], v[8:9], v[14:15], v[177:178]
	v_fma_f64 v[14:15], v[6:7], v[14:15], -v[16:17]
	ds_load_b128 v[6:9], v1 offset:1792
	s_wait_loadcnt_dscnt 0x801
	v_mul_f64_e32 v[179:180], v[2:3], v[20:21]
	v_mul_f64_e32 v[20:21], v[4:5], v[20:21]
	v_add_f64_e32 v[16:17], v[171:172], v[183:184]
	v_add_f64_e32 v[171:172], v[173:174], v[175:176]
	s_wait_loadcnt_dscnt 0x700
	v_mul_f64_e32 v[173:174], v[6:7], v[24:25]
	v_mul_f64_e32 v[24:25], v[8:9], v[24:25]
	v_fma_f64 v[175:176], v[4:5], v[18:19], v[179:180]
	v_fma_f64 v[18:19], v[2:3], v[18:19], -v[20:21]
	ds_load_b128 v[2:5], v1 offset:1808
	v_add_f64_e32 v[14:15], v[16:17], v[14:15]
	v_add_f64_e32 v[16:17], v[171:172], v[177:178]
	v_fma_f64 v[171:172], v[8:9], v[22:23], v[173:174]
	v_fma_f64 v[22:23], v[6:7], v[22:23], -v[24:25]
	ds_load_b128 v[6:9], v1 offset:1824
	s_wait_loadcnt_dscnt 0x500
	v_mul_f64_e32 v[173:174], v[6:7], v[32:33]
	v_mul_f64_e32 v[32:33], v[8:9], v[32:33]
	v_add_f64_e32 v[18:19], v[14:15], v[18:19]
	v_add_f64_e32 v[24:25], v[16:17], v[175:176]
	scratch_load_b128 v[14:17], off, off offset:432
	v_mul_f64_e32 v[20:21], v[2:3], v[28:29]
	v_mul_f64_e32 v[28:29], v[4:5], v[28:29]
	v_add_f64_e32 v[18:19], v[18:19], v[22:23]
	v_add_f64_e32 v[22:23], v[24:25], v[171:172]
	s_delay_alu instid0(VALU_DEP_4) | instskip(NEXT) | instid1(VALU_DEP_4)
	v_fma_f64 v[20:21], v[4:5], v[26:27], v[20:21]
	v_fma_f64 v[26:27], v[2:3], v[26:27], -v[28:29]
	ds_load_b128 v[2:5], v1 offset:1840
	s_wait_loadcnt_dscnt 0x500
	v_mul_f64_e32 v[24:25], v[2:3], v[40:41]
	v_mul_f64_e32 v[28:29], v[4:5], v[40:41]
	v_fma_f64 v[40:41], v[8:9], v[30:31], v[173:174]
	v_fma_f64 v[30:31], v[6:7], v[30:31], -v[32:33]
	ds_load_b128 v[6:9], v1 offset:1856
	v_add_f64_e32 v[20:21], v[22:23], v[20:21]
	v_add_f64_e32 v[18:19], v[18:19], v[26:27]
	v_fma_f64 v[24:25], v[4:5], v[38:39], v[24:25]
	v_fma_f64 v[28:29], v[2:3], v[38:39], -v[28:29]
	ds_load_b128 v[2:5], v1 offset:1872
	s_wait_loadcnt_dscnt 0x401
	v_mul_f64_e32 v[22:23], v[6:7], v[169:170]
	v_mul_f64_e32 v[26:27], v[8:9], v[169:170]
	v_add_f64_e32 v[20:21], v[20:21], v[40:41]
	v_add_f64_e32 v[18:19], v[18:19], v[30:31]
	s_wait_loadcnt_dscnt 0x300
	v_mul_f64_e32 v[30:31], v[2:3], v[36:37]
	v_mul_f64_e32 v[32:33], v[4:5], v[36:37]
	v_fma_f64 v[22:23], v[8:9], v[167:168], v[22:23]
	v_fma_f64 v[26:27], v[6:7], v[167:168], -v[26:27]
	ds_load_b128 v[6:9], v1 offset:1888
	v_add_f64_e32 v[20:21], v[20:21], v[24:25]
	v_add_f64_e32 v[18:19], v[18:19], v[28:29]
	v_fma_f64 v[30:31], v[4:5], v[34:35], v[30:31]
	v_fma_f64 v[32:33], v[2:3], v[34:35], -v[32:33]
	ds_load_b128 v[2:5], v1 offset:1904
	s_wait_loadcnt_dscnt 0x201
	v_mul_f64_e32 v[24:25], v[6:7], v[165:166]
	v_mul_f64_e32 v[28:29], v[8:9], v[165:166]
	v_add_f64_e32 v[20:21], v[20:21], v[22:23]
	v_add_f64_e32 v[18:19], v[18:19], v[26:27]
	s_wait_loadcnt_dscnt 0x100
	v_mul_f64_e32 v[22:23], v[2:3], v[12:13]
	v_mul_f64_e32 v[12:13], v[4:5], v[12:13]
	v_fma_f64 v[8:9], v[8:9], v[163:164], v[24:25]
	v_fma_f64 v[6:7], v[6:7], v[163:164], -v[28:29]
	v_add_f64_e32 v[20:21], v[20:21], v[30:31]
	v_add_f64_e32 v[18:19], v[18:19], v[32:33]
	v_fma_f64 v[4:5], v[4:5], v[10:11], v[22:23]
	v_fma_f64 v[2:3], v[2:3], v[10:11], -v[12:13]
	s_delay_alu instid0(VALU_DEP_4) | instskip(NEXT) | instid1(VALU_DEP_4)
	v_add_f64_e32 v[8:9], v[20:21], v[8:9]
	v_add_f64_e32 v[6:7], v[18:19], v[6:7]
	s_delay_alu instid0(VALU_DEP_2) | instskip(NEXT) | instid1(VALU_DEP_2)
	v_add_f64_e32 v[4:5], v[8:9], v[4:5]
	v_add_f64_e32 v[2:3], v[6:7], v[2:3]
	s_wait_loadcnt 0x0
	s_delay_alu instid0(VALU_DEP_2) | instskip(NEXT) | instid1(VALU_DEP_2)
	v_add_f64_e64 v[4:5], v[16:17], -v[4:5]
	v_add_f64_e64 v[2:3], v[14:15], -v[2:3]
	scratch_store_b128 off, v[2:5], off offset:432
	v_cmpx_lt_u32_e32 25, v0
	s_cbranch_execz .LBB123_323
; %bb.322:
	scratch_load_b128 v[5:8], off, s48
	v_dual_mov_b32 v2, v1 :: v_dual_mov_b32 v3, v1
	v_mov_b32_e32 v4, v1
	scratch_store_b128 off, v[1:4], off offset:416
	s_wait_loadcnt 0x0
	ds_store_b128 v162, v[5:8]
.LBB123_323:
	s_wait_alu 0xfffe
	s_or_b32 exec_lo, exec_lo, s0
	s_wait_storecnt_dscnt 0x0
	s_barrier_signal -1
	s_barrier_wait -1
	global_inv scope:SCOPE_SE
	s_clause 0x7
	scratch_load_b128 v[2:5], off, off offset:432
	scratch_load_b128 v[6:9], off, off offset:448
	;; [unrolled: 1-line block ×8, first 2 shown]
	ds_load_b128 v[38:41], v1 offset:1376
	ds_load_b128 v[163:166], v1 offset:1392
	s_clause 0x1
	scratch_load_b128 v[34:37], off, off offset:560
	scratch_load_b128 v[167:170], off, off offset:576
	s_mov_b32 s0, exec_lo
	s_wait_loadcnt_dscnt 0x901
	v_mul_f64_e32 v[171:172], v[40:41], v[4:5]
	v_mul_f64_e32 v[4:5], v[38:39], v[4:5]
	s_wait_loadcnt_dscnt 0x800
	v_mul_f64_e32 v[173:174], v[163:164], v[8:9]
	v_mul_f64_e32 v[8:9], v[165:166], v[8:9]
	s_delay_alu instid0(VALU_DEP_4) | instskip(NEXT) | instid1(VALU_DEP_4)
	v_fma_f64 v[171:172], v[38:39], v[2:3], -v[171:172]
	v_fma_f64 v[175:176], v[40:41], v[2:3], v[4:5]
	ds_load_b128 v[2:5], v1 offset:1408
	scratch_load_b128 v[38:41], off, off offset:592
	v_fma_f64 v[173:174], v[165:166], v[6:7], v[173:174]
	v_fma_f64 v[179:180], v[163:164], v[6:7], -v[8:9]
	ds_load_b128 v[6:9], v1 offset:1424
	scratch_load_b128 v[163:166], off, off offset:608
	s_wait_loadcnt_dscnt 0x901
	v_mul_f64_e32 v[177:178], v[2:3], v[12:13]
	v_mul_f64_e32 v[12:13], v[4:5], v[12:13]
	s_wait_loadcnt_dscnt 0x800
	v_mul_f64_e32 v[181:182], v[6:7], v[16:17]
	v_mul_f64_e32 v[16:17], v[8:9], v[16:17]
	v_add_f64_e32 v[171:172], 0, v[171:172]
	v_add_f64_e32 v[175:176], 0, v[175:176]
	v_fma_f64 v[177:178], v[4:5], v[10:11], v[177:178]
	v_fma_f64 v[183:184], v[2:3], v[10:11], -v[12:13]
	ds_load_b128 v[2:5], v1 offset:1440
	scratch_load_b128 v[10:13], off, off offset:624
	v_add_f64_e32 v[171:172], v[171:172], v[179:180]
	v_add_f64_e32 v[173:174], v[175:176], v[173:174]
	v_fma_f64 v[179:180], v[8:9], v[14:15], v[181:182]
	v_fma_f64 v[181:182], v[6:7], v[14:15], -v[16:17]
	ds_load_b128 v[6:9], v1 offset:1456
	scratch_load_b128 v[14:17], off, off offset:640
	s_wait_loadcnt_dscnt 0x901
	v_mul_f64_e32 v[175:176], v[2:3], v[20:21]
	v_mul_f64_e32 v[20:21], v[4:5], v[20:21]
	v_add_f64_e32 v[171:172], v[171:172], v[183:184]
	v_add_f64_e32 v[173:174], v[173:174], v[177:178]
	s_wait_loadcnt_dscnt 0x800
	v_mul_f64_e32 v[177:178], v[6:7], v[24:25]
	v_mul_f64_e32 v[24:25], v[8:9], v[24:25]
	v_fma_f64 v[175:176], v[4:5], v[18:19], v[175:176]
	v_fma_f64 v[183:184], v[2:3], v[18:19], -v[20:21]
	ds_load_b128 v[2:5], v1 offset:1472
	scratch_load_b128 v[18:21], off, off offset:656
	v_add_f64_e32 v[171:172], v[171:172], v[181:182]
	v_add_f64_e32 v[173:174], v[173:174], v[179:180]
	v_fma_f64 v[177:178], v[8:9], v[22:23], v[177:178]
	v_fma_f64 v[181:182], v[6:7], v[22:23], -v[24:25]
	ds_load_b128 v[6:9], v1 offset:1488
	s_wait_loadcnt_dscnt 0x801
	v_mul_f64_e32 v[179:180], v[2:3], v[28:29]
	v_mul_f64_e32 v[28:29], v[4:5], v[28:29]
	scratch_load_b128 v[22:25], off, off offset:672
	v_add_f64_e32 v[171:172], v[171:172], v[183:184]
	v_add_f64_e32 v[173:174], v[173:174], v[175:176]
	s_wait_loadcnt_dscnt 0x800
	v_mul_f64_e32 v[175:176], v[6:7], v[32:33]
	v_mul_f64_e32 v[32:33], v[8:9], v[32:33]
	v_fma_f64 v[179:180], v[4:5], v[26:27], v[179:180]
	v_fma_f64 v[183:184], v[2:3], v[26:27], -v[28:29]
	ds_load_b128 v[2:5], v1 offset:1504
	scratch_load_b128 v[26:29], off, off offset:688
	v_add_f64_e32 v[171:172], v[171:172], v[181:182]
	v_add_f64_e32 v[173:174], v[173:174], v[177:178]
	v_fma_f64 v[175:176], v[8:9], v[30:31], v[175:176]
	v_fma_f64 v[181:182], v[6:7], v[30:31], -v[32:33]
	ds_load_b128 v[6:9], v1 offset:1520
	s_wait_loadcnt_dscnt 0x801
	v_mul_f64_e32 v[177:178], v[2:3], v[36:37]
	v_mul_f64_e32 v[36:37], v[4:5], v[36:37]
	scratch_load_b128 v[30:33], off, off offset:704
	v_add_f64_e32 v[171:172], v[171:172], v[183:184]
	v_add_f64_e32 v[173:174], v[173:174], v[179:180]
	s_wait_loadcnt_dscnt 0x800
	v_mul_f64_e32 v[179:180], v[6:7], v[169:170]
	v_mul_f64_e32 v[169:170], v[8:9], v[169:170]
	v_fma_f64 v[177:178], v[4:5], v[34:35], v[177:178]
	v_fma_f64 v[183:184], v[2:3], v[34:35], -v[36:37]
	ds_load_b128 v[2:5], v1 offset:1536
	scratch_load_b128 v[34:37], off, off offset:720
	v_add_f64_e32 v[171:172], v[171:172], v[181:182]
	v_add_f64_e32 v[173:174], v[173:174], v[175:176]
	v_fma_f64 v[179:180], v[8:9], v[167:168], v[179:180]
	v_fma_f64 v[181:182], v[6:7], v[167:168], -v[169:170]
	ds_load_b128 v[6:9], v1 offset:1552
	scratch_load_b128 v[167:170], off, off offset:736
	s_wait_loadcnt_dscnt 0x901
	v_mul_f64_e32 v[175:176], v[2:3], v[40:41]
	v_mul_f64_e32 v[40:41], v[4:5], v[40:41]
	v_add_f64_e32 v[171:172], v[171:172], v[183:184]
	v_add_f64_e32 v[173:174], v[173:174], v[177:178]
	s_wait_loadcnt_dscnt 0x800
	v_mul_f64_e32 v[177:178], v[6:7], v[165:166]
	v_mul_f64_e32 v[165:166], v[8:9], v[165:166]
	v_fma_f64 v[175:176], v[4:5], v[38:39], v[175:176]
	v_fma_f64 v[183:184], v[2:3], v[38:39], -v[40:41]
	ds_load_b128 v[2:5], v1 offset:1568
	scratch_load_b128 v[38:41], off, off offset:752
	v_add_f64_e32 v[171:172], v[171:172], v[181:182]
	v_add_f64_e32 v[173:174], v[173:174], v[179:180]
	v_fma_f64 v[177:178], v[8:9], v[163:164], v[177:178]
	v_fma_f64 v[181:182], v[6:7], v[163:164], -v[165:166]
	ds_load_b128 v[6:9], v1 offset:1584
	s_wait_loadcnt_dscnt 0x801
	v_mul_f64_e32 v[179:180], v[2:3], v[12:13]
	v_mul_f64_e32 v[12:13], v[4:5], v[12:13]
	scratch_load_b128 v[163:166], off, off offset:768
	v_add_f64_e32 v[171:172], v[171:172], v[183:184]
	v_add_f64_e32 v[173:174], v[173:174], v[175:176]
	s_wait_loadcnt_dscnt 0x800
	v_mul_f64_e32 v[175:176], v[6:7], v[16:17]
	v_mul_f64_e32 v[16:17], v[8:9], v[16:17]
	v_fma_f64 v[179:180], v[4:5], v[10:11], v[179:180]
	v_fma_f64 v[183:184], v[2:3], v[10:11], -v[12:13]
	ds_load_b128 v[2:5], v1 offset:1600
	scratch_load_b128 v[10:13], off, off offset:784
	v_add_f64_e32 v[171:172], v[171:172], v[181:182]
	v_add_f64_e32 v[173:174], v[173:174], v[177:178]
	v_fma_f64 v[175:176], v[8:9], v[14:15], v[175:176]
	v_fma_f64 v[181:182], v[6:7], v[14:15], -v[16:17]
	ds_load_b128 v[6:9], v1 offset:1616
	s_wait_loadcnt_dscnt 0x801
	v_mul_f64_e32 v[177:178], v[2:3], v[20:21]
	v_mul_f64_e32 v[20:21], v[4:5], v[20:21]
	scratch_load_b128 v[14:17], off, off offset:800
	;; [unrolled: 18-line block ×7, first 2 shown]
	v_add_f64_e32 v[171:172], v[171:172], v[183:184]
	v_add_f64_e32 v[173:174], v[173:174], v[175:176]
	s_wait_loadcnt_dscnt 0x800
	v_mul_f64_e32 v[175:176], v[6:7], v[24:25]
	v_mul_f64_e32 v[24:25], v[8:9], v[24:25]
	v_fma_f64 v[179:180], v[4:5], v[18:19], v[179:180]
	v_fma_f64 v[18:19], v[2:3], v[18:19], -v[20:21]
	ds_load_b128 v[2:5], v1 offset:1792
	v_add_f64_e32 v[20:21], v[171:172], v[181:182]
	v_add_f64_e32 v[171:172], v[173:174], v[177:178]
	v_fma_f64 v[175:176], v[8:9], v[22:23], v[175:176]
	v_fma_f64 v[22:23], v[6:7], v[22:23], -v[24:25]
	ds_load_b128 v[6:9], v1 offset:1808
	s_wait_loadcnt_dscnt 0x701
	v_mul_f64_e32 v[173:174], v[2:3], v[28:29]
	v_mul_f64_e32 v[28:29], v[4:5], v[28:29]
	v_add_f64_e32 v[18:19], v[20:21], v[18:19]
	v_add_f64_e32 v[20:21], v[171:172], v[179:180]
	s_delay_alu instid0(VALU_DEP_4) | instskip(NEXT) | instid1(VALU_DEP_4)
	v_fma_f64 v[171:172], v[4:5], v[26:27], v[173:174]
	v_fma_f64 v[26:27], v[2:3], v[26:27], -v[28:29]
	ds_load_b128 v[2:5], v1 offset:1824
	v_add_f64_e32 v[22:23], v[18:19], v[22:23]
	v_add_f64_e32 v[28:29], v[20:21], v[175:176]
	scratch_load_b128 v[18:21], off, off offset:416
	s_wait_loadcnt_dscnt 0x701
	v_mul_f64_e32 v[24:25], v[6:7], v[32:33]
	v_mul_f64_e32 v[32:33], v[8:9], v[32:33]
	v_add_f64_e32 v[22:23], v[22:23], v[26:27]
	v_add_f64_e32 v[26:27], v[28:29], v[171:172]
	s_delay_alu instid0(VALU_DEP_4) | instskip(NEXT) | instid1(VALU_DEP_4)
	v_fma_f64 v[24:25], v[8:9], v[30:31], v[24:25]
	v_fma_f64 v[30:31], v[6:7], v[30:31], -v[32:33]
	ds_load_b128 v[6:9], v1 offset:1840
	s_wait_loadcnt_dscnt 0x601
	v_mul_f64_e32 v[173:174], v[2:3], v[36:37]
	v_mul_f64_e32 v[36:37], v[4:5], v[36:37]
	s_wait_loadcnt_dscnt 0x500
	v_mul_f64_e32 v[28:29], v[6:7], v[169:170]
	v_mul_f64_e32 v[32:33], v[8:9], v[169:170]
	v_add_f64_e32 v[24:25], v[26:27], v[24:25]
	v_add_f64_e32 v[22:23], v[22:23], v[30:31]
	v_fma_f64 v[169:170], v[4:5], v[34:35], v[173:174]
	v_fma_f64 v[34:35], v[2:3], v[34:35], -v[36:37]
	ds_load_b128 v[2:5], v1 offset:1856
	v_fma_f64 v[28:29], v[8:9], v[167:168], v[28:29]
	v_fma_f64 v[32:33], v[6:7], v[167:168], -v[32:33]
	ds_load_b128 v[6:9], v1 offset:1872
	s_wait_loadcnt_dscnt 0x401
	v_mul_f64_e32 v[26:27], v[2:3], v[40:41]
	v_mul_f64_e32 v[30:31], v[4:5], v[40:41]
	v_add_f64_e32 v[24:25], v[24:25], v[169:170]
	v_add_f64_e32 v[22:23], v[22:23], v[34:35]
	s_wait_loadcnt_dscnt 0x300
	v_mul_f64_e32 v[34:35], v[6:7], v[165:166]
	v_mul_f64_e32 v[36:37], v[8:9], v[165:166]
	v_fma_f64 v[26:27], v[4:5], v[38:39], v[26:27]
	v_fma_f64 v[30:31], v[2:3], v[38:39], -v[30:31]
	ds_load_b128 v[2:5], v1 offset:1888
	v_add_f64_e32 v[24:25], v[24:25], v[28:29]
	v_add_f64_e32 v[22:23], v[22:23], v[32:33]
	v_fma_f64 v[32:33], v[8:9], v[163:164], v[34:35]
	v_fma_f64 v[34:35], v[6:7], v[163:164], -v[36:37]
	ds_load_b128 v[6:9], v1 offset:1904
	s_wait_loadcnt_dscnt 0x201
	v_mul_f64_e32 v[28:29], v[2:3], v[12:13]
	v_mul_f64_e32 v[12:13], v[4:5], v[12:13]
	v_add_f64_e32 v[24:25], v[24:25], v[26:27]
	v_add_f64_e32 v[22:23], v[22:23], v[30:31]
	s_wait_loadcnt_dscnt 0x100
	v_mul_f64_e32 v[26:27], v[6:7], v[16:17]
	v_mul_f64_e32 v[16:17], v[8:9], v[16:17]
	v_fma_f64 v[4:5], v[4:5], v[10:11], v[28:29]
	v_fma_f64 v[1:2], v[2:3], v[10:11], -v[12:13]
	v_add_f64_e32 v[12:13], v[24:25], v[32:33]
	v_add_f64_e32 v[10:11], v[22:23], v[34:35]
	v_fma_f64 v[8:9], v[8:9], v[14:15], v[26:27]
	v_fma_f64 v[6:7], v[6:7], v[14:15], -v[16:17]
	s_delay_alu instid0(VALU_DEP_4) | instskip(NEXT) | instid1(VALU_DEP_4)
	v_add_f64_e32 v[3:4], v[12:13], v[4:5]
	v_add_f64_e32 v[1:2], v[10:11], v[1:2]
	s_delay_alu instid0(VALU_DEP_2) | instskip(NEXT) | instid1(VALU_DEP_2)
	v_add_f64_e32 v[3:4], v[3:4], v[8:9]
	v_add_f64_e32 v[1:2], v[1:2], v[6:7]
	s_wait_loadcnt 0x0
	s_delay_alu instid0(VALU_DEP_2) | instskip(NEXT) | instid1(VALU_DEP_2)
	v_add_f64_e64 v[3:4], v[20:21], -v[3:4]
	v_add_f64_e64 v[1:2], v[18:19], -v[1:2]
	scratch_store_b128 off, v[1:4], off offset:416
	v_cmpx_lt_u32_e32 24, v0
	s_cbranch_execz .LBB123_325
; %bb.324:
	scratch_load_b128 v[1:4], off, s49
	v_mov_b32_e32 v5, 0
	s_delay_alu instid0(VALU_DEP_1)
	v_dual_mov_b32 v6, v5 :: v_dual_mov_b32 v7, v5
	v_mov_b32_e32 v8, v5
	scratch_store_b128 off, v[5:8], off offset:400
	s_wait_loadcnt 0x0
	ds_store_b128 v162, v[1:4]
.LBB123_325:
	s_wait_alu 0xfffe
	s_or_b32 exec_lo, exec_lo, s0
	s_wait_storecnt_dscnt 0x0
	s_barrier_signal -1
	s_barrier_wait -1
	global_inv scope:SCOPE_SE
	s_clause 0x7
	scratch_load_b128 v[2:5], off, off offset:416
	scratch_load_b128 v[6:9], off, off offset:432
	;; [unrolled: 1-line block ×8, first 2 shown]
	v_mov_b32_e32 v1, 0
	s_clause 0x1
	scratch_load_b128 v[34:37], off, off offset:544
	scratch_load_b128 v[167:170], off, off offset:560
	s_mov_b32 s0, exec_lo
	ds_load_b128 v[38:41], v1 offset:1360
	ds_load_b128 v[163:166], v1 offset:1376
	s_wait_loadcnt_dscnt 0x901
	v_mul_f64_e32 v[171:172], v[40:41], v[4:5]
	v_mul_f64_e32 v[4:5], v[38:39], v[4:5]
	s_wait_loadcnt_dscnt 0x800
	v_mul_f64_e32 v[173:174], v[163:164], v[8:9]
	v_mul_f64_e32 v[8:9], v[165:166], v[8:9]
	s_delay_alu instid0(VALU_DEP_4) | instskip(NEXT) | instid1(VALU_DEP_4)
	v_fma_f64 v[171:172], v[38:39], v[2:3], -v[171:172]
	v_fma_f64 v[175:176], v[40:41], v[2:3], v[4:5]
	ds_load_b128 v[2:5], v1 offset:1392
	scratch_load_b128 v[38:41], off, off offset:576
	v_fma_f64 v[173:174], v[165:166], v[6:7], v[173:174]
	v_fma_f64 v[179:180], v[163:164], v[6:7], -v[8:9]
	ds_load_b128 v[6:9], v1 offset:1408
	scratch_load_b128 v[163:166], off, off offset:592
	s_wait_loadcnt_dscnt 0x901
	v_mul_f64_e32 v[177:178], v[2:3], v[12:13]
	v_mul_f64_e32 v[12:13], v[4:5], v[12:13]
	s_wait_loadcnt_dscnt 0x800
	v_mul_f64_e32 v[181:182], v[6:7], v[16:17]
	v_mul_f64_e32 v[16:17], v[8:9], v[16:17]
	v_add_f64_e32 v[171:172], 0, v[171:172]
	v_add_f64_e32 v[175:176], 0, v[175:176]
	v_fma_f64 v[177:178], v[4:5], v[10:11], v[177:178]
	v_fma_f64 v[183:184], v[2:3], v[10:11], -v[12:13]
	ds_load_b128 v[2:5], v1 offset:1424
	scratch_load_b128 v[10:13], off, off offset:608
	v_add_f64_e32 v[171:172], v[171:172], v[179:180]
	v_add_f64_e32 v[173:174], v[175:176], v[173:174]
	v_fma_f64 v[179:180], v[8:9], v[14:15], v[181:182]
	v_fma_f64 v[181:182], v[6:7], v[14:15], -v[16:17]
	ds_load_b128 v[6:9], v1 offset:1440
	scratch_load_b128 v[14:17], off, off offset:624
	s_wait_loadcnt_dscnt 0x901
	v_mul_f64_e32 v[175:176], v[2:3], v[20:21]
	v_mul_f64_e32 v[20:21], v[4:5], v[20:21]
	v_add_f64_e32 v[171:172], v[171:172], v[183:184]
	v_add_f64_e32 v[173:174], v[173:174], v[177:178]
	s_wait_loadcnt_dscnt 0x800
	v_mul_f64_e32 v[177:178], v[6:7], v[24:25]
	v_mul_f64_e32 v[24:25], v[8:9], v[24:25]
	v_fma_f64 v[175:176], v[4:5], v[18:19], v[175:176]
	v_fma_f64 v[183:184], v[2:3], v[18:19], -v[20:21]
	ds_load_b128 v[2:5], v1 offset:1456
	scratch_load_b128 v[18:21], off, off offset:640
	v_add_f64_e32 v[171:172], v[171:172], v[181:182]
	v_add_f64_e32 v[173:174], v[173:174], v[179:180]
	v_fma_f64 v[177:178], v[8:9], v[22:23], v[177:178]
	v_fma_f64 v[181:182], v[6:7], v[22:23], -v[24:25]
	ds_load_b128 v[6:9], v1 offset:1472
	s_wait_loadcnt_dscnt 0x801
	v_mul_f64_e32 v[179:180], v[2:3], v[28:29]
	v_mul_f64_e32 v[28:29], v[4:5], v[28:29]
	scratch_load_b128 v[22:25], off, off offset:656
	v_add_f64_e32 v[171:172], v[171:172], v[183:184]
	v_add_f64_e32 v[173:174], v[173:174], v[175:176]
	s_wait_loadcnt_dscnt 0x800
	v_mul_f64_e32 v[175:176], v[6:7], v[32:33]
	v_mul_f64_e32 v[32:33], v[8:9], v[32:33]
	v_fma_f64 v[179:180], v[4:5], v[26:27], v[179:180]
	v_fma_f64 v[183:184], v[2:3], v[26:27], -v[28:29]
	ds_load_b128 v[2:5], v1 offset:1488
	scratch_load_b128 v[26:29], off, off offset:672
	v_add_f64_e32 v[171:172], v[171:172], v[181:182]
	v_add_f64_e32 v[173:174], v[173:174], v[177:178]
	v_fma_f64 v[175:176], v[8:9], v[30:31], v[175:176]
	v_fma_f64 v[181:182], v[6:7], v[30:31], -v[32:33]
	ds_load_b128 v[6:9], v1 offset:1504
	s_wait_loadcnt_dscnt 0x801
	v_mul_f64_e32 v[177:178], v[2:3], v[36:37]
	v_mul_f64_e32 v[36:37], v[4:5], v[36:37]
	scratch_load_b128 v[30:33], off, off offset:688
	v_add_f64_e32 v[171:172], v[171:172], v[183:184]
	v_add_f64_e32 v[173:174], v[173:174], v[179:180]
	s_wait_loadcnt_dscnt 0x800
	v_mul_f64_e32 v[179:180], v[6:7], v[169:170]
	v_mul_f64_e32 v[169:170], v[8:9], v[169:170]
	v_fma_f64 v[177:178], v[4:5], v[34:35], v[177:178]
	v_fma_f64 v[183:184], v[2:3], v[34:35], -v[36:37]
	ds_load_b128 v[2:5], v1 offset:1520
	scratch_load_b128 v[34:37], off, off offset:704
	v_add_f64_e32 v[171:172], v[171:172], v[181:182]
	v_add_f64_e32 v[173:174], v[173:174], v[175:176]
	v_fma_f64 v[179:180], v[8:9], v[167:168], v[179:180]
	v_fma_f64 v[181:182], v[6:7], v[167:168], -v[169:170]
	ds_load_b128 v[6:9], v1 offset:1536
	scratch_load_b128 v[167:170], off, off offset:720
	s_wait_loadcnt_dscnt 0x901
	v_mul_f64_e32 v[175:176], v[2:3], v[40:41]
	v_mul_f64_e32 v[40:41], v[4:5], v[40:41]
	v_add_f64_e32 v[171:172], v[171:172], v[183:184]
	v_add_f64_e32 v[173:174], v[173:174], v[177:178]
	s_wait_loadcnt_dscnt 0x800
	v_mul_f64_e32 v[177:178], v[6:7], v[165:166]
	v_mul_f64_e32 v[165:166], v[8:9], v[165:166]
	v_fma_f64 v[175:176], v[4:5], v[38:39], v[175:176]
	v_fma_f64 v[183:184], v[2:3], v[38:39], -v[40:41]
	ds_load_b128 v[2:5], v1 offset:1552
	scratch_load_b128 v[38:41], off, off offset:736
	v_add_f64_e32 v[171:172], v[171:172], v[181:182]
	v_add_f64_e32 v[173:174], v[173:174], v[179:180]
	v_fma_f64 v[177:178], v[8:9], v[163:164], v[177:178]
	v_fma_f64 v[181:182], v[6:7], v[163:164], -v[165:166]
	ds_load_b128 v[6:9], v1 offset:1568
	s_wait_loadcnt_dscnt 0x801
	v_mul_f64_e32 v[179:180], v[2:3], v[12:13]
	v_mul_f64_e32 v[12:13], v[4:5], v[12:13]
	scratch_load_b128 v[163:166], off, off offset:752
	v_add_f64_e32 v[171:172], v[171:172], v[183:184]
	v_add_f64_e32 v[173:174], v[173:174], v[175:176]
	s_wait_loadcnt_dscnt 0x800
	v_mul_f64_e32 v[175:176], v[6:7], v[16:17]
	v_mul_f64_e32 v[16:17], v[8:9], v[16:17]
	v_fma_f64 v[179:180], v[4:5], v[10:11], v[179:180]
	v_fma_f64 v[183:184], v[2:3], v[10:11], -v[12:13]
	ds_load_b128 v[2:5], v1 offset:1584
	scratch_load_b128 v[10:13], off, off offset:768
	v_add_f64_e32 v[171:172], v[171:172], v[181:182]
	v_add_f64_e32 v[173:174], v[173:174], v[177:178]
	v_fma_f64 v[175:176], v[8:9], v[14:15], v[175:176]
	v_fma_f64 v[181:182], v[6:7], v[14:15], -v[16:17]
	ds_load_b128 v[6:9], v1 offset:1600
	s_wait_loadcnt_dscnt 0x801
	v_mul_f64_e32 v[177:178], v[2:3], v[20:21]
	v_mul_f64_e32 v[20:21], v[4:5], v[20:21]
	scratch_load_b128 v[14:17], off, off offset:784
	;; [unrolled: 18-line block ×7, first 2 shown]
	v_add_f64_e32 v[171:172], v[171:172], v[183:184]
	v_add_f64_e32 v[173:174], v[173:174], v[175:176]
	s_wait_loadcnt_dscnt 0x800
	v_mul_f64_e32 v[175:176], v[6:7], v[24:25]
	v_mul_f64_e32 v[24:25], v[8:9], v[24:25]
	v_fma_f64 v[179:180], v[4:5], v[18:19], v[179:180]
	v_fma_f64 v[183:184], v[2:3], v[18:19], -v[20:21]
	ds_load_b128 v[2:5], v1 offset:1776
	scratch_load_b128 v[18:21], off, off offset:960
	v_add_f64_e32 v[171:172], v[171:172], v[181:182]
	v_add_f64_e32 v[173:174], v[173:174], v[177:178]
	v_fma_f64 v[175:176], v[8:9], v[22:23], v[175:176]
	v_fma_f64 v[22:23], v[6:7], v[22:23], -v[24:25]
	ds_load_b128 v[6:9], v1 offset:1792
	s_wait_loadcnt_dscnt 0x801
	v_mul_f64_e32 v[177:178], v[2:3], v[28:29]
	v_mul_f64_e32 v[28:29], v[4:5], v[28:29]
	v_add_f64_e32 v[24:25], v[171:172], v[183:184]
	v_add_f64_e32 v[171:172], v[173:174], v[179:180]
	s_wait_loadcnt_dscnt 0x700
	v_mul_f64_e32 v[173:174], v[6:7], v[32:33]
	v_mul_f64_e32 v[32:33], v[8:9], v[32:33]
	v_fma_f64 v[177:178], v[4:5], v[26:27], v[177:178]
	v_fma_f64 v[26:27], v[2:3], v[26:27], -v[28:29]
	ds_load_b128 v[2:5], v1 offset:1808
	v_add_f64_e32 v[22:23], v[24:25], v[22:23]
	v_add_f64_e32 v[24:25], v[171:172], v[175:176]
	v_fma_f64 v[171:172], v[8:9], v[30:31], v[173:174]
	v_fma_f64 v[30:31], v[6:7], v[30:31], -v[32:33]
	ds_load_b128 v[6:9], v1 offset:1824
	s_wait_loadcnt_dscnt 0x500
	v_mul_f64_e32 v[173:174], v[6:7], v[169:170]
	v_mul_f64_e32 v[169:170], v[8:9], v[169:170]
	v_add_f64_e32 v[26:27], v[22:23], v[26:27]
	v_add_f64_e32 v[32:33], v[24:25], v[177:178]
	scratch_load_b128 v[22:25], off, off offset:400
	v_mul_f64_e32 v[28:29], v[2:3], v[36:37]
	v_mul_f64_e32 v[36:37], v[4:5], v[36:37]
	v_add_f64_e32 v[26:27], v[26:27], v[30:31]
	v_add_f64_e32 v[30:31], v[32:33], v[171:172]
	s_delay_alu instid0(VALU_DEP_4) | instskip(NEXT) | instid1(VALU_DEP_4)
	v_fma_f64 v[28:29], v[4:5], v[34:35], v[28:29]
	v_fma_f64 v[34:35], v[2:3], v[34:35], -v[36:37]
	ds_load_b128 v[2:5], v1 offset:1840
	s_wait_loadcnt_dscnt 0x500
	v_mul_f64_e32 v[32:33], v[2:3], v[40:41]
	v_mul_f64_e32 v[36:37], v[4:5], v[40:41]
	v_fma_f64 v[40:41], v[8:9], v[167:168], v[173:174]
	v_fma_f64 v[167:168], v[6:7], v[167:168], -v[169:170]
	ds_load_b128 v[6:9], v1 offset:1856
	v_add_f64_e32 v[28:29], v[30:31], v[28:29]
	v_add_f64_e32 v[26:27], v[26:27], v[34:35]
	v_fma_f64 v[32:33], v[4:5], v[38:39], v[32:33]
	v_fma_f64 v[36:37], v[2:3], v[38:39], -v[36:37]
	ds_load_b128 v[2:5], v1 offset:1872
	s_wait_loadcnt_dscnt 0x401
	v_mul_f64_e32 v[30:31], v[6:7], v[165:166]
	v_mul_f64_e32 v[34:35], v[8:9], v[165:166]
	v_add_f64_e32 v[28:29], v[28:29], v[40:41]
	v_add_f64_e32 v[26:27], v[26:27], v[167:168]
	s_wait_loadcnt_dscnt 0x300
	v_mul_f64_e32 v[38:39], v[2:3], v[12:13]
	v_mul_f64_e32 v[12:13], v[4:5], v[12:13]
	v_fma_f64 v[30:31], v[8:9], v[163:164], v[30:31]
	v_fma_f64 v[34:35], v[6:7], v[163:164], -v[34:35]
	ds_load_b128 v[6:9], v1 offset:1888
	v_add_f64_e32 v[28:29], v[28:29], v[32:33]
	v_add_f64_e32 v[26:27], v[26:27], v[36:37]
	v_fma_f64 v[36:37], v[4:5], v[10:11], v[38:39]
	v_fma_f64 v[10:11], v[2:3], v[10:11], -v[12:13]
	ds_load_b128 v[2:5], v1 offset:1904
	s_wait_loadcnt_dscnt 0x201
	v_mul_f64_e32 v[32:33], v[6:7], v[16:17]
	v_mul_f64_e32 v[16:17], v[8:9], v[16:17]
	v_add_f64_e32 v[12:13], v[26:27], v[34:35]
	v_add_f64_e32 v[26:27], v[28:29], v[30:31]
	s_wait_loadcnt_dscnt 0x100
	v_mul_f64_e32 v[28:29], v[2:3], v[20:21]
	v_mul_f64_e32 v[20:21], v[4:5], v[20:21]
	v_fma_f64 v[8:9], v[8:9], v[14:15], v[32:33]
	v_fma_f64 v[6:7], v[6:7], v[14:15], -v[16:17]
	v_add_f64_e32 v[10:11], v[12:13], v[10:11]
	v_add_f64_e32 v[12:13], v[26:27], v[36:37]
	v_fma_f64 v[4:5], v[4:5], v[18:19], v[28:29]
	v_fma_f64 v[2:3], v[2:3], v[18:19], -v[20:21]
	s_delay_alu instid0(VALU_DEP_4) | instskip(NEXT) | instid1(VALU_DEP_4)
	v_add_f64_e32 v[6:7], v[10:11], v[6:7]
	v_add_f64_e32 v[8:9], v[12:13], v[8:9]
	s_delay_alu instid0(VALU_DEP_2) | instskip(NEXT) | instid1(VALU_DEP_2)
	v_add_f64_e32 v[2:3], v[6:7], v[2:3]
	v_add_f64_e32 v[4:5], v[8:9], v[4:5]
	s_wait_loadcnt 0x0
	s_delay_alu instid0(VALU_DEP_2) | instskip(NEXT) | instid1(VALU_DEP_2)
	v_add_f64_e64 v[2:3], v[22:23], -v[2:3]
	v_add_f64_e64 v[4:5], v[24:25], -v[4:5]
	scratch_store_b128 off, v[2:5], off offset:400
	v_cmpx_lt_u32_e32 23, v0
	s_cbranch_execz .LBB123_327
; %bb.326:
	scratch_load_b128 v[5:8], off, s50
	v_dual_mov_b32 v2, v1 :: v_dual_mov_b32 v3, v1
	v_mov_b32_e32 v4, v1
	scratch_store_b128 off, v[1:4], off offset:384
	s_wait_loadcnt 0x0
	ds_store_b128 v162, v[5:8]
.LBB123_327:
	s_wait_alu 0xfffe
	s_or_b32 exec_lo, exec_lo, s0
	s_wait_storecnt_dscnt 0x0
	s_barrier_signal -1
	s_barrier_wait -1
	global_inv scope:SCOPE_SE
	s_clause 0x7
	scratch_load_b128 v[2:5], off, off offset:400
	scratch_load_b128 v[6:9], off, off offset:416
	;; [unrolled: 1-line block ×8, first 2 shown]
	ds_load_b128 v[38:41], v1 offset:1344
	ds_load_b128 v[163:166], v1 offset:1360
	s_clause 0x1
	scratch_load_b128 v[34:37], off, off offset:528
	scratch_load_b128 v[167:170], off, off offset:544
	s_mov_b32 s0, exec_lo
	s_wait_loadcnt_dscnt 0x901
	v_mul_f64_e32 v[171:172], v[40:41], v[4:5]
	v_mul_f64_e32 v[4:5], v[38:39], v[4:5]
	s_wait_loadcnt_dscnt 0x800
	v_mul_f64_e32 v[173:174], v[163:164], v[8:9]
	v_mul_f64_e32 v[8:9], v[165:166], v[8:9]
	s_delay_alu instid0(VALU_DEP_4) | instskip(NEXT) | instid1(VALU_DEP_4)
	v_fma_f64 v[171:172], v[38:39], v[2:3], -v[171:172]
	v_fma_f64 v[175:176], v[40:41], v[2:3], v[4:5]
	ds_load_b128 v[2:5], v1 offset:1376
	scratch_load_b128 v[38:41], off, off offset:560
	v_fma_f64 v[173:174], v[165:166], v[6:7], v[173:174]
	v_fma_f64 v[179:180], v[163:164], v[6:7], -v[8:9]
	ds_load_b128 v[6:9], v1 offset:1392
	scratch_load_b128 v[163:166], off, off offset:576
	s_wait_loadcnt_dscnt 0x901
	v_mul_f64_e32 v[177:178], v[2:3], v[12:13]
	v_mul_f64_e32 v[12:13], v[4:5], v[12:13]
	s_wait_loadcnt_dscnt 0x800
	v_mul_f64_e32 v[181:182], v[6:7], v[16:17]
	v_mul_f64_e32 v[16:17], v[8:9], v[16:17]
	v_add_f64_e32 v[171:172], 0, v[171:172]
	v_add_f64_e32 v[175:176], 0, v[175:176]
	v_fma_f64 v[177:178], v[4:5], v[10:11], v[177:178]
	v_fma_f64 v[183:184], v[2:3], v[10:11], -v[12:13]
	ds_load_b128 v[2:5], v1 offset:1408
	scratch_load_b128 v[10:13], off, off offset:592
	v_add_f64_e32 v[171:172], v[171:172], v[179:180]
	v_add_f64_e32 v[173:174], v[175:176], v[173:174]
	v_fma_f64 v[179:180], v[8:9], v[14:15], v[181:182]
	v_fma_f64 v[181:182], v[6:7], v[14:15], -v[16:17]
	ds_load_b128 v[6:9], v1 offset:1424
	scratch_load_b128 v[14:17], off, off offset:608
	s_wait_loadcnt_dscnt 0x901
	v_mul_f64_e32 v[175:176], v[2:3], v[20:21]
	v_mul_f64_e32 v[20:21], v[4:5], v[20:21]
	v_add_f64_e32 v[171:172], v[171:172], v[183:184]
	v_add_f64_e32 v[173:174], v[173:174], v[177:178]
	s_wait_loadcnt_dscnt 0x800
	v_mul_f64_e32 v[177:178], v[6:7], v[24:25]
	v_mul_f64_e32 v[24:25], v[8:9], v[24:25]
	v_fma_f64 v[175:176], v[4:5], v[18:19], v[175:176]
	v_fma_f64 v[183:184], v[2:3], v[18:19], -v[20:21]
	ds_load_b128 v[2:5], v1 offset:1440
	scratch_load_b128 v[18:21], off, off offset:624
	v_add_f64_e32 v[171:172], v[171:172], v[181:182]
	v_add_f64_e32 v[173:174], v[173:174], v[179:180]
	v_fma_f64 v[177:178], v[8:9], v[22:23], v[177:178]
	v_fma_f64 v[181:182], v[6:7], v[22:23], -v[24:25]
	ds_load_b128 v[6:9], v1 offset:1456
	s_wait_loadcnt_dscnt 0x801
	v_mul_f64_e32 v[179:180], v[2:3], v[28:29]
	v_mul_f64_e32 v[28:29], v[4:5], v[28:29]
	scratch_load_b128 v[22:25], off, off offset:640
	v_add_f64_e32 v[171:172], v[171:172], v[183:184]
	v_add_f64_e32 v[173:174], v[173:174], v[175:176]
	s_wait_loadcnt_dscnt 0x800
	v_mul_f64_e32 v[175:176], v[6:7], v[32:33]
	v_mul_f64_e32 v[32:33], v[8:9], v[32:33]
	v_fma_f64 v[179:180], v[4:5], v[26:27], v[179:180]
	v_fma_f64 v[183:184], v[2:3], v[26:27], -v[28:29]
	ds_load_b128 v[2:5], v1 offset:1472
	scratch_load_b128 v[26:29], off, off offset:656
	v_add_f64_e32 v[171:172], v[171:172], v[181:182]
	v_add_f64_e32 v[173:174], v[173:174], v[177:178]
	v_fma_f64 v[175:176], v[8:9], v[30:31], v[175:176]
	v_fma_f64 v[181:182], v[6:7], v[30:31], -v[32:33]
	ds_load_b128 v[6:9], v1 offset:1488
	s_wait_loadcnt_dscnt 0x801
	v_mul_f64_e32 v[177:178], v[2:3], v[36:37]
	v_mul_f64_e32 v[36:37], v[4:5], v[36:37]
	scratch_load_b128 v[30:33], off, off offset:672
	v_add_f64_e32 v[171:172], v[171:172], v[183:184]
	v_add_f64_e32 v[173:174], v[173:174], v[179:180]
	s_wait_loadcnt_dscnt 0x800
	v_mul_f64_e32 v[179:180], v[6:7], v[169:170]
	v_mul_f64_e32 v[169:170], v[8:9], v[169:170]
	v_fma_f64 v[177:178], v[4:5], v[34:35], v[177:178]
	v_fma_f64 v[183:184], v[2:3], v[34:35], -v[36:37]
	ds_load_b128 v[2:5], v1 offset:1504
	scratch_load_b128 v[34:37], off, off offset:688
	v_add_f64_e32 v[171:172], v[171:172], v[181:182]
	v_add_f64_e32 v[173:174], v[173:174], v[175:176]
	v_fma_f64 v[179:180], v[8:9], v[167:168], v[179:180]
	v_fma_f64 v[181:182], v[6:7], v[167:168], -v[169:170]
	ds_load_b128 v[6:9], v1 offset:1520
	scratch_load_b128 v[167:170], off, off offset:704
	s_wait_loadcnt_dscnt 0x901
	v_mul_f64_e32 v[175:176], v[2:3], v[40:41]
	v_mul_f64_e32 v[40:41], v[4:5], v[40:41]
	v_add_f64_e32 v[171:172], v[171:172], v[183:184]
	v_add_f64_e32 v[173:174], v[173:174], v[177:178]
	s_wait_loadcnt_dscnt 0x800
	v_mul_f64_e32 v[177:178], v[6:7], v[165:166]
	v_mul_f64_e32 v[165:166], v[8:9], v[165:166]
	v_fma_f64 v[175:176], v[4:5], v[38:39], v[175:176]
	v_fma_f64 v[183:184], v[2:3], v[38:39], -v[40:41]
	ds_load_b128 v[2:5], v1 offset:1536
	scratch_load_b128 v[38:41], off, off offset:720
	v_add_f64_e32 v[171:172], v[171:172], v[181:182]
	v_add_f64_e32 v[173:174], v[173:174], v[179:180]
	v_fma_f64 v[177:178], v[8:9], v[163:164], v[177:178]
	v_fma_f64 v[181:182], v[6:7], v[163:164], -v[165:166]
	ds_load_b128 v[6:9], v1 offset:1552
	s_wait_loadcnt_dscnt 0x801
	v_mul_f64_e32 v[179:180], v[2:3], v[12:13]
	v_mul_f64_e32 v[12:13], v[4:5], v[12:13]
	scratch_load_b128 v[163:166], off, off offset:736
	v_add_f64_e32 v[171:172], v[171:172], v[183:184]
	v_add_f64_e32 v[173:174], v[173:174], v[175:176]
	s_wait_loadcnt_dscnt 0x800
	v_mul_f64_e32 v[175:176], v[6:7], v[16:17]
	v_mul_f64_e32 v[16:17], v[8:9], v[16:17]
	v_fma_f64 v[179:180], v[4:5], v[10:11], v[179:180]
	v_fma_f64 v[183:184], v[2:3], v[10:11], -v[12:13]
	ds_load_b128 v[2:5], v1 offset:1568
	scratch_load_b128 v[10:13], off, off offset:752
	v_add_f64_e32 v[171:172], v[171:172], v[181:182]
	v_add_f64_e32 v[173:174], v[173:174], v[177:178]
	v_fma_f64 v[175:176], v[8:9], v[14:15], v[175:176]
	v_fma_f64 v[181:182], v[6:7], v[14:15], -v[16:17]
	ds_load_b128 v[6:9], v1 offset:1584
	s_wait_loadcnt_dscnt 0x801
	v_mul_f64_e32 v[177:178], v[2:3], v[20:21]
	v_mul_f64_e32 v[20:21], v[4:5], v[20:21]
	scratch_load_b128 v[14:17], off, off offset:768
	;; [unrolled: 18-line block ×8, first 2 shown]
	v_add_f64_e32 v[171:172], v[171:172], v[183:184]
	v_add_f64_e32 v[173:174], v[173:174], v[179:180]
	s_wait_loadcnt_dscnt 0x800
	v_mul_f64_e32 v[179:180], v[6:7], v[32:33]
	v_mul_f64_e32 v[32:33], v[8:9], v[32:33]
	v_fma_f64 v[177:178], v[4:5], v[26:27], v[177:178]
	v_fma_f64 v[26:27], v[2:3], v[26:27], -v[28:29]
	ds_load_b128 v[2:5], v1 offset:1792
	v_add_f64_e32 v[28:29], v[171:172], v[181:182]
	v_add_f64_e32 v[171:172], v[173:174], v[175:176]
	v_fma_f64 v[175:176], v[8:9], v[30:31], v[179:180]
	v_fma_f64 v[30:31], v[6:7], v[30:31], -v[32:33]
	ds_load_b128 v[6:9], v1 offset:1808
	s_wait_loadcnt_dscnt 0x701
	v_mul_f64_e32 v[173:174], v[2:3], v[36:37]
	v_mul_f64_e32 v[36:37], v[4:5], v[36:37]
	v_add_f64_e32 v[26:27], v[28:29], v[26:27]
	v_add_f64_e32 v[28:29], v[171:172], v[177:178]
	s_delay_alu instid0(VALU_DEP_4) | instskip(NEXT) | instid1(VALU_DEP_4)
	v_fma_f64 v[171:172], v[4:5], v[34:35], v[173:174]
	v_fma_f64 v[34:35], v[2:3], v[34:35], -v[36:37]
	ds_load_b128 v[2:5], v1 offset:1824
	v_add_f64_e32 v[30:31], v[26:27], v[30:31]
	v_add_f64_e32 v[36:37], v[28:29], v[175:176]
	scratch_load_b128 v[26:29], off, off offset:384
	s_wait_loadcnt_dscnt 0x701
	v_mul_f64_e32 v[32:33], v[6:7], v[169:170]
	v_mul_f64_e32 v[169:170], v[8:9], v[169:170]
	v_add_f64_e32 v[30:31], v[30:31], v[34:35]
	v_add_f64_e32 v[34:35], v[36:37], v[171:172]
	s_delay_alu instid0(VALU_DEP_4) | instskip(NEXT) | instid1(VALU_DEP_4)
	v_fma_f64 v[32:33], v[8:9], v[167:168], v[32:33]
	v_fma_f64 v[167:168], v[6:7], v[167:168], -v[169:170]
	ds_load_b128 v[6:9], v1 offset:1840
	s_wait_loadcnt_dscnt 0x601
	v_mul_f64_e32 v[173:174], v[2:3], v[40:41]
	v_mul_f64_e32 v[40:41], v[4:5], v[40:41]
	s_wait_loadcnt_dscnt 0x500
	v_mul_f64_e32 v[36:37], v[6:7], v[165:166]
	v_mul_f64_e32 v[165:166], v[8:9], v[165:166]
	v_add_f64_e32 v[32:33], v[34:35], v[32:33]
	v_add_f64_e32 v[30:31], v[30:31], v[167:168]
	v_fma_f64 v[169:170], v[4:5], v[38:39], v[173:174]
	v_fma_f64 v[38:39], v[2:3], v[38:39], -v[40:41]
	ds_load_b128 v[2:5], v1 offset:1856
	v_fma_f64 v[36:37], v[8:9], v[163:164], v[36:37]
	v_fma_f64 v[40:41], v[6:7], v[163:164], -v[165:166]
	ds_load_b128 v[6:9], v1 offset:1872
	s_wait_loadcnt_dscnt 0x401
	v_mul_f64_e32 v[34:35], v[2:3], v[12:13]
	v_mul_f64_e32 v[12:13], v[4:5], v[12:13]
	v_add_f64_e32 v[32:33], v[32:33], v[169:170]
	v_add_f64_e32 v[30:31], v[30:31], v[38:39]
	s_wait_loadcnt_dscnt 0x300
	v_mul_f64_e32 v[38:39], v[6:7], v[16:17]
	v_mul_f64_e32 v[16:17], v[8:9], v[16:17]
	v_fma_f64 v[34:35], v[4:5], v[10:11], v[34:35]
	v_fma_f64 v[10:11], v[2:3], v[10:11], -v[12:13]
	ds_load_b128 v[2:5], v1 offset:1888
	v_add_f64_e32 v[12:13], v[30:31], v[40:41]
	v_add_f64_e32 v[30:31], v[32:33], v[36:37]
	v_fma_f64 v[36:37], v[8:9], v[14:15], v[38:39]
	v_fma_f64 v[14:15], v[6:7], v[14:15], -v[16:17]
	ds_load_b128 v[6:9], v1 offset:1904
	s_wait_loadcnt_dscnt 0x201
	v_mul_f64_e32 v[32:33], v[2:3], v[20:21]
	v_mul_f64_e32 v[20:21], v[4:5], v[20:21]
	s_wait_loadcnt_dscnt 0x100
	v_mul_f64_e32 v[16:17], v[6:7], v[24:25]
	v_mul_f64_e32 v[24:25], v[8:9], v[24:25]
	v_add_f64_e32 v[10:11], v[12:13], v[10:11]
	v_add_f64_e32 v[12:13], v[30:31], v[34:35]
	v_fma_f64 v[4:5], v[4:5], v[18:19], v[32:33]
	v_fma_f64 v[1:2], v[2:3], v[18:19], -v[20:21]
	v_fma_f64 v[8:9], v[8:9], v[22:23], v[16:17]
	v_fma_f64 v[6:7], v[6:7], v[22:23], -v[24:25]
	v_add_f64_e32 v[10:11], v[10:11], v[14:15]
	v_add_f64_e32 v[12:13], v[12:13], v[36:37]
	s_delay_alu instid0(VALU_DEP_2) | instskip(NEXT) | instid1(VALU_DEP_2)
	v_add_f64_e32 v[1:2], v[10:11], v[1:2]
	v_add_f64_e32 v[3:4], v[12:13], v[4:5]
	s_delay_alu instid0(VALU_DEP_2) | instskip(NEXT) | instid1(VALU_DEP_2)
	v_add_f64_e32 v[1:2], v[1:2], v[6:7]
	v_add_f64_e32 v[3:4], v[3:4], v[8:9]
	s_wait_loadcnt 0x0
	s_delay_alu instid0(VALU_DEP_2) | instskip(NEXT) | instid1(VALU_DEP_2)
	v_add_f64_e64 v[1:2], v[26:27], -v[1:2]
	v_add_f64_e64 v[3:4], v[28:29], -v[3:4]
	scratch_store_b128 off, v[1:4], off offset:384
	v_cmpx_lt_u32_e32 22, v0
	s_cbranch_execz .LBB123_329
; %bb.328:
	scratch_load_b128 v[1:4], off, s51
	v_mov_b32_e32 v5, 0
	s_delay_alu instid0(VALU_DEP_1)
	v_dual_mov_b32 v6, v5 :: v_dual_mov_b32 v7, v5
	v_mov_b32_e32 v8, v5
	scratch_store_b128 off, v[5:8], off offset:368
	s_wait_loadcnt 0x0
	ds_store_b128 v162, v[1:4]
.LBB123_329:
	s_wait_alu 0xfffe
	s_or_b32 exec_lo, exec_lo, s0
	s_wait_storecnt_dscnt 0x0
	s_barrier_signal -1
	s_barrier_wait -1
	global_inv scope:SCOPE_SE
	s_clause 0x7
	scratch_load_b128 v[2:5], off, off offset:384
	scratch_load_b128 v[6:9], off, off offset:400
	;; [unrolled: 1-line block ×8, first 2 shown]
	v_mov_b32_e32 v1, 0
	s_clause 0x1
	scratch_load_b128 v[34:37], off, off offset:512
	scratch_load_b128 v[167:170], off, off offset:528
	s_mov_b32 s0, exec_lo
	ds_load_b128 v[38:41], v1 offset:1328
	ds_load_b128 v[163:166], v1 offset:1344
	s_wait_loadcnt_dscnt 0x901
	v_mul_f64_e32 v[171:172], v[40:41], v[4:5]
	v_mul_f64_e32 v[4:5], v[38:39], v[4:5]
	s_wait_loadcnt_dscnt 0x800
	v_mul_f64_e32 v[173:174], v[163:164], v[8:9]
	v_mul_f64_e32 v[8:9], v[165:166], v[8:9]
	s_delay_alu instid0(VALU_DEP_4) | instskip(NEXT) | instid1(VALU_DEP_4)
	v_fma_f64 v[171:172], v[38:39], v[2:3], -v[171:172]
	v_fma_f64 v[175:176], v[40:41], v[2:3], v[4:5]
	ds_load_b128 v[2:5], v1 offset:1360
	scratch_load_b128 v[38:41], off, off offset:544
	v_fma_f64 v[173:174], v[165:166], v[6:7], v[173:174]
	v_fma_f64 v[179:180], v[163:164], v[6:7], -v[8:9]
	ds_load_b128 v[6:9], v1 offset:1376
	scratch_load_b128 v[163:166], off, off offset:560
	s_wait_loadcnt_dscnt 0x901
	v_mul_f64_e32 v[177:178], v[2:3], v[12:13]
	v_mul_f64_e32 v[12:13], v[4:5], v[12:13]
	s_wait_loadcnt_dscnt 0x800
	v_mul_f64_e32 v[181:182], v[6:7], v[16:17]
	v_mul_f64_e32 v[16:17], v[8:9], v[16:17]
	v_add_f64_e32 v[171:172], 0, v[171:172]
	v_add_f64_e32 v[175:176], 0, v[175:176]
	v_fma_f64 v[177:178], v[4:5], v[10:11], v[177:178]
	v_fma_f64 v[183:184], v[2:3], v[10:11], -v[12:13]
	ds_load_b128 v[2:5], v1 offset:1392
	scratch_load_b128 v[10:13], off, off offset:576
	v_add_f64_e32 v[171:172], v[171:172], v[179:180]
	v_add_f64_e32 v[173:174], v[175:176], v[173:174]
	v_fma_f64 v[179:180], v[8:9], v[14:15], v[181:182]
	v_fma_f64 v[181:182], v[6:7], v[14:15], -v[16:17]
	ds_load_b128 v[6:9], v1 offset:1408
	scratch_load_b128 v[14:17], off, off offset:592
	s_wait_loadcnt_dscnt 0x901
	v_mul_f64_e32 v[175:176], v[2:3], v[20:21]
	v_mul_f64_e32 v[20:21], v[4:5], v[20:21]
	v_add_f64_e32 v[171:172], v[171:172], v[183:184]
	v_add_f64_e32 v[173:174], v[173:174], v[177:178]
	s_wait_loadcnt_dscnt 0x800
	v_mul_f64_e32 v[177:178], v[6:7], v[24:25]
	v_mul_f64_e32 v[24:25], v[8:9], v[24:25]
	v_fma_f64 v[175:176], v[4:5], v[18:19], v[175:176]
	v_fma_f64 v[183:184], v[2:3], v[18:19], -v[20:21]
	ds_load_b128 v[2:5], v1 offset:1424
	scratch_load_b128 v[18:21], off, off offset:608
	v_add_f64_e32 v[171:172], v[171:172], v[181:182]
	v_add_f64_e32 v[173:174], v[173:174], v[179:180]
	v_fma_f64 v[177:178], v[8:9], v[22:23], v[177:178]
	v_fma_f64 v[181:182], v[6:7], v[22:23], -v[24:25]
	ds_load_b128 v[6:9], v1 offset:1440
	s_wait_loadcnt_dscnt 0x801
	v_mul_f64_e32 v[179:180], v[2:3], v[28:29]
	v_mul_f64_e32 v[28:29], v[4:5], v[28:29]
	scratch_load_b128 v[22:25], off, off offset:624
	v_add_f64_e32 v[171:172], v[171:172], v[183:184]
	v_add_f64_e32 v[173:174], v[173:174], v[175:176]
	s_wait_loadcnt_dscnt 0x800
	v_mul_f64_e32 v[175:176], v[6:7], v[32:33]
	v_mul_f64_e32 v[32:33], v[8:9], v[32:33]
	v_fma_f64 v[179:180], v[4:5], v[26:27], v[179:180]
	v_fma_f64 v[183:184], v[2:3], v[26:27], -v[28:29]
	ds_load_b128 v[2:5], v1 offset:1456
	scratch_load_b128 v[26:29], off, off offset:640
	v_add_f64_e32 v[171:172], v[171:172], v[181:182]
	v_add_f64_e32 v[173:174], v[173:174], v[177:178]
	v_fma_f64 v[175:176], v[8:9], v[30:31], v[175:176]
	v_fma_f64 v[181:182], v[6:7], v[30:31], -v[32:33]
	ds_load_b128 v[6:9], v1 offset:1472
	s_wait_loadcnt_dscnt 0x801
	v_mul_f64_e32 v[177:178], v[2:3], v[36:37]
	v_mul_f64_e32 v[36:37], v[4:5], v[36:37]
	scratch_load_b128 v[30:33], off, off offset:656
	v_add_f64_e32 v[171:172], v[171:172], v[183:184]
	v_add_f64_e32 v[173:174], v[173:174], v[179:180]
	s_wait_loadcnt_dscnt 0x800
	v_mul_f64_e32 v[179:180], v[6:7], v[169:170]
	v_mul_f64_e32 v[169:170], v[8:9], v[169:170]
	v_fma_f64 v[177:178], v[4:5], v[34:35], v[177:178]
	v_fma_f64 v[183:184], v[2:3], v[34:35], -v[36:37]
	ds_load_b128 v[2:5], v1 offset:1488
	scratch_load_b128 v[34:37], off, off offset:672
	v_add_f64_e32 v[171:172], v[171:172], v[181:182]
	v_add_f64_e32 v[173:174], v[173:174], v[175:176]
	v_fma_f64 v[179:180], v[8:9], v[167:168], v[179:180]
	v_fma_f64 v[181:182], v[6:7], v[167:168], -v[169:170]
	ds_load_b128 v[6:9], v1 offset:1504
	scratch_load_b128 v[167:170], off, off offset:688
	s_wait_loadcnt_dscnt 0x901
	v_mul_f64_e32 v[175:176], v[2:3], v[40:41]
	v_mul_f64_e32 v[40:41], v[4:5], v[40:41]
	v_add_f64_e32 v[171:172], v[171:172], v[183:184]
	v_add_f64_e32 v[173:174], v[173:174], v[177:178]
	s_wait_loadcnt_dscnt 0x800
	v_mul_f64_e32 v[177:178], v[6:7], v[165:166]
	v_mul_f64_e32 v[165:166], v[8:9], v[165:166]
	v_fma_f64 v[175:176], v[4:5], v[38:39], v[175:176]
	v_fma_f64 v[183:184], v[2:3], v[38:39], -v[40:41]
	ds_load_b128 v[2:5], v1 offset:1520
	scratch_load_b128 v[38:41], off, off offset:704
	v_add_f64_e32 v[171:172], v[171:172], v[181:182]
	v_add_f64_e32 v[173:174], v[173:174], v[179:180]
	v_fma_f64 v[177:178], v[8:9], v[163:164], v[177:178]
	v_fma_f64 v[181:182], v[6:7], v[163:164], -v[165:166]
	ds_load_b128 v[6:9], v1 offset:1536
	s_wait_loadcnt_dscnt 0x801
	v_mul_f64_e32 v[179:180], v[2:3], v[12:13]
	v_mul_f64_e32 v[12:13], v[4:5], v[12:13]
	scratch_load_b128 v[163:166], off, off offset:720
	v_add_f64_e32 v[171:172], v[171:172], v[183:184]
	v_add_f64_e32 v[173:174], v[173:174], v[175:176]
	s_wait_loadcnt_dscnt 0x800
	v_mul_f64_e32 v[175:176], v[6:7], v[16:17]
	v_mul_f64_e32 v[16:17], v[8:9], v[16:17]
	v_fma_f64 v[179:180], v[4:5], v[10:11], v[179:180]
	v_fma_f64 v[183:184], v[2:3], v[10:11], -v[12:13]
	ds_load_b128 v[2:5], v1 offset:1552
	scratch_load_b128 v[10:13], off, off offset:736
	v_add_f64_e32 v[171:172], v[171:172], v[181:182]
	v_add_f64_e32 v[173:174], v[173:174], v[177:178]
	v_fma_f64 v[175:176], v[8:9], v[14:15], v[175:176]
	v_fma_f64 v[181:182], v[6:7], v[14:15], -v[16:17]
	ds_load_b128 v[6:9], v1 offset:1568
	s_wait_loadcnt_dscnt 0x801
	v_mul_f64_e32 v[177:178], v[2:3], v[20:21]
	v_mul_f64_e32 v[20:21], v[4:5], v[20:21]
	scratch_load_b128 v[14:17], off, off offset:752
	;; [unrolled: 18-line block ×8, first 2 shown]
	v_add_f64_e32 v[171:172], v[171:172], v[183:184]
	v_add_f64_e32 v[173:174], v[173:174], v[179:180]
	s_wait_loadcnt_dscnt 0x800
	v_mul_f64_e32 v[179:180], v[6:7], v[32:33]
	v_mul_f64_e32 v[32:33], v[8:9], v[32:33]
	v_fma_f64 v[177:178], v[4:5], v[26:27], v[177:178]
	v_fma_f64 v[183:184], v[2:3], v[26:27], -v[28:29]
	ds_load_b128 v[2:5], v1 offset:1776
	scratch_load_b128 v[26:29], off, off offset:960
	v_add_f64_e32 v[171:172], v[171:172], v[181:182]
	v_add_f64_e32 v[173:174], v[173:174], v[175:176]
	v_fma_f64 v[179:180], v[8:9], v[30:31], v[179:180]
	v_fma_f64 v[30:31], v[6:7], v[30:31], -v[32:33]
	ds_load_b128 v[6:9], v1 offset:1792
	s_wait_loadcnt_dscnt 0x801
	v_mul_f64_e32 v[175:176], v[2:3], v[36:37]
	v_mul_f64_e32 v[36:37], v[4:5], v[36:37]
	v_add_f64_e32 v[32:33], v[171:172], v[183:184]
	v_add_f64_e32 v[171:172], v[173:174], v[177:178]
	s_wait_loadcnt_dscnt 0x700
	v_mul_f64_e32 v[173:174], v[6:7], v[169:170]
	v_mul_f64_e32 v[169:170], v[8:9], v[169:170]
	v_fma_f64 v[175:176], v[4:5], v[34:35], v[175:176]
	v_fma_f64 v[34:35], v[2:3], v[34:35], -v[36:37]
	ds_load_b128 v[2:5], v1 offset:1808
	v_add_f64_e32 v[30:31], v[32:33], v[30:31]
	v_add_f64_e32 v[32:33], v[171:172], v[179:180]
	v_fma_f64 v[171:172], v[8:9], v[167:168], v[173:174]
	v_fma_f64 v[167:168], v[6:7], v[167:168], -v[169:170]
	ds_load_b128 v[6:9], v1 offset:1824
	s_wait_loadcnt_dscnt 0x500
	v_mul_f64_e32 v[173:174], v[6:7], v[165:166]
	v_mul_f64_e32 v[165:166], v[8:9], v[165:166]
	v_add_f64_e32 v[34:35], v[30:31], v[34:35]
	v_add_f64_e32 v[169:170], v[32:33], v[175:176]
	scratch_load_b128 v[30:33], off, off offset:368
	v_mul_f64_e32 v[36:37], v[2:3], v[40:41]
	v_mul_f64_e32 v[40:41], v[4:5], v[40:41]
	v_add_f64_e32 v[34:35], v[34:35], v[167:168]
	s_delay_alu instid0(VALU_DEP_3) | instskip(NEXT) | instid1(VALU_DEP_3)
	v_fma_f64 v[36:37], v[4:5], v[38:39], v[36:37]
	v_fma_f64 v[38:39], v[2:3], v[38:39], -v[40:41]
	v_add_f64_e32 v[40:41], v[169:170], v[171:172]
	ds_load_b128 v[2:5], v1 offset:1840
	v_fma_f64 v[169:170], v[8:9], v[163:164], v[173:174]
	v_fma_f64 v[163:164], v[6:7], v[163:164], -v[165:166]
	ds_load_b128 v[6:9], v1 offset:1856
	s_wait_loadcnt_dscnt 0x501
	v_mul_f64_e32 v[167:168], v[2:3], v[12:13]
	v_mul_f64_e32 v[12:13], v[4:5], v[12:13]
	v_add_f64_e32 v[34:35], v[34:35], v[38:39]
	v_add_f64_e32 v[36:37], v[40:41], v[36:37]
	s_wait_loadcnt_dscnt 0x400
	v_mul_f64_e32 v[38:39], v[6:7], v[16:17]
	v_mul_f64_e32 v[16:17], v[8:9], v[16:17]
	v_fma_f64 v[40:41], v[4:5], v[10:11], v[167:168]
	v_fma_f64 v[10:11], v[2:3], v[10:11], -v[12:13]
	ds_load_b128 v[2:5], v1 offset:1872
	v_add_f64_e32 v[12:13], v[34:35], v[163:164]
	v_add_f64_e32 v[34:35], v[36:37], v[169:170]
	v_fma_f64 v[38:39], v[8:9], v[14:15], v[38:39]
	v_fma_f64 v[14:15], v[6:7], v[14:15], -v[16:17]
	ds_load_b128 v[6:9], v1 offset:1888
	s_wait_loadcnt_dscnt 0x301
	v_mul_f64_e32 v[36:37], v[2:3], v[20:21]
	v_mul_f64_e32 v[20:21], v[4:5], v[20:21]
	s_wait_loadcnt_dscnt 0x200
	v_mul_f64_e32 v[16:17], v[6:7], v[24:25]
	v_mul_f64_e32 v[24:25], v[8:9], v[24:25]
	v_add_f64_e32 v[10:11], v[12:13], v[10:11]
	v_add_f64_e32 v[12:13], v[34:35], v[40:41]
	v_fma_f64 v[34:35], v[4:5], v[18:19], v[36:37]
	v_fma_f64 v[18:19], v[2:3], v[18:19], -v[20:21]
	ds_load_b128 v[2:5], v1 offset:1904
	v_fma_f64 v[8:9], v[8:9], v[22:23], v[16:17]
	v_fma_f64 v[6:7], v[6:7], v[22:23], -v[24:25]
	s_wait_loadcnt_dscnt 0x100
	v_mul_f64_e32 v[20:21], v[4:5], v[28:29]
	v_add_f64_e32 v[10:11], v[10:11], v[14:15]
	v_add_f64_e32 v[12:13], v[12:13], v[38:39]
	v_mul_f64_e32 v[14:15], v[2:3], v[28:29]
	s_delay_alu instid0(VALU_DEP_4) | instskip(NEXT) | instid1(VALU_DEP_4)
	v_fma_f64 v[2:3], v[2:3], v[26:27], -v[20:21]
	v_add_f64_e32 v[10:11], v[10:11], v[18:19]
	s_delay_alu instid0(VALU_DEP_4) | instskip(NEXT) | instid1(VALU_DEP_4)
	v_add_f64_e32 v[12:13], v[12:13], v[34:35]
	v_fma_f64 v[4:5], v[4:5], v[26:27], v[14:15]
	s_delay_alu instid0(VALU_DEP_3) | instskip(NEXT) | instid1(VALU_DEP_3)
	v_add_f64_e32 v[6:7], v[10:11], v[6:7]
	v_add_f64_e32 v[8:9], v[12:13], v[8:9]
	s_delay_alu instid0(VALU_DEP_2) | instskip(NEXT) | instid1(VALU_DEP_2)
	v_add_f64_e32 v[2:3], v[6:7], v[2:3]
	v_add_f64_e32 v[4:5], v[8:9], v[4:5]
	s_wait_loadcnt 0x0
	s_delay_alu instid0(VALU_DEP_2) | instskip(NEXT) | instid1(VALU_DEP_2)
	v_add_f64_e64 v[2:3], v[30:31], -v[2:3]
	v_add_f64_e64 v[4:5], v[32:33], -v[4:5]
	scratch_store_b128 off, v[2:5], off offset:368
	v_cmpx_lt_u32_e32 21, v0
	s_cbranch_execz .LBB123_331
; %bb.330:
	scratch_load_b128 v[5:8], off, s52
	v_dual_mov_b32 v2, v1 :: v_dual_mov_b32 v3, v1
	v_mov_b32_e32 v4, v1
	scratch_store_b128 off, v[1:4], off offset:352
	s_wait_loadcnt 0x0
	ds_store_b128 v162, v[5:8]
.LBB123_331:
	s_wait_alu 0xfffe
	s_or_b32 exec_lo, exec_lo, s0
	s_wait_storecnt_dscnt 0x0
	s_barrier_signal -1
	s_barrier_wait -1
	global_inv scope:SCOPE_SE
	s_clause 0x7
	scratch_load_b128 v[2:5], off, off offset:368
	scratch_load_b128 v[6:9], off, off offset:384
	;; [unrolled: 1-line block ×8, first 2 shown]
	ds_load_b128 v[38:41], v1 offset:1312
	ds_load_b128 v[163:166], v1 offset:1328
	s_clause 0x1
	scratch_load_b128 v[34:37], off, off offset:496
	scratch_load_b128 v[167:170], off, off offset:512
	s_mov_b32 s0, exec_lo
	s_wait_loadcnt_dscnt 0x901
	v_mul_f64_e32 v[171:172], v[40:41], v[4:5]
	v_mul_f64_e32 v[4:5], v[38:39], v[4:5]
	s_wait_loadcnt_dscnt 0x800
	v_mul_f64_e32 v[173:174], v[163:164], v[8:9]
	v_mul_f64_e32 v[8:9], v[165:166], v[8:9]
	s_delay_alu instid0(VALU_DEP_4) | instskip(NEXT) | instid1(VALU_DEP_4)
	v_fma_f64 v[171:172], v[38:39], v[2:3], -v[171:172]
	v_fma_f64 v[175:176], v[40:41], v[2:3], v[4:5]
	ds_load_b128 v[2:5], v1 offset:1344
	scratch_load_b128 v[38:41], off, off offset:528
	v_fma_f64 v[173:174], v[165:166], v[6:7], v[173:174]
	v_fma_f64 v[179:180], v[163:164], v[6:7], -v[8:9]
	ds_load_b128 v[6:9], v1 offset:1360
	scratch_load_b128 v[163:166], off, off offset:544
	s_wait_loadcnt_dscnt 0x901
	v_mul_f64_e32 v[177:178], v[2:3], v[12:13]
	v_mul_f64_e32 v[12:13], v[4:5], v[12:13]
	s_wait_loadcnt_dscnt 0x800
	v_mul_f64_e32 v[181:182], v[6:7], v[16:17]
	v_mul_f64_e32 v[16:17], v[8:9], v[16:17]
	v_add_f64_e32 v[171:172], 0, v[171:172]
	v_add_f64_e32 v[175:176], 0, v[175:176]
	v_fma_f64 v[177:178], v[4:5], v[10:11], v[177:178]
	v_fma_f64 v[183:184], v[2:3], v[10:11], -v[12:13]
	ds_load_b128 v[2:5], v1 offset:1376
	scratch_load_b128 v[10:13], off, off offset:560
	v_add_f64_e32 v[171:172], v[171:172], v[179:180]
	v_add_f64_e32 v[173:174], v[175:176], v[173:174]
	v_fma_f64 v[179:180], v[8:9], v[14:15], v[181:182]
	v_fma_f64 v[181:182], v[6:7], v[14:15], -v[16:17]
	ds_load_b128 v[6:9], v1 offset:1392
	scratch_load_b128 v[14:17], off, off offset:576
	s_wait_loadcnt_dscnt 0x901
	v_mul_f64_e32 v[175:176], v[2:3], v[20:21]
	v_mul_f64_e32 v[20:21], v[4:5], v[20:21]
	v_add_f64_e32 v[171:172], v[171:172], v[183:184]
	v_add_f64_e32 v[173:174], v[173:174], v[177:178]
	s_wait_loadcnt_dscnt 0x800
	v_mul_f64_e32 v[177:178], v[6:7], v[24:25]
	v_mul_f64_e32 v[24:25], v[8:9], v[24:25]
	v_fma_f64 v[175:176], v[4:5], v[18:19], v[175:176]
	v_fma_f64 v[183:184], v[2:3], v[18:19], -v[20:21]
	ds_load_b128 v[2:5], v1 offset:1408
	scratch_load_b128 v[18:21], off, off offset:592
	v_add_f64_e32 v[171:172], v[171:172], v[181:182]
	v_add_f64_e32 v[173:174], v[173:174], v[179:180]
	v_fma_f64 v[177:178], v[8:9], v[22:23], v[177:178]
	v_fma_f64 v[181:182], v[6:7], v[22:23], -v[24:25]
	ds_load_b128 v[6:9], v1 offset:1424
	s_wait_loadcnt_dscnt 0x801
	v_mul_f64_e32 v[179:180], v[2:3], v[28:29]
	v_mul_f64_e32 v[28:29], v[4:5], v[28:29]
	scratch_load_b128 v[22:25], off, off offset:608
	v_add_f64_e32 v[171:172], v[171:172], v[183:184]
	v_add_f64_e32 v[173:174], v[173:174], v[175:176]
	s_wait_loadcnt_dscnt 0x800
	v_mul_f64_e32 v[175:176], v[6:7], v[32:33]
	v_mul_f64_e32 v[32:33], v[8:9], v[32:33]
	v_fma_f64 v[179:180], v[4:5], v[26:27], v[179:180]
	v_fma_f64 v[183:184], v[2:3], v[26:27], -v[28:29]
	ds_load_b128 v[2:5], v1 offset:1440
	scratch_load_b128 v[26:29], off, off offset:624
	v_add_f64_e32 v[171:172], v[171:172], v[181:182]
	v_add_f64_e32 v[173:174], v[173:174], v[177:178]
	v_fma_f64 v[175:176], v[8:9], v[30:31], v[175:176]
	v_fma_f64 v[181:182], v[6:7], v[30:31], -v[32:33]
	ds_load_b128 v[6:9], v1 offset:1456
	s_wait_loadcnt_dscnt 0x801
	v_mul_f64_e32 v[177:178], v[2:3], v[36:37]
	v_mul_f64_e32 v[36:37], v[4:5], v[36:37]
	scratch_load_b128 v[30:33], off, off offset:640
	v_add_f64_e32 v[171:172], v[171:172], v[183:184]
	v_add_f64_e32 v[173:174], v[173:174], v[179:180]
	s_wait_loadcnt_dscnt 0x800
	v_mul_f64_e32 v[179:180], v[6:7], v[169:170]
	v_mul_f64_e32 v[169:170], v[8:9], v[169:170]
	v_fma_f64 v[177:178], v[4:5], v[34:35], v[177:178]
	v_fma_f64 v[183:184], v[2:3], v[34:35], -v[36:37]
	ds_load_b128 v[2:5], v1 offset:1472
	scratch_load_b128 v[34:37], off, off offset:656
	v_add_f64_e32 v[171:172], v[171:172], v[181:182]
	v_add_f64_e32 v[173:174], v[173:174], v[175:176]
	v_fma_f64 v[179:180], v[8:9], v[167:168], v[179:180]
	v_fma_f64 v[181:182], v[6:7], v[167:168], -v[169:170]
	ds_load_b128 v[6:9], v1 offset:1488
	scratch_load_b128 v[167:170], off, off offset:672
	s_wait_loadcnt_dscnt 0x901
	v_mul_f64_e32 v[175:176], v[2:3], v[40:41]
	v_mul_f64_e32 v[40:41], v[4:5], v[40:41]
	v_add_f64_e32 v[171:172], v[171:172], v[183:184]
	v_add_f64_e32 v[173:174], v[173:174], v[177:178]
	s_wait_loadcnt_dscnt 0x800
	v_mul_f64_e32 v[177:178], v[6:7], v[165:166]
	v_mul_f64_e32 v[165:166], v[8:9], v[165:166]
	v_fma_f64 v[175:176], v[4:5], v[38:39], v[175:176]
	v_fma_f64 v[183:184], v[2:3], v[38:39], -v[40:41]
	ds_load_b128 v[2:5], v1 offset:1504
	scratch_load_b128 v[38:41], off, off offset:688
	v_add_f64_e32 v[171:172], v[171:172], v[181:182]
	v_add_f64_e32 v[173:174], v[173:174], v[179:180]
	v_fma_f64 v[177:178], v[8:9], v[163:164], v[177:178]
	v_fma_f64 v[181:182], v[6:7], v[163:164], -v[165:166]
	ds_load_b128 v[6:9], v1 offset:1520
	s_wait_loadcnt_dscnt 0x801
	v_mul_f64_e32 v[179:180], v[2:3], v[12:13]
	v_mul_f64_e32 v[12:13], v[4:5], v[12:13]
	scratch_load_b128 v[163:166], off, off offset:704
	v_add_f64_e32 v[171:172], v[171:172], v[183:184]
	v_add_f64_e32 v[173:174], v[173:174], v[175:176]
	s_wait_loadcnt_dscnt 0x800
	v_mul_f64_e32 v[175:176], v[6:7], v[16:17]
	v_mul_f64_e32 v[16:17], v[8:9], v[16:17]
	v_fma_f64 v[179:180], v[4:5], v[10:11], v[179:180]
	v_fma_f64 v[183:184], v[2:3], v[10:11], -v[12:13]
	ds_load_b128 v[2:5], v1 offset:1536
	scratch_load_b128 v[10:13], off, off offset:720
	v_add_f64_e32 v[171:172], v[171:172], v[181:182]
	v_add_f64_e32 v[173:174], v[173:174], v[177:178]
	v_fma_f64 v[175:176], v[8:9], v[14:15], v[175:176]
	v_fma_f64 v[181:182], v[6:7], v[14:15], -v[16:17]
	ds_load_b128 v[6:9], v1 offset:1552
	s_wait_loadcnt_dscnt 0x801
	v_mul_f64_e32 v[177:178], v[2:3], v[20:21]
	v_mul_f64_e32 v[20:21], v[4:5], v[20:21]
	scratch_load_b128 v[14:17], off, off offset:736
	;; [unrolled: 18-line block ×9, first 2 shown]
	v_add_f64_e32 v[171:172], v[171:172], v[183:184]
	v_add_f64_e32 v[173:174], v[173:174], v[177:178]
	s_wait_loadcnt_dscnt 0x800
	v_mul_f64_e32 v[177:178], v[6:7], v[169:170]
	v_mul_f64_e32 v[169:170], v[8:9], v[169:170]
	v_fma_f64 v[175:176], v[4:5], v[34:35], v[175:176]
	v_fma_f64 v[34:35], v[2:3], v[34:35], -v[36:37]
	ds_load_b128 v[2:5], v1 offset:1792
	v_add_f64_e32 v[36:37], v[171:172], v[181:182]
	v_add_f64_e32 v[171:172], v[173:174], v[179:180]
	v_fma_f64 v[177:178], v[8:9], v[167:168], v[177:178]
	v_fma_f64 v[167:168], v[6:7], v[167:168], -v[169:170]
	ds_load_b128 v[6:9], v1 offset:1808
	s_wait_loadcnt_dscnt 0x701
	v_mul_f64_e32 v[173:174], v[2:3], v[40:41]
	v_mul_f64_e32 v[40:41], v[4:5], v[40:41]
	v_add_f64_e32 v[34:35], v[36:37], v[34:35]
	v_add_f64_e32 v[36:37], v[171:172], v[175:176]
	s_delay_alu instid0(VALU_DEP_4) | instskip(NEXT) | instid1(VALU_DEP_4)
	v_fma_f64 v[171:172], v[4:5], v[38:39], v[173:174]
	v_fma_f64 v[38:39], v[2:3], v[38:39], -v[40:41]
	ds_load_b128 v[2:5], v1 offset:1824
	v_add_f64_e32 v[40:41], v[34:35], v[167:168]
	v_add_f64_e32 v[167:168], v[36:37], v[177:178]
	scratch_load_b128 v[34:37], off, off offset:352
	s_wait_loadcnt_dscnt 0x701
	v_mul_f64_e32 v[169:170], v[6:7], v[165:166]
	v_mul_f64_e32 v[165:166], v[8:9], v[165:166]
	v_add_f64_e32 v[38:39], v[40:41], v[38:39]
	v_add_f64_e32 v[40:41], v[167:168], v[171:172]
	s_delay_alu instid0(VALU_DEP_4) | instskip(NEXT) | instid1(VALU_DEP_4)
	v_fma_f64 v[169:170], v[8:9], v[163:164], v[169:170]
	v_fma_f64 v[163:164], v[6:7], v[163:164], -v[165:166]
	ds_load_b128 v[6:9], v1 offset:1840
	s_wait_loadcnt_dscnt 0x601
	v_mul_f64_e32 v[173:174], v[2:3], v[12:13]
	v_mul_f64_e32 v[12:13], v[4:5], v[12:13]
	s_wait_loadcnt_dscnt 0x500
	v_mul_f64_e32 v[165:166], v[6:7], v[16:17]
	v_mul_f64_e32 v[16:17], v[8:9], v[16:17]
	s_delay_alu instid0(VALU_DEP_4) | instskip(NEXT) | instid1(VALU_DEP_4)
	v_fma_f64 v[167:168], v[4:5], v[10:11], v[173:174]
	v_fma_f64 v[10:11], v[2:3], v[10:11], -v[12:13]
	v_add_f64_e32 v[12:13], v[38:39], v[163:164]
	v_add_f64_e32 v[38:39], v[40:41], v[169:170]
	ds_load_b128 v[2:5], v1 offset:1856
	v_fma_f64 v[163:164], v[8:9], v[14:15], v[165:166]
	v_fma_f64 v[14:15], v[6:7], v[14:15], -v[16:17]
	ds_load_b128 v[6:9], v1 offset:1872
	s_wait_loadcnt_dscnt 0x401
	v_mul_f64_e32 v[40:41], v[2:3], v[20:21]
	v_mul_f64_e32 v[20:21], v[4:5], v[20:21]
	v_add_f64_e32 v[10:11], v[12:13], v[10:11]
	v_add_f64_e32 v[12:13], v[38:39], v[167:168]
	s_wait_loadcnt_dscnt 0x300
	v_mul_f64_e32 v[16:17], v[6:7], v[24:25]
	v_mul_f64_e32 v[24:25], v[8:9], v[24:25]
	v_fma_f64 v[38:39], v[4:5], v[18:19], v[40:41]
	v_fma_f64 v[18:19], v[2:3], v[18:19], -v[20:21]
	ds_load_b128 v[2:5], v1 offset:1888
	v_add_f64_e32 v[10:11], v[10:11], v[14:15]
	v_add_f64_e32 v[12:13], v[12:13], v[163:164]
	v_fma_f64 v[16:17], v[8:9], v[22:23], v[16:17]
	v_fma_f64 v[22:23], v[6:7], v[22:23], -v[24:25]
	ds_load_b128 v[6:9], v1 offset:1904
	s_wait_loadcnt_dscnt 0x201
	v_mul_f64_e32 v[14:15], v[2:3], v[28:29]
	v_mul_f64_e32 v[20:21], v[4:5], v[28:29]
	s_wait_loadcnt_dscnt 0x100
	v_mul_f64_e32 v[24:25], v[8:9], v[32:33]
	v_add_f64_e32 v[10:11], v[10:11], v[18:19]
	v_add_f64_e32 v[12:13], v[12:13], v[38:39]
	v_mul_f64_e32 v[18:19], v[6:7], v[32:33]
	v_fma_f64 v[4:5], v[4:5], v[26:27], v[14:15]
	v_fma_f64 v[1:2], v[2:3], v[26:27], -v[20:21]
	v_fma_f64 v[6:7], v[6:7], v[30:31], -v[24:25]
	v_add_f64_e32 v[10:11], v[10:11], v[22:23]
	v_add_f64_e32 v[12:13], v[12:13], v[16:17]
	v_fma_f64 v[8:9], v[8:9], v[30:31], v[18:19]
	s_delay_alu instid0(VALU_DEP_3) | instskip(NEXT) | instid1(VALU_DEP_3)
	v_add_f64_e32 v[1:2], v[10:11], v[1:2]
	v_add_f64_e32 v[3:4], v[12:13], v[4:5]
	s_delay_alu instid0(VALU_DEP_2) | instskip(NEXT) | instid1(VALU_DEP_2)
	v_add_f64_e32 v[1:2], v[1:2], v[6:7]
	v_add_f64_e32 v[3:4], v[3:4], v[8:9]
	s_wait_loadcnt 0x0
	s_delay_alu instid0(VALU_DEP_2) | instskip(NEXT) | instid1(VALU_DEP_2)
	v_add_f64_e64 v[1:2], v[34:35], -v[1:2]
	v_add_f64_e64 v[3:4], v[36:37], -v[3:4]
	scratch_store_b128 off, v[1:4], off offset:352
	v_cmpx_lt_u32_e32 20, v0
	s_cbranch_execz .LBB123_333
; %bb.332:
	scratch_load_b128 v[1:4], off, s53
	v_mov_b32_e32 v5, 0
	s_delay_alu instid0(VALU_DEP_1)
	v_dual_mov_b32 v6, v5 :: v_dual_mov_b32 v7, v5
	v_mov_b32_e32 v8, v5
	scratch_store_b128 off, v[5:8], off offset:336
	s_wait_loadcnt 0x0
	ds_store_b128 v162, v[1:4]
.LBB123_333:
	s_wait_alu 0xfffe
	s_or_b32 exec_lo, exec_lo, s0
	s_wait_storecnt_dscnt 0x0
	s_barrier_signal -1
	s_barrier_wait -1
	global_inv scope:SCOPE_SE
	s_clause 0x7
	scratch_load_b128 v[2:5], off, off offset:352
	scratch_load_b128 v[6:9], off, off offset:368
	;; [unrolled: 1-line block ×8, first 2 shown]
	v_mov_b32_e32 v1, 0
	s_clause 0x1
	scratch_load_b128 v[34:37], off, off offset:480
	scratch_load_b128 v[167:170], off, off offset:496
	s_mov_b32 s0, exec_lo
	ds_load_b128 v[38:41], v1 offset:1296
	ds_load_b128 v[163:166], v1 offset:1312
	s_wait_loadcnt_dscnt 0x901
	v_mul_f64_e32 v[171:172], v[40:41], v[4:5]
	v_mul_f64_e32 v[4:5], v[38:39], v[4:5]
	s_wait_loadcnt_dscnt 0x800
	v_mul_f64_e32 v[173:174], v[163:164], v[8:9]
	v_mul_f64_e32 v[8:9], v[165:166], v[8:9]
	s_delay_alu instid0(VALU_DEP_4) | instskip(NEXT) | instid1(VALU_DEP_4)
	v_fma_f64 v[171:172], v[38:39], v[2:3], -v[171:172]
	v_fma_f64 v[175:176], v[40:41], v[2:3], v[4:5]
	ds_load_b128 v[2:5], v1 offset:1328
	scratch_load_b128 v[38:41], off, off offset:512
	v_fma_f64 v[173:174], v[165:166], v[6:7], v[173:174]
	v_fma_f64 v[179:180], v[163:164], v[6:7], -v[8:9]
	ds_load_b128 v[6:9], v1 offset:1344
	scratch_load_b128 v[163:166], off, off offset:528
	s_wait_loadcnt_dscnt 0x901
	v_mul_f64_e32 v[177:178], v[2:3], v[12:13]
	v_mul_f64_e32 v[12:13], v[4:5], v[12:13]
	s_wait_loadcnt_dscnt 0x800
	v_mul_f64_e32 v[181:182], v[6:7], v[16:17]
	v_mul_f64_e32 v[16:17], v[8:9], v[16:17]
	v_add_f64_e32 v[171:172], 0, v[171:172]
	v_add_f64_e32 v[175:176], 0, v[175:176]
	v_fma_f64 v[177:178], v[4:5], v[10:11], v[177:178]
	v_fma_f64 v[183:184], v[2:3], v[10:11], -v[12:13]
	ds_load_b128 v[2:5], v1 offset:1360
	scratch_load_b128 v[10:13], off, off offset:544
	v_add_f64_e32 v[171:172], v[171:172], v[179:180]
	v_add_f64_e32 v[173:174], v[175:176], v[173:174]
	v_fma_f64 v[179:180], v[8:9], v[14:15], v[181:182]
	v_fma_f64 v[181:182], v[6:7], v[14:15], -v[16:17]
	ds_load_b128 v[6:9], v1 offset:1376
	scratch_load_b128 v[14:17], off, off offset:560
	s_wait_loadcnt_dscnt 0x901
	v_mul_f64_e32 v[175:176], v[2:3], v[20:21]
	v_mul_f64_e32 v[20:21], v[4:5], v[20:21]
	v_add_f64_e32 v[171:172], v[171:172], v[183:184]
	v_add_f64_e32 v[173:174], v[173:174], v[177:178]
	s_wait_loadcnt_dscnt 0x800
	v_mul_f64_e32 v[177:178], v[6:7], v[24:25]
	v_mul_f64_e32 v[24:25], v[8:9], v[24:25]
	v_fma_f64 v[175:176], v[4:5], v[18:19], v[175:176]
	v_fma_f64 v[183:184], v[2:3], v[18:19], -v[20:21]
	ds_load_b128 v[2:5], v1 offset:1392
	scratch_load_b128 v[18:21], off, off offset:576
	v_add_f64_e32 v[171:172], v[171:172], v[181:182]
	v_add_f64_e32 v[173:174], v[173:174], v[179:180]
	v_fma_f64 v[177:178], v[8:9], v[22:23], v[177:178]
	v_fma_f64 v[181:182], v[6:7], v[22:23], -v[24:25]
	ds_load_b128 v[6:9], v1 offset:1408
	s_wait_loadcnt_dscnt 0x801
	v_mul_f64_e32 v[179:180], v[2:3], v[28:29]
	v_mul_f64_e32 v[28:29], v[4:5], v[28:29]
	scratch_load_b128 v[22:25], off, off offset:592
	v_add_f64_e32 v[171:172], v[171:172], v[183:184]
	v_add_f64_e32 v[173:174], v[173:174], v[175:176]
	s_wait_loadcnt_dscnt 0x800
	v_mul_f64_e32 v[175:176], v[6:7], v[32:33]
	v_mul_f64_e32 v[32:33], v[8:9], v[32:33]
	v_fma_f64 v[179:180], v[4:5], v[26:27], v[179:180]
	v_fma_f64 v[183:184], v[2:3], v[26:27], -v[28:29]
	ds_load_b128 v[2:5], v1 offset:1424
	scratch_load_b128 v[26:29], off, off offset:608
	v_add_f64_e32 v[171:172], v[171:172], v[181:182]
	v_add_f64_e32 v[173:174], v[173:174], v[177:178]
	v_fma_f64 v[175:176], v[8:9], v[30:31], v[175:176]
	v_fma_f64 v[181:182], v[6:7], v[30:31], -v[32:33]
	ds_load_b128 v[6:9], v1 offset:1440
	s_wait_loadcnt_dscnt 0x801
	v_mul_f64_e32 v[177:178], v[2:3], v[36:37]
	v_mul_f64_e32 v[36:37], v[4:5], v[36:37]
	scratch_load_b128 v[30:33], off, off offset:624
	v_add_f64_e32 v[171:172], v[171:172], v[183:184]
	v_add_f64_e32 v[173:174], v[173:174], v[179:180]
	s_wait_loadcnt_dscnt 0x800
	v_mul_f64_e32 v[179:180], v[6:7], v[169:170]
	v_mul_f64_e32 v[169:170], v[8:9], v[169:170]
	v_fma_f64 v[177:178], v[4:5], v[34:35], v[177:178]
	v_fma_f64 v[183:184], v[2:3], v[34:35], -v[36:37]
	ds_load_b128 v[2:5], v1 offset:1456
	scratch_load_b128 v[34:37], off, off offset:640
	v_add_f64_e32 v[171:172], v[171:172], v[181:182]
	v_add_f64_e32 v[173:174], v[173:174], v[175:176]
	v_fma_f64 v[179:180], v[8:9], v[167:168], v[179:180]
	v_fma_f64 v[181:182], v[6:7], v[167:168], -v[169:170]
	ds_load_b128 v[6:9], v1 offset:1472
	scratch_load_b128 v[167:170], off, off offset:656
	s_wait_loadcnt_dscnt 0x901
	v_mul_f64_e32 v[175:176], v[2:3], v[40:41]
	v_mul_f64_e32 v[40:41], v[4:5], v[40:41]
	v_add_f64_e32 v[171:172], v[171:172], v[183:184]
	v_add_f64_e32 v[173:174], v[173:174], v[177:178]
	s_wait_loadcnt_dscnt 0x800
	v_mul_f64_e32 v[177:178], v[6:7], v[165:166]
	v_mul_f64_e32 v[165:166], v[8:9], v[165:166]
	v_fma_f64 v[175:176], v[4:5], v[38:39], v[175:176]
	v_fma_f64 v[183:184], v[2:3], v[38:39], -v[40:41]
	ds_load_b128 v[2:5], v1 offset:1488
	scratch_load_b128 v[38:41], off, off offset:672
	v_add_f64_e32 v[171:172], v[171:172], v[181:182]
	v_add_f64_e32 v[173:174], v[173:174], v[179:180]
	v_fma_f64 v[177:178], v[8:9], v[163:164], v[177:178]
	v_fma_f64 v[181:182], v[6:7], v[163:164], -v[165:166]
	ds_load_b128 v[6:9], v1 offset:1504
	s_wait_loadcnt_dscnt 0x801
	v_mul_f64_e32 v[179:180], v[2:3], v[12:13]
	v_mul_f64_e32 v[12:13], v[4:5], v[12:13]
	scratch_load_b128 v[163:166], off, off offset:688
	v_add_f64_e32 v[171:172], v[171:172], v[183:184]
	v_add_f64_e32 v[173:174], v[173:174], v[175:176]
	s_wait_loadcnt_dscnt 0x800
	v_mul_f64_e32 v[175:176], v[6:7], v[16:17]
	v_mul_f64_e32 v[16:17], v[8:9], v[16:17]
	v_fma_f64 v[179:180], v[4:5], v[10:11], v[179:180]
	v_fma_f64 v[183:184], v[2:3], v[10:11], -v[12:13]
	ds_load_b128 v[2:5], v1 offset:1520
	scratch_load_b128 v[10:13], off, off offset:704
	v_add_f64_e32 v[171:172], v[171:172], v[181:182]
	v_add_f64_e32 v[173:174], v[173:174], v[177:178]
	v_fma_f64 v[175:176], v[8:9], v[14:15], v[175:176]
	v_fma_f64 v[181:182], v[6:7], v[14:15], -v[16:17]
	ds_load_b128 v[6:9], v1 offset:1536
	s_wait_loadcnt_dscnt 0x801
	v_mul_f64_e32 v[177:178], v[2:3], v[20:21]
	v_mul_f64_e32 v[20:21], v[4:5], v[20:21]
	scratch_load_b128 v[14:17], off, off offset:720
	;; [unrolled: 18-line block ×9, first 2 shown]
	v_add_f64_e32 v[171:172], v[171:172], v[183:184]
	v_add_f64_e32 v[173:174], v[173:174], v[177:178]
	s_wait_loadcnt_dscnt 0x800
	v_mul_f64_e32 v[177:178], v[6:7], v[169:170]
	v_mul_f64_e32 v[169:170], v[8:9], v[169:170]
	v_fma_f64 v[175:176], v[4:5], v[34:35], v[175:176]
	v_fma_f64 v[183:184], v[2:3], v[34:35], -v[36:37]
	ds_load_b128 v[2:5], v1 offset:1776
	scratch_load_b128 v[34:37], off, off offset:960
	v_add_f64_e32 v[171:172], v[171:172], v[181:182]
	v_add_f64_e32 v[173:174], v[173:174], v[179:180]
	v_fma_f64 v[177:178], v[8:9], v[167:168], v[177:178]
	v_fma_f64 v[167:168], v[6:7], v[167:168], -v[169:170]
	ds_load_b128 v[6:9], v1 offset:1792
	s_wait_loadcnt_dscnt 0x801
	v_mul_f64_e32 v[179:180], v[2:3], v[40:41]
	v_mul_f64_e32 v[40:41], v[4:5], v[40:41]
	v_add_f64_e32 v[169:170], v[171:172], v[183:184]
	v_add_f64_e32 v[171:172], v[173:174], v[175:176]
	s_wait_loadcnt_dscnt 0x700
	v_mul_f64_e32 v[173:174], v[6:7], v[165:166]
	v_mul_f64_e32 v[165:166], v[8:9], v[165:166]
	v_fma_f64 v[175:176], v[4:5], v[38:39], v[179:180]
	v_fma_f64 v[38:39], v[2:3], v[38:39], -v[40:41]
	ds_load_b128 v[2:5], v1 offset:1808
	v_add_f64_e32 v[40:41], v[169:170], v[167:168]
	v_add_f64_e32 v[167:168], v[171:172], v[177:178]
	v_fma_f64 v[171:172], v[8:9], v[163:164], v[173:174]
	v_fma_f64 v[163:164], v[6:7], v[163:164], -v[165:166]
	ds_load_b128 v[6:9], v1 offset:1824
	s_wait_loadcnt_dscnt 0x500
	v_mul_f64_e32 v[173:174], v[6:7], v[16:17]
	v_mul_f64_e32 v[16:17], v[8:9], v[16:17]
	v_add_f64_e32 v[165:166], v[40:41], v[38:39]
	v_add_f64_e32 v[167:168], v[167:168], v[175:176]
	scratch_load_b128 v[38:41], off, off offset:336
	v_mul_f64_e32 v[169:170], v[2:3], v[12:13]
	v_mul_f64_e32 v[12:13], v[4:5], v[12:13]
	s_delay_alu instid0(VALU_DEP_2) | instskip(NEXT) | instid1(VALU_DEP_2)
	v_fma_f64 v[169:170], v[4:5], v[10:11], v[169:170]
	v_fma_f64 v[10:11], v[2:3], v[10:11], -v[12:13]
	v_add_f64_e32 v[12:13], v[165:166], v[163:164]
	v_add_f64_e32 v[163:164], v[167:168], v[171:172]
	ds_load_b128 v[2:5], v1 offset:1840
	v_fma_f64 v[167:168], v[8:9], v[14:15], v[173:174]
	v_fma_f64 v[14:15], v[6:7], v[14:15], -v[16:17]
	ds_load_b128 v[6:9], v1 offset:1856
	s_wait_loadcnt_dscnt 0x501
	v_mul_f64_e32 v[165:166], v[2:3], v[20:21]
	v_mul_f64_e32 v[20:21], v[4:5], v[20:21]
	s_wait_loadcnt_dscnt 0x400
	v_mul_f64_e32 v[16:17], v[6:7], v[24:25]
	v_mul_f64_e32 v[24:25], v[8:9], v[24:25]
	v_add_f64_e32 v[10:11], v[12:13], v[10:11]
	v_add_f64_e32 v[12:13], v[163:164], v[169:170]
	v_fma_f64 v[163:164], v[4:5], v[18:19], v[165:166]
	v_fma_f64 v[18:19], v[2:3], v[18:19], -v[20:21]
	ds_load_b128 v[2:5], v1 offset:1872
	v_fma_f64 v[16:17], v[8:9], v[22:23], v[16:17]
	v_fma_f64 v[22:23], v[6:7], v[22:23], -v[24:25]
	ds_load_b128 v[6:9], v1 offset:1888
	v_add_f64_e32 v[10:11], v[10:11], v[14:15]
	v_add_f64_e32 v[12:13], v[12:13], v[167:168]
	s_wait_loadcnt_dscnt 0x301
	v_mul_f64_e32 v[14:15], v[2:3], v[28:29]
	v_mul_f64_e32 v[20:21], v[4:5], v[28:29]
	s_wait_loadcnt_dscnt 0x200
	v_mul_f64_e32 v[24:25], v[8:9], v[32:33]
	v_add_f64_e32 v[10:11], v[10:11], v[18:19]
	v_add_f64_e32 v[12:13], v[12:13], v[163:164]
	v_mul_f64_e32 v[18:19], v[6:7], v[32:33]
	v_fma_f64 v[14:15], v[4:5], v[26:27], v[14:15]
	v_fma_f64 v[20:21], v[2:3], v[26:27], -v[20:21]
	ds_load_b128 v[2:5], v1 offset:1904
	v_fma_f64 v[6:7], v[6:7], v[30:31], -v[24:25]
	v_add_f64_e32 v[10:11], v[10:11], v[22:23]
	v_add_f64_e32 v[12:13], v[12:13], v[16:17]
	s_wait_loadcnt_dscnt 0x100
	v_mul_f64_e32 v[16:17], v[2:3], v[36:37]
	v_mul_f64_e32 v[22:23], v[4:5], v[36:37]
	v_fma_f64 v[8:9], v[8:9], v[30:31], v[18:19]
	v_add_f64_e32 v[10:11], v[10:11], v[20:21]
	v_add_f64_e32 v[12:13], v[12:13], v[14:15]
	v_fma_f64 v[4:5], v[4:5], v[34:35], v[16:17]
	v_fma_f64 v[2:3], v[2:3], v[34:35], -v[22:23]
	s_delay_alu instid0(VALU_DEP_4) | instskip(NEXT) | instid1(VALU_DEP_4)
	v_add_f64_e32 v[6:7], v[10:11], v[6:7]
	v_add_f64_e32 v[8:9], v[12:13], v[8:9]
	s_delay_alu instid0(VALU_DEP_2) | instskip(NEXT) | instid1(VALU_DEP_2)
	v_add_f64_e32 v[2:3], v[6:7], v[2:3]
	v_add_f64_e32 v[4:5], v[8:9], v[4:5]
	s_wait_loadcnt 0x0
	s_delay_alu instid0(VALU_DEP_2) | instskip(NEXT) | instid1(VALU_DEP_2)
	v_add_f64_e64 v[2:3], v[38:39], -v[2:3]
	v_add_f64_e64 v[4:5], v[40:41], -v[4:5]
	scratch_store_b128 off, v[2:5], off offset:336
	v_cmpx_lt_u32_e32 19, v0
	s_cbranch_execz .LBB123_335
; %bb.334:
	scratch_load_b128 v[5:8], off, s54
	v_dual_mov_b32 v2, v1 :: v_dual_mov_b32 v3, v1
	v_mov_b32_e32 v4, v1
	scratch_store_b128 off, v[1:4], off offset:320
	s_wait_loadcnt 0x0
	ds_store_b128 v162, v[5:8]
.LBB123_335:
	s_wait_alu 0xfffe
	s_or_b32 exec_lo, exec_lo, s0
	s_wait_storecnt_dscnt 0x0
	s_barrier_signal -1
	s_barrier_wait -1
	global_inv scope:SCOPE_SE
	s_clause 0x7
	scratch_load_b128 v[2:5], off, off offset:336
	scratch_load_b128 v[6:9], off, off offset:352
	;; [unrolled: 1-line block ×8, first 2 shown]
	ds_load_b128 v[38:41], v1 offset:1280
	ds_load_b128 v[163:166], v1 offset:1296
	s_clause 0x1
	scratch_load_b128 v[34:37], off, off offset:464
	scratch_load_b128 v[167:170], off, off offset:480
	s_mov_b32 s0, exec_lo
	s_wait_loadcnt_dscnt 0x901
	v_mul_f64_e32 v[171:172], v[40:41], v[4:5]
	v_mul_f64_e32 v[4:5], v[38:39], v[4:5]
	s_wait_loadcnt_dscnt 0x800
	v_mul_f64_e32 v[173:174], v[163:164], v[8:9]
	v_mul_f64_e32 v[8:9], v[165:166], v[8:9]
	s_delay_alu instid0(VALU_DEP_4) | instskip(NEXT) | instid1(VALU_DEP_4)
	v_fma_f64 v[171:172], v[38:39], v[2:3], -v[171:172]
	v_fma_f64 v[175:176], v[40:41], v[2:3], v[4:5]
	ds_load_b128 v[2:5], v1 offset:1312
	scratch_load_b128 v[38:41], off, off offset:496
	v_fma_f64 v[173:174], v[165:166], v[6:7], v[173:174]
	v_fma_f64 v[179:180], v[163:164], v[6:7], -v[8:9]
	ds_load_b128 v[6:9], v1 offset:1328
	scratch_load_b128 v[163:166], off, off offset:512
	s_wait_loadcnt_dscnt 0x901
	v_mul_f64_e32 v[177:178], v[2:3], v[12:13]
	v_mul_f64_e32 v[12:13], v[4:5], v[12:13]
	s_wait_loadcnt_dscnt 0x800
	v_mul_f64_e32 v[181:182], v[6:7], v[16:17]
	v_mul_f64_e32 v[16:17], v[8:9], v[16:17]
	v_add_f64_e32 v[171:172], 0, v[171:172]
	v_add_f64_e32 v[175:176], 0, v[175:176]
	v_fma_f64 v[177:178], v[4:5], v[10:11], v[177:178]
	v_fma_f64 v[183:184], v[2:3], v[10:11], -v[12:13]
	ds_load_b128 v[2:5], v1 offset:1344
	scratch_load_b128 v[10:13], off, off offset:528
	v_add_f64_e32 v[171:172], v[171:172], v[179:180]
	v_add_f64_e32 v[173:174], v[175:176], v[173:174]
	v_fma_f64 v[179:180], v[8:9], v[14:15], v[181:182]
	v_fma_f64 v[181:182], v[6:7], v[14:15], -v[16:17]
	ds_load_b128 v[6:9], v1 offset:1360
	scratch_load_b128 v[14:17], off, off offset:544
	s_wait_loadcnt_dscnt 0x901
	v_mul_f64_e32 v[175:176], v[2:3], v[20:21]
	v_mul_f64_e32 v[20:21], v[4:5], v[20:21]
	v_add_f64_e32 v[171:172], v[171:172], v[183:184]
	v_add_f64_e32 v[173:174], v[173:174], v[177:178]
	s_wait_loadcnt_dscnt 0x800
	v_mul_f64_e32 v[177:178], v[6:7], v[24:25]
	v_mul_f64_e32 v[24:25], v[8:9], v[24:25]
	v_fma_f64 v[175:176], v[4:5], v[18:19], v[175:176]
	v_fma_f64 v[183:184], v[2:3], v[18:19], -v[20:21]
	ds_load_b128 v[2:5], v1 offset:1376
	scratch_load_b128 v[18:21], off, off offset:560
	v_add_f64_e32 v[171:172], v[171:172], v[181:182]
	v_add_f64_e32 v[173:174], v[173:174], v[179:180]
	v_fma_f64 v[177:178], v[8:9], v[22:23], v[177:178]
	v_fma_f64 v[181:182], v[6:7], v[22:23], -v[24:25]
	ds_load_b128 v[6:9], v1 offset:1392
	s_wait_loadcnt_dscnt 0x801
	v_mul_f64_e32 v[179:180], v[2:3], v[28:29]
	v_mul_f64_e32 v[28:29], v[4:5], v[28:29]
	scratch_load_b128 v[22:25], off, off offset:576
	v_add_f64_e32 v[171:172], v[171:172], v[183:184]
	v_add_f64_e32 v[173:174], v[173:174], v[175:176]
	s_wait_loadcnt_dscnt 0x800
	v_mul_f64_e32 v[175:176], v[6:7], v[32:33]
	v_mul_f64_e32 v[32:33], v[8:9], v[32:33]
	v_fma_f64 v[179:180], v[4:5], v[26:27], v[179:180]
	v_fma_f64 v[183:184], v[2:3], v[26:27], -v[28:29]
	ds_load_b128 v[2:5], v1 offset:1408
	scratch_load_b128 v[26:29], off, off offset:592
	v_add_f64_e32 v[171:172], v[171:172], v[181:182]
	v_add_f64_e32 v[173:174], v[173:174], v[177:178]
	v_fma_f64 v[175:176], v[8:9], v[30:31], v[175:176]
	v_fma_f64 v[181:182], v[6:7], v[30:31], -v[32:33]
	ds_load_b128 v[6:9], v1 offset:1424
	s_wait_loadcnt_dscnt 0x801
	v_mul_f64_e32 v[177:178], v[2:3], v[36:37]
	v_mul_f64_e32 v[36:37], v[4:5], v[36:37]
	scratch_load_b128 v[30:33], off, off offset:608
	v_add_f64_e32 v[171:172], v[171:172], v[183:184]
	v_add_f64_e32 v[173:174], v[173:174], v[179:180]
	s_wait_loadcnt_dscnt 0x800
	v_mul_f64_e32 v[179:180], v[6:7], v[169:170]
	v_mul_f64_e32 v[169:170], v[8:9], v[169:170]
	v_fma_f64 v[177:178], v[4:5], v[34:35], v[177:178]
	v_fma_f64 v[183:184], v[2:3], v[34:35], -v[36:37]
	ds_load_b128 v[2:5], v1 offset:1440
	scratch_load_b128 v[34:37], off, off offset:624
	v_add_f64_e32 v[171:172], v[171:172], v[181:182]
	v_add_f64_e32 v[173:174], v[173:174], v[175:176]
	v_fma_f64 v[179:180], v[8:9], v[167:168], v[179:180]
	v_fma_f64 v[181:182], v[6:7], v[167:168], -v[169:170]
	ds_load_b128 v[6:9], v1 offset:1456
	scratch_load_b128 v[167:170], off, off offset:640
	s_wait_loadcnt_dscnt 0x901
	v_mul_f64_e32 v[175:176], v[2:3], v[40:41]
	v_mul_f64_e32 v[40:41], v[4:5], v[40:41]
	v_add_f64_e32 v[171:172], v[171:172], v[183:184]
	v_add_f64_e32 v[173:174], v[173:174], v[177:178]
	s_wait_loadcnt_dscnt 0x800
	v_mul_f64_e32 v[177:178], v[6:7], v[165:166]
	v_mul_f64_e32 v[165:166], v[8:9], v[165:166]
	v_fma_f64 v[175:176], v[4:5], v[38:39], v[175:176]
	v_fma_f64 v[183:184], v[2:3], v[38:39], -v[40:41]
	ds_load_b128 v[2:5], v1 offset:1472
	scratch_load_b128 v[38:41], off, off offset:656
	v_add_f64_e32 v[171:172], v[171:172], v[181:182]
	v_add_f64_e32 v[173:174], v[173:174], v[179:180]
	v_fma_f64 v[177:178], v[8:9], v[163:164], v[177:178]
	v_fma_f64 v[181:182], v[6:7], v[163:164], -v[165:166]
	ds_load_b128 v[6:9], v1 offset:1488
	s_wait_loadcnt_dscnt 0x801
	v_mul_f64_e32 v[179:180], v[2:3], v[12:13]
	v_mul_f64_e32 v[12:13], v[4:5], v[12:13]
	scratch_load_b128 v[163:166], off, off offset:672
	v_add_f64_e32 v[171:172], v[171:172], v[183:184]
	v_add_f64_e32 v[173:174], v[173:174], v[175:176]
	s_wait_loadcnt_dscnt 0x800
	v_mul_f64_e32 v[175:176], v[6:7], v[16:17]
	v_mul_f64_e32 v[16:17], v[8:9], v[16:17]
	v_fma_f64 v[179:180], v[4:5], v[10:11], v[179:180]
	v_fma_f64 v[183:184], v[2:3], v[10:11], -v[12:13]
	scratch_load_b128 v[10:13], off, off offset:688
	ds_load_b128 v[2:5], v1 offset:1504
	v_add_f64_e32 v[171:172], v[171:172], v[181:182]
	v_add_f64_e32 v[173:174], v[173:174], v[177:178]
	v_fma_f64 v[175:176], v[8:9], v[14:15], v[175:176]
	v_fma_f64 v[181:182], v[6:7], v[14:15], -v[16:17]
	ds_load_b128 v[6:9], v1 offset:1520
	s_wait_loadcnt_dscnt 0x801
	v_mul_f64_e32 v[177:178], v[2:3], v[20:21]
	v_mul_f64_e32 v[20:21], v[4:5], v[20:21]
	scratch_load_b128 v[14:17], off, off offset:704
	v_add_f64_e32 v[171:172], v[171:172], v[183:184]
	v_add_f64_e32 v[173:174], v[173:174], v[179:180]
	s_wait_loadcnt_dscnt 0x800
	v_mul_f64_e32 v[179:180], v[6:7], v[24:25]
	v_mul_f64_e32 v[24:25], v[8:9], v[24:25]
	v_fma_f64 v[177:178], v[4:5], v[18:19], v[177:178]
	v_fma_f64 v[183:184], v[2:3], v[18:19], -v[20:21]
	ds_load_b128 v[2:5], v1 offset:1536
	scratch_load_b128 v[18:21], off, off offset:720
	v_add_f64_e32 v[171:172], v[171:172], v[181:182]
	v_add_f64_e32 v[173:174], v[173:174], v[175:176]
	v_fma_f64 v[179:180], v[8:9], v[22:23], v[179:180]
	v_fma_f64 v[181:182], v[6:7], v[22:23], -v[24:25]
	ds_load_b128 v[6:9], v1 offset:1552
	s_wait_loadcnt_dscnt 0x801
	v_mul_f64_e32 v[175:176], v[2:3], v[28:29]
	v_mul_f64_e32 v[28:29], v[4:5], v[28:29]
	scratch_load_b128 v[22:25], off, off offset:736
	v_add_f64_e32 v[171:172], v[171:172], v[183:184]
	v_add_f64_e32 v[173:174], v[173:174], v[177:178]
	s_wait_loadcnt_dscnt 0x800
	v_mul_f64_e32 v[177:178], v[6:7], v[32:33]
	v_mul_f64_e32 v[32:33], v[8:9], v[32:33]
	v_fma_f64 v[175:176], v[4:5], v[26:27], v[175:176]
	v_fma_f64 v[183:184], v[2:3], v[26:27], -v[28:29]
	ds_load_b128 v[2:5], v1 offset:1568
	scratch_load_b128 v[26:29], off, off offset:752
	v_add_f64_e32 v[171:172], v[171:172], v[181:182]
	v_add_f64_e32 v[173:174], v[173:174], v[179:180]
	v_fma_f64 v[177:178], v[8:9], v[30:31], v[177:178]
	v_fma_f64 v[181:182], v[6:7], v[30:31], -v[32:33]
	ds_load_b128 v[6:9], v1 offset:1584
	s_wait_loadcnt_dscnt 0x801
	v_mul_f64_e32 v[179:180], v[2:3], v[36:37]
	v_mul_f64_e32 v[36:37], v[4:5], v[36:37]
	scratch_load_b128 v[30:33], off, off offset:768
	v_add_f64_e32 v[171:172], v[171:172], v[183:184]
	v_add_f64_e32 v[173:174], v[173:174], v[175:176]
	s_wait_loadcnt_dscnt 0x800
	v_mul_f64_e32 v[175:176], v[6:7], v[169:170]
	v_mul_f64_e32 v[169:170], v[8:9], v[169:170]
	v_fma_f64 v[179:180], v[4:5], v[34:35], v[179:180]
	v_fma_f64 v[183:184], v[2:3], v[34:35], -v[36:37]
	ds_load_b128 v[2:5], v1 offset:1600
	scratch_load_b128 v[34:37], off, off offset:784
	v_add_f64_e32 v[171:172], v[171:172], v[181:182]
	v_add_f64_e32 v[173:174], v[173:174], v[177:178]
	v_fma_f64 v[175:176], v[8:9], v[167:168], v[175:176]
	v_fma_f64 v[181:182], v[6:7], v[167:168], -v[169:170]
	ds_load_b128 v[6:9], v1 offset:1616
	s_wait_loadcnt_dscnt 0x801
	v_mul_f64_e32 v[177:178], v[2:3], v[40:41]
	v_mul_f64_e32 v[40:41], v[4:5], v[40:41]
	scratch_load_b128 v[167:170], off, off offset:800
	v_add_f64_e32 v[171:172], v[171:172], v[183:184]
	v_add_f64_e32 v[173:174], v[173:174], v[179:180]
	s_wait_loadcnt_dscnt 0x800
	v_mul_f64_e32 v[179:180], v[6:7], v[165:166]
	v_mul_f64_e32 v[165:166], v[8:9], v[165:166]
	v_fma_f64 v[177:178], v[4:5], v[38:39], v[177:178]
	v_fma_f64 v[183:184], v[2:3], v[38:39], -v[40:41]
	ds_load_b128 v[2:5], v1 offset:1632
	scratch_load_b128 v[38:41], off, off offset:816
	v_add_f64_e32 v[171:172], v[171:172], v[181:182]
	v_add_f64_e32 v[173:174], v[173:174], v[175:176]
	v_fma_f64 v[179:180], v[8:9], v[163:164], v[179:180]
	v_fma_f64 v[181:182], v[6:7], v[163:164], -v[165:166]
	ds_load_b128 v[6:9], v1 offset:1648
	s_wait_loadcnt_dscnt 0x801
	v_mul_f64_e32 v[175:176], v[2:3], v[12:13]
	v_mul_f64_e32 v[12:13], v[4:5], v[12:13]
	scratch_load_b128 v[163:166], off, off offset:832
	v_add_f64_e32 v[171:172], v[171:172], v[183:184]
	v_add_f64_e32 v[173:174], v[173:174], v[177:178]
	s_wait_loadcnt_dscnt 0x800
	v_mul_f64_e32 v[177:178], v[6:7], v[16:17]
	v_mul_f64_e32 v[16:17], v[8:9], v[16:17]
	v_fma_f64 v[175:176], v[4:5], v[10:11], v[175:176]
	v_fma_f64 v[183:184], v[2:3], v[10:11], -v[12:13]
	scratch_load_b128 v[10:13], off, off offset:848
	ds_load_b128 v[2:5], v1 offset:1664
	v_add_f64_e32 v[171:172], v[171:172], v[181:182]
	v_add_f64_e32 v[173:174], v[173:174], v[179:180]
	v_fma_f64 v[177:178], v[8:9], v[14:15], v[177:178]
	v_fma_f64 v[181:182], v[6:7], v[14:15], -v[16:17]
	ds_load_b128 v[6:9], v1 offset:1680
	s_wait_loadcnt_dscnt 0x801
	v_mul_f64_e32 v[179:180], v[2:3], v[20:21]
	v_mul_f64_e32 v[20:21], v[4:5], v[20:21]
	scratch_load_b128 v[14:17], off, off offset:864
	v_add_f64_e32 v[171:172], v[171:172], v[183:184]
	v_add_f64_e32 v[173:174], v[173:174], v[175:176]
	s_wait_loadcnt_dscnt 0x800
	v_mul_f64_e32 v[175:176], v[6:7], v[24:25]
	v_mul_f64_e32 v[24:25], v[8:9], v[24:25]
	v_fma_f64 v[179:180], v[4:5], v[18:19], v[179:180]
	v_fma_f64 v[183:184], v[2:3], v[18:19], -v[20:21]
	ds_load_b128 v[2:5], v1 offset:1696
	scratch_load_b128 v[18:21], off, off offset:880
	v_add_f64_e32 v[171:172], v[171:172], v[181:182]
	v_add_f64_e32 v[173:174], v[173:174], v[177:178]
	v_fma_f64 v[175:176], v[8:9], v[22:23], v[175:176]
	v_fma_f64 v[181:182], v[6:7], v[22:23], -v[24:25]
	ds_load_b128 v[6:9], v1 offset:1712
	s_wait_loadcnt_dscnt 0x801
	v_mul_f64_e32 v[177:178], v[2:3], v[28:29]
	v_mul_f64_e32 v[28:29], v[4:5], v[28:29]
	scratch_load_b128 v[22:25], off, off offset:896
	v_add_f64_e32 v[171:172], v[171:172], v[183:184]
	v_add_f64_e32 v[173:174], v[173:174], v[179:180]
	s_wait_loadcnt_dscnt 0x800
	v_mul_f64_e32 v[179:180], v[6:7], v[32:33]
	v_mul_f64_e32 v[32:33], v[8:9], v[32:33]
	v_fma_f64 v[177:178], v[4:5], v[26:27], v[177:178]
	v_fma_f64 v[183:184], v[2:3], v[26:27], -v[28:29]
	ds_load_b128 v[2:5], v1 offset:1728
	scratch_load_b128 v[26:29], off, off offset:912
	;; [unrolled: 18-line block ×3, first 2 shown]
	v_add_f64_e32 v[171:172], v[171:172], v[181:182]
	v_add_f64_e32 v[173:174], v[173:174], v[179:180]
	v_fma_f64 v[177:178], v[8:9], v[167:168], v[177:178]
	v_fma_f64 v[181:182], v[6:7], v[167:168], -v[169:170]
	ds_load_b128 v[6:9], v1 offset:1776
	s_wait_loadcnt_dscnt 0x801
	v_mul_f64_e32 v[179:180], v[2:3], v[40:41]
	v_mul_f64_e32 v[40:41], v[4:5], v[40:41]
	scratch_load_b128 v[167:170], off, off offset:960
	v_add_f64_e32 v[171:172], v[171:172], v[183:184]
	v_add_f64_e32 v[173:174], v[173:174], v[175:176]
	v_fma_f64 v[179:180], v[4:5], v[38:39], v[179:180]
	v_fma_f64 v[38:39], v[2:3], v[38:39], -v[40:41]
	ds_load_b128 v[2:5], v1 offset:1792
	v_add_f64_e32 v[40:41], v[171:172], v[181:182]
	v_add_f64_e32 v[171:172], v[173:174], v[177:178]
	s_wait_loadcnt_dscnt 0x700
	v_mul_f64_e32 v[173:174], v[2:3], v[12:13]
	v_mul_f64_e32 v[12:13], v[4:5], v[12:13]
	s_delay_alu instid0(VALU_DEP_4) | instskip(NEXT) | instid1(VALU_DEP_4)
	v_add_f64_e32 v[38:39], v[40:41], v[38:39]
	v_add_f64_e32 v[40:41], v[171:172], v[179:180]
	s_delay_alu instid0(VALU_DEP_4) | instskip(NEXT) | instid1(VALU_DEP_4)
	v_fma_f64 v[171:172], v[4:5], v[10:11], v[173:174]
	v_fma_f64 v[173:174], v[2:3], v[10:11], -v[12:13]
	scratch_load_b128 v[10:13], off, off offset:320
	v_mul_f64_e32 v[175:176], v[6:7], v[165:166]
	v_mul_f64_e32 v[165:166], v[8:9], v[165:166]
	ds_load_b128 v[2:5], v1 offset:1824
	v_fma_f64 v[175:176], v[8:9], v[163:164], v[175:176]
	v_fma_f64 v[163:164], v[6:7], v[163:164], -v[165:166]
	ds_load_b128 v[6:9], v1 offset:1808
	s_wait_loadcnt_dscnt 0x700
	v_mul_f64_e32 v[165:166], v[6:7], v[16:17]
	v_mul_f64_e32 v[16:17], v[8:9], v[16:17]
	v_add_f64_e32 v[40:41], v[40:41], v[175:176]
	v_add_f64_e32 v[38:39], v[38:39], v[163:164]
	s_wait_loadcnt 0x6
	v_mul_f64_e32 v[163:164], v[2:3], v[20:21]
	v_mul_f64_e32 v[20:21], v[4:5], v[20:21]
	v_fma_f64 v[165:166], v[8:9], v[14:15], v[165:166]
	v_fma_f64 v[14:15], v[6:7], v[14:15], -v[16:17]
	ds_load_b128 v[6:9], v1 offset:1840
	v_add_f64_e32 v[16:17], v[38:39], v[173:174]
	v_add_f64_e32 v[38:39], v[40:41], v[171:172]
	v_fma_f64 v[163:164], v[4:5], v[18:19], v[163:164]
	v_fma_f64 v[18:19], v[2:3], v[18:19], -v[20:21]
	ds_load_b128 v[2:5], v1 offset:1856
	s_wait_loadcnt_dscnt 0x501
	v_mul_f64_e32 v[40:41], v[6:7], v[24:25]
	v_mul_f64_e32 v[24:25], v[8:9], v[24:25]
	s_wait_loadcnt_dscnt 0x400
	v_mul_f64_e32 v[20:21], v[2:3], v[28:29]
	v_mul_f64_e32 v[28:29], v[4:5], v[28:29]
	v_add_f64_e32 v[14:15], v[16:17], v[14:15]
	v_add_f64_e32 v[16:17], v[38:39], v[165:166]
	v_fma_f64 v[38:39], v[8:9], v[22:23], v[40:41]
	v_fma_f64 v[22:23], v[6:7], v[22:23], -v[24:25]
	ds_load_b128 v[6:9], v1 offset:1872
	v_fma_f64 v[20:21], v[4:5], v[26:27], v[20:21]
	v_fma_f64 v[26:27], v[2:3], v[26:27], -v[28:29]
	ds_load_b128 v[2:5], v1 offset:1888
	s_wait_loadcnt_dscnt 0x301
	v_mul_f64_e32 v[24:25], v[8:9], v[32:33]
	v_add_f64_e32 v[14:15], v[14:15], v[18:19]
	v_add_f64_e32 v[16:17], v[16:17], v[163:164]
	v_mul_f64_e32 v[18:19], v[6:7], v[32:33]
	s_wait_loadcnt_dscnt 0x200
	v_mul_f64_e32 v[28:29], v[4:5], v[36:37]
	v_fma_f64 v[24:25], v[6:7], v[30:31], -v[24:25]
	v_add_f64_e32 v[14:15], v[14:15], v[22:23]
	v_add_f64_e32 v[16:17], v[16:17], v[38:39]
	v_mul_f64_e32 v[22:23], v[2:3], v[36:37]
	v_fma_f64 v[18:19], v[8:9], v[30:31], v[18:19]
	ds_load_b128 v[6:9], v1 offset:1904
	v_fma_f64 v[1:2], v[2:3], v[34:35], -v[28:29]
	v_add_f64_e32 v[14:15], v[14:15], v[26:27]
	v_add_f64_e32 v[16:17], v[16:17], v[20:21]
	s_wait_loadcnt_dscnt 0x100
	v_mul_f64_e32 v[20:21], v[6:7], v[169:170]
	v_mul_f64_e32 v[26:27], v[8:9], v[169:170]
	v_fma_f64 v[4:5], v[4:5], v[34:35], v[22:23]
	v_add_f64_e32 v[14:15], v[14:15], v[24:25]
	v_add_f64_e32 v[16:17], v[16:17], v[18:19]
	v_fma_f64 v[8:9], v[8:9], v[167:168], v[20:21]
	v_fma_f64 v[6:7], v[6:7], v[167:168], -v[26:27]
	s_delay_alu instid0(VALU_DEP_4) | instskip(NEXT) | instid1(VALU_DEP_4)
	v_add_f64_e32 v[1:2], v[14:15], v[1:2]
	v_add_f64_e32 v[3:4], v[16:17], v[4:5]
	s_delay_alu instid0(VALU_DEP_2) | instskip(NEXT) | instid1(VALU_DEP_2)
	v_add_f64_e32 v[1:2], v[1:2], v[6:7]
	v_add_f64_e32 v[3:4], v[3:4], v[8:9]
	s_wait_loadcnt 0x0
	s_delay_alu instid0(VALU_DEP_2) | instskip(NEXT) | instid1(VALU_DEP_2)
	v_add_f64_e64 v[1:2], v[10:11], -v[1:2]
	v_add_f64_e64 v[3:4], v[12:13], -v[3:4]
	scratch_store_b128 off, v[1:4], off offset:320
	v_cmpx_lt_u32_e32 18, v0
	s_cbranch_execz .LBB123_337
; %bb.336:
	scratch_load_b128 v[1:4], off, s55
	v_mov_b32_e32 v5, 0
	s_delay_alu instid0(VALU_DEP_1)
	v_dual_mov_b32 v6, v5 :: v_dual_mov_b32 v7, v5
	v_mov_b32_e32 v8, v5
	scratch_store_b128 off, v[5:8], off offset:304
	s_wait_loadcnt 0x0
	ds_store_b128 v162, v[1:4]
.LBB123_337:
	s_wait_alu 0xfffe
	s_or_b32 exec_lo, exec_lo, s0
	s_wait_storecnt_dscnt 0x0
	s_barrier_signal -1
	s_barrier_wait -1
	global_inv scope:SCOPE_SE
	s_clause 0x7
	scratch_load_b128 v[2:5], off, off offset:320
	scratch_load_b128 v[6:9], off, off offset:336
	;; [unrolled: 1-line block ×8, first 2 shown]
	v_mov_b32_e32 v1, 0
	s_clause 0x1
	scratch_load_b128 v[34:37], off, off offset:448
	scratch_load_b128 v[167:170], off, off offset:464
	s_mov_b32 s0, exec_lo
	ds_load_b128 v[38:41], v1 offset:1264
	ds_load_b128 v[163:166], v1 offset:1280
	s_wait_loadcnt_dscnt 0x901
	v_mul_f64_e32 v[171:172], v[40:41], v[4:5]
	v_mul_f64_e32 v[4:5], v[38:39], v[4:5]
	s_wait_loadcnt_dscnt 0x800
	v_mul_f64_e32 v[173:174], v[163:164], v[8:9]
	v_mul_f64_e32 v[8:9], v[165:166], v[8:9]
	s_delay_alu instid0(VALU_DEP_4) | instskip(NEXT) | instid1(VALU_DEP_4)
	v_fma_f64 v[171:172], v[38:39], v[2:3], -v[171:172]
	v_fma_f64 v[175:176], v[40:41], v[2:3], v[4:5]
	ds_load_b128 v[2:5], v1 offset:1296
	scratch_load_b128 v[38:41], off, off offset:480
	v_fma_f64 v[173:174], v[165:166], v[6:7], v[173:174]
	v_fma_f64 v[179:180], v[163:164], v[6:7], -v[8:9]
	ds_load_b128 v[6:9], v1 offset:1312
	scratch_load_b128 v[163:166], off, off offset:496
	s_wait_loadcnt_dscnt 0x901
	v_mul_f64_e32 v[177:178], v[2:3], v[12:13]
	v_mul_f64_e32 v[12:13], v[4:5], v[12:13]
	s_wait_loadcnt_dscnt 0x800
	v_mul_f64_e32 v[181:182], v[6:7], v[16:17]
	v_mul_f64_e32 v[16:17], v[8:9], v[16:17]
	v_add_f64_e32 v[171:172], 0, v[171:172]
	v_add_f64_e32 v[175:176], 0, v[175:176]
	v_fma_f64 v[177:178], v[4:5], v[10:11], v[177:178]
	v_fma_f64 v[183:184], v[2:3], v[10:11], -v[12:13]
	ds_load_b128 v[2:5], v1 offset:1328
	scratch_load_b128 v[10:13], off, off offset:512
	v_add_f64_e32 v[171:172], v[171:172], v[179:180]
	v_add_f64_e32 v[173:174], v[175:176], v[173:174]
	v_fma_f64 v[179:180], v[8:9], v[14:15], v[181:182]
	v_fma_f64 v[181:182], v[6:7], v[14:15], -v[16:17]
	ds_load_b128 v[6:9], v1 offset:1344
	scratch_load_b128 v[14:17], off, off offset:528
	s_wait_loadcnt_dscnt 0x901
	v_mul_f64_e32 v[175:176], v[2:3], v[20:21]
	v_mul_f64_e32 v[20:21], v[4:5], v[20:21]
	v_add_f64_e32 v[171:172], v[171:172], v[183:184]
	v_add_f64_e32 v[173:174], v[173:174], v[177:178]
	s_wait_loadcnt_dscnt 0x800
	v_mul_f64_e32 v[177:178], v[6:7], v[24:25]
	v_mul_f64_e32 v[24:25], v[8:9], v[24:25]
	v_fma_f64 v[175:176], v[4:5], v[18:19], v[175:176]
	v_fma_f64 v[183:184], v[2:3], v[18:19], -v[20:21]
	ds_load_b128 v[2:5], v1 offset:1360
	scratch_load_b128 v[18:21], off, off offset:544
	v_add_f64_e32 v[171:172], v[171:172], v[181:182]
	v_add_f64_e32 v[173:174], v[173:174], v[179:180]
	v_fma_f64 v[177:178], v[8:9], v[22:23], v[177:178]
	v_fma_f64 v[181:182], v[6:7], v[22:23], -v[24:25]
	ds_load_b128 v[6:9], v1 offset:1376
	s_wait_loadcnt_dscnt 0x801
	v_mul_f64_e32 v[179:180], v[2:3], v[28:29]
	v_mul_f64_e32 v[28:29], v[4:5], v[28:29]
	scratch_load_b128 v[22:25], off, off offset:560
	v_add_f64_e32 v[171:172], v[171:172], v[183:184]
	v_add_f64_e32 v[173:174], v[173:174], v[175:176]
	s_wait_loadcnt_dscnt 0x800
	v_mul_f64_e32 v[175:176], v[6:7], v[32:33]
	v_mul_f64_e32 v[32:33], v[8:9], v[32:33]
	v_fma_f64 v[179:180], v[4:5], v[26:27], v[179:180]
	v_fma_f64 v[183:184], v[2:3], v[26:27], -v[28:29]
	ds_load_b128 v[2:5], v1 offset:1392
	scratch_load_b128 v[26:29], off, off offset:576
	v_add_f64_e32 v[171:172], v[171:172], v[181:182]
	v_add_f64_e32 v[173:174], v[173:174], v[177:178]
	v_fma_f64 v[175:176], v[8:9], v[30:31], v[175:176]
	v_fma_f64 v[181:182], v[6:7], v[30:31], -v[32:33]
	ds_load_b128 v[6:9], v1 offset:1408
	s_wait_loadcnt_dscnt 0x801
	v_mul_f64_e32 v[177:178], v[2:3], v[36:37]
	v_mul_f64_e32 v[36:37], v[4:5], v[36:37]
	scratch_load_b128 v[30:33], off, off offset:592
	v_add_f64_e32 v[171:172], v[171:172], v[183:184]
	v_add_f64_e32 v[173:174], v[173:174], v[179:180]
	s_wait_loadcnt_dscnt 0x800
	v_mul_f64_e32 v[179:180], v[6:7], v[169:170]
	v_mul_f64_e32 v[169:170], v[8:9], v[169:170]
	v_fma_f64 v[177:178], v[4:5], v[34:35], v[177:178]
	v_fma_f64 v[183:184], v[2:3], v[34:35], -v[36:37]
	ds_load_b128 v[2:5], v1 offset:1424
	scratch_load_b128 v[34:37], off, off offset:608
	v_add_f64_e32 v[171:172], v[171:172], v[181:182]
	v_add_f64_e32 v[173:174], v[173:174], v[175:176]
	v_fma_f64 v[179:180], v[8:9], v[167:168], v[179:180]
	v_fma_f64 v[181:182], v[6:7], v[167:168], -v[169:170]
	ds_load_b128 v[6:9], v1 offset:1440
	scratch_load_b128 v[167:170], off, off offset:624
	s_wait_loadcnt_dscnt 0x901
	v_mul_f64_e32 v[175:176], v[2:3], v[40:41]
	v_mul_f64_e32 v[40:41], v[4:5], v[40:41]
	v_add_f64_e32 v[171:172], v[171:172], v[183:184]
	v_add_f64_e32 v[173:174], v[173:174], v[177:178]
	s_wait_loadcnt_dscnt 0x800
	v_mul_f64_e32 v[177:178], v[6:7], v[165:166]
	v_mul_f64_e32 v[165:166], v[8:9], v[165:166]
	v_fma_f64 v[175:176], v[4:5], v[38:39], v[175:176]
	v_fma_f64 v[183:184], v[2:3], v[38:39], -v[40:41]
	ds_load_b128 v[2:5], v1 offset:1456
	scratch_load_b128 v[38:41], off, off offset:640
	v_add_f64_e32 v[171:172], v[171:172], v[181:182]
	v_add_f64_e32 v[173:174], v[173:174], v[179:180]
	v_fma_f64 v[177:178], v[8:9], v[163:164], v[177:178]
	v_fma_f64 v[181:182], v[6:7], v[163:164], -v[165:166]
	ds_load_b128 v[6:9], v1 offset:1472
	s_wait_loadcnt_dscnt 0x801
	v_mul_f64_e32 v[179:180], v[2:3], v[12:13]
	v_mul_f64_e32 v[12:13], v[4:5], v[12:13]
	scratch_load_b128 v[163:166], off, off offset:656
	v_add_f64_e32 v[171:172], v[171:172], v[183:184]
	v_add_f64_e32 v[173:174], v[173:174], v[175:176]
	s_wait_loadcnt_dscnt 0x800
	v_mul_f64_e32 v[175:176], v[6:7], v[16:17]
	v_mul_f64_e32 v[16:17], v[8:9], v[16:17]
	v_fma_f64 v[179:180], v[4:5], v[10:11], v[179:180]
	v_fma_f64 v[183:184], v[2:3], v[10:11], -v[12:13]
	ds_load_b128 v[2:5], v1 offset:1488
	scratch_load_b128 v[10:13], off, off offset:672
	v_add_f64_e32 v[171:172], v[171:172], v[181:182]
	v_add_f64_e32 v[173:174], v[173:174], v[177:178]
	v_fma_f64 v[175:176], v[8:9], v[14:15], v[175:176]
	v_fma_f64 v[181:182], v[6:7], v[14:15], -v[16:17]
	ds_load_b128 v[6:9], v1 offset:1504
	s_wait_loadcnt_dscnt 0x801
	v_mul_f64_e32 v[177:178], v[2:3], v[20:21]
	v_mul_f64_e32 v[20:21], v[4:5], v[20:21]
	scratch_load_b128 v[14:17], off, off offset:688
	;; [unrolled: 18-line block ×10, first 2 shown]
	v_add_f64_e32 v[171:172], v[171:172], v[183:184]
	v_add_f64_e32 v[173:174], v[173:174], v[175:176]
	s_wait_loadcnt_dscnt 0x800
	v_mul_f64_e32 v[175:176], v[6:7], v[165:166]
	v_mul_f64_e32 v[165:166], v[8:9], v[165:166]
	v_fma_f64 v[179:180], v[4:5], v[38:39], v[179:180]
	v_fma_f64 v[183:184], v[2:3], v[38:39], -v[40:41]
	ds_load_b128 v[2:5], v1 offset:1776
	scratch_load_b128 v[38:41], off, off offset:960
	v_add_f64_e32 v[171:172], v[171:172], v[181:182]
	v_add_f64_e32 v[173:174], v[173:174], v[177:178]
	v_fma_f64 v[175:176], v[8:9], v[163:164], v[175:176]
	v_fma_f64 v[163:164], v[6:7], v[163:164], -v[165:166]
	ds_load_b128 v[6:9], v1 offset:1792
	s_wait_loadcnt_dscnt 0x801
	v_mul_f64_e32 v[177:178], v[2:3], v[12:13]
	v_mul_f64_e32 v[12:13], v[4:5], v[12:13]
	v_add_f64_e32 v[165:166], v[171:172], v[183:184]
	v_add_f64_e32 v[171:172], v[173:174], v[179:180]
	s_wait_loadcnt_dscnt 0x700
	v_mul_f64_e32 v[173:174], v[6:7], v[16:17]
	v_mul_f64_e32 v[16:17], v[8:9], v[16:17]
	v_fma_f64 v[177:178], v[4:5], v[10:11], v[177:178]
	v_fma_f64 v[10:11], v[2:3], v[10:11], -v[12:13]
	ds_load_b128 v[2:5], v1 offset:1808
	v_add_f64_e32 v[12:13], v[165:166], v[163:164]
	v_add_f64_e32 v[163:164], v[171:172], v[175:176]
	v_fma_f64 v[171:172], v[8:9], v[14:15], v[173:174]
	v_fma_f64 v[14:15], v[6:7], v[14:15], -v[16:17]
	ds_load_b128 v[6:9], v1 offset:1824
	s_wait_loadcnt_dscnt 0x500
	v_mul_f64_e32 v[173:174], v[6:7], v[24:25]
	v_mul_f64_e32 v[24:25], v[8:9], v[24:25]
	v_add_f64_e32 v[16:17], v[12:13], v[10:11]
	v_add_f64_e32 v[163:164], v[163:164], v[177:178]
	scratch_load_b128 v[10:13], off, off offset:304
	v_mul_f64_e32 v[165:166], v[2:3], v[20:21]
	v_mul_f64_e32 v[20:21], v[4:5], v[20:21]
	v_add_f64_e32 v[14:15], v[16:17], v[14:15]
	v_add_f64_e32 v[16:17], v[163:164], v[171:172]
	v_fma_f64 v[163:164], v[8:9], v[22:23], v[173:174]
	v_fma_f64 v[165:166], v[4:5], v[18:19], v[165:166]
	v_fma_f64 v[18:19], v[2:3], v[18:19], -v[20:21]
	ds_load_b128 v[2:5], v1 offset:1840
	v_fma_f64 v[22:23], v[6:7], v[22:23], -v[24:25]
	ds_load_b128 v[6:9], v1 offset:1856
	s_wait_loadcnt_dscnt 0x501
	v_mul_f64_e32 v[20:21], v[2:3], v[28:29]
	v_mul_f64_e32 v[28:29], v[4:5], v[28:29]
	s_wait_loadcnt_dscnt 0x400
	v_mul_f64_e32 v[24:25], v[8:9], v[32:33]
	v_add_f64_e32 v[16:17], v[16:17], v[165:166]
	v_add_f64_e32 v[14:15], v[14:15], v[18:19]
	v_mul_f64_e32 v[18:19], v[6:7], v[32:33]
	v_fma_f64 v[20:21], v[4:5], v[26:27], v[20:21]
	v_fma_f64 v[26:27], v[2:3], v[26:27], -v[28:29]
	ds_load_b128 v[2:5], v1 offset:1872
	v_fma_f64 v[24:25], v[6:7], v[30:31], -v[24:25]
	v_add_f64_e32 v[16:17], v[16:17], v[163:164]
	v_add_f64_e32 v[14:15], v[14:15], v[22:23]
	v_fma_f64 v[18:19], v[8:9], v[30:31], v[18:19]
	ds_load_b128 v[6:9], v1 offset:1888
	s_wait_loadcnt_dscnt 0x301
	v_mul_f64_e32 v[22:23], v[2:3], v[36:37]
	v_mul_f64_e32 v[28:29], v[4:5], v[36:37]
	v_add_f64_e32 v[16:17], v[16:17], v[20:21]
	v_add_f64_e32 v[14:15], v[14:15], v[26:27]
	s_wait_loadcnt_dscnt 0x200
	v_mul_f64_e32 v[20:21], v[6:7], v[169:170]
	v_mul_f64_e32 v[26:27], v[8:9], v[169:170]
	v_fma_f64 v[22:23], v[4:5], v[34:35], v[22:23]
	v_fma_f64 v[28:29], v[2:3], v[34:35], -v[28:29]
	ds_load_b128 v[2:5], v1 offset:1904
	v_add_f64_e32 v[16:17], v[16:17], v[18:19]
	v_add_f64_e32 v[14:15], v[14:15], v[24:25]
	s_wait_loadcnt_dscnt 0x100
	v_mul_f64_e32 v[18:19], v[2:3], v[40:41]
	v_mul_f64_e32 v[24:25], v[4:5], v[40:41]
	v_fma_f64 v[8:9], v[8:9], v[167:168], v[20:21]
	v_fma_f64 v[6:7], v[6:7], v[167:168], -v[26:27]
	v_add_f64_e32 v[16:17], v[16:17], v[22:23]
	v_add_f64_e32 v[14:15], v[14:15], v[28:29]
	v_fma_f64 v[4:5], v[4:5], v[38:39], v[18:19]
	v_fma_f64 v[2:3], v[2:3], v[38:39], -v[24:25]
	s_delay_alu instid0(VALU_DEP_4) | instskip(NEXT) | instid1(VALU_DEP_4)
	v_add_f64_e32 v[8:9], v[16:17], v[8:9]
	v_add_f64_e32 v[6:7], v[14:15], v[6:7]
	s_delay_alu instid0(VALU_DEP_2) | instskip(NEXT) | instid1(VALU_DEP_2)
	v_add_f64_e32 v[4:5], v[8:9], v[4:5]
	v_add_f64_e32 v[2:3], v[6:7], v[2:3]
	s_wait_loadcnt 0x0
	s_delay_alu instid0(VALU_DEP_2) | instskip(NEXT) | instid1(VALU_DEP_2)
	v_add_f64_e64 v[4:5], v[12:13], -v[4:5]
	v_add_f64_e64 v[2:3], v[10:11], -v[2:3]
	scratch_store_b128 off, v[2:5], off offset:304
	v_cmpx_lt_u32_e32 17, v0
	s_cbranch_execz .LBB123_339
; %bb.338:
	scratch_load_b128 v[5:8], off, s56
	v_dual_mov_b32 v2, v1 :: v_dual_mov_b32 v3, v1
	v_mov_b32_e32 v4, v1
	scratch_store_b128 off, v[1:4], off offset:288
	s_wait_loadcnt 0x0
	ds_store_b128 v162, v[5:8]
.LBB123_339:
	s_wait_alu 0xfffe
	s_or_b32 exec_lo, exec_lo, s0
	s_wait_storecnt_dscnt 0x0
	s_barrier_signal -1
	s_barrier_wait -1
	global_inv scope:SCOPE_SE
	s_clause 0x7
	scratch_load_b128 v[2:5], off, off offset:304
	scratch_load_b128 v[6:9], off, off offset:320
	;; [unrolled: 1-line block ×8, first 2 shown]
	ds_load_b128 v[38:41], v1 offset:1248
	ds_load_b128 v[163:166], v1 offset:1264
	s_clause 0x1
	scratch_load_b128 v[34:37], off, off offset:432
	scratch_load_b128 v[167:170], off, off offset:448
	s_mov_b32 s0, exec_lo
	s_wait_loadcnt_dscnt 0x901
	v_mul_f64_e32 v[171:172], v[40:41], v[4:5]
	v_mul_f64_e32 v[4:5], v[38:39], v[4:5]
	s_wait_loadcnt_dscnt 0x800
	v_mul_f64_e32 v[173:174], v[163:164], v[8:9]
	v_mul_f64_e32 v[8:9], v[165:166], v[8:9]
	s_delay_alu instid0(VALU_DEP_4) | instskip(NEXT) | instid1(VALU_DEP_4)
	v_fma_f64 v[171:172], v[38:39], v[2:3], -v[171:172]
	v_fma_f64 v[175:176], v[40:41], v[2:3], v[4:5]
	ds_load_b128 v[2:5], v1 offset:1280
	scratch_load_b128 v[38:41], off, off offset:464
	v_fma_f64 v[173:174], v[165:166], v[6:7], v[173:174]
	v_fma_f64 v[179:180], v[163:164], v[6:7], -v[8:9]
	ds_load_b128 v[6:9], v1 offset:1296
	scratch_load_b128 v[163:166], off, off offset:480
	s_wait_loadcnt_dscnt 0x901
	v_mul_f64_e32 v[177:178], v[2:3], v[12:13]
	v_mul_f64_e32 v[12:13], v[4:5], v[12:13]
	s_wait_loadcnt_dscnt 0x800
	v_mul_f64_e32 v[181:182], v[6:7], v[16:17]
	v_mul_f64_e32 v[16:17], v[8:9], v[16:17]
	v_add_f64_e32 v[171:172], 0, v[171:172]
	v_add_f64_e32 v[175:176], 0, v[175:176]
	v_fma_f64 v[177:178], v[4:5], v[10:11], v[177:178]
	v_fma_f64 v[183:184], v[2:3], v[10:11], -v[12:13]
	ds_load_b128 v[2:5], v1 offset:1312
	scratch_load_b128 v[10:13], off, off offset:496
	v_add_f64_e32 v[171:172], v[171:172], v[179:180]
	v_add_f64_e32 v[173:174], v[175:176], v[173:174]
	v_fma_f64 v[179:180], v[8:9], v[14:15], v[181:182]
	v_fma_f64 v[181:182], v[6:7], v[14:15], -v[16:17]
	ds_load_b128 v[6:9], v1 offset:1328
	scratch_load_b128 v[14:17], off, off offset:512
	s_wait_loadcnt_dscnt 0x901
	v_mul_f64_e32 v[175:176], v[2:3], v[20:21]
	v_mul_f64_e32 v[20:21], v[4:5], v[20:21]
	v_add_f64_e32 v[171:172], v[171:172], v[183:184]
	v_add_f64_e32 v[173:174], v[173:174], v[177:178]
	s_wait_loadcnt_dscnt 0x800
	v_mul_f64_e32 v[177:178], v[6:7], v[24:25]
	v_mul_f64_e32 v[24:25], v[8:9], v[24:25]
	v_fma_f64 v[175:176], v[4:5], v[18:19], v[175:176]
	v_fma_f64 v[183:184], v[2:3], v[18:19], -v[20:21]
	ds_load_b128 v[2:5], v1 offset:1344
	scratch_load_b128 v[18:21], off, off offset:528
	v_add_f64_e32 v[171:172], v[171:172], v[181:182]
	v_add_f64_e32 v[173:174], v[173:174], v[179:180]
	v_fma_f64 v[177:178], v[8:9], v[22:23], v[177:178]
	v_fma_f64 v[181:182], v[6:7], v[22:23], -v[24:25]
	ds_load_b128 v[6:9], v1 offset:1360
	s_wait_loadcnt_dscnt 0x801
	v_mul_f64_e32 v[179:180], v[2:3], v[28:29]
	v_mul_f64_e32 v[28:29], v[4:5], v[28:29]
	scratch_load_b128 v[22:25], off, off offset:544
	v_add_f64_e32 v[171:172], v[171:172], v[183:184]
	v_add_f64_e32 v[173:174], v[173:174], v[175:176]
	s_wait_loadcnt_dscnt 0x800
	v_mul_f64_e32 v[175:176], v[6:7], v[32:33]
	v_mul_f64_e32 v[32:33], v[8:9], v[32:33]
	v_fma_f64 v[179:180], v[4:5], v[26:27], v[179:180]
	v_fma_f64 v[183:184], v[2:3], v[26:27], -v[28:29]
	ds_load_b128 v[2:5], v1 offset:1376
	scratch_load_b128 v[26:29], off, off offset:560
	v_add_f64_e32 v[171:172], v[171:172], v[181:182]
	v_add_f64_e32 v[173:174], v[173:174], v[177:178]
	v_fma_f64 v[175:176], v[8:9], v[30:31], v[175:176]
	v_fma_f64 v[181:182], v[6:7], v[30:31], -v[32:33]
	ds_load_b128 v[6:9], v1 offset:1392
	s_wait_loadcnt_dscnt 0x801
	v_mul_f64_e32 v[177:178], v[2:3], v[36:37]
	v_mul_f64_e32 v[36:37], v[4:5], v[36:37]
	scratch_load_b128 v[30:33], off, off offset:576
	v_add_f64_e32 v[171:172], v[171:172], v[183:184]
	v_add_f64_e32 v[173:174], v[173:174], v[179:180]
	s_wait_loadcnt_dscnt 0x800
	v_mul_f64_e32 v[179:180], v[6:7], v[169:170]
	v_mul_f64_e32 v[169:170], v[8:9], v[169:170]
	v_fma_f64 v[177:178], v[4:5], v[34:35], v[177:178]
	v_fma_f64 v[183:184], v[2:3], v[34:35], -v[36:37]
	ds_load_b128 v[2:5], v1 offset:1408
	scratch_load_b128 v[34:37], off, off offset:592
	v_add_f64_e32 v[171:172], v[171:172], v[181:182]
	v_add_f64_e32 v[173:174], v[173:174], v[175:176]
	v_fma_f64 v[179:180], v[8:9], v[167:168], v[179:180]
	v_fma_f64 v[181:182], v[6:7], v[167:168], -v[169:170]
	ds_load_b128 v[6:9], v1 offset:1424
	scratch_load_b128 v[167:170], off, off offset:608
	s_wait_loadcnt_dscnt 0x901
	v_mul_f64_e32 v[175:176], v[2:3], v[40:41]
	v_mul_f64_e32 v[40:41], v[4:5], v[40:41]
	v_add_f64_e32 v[171:172], v[171:172], v[183:184]
	v_add_f64_e32 v[173:174], v[173:174], v[177:178]
	s_wait_loadcnt_dscnt 0x800
	v_mul_f64_e32 v[177:178], v[6:7], v[165:166]
	v_mul_f64_e32 v[165:166], v[8:9], v[165:166]
	v_fma_f64 v[175:176], v[4:5], v[38:39], v[175:176]
	v_fma_f64 v[183:184], v[2:3], v[38:39], -v[40:41]
	ds_load_b128 v[2:5], v1 offset:1440
	scratch_load_b128 v[38:41], off, off offset:624
	v_add_f64_e32 v[171:172], v[171:172], v[181:182]
	v_add_f64_e32 v[173:174], v[173:174], v[179:180]
	v_fma_f64 v[177:178], v[8:9], v[163:164], v[177:178]
	v_fma_f64 v[181:182], v[6:7], v[163:164], -v[165:166]
	ds_load_b128 v[6:9], v1 offset:1456
	s_wait_loadcnt_dscnt 0x801
	v_mul_f64_e32 v[179:180], v[2:3], v[12:13]
	v_mul_f64_e32 v[12:13], v[4:5], v[12:13]
	scratch_load_b128 v[163:166], off, off offset:640
	v_add_f64_e32 v[171:172], v[171:172], v[183:184]
	v_add_f64_e32 v[173:174], v[173:174], v[175:176]
	s_wait_loadcnt_dscnt 0x800
	v_mul_f64_e32 v[175:176], v[6:7], v[16:17]
	v_mul_f64_e32 v[16:17], v[8:9], v[16:17]
	v_fma_f64 v[179:180], v[4:5], v[10:11], v[179:180]
	v_fma_f64 v[183:184], v[2:3], v[10:11], -v[12:13]
	ds_load_b128 v[2:5], v1 offset:1472
	scratch_load_b128 v[10:13], off, off offset:656
	v_add_f64_e32 v[171:172], v[171:172], v[181:182]
	v_add_f64_e32 v[173:174], v[173:174], v[177:178]
	v_fma_f64 v[175:176], v[8:9], v[14:15], v[175:176]
	v_fma_f64 v[181:182], v[6:7], v[14:15], -v[16:17]
	ds_load_b128 v[6:9], v1 offset:1488
	s_wait_loadcnt_dscnt 0x801
	v_mul_f64_e32 v[177:178], v[2:3], v[20:21]
	v_mul_f64_e32 v[20:21], v[4:5], v[20:21]
	scratch_load_b128 v[14:17], off, off offset:672
	;; [unrolled: 18-line block ×11, first 2 shown]
	v_add_f64_e32 v[171:172], v[171:172], v[183:184]
	v_add_f64_e32 v[173:174], v[173:174], v[179:180]
	s_wait_loadcnt_dscnt 0x800
	v_mul_f64_e32 v[179:180], v[6:7], v[16:17]
	v_mul_f64_e32 v[16:17], v[8:9], v[16:17]
	v_fma_f64 v[177:178], v[4:5], v[10:11], v[177:178]
	v_fma_f64 v[10:11], v[2:3], v[10:11], -v[12:13]
	ds_load_b128 v[2:5], v1 offset:1792
	v_add_f64_e32 v[12:13], v[171:172], v[181:182]
	v_add_f64_e32 v[171:172], v[173:174], v[175:176]
	v_fma_f64 v[175:176], v[8:9], v[14:15], v[179:180]
	v_fma_f64 v[14:15], v[6:7], v[14:15], -v[16:17]
	ds_load_b128 v[6:9], v1 offset:1808
	s_wait_loadcnt_dscnt 0x701
	v_mul_f64_e32 v[173:174], v[2:3], v[20:21]
	v_mul_f64_e32 v[20:21], v[4:5], v[20:21]
	v_add_f64_e32 v[10:11], v[12:13], v[10:11]
	v_add_f64_e32 v[12:13], v[171:172], v[177:178]
	s_delay_alu instid0(VALU_DEP_4) | instskip(NEXT) | instid1(VALU_DEP_4)
	v_fma_f64 v[171:172], v[4:5], v[18:19], v[173:174]
	v_fma_f64 v[18:19], v[2:3], v[18:19], -v[20:21]
	ds_load_b128 v[2:5], v1 offset:1824
	v_add_f64_e32 v[14:15], v[10:11], v[14:15]
	v_add_f64_e32 v[20:21], v[12:13], v[175:176]
	scratch_load_b128 v[10:13], off, off offset:288
	s_wait_loadcnt_dscnt 0x701
	v_mul_f64_e32 v[16:17], v[6:7], v[24:25]
	v_mul_f64_e32 v[24:25], v[8:9], v[24:25]
	v_add_f64_e32 v[14:15], v[14:15], v[18:19]
	v_add_f64_e32 v[18:19], v[20:21], v[171:172]
	s_delay_alu instid0(VALU_DEP_4) | instskip(NEXT) | instid1(VALU_DEP_4)
	v_fma_f64 v[16:17], v[8:9], v[22:23], v[16:17]
	v_fma_f64 v[22:23], v[6:7], v[22:23], -v[24:25]
	ds_load_b128 v[6:9], v1 offset:1840
	s_wait_loadcnt_dscnt 0x601
	v_mul_f64_e32 v[173:174], v[2:3], v[28:29]
	v_mul_f64_e32 v[28:29], v[4:5], v[28:29]
	s_wait_loadcnt_dscnt 0x500
	v_mul_f64_e32 v[20:21], v[6:7], v[32:33]
	v_mul_f64_e32 v[24:25], v[8:9], v[32:33]
	v_add_f64_e32 v[16:17], v[18:19], v[16:17]
	v_add_f64_e32 v[14:15], v[14:15], v[22:23]
	v_fma_f64 v[32:33], v[4:5], v[26:27], v[173:174]
	v_fma_f64 v[26:27], v[2:3], v[26:27], -v[28:29]
	ds_load_b128 v[2:5], v1 offset:1856
	v_fma_f64 v[20:21], v[8:9], v[30:31], v[20:21]
	v_fma_f64 v[24:25], v[6:7], v[30:31], -v[24:25]
	ds_load_b128 v[6:9], v1 offset:1872
	s_wait_loadcnt_dscnt 0x401
	v_mul_f64_e32 v[18:19], v[2:3], v[36:37]
	v_mul_f64_e32 v[22:23], v[4:5], v[36:37]
	v_add_f64_e32 v[16:17], v[16:17], v[32:33]
	v_add_f64_e32 v[14:15], v[14:15], v[26:27]
	s_wait_loadcnt_dscnt 0x300
	v_mul_f64_e32 v[26:27], v[6:7], v[169:170]
	v_mul_f64_e32 v[28:29], v[8:9], v[169:170]
	v_fma_f64 v[18:19], v[4:5], v[34:35], v[18:19]
	v_fma_f64 v[22:23], v[2:3], v[34:35], -v[22:23]
	ds_load_b128 v[2:5], v1 offset:1888
	v_add_f64_e32 v[16:17], v[16:17], v[20:21]
	v_add_f64_e32 v[14:15], v[14:15], v[24:25]
	v_fma_f64 v[26:27], v[8:9], v[167:168], v[26:27]
	v_fma_f64 v[28:29], v[6:7], v[167:168], -v[28:29]
	ds_load_b128 v[6:9], v1 offset:1904
	s_wait_loadcnt_dscnt 0x201
	v_mul_f64_e32 v[20:21], v[2:3], v[40:41]
	v_mul_f64_e32 v[24:25], v[4:5], v[40:41]
	v_add_f64_e32 v[16:17], v[16:17], v[18:19]
	v_add_f64_e32 v[14:15], v[14:15], v[22:23]
	s_wait_loadcnt_dscnt 0x100
	v_mul_f64_e32 v[18:19], v[6:7], v[165:166]
	v_mul_f64_e32 v[22:23], v[8:9], v[165:166]
	v_fma_f64 v[4:5], v[4:5], v[38:39], v[20:21]
	v_fma_f64 v[1:2], v[2:3], v[38:39], -v[24:25]
	v_add_f64_e32 v[16:17], v[16:17], v[26:27]
	v_add_f64_e32 v[14:15], v[14:15], v[28:29]
	v_fma_f64 v[8:9], v[8:9], v[163:164], v[18:19]
	v_fma_f64 v[6:7], v[6:7], v[163:164], -v[22:23]
	s_delay_alu instid0(VALU_DEP_4) | instskip(NEXT) | instid1(VALU_DEP_4)
	v_add_f64_e32 v[3:4], v[16:17], v[4:5]
	v_add_f64_e32 v[1:2], v[14:15], v[1:2]
	s_delay_alu instid0(VALU_DEP_2) | instskip(NEXT) | instid1(VALU_DEP_2)
	v_add_f64_e32 v[3:4], v[3:4], v[8:9]
	v_add_f64_e32 v[1:2], v[1:2], v[6:7]
	s_wait_loadcnt 0x0
	s_delay_alu instid0(VALU_DEP_2) | instskip(NEXT) | instid1(VALU_DEP_2)
	v_add_f64_e64 v[3:4], v[12:13], -v[3:4]
	v_add_f64_e64 v[1:2], v[10:11], -v[1:2]
	scratch_store_b128 off, v[1:4], off offset:288
	v_cmpx_lt_u32_e32 16, v0
	s_cbranch_execz .LBB123_341
; %bb.340:
	scratch_load_b128 v[1:4], off, s57
	v_mov_b32_e32 v5, 0
	s_delay_alu instid0(VALU_DEP_1)
	v_dual_mov_b32 v6, v5 :: v_dual_mov_b32 v7, v5
	v_mov_b32_e32 v8, v5
	scratch_store_b128 off, v[5:8], off offset:272
	s_wait_loadcnt 0x0
	ds_store_b128 v162, v[1:4]
.LBB123_341:
	s_wait_alu 0xfffe
	s_or_b32 exec_lo, exec_lo, s0
	s_wait_storecnt_dscnt 0x0
	s_barrier_signal -1
	s_barrier_wait -1
	global_inv scope:SCOPE_SE
	s_clause 0x7
	scratch_load_b128 v[2:5], off, off offset:288
	scratch_load_b128 v[6:9], off, off offset:304
	scratch_load_b128 v[10:13], off, off offset:320
	scratch_load_b128 v[14:17], off, off offset:336
	scratch_load_b128 v[18:21], off, off offset:352
	scratch_load_b128 v[22:25], off, off offset:368
	scratch_load_b128 v[26:29], off, off offset:384
	scratch_load_b128 v[30:33], off, off offset:400
	v_mov_b32_e32 v1, 0
	s_clause 0x1
	scratch_load_b128 v[34:37], off, off offset:416
	scratch_load_b128 v[167:170], off, off offset:432
	s_mov_b32 s0, exec_lo
	ds_load_b128 v[38:41], v1 offset:1232
	ds_load_b128 v[163:166], v1 offset:1248
	s_wait_loadcnt_dscnt 0x901
	v_mul_f64_e32 v[171:172], v[40:41], v[4:5]
	v_mul_f64_e32 v[4:5], v[38:39], v[4:5]
	s_wait_loadcnt_dscnt 0x800
	v_mul_f64_e32 v[173:174], v[163:164], v[8:9]
	v_mul_f64_e32 v[8:9], v[165:166], v[8:9]
	s_delay_alu instid0(VALU_DEP_4) | instskip(NEXT) | instid1(VALU_DEP_4)
	v_fma_f64 v[171:172], v[38:39], v[2:3], -v[171:172]
	v_fma_f64 v[175:176], v[40:41], v[2:3], v[4:5]
	ds_load_b128 v[2:5], v1 offset:1264
	scratch_load_b128 v[38:41], off, off offset:448
	v_fma_f64 v[173:174], v[165:166], v[6:7], v[173:174]
	v_fma_f64 v[179:180], v[163:164], v[6:7], -v[8:9]
	ds_load_b128 v[6:9], v1 offset:1280
	scratch_load_b128 v[163:166], off, off offset:464
	s_wait_loadcnt_dscnt 0x901
	v_mul_f64_e32 v[177:178], v[2:3], v[12:13]
	v_mul_f64_e32 v[12:13], v[4:5], v[12:13]
	s_wait_loadcnt_dscnt 0x800
	v_mul_f64_e32 v[181:182], v[6:7], v[16:17]
	v_mul_f64_e32 v[16:17], v[8:9], v[16:17]
	v_add_f64_e32 v[171:172], 0, v[171:172]
	v_add_f64_e32 v[175:176], 0, v[175:176]
	v_fma_f64 v[177:178], v[4:5], v[10:11], v[177:178]
	v_fma_f64 v[183:184], v[2:3], v[10:11], -v[12:13]
	ds_load_b128 v[2:5], v1 offset:1296
	scratch_load_b128 v[10:13], off, off offset:480
	v_add_f64_e32 v[171:172], v[171:172], v[179:180]
	v_add_f64_e32 v[173:174], v[175:176], v[173:174]
	v_fma_f64 v[179:180], v[8:9], v[14:15], v[181:182]
	v_fma_f64 v[181:182], v[6:7], v[14:15], -v[16:17]
	ds_load_b128 v[6:9], v1 offset:1312
	scratch_load_b128 v[14:17], off, off offset:496
	s_wait_loadcnt_dscnt 0x901
	v_mul_f64_e32 v[175:176], v[2:3], v[20:21]
	v_mul_f64_e32 v[20:21], v[4:5], v[20:21]
	v_add_f64_e32 v[171:172], v[171:172], v[183:184]
	v_add_f64_e32 v[173:174], v[173:174], v[177:178]
	s_wait_loadcnt_dscnt 0x800
	v_mul_f64_e32 v[177:178], v[6:7], v[24:25]
	v_mul_f64_e32 v[24:25], v[8:9], v[24:25]
	v_fma_f64 v[175:176], v[4:5], v[18:19], v[175:176]
	v_fma_f64 v[183:184], v[2:3], v[18:19], -v[20:21]
	ds_load_b128 v[2:5], v1 offset:1328
	scratch_load_b128 v[18:21], off, off offset:512
	v_add_f64_e32 v[171:172], v[171:172], v[181:182]
	v_add_f64_e32 v[173:174], v[173:174], v[179:180]
	v_fma_f64 v[177:178], v[8:9], v[22:23], v[177:178]
	v_fma_f64 v[181:182], v[6:7], v[22:23], -v[24:25]
	ds_load_b128 v[6:9], v1 offset:1344
	s_wait_loadcnt_dscnt 0x801
	v_mul_f64_e32 v[179:180], v[2:3], v[28:29]
	v_mul_f64_e32 v[28:29], v[4:5], v[28:29]
	scratch_load_b128 v[22:25], off, off offset:528
	v_add_f64_e32 v[171:172], v[171:172], v[183:184]
	v_add_f64_e32 v[173:174], v[173:174], v[175:176]
	s_wait_loadcnt_dscnt 0x800
	v_mul_f64_e32 v[175:176], v[6:7], v[32:33]
	v_mul_f64_e32 v[32:33], v[8:9], v[32:33]
	v_fma_f64 v[179:180], v[4:5], v[26:27], v[179:180]
	v_fma_f64 v[183:184], v[2:3], v[26:27], -v[28:29]
	ds_load_b128 v[2:5], v1 offset:1360
	scratch_load_b128 v[26:29], off, off offset:544
	v_add_f64_e32 v[171:172], v[171:172], v[181:182]
	v_add_f64_e32 v[173:174], v[173:174], v[177:178]
	v_fma_f64 v[175:176], v[8:9], v[30:31], v[175:176]
	v_fma_f64 v[181:182], v[6:7], v[30:31], -v[32:33]
	ds_load_b128 v[6:9], v1 offset:1376
	s_wait_loadcnt_dscnt 0x801
	v_mul_f64_e32 v[177:178], v[2:3], v[36:37]
	v_mul_f64_e32 v[36:37], v[4:5], v[36:37]
	scratch_load_b128 v[30:33], off, off offset:560
	v_add_f64_e32 v[171:172], v[171:172], v[183:184]
	v_add_f64_e32 v[173:174], v[173:174], v[179:180]
	s_wait_loadcnt_dscnt 0x800
	v_mul_f64_e32 v[179:180], v[6:7], v[169:170]
	v_mul_f64_e32 v[169:170], v[8:9], v[169:170]
	v_fma_f64 v[177:178], v[4:5], v[34:35], v[177:178]
	v_fma_f64 v[183:184], v[2:3], v[34:35], -v[36:37]
	ds_load_b128 v[2:5], v1 offset:1392
	scratch_load_b128 v[34:37], off, off offset:576
	v_add_f64_e32 v[171:172], v[171:172], v[181:182]
	v_add_f64_e32 v[173:174], v[173:174], v[175:176]
	v_fma_f64 v[179:180], v[8:9], v[167:168], v[179:180]
	v_fma_f64 v[181:182], v[6:7], v[167:168], -v[169:170]
	ds_load_b128 v[6:9], v1 offset:1408
	scratch_load_b128 v[167:170], off, off offset:592
	s_wait_loadcnt_dscnt 0x901
	v_mul_f64_e32 v[175:176], v[2:3], v[40:41]
	v_mul_f64_e32 v[40:41], v[4:5], v[40:41]
	v_add_f64_e32 v[171:172], v[171:172], v[183:184]
	v_add_f64_e32 v[173:174], v[173:174], v[177:178]
	s_wait_loadcnt_dscnt 0x800
	v_mul_f64_e32 v[177:178], v[6:7], v[165:166]
	v_mul_f64_e32 v[165:166], v[8:9], v[165:166]
	v_fma_f64 v[175:176], v[4:5], v[38:39], v[175:176]
	v_fma_f64 v[183:184], v[2:3], v[38:39], -v[40:41]
	ds_load_b128 v[2:5], v1 offset:1424
	scratch_load_b128 v[38:41], off, off offset:608
	v_add_f64_e32 v[171:172], v[171:172], v[181:182]
	v_add_f64_e32 v[173:174], v[173:174], v[179:180]
	v_fma_f64 v[177:178], v[8:9], v[163:164], v[177:178]
	v_fma_f64 v[181:182], v[6:7], v[163:164], -v[165:166]
	ds_load_b128 v[6:9], v1 offset:1440
	s_wait_loadcnt_dscnt 0x801
	v_mul_f64_e32 v[179:180], v[2:3], v[12:13]
	v_mul_f64_e32 v[12:13], v[4:5], v[12:13]
	scratch_load_b128 v[163:166], off, off offset:624
	v_add_f64_e32 v[171:172], v[171:172], v[183:184]
	v_add_f64_e32 v[173:174], v[173:174], v[175:176]
	s_wait_loadcnt_dscnt 0x800
	v_mul_f64_e32 v[175:176], v[6:7], v[16:17]
	v_mul_f64_e32 v[16:17], v[8:9], v[16:17]
	v_fma_f64 v[179:180], v[4:5], v[10:11], v[179:180]
	v_fma_f64 v[183:184], v[2:3], v[10:11], -v[12:13]
	ds_load_b128 v[2:5], v1 offset:1456
	scratch_load_b128 v[10:13], off, off offset:640
	v_add_f64_e32 v[171:172], v[171:172], v[181:182]
	v_add_f64_e32 v[173:174], v[173:174], v[177:178]
	v_fma_f64 v[175:176], v[8:9], v[14:15], v[175:176]
	v_fma_f64 v[181:182], v[6:7], v[14:15], -v[16:17]
	ds_load_b128 v[6:9], v1 offset:1472
	s_wait_loadcnt_dscnt 0x801
	v_mul_f64_e32 v[177:178], v[2:3], v[20:21]
	v_mul_f64_e32 v[20:21], v[4:5], v[20:21]
	scratch_load_b128 v[14:17], off, off offset:656
	;; [unrolled: 18-line block ×11, first 2 shown]
	v_add_f64_e32 v[171:172], v[171:172], v[183:184]
	v_add_f64_e32 v[173:174], v[173:174], v[179:180]
	s_wait_loadcnt_dscnt 0x800
	v_mul_f64_e32 v[179:180], v[6:7], v[16:17]
	v_mul_f64_e32 v[16:17], v[8:9], v[16:17]
	v_fma_f64 v[177:178], v[4:5], v[10:11], v[177:178]
	v_fma_f64 v[183:184], v[2:3], v[10:11], -v[12:13]
	ds_load_b128 v[2:5], v1 offset:1776
	scratch_load_b128 v[10:13], off, off offset:960
	v_add_f64_e32 v[171:172], v[171:172], v[181:182]
	v_add_f64_e32 v[173:174], v[173:174], v[175:176]
	v_fma_f64 v[179:180], v[8:9], v[14:15], v[179:180]
	v_fma_f64 v[14:15], v[6:7], v[14:15], -v[16:17]
	ds_load_b128 v[6:9], v1 offset:1792
	s_wait_loadcnt_dscnt 0x801
	v_mul_f64_e32 v[175:176], v[2:3], v[20:21]
	v_mul_f64_e32 v[20:21], v[4:5], v[20:21]
	v_add_f64_e32 v[16:17], v[171:172], v[183:184]
	v_add_f64_e32 v[171:172], v[173:174], v[177:178]
	s_wait_loadcnt_dscnt 0x700
	v_mul_f64_e32 v[173:174], v[6:7], v[24:25]
	v_mul_f64_e32 v[24:25], v[8:9], v[24:25]
	v_fma_f64 v[175:176], v[4:5], v[18:19], v[175:176]
	v_fma_f64 v[18:19], v[2:3], v[18:19], -v[20:21]
	ds_load_b128 v[2:5], v1 offset:1808
	v_add_f64_e32 v[14:15], v[16:17], v[14:15]
	v_add_f64_e32 v[16:17], v[171:172], v[179:180]
	v_fma_f64 v[171:172], v[8:9], v[22:23], v[173:174]
	v_fma_f64 v[22:23], v[6:7], v[22:23], -v[24:25]
	ds_load_b128 v[6:9], v1 offset:1824
	s_wait_loadcnt_dscnt 0x500
	v_mul_f64_e32 v[173:174], v[6:7], v[32:33]
	v_mul_f64_e32 v[32:33], v[8:9], v[32:33]
	v_add_f64_e32 v[18:19], v[14:15], v[18:19]
	v_add_f64_e32 v[24:25], v[16:17], v[175:176]
	scratch_load_b128 v[14:17], off, off offset:272
	v_mul_f64_e32 v[20:21], v[2:3], v[28:29]
	v_mul_f64_e32 v[28:29], v[4:5], v[28:29]
	v_add_f64_e32 v[18:19], v[18:19], v[22:23]
	v_add_f64_e32 v[22:23], v[24:25], v[171:172]
	s_delay_alu instid0(VALU_DEP_4) | instskip(NEXT) | instid1(VALU_DEP_4)
	v_fma_f64 v[20:21], v[4:5], v[26:27], v[20:21]
	v_fma_f64 v[26:27], v[2:3], v[26:27], -v[28:29]
	ds_load_b128 v[2:5], v1 offset:1840
	s_wait_loadcnt_dscnt 0x500
	v_mul_f64_e32 v[24:25], v[2:3], v[36:37]
	v_mul_f64_e32 v[28:29], v[4:5], v[36:37]
	v_fma_f64 v[36:37], v[8:9], v[30:31], v[173:174]
	v_fma_f64 v[30:31], v[6:7], v[30:31], -v[32:33]
	ds_load_b128 v[6:9], v1 offset:1856
	v_add_f64_e32 v[20:21], v[22:23], v[20:21]
	v_add_f64_e32 v[18:19], v[18:19], v[26:27]
	v_fma_f64 v[24:25], v[4:5], v[34:35], v[24:25]
	v_fma_f64 v[28:29], v[2:3], v[34:35], -v[28:29]
	ds_load_b128 v[2:5], v1 offset:1872
	s_wait_loadcnt_dscnt 0x401
	v_mul_f64_e32 v[22:23], v[6:7], v[169:170]
	v_mul_f64_e32 v[26:27], v[8:9], v[169:170]
	v_add_f64_e32 v[20:21], v[20:21], v[36:37]
	v_add_f64_e32 v[18:19], v[18:19], v[30:31]
	s_wait_loadcnt_dscnt 0x300
	v_mul_f64_e32 v[30:31], v[2:3], v[40:41]
	v_mul_f64_e32 v[32:33], v[4:5], v[40:41]
	v_fma_f64 v[22:23], v[8:9], v[167:168], v[22:23]
	v_fma_f64 v[26:27], v[6:7], v[167:168], -v[26:27]
	ds_load_b128 v[6:9], v1 offset:1888
	v_add_f64_e32 v[20:21], v[20:21], v[24:25]
	v_add_f64_e32 v[18:19], v[18:19], v[28:29]
	v_fma_f64 v[30:31], v[4:5], v[38:39], v[30:31]
	v_fma_f64 v[32:33], v[2:3], v[38:39], -v[32:33]
	ds_load_b128 v[2:5], v1 offset:1904
	s_wait_loadcnt_dscnt 0x201
	v_mul_f64_e32 v[24:25], v[6:7], v[165:166]
	v_mul_f64_e32 v[28:29], v[8:9], v[165:166]
	v_add_f64_e32 v[20:21], v[20:21], v[22:23]
	v_add_f64_e32 v[18:19], v[18:19], v[26:27]
	s_wait_loadcnt_dscnt 0x100
	v_mul_f64_e32 v[22:23], v[2:3], v[12:13]
	v_mul_f64_e32 v[12:13], v[4:5], v[12:13]
	v_fma_f64 v[8:9], v[8:9], v[163:164], v[24:25]
	v_fma_f64 v[6:7], v[6:7], v[163:164], -v[28:29]
	v_add_f64_e32 v[20:21], v[20:21], v[30:31]
	v_add_f64_e32 v[18:19], v[18:19], v[32:33]
	v_fma_f64 v[4:5], v[4:5], v[10:11], v[22:23]
	v_fma_f64 v[2:3], v[2:3], v[10:11], -v[12:13]
	s_delay_alu instid0(VALU_DEP_4) | instskip(NEXT) | instid1(VALU_DEP_4)
	v_add_f64_e32 v[8:9], v[20:21], v[8:9]
	v_add_f64_e32 v[6:7], v[18:19], v[6:7]
	s_delay_alu instid0(VALU_DEP_2) | instskip(NEXT) | instid1(VALU_DEP_2)
	v_add_f64_e32 v[4:5], v[8:9], v[4:5]
	v_add_f64_e32 v[2:3], v[6:7], v[2:3]
	s_wait_loadcnt 0x0
	s_delay_alu instid0(VALU_DEP_2) | instskip(NEXT) | instid1(VALU_DEP_2)
	v_add_f64_e64 v[4:5], v[16:17], -v[4:5]
	v_add_f64_e64 v[2:3], v[14:15], -v[2:3]
	scratch_store_b128 off, v[2:5], off offset:272
	v_cmpx_lt_u32_e32 15, v0
	s_cbranch_execz .LBB123_343
; %bb.342:
	scratch_load_b128 v[5:8], off, s58
	v_dual_mov_b32 v2, v1 :: v_dual_mov_b32 v3, v1
	v_mov_b32_e32 v4, v1
	scratch_store_b128 off, v[1:4], off offset:256
	s_wait_loadcnt 0x0
	ds_store_b128 v162, v[5:8]
.LBB123_343:
	s_wait_alu 0xfffe
	s_or_b32 exec_lo, exec_lo, s0
	s_wait_storecnt_dscnt 0x0
	s_barrier_signal -1
	s_barrier_wait -1
	global_inv scope:SCOPE_SE
	s_clause 0x7
	scratch_load_b128 v[2:5], off, off offset:272
	scratch_load_b128 v[6:9], off, off offset:288
	;; [unrolled: 1-line block ×8, first 2 shown]
	ds_load_b128 v[38:41], v1 offset:1216
	ds_load_b128 v[163:166], v1 offset:1232
	s_clause 0x1
	scratch_load_b128 v[34:37], off, off offset:400
	scratch_load_b128 v[167:170], off, off offset:416
	s_mov_b32 s0, exec_lo
	s_wait_loadcnt_dscnt 0x901
	v_mul_f64_e32 v[171:172], v[40:41], v[4:5]
	v_mul_f64_e32 v[4:5], v[38:39], v[4:5]
	s_wait_loadcnt_dscnt 0x800
	v_mul_f64_e32 v[173:174], v[163:164], v[8:9]
	v_mul_f64_e32 v[8:9], v[165:166], v[8:9]
	s_delay_alu instid0(VALU_DEP_4) | instskip(NEXT) | instid1(VALU_DEP_4)
	v_fma_f64 v[171:172], v[38:39], v[2:3], -v[171:172]
	v_fma_f64 v[175:176], v[40:41], v[2:3], v[4:5]
	ds_load_b128 v[2:5], v1 offset:1248
	scratch_load_b128 v[38:41], off, off offset:432
	v_fma_f64 v[173:174], v[165:166], v[6:7], v[173:174]
	v_fma_f64 v[179:180], v[163:164], v[6:7], -v[8:9]
	ds_load_b128 v[6:9], v1 offset:1264
	scratch_load_b128 v[163:166], off, off offset:448
	s_wait_loadcnt_dscnt 0x901
	v_mul_f64_e32 v[177:178], v[2:3], v[12:13]
	v_mul_f64_e32 v[12:13], v[4:5], v[12:13]
	s_wait_loadcnt_dscnt 0x800
	v_mul_f64_e32 v[181:182], v[6:7], v[16:17]
	v_mul_f64_e32 v[16:17], v[8:9], v[16:17]
	v_add_f64_e32 v[171:172], 0, v[171:172]
	v_add_f64_e32 v[175:176], 0, v[175:176]
	v_fma_f64 v[177:178], v[4:5], v[10:11], v[177:178]
	v_fma_f64 v[183:184], v[2:3], v[10:11], -v[12:13]
	ds_load_b128 v[2:5], v1 offset:1280
	scratch_load_b128 v[10:13], off, off offset:464
	v_add_f64_e32 v[171:172], v[171:172], v[179:180]
	v_add_f64_e32 v[173:174], v[175:176], v[173:174]
	v_fma_f64 v[179:180], v[8:9], v[14:15], v[181:182]
	v_fma_f64 v[181:182], v[6:7], v[14:15], -v[16:17]
	ds_load_b128 v[6:9], v1 offset:1296
	scratch_load_b128 v[14:17], off, off offset:480
	s_wait_loadcnt_dscnt 0x901
	v_mul_f64_e32 v[175:176], v[2:3], v[20:21]
	v_mul_f64_e32 v[20:21], v[4:5], v[20:21]
	v_add_f64_e32 v[171:172], v[171:172], v[183:184]
	v_add_f64_e32 v[173:174], v[173:174], v[177:178]
	s_wait_loadcnt_dscnt 0x800
	v_mul_f64_e32 v[177:178], v[6:7], v[24:25]
	v_mul_f64_e32 v[24:25], v[8:9], v[24:25]
	v_fma_f64 v[175:176], v[4:5], v[18:19], v[175:176]
	v_fma_f64 v[183:184], v[2:3], v[18:19], -v[20:21]
	ds_load_b128 v[2:5], v1 offset:1312
	scratch_load_b128 v[18:21], off, off offset:496
	v_add_f64_e32 v[171:172], v[171:172], v[181:182]
	v_add_f64_e32 v[173:174], v[173:174], v[179:180]
	v_fma_f64 v[177:178], v[8:9], v[22:23], v[177:178]
	v_fma_f64 v[181:182], v[6:7], v[22:23], -v[24:25]
	ds_load_b128 v[6:9], v1 offset:1328
	s_wait_loadcnt_dscnt 0x801
	v_mul_f64_e32 v[179:180], v[2:3], v[28:29]
	v_mul_f64_e32 v[28:29], v[4:5], v[28:29]
	scratch_load_b128 v[22:25], off, off offset:512
	v_add_f64_e32 v[171:172], v[171:172], v[183:184]
	v_add_f64_e32 v[173:174], v[173:174], v[175:176]
	s_wait_loadcnt_dscnt 0x800
	v_mul_f64_e32 v[175:176], v[6:7], v[32:33]
	v_mul_f64_e32 v[32:33], v[8:9], v[32:33]
	v_fma_f64 v[179:180], v[4:5], v[26:27], v[179:180]
	v_fma_f64 v[183:184], v[2:3], v[26:27], -v[28:29]
	ds_load_b128 v[2:5], v1 offset:1344
	scratch_load_b128 v[26:29], off, off offset:528
	v_add_f64_e32 v[171:172], v[171:172], v[181:182]
	v_add_f64_e32 v[173:174], v[173:174], v[177:178]
	v_fma_f64 v[175:176], v[8:9], v[30:31], v[175:176]
	v_fma_f64 v[181:182], v[6:7], v[30:31], -v[32:33]
	ds_load_b128 v[6:9], v1 offset:1360
	s_wait_loadcnt_dscnt 0x801
	v_mul_f64_e32 v[177:178], v[2:3], v[36:37]
	v_mul_f64_e32 v[36:37], v[4:5], v[36:37]
	scratch_load_b128 v[30:33], off, off offset:544
	v_add_f64_e32 v[171:172], v[171:172], v[183:184]
	v_add_f64_e32 v[173:174], v[173:174], v[179:180]
	s_wait_loadcnt_dscnt 0x800
	v_mul_f64_e32 v[179:180], v[6:7], v[169:170]
	v_mul_f64_e32 v[169:170], v[8:9], v[169:170]
	v_fma_f64 v[177:178], v[4:5], v[34:35], v[177:178]
	v_fma_f64 v[183:184], v[2:3], v[34:35], -v[36:37]
	ds_load_b128 v[2:5], v1 offset:1376
	scratch_load_b128 v[34:37], off, off offset:560
	v_add_f64_e32 v[171:172], v[171:172], v[181:182]
	v_add_f64_e32 v[173:174], v[173:174], v[175:176]
	v_fma_f64 v[179:180], v[8:9], v[167:168], v[179:180]
	v_fma_f64 v[181:182], v[6:7], v[167:168], -v[169:170]
	ds_load_b128 v[6:9], v1 offset:1392
	scratch_load_b128 v[167:170], off, off offset:576
	s_wait_loadcnt_dscnt 0x901
	v_mul_f64_e32 v[175:176], v[2:3], v[40:41]
	v_mul_f64_e32 v[40:41], v[4:5], v[40:41]
	v_add_f64_e32 v[171:172], v[171:172], v[183:184]
	v_add_f64_e32 v[173:174], v[173:174], v[177:178]
	s_wait_loadcnt_dscnt 0x800
	v_mul_f64_e32 v[177:178], v[6:7], v[165:166]
	v_mul_f64_e32 v[165:166], v[8:9], v[165:166]
	v_fma_f64 v[175:176], v[4:5], v[38:39], v[175:176]
	v_fma_f64 v[183:184], v[2:3], v[38:39], -v[40:41]
	ds_load_b128 v[2:5], v1 offset:1408
	scratch_load_b128 v[38:41], off, off offset:592
	v_add_f64_e32 v[171:172], v[171:172], v[181:182]
	v_add_f64_e32 v[173:174], v[173:174], v[179:180]
	v_fma_f64 v[177:178], v[8:9], v[163:164], v[177:178]
	v_fma_f64 v[181:182], v[6:7], v[163:164], -v[165:166]
	ds_load_b128 v[6:9], v1 offset:1424
	s_wait_loadcnt_dscnt 0x801
	v_mul_f64_e32 v[179:180], v[2:3], v[12:13]
	v_mul_f64_e32 v[12:13], v[4:5], v[12:13]
	scratch_load_b128 v[163:166], off, off offset:608
	v_add_f64_e32 v[171:172], v[171:172], v[183:184]
	v_add_f64_e32 v[173:174], v[173:174], v[175:176]
	s_wait_loadcnt_dscnt 0x800
	v_mul_f64_e32 v[175:176], v[6:7], v[16:17]
	v_mul_f64_e32 v[16:17], v[8:9], v[16:17]
	v_fma_f64 v[179:180], v[4:5], v[10:11], v[179:180]
	v_fma_f64 v[183:184], v[2:3], v[10:11], -v[12:13]
	ds_load_b128 v[2:5], v1 offset:1440
	scratch_load_b128 v[10:13], off, off offset:624
	v_add_f64_e32 v[171:172], v[171:172], v[181:182]
	v_add_f64_e32 v[173:174], v[173:174], v[177:178]
	v_fma_f64 v[175:176], v[8:9], v[14:15], v[175:176]
	v_fma_f64 v[181:182], v[6:7], v[14:15], -v[16:17]
	ds_load_b128 v[6:9], v1 offset:1456
	s_wait_loadcnt_dscnt 0x801
	v_mul_f64_e32 v[177:178], v[2:3], v[20:21]
	v_mul_f64_e32 v[20:21], v[4:5], v[20:21]
	scratch_load_b128 v[14:17], off, off offset:640
	;; [unrolled: 18-line block ×12, first 2 shown]
	v_add_f64_e32 v[171:172], v[171:172], v[183:184]
	v_add_f64_e32 v[173:174], v[173:174], v[177:178]
	s_wait_loadcnt_dscnt 0x800
	v_mul_f64_e32 v[177:178], v[6:7], v[24:25]
	v_mul_f64_e32 v[24:25], v[8:9], v[24:25]
	v_fma_f64 v[175:176], v[4:5], v[18:19], v[175:176]
	v_fma_f64 v[18:19], v[2:3], v[18:19], -v[20:21]
	ds_load_b128 v[2:5], v1 offset:1792
	v_add_f64_e32 v[20:21], v[171:172], v[181:182]
	v_add_f64_e32 v[171:172], v[173:174], v[179:180]
	v_fma_f64 v[177:178], v[8:9], v[22:23], v[177:178]
	v_fma_f64 v[22:23], v[6:7], v[22:23], -v[24:25]
	ds_load_b128 v[6:9], v1 offset:1808
	s_wait_loadcnt_dscnt 0x701
	v_mul_f64_e32 v[173:174], v[2:3], v[28:29]
	v_mul_f64_e32 v[28:29], v[4:5], v[28:29]
	v_add_f64_e32 v[18:19], v[20:21], v[18:19]
	v_add_f64_e32 v[20:21], v[171:172], v[175:176]
	s_delay_alu instid0(VALU_DEP_4) | instskip(NEXT) | instid1(VALU_DEP_4)
	v_fma_f64 v[171:172], v[4:5], v[26:27], v[173:174]
	v_fma_f64 v[26:27], v[2:3], v[26:27], -v[28:29]
	ds_load_b128 v[2:5], v1 offset:1824
	v_add_f64_e32 v[22:23], v[18:19], v[22:23]
	v_add_f64_e32 v[28:29], v[20:21], v[177:178]
	scratch_load_b128 v[18:21], off, off offset:256
	s_wait_loadcnt_dscnt 0x701
	v_mul_f64_e32 v[24:25], v[6:7], v[32:33]
	v_mul_f64_e32 v[32:33], v[8:9], v[32:33]
	v_add_f64_e32 v[22:23], v[22:23], v[26:27]
	v_add_f64_e32 v[26:27], v[28:29], v[171:172]
	s_delay_alu instid0(VALU_DEP_4) | instskip(NEXT) | instid1(VALU_DEP_4)
	v_fma_f64 v[24:25], v[8:9], v[30:31], v[24:25]
	v_fma_f64 v[30:31], v[6:7], v[30:31], -v[32:33]
	ds_load_b128 v[6:9], v1 offset:1840
	s_wait_loadcnt_dscnt 0x601
	v_mul_f64_e32 v[173:174], v[2:3], v[36:37]
	v_mul_f64_e32 v[36:37], v[4:5], v[36:37]
	s_wait_loadcnt_dscnt 0x500
	v_mul_f64_e32 v[28:29], v[6:7], v[169:170]
	v_mul_f64_e32 v[32:33], v[8:9], v[169:170]
	v_add_f64_e32 v[24:25], v[26:27], v[24:25]
	v_add_f64_e32 v[22:23], v[22:23], v[30:31]
	v_fma_f64 v[169:170], v[4:5], v[34:35], v[173:174]
	v_fma_f64 v[34:35], v[2:3], v[34:35], -v[36:37]
	ds_load_b128 v[2:5], v1 offset:1856
	v_fma_f64 v[28:29], v[8:9], v[167:168], v[28:29]
	v_fma_f64 v[32:33], v[6:7], v[167:168], -v[32:33]
	ds_load_b128 v[6:9], v1 offset:1872
	s_wait_loadcnt_dscnt 0x401
	v_mul_f64_e32 v[26:27], v[2:3], v[40:41]
	v_mul_f64_e32 v[30:31], v[4:5], v[40:41]
	v_add_f64_e32 v[24:25], v[24:25], v[169:170]
	v_add_f64_e32 v[22:23], v[22:23], v[34:35]
	s_wait_loadcnt_dscnt 0x300
	v_mul_f64_e32 v[34:35], v[6:7], v[165:166]
	v_mul_f64_e32 v[36:37], v[8:9], v[165:166]
	v_fma_f64 v[26:27], v[4:5], v[38:39], v[26:27]
	v_fma_f64 v[30:31], v[2:3], v[38:39], -v[30:31]
	ds_load_b128 v[2:5], v1 offset:1888
	v_add_f64_e32 v[24:25], v[24:25], v[28:29]
	v_add_f64_e32 v[22:23], v[22:23], v[32:33]
	v_fma_f64 v[32:33], v[8:9], v[163:164], v[34:35]
	v_fma_f64 v[34:35], v[6:7], v[163:164], -v[36:37]
	ds_load_b128 v[6:9], v1 offset:1904
	s_wait_loadcnt_dscnt 0x201
	v_mul_f64_e32 v[28:29], v[2:3], v[12:13]
	v_mul_f64_e32 v[12:13], v[4:5], v[12:13]
	v_add_f64_e32 v[24:25], v[24:25], v[26:27]
	v_add_f64_e32 v[22:23], v[22:23], v[30:31]
	s_wait_loadcnt_dscnt 0x100
	v_mul_f64_e32 v[26:27], v[6:7], v[16:17]
	v_mul_f64_e32 v[16:17], v[8:9], v[16:17]
	v_fma_f64 v[4:5], v[4:5], v[10:11], v[28:29]
	v_fma_f64 v[1:2], v[2:3], v[10:11], -v[12:13]
	v_add_f64_e32 v[12:13], v[24:25], v[32:33]
	v_add_f64_e32 v[10:11], v[22:23], v[34:35]
	v_fma_f64 v[8:9], v[8:9], v[14:15], v[26:27]
	v_fma_f64 v[6:7], v[6:7], v[14:15], -v[16:17]
	s_delay_alu instid0(VALU_DEP_4) | instskip(NEXT) | instid1(VALU_DEP_4)
	v_add_f64_e32 v[3:4], v[12:13], v[4:5]
	v_add_f64_e32 v[1:2], v[10:11], v[1:2]
	s_delay_alu instid0(VALU_DEP_2) | instskip(NEXT) | instid1(VALU_DEP_2)
	v_add_f64_e32 v[3:4], v[3:4], v[8:9]
	v_add_f64_e32 v[1:2], v[1:2], v[6:7]
	s_wait_loadcnt 0x0
	s_delay_alu instid0(VALU_DEP_2) | instskip(NEXT) | instid1(VALU_DEP_2)
	v_add_f64_e64 v[3:4], v[20:21], -v[3:4]
	v_add_f64_e64 v[1:2], v[18:19], -v[1:2]
	scratch_store_b128 off, v[1:4], off offset:256
	v_cmpx_lt_u32_e32 14, v0
	s_cbranch_execz .LBB123_345
; %bb.344:
	scratch_load_b128 v[1:4], off, s59
	v_mov_b32_e32 v5, 0
	s_delay_alu instid0(VALU_DEP_1)
	v_dual_mov_b32 v6, v5 :: v_dual_mov_b32 v7, v5
	v_mov_b32_e32 v8, v5
	scratch_store_b128 off, v[5:8], off offset:240
	s_wait_loadcnt 0x0
	ds_store_b128 v162, v[1:4]
.LBB123_345:
	s_wait_alu 0xfffe
	s_or_b32 exec_lo, exec_lo, s0
	s_wait_storecnt_dscnt 0x0
	s_barrier_signal -1
	s_barrier_wait -1
	global_inv scope:SCOPE_SE
	s_clause 0x7
	scratch_load_b128 v[2:5], off, off offset:256
	scratch_load_b128 v[6:9], off, off offset:272
	;; [unrolled: 1-line block ×8, first 2 shown]
	v_mov_b32_e32 v1, 0
	s_clause 0x1
	scratch_load_b128 v[34:37], off, off offset:384
	scratch_load_b128 v[167:170], off, off offset:400
	s_mov_b32 s0, exec_lo
	ds_load_b128 v[38:41], v1 offset:1200
	ds_load_b128 v[163:166], v1 offset:1216
	s_wait_loadcnt_dscnt 0x901
	v_mul_f64_e32 v[171:172], v[40:41], v[4:5]
	v_mul_f64_e32 v[4:5], v[38:39], v[4:5]
	s_wait_loadcnt_dscnt 0x800
	v_mul_f64_e32 v[173:174], v[163:164], v[8:9]
	v_mul_f64_e32 v[8:9], v[165:166], v[8:9]
	s_delay_alu instid0(VALU_DEP_4) | instskip(NEXT) | instid1(VALU_DEP_4)
	v_fma_f64 v[171:172], v[38:39], v[2:3], -v[171:172]
	v_fma_f64 v[175:176], v[40:41], v[2:3], v[4:5]
	ds_load_b128 v[2:5], v1 offset:1232
	scratch_load_b128 v[38:41], off, off offset:416
	v_fma_f64 v[173:174], v[165:166], v[6:7], v[173:174]
	v_fma_f64 v[179:180], v[163:164], v[6:7], -v[8:9]
	ds_load_b128 v[6:9], v1 offset:1248
	scratch_load_b128 v[163:166], off, off offset:432
	s_wait_loadcnt_dscnt 0x901
	v_mul_f64_e32 v[177:178], v[2:3], v[12:13]
	v_mul_f64_e32 v[12:13], v[4:5], v[12:13]
	s_wait_loadcnt_dscnt 0x800
	v_mul_f64_e32 v[181:182], v[6:7], v[16:17]
	v_mul_f64_e32 v[16:17], v[8:9], v[16:17]
	v_add_f64_e32 v[171:172], 0, v[171:172]
	v_add_f64_e32 v[175:176], 0, v[175:176]
	v_fma_f64 v[177:178], v[4:5], v[10:11], v[177:178]
	v_fma_f64 v[183:184], v[2:3], v[10:11], -v[12:13]
	ds_load_b128 v[2:5], v1 offset:1264
	scratch_load_b128 v[10:13], off, off offset:448
	v_add_f64_e32 v[171:172], v[171:172], v[179:180]
	v_add_f64_e32 v[173:174], v[175:176], v[173:174]
	v_fma_f64 v[179:180], v[8:9], v[14:15], v[181:182]
	v_fma_f64 v[181:182], v[6:7], v[14:15], -v[16:17]
	ds_load_b128 v[6:9], v1 offset:1280
	scratch_load_b128 v[14:17], off, off offset:464
	s_wait_loadcnt_dscnt 0x901
	v_mul_f64_e32 v[175:176], v[2:3], v[20:21]
	v_mul_f64_e32 v[20:21], v[4:5], v[20:21]
	v_add_f64_e32 v[171:172], v[171:172], v[183:184]
	v_add_f64_e32 v[173:174], v[173:174], v[177:178]
	s_wait_loadcnt_dscnt 0x800
	v_mul_f64_e32 v[177:178], v[6:7], v[24:25]
	v_mul_f64_e32 v[24:25], v[8:9], v[24:25]
	v_fma_f64 v[175:176], v[4:5], v[18:19], v[175:176]
	v_fma_f64 v[183:184], v[2:3], v[18:19], -v[20:21]
	ds_load_b128 v[2:5], v1 offset:1296
	scratch_load_b128 v[18:21], off, off offset:480
	v_add_f64_e32 v[171:172], v[171:172], v[181:182]
	v_add_f64_e32 v[173:174], v[173:174], v[179:180]
	v_fma_f64 v[177:178], v[8:9], v[22:23], v[177:178]
	v_fma_f64 v[181:182], v[6:7], v[22:23], -v[24:25]
	ds_load_b128 v[6:9], v1 offset:1312
	s_wait_loadcnt_dscnt 0x801
	v_mul_f64_e32 v[179:180], v[2:3], v[28:29]
	v_mul_f64_e32 v[28:29], v[4:5], v[28:29]
	scratch_load_b128 v[22:25], off, off offset:496
	v_add_f64_e32 v[171:172], v[171:172], v[183:184]
	v_add_f64_e32 v[173:174], v[173:174], v[175:176]
	s_wait_loadcnt_dscnt 0x800
	v_mul_f64_e32 v[175:176], v[6:7], v[32:33]
	v_mul_f64_e32 v[32:33], v[8:9], v[32:33]
	v_fma_f64 v[179:180], v[4:5], v[26:27], v[179:180]
	v_fma_f64 v[183:184], v[2:3], v[26:27], -v[28:29]
	ds_load_b128 v[2:5], v1 offset:1328
	scratch_load_b128 v[26:29], off, off offset:512
	v_add_f64_e32 v[171:172], v[171:172], v[181:182]
	v_add_f64_e32 v[173:174], v[173:174], v[177:178]
	v_fma_f64 v[175:176], v[8:9], v[30:31], v[175:176]
	v_fma_f64 v[181:182], v[6:7], v[30:31], -v[32:33]
	ds_load_b128 v[6:9], v1 offset:1344
	s_wait_loadcnt_dscnt 0x801
	v_mul_f64_e32 v[177:178], v[2:3], v[36:37]
	v_mul_f64_e32 v[36:37], v[4:5], v[36:37]
	scratch_load_b128 v[30:33], off, off offset:528
	v_add_f64_e32 v[171:172], v[171:172], v[183:184]
	v_add_f64_e32 v[173:174], v[173:174], v[179:180]
	s_wait_loadcnt_dscnt 0x800
	v_mul_f64_e32 v[179:180], v[6:7], v[169:170]
	v_mul_f64_e32 v[169:170], v[8:9], v[169:170]
	v_fma_f64 v[177:178], v[4:5], v[34:35], v[177:178]
	v_fma_f64 v[183:184], v[2:3], v[34:35], -v[36:37]
	ds_load_b128 v[2:5], v1 offset:1360
	scratch_load_b128 v[34:37], off, off offset:544
	v_add_f64_e32 v[171:172], v[171:172], v[181:182]
	v_add_f64_e32 v[173:174], v[173:174], v[175:176]
	v_fma_f64 v[179:180], v[8:9], v[167:168], v[179:180]
	v_fma_f64 v[181:182], v[6:7], v[167:168], -v[169:170]
	ds_load_b128 v[6:9], v1 offset:1376
	scratch_load_b128 v[167:170], off, off offset:560
	s_wait_loadcnt_dscnt 0x901
	v_mul_f64_e32 v[175:176], v[2:3], v[40:41]
	v_mul_f64_e32 v[40:41], v[4:5], v[40:41]
	v_add_f64_e32 v[171:172], v[171:172], v[183:184]
	v_add_f64_e32 v[173:174], v[173:174], v[177:178]
	s_wait_loadcnt_dscnt 0x800
	v_mul_f64_e32 v[177:178], v[6:7], v[165:166]
	v_mul_f64_e32 v[165:166], v[8:9], v[165:166]
	v_fma_f64 v[175:176], v[4:5], v[38:39], v[175:176]
	v_fma_f64 v[183:184], v[2:3], v[38:39], -v[40:41]
	ds_load_b128 v[2:5], v1 offset:1392
	scratch_load_b128 v[38:41], off, off offset:576
	v_add_f64_e32 v[171:172], v[171:172], v[181:182]
	v_add_f64_e32 v[173:174], v[173:174], v[179:180]
	v_fma_f64 v[177:178], v[8:9], v[163:164], v[177:178]
	v_fma_f64 v[181:182], v[6:7], v[163:164], -v[165:166]
	ds_load_b128 v[6:9], v1 offset:1408
	s_wait_loadcnt_dscnt 0x801
	v_mul_f64_e32 v[179:180], v[2:3], v[12:13]
	v_mul_f64_e32 v[12:13], v[4:5], v[12:13]
	scratch_load_b128 v[163:166], off, off offset:592
	v_add_f64_e32 v[171:172], v[171:172], v[183:184]
	v_add_f64_e32 v[173:174], v[173:174], v[175:176]
	s_wait_loadcnt_dscnt 0x800
	v_mul_f64_e32 v[175:176], v[6:7], v[16:17]
	v_mul_f64_e32 v[16:17], v[8:9], v[16:17]
	v_fma_f64 v[179:180], v[4:5], v[10:11], v[179:180]
	v_fma_f64 v[183:184], v[2:3], v[10:11], -v[12:13]
	ds_load_b128 v[2:5], v1 offset:1424
	scratch_load_b128 v[10:13], off, off offset:608
	v_add_f64_e32 v[171:172], v[171:172], v[181:182]
	v_add_f64_e32 v[173:174], v[173:174], v[177:178]
	v_fma_f64 v[175:176], v[8:9], v[14:15], v[175:176]
	v_fma_f64 v[181:182], v[6:7], v[14:15], -v[16:17]
	ds_load_b128 v[6:9], v1 offset:1440
	s_wait_loadcnt_dscnt 0x801
	v_mul_f64_e32 v[177:178], v[2:3], v[20:21]
	v_mul_f64_e32 v[20:21], v[4:5], v[20:21]
	scratch_load_b128 v[14:17], off, off offset:624
	;; [unrolled: 18-line block ×12, first 2 shown]
	v_add_f64_e32 v[171:172], v[171:172], v[183:184]
	v_add_f64_e32 v[173:174], v[173:174], v[177:178]
	s_wait_loadcnt_dscnt 0x800
	v_mul_f64_e32 v[177:178], v[6:7], v[24:25]
	v_mul_f64_e32 v[24:25], v[8:9], v[24:25]
	v_fma_f64 v[175:176], v[4:5], v[18:19], v[175:176]
	v_fma_f64 v[183:184], v[2:3], v[18:19], -v[20:21]
	ds_load_b128 v[2:5], v1 offset:1776
	scratch_load_b128 v[18:21], off, off offset:960
	v_add_f64_e32 v[171:172], v[171:172], v[181:182]
	v_add_f64_e32 v[173:174], v[173:174], v[179:180]
	v_fma_f64 v[177:178], v[8:9], v[22:23], v[177:178]
	v_fma_f64 v[22:23], v[6:7], v[22:23], -v[24:25]
	ds_load_b128 v[6:9], v1 offset:1792
	s_wait_loadcnt_dscnt 0x801
	v_mul_f64_e32 v[179:180], v[2:3], v[28:29]
	v_mul_f64_e32 v[28:29], v[4:5], v[28:29]
	v_add_f64_e32 v[24:25], v[171:172], v[183:184]
	v_add_f64_e32 v[171:172], v[173:174], v[175:176]
	s_wait_loadcnt_dscnt 0x700
	v_mul_f64_e32 v[173:174], v[6:7], v[32:33]
	v_mul_f64_e32 v[32:33], v[8:9], v[32:33]
	v_fma_f64 v[175:176], v[4:5], v[26:27], v[179:180]
	v_fma_f64 v[26:27], v[2:3], v[26:27], -v[28:29]
	ds_load_b128 v[2:5], v1 offset:1808
	v_add_f64_e32 v[22:23], v[24:25], v[22:23]
	v_add_f64_e32 v[24:25], v[171:172], v[177:178]
	v_fma_f64 v[171:172], v[8:9], v[30:31], v[173:174]
	v_fma_f64 v[30:31], v[6:7], v[30:31], -v[32:33]
	ds_load_b128 v[6:9], v1 offset:1824
	s_wait_loadcnt_dscnt 0x500
	v_mul_f64_e32 v[173:174], v[6:7], v[169:170]
	v_mul_f64_e32 v[169:170], v[8:9], v[169:170]
	v_add_f64_e32 v[26:27], v[22:23], v[26:27]
	v_add_f64_e32 v[32:33], v[24:25], v[175:176]
	scratch_load_b128 v[22:25], off, off offset:240
	v_mul_f64_e32 v[28:29], v[2:3], v[36:37]
	v_mul_f64_e32 v[36:37], v[4:5], v[36:37]
	v_add_f64_e32 v[26:27], v[26:27], v[30:31]
	v_add_f64_e32 v[30:31], v[32:33], v[171:172]
	s_delay_alu instid0(VALU_DEP_4) | instskip(NEXT) | instid1(VALU_DEP_4)
	v_fma_f64 v[28:29], v[4:5], v[34:35], v[28:29]
	v_fma_f64 v[34:35], v[2:3], v[34:35], -v[36:37]
	ds_load_b128 v[2:5], v1 offset:1840
	s_wait_loadcnt_dscnt 0x500
	v_mul_f64_e32 v[32:33], v[2:3], v[40:41]
	v_mul_f64_e32 v[36:37], v[4:5], v[40:41]
	v_fma_f64 v[40:41], v[8:9], v[167:168], v[173:174]
	v_fma_f64 v[167:168], v[6:7], v[167:168], -v[169:170]
	ds_load_b128 v[6:9], v1 offset:1856
	v_add_f64_e32 v[28:29], v[30:31], v[28:29]
	v_add_f64_e32 v[26:27], v[26:27], v[34:35]
	v_fma_f64 v[32:33], v[4:5], v[38:39], v[32:33]
	v_fma_f64 v[36:37], v[2:3], v[38:39], -v[36:37]
	ds_load_b128 v[2:5], v1 offset:1872
	s_wait_loadcnt_dscnt 0x401
	v_mul_f64_e32 v[30:31], v[6:7], v[165:166]
	v_mul_f64_e32 v[34:35], v[8:9], v[165:166]
	v_add_f64_e32 v[28:29], v[28:29], v[40:41]
	v_add_f64_e32 v[26:27], v[26:27], v[167:168]
	s_wait_loadcnt_dscnt 0x300
	v_mul_f64_e32 v[38:39], v[2:3], v[12:13]
	v_mul_f64_e32 v[12:13], v[4:5], v[12:13]
	v_fma_f64 v[30:31], v[8:9], v[163:164], v[30:31]
	v_fma_f64 v[34:35], v[6:7], v[163:164], -v[34:35]
	ds_load_b128 v[6:9], v1 offset:1888
	v_add_f64_e32 v[28:29], v[28:29], v[32:33]
	v_add_f64_e32 v[26:27], v[26:27], v[36:37]
	v_fma_f64 v[36:37], v[4:5], v[10:11], v[38:39]
	v_fma_f64 v[10:11], v[2:3], v[10:11], -v[12:13]
	ds_load_b128 v[2:5], v1 offset:1904
	s_wait_loadcnt_dscnt 0x201
	v_mul_f64_e32 v[32:33], v[6:7], v[16:17]
	v_mul_f64_e32 v[16:17], v[8:9], v[16:17]
	v_add_f64_e32 v[12:13], v[26:27], v[34:35]
	v_add_f64_e32 v[26:27], v[28:29], v[30:31]
	s_wait_loadcnt_dscnt 0x100
	v_mul_f64_e32 v[28:29], v[2:3], v[20:21]
	v_mul_f64_e32 v[20:21], v[4:5], v[20:21]
	v_fma_f64 v[8:9], v[8:9], v[14:15], v[32:33]
	v_fma_f64 v[6:7], v[6:7], v[14:15], -v[16:17]
	v_add_f64_e32 v[10:11], v[12:13], v[10:11]
	v_add_f64_e32 v[12:13], v[26:27], v[36:37]
	v_fma_f64 v[4:5], v[4:5], v[18:19], v[28:29]
	v_fma_f64 v[2:3], v[2:3], v[18:19], -v[20:21]
	s_delay_alu instid0(VALU_DEP_4) | instskip(NEXT) | instid1(VALU_DEP_4)
	v_add_f64_e32 v[6:7], v[10:11], v[6:7]
	v_add_f64_e32 v[8:9], v[12:13], v[8:9]
	s_delay_alu instid0(VALU_DEP_2) | instskip(NEXT) | instid1(VALU_DEP_2)
	v_add_f64_e32 v[2:3], v[6:7], v[2:3]
	v_add_f64_e32 v[4:5], v[8:9], v[4:5]
	s_wait_loadcnt 0x0
	s_delay_alu instid0(VALU_DEP_2) | instskip(NEXT) | instid1(VALU_DEP_2)
	v_add_f64_e64 v[2:3], v[22:23], -v[2:3]
	v_add_f64_e64 v[4:5], v[24:25], -v[4:5]
	scratch_store_b128 off, v[2:5], off offset:240
	v_cmpx_lt_u32_e32 13, v0
	s_cbranch_execz .LBB123_347
; %bb.346:
	scratch_load_b128 v[5:8], off, s60
	v_dual_mov_b32 v2, v1 :: v_dual_mov_b32 v3, v1
	v_mov_b32_e32 v4, v1
	scratch_store_b128 off, v[1:4], off offset:224
	s_wait_loadcnt 0x0
	ds_store_b128 v162, v[5:8]
.LBB123_347:
	s_wait_alu 0xfffe
	s_or_b32 exec_lo, exec_lo, s0
	s_wait_storecnt_dscnt 0x0
	s_barrier_signal -1
	s_barrier_wait -1
	global_inv scope:SCOPE_SE
	s_clause 0x7
	scratch_load_b128 v[2:5], off, off offset:240
	scratch_load_b128 v[6:9], off, off offset:256
	;; [unrolled: 1-line block ×8, first 2 shown]
	ds_load_b128 v[38:41], v1 offset:1184
	ds_load_b128 v[163:166], v1 offset:1200
	s_clause 0x1
	scratch_load_b128 v[34:37], off, off offset:368
	scratch_load_b128 v[167:170], off, off offset:384
	s_mov_b32 s0, exec_lo
	s_wait_loadcnt_dscnt 0x901
	v_mul_f64_e32 v[171:172], v[40:41], v[4:5]
	v_mul_f64_e32 v[4:5], v[38:39], v[4:5]
	s_wait_loadcnt_dscnt 0x800
	v_mul_f64_e32 v[173:174], v[163:164], v[8:9]
	v_mul_f64_e32 v[8:9], v[165:166], v[8:9]
	s_delay_alu instid0(VALU_DEP_4) | instskip(NEXT) | instid1(VALU_DEP_4)
	v_fma_f64 v[171:172], v[38:39], v[2:3], -v[171:172]
	v_fma_f64 v[175:176], v[40:41], v[2:3], v[4:5]
	ds_load_b128 v[2:5], v1 offset:1216
	scratch_load_b128 v[38:41], off, off offset:400
	v_fma_f64 v[173:174], v[165:166], v[6:7], v[173:174]
	v_fma_f64 v[179:180], v[163:164], v[6:7], -v[8:9]
	ds_load_b128 v[6:9], v1 offset:1232
	scratch_load_b128 v[163:166], off, off offset:416
	s_wait_loadcnt_dscnt 0x901
	v_mul_f64_e32 v[177:178], v[2:3], v[12:13]
	v_mul_f64_e32 v[12:13], v[4:5], v[12:13]
	s_wait_loadcnt_dscnt 0x800
	v_mul_f64_e32 v[181:182], v[6:7], v[16:17]
	v_mul_f64_e32 v[16:17], v[8:9], v[16:17]
	v_add_f64_e32 v[171:172], 0, v[171:172]
	v_add_f64_e32 v[175:176], 0, v[175:176]
	v_fma_f64 v[177:178], v[4:5], v[10:11], v[177:178]
	v_fma_f64 v[183:184], v[2:3], v[10:11], -v[12:13]
	ds_load_b128 v[2:5], v1 offset:1248
	scratch_load_b128 v[10:13], off, off offset:432
	v_add_f64_e32 v[171:172], v[171:172], v[179:180]
	v_add_f64_e32 v[173:174], v[175:176], v[173:174]
	v_fma_f64 v[179:180], v[8:9], v[14:15], v[181:182]
	v_fma_f64 v[181:182], v[6:7], v[14:15], -v[16:17]
	ds_load_b128 v[6:9], v1 offset:1264
	scratch_load_b128 v[14:17], off, off offset:448
	s_wait_loadcnt_dscnt 0x901
	v_mul_f64_e32 v[175:176], v[2:3], v[20:21]
	v_mul_f64_e32 v[20:21], v[4:5], v[20:21]
	v_add_f64_e32 v[171:172], v[171:172], v[183:184]
	v_add_f64_e32 v[173:174], v[173:174], v[177:178]
	s_wait_loadcnt_dscnt 0x800
	v_mul_f64_e32 v[177:178], v[6:7], v[24:25]
	v_mul_f64_e32 v[24:25], v[8:9], v[24:25]
	v_fma_f64 v[175:176], v[4:5], v[18:19], v[175:176]
	v_fma_f64 v[183:184], v[2:3], v[18:19], -v[20:21]
	ds_load_b128 v[2:5], v1 offset:1280
	scratch_load_b128 v[18:21], off, off offset:464
	v_add_f64_e32 v[171:172], v[171:172], v[181:182]
	v_add_f64_e32 v[173:174], v[173:174], v[179:180]
	v_fma_f64 v[177:178], v[8:9], v[22:23], v[177:178]
	v_fma_f64 v[181:182], v[6:7], v[22:23], -v[24:25]
	ds_load_b128 v[6:9], v1 offset:1296
	s_wait_loadcnt_dscnt 0x801
	v_mul_f64_e32 v[179:180], v[2:3], v[28:29]
	v_mul_f64_e32 v[28:29], v[4:5], v[28:29]
	scratch_load_b128 v[22:25], off, off offset:480
	v_add_f64_e32 v[171:172], v[171:172], v[183:184]
	v_add_f64_e32 v[173:174], v[173:174], v[175:176]
	s_wait_loadcnt_dscnt 0x800
	v_mul_f64_e32 v[175:176], v[6:7], v[32:33]
	v_mul_f64_e32 v[32:33], v[8:9], v[32:33]
	v_fma_f64 v[179:180], v[4:5], v[26:27], v[179:180]
	v_fma_f64 v[183:184], v[2:3], v[26:27], -v[28:29]
	ds_load_b128 v[2:5], v1 offset:1312
	scratch_load_b128 v[26:29], off, off offset:496
	v_add_f64_e32 v[171:172], v[171:172], v[181:182]
	v_add_f64_e32 v[173:174], v[173:174], v[177:178]
	v_fma_f64 v[175:176], v[8:9], v[30:31], v[175:176]
	v_fma_f64 v[181:182], v[6:7], v[30:31], -v[32:33]
	ds_load_b128 v[6:9], v1 offset:1328
	s_wait_loadcnt_dscnt 0x801
	v_mul_f64_e32 v[177:178], v[2:3], v[36:37]
	v_mul_f64_e32 v[36:37], v[4:5], v[36:37]
	scratch_load_b128 v[30:33], off, off offset:512
	v_add_f64_e32 v[171:172], v[171:172], v[183:184]
	v_add_f64_e32 v[173:174], v[173:174], v[179:180]
	s_wait_loadcnt_dscnt 0x800
	v_mul_f64_e32 v[179:180], v[6:7], v[169:170]
	v_mul_f64_e32 v[169:170], v[8:9], v[169:170]
	v_fma_f64 v[177:178], v[4:5], v[34:35], v[177:178]
	v_fma_f64 v[183:184], v[2:3], v[34:35], -v[36:37]
	ds_load_b128 v[2:5], v1 offset:1344
	scratch_load_b128 v[34:37], off, off offset:528
	v_add_f64_e32 v[171:172], v[171:172], v[181:182]
	v_add_f64_e32 v[173:174], v[173:174], v[175:176]
	v_fma_f64 v[179:180], v[8:9], v[167:168], v[179:180]
	v_fma_f64 v[181:182], v[6:7], v[167:168], -v[169:170]
	ds_load_b128 v[6:9], v1 offset:1360
	scratch_load_b128 v[167:170], off, off offset:544
	s_wait_loadcnt_dscnt 0x901
	v_mul_f64_e32 v[175:176], v[2:3], v[40:41]
	v_mul_f64_e32 v[40:41], v[4:5], v[40:41]
	v_add_f64_e32 v[171:172], v[171:172], v[183:184]
	v_add_f64_e32 v[173:174], v[173:174], v[177:178]
	s_wait_loadcnt_dscnt 0x800
	v_mul_f64_e32 v[177:178], v[6:7], v[165:166]
	v_mul_f64_e32 v[165:166], v[8:9], v[165:166]
	v_fma_f64 v[175:176], v[4:5], v[38:39], v[175:176]
	v_fma_f64 v[183:184], v[2:3], v[38:39], -v[40:41]
	ds_load_b128 v[2:5], v1 offset:1376
	scratch_load_b128 v[38:41], off, off offset:560
	v_add_f64_e32 v[171:172], v[171:172], v[181:182]
	v_add_f64_e32 v[173:174], v[173:174], v[179:180]
	v_fma_f64 v[177:178], v[8:9], v[163:164], v[177:178]
	v_fma_f64 v[181:182], v[6:7], v[163:164], -v[165:166]
	ds_load_b128 v[6:9], v1 offset:1392
	s_wait_loadcnt_dscnt 0x801
	v_mul_f64_e32 v[179:180], v[2:3], v[12:13]
	v_mul_f64_e32 v[12:13], v[4:5], v[12:13]
	scratch_load_b128 v[163:166], off, off offset:576
	v_add_f64_e32 v[171:172], v[171:172], v[183:184]
	v_add_f64_e32 v[173:174], v[173:174], v[175:176]
	s_wait_loadcnt_dscnt 0x800
	v_mul_f64_e32 v[175:176], v[6:7], v[16:17]
	v_mul_f64_e32 v[16:17], v[8:9], v[16:17]
	v_fma_f64 v[179:180], v[4:5], v[10:11], v[179:180]
	v_fma_f64 v[183:184], v[2:3], v[10:11], -v[12:13]
	ds_load_b128 v[2:5], v1 offset:1408
	scratch_load_b128 v[10:13], off, off offset:592
	v_add_f64_e32 v[171:172], v[171:172], v[181:182]
	v_add_f64_e32 v[173:174], v[173:174], v[177:178]
	v_fma_f64 v[175:176], v[8:9], v[14:15], v[175:176]
	v_fma_f64 v[181:182], v[6:7], v[14:15], -v[16:17]
	ds_load_b128 v[6:9], v1 offset:1424
	s_wait_loadcnt_dscnt 0x801
	v_mul_f64_e32 v[177:178], v[2:3], v[20:21]
	v_mul_f64_e32 v[20:21], v[4:5], v[20:21]
	scratch_load_b128 v[14:17], off, off offset:608
	v_add_f64_e32 v[171:172], v[171:172], v[183:184]
	v_add_f64_e32 v[173:174], v[173:174], v[179:180]
	s_wait_loadcnt_dscnt 0x800
	v_mul_f64_e32 v[179:180], v[6:7], v[24:25]
	v_mul_f64_e32 v[24:25], v[8:9], v[24:25]
	v_fma_f64 v[177:178], v[4:5], v[18:19], v[177:178]
	v_fma_f64 v[183:184], v[2:3], v[18:19], -v[20:21]
	ds_load_b128 v[2:5], v1 offset:1440
	scratch_load_b128 v[18:21], off, off offset:624
	v_add_f64_e32 v[171:172], v[171:172], v[181:182]
	v_add_f64_e32 v[173:174], v[173:174], v[175:176]
	v_fma_f64 v[179:180], v[8:9], v[22:23], v[179:180]
	v_fma_f64 v[181:182], v[6:7], v[22:23], -v[24:25]
	ds_load_b128 v[6:9], v1 offset:1456
	s_wait_loadcnt_dscnt 0x801
	v_mul_f64_e32 v[175:176], v[2:3], v[28:29]
	v_mul_f64_e32 v[28:29], v[4:5], v[28:29]
	scratch_load_b128 v[22:25], off, off offset:640
	v_add_f64_e32 v[171:172], v[171:172], v[183:184]
	v_add_f64_e32 v[173:174], v[173:174], v[177:178]
	s_wait_loadcnt_dscnt 0x800
	v_mul_f64_e32 v[177:178], v[6:7], v[32:33]
	v_mul_f64_e32 v[32:33], v[8:9], v[32:33]
	v_fma_f64 v[175:176], v[4:5], v[26:27], v[175:176]
	v_fma_f64 v[183:184], v[2:3], v[26:27], -v[28:29]
	ds_load_b128 v[2:5], v1 offset:1472
	scratch_load_b128 v[26:29], off, off offset:656
	v_add_f64_e32 v[171:172], v[171:172], v[181:182]
	v_add_f64_e32 v[173:174], v[173:174], v[179:180]
	v_fma_f64 v[177:178], v[8:9], v[30:31], v[177:178]
	v_fma_f64 v[181:182], v[6:7], v[30:31], -v[32:33]
	ds_load_b128 v[6:9], v1 offset:1488
	s_wait_loadcnt_dscnt 0x801
	v_mul_f64_e32 v[179:180], v[2:3], v[36:37]
	v_mul_f64_e32 v[36:37], v[4:5], v[36:37]
	scratch_load_b128 v[30:33], off, off offset:672
	v_add_f64_e32 v[171:172], v[171:172], v[183:184]
	v_add_f64_e32 v[173:174], v[173:174], v[175:176]
	s_wait_loadcnt_dscnt 0x800
	v_mul_f64_e32 v[175:176], v[6:7], v[169:170]
	v_mul_f64_e32 v[169:170], v[8:9], v[169:170]
	v_fma_f64 v[179:180], v[4:5], v[34:35], v[179:180]
	v_fma_f64 v[183:184], v[2:3], v[34:35], -v[36:37]
	ds_load_b128 v[2:5], v1 offset:1504
	scratch_load_b128 v[34:37], off, off offset:688
	v_add_f64_e32 v[171:172], v[171:172], v[181:182]
	v_add_f64_e32 v[173:174], v[173:174], v[177:178]
	v_fma_f64 v[175:176], v[8:9], v[167:168], v[175:176]
	v_fma_f64 v[181:182], v[6:7], v[167:168], -v[169:170]
	ds_load_b128 v[6:9], v1 offset:1520
	s_wait_loadcnt_dscnt 0x801
	v_mul_f64_e32 v[177:178], v[2:3], v[40:41]
	v_mul_f64_e32 v[40:41], v[4:5], v[40:41]
	scratch_load_b128 v[167:170], off, off offset:704
	v_add_f64_e32 v[171:172], v[171:172], v[183:184]
	v_add_f64_e32 v[173:174], v[173:174], v[179:180]
	s_wait_loadcnt_dscnt 0x800
	v_mul_f64_e32 v[179:180], v[6:7], v[165:166]
	v_mul_f64_e32 v[165:166], v[8:9], v[165:166]
	v_fma_f64 v[177:178], v[4:5], v[38:39], v[177:178]
	v_fma_f64 v[183:184], v[2:3], v[38:39], -v[40:41]
	ds_load_b128 v[2:5], v1 offset:1536
	scratch_load_b128 v[38:41], off, off offset:720
	v_add_f64_e32 v[171:172], v[171:172], v[181:182]
	v_add_f64_e32 v[173:174], v[173:174], v[175:176]
	v_fma_f64 v[179:180], v[8:9], v[163:164], v[179:180]
	v_fma_f64 v[181:182], v[6:7], v[163:164], -v[165:166]
	ds_load_b128 v[6:9], v1 offset:1552
	s_wait_loadcnt_dscnt 0x801
	v_mul_f64_e32 v[175:176], v[2:3], v[12:13]
	v_mul_f64_e32 v[12:13], v[4:5], v[12:13]
	scratch_load_b128 v[163:166], off, off offset:736
	v_add_f64_e32 v[171:172], v[171:172], v[183:184]
	v_add_f64_e32 v[173:174], v[173:174], v[177:178]
	s_wait_loadcnt_dscnt 0x800
	v_mul_f64_e32 v[177:178], v[6:7], v[16:17]
	v_mul_f64_e32 v[16:17], v[8:9], v[16:17]
	v_fma_f64 v[175:176], v[4:5], v[10:11], v[175:176]
	v_fma_f64 v[183:184], v[2:3], v[10:11], -v[12:13]
	ds_load_b128 v[2:5], v1 offset:1568
	scratch_load_b128 v[10:13], off, off offset:752
	v_add_f64_e32 v[171:172], v[171:172], v[181:182]
	v_add_f64_e32 v[173:174], v[173:174], v[179:180]
	v_fma_f64 v[177:178], v[8:9], v[14:15], v[177:178]
	v_fma_f64 v[181:182], v[6:7], v[14:15], -v[16:17]
	ds_load_b128 v[6:9], v1 offset:1584
	s_wait_loadcnt_dscnt 0x801
	v_mul_f64_e32 v[179:180], v[2:3], v[20:21]
	v_mul_f64_e32 v[20:21], v[4:5], v[20:21]
	scratch_load_b128 v[14:17], off, off offset:768
	v_add_f64_e32 v[171:172], v[171:172], v[183:184]
	v_add_f64_e32 v[173:174], v[173:174], v[175:176]
	s_wait_loadcnt_dscnt 0x800
	v_mul_f64_e32 v[175:176], v[6:7], v[24:25]
	v_mul_f64_e32 v[24:25], v[8:9], v[24:25]
	v_fma_f64 v[179:180], v[4:5], v[18:19], v[179:180]
	v_fma_f64 v[183:184], v[2:3], v[18:19], -v[20:21]
	ds_load_b128 v[2:5], v1 offset:1600
	scratch_load_b128 v[18:21], off, off offset:784
	v_add_f64_e32 v[171:172], v[171:172], v[181:182]
	v_add_f64_e32 v[173:174], v[173:174], v[177:178]
	v_fma_f64 v[175:176], v[8:9], v[22:23], v[175:176]
	v_fma_f64 v[181:182], v[6:7], v[22:23], -v[24:25]
	ds_load_b128 v[6:9], v1 offset:1616
	s_wait_loadcnt_dscnt 0x801
	v_mul_f64_e32 v[177:178], v[2:3], v[28:29]
	v_mul_f64_e32 v[28:29], v[4:5], v[28:29]
	scratch_load_b128 v[22:25], off, off offset:800
	v_add_f64_e32 v[171:172], v[171:172], v[183:184]
	v_add_f64_e32 v[173:174], v[173:174], v[179:180]
	s_wait_loadcnt_dscnt 0x800
	v_mul_f64_e32 v[179:180], v[6:7], v[32:33]
	v_mul_f64_e32 v[32:33], v[8:9], v[32:33]
	v_fma_f64 v[177:178], v[4:5], v[26:27], v[177:178]
	v_fma_f64 v[183:184], v[2:3], v[26:27], -v[28:29]
	ds_load_b128 v[2:5], v1 offset:1632
	scratch_load_b128 v[26:29], off, off offset:816
	v_add_f64_e32 v[171:172], v[171:172], v[181:182]
	v_add_f64_e32 v[173:174], v[173:174], v[175:176]
	v_fma_f64 v[179:180], v[8:9], v[30:31], v[179:180]
	v_fma_f64 v[181:182], v[6:7], v[30:31], -v[32:33]
	ds_load_b128 v[6:9], v1 offset:1648
	s_wait_loadcnt_dscnt 0x801
	v_mul_f64_e32 v[175:176], v[2:3], v[36:37]
	v_mul_f64_e32 v[36:37], v[4:5], v[36:37]
	scratch_load_b128 v[30:33], off, off offset:832
	v_add_f64_e32 v[171:172], v[171:172], v[183:184]
	v_add_f64_e32 v[173:174], v[173:174], v[177:178]
	s_wait_loadcnt_dscnt 0x800
	v_mul_f64_e32 v[177:178], v[6:7], v[169:170]
	v_mul_f64_e32 v[169:170], v[8:9], v[169:170]
	v_fma_f64 v[175:176], v[4:5], v[34:35], v[175:176]
	v_fma_f64 v[183:184], v[2:3], v[34:35], -v[36:37]
	ds_load_b128 v[2:5], v1 offset:1664
	scratch_load_b128 v[34:37], off, off offset:848
	v_add_f64_e32 v[171:172], v[171:172], v[181:182]
	v_add_f64_e32 v[173:174], v[173:174], v[179:180]
	v_fma_f64 v[177:178], v[8:9], v[167:168], v[177:178]
	v_fma_f64 v[181:182], v[6:7], v[167:168], -v[169:170]
	ds_load_b128 v[6:9], v1 offset:1680
	s_wait_loadcnt_dscnt 0x801
	v_mul_f64_e32 v[179:180], v[2:3], v[40:41]
	v_mul_f64_e32 v[40:41], v[4:5], v[40:41]
	scratch_load_b128 v[167:170], off, off offset:864
	v_add_f64_e32 v[171:172], v[171:172], v[183:184]
	v_add_f64_e32 v[173:174], v[173:174], v[175:176]
	s_wait_loadcnt_dscnt 0x800
	v_mul_f64_e32 v[175:176], v[6:7], v[165:166]
	v_mul_f64_e32 v[165:166], v[8:9], v[165:166]
	v_fma_f64 v[179:180], v[4:5], v[38:39], v[179:180]
	v_fma_f64 v[183:184], v[2:3], v[38:39], -v[40:41]
	ds_load_b128 v[2:5], v1 offset:1696
	scratch_load_b128 v[38:41], off, off offset:880
	v_add_f64_e32 v[171:172], v[171:172], v[181:182]
	v_add_f64_e32 v[173:174], v[173:174], v[177:178]
	v_fma_f64 v[175:176], v[8:9], v[163:164], v[175:176]
	v_fma_f64 v[181:182], v[6:7], v[163:164], -v[165:166]
	ds_load_b128 v[6:9], v1 offset:1712
	s_wait_loadcnt_dscnt 0x801
	v_mul_f64_e32 v[177:178], v[2:3], v[12:13]
	v_mul_f64_e32 v[12:13], v[4:5], v[12:13]
	scratch_load_b128 v[163:166], off, off offset:896
	v_add_f64_e32 v[171:172], v[171:172], v[183:184]
	v_add_f64_e32 v[173:174], v[173:174], v[179:180]
	s_wait_loadcnt_dscnt 0x800
	v_mul_f64_e32 v[179:180], v[6:7], v[16:17]
	v_mul_f64_e32 v[16:17], v[8:9], v[16:17]
	v_fma_f64 v[177:178], v[4:5], v[10:11], v[177:178]
	v_fma_f64 v[183:184], v[2:3], v[10:11], -v[12:13]
	ds_load_b128 v[2:5], v1 offset:1728
	scratch_load_b128 v[10:13], off, off offset:912
	v_add_f64_e32 v[171:172], v[171:172], v[181:182]
	v_add_f64_e32 v[173:174], v[173:174], v[175:176]
	v_fma_f64 v[179:180], v[8:9], v[14:15], v[179:180]
	v_fma_f64 v[181:182], v[6:7], v[14:15], -v[16:17]
	ds_load_b128 v[6:9], v1 offset:1744
	s_wait_loadcnt_dscnt 0x801
	v_mul_f64_e32 v[175:176], v[2:3], v[20:21]
	v_mul_f64_e32 v[20:21], v[4:5], v[20:21]
	scratch_load_b128 v[14:17], off, off offset:928
	v_add_f64_e32 v[171:172], v[171:172], v[183:184]
	v_add_f64_e32 v[173:174], v[173:174], v[177:178]
	s_wait_loadcnt_dscnt 0x800
	v_mul_f64_e32 v[177:178], v[6:7], v[24:25]
	v_mul_f64_e32 v[24:25], v[8:9], v[24:25]
	v_fma_f64 v[175:176], v[4:5], v[18:19], v[175:176]
	v_fma_f64 v[183:184], v[2:3], v[18:19], -v[20:21]
	ds_load_b128 v[2:5], v1 offset:1760
	scratch_load_b128 v[18:21], off, off offset:944
	v_add_f64_e32 v[171:172], v[171:172], v[181:182]
	v_add_f64_e32 v[173:174], v[173:174], v[179:180]
	v_fma_f64 v[177:178], v[8:9], v[22:23], v[177:178]
	v_fma_f64 v[181:182], v[6:7], v[22:23], -v[24:25]
	ds_load_b128 v[6:9], v1 offset:1776
	s_wait_loadcnt_dscnt 0x801
	v_mul_f64_e32 v[179:180], v[2:3], v[28:29]
	v_mul_f64_e32 v[28:29], v[4:5], v[28:29]
	scratch_load_b128 v[22:25], off, off offset:960
	v_add_f64_e32 v[171:172], v[171:172], v[183:184]
	v_add_f64_e32 v[173:174], v[173:174], v[175:176]
	s_wait_loadcnt_dscnt 0x800
	v_mul_f64_e32 v[175:176], v[6:7], v[32:33]
	v_mul_f64_e32 v[32:33], v[8:9], v[32:33]
	v_fma_f64 v[179:180], v[4:5], v[26:27], v[179:180]
	v_fma_f64 v[26:27], v[2:3], v[26:27], -v[28:29]
	ds_load_b128 v[2:5], v1 offset:1792
	v_add_f64_e32 v[28:29], v[171:172], v[181:182]
	v_add_f64_e32 v[171:172], v[173:174], v[177:178]
	v_fma_f64 v[175:176], v[8:9], v[30:31], v[175:176]
	v_fma_f64 v[30:31], v[6:7], v[30:31], -v[32:33]
	ds_load_b128 v[6:9], v1 offset:1808
	s_wait_loadcnt_dscnt 0x701
	v_mul_f64_e32 v[173:174], v[2:3], v[36:37]
	v_mul_f64_e32 v[36:37], v[4:5], v[36:37]
	v_add_f64_e32 v[26:27], v[28:29], v[26:27]
	v_add_f64_e32 v[28:29], v[171:172], v[179:180]
	s_delay_alu instid0(VALU_DEP_4) | instskip(NEXT) | instid1(VALU_DEP_4)
	v_fma_f64 v[171:172], v[4:5], v[34:35], v[173:174]
	v_fma_f64 v[34:35], v[2:3], v[34:35], -v[36:37]
	ds_load_b128 v[2:5], v1 offset:1824
	v_add_f64_e32 v[30:31], v[26:27], v[30:31]
	v_add_f64_e32 v[36:37], v[28:29], v[175:176]
	scratch_load_b128 v[26:29], off, off offset:224
	s_wait_loadcnt_dscnt 0x701
	v_mul_f64_e32 v[32:33], v[6:7], v[169:170]
	v_mul_f64_e32 v[169:170], v[8:9], v[169:170]
	v_add_f64_e32 v[30:31], v[30:31], v[34:35]
	v_add_f64_e32 v[34:35], v[36:37], v[171:172]
	s_delay_alu instid0(VALU_DEP_4) | instskip(NEXT) | instid1(VALU_DEP_4)
	v_fma_f64 v[32:33], v[8:9], v[167:168], v[32:33]
	v_fma_f64 v[167:168], v[6:7], v[167:168], -v[169:170]
	ds_load_b128 v[6:9], v1 offset:1840
	s_wait_loadcnt_dscnt 0x601
	v_mul_f64_e32 v[173:174], v[2:3], v[40:41]
	v_mul_f64_e32 v[40:41], v[4:5], v[40:41]
	s_wait_loadcnt_dscnt 0x500
	v_mul_f64_e32 v[36:37], v[6:7], v[165:166]
	v_mul_f64_e32 v[165:166], v[8:9], v[165:166]
	v_add_f64_e32 v[32:33], v[34:35], v[32:33]
	v_add_f64_e32 v[30:31], v[30:31], v[167:168]
	v_fma_f64 v[169:170], v[4:5], v[38:39], v[173:174]
	v_fma_f64 v[38:39], v[2:3], v[38:39], -v[40:41]
	ds_load_b128 v[2:5], v1 offset:1856
	v_fma_f64 v[36:37], v[8:9], v[163:164], v[36:37]
	v_fma_f64 v[40:41], v[6:7], v[163:164], -v[165:166]
	ds_load_b128 v[6:9], v1 offset:1872
	s_wait_loadcnt_dscnt 0x401
	v_mul_f64_e32 v[34:35], v[2:3], v[12:13]
	v_mul_f64_e32 v[12:13], v[4:5], v[12:13]
	v_add_f64_e32 v[32:33], v[32:33], v[169:170]
	v_add_f64_e32 v[30:31], v[30:31], v[38:39]
	s_wait_loadcnt_dscnt 0x300
	v_mul_f64_e32 v[38:39], v[6:7], v[16:17]
	v_mul_f64_e32 v[16:17], v[8:9], v[16:17]
	v_fma_f64 v[34:35], v[4:5], v[10:11], v[34:35]
	v_fma_f64 v[10:11], v[2:3], v[10:11], -v[12:13]
	ds_load_b128 v[2:5], v1 offset:1888
	v_add_f64_e32 v[12:13], v[30:31], v[40:41]
	v_add_f64_e32 v[30:31], v[32:33], v[36:37]
	v_fma_f64 v[36:37], v[8:9], v[14:15], v[38:39]
	v_fma_f64 v[14:15], v[6:7], v[14:15], -v[16:17]
	ds_load_b128 v[6:9], v1 offset:1904
	s_wait_loadcnt_dscnt 0x201
	v_mul_f64_e32 v[32:33], v[2:3], v[20:21]
	v_mul_f64_e32 v[20:21], v[4:5], v[20:21]
	s_wait_loadcnt_dscnt 0x100
	v_mul_f64_e32 v[16:17], v[6:7], v[24:25]
	v_mul_f64_e32 v[24:25], v[8:9], v[24:25]
	v_add_f64_e32 v[10:11], v[12:13], v[10:11]
	v_add_f64_e32 v[12:13], v[30:31], v[34:35]
	v_fma_f64 v[4:5], v[4:5], v[18:19], v[32:33]
	v_fma_f64 v[1:2], v[2:3], v[18:19], -v[20:21]
	v_fma_f64 v[8:9], v[8:9], v[22:23], v[16:17]
	v_fma_f64 v[6:7], v[6:7], v[22:23], -v[24:25]
	v_add_f64_e32 v[10:11], v[10:11], v[14:15]
	v_add_f64_e32 v[12:13], v[12:13], v[36:37]
	s_delay_alu instid0(VALU_DEP_2) | instskip(NEXT) | instid1(VALU_DEP_2)
	v_add_f64_e32 v[1:2], v[10:11], v[1:2]
	v_add_f64_e32 v[3:4], v[12:13], v[4:5]
	s_delay_alu instid0(VALU_DEP_2) | instskip(NEXT) | instid1(VALU_DEP_2)
	v_add_f64_e32 v[1:2], v[1:2], v[6:7]
	v_add_f64_e32 v[3:4], v[3:4], v[8:9]
	s_wait_loadcnt 0x0
	s_delay_alu instid0(VALU_DEP_2) | instskip(NEXT) | instid1(VALU_DEP_2)
	v_add_f64_e64 v[1:2], v[26:27], -v[1:2]
	v_add_f64_e64 v[3:4], v[28:29], -v[3:4]
	scratch_store_b128 off, v[1:4], off offset:224
	v_cmpx_lt_u32_e32 12, v0
	s_cbranch_execz .LBB123_349
; %bb.348:
	scratch_load_b128 v[1:4], off, s61
	v_mov_b32_e32 v5, 0
	s_delay_alu instid0(VALU_DEP_1)
	v_dual_mov_b32 v6, v5 :: v_dual_mov_b32 v7, v5
	v_mov_b32_e32 v8, v5
	scratch_store_b128 off, v[5:8], off offset:208
	s_wait_loadcnt 0x0
	ds_store_b128 v162, v[1:4]
.LBB123_349:
	s_wait_alu 0xfffe
	s_or_b32 exec_lo, exec_lo, s0
	s_wait_storecnt_dscnt 0x0
	s_barrier_signal -1
	s_barrier_wait -1
	global_inv scope:SCOPE_SE
	s_clause 0x7
	scratch_load_b128 v[2:5], off, off offset:224
	scratch_load_b128 v[6:9], off, off offset:240
	;; [unrolled: 1-line block ×8, first 2 shown]
	v_mov_b32_e32 v1, 0
	s_clause 0x1
	scratch_load_b128 v[34:37], off, off offset:352
	scratch_load_b128 v[167:170], off, off offset:368
	s_mov_b32 s0, exec_lo
	ds_load_b128 v[38:41], v1 offset:1168
	ds_load_b128 v[163:166], v1 offset:1184
	s_wait_loadcnt_dscnt 0x901
	v_mul_f64_e32 v[171:172], v[40:41], v[4:5]
	v_mul_f64_e32 v[4:5], v[38:39], v[4:5]
	s_wait_loadcnt_dscnt 0x800
	v_mul_f64_e32 v[173:174], v[163:164], v[8:9]
	v_mul_f64_e32 v[8:9], v[165:166], v[8:9]
	s_delay_alu instid0(VALU_DEP_4) | instskip(NEXT) | instid1(VALU_DEP_4)
	v_fma_f64 v[171:172], v[38:39], v[2:3], -v[171:172]
	v_fma_f64 v[175:176], v[40:41], v[2:3], v[4:5]
	ds_load_b128 v[2:5], v1 offset:1200
	scratch_load_b128 v[38:41], off, off offset:384
	v_fma_f64 v[173:174], v[165:166], v[6:7], v[173:174]
	v_fma_f64 v[179:180], v[163:164], v[6:7], -v[8:9]
	ds_load_b128 v[6:9], v1 offset:1216
	scratch_load_b128 v[163:166], off, off offset:400
	s_wait_loadcnt_dscnt 0x901
	v_mul_f64_e32 v[177:178], v[2:3], v[12:13]
	v_mul_f64_e32 v[12:13], v[4:5], v[12:13]
	s_wait_loadcnt_dscnt 0x800
	v_mul_f64_e32 v[181:182], v[6:7], v[16:17]
	v_mul_f64_e32 v[16:17], v[8:9], v[16:17]
	v_add_f64_e32 v[171:172], 0, v[171:172]
	v_add_f64_e32 v[175:176], 0, v[175:176]
	v_fma_f64 v[177:178], v[4:5], v[10:11], v[177:178]
	v_fma_f64 v[183:184], v[2:3], v[10:11], -v[12:13]
	ds_load_b128 v[2:5], v1 offset:1232
	scratch_load_b128 v[10:13], off, off offset:416
	v_add_f64_e32 v[171:172], v[171:172], v[179:180]
	v_add_f64_e32 v[173:174], v[175:176], v[173:174]
	v_fma_f64 v[179:180], v[8:9], v[14:15], v[181:182]
	v_fma_f64 v[181:182], v[6:7], v[14:15], -v[16:17]
	ds_load_b128 v[6:9], v1 offset:1248
	scratch_load_b128 v[14:17], off, off offset:432
	s_wait_loadcnt_dscnt 0x901
	v_mul_f64_e32 v[175:176], v[2:3], v[20:21]
	v_mul_f64_e32 v[20:21], v[4:5], v[20:21]
	v_add_f64_e32 v[171:172], v[171:172], v[183:184]
	v_add_f64_e32 v[173:174], v[173:174], v[177:178]
	s_wait_loadcnt_dscnt 0x800
	v_mul_f64_e32 v[177:178], v[6:7], v[24:25]
	v_mul_f64_e32 v[24:25], v[8:9], v[24:25]
	v_fma_f64 v[175:176], v[4:5], v[18:19], v[175:176]
	v_fma_f64 v[183:184], v[2:3], v[18:19], -v[20:21]
	ds_load_b128 v[2:5], v1 offset:1264
	scratch_load_b128 v[18:21], off, off offset:448
	v_add_f64_e32 v[171:172], v[171:172], v[181:182]
	v_add_f64_e32 v[173:174], v[173:174], v[179:180]
	v_fma_f64 v[177:178], v[8:9], v[22:23], v[177:178]
	v_fma_f64 v[181:182], v[6:7], v[22:23], -v[24:25]
	ds_load_b128 v[6:9], v1 offset:1280
	s_wait_loadcnt_dscnt 0x801
	v_mul_f64_e32 v[179:180], v[2:3], v[28:29]
	v_mul_f64_e32 v[28:29], v[4:5], v[28:29]
	scratch_load_b128 v[22:25], off, off offset:464
	v_add_f64_e32 v[171:172], v[171:172], v[183:184]
	v_add_f64_e32 v[173:174], v[173:174], v[175:176]
	s_wait_loadcnt_dscnt 0x800
	v_mul_f64_e32 v[175:176], v[6:7], v[32:33]
	v_mul_f64_e32 v[32:33], v[8:9], v[32:33]
	v_fma_f64 v[179:180], v[4:5], v[26:27], v[179:180]
	v_fma_f64 v[183:184], v[2:3], v[26:27], -v[28:29]
	ds_load_b128 v[2:5], v1 offset:1296
	scratch_load_b128 v[26:29], off, off offset:480
	v_add_f64_e32 v[171:172], v[171:172], v[181:182]
	v_add_f64_e32 v[173:174], v[173:174], v[177:178]
	v_fma_f64 v[175:176], v[8:9], v[30:31], v[175:176]
	v_fma_f64 v[181:182], v[6:7], v[30:31], -v[32:33]
	ds_load_b128 v[6:9], v1 offset:1312
	s_wait_loadcnt_dscnt 0x801
	v_mul_f64_e32 v[177:178], v[2:3], v[36:37]
	v_mul_f64_e32 v[36:37], v[4:5], v[36:37]
	scratch_load_b128 v[30:33], off, off offset:496
	v_add_f64_e32 v[171:172], v[171:172], v[183:184]
	v_add_f64_e32 v[173:174], v[173:174], v[179:180]
	s_wait_loadcnt_dscnt 0x800
	v_mul_f64_e32 v[179:180], v[6:7], v[169:170]
	v_mul_f64_e32 v[169:170], v[8:9], v[169:170]
	v_fma_f64 v[177:178], v[4:5], v[34:35], v[177:178]
	v_fma_f64 v[183:184], v[2:3], v[34:35], -v[36:37]
	ds_load_b128 v[2:5], v1 offset:1328
	scratch_load_b128 v[34:37], off, off offset:512
	v_add_f64_e32 v[171:172], v[171:172], v[181:182]
	v_add_f64_e32 v[173:174], v[173:174], v[175:176]
	v_fma_f64 v[179:180], v[8:9], v[167:168], v[179:180]
	v_fma_f64 v[181:182], v[6:7], v[167:168], -v[169:170]
	ds_load_b128 v[6:9], v1 offset:1344
	scratch_load_b128 v[167:170], off, off offset:528
	s_wait_loadcnt_dscnt 0x901
	v_mul_f64_e32 v[175:176], v[2:3], v[40:41]
	v_mul_f64_e32 v[40:41], v[4:5], v[40:41]
	v_add_f64_e32 v[171:172], v[171:172], v[183:184]
	v_add_f64_e32 v[173:174], v[173:174], v[177:178]
	s_wait_loadcnt_dscnt 0x800
	v_mul_f64_e32 v[177:178], v[6:7], v[165:166]
	v_mul_f64_e32 v[165:166], v[8:9], v[165:166]
	v_fma_f64 v[175:176], v[4:5], v[38:39], v[175:176]
	v_fma_f64 v[183:184], v[2:3], v[38:39], -v[40:41]
	ds_load_b128 v[2:5], v1 offset:1360
	scratch_load_b128 v[38:41], off, off offset:544
	v_add_f64_e32 v[171:172], v[171:172], v[181:182]
	v_add_f64_e32 v[173:174], v[173:174], v[179:180]
	v_fma_f64 v[177:178], v[8:9], v[163:164], v[177:178]
	v_fma_f64 v[181:182], v[6:7], v[163:164], -v[165:166]
	ds_load_b128 v[6:9], v1 offset:1376
	s_wait_loadcnt_dscnt 0x801
	v_mul_f64_e32 v[179:180], v[2:3], v[12:13]
	v_mul_f64_e32 v[12:13], v[4:5], v[12:13]
	scratch_load_b128 v[163:166], off, off offset:560
	v_add_f64_e32 v[171:172], v[171:172], v[183:184]
	v_add_f64_e32 v[173:174], v[173:174], v[175:176]
	s_wait_loadcnt_dscnt 0x800
	v_mul_f64_e32 v[175:176], v[6:7], v[16:17]
	v_mul_f64_e32 v[16:17], v[8:9], v[16:17]
	v_fma_f64 v[179:180], v[4:5], v[10:11], v[179:180]
	v_fma_f64 v[183:184], v[2:3], v[10:11], -v[12:13]
	ds_load_b128 v[2:5], v1 offset:1392
	scratch_load_b128 v[10:13], off, off offset:576
	v_add_f64_e32 v[171:172], v[171:172], v[181:182]
	v_add_f64_e32 v[173:174], v[173:174], v[177:178]
	v_fma_f64 v[175:176], v[8:9], v[14:15], v[175:176]
	v_fma_f64 v[181:182], v[6:7], v[14:15], -v[16:17]
	ds_load_b128 v[6:9], v1 offset:1408
	s_wait_loadcnt_dscnt 0x801
	v_mul_f64_e32 v[177:178], v[2:3], v[20:21]
	v_mul_f64_e32 v[20:21], v[4:5], v[20:21]
	scratch_load_b128 v[14:17], off, off offset:592
	;; [unrolled: 18-line block ×13, first 2 shown]
	v_add_f64_e32 v[171:172], v[171:172], v[183:184]
	v_add_f64_e32 v[173:174], v[173:174], v[175:176]
	s_wait_loadcnt_dscnt 0x800
	v_mul_f64_e32 v[175:176], v[6:7], v[32:33]
	v_mul_f64_e32 v[32:33], v[8:9], v[32:33]
	v_fma_f64 v[179:180], v[4:5], v[26:27], v[179:180]
	v_fma_f64 v[183:184], v[2:3], v[26:27], -v[28:29]
	ds_load_b128 v[2:5], v1 offset:1776
	scratch_load_b128 v[26:29], off, off offset:960
	v_add_f64_e32 v[171:172], v[171:172], v[181:182]
	v_add_f64_e32 v[173:174], v[173:174], v[177:178]
	v_fma_f64 v[175:176], v[8:9], v[30:31], v[175:176]
	v_fma_f64 v[30:31], v[6:7], v[30:31], -v[32:33]
	ds_load_b128 v[6:9], v1 offset:1792
	s_wait_loadcnt_dscnt 0x801
	v_mul_f64_e32 v[177:178], v[2:3], v[36:37]
	v_mul_f64_e32 v[36:37], v[4:5], v[36:37]
	v_add_f64_e32 v[32:33], v[171:172], v[183:184]
	v_add_f64_e32 v[171:172], v[173:174], v[179:180]
	s_wait_loadcnt_dscnt 0x700
	v_mul_f64_e32 v[173:174], v[6:7], v[169:170]
	v_mul_f64_e32 v[169:170], v[8:9], v[169:170]
	v_fma_f64 v[177:178], v[4:5], v[34:35], v[177:178]
	v_fma_f64 v[34:35], v[2:3], v[34:35], -v[36:37]
	ds_load_b128 v[2:5], v1 offset:1808
	v_add_f64_e32 v[30:31], v[32:33], v[30:31]
	v_add_f64_e32 v[32:33], v[171:172], v[175:176]
	v_fma_f64 v[171:172], v[8:9], v[167:168], v[173:174]
	v_fma_f64 v[167:168], v[6:7], v[167:168], -v[169:170]
	ds_load_b128 v[6:9], v1 offset:1824
	s_wait_loadcnt_dscnt 0x500
	v_mul_f64_e32 v[173:174], v[6:7], v[165:166]
	v_mul_f64_e32 v[165:166], v[8:9], v[165:166]
	v_add_f64_e32 v[34:35], v[30:31], v[34:35]
	v_add_f64_e32 v[169:170], v[32:33], v[177:178]
	scratch_load_b128 v[30:33], off, off offset:208
	v_mul_f64_e32 v[36:37], v[2:3], v[40:41]
	v_mul_f64_e32 v[40:41], v[4:5], v[40:41]
	v_add_f64_e32 v[34:35], v[34:35], v[167:168]
	s_delay_alu instid0(VALU_DEP_3) | instskip(NEXT) | instid1(VALU_DEP_3)
	v_fma_f64 v[36:37], v[4:5], v[38:39], v[36:37]
	v_fma_f64 v[38:39], v[2:3], v[38:39], -v[40:41]
	v_add_f64_e32 v[40:41], v[169:170], v[171:172]
	ds_load_b128 v[2:5], v1 offset:1840
	v_fma_f64 v[169:170], v[8:9], v[163:164], v[173:174]
	v_fma_f64 v[163:164], v[6:7], v[163:164], -v[165:166]
	ds_load_b128 v[6:9], v1 offset:1856
	s_wait_loadcnt_dscnt 0x501
	v_mul_f64_e32 v[167:168], v[2:3], v[12:13]
	v_mul_f64_e32 v[12:13], v[4:5], v[12:13]
	v_add_f64_e32 v[34:35], v[34:35], v[38:39]
	v_add_f64_e32 v[36:37], v[40:41], v[36:37]
	s_wait_loadcnt_dscnt 0x400
	v_mul_f64_e32 v[38:39], v[6:7], v[16:17]
	v_mul_f64_e32 v[16:17], v[8:9], v[16:17]
	v_fma_f64 v[40:41], v[4:5], v[10:11], v[167:168]
	v_fma_f64 v[10:11], v[2:3], v[10:11], -v[12:13]
	ds_load_b128 v[2:5], v1 offset:1872
	v_add_f64_e32 v[12:13], v[34:35], v[163:164]
	v_add_f64_e32 v[34:35], v[36:37], v[169:170]
	v_fma_f64 v[38:39], v[8:9], v[14:15], v[38:39]
	v_fma_f64 v[14:15], v[6:7], v[14:15], -v[16:17]
	ds_load_b128 v[6:9], v1 offset:1888
	s_wait_loadcnt_dscnt 0x301
	v_mul_f64_e32 v[36:37], v[2:3], v[20:21]
	v_mul_f64_e32 v[20:21], v[4:5], v[20:21]
	s_wait_loadcnt_dscnt 0x200
	v_mul_f64_e32 v[16:17], v[6:7], v[24:25]
	v_mul_f64_e32 v[24:25], v[8:9], v[24:25]
	v_add_f64_e32 v[10:11], v[12:13], v[10:11]
	v_add_f64_e32 v[12:13], v[34:35], v[40:41]
	v_fma_f64 v[34:35], v[4:5], v[18:19], v[36:37]
	v_fma_f64 v[18:19], v[2:3], v[18:19], -v[20:21]
	ds_load_b128 v[2:5], v1 offset:1904
	v_fma_f64 v[8:9], v[8:9], v[22:23], v[16:17]
	v_fma_f64 v[6:7], v[6:7], v[22:23], -v[24:25]
	s_wait_loadcnt_dscnt 0x100
	v_mul_f64_e32 v[20:21], v[4:5], v[28:29]
	v_add_f64_e32 v[10:11], v[10:11], v[14:15]
	v_add_f64_e32 v[12:13], v[12:13], v[38:39]
	v_mul_f64_e32 v[14:15], v[2:3], v[28:29]
	s_delay_alu instid0(VALU_DEP_4) | instskip(NEXT) | instid1(VALU_DEP_4)
	v_fma_f64 v[2:3], v[2:3], v[26:27], -v[20:21]
	v_add_f64_e32 v[10:11], v[10:11], v[18:19]
	s_delay_alu instid0(VALU_DEP_4) | instskip(NEXT) | instid1(VALU_DEP_4)
	v_add_f64_e32 v[12:13], v[12:13], v[34:35]
	v_fma_f64 v[4:5], v[4:5], v[26:27], v[14:15]
	s_delay_alu instid0(VALU_DEP_3) | instskip(NEXT) | instid1(VALU_DEP_3)
	v_add_f64_e32 v[6:7], v[10:11], v[6:7]
	v_add_f64_e32 v[8:9], v[12:13], v[8:9]
	s_delay_alu instid0(VALU_DEP_2) | instskip(NEXT) | instid1(VALU_DEP_2)
	v_add_f64_e32 v[2:3], v[6:7], v[2:3]
	v_add_f64_e32 v[4:5], v[8:9], v[4:5]
	s_wait_loadcnt 0x0
	s_delay_alu instid0(VALU_DEP_2) | instskip(NEXT) | instid1(VALU_DEP_2)
	v_add_f64_e64 v[2:3], v[30:31], -v[2:3]
	v_add_f64_e64 v[4:5], v[32:33], -v[4:5]
	scratch_store_b128 off, v[2:5], off offset:208
	v_cmpx_lt_u32_e32 11, v0
	s_cbranch_execz .LBB123_351
; %bb.350:
	scratch_load_b128 v[5:8], off, s62
	v_dual_mov_b32 v2, v1 :: v_dual_mov_b32 v3, v1
	v_mov_b32_e32 v4, v1
	scratch_store_b128 off, v[1:4], off offset:192
	s_wait_loadcnt 0x0
	ds_store_b128 v162, v[5:8]
.LBB123_351:
	s_wait_alu 0xfffe
	s_or_b32 exec_lo, exec_lo, s0
	s_wait_storecnt_dscnt 0x0
	s_barrier_signal -1
	s_barrier_wait -1
	global_inv scope:SCOPE_SE
	s_clause 0x7
	scratch_load_b128 v[2:5], off, off offset:208
	scratch_load_b128 v[6:9], off, off offset:224
	;; [unrolled: 1-line block ×8, first 2 shown]
	ds_load_b128 v[38:41], v1 offset:1152
	ds_load_b128 v[163:166], v1 offset:1168
	s_clause 0x1
	scratch_load_b128 v[34:37], off, off offset:336
	scratch_load_b128 v[167:170], off, off offset:352
	s_mov_b32 s0, exec_lo
	s_wait_loadcnt_dscnt 0x901
	v_mul_f64_e32 v[171:172], v[40:41], v[4:5]
	v_mul_f64_e32 v[4:5], v[38:39], v[4:5]
	s_wait_loadcnt_dscnt 0x800
	v_mul_f64_e32 v[173:174], v[163:164], v[8:9]
	v_mul_f64_e32 v[8:9], v[165:166], v[8:9]
	s_delay_alu instid0(VALU_DEP_4) | instskip(NEXT) | instid1(VALU_DEP_4)
	v_fma_f64 v[171:172], v[38:39], v[2:3], -v[171:172]
	v_fma_f64 v[175:176], v[40:41], v[2:3], v[4:5]
	ds_load_b128 v[2:5], v1 offset:1184
	scratch_load_b128 v[38:41], off, off offset:368
	v_fma_f64 v[173:174], v[165:166], v[6:7], v[173:174]
	v_fma_f64 v[179:180], v[163:164], v[6:7], -v[8:9]
	ds_load_b128 v[6:9], v1 offset:1200
	scratch_load_b128 v[163:166], off, off offset:384
	s_wait_loadcnt_dscnt 0x901
	v_mul_f64_e32 v[177:178], v[2:3], v[12:13]
	v_mul_f64_e32 v[12:13], v[4:5], v[12:13]
	s_wait_loadcnt_dscnt 0x800
	v_mul_f64_e32 v[181:182], v[6:7], v[16:17]
	v_mul_f64_e32 v[16:17], v[8:9], v[16:17]
	v_add_f64_e32 v[171:172], 0, v[171:172]
	v_add_f64_e32 v[175:176], 0, v[175:176]
	v_fma_f64 v[177:178], v[4:5], v[10:11], v[177:178]
	v_fma_f64 v[183:184], v[2:3], v[10:11], -v[12:13]
	ds_load_b128 v[2:5], v1 offset:1216
	scratch_load_b128 v[10:13], off, off offset:400
	v_add_f64_e32 v[171:172], v[171:172], v[179:180]
	v_add_f64_e32 v[173:174], v[175:176], v[173:174]
	v_fma_f64 v[179:180], v[8:9], v[14:15], v[181:182]
	v_fma_f64 v[181:182], v[6:7], v[14:15], -v[16:17]
	ds_load_b128 v[6:9], v1 offset:1232
	scratch_load_b128 v[14:17], off, off offset:416
	s_wait_loadcnt_dscnt 0x901
	v_mul_f64_e32 v[175:176], v[2:3], v[20:21]
	v_mul_f64_e32 v[20:21], v[4:5], v[20:21]
	v_add_f64_e32 v[171:172], v[171:172], v[183:184]
	v_add_f64_e32 v[173:174], v[173:174], v[177:178]
	s_wait_loadcnt_dscnt 0x800
	v_mul_f64_e32 v[177:178], v[6:7], v[24:25]
	v_mul_f64_e32 v[24:25], v[8:9], v[24:25]
	v_fma_f64 v[175:176], v[4:5], v[18:19], v[175:176]
	v_fma_f64 v[183:184], v[2:3], v[18:19], -v[20:21]
	ds_load_b128 v[2:5], v1 offset:1248
	scratch_load_b128 v[18:21], off, off offset:432
	v_add_f64_e32 v[171:172], v[171:172], v[181:182]
	v_add_f64_e32 v[173:174], v[173:174], v[179:180]
	v_fma_f64 v[177:178], v[8:9], v[22:23], v[177:178]
	v_fma_f64 v[181:182], v[6:7], v[22:23], -v[24:25]
	ds_load_b128 v[6:9], v1 offset:1264
	s_wait_loadcnt_dscnt 0x801
	v_mul_f64_e32 v[179:180], v[2:3], v[28:29]
	v_mul_f64_e32 v[28:29], v[4:5], v[28:29]
	scratch_load_b128 v[22:25], off, off offset:448
	v_add_f64_e32 v[171:172], v[171:172], v[183:184]
	v_add_f64_e32 v[173:174], v[173:174], v[175:176]
	s_wait_loadcnt_dscnt 0x800
	v_mul_f64_e32 v[175:176], v[6:7], v[32:33]
	v_mul_f64_e32 v[32:33], v[8:9], v[32:33]
	v_fma_f64 v[179:180], v[4:5], v[26:27], v[179:180]
	v_fma_f64 v[183:184], v[2:3], v[26:27], -v[28:29]
	ds_load_b128 v[2:5], v1 offset:1280
	scratch_load_b128 v[26:29], off, off offset:464
	v_add_f64_e32 v[171:172], v[171:172], v[181:182]
	v_add_f64_e32 v[173:174], v[173:174], v[177:178]
	v_fma_f64 v[175:176], v[8:9], v[30:31], v[175:176]
	v_fma_f64 v[181:182], v[6:7], v[30:31], -v[32:33]
	ds_load_b128 v[6:9], v1 offset:1296
	s_wait_loadcnt_dscnt 0x801
	v_mul_f64_e32 v[177:178], v[2:3], v[36:37]
	v_mul_f64_e32 v[36:37], v[4:5], v[36:37]
	scratch_load_b128 v[30:33], off, off offset:480
	v_add_f64_e32 v[171:172], v[171:172], v[183:184]
	v_add_f64_e32 v[173:174], v[173:174], v[179:180]
	s_wait_loadcnt_dscnt 0x800
	v_mul_f64_e32 v[179:180], v[6:7], v[169:170]
	v_mul_f64_e32 v[169:170], v[8:9], v[169:170]
	v_fma_f64 v[177:178], v[4:5], v[34:35], v[177:178]
	v_fma_f64 v[183:184], v[2:3], v[34:35], -v[36:37]
	ds_load_b128 v[2:5], v1 offset:1312
	scratch_load_b128 v[34:37], off, off offset:496
	v_add_f64_e32 v[171:172], v[171:172], v[181:182]
	v_add_f64_e32 v[173:174], v[173:174], v[175:176]
	v_fma_f64 v[179:180], v[8:9], v[167:168], v[179:180]
	v_fma_f64 v[181:182], v[6:7], v[167:168], -v[169:170]
	ds_load_b128 v[6:9], v1 offset:1328
	scratch_load_b128 v[167:170], off, off offset:512
	s_wait_loadcnt_dscnt 0x901
	v_mul_f64_e32 v[175:176], v[2:3], v[40:41]
	v_mul_f64_e32 v[40:41], v[4:5], v[40:41]
	v_add_f64_e32 v[171:172], v[171:172], v[183:184]
	v_add_f64_e32 v[173:174], v[173:174], v[177:178]
	s_wait_loadcnt_dscnt 0x800
	v_mul_f64_e32 v[177:178], v[6:7], v[165:166]
	v_mul_f64_e32 v[165:166], v[8:9], v[165:166]
	v_fma_f64 v[175:176], v[4:5], v[38:39], v[175:176]
	v_fma_f64 v[183:184], v[2:3], v[38:39], -v[40:41]
	ds_load_b128 v[2:5], v1 offset:1344
	scratch_load_b128 v[38:41], off, off offset:528
	v_add_f64_e32 v[171:172], v[171:172], v[181:182]
	v_add_f64_e32 v[173:174], v[173:174], v[179:180]
	v_fma_f64 v[177:178], v[8:9], v[163:164], v[177:178]
	v_fma_f64 v[181:182], v[6:7], v[163:164], -v[165:166]
	ds_load_b128 v[6:9], v1 offset:1360
	s_wait_loadcnt_dscnt 0x801
	v_mul_f64_e32 v[179:180], v[2:3], v[12:13]
	v_mul_f64_e32 v[12:13], v[4:5], v[12:13]
	scratch_load_b128 v[163:166], off, off offset:544
	v_add_f64_e32 v[171:172], v[171:172], v[183:184]
	v_add_f64_e32 v[173:174], v[173:174], v[175:176]
	s_wait_loadcnt_dscnt 0x800
	v_mul_f64_e32 v[175:176], v[6:7], v[16:17]
	v_mul_f64_e32 v[16:17], v[8:9], v[16:17]
	v_fma_f64 v[179:180], v[4:5], v[10:11], v[179:180]
	v_fma_f64 v[183:184], v[2:3], v[10:11], -v[12:13]
	ds_load_b128 v[2:5], v1 offset:1376
	scratch_load_b128 v[10:13], off, off offset:560
	v_add_f64_e32 v[171:172], v[171:172], v[181:182]
	v_add_f64_e32 v[173:174], v[173:174], v[177:178]
	v_fma_f64 v[175:176], v[8:9], v[14:15], v[175:176]
	v_fma_f64 v[181:182], v[6:7], v[14:15], -v[16:17]
	ds_load_b128 v[6:9], v1 offset:1392
	s_wait_loadcnt_dscnt 0x801
	v_mul_f64_e32 v[177:178], v[2:3], v[20:21]
	v_mul_f64_e32 v[20:21], v[4:5], v[20:21]
	scratch_load_b128 v[14:17], off, off offset:576
	;; [unrolled: 18-line block ×14, first 2 shown]
	v_add_f64_e32 v[171:172], v[171:172], v[183:184]
	v_add_f64_e32 v[173:174], v[173:174], v[179:180]
	s_wait_loadcnt_dscnt 0x800
	v_mul_f64_e32 v[179:180], v[6:7], v[169:170]
	v_mul_f64_e32 v[169:170], v[8:9], v[169:170]
	v_fma_f64 v[177:178], v[4:5], v[34:35], v[177:178]
	v_fma_f64 v[34:35], v[2:3], v[34:35], -v[36:37]
	ds_load_b128 v[2:5], v1 offset:1792
	v_add_f64_e32 v[36:37], v[171:172], v[181:182]
	v_add_f64_e32 v[171:172], v[173:174], v[175:176]
	v_fma_f64 v[175:176], v[8:9], v[167:168], v[179:180]
	v_fma_f64 v[167:168], v[6:7], v[167:168], -v[169:170]
	ds_load_b128 v[6:9], v1 offset:1808
	s_wait_loadcnt_dscnt 0x701
	v_mul_f64_e32 v[173:174], v[2:3], v[40:41]
	v_mul_f64_e32 v[40:41], v[4:5], v[40:41]
	v_add_f64_e32 v[34:35], v[36:37], v[34:35]
	v_add_f64_e32 v[36:37], v[171:172], v[177:178]
	s_delay_alu instid0(VALU_DEP_4) | instskip(NEXT) | instid1(VALU_DEP_4)
	v_fma_f64 v[171:172], v[4:5], v[38:39], v[173:174]
	v_fma_f64 v[38:39], v[2:3], v[38:39], -v[40:41]
	ds_load_b128 v[2:5], v1 offset:1824
	v_add_f64_e32 v[40:41], v[34:35], v[167:168]
	v_add_f64_e32 v[167:168], v[36:37], v[175:176]
	scratch_load_b128 v[34:37], off, off offset:192
	s_wait_loadcnt_dscnt 0x701
	v_mul_f64_e32 v[169:170], v[6:7], v[165:166]
	v_mul_f64_e32 v[165:166], v[8:9], v[165:166]
	v_add_f64_e32 v[38:39], v[40:41], v[38:39]
	v_add_f64_e32 v[40:41], v[167:168], v[171:172]
	s_delay_alu instid0(VALU_DEP_4) | instskip(NEXT) | instid1(VALU_DEP_4)
	v_fma_f64 v[169:170], v[8:9], v[163:164], v[169:170]
	v_fma_f64 v[163:164], v[6:7], v[163:164], -v[165:166]
	ds_load_b128 v[6:9], v1 offset:1840
	s_wait_loadcnt_dscnt 0x601
	v_mul_f64_e32 v[173:174], v[2:3], v[12:13]
	v_mul_f64_e32 v[12:13], v[4:5], v[12:13]
	s_wait_loadcnt_dscnt 0x500
	v_mul_f64_e32 v[165:166], v[6:7], v[16:17]
	v_mul_f64_e32 v[16:17], v[8:9], v[16:17]
	s_delay_alu instid0(VALU_DEP_4) | instskip(NEXT) | instid1(VALU_DEP_4)
	v_fma_f64 v[167:168], v[4:5], v[10:11], v[173:174]
	v_fma_f64 v[10:11], v[2:3], v[10:11], -v[12:13]
	v_add_f64_e32 v[12:13], v[38:39], v[163:164]
	v_add_f64_e32 v[38:39], v[40:41], v[169:170]
	ds_load_b128 v[2:5], v1 offset:1856
	v_fma_f64 v[163:164], v[8:9], v[14:15], v[165:166]
	v_fma_f64 v[14:15], v[6:7], v[14:15], -v[16:17]
	ds_load_b128 v[6:9], v1 offset:1872
	s_wait_loadcnt_dscnt 0x401
	v_mul_f64_e32 v[40:41], v[2:3], v[20:21]
	v_mul_f64_e32 v[20:21], v[4:5], v[20:21]
	v_add_f64_e32 v[10:11], v[12:13], v[10:11]
	v_add_f64_e32 v[12:13], v[38:39], v[167:168]
	s_wait_loadcnt_dscnt 0x300
	v_mul_f64_e32 v[16:17], v[6:7], v[24:25]
	v_mul_f64_e32 v[24:25], v[8:9], v[24:25]
	v_fma_f64 v[38:39], v[4:5], v[18:19], v[40:41]
	v_fma_f64 v[18:19], v[2:3], v[18:19], -v[20:21]
	ds_load_b128 v[2:5], v1 offset:1888
	v_add_f64_e32 v[10:11], v[10:11], v[14:15]
	v_add_f64_e32 v[12:13], v[12:13], v[163:164]
	v_fma_f64 v[16:17], v[8:9], v[22:23], v[16:17]
	v_fma_f64 v[22:23], v[6:7], v[22:23], -v[24:25]
	ds_load_b128 v[6:9], v1 offset:1904
	s_wait_loadcnt_dscnt 0x201
	v_mul_f64_e32 v[14:15], v[2:3], v[28:29]
	v_mul_f64_e32 v[20:21], v[4:5], v[28:29]
	s_wait_loadcnt_dscnt 0x100
	v_mul_f64_e32 v[24:25], v[8:9], v[32:33]
	v_add_f64_e32 v[10:11], v[10:11], v[18:19]
	v_add_f64_e32 v[12:13], v[12:13], v[38:39]
	v_mul_f64_e32 v[18:19], v[6:7], v[32:33]
	v_fma_f64 v[4:5], v[4:5], v[26:27], v[14:15]
	v_fma_f64 v[1:2], v[2:3], v[26:27], -v[20:21]
	v_fma_f64 v[6:7], v[6:7], v[30:31], -v[24:25]
	v_add_f64_e32 v[10:11], v[10:11], v[22:23]
	v_add_f64_e32 v[12:13], v[12:13], v[16:17]
	v_fma_f64 v[8:9], v[8:9], v[30:31], v[18:19]
	s_delay_alu instid0(VALU_DEP_3) | instskip(NEXT) | instid1(VALU_DEP_3)
	v_add_f64_e32 v[1:2], v[10:11], v[1:2]
	v_add_f64_e32 v[3:4], v[12:13], v[4:5]
	s_delay_alu instid0(VALU_DEP_2) | instskip(NEXT) | instid1(VALU_DEP_2)
	v_add_f64_e32 v[1:2], v[1:2], v[6:7]
	v_add_f64_e32 v[3:4], v[3:4], v[8:9]
	s_wait_loadcnt 0x0
	s_delay_alu instid0(VALU_DEP_2) | instskip(NEXT) | instid1(VALU_DEP_2)
	v_add_f64_e64 v[1:2], v[34:35], -v[1:2]
	v_add_f64_e64 v[3:4], v[36:37], -v[3:4]
	scratch_store_b128 off, v[1:4], off offset:192
	v_cmpx_lt_u32_e32 10, v0
	s_cbranch_execz .LBB123_353
; %bb.352:
	scratch_load_b128 v[1:4], off, s63
	v_mov_b32_e32 v5, 0
	s_delay_alu instid0(VALU_DEP_1)
	v_dual_mov_b32 v6, v5 :: v_dual_mov_b32 v7, v5
	v_mov_b32_e32 v8, v5
	scratch_store_b128 off, v[5:8], off offset:176
	s_wait_loadcnt 0x0
	ds_store_b128 v162, v[1:4]
.LBB123_353:
	s_wait_alu 0xfffe
	s_or_b32 exec_lo, exec_lo, s0
	s_wait_storecnt_dscnt 0x0
	s_barrier_signal -1
	s_barrier_wait -1
	global_inv scope:SCOPE_SE
	s_clause 0x7
	scratch_load_b128 v[2:5], off, off offset:192
	scratch_load_b128 v[6:9], off, off offset:208
	;; [unrolled: 1-line block ×8, first 2 shown]
	v_mov_b32_e32 v1, 0
	s_clause 0x1
	scratch_load_b128 v[34:37], off, off offset:320
	scratch_load_b128 v[167:170], off, off offset:336
	s_mov_b32 s0, exec_lo
	ds_load_b128 v[38:41], v1 offset:1136
	ds_load_b128 v[163:166], v1 offset:1152
	s_wait_loadcnt_dscnt 0x901
	v_mul_f64_e32 v[171:172], v[40:41], v[4:5]
	v_mul_f64_e32 v[4:5], v[38:39], v[4:5]
	s_wait_loadcnt_dscnt 0x800
	v_mul_f64_e32 v[173:174], v[163:164], v[8:9]
	v_mul_f64_e32 v[8:9], v[165:166], v[8:9]
	s_delay_alu instid0(VALU_DEP_4) | instskip(NEXT) | instid1(VALU_DEP_4)
	v_fma_f64 v[171:172], v[38:39], v[2:3], -v[171:172]
	v_fma_f64 v[175:176], v[40:41], v[2:3], v[4:5]
	ds_load_b128 v[2:5], v1 offset:1168
	scratch_load_b128 v[38:41], off, off offset:352
	v_fma_f64 v[173:174], v[165:166], v[6:7], v[173:174]
	v_fma_f64 v[179:180], v[163:164], v[6:7], -v[8:9]
	ds_load_b128 v[6:9], v1 offset:1184
	scratch_load_b128 v[163:166], off, off offset:368
	s_wait_loadcnt_dscnt 0x901
	v_mul_f64_e32 v[177:178], v[2:3], v[12:13]
	v_mul_f64_e32 v[12:13], v[4:5], v[12:13]
	s_wait_loadcnt_dscnt 0x800
	v_mul_f64_e32 v[181:182], v[6:7], v[16:17]
	v_mul_f64_e32 v[16:17], v[8:9], v[16:17]
	v_add_f64_e32 v[171:172], 0, v[171:172]
	v_add_f64_e32 v[175:176], 0, v[175:176]
	v_fma_f64 v[177:178], v[4:5], v[10:11], v[177:178]
	v_fma_f64 v[183:184], v[2:3], v[10:11], -v[12:13]
	ds_load_b128 v[2:5], v1 offset:1200
	scratch_load_b128 v[10:13], off, off offset:384
	v_add_f64_e32 v[171:172], v[171:172], v[179:180]
	v_add_f64_e32 v[173:174], v[175:176], v[173:174]
	v_fma_f64 v[179:180], v[8:9], v[14:15], v[181:182]
	v_fma_f64 v[181:182], v[6:7], v[14:15], -v[16:17]
	ds_load_b128 v[6:9], v1 offset:1216
	scratch_load_b128 v[14:17], off, off offset:400
	s_wait_loadcnt_dscnt 0x901
	v_mul_f64_e32 v[175:176], v[2:3], v[20:21]
	v_mul_f64_e32 v[20:21], v[4:5], v[20:21]
	v_add_f64_e32 v[171:172], v[171:172], v[183:184]
	v_add_f64_e32 v[173:174], v[173:174], v[177:178]
	s_wait_loadcnt_dscnt 0x800
	v_mul_f64_e32 v[177:178], v[6:7], v[24:25]
	v_mul_f64_e32 v[24:25], v[8:9], v[24:25]
	v_fma_f64 v[175:176], v[4:5], v[18:19], v[175:176]
	v_fma_f64 v[183:184], v[2:3], v[18:19], -v[20:21]
	ds_load_b128 v[2:5], v1 offset:1232
	scratch_load_b128 v[18:21], off, off offset:416
	v_add_f64_e32 v[171:172], v[171:172], v[181:182]
	v_add_f64_e32 v[173:174], v[173:174], v[179:180]
	v_fma_f64 v[177:178], v[8:9], v[22:23], v[177:178]
	v_fma_f64 v[181:182], v[6:7], v[22:23], -v[24:25]
	ds_load_b128 v[6:9], v1 offset:1248
	s_wait_loadcnt_dscnt 0x801
	v_mul_f64_e32 v[179:180], v[2:3], v[28:29]
	v_mul_f64_e32 v[28:29], v[4:5], v[28:29]
	scratch_load_b128 v[22:25], off, off offset:432
	v_add_f64_e32 v[171:172], v[171:172], v[183:184]
	v_add_f64_e32 v[173:174], v[173:174], v[175:176]
	s_wait_loadcnt_dscnt 0x800
	v_mul_f64_e32 v[175:176], v[6:7], v[32:33]
	v_mul_f64_e32 v[32:33], v[8:9], v[32:33]
	v_fma_f64 v[179:180], v[4:5], v[26:27], v[179:180]
	v_fma_f64 v[183:184], v[2:3], v[26:27], -v[28:29]
	ds_load_b128 v[2:5], v1 offset:1264
	scratch_load_b128 v[26:29], off, off offset:448
	v_add_f64_e32 v[171:172], v[171:172], v[181:182]
	v_add_f64_e32 v[173:174], v[173:174], v[177:178]
	v_fma_f64 v[175:176], v[8:9], v[30:31], v[175:176]
	v_fma_f64 v[181:182], v[6:7], v[30:31], -v[32:33]
	ds_load_b128 v[6:9], v1 offset:1280
	s_wait_loadcnt_dscnt 0x801
	v_mul_f64_e32 v[177:178], v[2:3], v[36:37]
	v_mul_f64_e32 v[36:37], v[4:5], v[36:37]
	scratch_load_b128 v[30:33], off, off offset:464
	v_add_f64_e32 v[171:172], v[171:172], v[183:184]
	v_add_f64_e32 v[173:174], v[173:174], v[179:180]
	s_wait_loadcnt_dscnt 0x800
	v_mul_f64_e32 v[179:180], v[6:7], v[169:170]
	v_mul_f64_e32 v[169:170], v[8:9], v[169:170]
	v_fma_f64 v[177:178], v[4:5], v[34:35], v[177:178]
	v_fma_f64 v[183:184], v[2:3], v[34:35], -v[36:37]
	ds_load_b128 v[2:5], v1 offset:1296
	scratch_load_b128 v[34:37], off, off offset:480
	v_add_f64_e32 v[171:172], v[171:172], v[181:182]
	v_add_f64_e32 v[173:174], v[173:174], v[175:176]
	v_fma_f64 v[179:180], v[8:9], v[167:168], v[179:180]
	v_fma_f64 v[181:182], v[6:7], v[167:168], -v[169:170]
	ds_load_b128 v[6:9], v1 offset:1312
	scratch_load_b128 v[167:170], off, off offset:496
	s_wait_loadcnt_dscnt 0x901
	v_mul_f64_e32 v[175:176], v[2:3], v[40:41]
	v_mul_f64_e32 v[40:41], v[4:5], v[40:41]
	v_add_f64_e32 v[171:172], v[171:172], v[183:184]
	v_add_f64_e32 v[173:174], v[173:174], v[177:178]
	s_wait_loadcnt_dscnt 0x800
	v_mul_f64_e32 v[177:178], v[6:7], v[165:166]
	v_mul_f64_e32 v[165:166], v[8:9], v[165:166]
	v_fma_f64 v[175:176], v[4:5], v[38:39], v[175:176]
	v_fma_f64 v[183:184], v[2:3], v[38:39], -v[40:41]
	ds_load_b128 v[2:5], v1 offset:1328
	scratch_load_b128 v[38:41], off, off offset:512
	v_add_f64_e32 v[171:172], v[171:172], v[181:182]
	v_add_f64_e32 v[173:174], v[173:174], v[179:180]
	v_fma_f64 v[177:178], v[8:9], v[163:164], v[177:178]
	v_fma_f64 v[181:182], v[6:7], v[163:164], -v[165:166]
	ds_load_b128 v[6:9], v1 offset:1344
	s_wait_loadcnt_dscnt 0x801
	v_mul_f64_e32 v[179:180], v[2:3], v[12:13]
	v_mul_f64_e32 v[12:13], v[4:5], v[12:13]
	scratch_load_b128 v[163:166], off, off offset:528
	v_add_f64_e32 v[171:172], v[171:172], v[183:184]
	v_add_f64_e32 v[173:174], v[173:174], v[175:176]
	s_wait_loadcnt_dscnt 0x800
	v_mul_f64_e32 v[175:176], v[6:7], v[16:17]
	v_mul_f64_e32 v[16:17], v[8:9], v[16:17]
	v_fma_f64 v[179:180], v[4:5], v[10:11], v[179:180]
	v_fma_f64 v[183:184], v[2:3], v[10:11], -v[12:13]
	ds_load_b128 v[2:5], v1 offset:1360
	scratch_load_b128 v[10:13], off, off offset:544
	v_add_f64_e32 v[171:172], v[171:172], v[181:182]
	v_add_f64_e32 v[173:174], v[173:174], v[177:178]
	v_fma_f64 v[175:176], v[8:9], v[14:15], v[175:176]
	v_fma_f64 v[181:182], v[6:7], v[14:15], -v[16:17]
	ds_load_b128 v[6:9], v1 offset:1376
	s_wait_loadcnt_dscnt 0x801
	v_mul_f64_e32 v[177:178], v[2:3], v[20:21]
	v_mul_f64_e32 v[20:21], v[4:5], v[20:21]
	scratch_load_b128 v[14:17], off, off offset:560
	;; [unrolled: 18-line block ×14, first 2 shown]
	v_add_f64_e32 v[171:172], v[171:172], v[183:184]
	v_add_f64_e32 v[173:174], v[173:174], v[179:180]
	s_wait_loadcnt_dscnt 0x800
	v_mul_f64_e32 v[179:180], v[6:7], v[169:170]
	v_mul_f64_e32 v[169:170], v[8:9], v[169:170]
	v_fma_f64 v[177:178], v[4:5], v[34:35], v[177:178]
	v_fma_f64 v[183:184], v[2:3], v[34:35], -v[36:37]
	ds_load_b128 v[2:5], v1 offset:1776
	scratch_load_b128 v[34:37], off, off offset:960
	v_add_f64_e32 v[171:172], v[171:172], v[181:182]
	v_add_f64_e32 v[173:174], v[173:174], v[175:176]
	v_fma_f64 v[179:180], v[8:9], v[167:168], v[179:180]
	v_fma_f64 v[167:168], v[6:7], v[167:168], -v[169:170]
	ds_load_b128 v[6:9], v1 offset:1792
	s_wait_loadcnt_dscnt 0x801
	v_mul_f64_e32 v[175:176], v[2:3], v[40:41]
	v_mul_f64_e32 v[40:41], v[4:5], v[40:41]
	v_add_f64_e32 v[169:170], v[171:172], v[183:184]
	v_add_f64_e32 v[171:172], v[173:174], v[177:178]
	s_wait_loadcnt_dscnt 0x700
	v_mul_f64_e32 v[173:174], v[6:7], v[165:166]
	v_mul_f64_e32 v[165:166], v[8:9], v[165:166]
	v_fma_f64 v[175:176], v[4:5], v[38:39], v[175:176]
	v_fma_f64 v[38:39], v[2:3], v[38:39], -v[40:41]
	ds_load_b128 v[2:5], v1 offset:1808
	v_add_f64_e32 v[40:41], v[169:170], v[167:168]
	v_add_f64_e32 v[167:168], v[171:172], v[179:180]
	v_fma_f64 v[171:172], v[8:9], v[163:164], v[173:174]
	v_fma_f64 v[163:164], v[6:7], v[163:164], -v[165:166]
	ds_load_b128 v[6:9], v1 offset:1824
	s_wait_loadcnt_dscnt 0x500
	v_mul_f64_e32 v[173:174], v[6:7], v[16:17]
	v_mul_f64_e32 v[16:17], v[8:9], v[16:17]
	v_add_f64_e32 v[165:166], v[40:41], v[38:39]
	v_add_f64_e32 v[167:168], v[167:168], v[175:176]
	scratch_load_b128 v[38:41], off, off offset:176
	v_mul_f64_e32 v[169:170], v[2:3], v[12:13]
	v_mul_f64_e32 v[12:13], v[4:5], v[12:13]
	s_delay_alu instid0(VALU_DEP_2) | instskip(NEXT) | instid1(VALU_DEP_2)
	v_fma_f64 v[169:170], v[4:5], v[10:11], v[169:170]
	v_fma_f64 v[10:11], v[2:3], v[10:11], -v[12:13]
	v_add_f64_e32 v[12:13], v[165:166], v[163:164]
	v_add_f64_e32 v[163:164], v[167:168], v[171:172]
	ds_load_b128 v[2:5], v1 offset:1840
	v_fma_f64 v[167:168], v[8:9], v[14:15], v[173:174]
	v_fma_f64 v[14:15], v[6:7], v[14:15], -v[16:17]
	ds_load_b128 v[6:9], v1 offset:1856
	s_wait_loadcnt_dscnt 0x501
	v_mul_f64_e32 v[165:166], v[2:3], v[20:21]
	v_mul_f64_e32 v[20:21], v[4:5], v[20:21]
	s_wait_loadcnt_dscnt 0x400
	v_mul_f64_e32 v[16:17], v[6:7], v[24:25]
	v_mul_f64_e32 v[24:25], v[8:9], v[24:25]
	v_add_f64_e32 v[10:11], v[12:13], v[10:11]
	v_add_f64_e32 v[12:13], v[163:164], v[169:170]
	v_fma_f64 v[163:164], v[4:5], v[18:19], v[165:166]
	v_fma_f64 v[18:19], v[2:3], v[18:19], -v[20:21]
	ds_load_b128 v[2:5], v1 offset:1872
	v_fma_f64 v[16:17], v[8:9], v[22:23], v[16:17]
	v_fma_f64 v[22:23], v[6:7], v[22:23], -v[24:25]
	ds_load_b128 v[6:9], v1 offset:1888
	v_add_f64_e32 v[10:11], v[10:11], v[14:15]
	v_add_f64_e32 v[12:13], v[12:13], v[167:168]
	s_wait_loadcnt_dscnt 0x301
	v_mul_f64_e32 v[14:15], v[2:3], v[28:29]
	v_mul_f64_e32 v[20:21], v[4:5], v[28:29]
	s_wait_loadcnt_dscnt 0x200
	v_mul_f64_e32 v[24:25], v[8:9], v[32:33]
	v_add_f64_e32 v[10:11], v[10:11], v[18:19]
	v_add_f64_e32 v[12:13], v[12:13], v[163:164]
	v_mul_f64_e32 v[18:19], v[6:7], v[32:33]
	v_fma_f64 v[14:15], v[4:5], v[26:27], v[14:15]
	v_fma_f64 v[20:21], v[2:3], v[26:27], -v[20:21]
	ds_load_b128 v[2:5], v1 offset:1904
	v_fma_f64 v[6:7], v[6:7], v[30:31], -v[24:25]
	v_add_f64_e32 v[10:11], v[10:11], v[22:23]
	v_add_f64_e32 v[12:13], v[12:13], v[16:17]
	s_wait_loadcnt_dscnt 0x100
	v_mul_f64_e32 v[16:17], v[2:3], v[36:37]
	v_mul_f64_e32 v[22:23], v[4:5], v[36:37]
	v_fma_f64 v[8:9], v[8:9], v[30:31], v[18:19]
	v_add_f64_e32 v[10:11], v[10:11], v[20:21]
	v_add_f64_e32 v[12:13], v[12:13], v[14:15]
	v_fma_f64 v[4:5], v[4:5], v[34:35], v[16:17]
	v_fma_f64 v[2:3], v[2:3], v[34:35], -v[22:23]
	s_delay_alu instid0(VALU_DEP_4) | instskip(NEXT) | instid1(VALU_DEP_4)
	v_add_f64_e32 v[6:7], v[10:11], v[6:7]
	v_add_f64_e32 v[8:9], v[12:13], v[8:9]
	s_delay_alu instid0(VALU_DEP_2) | instskip(NEXT) | instid1(VALU_DEP_2)
	v_add_f64_e32 v[2:3], v[6:7], v[2:3]
	v_add_f64_e32 v[4:5], v[8:9], v[4:5]
	s_wait_loadcnt 0x0
	s_delay_alu instid0(VALU_DEP_2) | instskip(NEXT) | instid1(VALU_DEP_2)
	v_add_f64_e64 v[2:3], v[38:39], -v[2:3]
	v_add_f64_e64 v[4:5], v[40:41], -v[4:5]
	scratch_store_b128 off, v[2:5], off offset:176
	v_cmpx_lt_u32_e32 9, v0
	s_cbranch_execz .LBB123_355
; %bb.354:
	scratch_load_b128 v[5:8], off, s64
	v_dual_mov_b32 v2, v1 :: v_dual_mov_b32 v3, v1
	v_mov_b32_e32 v4, v1
	scratch_store_b128 off, v[1:4], off offset:160
	s_wait_loadcnt 0x0
	ds_store_b128 v162, v[5:8]
.LBB123_355:
	s_wait_alu 0xfffe
	s_or_b32 exec_lo, exec_lo, s0
	s_wait_storecnt_dscnt 0x0
	s_barrier_signal -1
	s_barrier_wait -1
	global_inv scope:SCOPE_SE
	s_clause 0x7
	scratch_load_b128 v[2:5], off, off offset:176
	scratch_load_b128 v[6:9], off, off offset:192
	;; [unrolled: 1-line block ×8, first 2 shown]
	ds_load_b128 v[38:41], v1 offset:1120
	ds_load_b128 v[163:166], v1 offset:1136
	s_clause 0x1
	scratch_load_b128 v[34:37], off, off offset:304
	scratch_load_b128 v[167:170], off, off offset:320
	s_mov_b32 s0, exec_lo
	s_wait_loadcnt_dscnt 0x901
	v_mul_f64_e32 v[171:172], v[40:41], v[4:5]
	v_mul_f64_e32 v[4:5], v[38:39], v[4:5]
	s_wait_loadcnt_dscnt 0x800
	v_mul_f64_e32 v[173:174], v[163:164], v[8:9]
	v_mul_f64_e32 v[8:9], v[165:166], v[8:9]
	s_delay_alu instid0(VALU_DEP_4) | instskip(NEXT) | instid1(VALU_DEP_4)
	v_fma_f64 v[171:172], v[38:39], v[2:3], -v[171:172]
	v_fma_f64 v[175:176], v[40:41], v[2:3], v[4:5]
	ds_load_b128 v[2:5], v1 offset:1152
	scratch_load_b128 v[38:41], off, off offset:336
	v_fma_f64 v[173:174], v[165:166], v[6:7], v[173:174]
	v_fma_f64 v[179:180], v[163:164], v[6:7], -v[8:9]
	ds_load_b128 v[6:9], v1 offset:1168
	scratch_load_b128 v[163:166], off, off offset:352
	s_wait_loadcnt_dscnt 0x901
	v_mul_f64_e32 v[177:178], v[2:3], v[12:13]
	v_mul_f64_e32 v[12:13], v[4:5], v[12:13]
	s_wait_loadcnt_dscnt 0x800
	v_mul_f64_e32 v[181:182], v[6:7], v[16:17]
	v_mul_f64_e32 v[16:17], v[8:9], v[16:17]
	v_add_f64_e32 v[171:172], 0, v[171:172]
	v_add_f64_e32 v[175:176], 0, v[175:176]
	v_fma_f64 v[177:178], v[4:5], v[10:11], v[177:178]
	v_fma_f64 v[183:184], v[2:3], v[10:11], -v[12:13]
	ds_load_b128 v[2:5], v1 offset:1184
	scratch_load_b128 v[10:13], off, off offset:368
	v_add_f64_e32 v[171:172], v[171:172], v[179:180]
	v_add_f64_e32 v[173:174], v[175:176], v[173:174]
	v_fma_f64 v[179:180], v[8:9], v[14:15], v[181:182]
	v_fma_f64 v[181:182], v[6:7], v[14:15], -v[16:17]
	ds_load_b128 v[6:9], v1 offset:1200
	scratch_load_b128 v[14:17], off, off offset:384
	s_wait_loadcnt_dscnt 0x901
	v_mul_f64_e32 v[175:176], v[2:3], v[20:21]
	v_mul_f64_e32 v[20:21], v[4:5], v[20:21]
	v_add_f64_e32 v[171:172], v[171:172], v[183:184]
	v_add_f64_e32 v[173:174], v[173:174], v[177:178]
	s_wait_loadcnt_dscnt 0x800
	v_mul_f64_e32 v[177:178], v[6:7], v[24:25]
	v_mul_f64_e32 v[24:25], v[8:9], v[24:25]
	v_fma_f64 v[175:176], v[4:5], v[18:19], v[175:176]
	v_fma_f64 v[183:184], v[2:3], v[18:19], -v[20:21]
	ds_load_b128 v[2:5], v1 offset:1216
	scratch_load_b128 v[18:21], off, off offset:400
	v_add_f64_e32 v[171:172], v[171:172], v[181:182]
	v_add_f64_e32 v[173:174], v[173:174], v[179:180]
	v_fma_f64 v[177:178], v[8:9], v[22:23], v[177:178]
	v_fma_f64 v[181:182], v[6:7], v[22:23], -v[24:25]
	ds_load_b128 v[6:9], v1 offset:1232
	s_wait_loadcnt_dscnt 0x801
	v_mul_f64_e32 v[179:180], v[2:3], v[28:29]
	v_mul_f64_e32 v[28:29], v[4:5], v[28:29]
	scratch_load_b128 v[22:25], off, off offset:416
	v_add_f64_e32 v[171:172], v[171:172], v[183:184]
	v_add_f64_e32 v[173:174], v[173:174], v[175:176]
	s_wait_loadcnt_dscnt 0x800
	v_mul_f64_e32 v[175:176], v[6:7], v[32:33]
	v_mul_f64_e32 v[32:33], v[8:9], v[32:33]
	v_fma_f64 v[179:180], v[4:5], v[26:27], v[179:180]
	v_fma_f64 v[183:184], v[2:3], v[26:27], -v[28:29]
	ds_load_b128 v[2:5], v1 offset:1248
	scratch_load_b128 v[26:29], off, off offset:432
	v_add_f64_e32 v[171:172], v[171:172], v[181:182]
	v_add_f64_e32 v[173:174], v[173:174], v[177:178]
	v_fma_f64 v[175:176], v[8:9], v[30:31], v[175:176]
	v_fma_f64 v[181:182], v[6:7], v[30:31], -v[32:33]
	ds_load_b128 v[6:9], v1 offset:1264
	s_wait_loadcnt_dscnt 0x801
	v_mul_f64_e32 v[177:178], v[2:3], v[36:37]
	v_mul_f64_e32 v[36:37], v[4:5], v[36:37]
	scratch_load_b128 v[30:33], off, off offset:448
	v_add_f64_e32 v[171:172], v[171:172], v[183:184]
	v_add_f64_e32 v[173:174], v[173:174], v[179:180]
	s_wait_loadcnt_dscnt 0x800
	v_mul_f64_e32 v[179:180], v[6:7], v[169:170]
	v_mul_f64_e32 v[169:170], v[8:9], v[169:170]
	v_fma_f64 v[177:178], v[4:5], v[34:35], v[177:178]
	v_fma_f64 v[183:184], v[2:3], v[34:35], -v[36:37]
	ds_load_b128 v[2:5], v1 offset:1280
	scratch_load_b128 v[34:37], off, off offset:464
	v_add_f64_e32 v[171:172], v[171:172], v[181:182]
	v_add_f64_e32 v[173:174], v[173:174], v[175:176]
	v_fma_f64 v[179:180], v[8:9], v[167:168], v[179:180]
	v_fma_f64 v[181:182], v[6:7], v[167:168], -v[169:170]
	ds_load_b128 v[6:9], v1 offset:1296
	scratch_load_b128 v[167:170], off, off offset:480
	s_wait_loadcnt_dscnt 0x901
	v_mul_f64_e32 v[175:176], v[2:3], v[40:41]
	v_mul_f64_e32 v[40:41], v[4:5], v[40:41]
	v_add_f64_e32 v[171:172], v[171:172], v[183:184]
	v_add_f64_e32 v[173:174], v[173:174], v[177:178]
	s_wait_loadcnt_dscnt 0x800
	v_mul_f64_e32 v[177:178], v[6:7], v[165:166]
	v_mul_f64_e32 v[165:166], v[8:9], v[165:166]
	v_fma_f64 v[175:176], v[4:5], v[38:39], v[175:176]
	v_fma_f64 v[183:184], v[2:3], v[38:39], -v[40:41]
	ds_load_b128 v[2:5], v1 offset:1312
	scratch_load_b128 v[38:41], off, off offset:496
	v_add_f64_e32 v[171:172], v[171:172], v[181:182]
	v_add_f64_e32 v[173:174], v[173:174], v[179:180]
	v_fma_f64 v[177:178], v[8:9], v[163:164], v[177:178]
	v_fma_f64 v[181:182], v[6:7], v[163:164], -v[165:166]
	ds_load_b128 v[6:9], v1 offset:1328
	s_wait_loadcnt_dscnt 0x801
	v_mul_f64_e32 v[179:180], v[2:3], v[12:13]
	v_mul_f64_e32 v[12:13], v[4:5], v[12:13]
	scratch_load_b128 v[163:166], off, off offset:512
	v_add_f64_e32 v[171:172], v[171:172], v[183:184]
	v_add_f64_e32 v[173:174], v[173:174], v[175:176]
	s_wait_loadcnt_dscnt 0x800
	v_mul_f64_e32 v[175:176], v[6:7], v[16:17]
	v_mul_f64_e32 v[16:17], v[8:9], v[16:17]
	v_fma_f64 v[179:180], v[4:5], v[10:11], v[179:180]
	v_fma_f64 v[183:184], v[2:3], v[10:11], -v[12:13]
	ds_load_b128 v[2:5], v1 offset:1344
	scratch_load_b128 v[10:13], off, off offset:528
	v_add_f64_e32 v[171:172], v[171:172], v[181:182]
	v_add_f64_e32 v[173:174], v[173:174], v[177:178]
	v_fma_f64 v[175:176], v[8:9], v[14:15], v[175:176]
	v_fma_f64 v[181:182], v[6:7], v[14:15], -v[16:17]
	ds_load_b128 v[6:9], v1 offset:1360
	s_wait_loadcnt_dscnt 0x801
	v_mul_f64_e32 v[177:178], v[2:3], v[20:21]
	v_mul_f64_e32 v[20:21], v[4:5], v[20:21]
	scratch_load_b128 v[14:17], off, off offset:544
	;; [unrolled: 18-line block ×6, first 2 shown]
	v_add_f64_e32 v[171:172], v[171:172], v[183:184]
	v_add_f64_e32 v[173:174], v[173:174], v[177:178]
	s_wait_loadcnt_dscnt 0x800
	v_mul_f64_e32 v[177:178], v[6:7], v[16:17]
	v_mul_f64_e32 v[16:17], v[8:9], v[16:17]
	v_fma_f64 v[175:176], v[4:5], v[10:11], v[175:176]
	v_fma_f64 v[183:184], v[2:3], v[10:11], -v[12:13]
	scratch_load_b128 v[10:13], off, off offset:688
	ds_load_b128 v[2:5], v1 offset:1504
	v_add_f64_e32 v[171:172], v[171:172], v[181:182]
	v_add_f64_e32 v[173:174], v[173:174], v[179:180]
	v_fma_f64 v[177:178], v[8:9], v[14:15], v[177:178]
	v_fma_f64 v[181:182], v[6:7], v[14:15], -v[16:17]
	ds_load_b128 v[6:9], v1 offset:1520
	s_wait_loadcnt_dscnt 0x801
	v_mul_f64_e32 v[179:180], v[2:3], v[20:21]
	v_mul_f64_e32 v[20:21], v[4:5], v[20:21]
	scratch_load_b128 v[14:17], off, off offset:704
	v_add_f64_e32 v[171:172], v[171:172], v[183:184]
	v_add_f64_e32 v[173:174], v[173:174], v[175:176]
	s_wait_loadcnt_dscnt 0x800
	v_mul_f64_e32 v[175:176], v[6:7], v[24:25]
	v_mul_f64_e32 v[24:25], v[8:9], v[24:25]
	v_fma_f64 v[179:180], v[4:5], v[18:19], v[179:180]
	v_fma_f64 v[183:184], v[2:3], v[18:19], -v[20:21]
	ds_load_b128 v[2:5], v1 offset:1536
	scratch_load_b128 v[18:21], off, off offset:720
	v_add_f64_e32 v[171:172], v[171:172], v[181:182]
	v_add_f64_e32 v[173:174], v[173:174], v[177:178]
	v_fma_f64 v[175:176], v[8:9], v[22:23], v[175:176]
	v_fma_f64 v[181:182], v[6:7], v[22:23], -v[24:25]
	ds_load_b128 v[6:9], v1 offset:1552
	s_wait_loadcnt_dscnt 0x801
	v_mul_f64_e32 v[177:178], v[2:3], v[28:29]
	v_mul_f64_e32 v[28:29], v[4:5], v[28:29]
	scratch_load_b128 v[22:25], off, off offset:736
	v_add_f64_e32 v[171:172], v[171:172], v[183:184]
	v_add_f64_e32 v[173:174], v[173:174], v[179:180]
	s_wait_loadcnt_dscnt 0x800
	v_mul_f64_e32 v[179:180], v[6:7], v[32:33]
	v_mul_f64_e32 v[32:33], v[8:9], v[32:33]
	v_fma_f64 v[177:178], v[4:5], v[26:27], v[177:178]
	v_fma_f64 v[183:184], v[2:3], v[26:27], -v[28:29]
	ds_load_b128 v[2:5], v1 offset:1568
	scratch_load_b128 v[26:29], off, off offset:752
	;; [unrolled: 18-line block ×4, first 2 shown]
	v_add_f64_e32 v[171:172], v[171:172], v[181:182]
	v_add_f64_e32 v[173:174], v[173:174], v[177:178]
	v_fma_f64 v[175:176], v[8:9], v[163:164], v[175:176]
	v_fma_f64 v[181:182], v[6:7], v[163:164], -v[165:166]
	ds_load_b128 v[6:9], v1 offset:1648
	s_wait_loadcnt_dscnt 0x801
	v_mul_f64_e32 v[177:178], v[2:3], v[12:13]
	v_mul_f64_e32 v[12:13], v[4:5], v[12:13]
	scratch_load_b128 v[163:166], off, off offset:832
	v_add_f64_e32 v[171:172], v[171:172], v[183:184]
	v_add_f64_e32 v[173:174], v[173:174], v[179:180]
	s_wait_loadcnt_dscnt 0x800
	v_mul_f64_e32 v[179:180], v[6:7], v[16:17]
	v_mul_f64_e32 v[16:17], v[8:9], v[16:17]
	v_fma_f64 v[177:178], v[4:5], v[10:11], v[177:178]
	v_fma_f64 v[183:184], v[2:3], v[10:11], -v[12:13]
	scratch_load_b128 v[10:13], off, off offset:848
	ds_load_b128 v[2:5], v1 offset:1664
	v_add_f64_e32 v[171:172], v[171:172], v[181:182]
	v_add_f64_e32 v[173:174], v[173:174], v[175:176]
	v_fma_f64 v[179:180], v[8:9], v[14:15], v[179:180]
	v_fma_f64 v[181:182], v[6:7], v[14:15], -v[16:17]
	ds_load_b128 v[6:9], v1 offset:1680
	s_wait_loadcnt_dscnt 0x801
	v_mul_f64_e32 v[175:176], v[2:3], v[20:21]
	v_mul_f64_e32 v[20:21], v[4:5], v[20:21]
	scratch_load_b128 v[14:17], off, off offset:864
	v_add_f64_e32 v[171:172], v[171:172], v[183:184]
	v_add_f64_e32 v[173:174], v[173:174], v[177:178]
	s_wait_loadcnt_dscnt 0x800
	v_mul_f64_e32 v[177:178], v[6:7], v[24:25]
	v_mul_f64_e32 v[24:25], v[8:9], v[24:25]
	v_fma_f64 v[175:176], v[4:5], v[18:19], v[175:176]
	v_fma_f64 v[183:184], v[2:3], v[18:19], -v[20:21]
	ds_load_b128 v[2:5], v1 offset:1696
	scratch_load_b128 v[18:21], off, off offset:880
	v_add_f64_e32 v[171:172], v[171:172], v[181:182]
	v_add_f64_e32 v[173:174], v[173:174], v[179:180]
	v_fma_f64 v[177:178], v[8:9], v[22:23], v[177:178]
	v_fma_f64 v[181:182], v[6:7], v[22:23], -v[24:25]
	ds_load_b128 v[6:9], v1 offset:1712
	s_wait_loadcnt_dscnt 0x801
	v_mul_f64_e32 v[179:180], v[2:3], v[28:29]
	v_mul_f64_e32 v[28:29], v[4:5], v[28:29]
	scratch_load_b128 v[22:25], off, off offset:896
	v_add_f64_e32 v[171:172], v[171:172], v[183:184]
	v_add_f64_e32 v[173:174], v[173:174], v[175:176]
	s_wait_loadcnt_dscnt 0x800
	v_mul_f64_e32 v[175:176], v[6:7], v[32:33]
	v_mul_f64_e32 v[32:33], v[8:9], v[32:33]
	v_fma_f64 v[179:180], v[4:5], v[26:27], v[179:180]
	v_fma_f64 v[183:184], v[2:3], v[26:27], -v[28:29]
	ds_load_b128 v[2:5], v1 offset:1728
	scratch_load_b128 v[26:29], off, off offset:912
	v_add_f64_e32 v[171:172], v[171:172], v[181:182]
	v_add_f64_e32 v[173:174], v[173:174], v[177:178]
	v_fma_f64 v[175:176], v[8:9], v[30:31], v[175:176]
	v_fma_f64 v[181:182], v[6:7], v[30:31], -v[32:33]
	ds_load_b128 v[6:9], v1 offset:1744
	s_wait_loadcnt_dscnt 0x801
	v_mul_f64_e32 v[177:178], v[2:3], v[36:37]
	v_mul_f64_e32 v[36:37], v[4:5], v[36:37]
	scratch_load_b128 v[30:33], off, off offset:928
	v_add_f64_e32 v[171:172], v[171:172], v[183:184]
	v_add_f64_e32 v[173:174], v[173:174], v[179:180]
	s_wait_loadcnt_dscnt 0x800
	v_mul_f64_e32 v[179:180], v[6:7], v[169:170]
	v_mul_f64_e32 v[169:170], v[8:9], v[169:170]
	v_fma_f64 v[177:178], v[4:5], v[34:35], v[177:178]
	v_fma_f64 v[183:184], v[2:3], v[34:35], -v[36:37]
	ds_load_b128 v[2:5], v1 offset:1760
	scratch_load_b128 v[34:37], off, off offset:944
	v_add_f64_e32 v[171:172], v[171:172], v[181:182]
	v_add_f64_e32 v[173:174], v[173:174], v[175:176]
	v_fma_f64 v[179:180], v[8:9], v[167:168], v[179:180]
	v_fma_f64 v[181:182], v[6:7], v[167:168], -v[169:170]
	ds_load_b128 v[6:9], v1 offset:1776
	s_wait_loadcnt_dscnt 0x801
	v_mul_f64_e32 v[175:176], v[2:3], v[40:41]
	v_mul_f64_e32 v[40:41], v[4:5], v[40:41]
	scratch_load_b128 v[167:170], off, off offset:960
	v_add_f64_e32 v[171:172], v[171:172], v[183:184]
	v_add_f64_e32 v[173:174], v[173:174], v[177:178]
	v_fma_f64 v[175:176], v[4:5], v[38:39], v[175:176]
	v_fma_f64 v[38:39], v[2:3], v[38:39], -v[40:41]
	ds_load_b128 v[2:5], v1 offset:1792
	v_add_f64_e32 v[40:41], v[171:172], v[181:182]
	v_add_f64_e32 v[171:172], v[173:174], v[179:180]
	s_wait_loadcnt_dscnt 0x700
	v_mul_f64_e32 v[173:174], v[2:3], v[12:13]
	v_mul_f64_e32 v[12:13], v[4:5], v[12:13]
	s_delay_alu instid0(VALU_DEP_4) | instskip(NEXT) | instid1(VALU_DEP_4)
	v_add_f64_e32 v[38:39], v[40:41], v[38:39]
	v_add_f64_e32 v[40:41], v[171:172], v[175:176]
	s_delay_alu instid0(VALU_DEP_4) | instskip(NEXT) | instid1(VALU_DEP_4)
	v_fma_f64 v[171:172], v[4:5], v[10:11], v[173:174]
	v_fma_f64 v[173:174], v[2:3], v[10:11], -v[12:13]
	scratch_load_b128 v[10:13], off, off offset:160
	v_mul_f64_e32 v[177:178], v[6:7], v[165:166]
	v_mul_f64_e32 v[165:166], v[8:9], v[165:166]
	ds_load_b128 v[2:5], v1 offset:1824
	v_fma_f64 v[177:178], v[8:9], v[163:164], v[177:178]
	v_fma_f64 v[163:164], v[6:7], v[163:164], -v[165:166]
	ds_load_b128 v[6:9], v1 offset:1808
	s_wait_loadcnt_dscnt 0x700
	v_mul_f64_e32 v[165:166], v[6:7], v[16:17]
	v_mul_f64_e32 v[16:17], v[8:9], v[16:17]
	v_add_f64_e32 v[40:41], v[40:41], v[177:178]
	v_add_f64_e32 v[38:39], v[38:39], v[163:164]
	s_wait_loadcnt 0x6
	v_mul_f64_e32 v[163:164], v[2:3], v[20:21]
	v_mul_f64_e32 v[20:21], v[4:5], v[20:21]
	v_fma_f64 v[165:166], v[8:9], v[14:15], v[165:166]
	v_fma_f64 v[14:15], v[6:7], v[14:15], -v[16:17]
	ds_load_b128 v[6:9], v1 offset:1840
	v_add_f64_e32 v[16:17], v[38:39], v[173:174]
	v_add_f64_e32 v[38:39], v[40:41], v[171:172]
	v_fma_f64 v[163:164], v[4:5], v[18:19], v[163:164]
	v_fma_f64 v[18:19], v[2:3], v[18:19], -v[20:21]
	ds_load_b128 v[2:5], v1 offset:1856
	s_wait_loadcnt_dscnt 0x501
	v_mul_f64_e32 v[40:41], v[6:7], v[24:25]
	v_mul_f64_e32 v[24:25], v[8:9], v[24:25]
	s_wait_loadcnt_dscnt 0x400
	v_mul_f64_e32 v[20:21], v[2:3], v[28:29]
	v_mul_f64_e32 v[28:29], v[4:5], v[28:29]
	v_add_f64_e32 v[14:15], v[16:17], v[14:15]
	v_add_f64_e32 v[16:17], v[38:39], v[165:166]
	v_fma_f64 v[38:39], v[8:9], v[22:23], v[40:41]
	v_fma_f64 v[22:23], v[6:7], v[22:23], -v[24:25]
	ds_load_b128 v[6:9], v1 offset:1872
	v_fma_f64 v[20:21], v[4:5], v[26:27], v[20:21]
	v_fma_f64 v[26:27], v[2:3], v[26:27], -v[28:29]
	ds_load_b128 v[2:5], v1 offset:1888
	s_wait_loadcnt_dscnt 0x301
	v_mul_f64_e32 v[24:25], v[8:9], v[32:33]
	v_add_f64_e32 v[14:15], v[14:15], v[18:19]
	v_add_f64_e32 v[16:17], v[16:17], v[163:164]
	v_mul_f64_e32 v[18:19], v[6:7], v[32:33]
	s_wait_loadcnt_dscnt 0x200
	v_mul_f64_e32 v[28:29], v[4:5], v[36:37]
	v_fma_f64 v[24:25], v[6:7], v[30:31], -v[24:25]
	v_add_f64_e32 v[14:15], v[14:15], v[22:23]
	v_add_f64_e32 v[16:17], v[16:17], v[38:39]
	v_mul_f64_e32 v[22:23], v[2:3], v[36:37]
	v_fma_f64 v[18:19], v[8:9], v[30:31], v[18:19]
	ds_load_b128 v[6:9], v1 offset:1904
	v_fma_f64 v[1:2], v[2:3], v[34:35], -v[28:29]
	v_add_f64_e32 v[14:15], v[14:15], v[26:27]
	v_add_f64_e32 v[16:17], v[16:17], v[20:21]
	s_wait_loadcnt_dscnt 0x100
	v_mul_f64_e32 v[20:21], v[6:7], v[169:170]
	v_mul_f64_e32 v[26:27], v[8:9], v[169:170]
	v_fma_f64 v[4:5], v[4:5], v[34:35], v[22:23]
	v_add_f64_e32 v[14:15], v[14:15], v[24:25]
	v_add_f64_e32 v[16:17], v[16:17], v[18:19]
	v_fma_f64 v[8:9], v[8:9], v[167:168], v[20:21]
	v_fma_f64 v[6:7], v[6:7], v[167:168], -v[26:27]
	s_delay_alu instid0(VALU_DEP_4) | instskip(NEXT) | instid1(VALU_DEP_4)
	v_add_f64_e32 v[1:2], v[14:15], v[1:2]
	v_add_f64_e32 v[3:4], v[16:17], v[4:5]
	s_delay_alu instid0(VALU_DEP_2) | instskip(NEXT) | instid1(VALU_DEP_2)
	v_add_f64_e32 v[1:2], v[1:2], v[6:7]
	v_add_f64_e32 v[3:4], v[3:4], v[8:9]
	s_wait_loadcnt 0x0
	s_delay_alu instid0(VALU_DEP_2) | instskip(NEXT) | instid1(VALU_DEP_2)
	v_add_f64_e64 v[1:2], v[10:11], -v[1:2]
	v_add_f64_e64 v[3:4], v[12:13], -v[3:4]
	scratch_store_b128 off, v[1:4], off offset:160
	v_cmpx_lt_u32_e32 8, v0
	s_cbranch_execz .LBB123_357
; %bb.356:
	scratch_load_b128 v[1:4], off, s65
	v_mov_b32_e32 v5, 0
	s_delay_alu instid0(VALU_DEP_1)
	v_dual_mov_b32 v6, v5 :: v_dual_mov_b32 v7, v5
	v_mov_b32_e32 v8, v5
	scratch_store_b128 off, v[5:8], off offset:144
	s_wait_loadcnt 0x0
	ds_store_b128 v162, v[1:4]
.LBB123_357:
	s_wait_alu 0xfffe
	s_or_b32 exec_lo, exec_lo, s0
	s_wait_storecnt_dscnt 0x0
	s_barrier_signal -1
	s_barrier_wait -1
	global_inv scope:SCOPE_SE
	s_clause 0x7
	scratch_load_b128 v[2:5], off, off offset:160
	scratch_load_b128 v[6:9], off, off offset:176
	;; [unrolled: 1-line block ×8, first 2 shown]
	v_mov_b32_e32 v1, 0
	s_clause 0x1
	scratch_load_b128 v[34:37], off, off offset:288
	scratch_load_b128 v[167:170], off, off offset:304
	s_mov_b32 s0, exec_lo
	ds_load_b128 v[38:41], v1 offset:1104
	ds_load_b128 v[163:166], v1 offset:1120
	s_wait_loadcnt_dscnt 0x901
	v_mul_f64_e32 v[171:172], v[40:41], v[4:5]
	v_mul_f64_e32 v[4:5], v[38:39], v[4:5]
	s_wait_loadcnt_dscnt 0x800
	v_mul_f64_e32 v[173:174], v[163:164], v[8:9]
	v_mul_f64_e32 v[8:9], v[165:166], v[8:9]
	s_delay_alu instid0(VALU_DEP_4) | instskip(NEXT) | instid1(VALU_DEP_4)
	v_fma_f64 v[171:172], v[38:39], v[2:3], -v[171:172]
	v_fma_f64 v[175:176], v[40:41], v[2:3], v[4:5]
	ds_load_b128 v[2:5], v1 offset:1136
	scratch_load_b128 v[38:41], off, off offset:320
	v_fma_f64 v[173:174], v[165:166], v[6:7], v[173:174]
	v_fma_f64 v[179:180], v[163:164], v[6:7], -v[8:9]
	ds_load_b128 v[6:9], v1 offset:1152
	scratch_load_b128 v[163:166], off, off offset:336
	s_wait_loadcnt_dscnt 0x901
	v_mul_f64_e32 v[177:178], v[2:3], v[12:13]
	v_mul_f64_e32 v[12:13], v[4:5], v[12:13]
	s_wait_loadcnt_dscnt 0x800
	v_mul_f64_e32 v[181:182], v[6:7], v[16:17]
	v_mul_f64_e32 v[16:17], v[8:9], v[16:17]
	v_add_f64_e32 v[171:172], 0, v[171:172]
	v_add_f64_e32 v[175:176], 0, v[175:176]
	v_fma_f64 v[177:178], v[4:5], v[10:11], v[177:178]
	v_fma_f64 v[183:184], v[2:3], v[10:11], -v[12:13]
	ds_load_b128 v[2:5], v1 offset:1168
	scratch_load_b128 v[10:13], off, off offset:352
	v_add_f64_e32 v[171:172], v[171:172], v[179:180]
	v_add_f64_e32 v[173:174], v[175:176], v[173:174]
	v_fma_f64 v[179:180], v[8:9], v[14:15], v[181:182]
	v_fma_f64 v[181:182], v[6:7], v[14:15], -v[16:17]
	ds_load_b128 v[6:9], v1 offset:1184
	scratch_load_b128 v[14:17], off, off offset:368
	s_wait_loadcnt_dscnt 0x901
	v_mul_f64_e32 v[175:176], v[2:3], v[20:21]
	v_mul_f64_e32 v[20:21], v[4:5], v[20:21]
	v_add_f64_e32 v[171:172], v[171:172], v[183:184]
	v_add_f64_e32 v[173:174], v[173:174], v[177:178]
	s_wait_loadcnt_dscnt 0x800
	v_mul_f64_e32 v[177:178], v[6:7], v[24:25]
	v_mul_f64_e32 v[24:25], v[8:9], v[24:25]
	v_fma_f64 v[175:176], v[4:5], v[18:19], v[175:176]
	v_fma_f64 v[183:184], v[2:3], v[18:19], -v[20:21]
	ds_load_b128 v[2:5], v1 offset:1200
	scratch_load_b128 v[18:21], off, off offset:384
	v_add_f64_e32 v[171:172], v[171:172], v[181:182]
	v_add_f64_e32 v[173:174], v[173:174], v[179:180]
	v_fma_f64 v[177:178], v[8:9], v[22:23], v[177:178]
	v_fma_f64 v[181:182], v[6:7], v[22:23], -v[24:25]
	ds_load_b128 v[6:9], v1 offset:1216
	s_wait_loadcnt_dscnt 0x801
	v_mul_f64_e32 v[179:180], v[2:3], v[28:29]
	v_mul_f64_e32 v[28:29], v[4:5], v[28:29]
	scratch_load_b128 v[22:25], off, off offset:400
	v_add_f64_e32 v[171:172], v[171:172], v[183:184]
	v_add_f64_e32 v[173:174], v[173:174], v[175:176]
	s_wait_loadcnt_dscnt 0x800
	v_mul_f64_e32 v[175:176], v[6:7], v[32:33]
	v_mul_f64_e32 v[32:33], v[8:9], v[32:33]
	v_fma_f64 v[179:180], v[4:5], v[26:27], v[179:180]
	v_fma_f64 v[183:184], v[2:3], v[26:27], -v[28:29]
	ds_load_b128 v[2:5], v1 offset:1232
	scratch_load_b128 v[26:29], off, off offset:416
	v_add_f64_e32 v[171:172], v[171:172], v[181:182]
	v_add_f64_e32 v[173:174], v[173:174], v[177:178]
	v_fma_f64 v[175:176], v[8:9], v[30:31], v[175:176]
	v_fma_f64 v[181:182], v[6:7], v[30:31], -v[32:33]
	ds_load_b128 v[6:9], v1 offset:1248
	s_wait_loadcnt_dscnt 0x801
	v_mul_f64_e32 v[177:178], v[2:3], v[36:37]
	v_mul_f64_e32 v[36:37], v[4:5], v[36:37]
	scratch_load_b128 v[30:33], off, off offset:432
	v_add_f64_e32 v[171:172], v[171:172], v[183:184]
	v_add_f64_e32 v[173:174], v[173:174], v[179:180]
	s_wait_loadcnt_dscnt 0x800
	v_mul_f64_e32 v[179:180], v[6:7], v[169:170]
	v_mul_f64_e32 v[169:170], v[8:9], v[169:170]
	v_fma_f64 v[177:178], v[4:5], v[34:35], v[177:178]
	v_fma_f64 v[183:184], v[2:3], v[34:35], -v[36:37]
	ds_load_b128 v[2:5], v1 offset:1264
	scratch_load_b128 v[34:37], off, off offset:448
	v_add_f64_e32 v[171:172], v[171:172], v[181:182]
	v_add_f64_e32 v[173:174], v[173:174], v[175:176]
	v_fma_f64 v[179:180], v[8:9], v[167:168], v[179:180]
	v_fma_f64 v[181:182], v[6:7], v[167:168], -v[169:170]
	ds_load_b128 v[6:9], v1 offset:1280
	scratch_load_b128 v[167:170], off, off offset:464
	s_wait_loadcnt_dscnt 0x901
	v_mul_f64_e32 v[175:176], v[2:3], v[40:41]
	v_mul_f64_e32 v[40:41], v[4:5], v[40:41]
	v_add_f64_e32 v[171:172], v[171:172], v[183:184]
	v_add_f64_e32 v[173:174], v[173:174], v[177:178]
	s_wait_loadcnt_dscnt 0x800
	v_mul_f64_e32 v[177:178], v[6:7], v[165:166]
	v_mul_f64_e32 v[165:166], v[8:9], v[165:166]
	v_fma_f64 v[175:176], v[4:5], v[38:39], v[175:176]
	v_fma_f64 v[183:184], v[2:3], v[38:39], -v[40:41]
	ds_load_b128 v[2:5], v1 offset:1296
	scratch_load_b128 v[38:41], off, off offset:480
	v_add_f64_e32 v[171:172], v[171:172], v[181:182]
	v_add_f64_e32 v[173:174], v[173:174], v[179:180]
	v_fma_f64 v[177:178], v[8:9], v[163:164], v[177:178]
	v_fma_f64 v[181:182], v[6:7], v[163:164], -v[165:166]
	ds_load_b128 v[6:9], v1 offset:1312
	s_wait_loadcnt_dscnt 0x801
	v_mul_f64_e32 v[179:180], v[2:3], v[12:13]
	v_mul_f64_e32 v[12:13], v[4:5], v[12:13]
	scratch_load_b128 v[163:166], off, off offset:496
	v_add_f64_e32 v[171:172], v[171:172], v[183:184]
	v_add_f64_e32 v[173:174], v[173:174], v[175:176]
	s_wait_loadcnt_dscnt 0x800
	v_mul_f64_e32 v[175:176], v[6:7], v[16:17]
	v_mul_f64_e32 v[16:17], v[8:9], v[16:17]
	v_fma_f64 v[179:180], v[4:5], v[10:11], v[179:180]
	v_fma_f64 v[183:184], v[2:3], v[10:11], -v[12:13]
	ds_load_b128 v[2:5], v1 offset:1328
	scratch_load_b128 v[10:13], off, off offset:512
	v_add_f64_e32 v[171:172], v[171:172], v[181:182]
	v_add_f64_e32 v[173:174], v[173:174], v[177:178]
	v_fma_f64 v[175:176], v[8:9], v[14:15], v[175:176]
	v_fma_f64 v[181:182], v[6:7], v[14:15], -v[16:17]
	ds_load_b128 v[6:9], v1 offset:1344
	s_wait_loadcnt_dscnt 0x801
	v_mul_f64_e32 v[177:178], v[2:3], v[20:21]
	v_mul_f64_e32 v[20:21], v[4:5], v[20:21]
	scratch_load_b128 v[14:17], off, off offset:528
	;; [unrolled: 18-line block ×15, first 2 shown]
	v_add_f64_e32 v[171:172], v[171:172], v[183:184]
	v_add_f64_e32 v[173:174], v[173:174], v[177:178]
	s_wait_loadcnt_dscnt 0x800
	v_mul_f64_e32 v[177:178], v[6:7], v[165:166]
	v_mul_f64_e32 v[165:166], v[8:9], v[165:166]
	v_fma_f64 v[175:176], v[4:5], v[38:39], v[175:176]
	v_fma_f64 v[183:184], v[2:3], v[38:39], -v[40:41]
	ds_load_b128 v[2:5], v1 offset:1776
	scratch_load_b128 v[38:41], off, off offset:960
	v_add_f64_e32 v[171:172], v[171:172], v[181:182]
	v_add_f64_e32 v[173:174], v[173:174], v[179:180]
	v_fma_f64 v[177:178], v[8:9], v[163:164], v[177:178]
	v_fma_f64 v[163:164], v[6:7], v[163:164], -v[165:166]
	ds_load_b128 v[6:9], v1 offset:1792
	s_wait_loadcnt_dscnt 0x801
	v_mul_f64_e32 v[179:180], v[2:3], v[12:13]
	v_mul_f64_e32 v[12:13], v[4:5], v[12:13]
	v_add_f64_e32 v[165:166], v[171:172], v[183:184]
	v_add_f64_e32 v[171:172], v[173:174], v[175:176]
	s_wait_loadcnt_dscnt 0x700
	v_mul_f64_e32 v[173:174], v[6:7], v[16:17]
	v_mul_f64_e32 v[16:17], v[8:9], v[16:17]
	v_fma_f64 v[175:176], v[4:5], v[10:11], v[179:180]
	v_fma_f64 v[10:11], v[2:3], v[10:11], -v[12:13]
	ds_load_b128 v[2:5], v1 offset:1808
	v_add_f64_e32 v[12:13], v[165:166], v[163:164]
	v_add_f64_e32 v[163:164], v[171:172], v[177:178]
	v_fma_f64 v[171:172], v[8:9], v[14:15], v[173:174]
	v_fma_f64 v[14:15], v[6:7], v[14:15], -v[16:17]
	ds_load_b128 v[6:9], v1 offset:1824
	s_wait_loadcnt_dscnt 0x500
	v_mul_f64_e32 v[173:174], v[6:7], v[24:25]
	v_mul_f64_e32 v[24:25], v[8:9], v[24:25]
	v_add_f64_e32 v[16:17], v[12:13], v[10:11]
	v_add_f64_e32 v[163:164], v[163:164], v[175:176]
	scratch_load_b128 v[10:13], off, off offset:144
	v_mul_f64_e32 v[165:166], v[2:3], v[20:21]
	v_mul_f64_e32 v[20:21], v[4:5], v[20:21]
	v_add_f64_e32 v[14:15], v[16:17], v[14:15]
	v_add_f64_e32 v[16:17], v[163:164], v[171:172]
	v_fma_f64 v[163:164], v[8:9], v[22:23], v[173:174]
	v_fma_f64 v[165:166], v[4:5], v[18:19], v[165:166]
	v_fma_f64 v[18:19], v[2:3], v[18:19], -v[20:21]
	ds_load_b128 v[2:5], v1 offset:1840
	v_fma_f64 v[22:23], v[6:7], v[22:23], -v[24:25]
	ds_load_b128 v[6:9], v1 offset:1856
	s_wait_loadcnt_dscnt 0x501
	v_mul_f64_e32 v[20:21], v[2:3], v[28:29]
	v_mul_f64_e32 v[28:29], v[4:5], v[28:29]
	s_wait_loadcnt_dscnt 0x400
	v_mul_f64_e32 v[24:25], v[8:9], v[32:33]
	v_add_f64_e32 v[16:17], v[16:17], v[165:166]
	v_add_f64_e32 v[14:15], v[14:15], v[18:19]
	v_mul_f64_e32 v[18:19], v[6:7], v[32:33]
	v_fma_f64 v[20:21], v[4:5], v[26:27], v[20:21]
	v_fma_f64 v[26:27], v[2:3], v[26:27], -v[28:29]
	ds_load_b128 v[2:5], v1 offset:1872
	v_fma_f64 v[24:25], v[6:7], v[30:31], -v[24:25]
	v_add_f64_e32 v[16:17], v[16:17], v[163:164]
	v_add_f64_e32 v[14:15], v[14:15], v[22:23]
	v_fma_f64 v[18:19], v[8:9], v[30:31], v[18:19]
	ds_load_b128 v[6:9], v1 offset:1888
	s_wait_loadcnt_dscnt 0x301
	v_mul_f64_e32 v[22:23], v[2:3], v[36:37]
	v_mul_f64_e32 v[28:29], v[4:5], v[36:37]
	v_add_f64_e32 v[16:17], v[16:17], v[20:21]
	v_add_f64_e32 v[14:15], v[14:15], v[26:27]
	s_wait_loadcnt_dscnt 0x200
	v_mul_f64_e32 v[20:21], v[6:7], v[169:170]
	v_mul_f64_e32 v[26:27], v[8:9], v[169:170]
	v_fma_f64 v[22:23], v[4:5], v[34:35], v[22:23]
	v_fma_f64 v[28:29], v[2:3], v[34:35], -v[28:29]
	ds_load_b128 v[2:5], v1 offset:1904
	v_add_f64_e32 v[16:17], v[16:17], v[18:19]
	v_add_f64_e32 v[14:15], v[14:15], v[24:25]
	s_wait_loadcnt_dscnt 0x100
	v_mul_f64_e32 v[18:19], v[2:3], v[40:41]
	v_mul_f64_e32 v[24:25], v[4:5], v[40:41]
	v_fma_f64 v[8:9], v[8:9], v[167:168], v[20:21]
	v_fma_f64 v[6:7], v[6:7], v[167:168], -v[26:27]
	v_add_f64_e32 v[16:17], v[16:17], v[22:23]
	v_add_f64_e32 v[14:15], v[14:15], v[28:29]
	v_fma_f64 v[4:5], v[4:5], v[38:39], v[18:19]
	v_fma_f64 v[2:3], v[2:3], v[38:39], -v[24:25]
	s_delay_alu instid0(VALU_DEP_4) | instskip(NEXT) | instid1(VALU_DEP_4)
	v_add_f64_e32 v[8:9], v[16:17], v[8:9]
	v_add_f64_e32 v[6:7], v[14:15], v[6:7]
	s_delay_alu instid0(VALU_DEP_2) | instskip(NEXT) | instid1(VALU_DEP_2)
	v_add_f64_e32 v[4:5], v[8:9], v[4:5]
	v_add_f64_e32 v[2:3], v[6:7], v[2:3]
	s_wait_loadcnt 0x0
	s_delay_alu instid0(VALU_DEP_2) | instskip(NEXT) | instid1(VALU_DEP_2)
	v_add_f64_e64 v[4:5], v[12:13], -v[4:5]
	v_add_f64_e64 v[2:3], v[10:11], -v[2:3]
	scratch_store_b128 off, v[2:5], off offset:144
	v_cmpx_lt_u32_e32 7, v0
	s_cbranch_execz .LBB123_359
; %bb.358:
	scratch_load_b128 v[5:8], off, s66
	v_dual_mov_b32 v2, v1 :: v_dual_mov_b32 v3, v1
	v_mov_b32_e32 v4, v1
	scratch_store_b128 off, v[1:4], off offset:128
	s_wait_loadcnt 0x0
	ds_store_b128 v162, v[5:8]
.LBB123_359:
	s_wait_alu 0xfffe
	s_or_b32 exec_lo, exec_lo, s0
	s_wait_storecnt_dscnt 0x0
	s_barrier_signal -1
	s_barrier_wait -1
	global_inv scope:SCOPE_SE
	s_clause 0x7
	scratch_load_b128 v[2:5], off, off offset:144
	scratch_load_b128 v[6:9], off, off offset:160
	;; [unrolled: 1-line block ×8, first 2 shown]
	ds_load_b128 v[38:41], v1 offset:1088
	ds_load_b128 v[163:166], v1 offset:1104
	s_clause 0x1
	scratch_load_b128 v[34:37], off, off offset:272
	scratch_load_b128 v[167:170], off, off offset:288
	s_mov_b32 s0, exec_lo
	s_wait_loadcnt_dscnt 0x901
	v_mul_f64_e32 v[171:172], v[40:41], v[4:5]
	v_mul_f64_e32 v[4:5], v[38:39], v[4:5]
	s_wait_loadcnt_dscnt 0x800
	v_mul_f64_e32 v[173:174], v[163:164], v[8:9]
	v_mul_f64_e32 v[8:9], v[165:166], v[8:9]
	s_delay_alu instid0(VALU_DEP_4) | instskip(NEXT) | instid1(VALU_DEP_4)
	v_fma_f64 v[171:172], v[38:39], v[2:3], -v[171:172]
	v_fma_f64 v[175:176], v[40:41], v[2:3], v[4:5]
	ds_load_b128 v[2:5], v1 offset:1120
	scratch_load_b128 v[38:41], off, off offset:304
	v_fma_f64 v[173:174], v[165:166], v[6:7], v[173:174]
	v_fma_f64 v[179:180], v[163:164], v[6:7], -v[8:9]
	ds_load_b128 v[6:9], v1 offset:1136
	scratch_load_b128 v[163:166], off, off offset:320
	s_wait_loadcnt_dscnt 0x901
	v_mul_f64_e32 v[177:178], v[2:3], v[12:13]
	v_mul_f64_e32 v[12:13], v[4:5], v[12:13]
	s_wait_loadcnt_dscnt 0x800
	v_mul_f64_e32 v[181:182], v[6:7], v[16:17]
	v_mul_f64_e32 v[16:17], v[8:9], v[16:17]
	v_add_f64_e32 v[171:172], 0, v[171:172]
	v_add_f64_e32 v[175:176], 0, v[175:176]
	v_fma_f64 v[177:178], v[4:5], v[10:11], v[177:178]
	v_fma_f64 v[183:184], v[2:3], v[10:11], -v[12:13]
	ds_load_b128 v[2:5], v1 offset:1152
	scratch_load_b128 v[10:13], off, off offset:336
	v_add_f64_e32 v[171:172], v[171:172], v[179:180]
	v_add_f64_e32 v[173:174], v[175:176], v[173:174]
	v_fma_f64 v[179:180], v[8:9], v[14:15], v[181:182]
	v_fma_f64 v[181:182], v[6:7], v[14:15], -v[16:17]
	ds_load_b128 v[6:9], v1 offset:1168
	scratch_load_b128 v[14:17], off, off offset:352
	s_wait_loadcnt_dscnt 0x901
	v_mul_f64_e32 v[175:176], v[2:3], v[20:21]
	v_mul_f64_e32 v[20:21], v[4:5], v[20:21]
	v_add_f64_e32 v[171:172], v[171:172], v[183:184]
	v_add_f64_e32 v[173:174], v[173:174], v[177:178]
	s_wait_loadcnt_dscnt 0x800
	v_mul_f64_e32 v[177:178], v[6:7], v[24:25]
	v_mul_f64_e32 v[24:25], v[8:9], v[24:25]
	v_fma_f64 v[175:176], v[4:5], v[18:19], v[175:176]
	v_fma_f64 v[183:184], v[2:3], v[18:19], -v[20:21]
	ds_load_b128 v[2:5], v1 offset:1184
	scratch_load_b128 v[18:21], off, off offset:368
	v_add_f64_e32 v[171:172], v[171:172], v[181:182]
	v_add_f64_e32 v[173:174], v[173:174], v[179:180]
	v_fma_f64 v[177:178], v[8:9], v[22:23], v[177:178]
	v_fma_f64 v[181:182], v[6:7], v[22:23], -v[24:25]
	ds_load_b128 v[6:9], v1 offset:1200
	s_wait_loadcnt_dscnt 0x801
	v_mul_f64_e32 v[179:180], v[2:3], v[28:29]
	v_mul_f64_e32 v[28:29], v[4:5], v[28:29]
	scratch_load_b128 v[22:25], off, off offset:384
	v_add_f64_e32 v[171:172], v[171:172], v[183:184]
	v_add_f64_e32 v[173:174], v[173:174], v[175:176]
	s_wait_loadcnt_dscnt 0x800
	v_mul_f64_e32 v[175:176], v[6:7], v[32:33]
	v_mul_f64_e32 v[32:33], v[8:9], v[32:33]
	v_fma_f64 v[179:180], v[4:5], v[26:27], v[179:180]
	v_fma_f64 v[183:184], v[2:3], v[26:27], -v[28:29]
	ds_load_b128 v[2:5], v1 offset:1216
	scratch_load_b128 v[26:29], off, off offset:400
	v_add_f64_e32 v[171:172], v[171:172], v[181:182]
	v_add_f64_e32 v[173:174], v[173:174], v[177:178]
	v_fma_f64 v[175:176], v[8:9], v[30:31], v[175:176]
	v_fma_f64 v[181:182], v[6:7], v[30:31], -v[32:33]
	ds_load_b128 v[6:9], v1 offset:1232
	s_wait_loadcnt_dscnt 0x801
	v_mul_f64_e32 v[177:178], v[2:3], v[36:37]
	v_mul_f64_e32 v[36:37], v[4:5], v[36:37]
	scratch_load_b128 v[30:33], off, off offset:416
	v_add_f64_e32 v[171:172], v[171:172], v[183:184]
	v_add_f64_e32 v[173:174], v[173:174], v[179:180]
	s_wait_loadcnt_dscnt 0x800
	v_mul_f64_e32 v[179:180], v[6:7], v[169:170]
	v_mul_f64_e32 v[169:170], v[8:9], v[169:170]
	v_fma_f64 v[177:178], v[4:5], v[34:35], v[177:178]
	v_fma_f64 v[183:184], v[2:3], v[34:35], -v[36:37]
	ds_load_b128 v[2:5], v1 offset:1248
	scratch_load_b128 v[34:37], off, off offset:432
	v_add_f64_e32 v[171:172], v[171:172], v[181:182]
	v_add_f64_e32 v[173:174], v[173:174], v[175:176]
	v_fma_f64 v[179:180], v[8:9], v[167:168], v[179:180]
	v_fma_f64 v[181:182], v[6:7], v[167:168], -v[169:170]
	ds_load_b128 v[6:9], v1 offset:1264
	scratch_load_b128 v[167:170], off, off offset:448
	s_wait_loadcnt_dscnt 0x901
	v_mul_f64_e32 v[175:176], v[2:3], v[40:41]
	v_mul_f64_e32 v[40:41], v[4:5], v[40:41]
	v_add_f64_e32 v[171:172], v[171:172], v[183:184]
	v_add_f64_e32 v[173:174], v[173:174], v[177:178]
	s_wait_loadcnt_dscnt 0x800
	v_mul_f64_e32 v[177:178], v[6:7], v[165:166]
	v_mul_f64_e32 v[165:166], v[8:9], v[165:166]
	v_fma_f64 v[175:176], v[4:5], v[38:39], v[175:176]
	v_fma_f64 v[183:184], v[2:3], v[38:39], -v[40:41]
	ds_load_b128 v[2:5], v1 offset:1280
	scratch_load_b128 v[38:41], off, off offset:464
	v_add_f64_e32 v[171:172], v[171:172], v[181:182]
	v_add_f64_e32 v[173:174], v[173:174], v[179:180]
	v_fma_f64 v[177:178], v[8:9], v[163:164], v[177:178]
	v_fma_f64 v[181:182], v[6:7], v[163:164], -v[165:166]
	ds_load_b128 v[6:9], v1 offset:1296
	s_wait_loadcnt_dscnt 0x801
	v_mul_f64_e32 v[179:180], v[2:3], v[12:13]
	v_mul_f64_e32 v[12:13], v[4:5], v[12:13]
	scratch_load_b128 v[163:166], off, off offset:480
	v_add_f64_e32 v[171:172], v[171:172], v[183:184]
	v_add_f64_e32 v[173:174], v[173:174], v[175:176]
	s_wait_loadcnt_dscnt 0x800
	v_mul_f64_e32 v[175:176], v[6:7], v[16:17]
	v_mul_f64_e32 v[16:17], v[8:9], v[16:17]
	v_fma_f64 v[179:180], v[4:5], v[10:11], v[179:180]
	v_fma_f64 v[183:184], v[2:3], v[10:11], -v[12:13]
	ds_load_b128 v[2:5], v1 offset:1312
	scratch_load_b128 v[10:13], off, off offset:496
	v_add_f64_e32 v[171:172], v[171:172], v[181:182]
	v_add_f64_e32 v[173:174], v[173:174], v[177:178]
	v_fma_f64 v[175:176], v[8:9], v[14:15], v[175:176]
	v_fma_f64 v[181:182], v[6:7], v[14:15], -v[16:17]
	ds_load_b128 v[6:9], v1 offset:1328
	s_wait_loadcnt_dscnt 0x801
	v_mul_f64_e32 v[177:178], v[2:3], v[20:21]
	v_mul_f64_e32 v[20:21], v[4:5], v[20:21]
	scratch_load_b128 v[14:17], off, off offset:512
	;; [unrolled: 18-line block ×16, first 2 shown]
	v_add_f64_e32 v[171:172], v[171:172], v[183:184]
	v_add_f64_e32 v[173:174], v[173:174], v[175:176]
	s_wait_loadcnt_dscnt 0x800
	v_mul_f64_e32 v[175:176], v[6:7], v[16:17]
	v_mul_f64_e32 v[16:17], v[8:9], v[16:17]
	v_fma_f64 v[179:180], v[4:5], v[10:11], v[179:180]
	v_fma_f64 v[10:11], v[2:3], v[10:11], -v[12:13]
	ds_load_b128 v[2:5], v1 offset:1792
	v_add_f64_e32 v[12:13], v[171:172], v[181:182]
	v_add_f64_e32 v[171:172], v[173:174], v[177:178]
	v_fma_f64 v[175:176], v[8:9], v[14:15], v[175:176]
	v_fma_f64 v[14:15], v[6:7], v[14:15], -v[16:17]
	ds_load_b128 v[6:9], v1 offset:1808
	s_wait_loadcnt_dscnt 0x701
	v_mul_f64_e32 v[173:174], v[2:3], v[20:21]
	v_mul_f64_e32 v[20:21], v[4:5], v[20:21]
	v_add_f64_e32 v[10:11], v[12:13], v[10:11]
	v_add_f64_e32 v[12:13], v[171:172], v[179:180]
	s_delay_alu instid0(VALU_DEP_4) | instskip(NEXT) | instid1(VALU_DEP_4)
	v_fma_f64 v[171:172], v[4:5], v[18:19], v[173:174]
	v_fma_f64 v[18:19], v[2:3], v[18:19], -v[20:21]
	ds_load_b128 v[2:5], v1 offset:1824
	v_add_f64_e32 v[14:15], v[10:11], v[14:15]
	v_add_f64_e32 v[20:21], v[12:13], v[175:176]
	scratch_load_b128 v[10:13], off, off offset:128
	s_wait_loadcnt_dscnt 0x701
	v_mul_f64_e32 v[16:17], v[6:7], v[24:25]
	v_mul_f64_e32 v[24:25], v[8:9], v[24:25]
	v_add_f64_e32 v[14:15], v[14:15], v[18:19]
	v_add_f64_e32 v[18:19], v[20:21], v[171:172]
	s_delay_alu instid0(VALU_DEP_4) | instskip(NEXT) | instid1(VALU_DEP_4)
	v_fma_f64 v[16:17], v[8:9], v[22:23], v[16:17]
	v_fma_f64 v[22:23], v[6:7], v[22:23], -v[24:25]
	ds_load_b128 v[6:9], v1 offset:1840
	s_wait_loadcnt_dscnt 0x601
	v_mul_f64_e32 v[173:174], v[2:3], v[28:29]
	v_mul_f64_e32 v[28:29], v[4:5], v[28:29]
	s_wait_loadcnt_dscnt 0x500
	v_mul_f64_e32 v[20:21], v[6:7], v[32:33]
	v_mul_f64_e32 v[24:25], v[8:9], v[32:33]
	v_add_f64_e32 v[16:17], v[18:19], v[16:17]
	v_add_f64_e32 v[14:15], v[14:15], v[22:23]
	v_fma_f64 v[32:33], v[4:5], v[26:27], v[173:174]
	v_fma_f64 v[26:27], v[2:3], v[26:27], -v[28:29]
	ds_load_b128 v[2:5], v1 offset:1856
	v_fma_f64 v[20:21], v[8:9], v[30:31], v[20:21]
	v_fma_f64 v[24:25], v[6:7], v[30:31], -v[24:25]
	ds_load_b128 v[6:9], v1 offset:1872
	s_wait_loadcnt_dscnt 0x401
	v_mul_f64_e32 v[18:19], v[2:3], v[36:37]
	v_mul_f64_e32 v[22:23], v[4:5], v[36:37]
	v_add_f64_e32 v[16:17], v[16:17], v[32:33]
	v_add_f64_e32 v[14:15], v[14:15], v[26:27]
	s_wait_loadcnt_dscnt 0x300
	v_mul_f64_e32 v[26:27], v[6:7], v[169:170]
	v_mul_f64_e32 v[28:29], v[8:9], v[169:170]
	v_fma_f64 v[18:19], v[4:5], v[34:35], v[18:19]
	v_fma_f64 v[22:23], v[2:3], v[34:35], -v[22:23]
	ds_load_b128 v[2:5], v1 offset:1888
	v_add_f64_e32 v[16:17], v[16:17], v[20:21]
	v_add_f64_e32 v[14:15], v[14:15], v[24:25]
	v_fma_f64 v[26:27], v[8:9], v[167:168], v[26:27]
	v_fma_f64 v[28:29], v[6:7], v[167:168], -v[28:29]
	ds_load_b128 v[6:9], v1 offset:1904
	s_wait_loadcnt_dscnt 0x201
	v_mul_f64_e32 v[20:21], v[2:3], v[40:41]
	v_mul_f64_e32 v[24:25], v[4:5], v[40:41]
	v_add_f64_e32 v[16:17], v[16:17], v[18:19]
	v_add_f64_e32 v[14:15], v[14:15], v[22:23]
	s_wait_loadcnt_dscnt 0x100
	v_mul_f64_e32 v[18:19], v[6:7], v[165:166]
	v_mul_f64_e32 v[22:23], v[8:9], v[165:166]
	v_fma_f64 v[4:5], v[4:5], v[38:39], v[20:21]
	v_fma_f64 v[1:2], v[2:3], v[38:39], -v[24:25]
	v_add_f64_e32 v[16:17], v[16:17], v[26:27]
	v_add_f64_e32 v[14:15], v[14:15], v[28:29]
	v_fma_f64 v[8:9], v[8:9], v[163:164], v[18:19]
	v_fma_f64 v[6:7], v[6:7], v[163:164], -v[22:23]
	s_delay_alu instid0(VALU_DEP_4) | instskip(NEXT) | instid1(VALU_DEP_4)
	v_add_f64_e32 v[3:4], v[16:17], v[4:5]
	v_add_f64_e32 v[1:2], v[14:15], v[1:2]
	s_delay_alu instid0(VALU_DEP_2) | instskip(NEXT) | instid1(VALU_DEP_2)
	v_add_f64_e32 v[3:4], v[3:4], v[8:9]
	v_add_f64_e32 v[1:2], v[1:2], v[6:7]
	s_wait_loadcnt 0x0
	s_delay_alu instid0(VALU_DEP_2) | instskip(NEXT) | instid1(VALU_DEP_2)
	v_add_f64_e64 v[3:4], v[12:13], -v[3:4]
	v_add_f64_e64 v[1:2], v[10:11], -v[1:2]
	scratch_store_b128 off, v[1:4], off offset:128
	v_cmpx_lt_u32_e32 6, v0
	s_cbranch_execz .LBB123_361
; %bb.360:
	scratch_load_b128 v[1:4], off, s67
	v_mov_b32_e32 v5, 0
	s_delay_alu instid0(VALU_DEP_1)
	v_dual_mov_b32 v6, v5 :: v_dual_mov_b32 v7, v5
	v_mov_b32_e32 v8, v5
	scratch_store_b128 off, v[5:8], off offset:112
	s_wait_loadcnt 0x0
	ds_store_b128 v162, v[1:4]
.LBB123_361:
	s_wait_alu 0xfffe
	s_or_b32 exec_lo, exec_lo, s0
	s_wait_storecnt_dscnt 0x0
	s_barrier_signal -1
	s_barrier_wait -1
	global_inv scope:SCOPE_SE
	s_clause 0x7
	scratch_load_b128 v[2:5], off, off offset:128
	scratch_load_b128 v[6:9], off, off offset:144
	;; [unrolled: 1-line block ×8, first 2 shown]
	v_mov_b32_e32 v1, 0
	s_clause 0x1
	scratch_load_b128 v[34:37], off, off offset:256
	scratch_load_b128 v[167:170], off, off offset:272
	s_mov_b32 s0, exec_lo
	ds_load_b128 v[38:41], v1 offset:1072
	ds_load_b128 v[163:166], v1 offset:1088
	s_wait_loadcnt_dscnt 0x901
	v_mul_f64_e32 v[171:172], v[40:41], v[4:5]
	v_mul_f64_e32 v[4:5], v[38:39], v[4:5]
	s_wait_loadcnt_dscnt 0x800
	v_mul_f64_e32 v[173:174], v[163:164], v[8:9]
	v_mul_f64_e32 v[8:9], v[165:166], v[8:9]
	s_delay_alu instid0(VALU_DEP_4) | instskip(NEXT) | instid1(VALU_DEP_4)
	v_fma_f64 v[171:172], v[38:39], v[2:3], -v[171:172]
	v_fma_f64 v[175:176], v[40:41], v[2:3], v[4:5]
	ds_load_b128 v[2:5], v1 offset:1104
	scratch_load_b128 v[38:41], off, off offset:288
	v_fma_f64 v[173:174], v[165:166], v[6:7], v[173:174]
	v_fma_f64 v[179:180], v[163:164], v[6:7], -v[8:9]
	ds_load_b128 v[6:9], v1 offset:1120
	scratch_load_b128 v[163:166], off, off offset:304
	s_wait_loadcnt_dscnt 0x901
	v_mul_f64_e32 v[177:178], v[2:3], v[12:13]
	v_mul_f64_e32 v[12:13], v[4:5], v[12:13]
	s_wait_loadcnt_dscnt 0x800
	v_mul_f64_e32 v[181:182], v[6:7], v[16:17]
	v_mul_f64_e32 v[16:17], v[8:9], v[16:17]
	v_add_f64_e32 v[171:172], 0, v[171:172]
	v_add_f64_e32 v[175:176], 0, v[175:176]
	v_fma_f64 v[177:178], v[4:5], v[10:11], v[177:178]
	v_fma_f64 v[183:184], v[2:3], v[10:11], -v[12:13]
	ds_load_b128 v[2:5], v1 offset:1136
	scratch_load_b128 v[10:13], off, off offset:320
	v_add_f64_e32 v[171:172], v[171:172], v[179:180]
	v_add_f64_e32 v[173:174], v[175:176], v[173:174]
	v_fma_f64 v[179:180], v[8:9], v[14:15], v[181:182]
	v_fma_f64 v[181:182], v[6:7], v[14:15], -v[16:17]
	ds_load_b128 v[6:9], v1 offset:1152
	scratch_load_b128 v[14:17], off, off offset:336
	s_wait_loadcnt_dscnt 0x901
	v_mul_f64_e32 v[175:176], v[2:3], v[20:21]
	v_mul_f64_e32 v[20:21], v[4:5], v[20:21]
	v_add_f64_e32 v[171:172], v[171:172], v[183:184]
	v_add_f64_e32 v[173:174], v[173:174], v[177:178]
	s_wait_loadcnt_dscnt 0x800
	v_mul_f64_e32 v[177:178], v[6:7], v[24:25]
	v_mul_f64_e32 v[24:25], v[8:9], v[24:25]
	v_fma_f64 v[175:176], v[4:5], v[18:19], v[175:176]
	v_fma_f64 v[183:184], v[2:3], v[18:19], -v[20:21]
	ds_load_b128 v[2:5], v1 offset:1168
	scratch_load_b128 v[18:21], off, off offset:352
	v_add_f64_e32 v[171:172], v[171:172], v[181:182]
	v_add_f64_e32 v[173:174], v[173:174], v[179:180]
	v_fma_f64 v[177:178], v[8:9], v[22:23], v[177:178]
	v_fma_f64 v[181:182], v[6:7], v[22:23], -v[24:25]
	ds_load_b128 v[6:9], v1 offset:1184
	s_wait_loadcnt_dscnt 0x801
	v_mul_f64_e32 v[179:180], v[2:3], v[28:29]
	v_mul_f64_e32 v[28:29], v[4:5], v[28:29]
	scratch_load_b128 v[22:25], off, off offset:368
	v_add_f64_e32 v[171:172], v[171:172], v[183:184]
	v_add_f64_e32 v[173:174], v[173:174], v[175:176]
	s_wait_loadcnt_dscnt 0x800
	v_mul_f64_e32 v[175:176], v[6:7], v[32:33]
	v_mul_f64_e32 v[32:33], v[8:9], v[32:33]
	v_fma_f64 v[179:180], v[4:5], v[26:27], v[179:180]
	v_fma_f64 v[183:184], v[2:3], v[26:27], -v[28:29]
	ds_load_b128 v[2:5], v1 offset:1200
	scratch_load_b128 v[26:29], off, off offset:384
	v_add_f64_e32 v[171:172], v[171:172], v[181:182]
	v_add_f64_e32 v[173:174], v[173:174], v[177:178]
	v_fma_f64 v[175:176], v[8:9], v[30:31], v[175:176]
	v_fma_f64 v[181:182], v[6:7], v[30:31], -v[32:33]
	ds_load_b128 v[6:9], v1 offset:1216
	s_wait_loadcnt_dscnt 0x801
	v_mul_f64_e32 v[177:178], v[2:3], v[36:37]
	v_mul_f64_e32 v[36:37], v[4:5], v[36:37]
	scratch_load_b128 v[30:33], off, off offset:400
	v_add_f64_e32 v[171:172], v[171:172], v[183:184]
	v_add_f64_e32 v[173:174], v[173:174], v[179:180]
	s_wait_loadcnt_dscnt 0x800
	v_mul_f64_e32 v[179:180], v[6:7], v[169:170]
	v_mul_f64_e32 v[169:170], v[8:9], v[169:170]
	v_fma_f64 v[177:178], v[4:5], v[34:35], v[177:178]
	v_fma_f64 v[183:184], v[2:3], v[34:35], -v[36:37]
	ds_load_b128 v[2:5], v1 offset:1232
	scratch_load_b128 v[34:37], off, off offset:416
	v_add_f64_e32 v[171:172], v[171:172], v[181:182]
	v_add_f64_e32 v[173:174], v[173:174], v[175:176]
	v_fma_f64 v[179:180], v[8:9], v[167:168], v[179:180]
	v_fma_f64 v[181:182], v[6:7], v[167:168], -v[169:170]
	ds_load_b128 v[6:9], v1 offset:1248
	scratch_load_b128 v[167:170], off, off offset:432
	s_wait_loadcnt_dscnt 0x901
	v_mul_f64_e32 v[175:176], v[2:3], v[40:41]
	v_mul_f64_e32 v[40:41], v[4:5], v[40:41]
	v_add_f64_e32 v[171:172], v[171:172], v[183:184]
	v_add_f64_e32 v[173:174], v[173:174], v[177:178]
	s_wait_loadcnt_dscnt 0x800
	v_mul_f64_e32 v[177:178], v[6:7], v[165:166]
	v_mul_f64_e32 v[165:166], v[8:9], v[165:166]
	v_fma_f64 v[175:176], v[4:5], v[38:39], v[175:176]
	v_fma_f64 v[183:184], v[2:3], v[38:39], -v[40:41]
	ds_load_b128 v[2:5], v1 offset:1264
	scratch_load_b128 v[38:41], off, off offset:448
	v_add_f64_e32 v[171:172], v[171:172], v[181:182]
	v_add_f64_e32 v[173:174], v[173:174], v[179:180]
	v_fma_f64 v[177:178], v[8:9], v[163:164], v[177:178]
	v_fma_f64 v[181:182], v[6:7], v[163:164], -v[165:166]
	ds_load_b128 v[6:9], v1 offset:1280
	s_wait_loadcnt_dscnt 0x801
	v_mul_f64_e32 v[179:180], v[2:3], v[12:13]
	v_mul_f64_e32 v[12:13], v[4:5], v[12:13]
	scratch_load_b128 v[163:166], off, off offset:464
	v_add_f64_e32 v[171:172], v[171:172], v[183:184]
	v_add_f64_e32 v[173:174], v[173:174], v[175:176]
	s_wait_loadcnt_dscnt 0x800
	v_mul_f64_e32 v[175:176], v[6:7], v[16:17]
	v_mul_f64_e32 v[16:17], v[8:9], v[16:17]
	v_fma_f64 v[179:180], v[4:5], v[10:11], v[179:180]
	v_fma_f64 v[183:184], v[2:3], v[10:11], -v[12:13]
	ds_load_b128 v[2:5], v1 offset:1296
	scratch_load_b128 v[10:13], off, off offset:480
	v_add_f64_e32 v[171:172], v[171:172], v[181:182]
	v_add_f64_e32 v[173:174], v[173:174], v[177:178]
	v_fma_f64 v[175:176], v[8:9], v[14:15], v[175:176]
	v_fma_f64 v[181:182], v[6:7], v[14:15], -v[16:17]
	ds_load_b128 v[6:9], v1 offset:1312
	s_wait_loadcnt_dscnt 0x801
	v_mul_f64_e32 v[177:178], v[2:3], v[20:21]
	v_mul_f64_e32 v[20:21], v[4:5], v[20:21]
	scratch_load_b128 v[14:17], off, off offset:496
	;; [unrolled: 18-line block ×16, first 2 shown]
	v_add_f64_e32 v[171:172], v[171:172], v[183:184]
	v_add_f64_e32 v[173:174], v[173:174], v[175:176]
	s_wait_loadcnt_dscnt 0x800
	v_mul_f64_e32 v[175:176], v[6:7], v[16:17]
	v_mul_f64_e32 v[16:17], v[8:9], v[16:17]
	v_fma_f64 v[179:180], v[4:5], v[10:11], v[179:180]
	v_fma_f64 v[183:184], v[2:3], v[10:11], -v[12:13]
	ds_load_b128 v[2:5], v1 offset:1776
	scratch_load_b128 v[10:13], off, off offset:960
	v_add_f64_e32 v[171:172], v[171:172], v[181:182]
	v_add_f64_e32 v[173:174], v[173:174], v[177:178]
	v_fma_f64 v[175:176], v[8:9], v[14:15], v[175:176]
	v_fma_f64 v[14:15], v[6:7], v[14:15], -v[16:17]
	ds_load_b128 v[6:9], v1 offset:1792
	s_wait_loadcnt_dscnt 0x801
	v_mul_f64_e32 v[177:178], v[2:3], v[20:21]
	v_mul_f64_e32 v[20:21], v[4:5], v[20:21]
	v_add_f64_e32 v[16:17], v[171:172], v[183:184]
	v_add_f64_e32 v[171:172], v[173:174], v[179:180]
	s_wait_loadcnt_dscnt 0x700
	v_mul_f64_e32 v[173:174], v[6:7], v[24:25]
	v_mul_f64_e32 v[24:25], v[8:9], v[24:25]
	v_fma_f64 v[177:178], v[4:5], v[18:19], v[177:178]
	v_fma_f64 v[18:19], v[2:3], v[18:19], -v[20:21]
	ds_load_b128 v[2:5], v1 offset:1808
	v_add_f64_e32 v[14:15], v[16:17], v[14:15]
	v_add_f64_e32 v[16:17], v[171:172], v[175:176]
	v_fma_f64 v[171:172], v[8:9], v[22:23], v[173:174]
	v_fma_f64 v[22:23], v[6:7], v[22:23], -v[24:25]
	ds_load_b128 v[6:9], v1 offset:1824
	s_wait_loadcnt_dscnt 0x500
	v_mul_f64_e32 v[173:174], v[6:7], v[32:33]
	v_mul_f64_e32 v[32:33], v[8:9], v[32:33]
	v_add_f64_e32 v[18:19], v[14:15], v[18:19]
	v_add_f64_e32 v[24:25], v[16:17], v[177:178]
	scratch_load_b128 v[14:17], off, off offset:112
	v_mul_f64_e32 v[20:21], v[2:3], v[28:29]
	v_mul_f64_e32 v[28:29], v[4:5], v[28:29]
	v_add_f64_e32 v[18:19], v[18:19], v[22:23]
	v_add_f64_e32 v[22:23], v[24:25], v[171:172]
	s_delay_alu instid0(VALU_DEP_4) | instskip(NEXT) | instid1(VALU_DEP_4)
	v_fma_f64 v[20:21], v[4:5], v[26:27], v[20:21]
	v_fma_f64 v[26:27], v[2:3], v[26:27], -v[28:29]
	ds_load_b128 v[2:5], v1 offset:1840
	s_wait_loadcnt_dscnt 0x500
	v_mul_f64_e32 v[24:25], v[2:3], v[36:37]
	v_mul_f64_e32 v[28:29], v[4:5], v[36:37]
	v_fma_f64 v[36:37], v[8:9], v[30:31], v[173:174]
	v_fma_f64 v[30:31], v[6:7], v[30:31], -v[32:33]
	ds_load_b128 v[6:9], v1 offset:1856
	v_add_f64_e32 v[20:21], v[22:23], v[20:21]
	v_add_f64_e32 v[18:19], v[18:19], v[26:27]
	v_fma_f64 v[24:25], v[4:5], v[34:35], v[24:25]
	v_fma_f64 v[28:29], v[2:3], v[34:35], -v[28:29]
	ds_load_b128 v[2:5], v1 offset:1872
	s_wait_loadcnt_dscnt 0x401
	v_mul_f64_e32 v[22:23], v[6:7], v[169:170]
	v_mul_f64_e32 v[26:27], v[8:9], v[169:170]
	v_add_f64_e32 v[20:21], v[20:21], v[36:37]
	v_add_f64_e32 v[18:19], v[18:19], v[30:31]
	s_wait_loadcnt_dscnt 0x300
	v_mul_f64_e32 v[30:31], v[2:3], v[40:41]
	v_mul_f64_e32 v[32:33], v[4:5], v[40:41]
	v_fma_f64 v[22:23], v[8:9], v[167:168], v[22:23]
	v_fma_f64 v[26:27], v[6:7], v[167:168], -v[26:27]
	ds_load_b128 v[6:9], v1 offset:1888
	v_add_f64_e32 v[20:21], v[20:21], v[24:25]
	v_add_f64_e32 v[18:19], v[18:19], v[28:29]
	v_fma_f64 v[30:31], v[4:5], v[38:39], v[30:31]
	v_fma_f64 v[32:33], v[2:3], v[38:39], -v[32:33]
	ds_load_b128 v[2:5], v1 offset:1904
	s_wait_loadcnt_dscnt 0x201
	v_mul_f64_e32 v[24:25], v[6:7], v[165:166]
	v_mul_f64_e32 v[28:29], v[8:9], v[165:166]
	v_add_f64_e32 v[20:21], v[20:21], v[22:23]
	v_add_f64_e32 v[18:19], v[18:19], v[26:27]
	s_wait_loadcnt_dscnt 0x100
	v_mul_f64_e32 v[22:23], v[2:3], v[12:13]
	v_mul_f64_e32 v[12:13], v[4:5], v[12:13]
	v_fma_f64 v[8:9], v[8:9], v[163:164], v[24:25]
	v_fma_f64 v[6:7], v[6:7], v[163:164], -v[28:29]
	v_add_f64_e32 v[20:21], v[20:21], v[30:31]
	v_add_f64_e32 v[18:19], v[18:19], v[32:33]
	v_fma_f64 v[4:5], v[4:5], v[10:11], v[22:23]
	v_fma_f64 v[2:3], v[2:3], v[10:11], -v[12:13]
	s_delay_alu instid0(VALU_DEP_4) | instskip(NEXT) | instid1(VALU_DEP_4)
	v_add_f64_e32 v[8:9], v[20:21], v[8:9]
	v_add_f64_e32 v[6:7], v[18:19], v[6:7]
	s_delay_alu instid0(VALU_DEP_2) | instskip(NEXT) | instid1(VALU_DEP_2)
	v_add_f64_e32 v[4:5], v[8:9], v[4:5]
	v_add_f64_e32 v[2:3], v[6:7], v[2:3]
	s_wait_loadcnt 0x0
	s_delay_alu instid0(VALU_DEP_2) | instskip(NEXT) | instid1(VALU_DEP_2)
	v_add_f64_e64 v[4:5], v[16:17], -v[4:5]
	v_add_f64_e64 v[2:3], v[14:15], -v[2:3]
	scratch_store_b128 off, v[2:5], off offset:112
	v_cmpx_lt_u32_e32 5, v0
	s_cbranch_execz .LBB123_363
; %bb.362:
	scratch_load_b128 v[5:8], off, s68
	v_dual_mov_b32 v2, v1 :: v_dual_mov_b32 v3, v1
	v_mov_b32_e32 v4, v1
	scratch_store_b128 off, v[1:4], off offset:96
	s_wait_loadcnt 0x0
	ds_store_b128 v162, v[5:8]
.LBB123_363:
	s_wait_alu 0xfffe
	s_or_b32 exec_lo, exec_lo, s0
	s_wait_storecnt_dscnt 0x0
	s_barrier_signal -1
	s_barrier_wait -1
	global_inv scope:SCOPE_SE
	s_clause 0x7
	scratch_load_b128 v[2:5], off, off offset:112
	scratch_load_b128 v[6:9], off, off offset:128
	;; [unrolled: 1-line block ×8, first 2 shown]
	ds_load_b128 v[38:41], v1 offset:1056
	ds_load_b128 v[163:166], v1 offset:1072
	s_clause 0x1
	scratch_load_b128 v[34:37], off, off offset:240
	scratch_load_b128 v[167:170], off, off offset:256
	s_mov_b32 s0, exec_lo
	s_wait_loadcnt_dscnt 0x901
	v_mul_f64_e32 v[171:172], v[40:41], v[4:5]
	v_mul_f64_e32 v[4:5], v[38:39], v[4:5]
	s_wait_loadcnt_dscnt 0x800
	v_mul_f64_e32 v[173:174], v[163:164], v[8:9]
	v_mul_f64_e32 v[8:9], v[165:166], v[8:9]
	s_delay_alu instid0(VALU_DEP_4) | instskip(NEXT) | instid1(VALU_DEP_4)
	v_fma_f64 v[171:172], v[38:39], v[2:3], -v[171:172]
	v_fma_f64 v[175:176], v[40:41], v[2:3], v[4:5]
	ds_load_b128 v[2:5], v1 offset:1088
	scratch_load_b128 v[38:41], off, off offset:272
	v_fma_f64 v[173:174], v[165:166], v[6:7], v[173:174]
	v_fma_f64 v[179:180], v[163:164], v[6:7], -v[8:9]
	ds_load_b128 v[6:9], v1 offset:1104
	scratch_load_b128 v[163:166], off, off offset:288
	s_wait_loadcnt_dscnt 0x901
	v_mul_f64_e32 v[177:178], v[2:3], v[12:13]
	v_mul_f64_e32 v[12:13], v[4:5], v[12:13]
	s_wait_loadcnt_dscnt 0x800
	v_mul_f64_e32 v[181:182], v[6:7], v[16:17]
	v_mul_f64_e32 v[16:17], v[8:9], v[16:17]
	v_add_f64_e32 v[171:172], 0, v[171:172]
	v_add_f64_e32 v[175:176], 0, v[175:176]
	v_fma_f64 v[177:178], v[4:5], v[10:11], v[177:178]
	v_fma_f64 v[183:184], v[2:3], v[10:11], -v[12:13]
	ds_load_b128 v[2:5], v1 offset:1120
	scratch_load_b128 v[10:13], off, off offset:304
	v_add_f64_e32 v[171:172], v[171:172], v[179:180]
	v_add_f64_e32 v[173:174], v[175:176], v[173:174]
	v_fma_f64 v[179:180], v[8:9], v[14:15], v[181:182]
	v_fma_f64 v[181:182], v[6:7], v[14:15], -v[16:17]
	ds_load_b128 v[6:9], v1 offset:1136
	scratch_load_b128 v[14:17], off, off offset:320
	s_wait_loadcnt_dscnt 0x901
	v_mul_f64_e32 v[175:176], v[2:3], v[20:21]
	v_mul_f64_e32 v[20:21], v[4:5], v[20:21]
	v_add_f64_e32 v[171:172], v[171:172], v[183:184]
	v_add_f64_e32 v[173:174], v[173:174], v[177:178]
	s_wait_loadcnt_dscnt 0x800
	v_mul_f64_e32 v[177:178], v[6:7], v[24:25]
	v_mul_f64_e32 v[24:25], v[8:9], v[24:25]
	v_fma_f64 v[175:176], v[4:5], v[18:19], v[175:176]
	v_fma_f64 v[183:184], v[2:3], v[18:19], -v[20:21]
	ds_load_b128 v[2:5], v1 offset:1152
	scratch_load_b128 v[18:21], off, off offset:336
	v_add_f64_e32 v[171:172], v[171:172], v[181:182]
	v_add_f64_e32 v[173:174], v[173:174], v[179:180]
	v_fma_f64 v[177:178], v[8:9], v[22:23], v[177:178]
	v_fma_f64 v[181:182], v[6:7], v[22:23], -v[24:25]
	ds_load_b128 v[6:9], v1 offset:1168
	s_wait_loadcnt_dscnt 0x801
	v_mul_f64_e32 v[179:180], v[2:3], v[28:29]
	v_mul_f64_e32 v[28:29], v[4:5], v[28:29]
	scratch_load_b128 v[22:25], off, off offset:352
	v_add_f64_e32 v[171:172], v[171:172], v[183:184]
	v_add_f64_e32 v[173:174], v[173:174], v[175:176]
	s_wait_loadcnt_dscnt 0x800
	v_mul_f64_e32 v[175:176], v[6:7], v[32:33]
	v_mul_f64_e32 v[32:33], v[8:9], v[32:33]
	v_fma_f64 v[179:180], v[4:5], v[26:27], v[179:180]
	v_fma_f64 v[183:184], v[2:3], v[26:27], -v[28:29]
	ds_load_b128 v[2:5], v1 offset:1184
	scratch_load_b128 v[26:29], off, off offset:368
	v_add_f64_e32 v[171:172], v[171:172], v[181:182]
	v_add_f64_e32 v[173:174], v[173:174], v[177:178]
	v_fma_f64 v[175:176], v[8:9], v[30:31], v[175:176]
	v_fma_f64 v[181:182], v[6:7], v[30:31], -v[32:33]
	ds_load_b128 v[6:9], v1 offset:1200
	s_wait_loadcnt_dscnt 0x801
	v_mul_f64_e32 v[177:178], v[2:3], v[36:37]
	v_mul_f64_e32 v[36:37], v[4:5], v[36:37]
	scratch_load_b128 v[30:33], off, off offset:384
	v_add_f64_e32 v[171:172], v[171:172], v[183:184]
	v_add_f64_e32 v[173:174], v[173:174], v[179:180]
	s_wait_loadcnt_dscnt 0x800
	v_mul_f64_e32 v[179:180], v[6:7], v[169:170]
	v_mul_f64_e32 v[169:170], v[8:9], v[169:170]
	v_fma_f64 v[177:178], v[4:5], v[34:35], v[177:178]
	v_fma_f64 v[183:184], v[2:3], v[34:35], -v[36:37]
	ds_load_b128 v[2:5], v1 offset:1216
	scratch_load_b128 v[34:37], off, off offset:400
	v_add_f64_e32 v[171:172], v[171:172], v[181:182]
	v_add_f64_e32 v[173:174], v[173:174], v[175:176]
	v_fma_f64 v[179:180], v[8:9], v[167:168], v[179:180]
	v_fma_f64 v[181:182], v[6:7], v[167:168], -v[169:170]
	ds_load_b128 v[6:9], v1 offset:1232
	scratch_load_b128 v[167:170], off, off offset:416
	s_wait_loadcnt_dscnt 0x901
	v_mul_f64_e32 v[175:176], v[2:3], v[40:41]
	v_mul_f64_e32 v[40:41], v[4:5], v[40:41]
	v_add_f64_e32 v[171:172], v[171:172], v[183:184]
	v_add_f64_e32 v[173:174], v[173:174], v[177:178]
	s_wait_loadcnt_dscnt 0x800
	v_mul_f64_e32 v[177:178], v[6:7], v[165:166]
	v_mul_f64_e32 v[165:166], v[8:9], v[165:166]
	v_fma_f64 v[175:176], v[4:5], v[38:39], v[175:176]
	v_fma_f64 v[183:184], v[2:3], v[38:39], -v[40:41]
	ds_load_b128 v[2:5], v1 offset:1248
	scratch_load_b128 v[38:41], off, off offset:432
	v_add_f64_e32 v[171:172], v[171:172], v[181:182]
	v_add_f64_e32 v[173:174], v[173:174], v[179:180]
	v_fma_f64 v[177:178], v[8:9], v[163:164], v[177:178]
	v_fma_f64 v[181:182], v[6:7], v[163:164], -v[165:166]
	ds_load_b128 v[6:9], v1 offset:1264
	s_wait_loadcnt_dscnt 0x801
	v_mul_f64_e32 v[179:180], v[2:3], v[12:13]
	v_mul_f64_e32 v[12:13], v[4:5], v[12:13]
	scratch_load_b128 v[163:166], off, off offset:448
	v_add_f64_e32 v[171:172], v[171:172], v[183:184]
	v_add_f64_e32 v[173:174], v[173:174], v[175:176]
	s_wait_loadcnt_dscnt 0x800
	v_mul_f64_e32 v[175:176], v[6:7], v[16:17]
	v_mul_f64_e32 v[16:17], v[8:9], v[16:17]
	v_fma_f64 v[179:180], v[4:5], v[10:11], v[179:180]
	v_fma_f64 v[183:184], v[2:3], v[10:11], -v[12:13]
	ds_load_b128 v[2:5], v1 offset:1280
	scratch_load_b128 v[10:13], off, off offset:464
	v_add_f64_e32 v[171:172], v[171:172], v[181:182]
	v_add_f64_e32 v[173:174], v[173:174], v[177:178]
	v_fma_f64 v[175:176], v[8:9], v[14:15], v[175:176]
	v_fma_f64 v[181:182], v[6:7], v[14:15], -v[16:17]
	ds_load_b128 v[6:9], v1 offset:1296
	s_wait_loadcnt_dscnt 0x801
	v_mul_f64_e32 v[177:178], v[2:3], v[20:21]
	v_mul_f64_e32 v[20:21], v[4:5], v[20:21]
	scratch_load_b128 v[14:17], off, off offset:480
	;; [unrolled: 18-line block ×17, first 2 shown]
	v_add_f64_e32 v[171:172], v[171:172], v[183:184]
	v_add_f64_e32 v[173:174], v[173:174], v[179:180]
	s_wait_loadcnt_dscnt 0x800
	v_mul_f64_e32 v[179:180], v[6:7], v[24:25]
	v_mul_f64_e32 v[24:25], v[8:9], v[24:25]
	v_fma_f64 v[177:178], v[4:5], v[18:19], v[177:178]
	v_fma_f64 v[18:19], v[2:3], v[18:19], -v[20:21]
	ds_load_b128 v[2:5], v1 offset:1792
	v_add_f64_e32 v[20:21], v[171:172], v[181:182]
	v_add_f64_e32 v[171:172], v[173:174], v[175:176]
	v_fma_f64 v[175:176], v[8:9], v[22:23], v[179:180]
	v_fma_f64 v[22:23], v[6:7], v[22:23], -v[24:25]
	ds_load_b128 v[6:9], v1 offset:1808
	s_wait_loadcnt_dscnt 0x701
	v_mul_f64_e32 v[173:174], v[2:3], v[28:29]
	v_mul_f64_e32 v[28:29], v[4:5], v[28:29]
	v_add_f64_e32 v[18:19], v[20:21], v[18:19]
	v_add_f64_e32 v[20:21], v[171:172], v[177:178]
	s_delay_alu instid0(VALU_DEP_4) | instskip(NEXT) | instid1(VALU_DEP_4)
	v_fma_f64 v[171:172], v[4:5], v[26:27], v[173:174]
	v_fma_f64 v[26:27], v[2:3], v[26:27], -v[28:29]
	ds_load_b128 v[2:5], v1 offset:1824
	v_add_f64_e32 v[22:23], v[18:19], v[22:23]
	v_add_f64_e32 v[28:29], v[20:21], v[175:176]
	scratch_load_b128 v[18:21], off, off offset:96
	s_wait_loadcnt_dscnt 0x701
	v_mul_f64_e32 v[24:25], v[6:7], v[32:33]
	v_mul_f64_e32 v[32:33], v[8:9], v[32:33]
	v_add_f64_e32 v[22:23], v[22:23], v[26:27]
	v_add_f64_e32 v[26:27], v[28:29], v[171:172]
	s_delay_alu instid0(VALU_DEP_4) | instskip(NEXT) | instid1(VALU_DEP_4)
	v_fma_f64 v[24:25], v[8:9], v[30:31], v[24:25]
	v_fma_f64 v[30:31], v[6:7], v[30:31], -v[32:33]
	ds_load_b128 v[6:9], v1 offset:1840
	s_wait_loadcnt_dscnt 0x601
	v_mul_f64_e32 v[173:174], v[2:3], v[36:37]
	v_mul_f64_e32 v[36:37], v[4:5], v[36:37]
	s_wait_loadcnt_dscnt 0x500
	v_mul_f64_e32 v[28:29], v[6:7], v[169:170]
	v_mul_f64_e32 v[32:33], v[8:9], v[169:170]
	v_add_f64_e32 v[24:25], v[26:27], v[24:25]
	v_add_f64_e32 v[22:23], v[22:23], v[30:31]
	v_fma_f64 v[169:170], v[4:5], v[34:35], v[173:174]
	v_fma_f64 v[34:35], v[2:3], v[34:35], -v[36:37]
	ds_load_b128 v[2:5], v1 offset:1856
	v_fma_f64 v[28:29], v[8:9], v[167:168], v[28:29]
	v_fma_f64 v[32:33], v[6:7], v[167:168], -v[32:33]
	ds_load_b128 v[6:9], v1 offset:1872
	s_wait_loadcnt_dscnt 0x401
	v_mul_f64_e32 v[26:27], v[2:3], v[40:41]
	v_mul_f64_e32 v[30:31], v[4:5], v[40:41]
	v_add_f64_e32 v[24:25], v[24:25], v[169:170]
	v_add_f64_e32 v[22:23], v[22:23], v[34:35]
	s_wait_loadcnt_dscnt 0x300
	v_mul_f64_e32 v[34:35], v[6:7], v[165:166]
	v_mul_f64_e32 v[36:37], v[8:9], v[165:166]
	v_fma_f64 v[26:27], v[4:5], v[38:39], v[26:27]
	v_fma_f64 v[30:31], v[2:3], v[38:39], -v[30:31]
	ds_load_b128 v[2:5], v1 offset:1888
	v_add_f64_e32 v[24:25], v[24:25], v[28:29]
	v_add_f64_e32 v[22:23], v[22:23], v[32:33]
	v_fma_f64 v[32:33], v[8:9], v[163:164], v[34:35]
	v_fma_f64 v[34:35], v[6:7], v[163:164], -v[36:37]
	ds_load_b128 v[6:9], v1 offset:1904
	s_wait_loadcnt_dscnt 0x201
	v_mul_f64_e32 v[28:29], v[2:3], v[12:13]
	v_mul_f64_e32 v[12:13], v[4:5], v[12:13]
	v_add_f64_e32 v[24:25], v[24:25], v[26:27]
	v_add_f64_e32 v[22:23], v[22:23], v[30:31]
	s_wait_loadcnt_dscnt 0x100
	v_mul_f64_e32 v[26:27], v[6:7], v[16:17]
	v_mul_f64_e32 v[16:17], v[8:9], v[16:17]
	v_fma_f64 v[4:5], v[4:5], v[10:11], v[28:29]
	v_fma_f64 v[1:2], v[2:3], v[10:11], -v[12:13]
	v_add_f64_e32 v[12:13], v[24:25], v[32:33]
	v_add_f64_e32 v[10:11], v[22:23], v[34:35]
	v_fma_f64 v[8:9], v[8:9], v[14:15], v[26:27]
	v_fma_f64 v[6:7], v[6:7], v[14:15], -v[16:17]
	s_delay_alu instid0(VALU_DEP_4) | instskip(NEXT) | instid1(VALU_DEP_4)
	v_add_f64_e32 v[3:4], v[12:13], v[4:5]
	v_add_f64_e32 v[1:2], v[10:11], v[1:2]
	s_delay_alu instid0(VALU_DEP_2) | instskip(NEXT) | instid1(VALU_DEP_2)
	v_add_f64_e32 v[3:4], v[3:4], v[8:9]
	v_add_f64_e32 v[1:2], v[1:2], v[6:7]
	s_wait_loadcnt 0x0
	s_delay_alu instid0(VALU_DEP_2) | instskip(NEXT) | instid1(VALU_DEP_2)
	v_add_f64_e64 v[3:4], v[20:21], -v[3:4]
	v_add_f64_e64 v[1:2], v[18:19], -v[1:2]
	scratch_store_b128 off, v[1:4], off offset:96
	v_cmpx_lt_u32_e32 4, v0
	s_cbranch_execz .LBB123_365
; %bb.364:
	scratch_load_b128 v[1:4], off, s4
	v_mov_b32_e32 v5, 0
	s_delay_alu instid0(VALU_DEP_1)
	v_dual_mov_b32 v6, v5 :: v_dual_mov_b32 v7, v5
	v_mov_b32_e32 v8, v5
	scratch_store_b128 off, v[5:8], off offset:80
	s_wait_loadcnt 0x0
	ds_store_b128 v162, v[1:4]
.LBB123_365:
	s_wait_alu 0xfffe
	s_or_b32 exec_lo, exec_lo, s0
	s_wait_storecnt_dscnt 0x0
	s_barrier_signal -1
	s_barrier_wait -1
	global_inv scope:SCOPE_SE
	s_clause 0x7
	scratch_load_b128 v[2:5], off, off offset:96
	scratch_load_b128 v[6:9], off, off offset:112
	;; [unrolled: 1-line block ×8, first 2 shown]
	v_mov_b32_e32 v1, 0
	s_clause 0x1
	scratch_load_b128 v[34:37], off, off offset:224
	scratch_load_b128 v[167:170], off, off offset:240
	s_mov_b32 s0, exec_lo
	ds_load_b128 v[38:41], v1 offset:1040
	ds_load_b128 v[163:166], v1 offset:1056
	s_wait_loadcnt_dscnt 0x901
	v_mul_f64_e32 v[171:172], v[40:41], v[4:5]
	v_mul_f64_e32 v[4:5], v[38:39], v[4:5]
	s_wait_loadcnt_dscnt 0x800
	v_mul_f64_e32 v[173:174], v[163:164], v[8:9]
	v_mul_f64_e32 v[8:9], v[165:166], v[8:9]
	s_delay_alu instid0(VALU_DEP_4) | instskip(NEXT) | instid1(VALU_DEP_4)
	v_fma_f64 v[171:172], v[38:39], v[2:3], -v[171:172]
	v_fma_f64 v[175:176], v[40:41], v[2:3], v[4:5]
	ds_load_b128 v[2:5], v1 offset:1072
	scratch_load_b128 v[38:41], off, off offset:256
	v_fma_f64 v[173:174], v[165:166], v[6:7], v[173:174]
	v_fma_f64 v[179:180], v[163:164], v[6:7], -v[8:9]
	ds_load_b128 v[6:9], v1 offset:1088
	scratch_load_b128 v[163:166], off, off offset:272
	s_wait_loadcnt_dscnt 0x901
	v_mul_f64_e32 v[177:178], v[2:3], v[12:13]
	v_mul_f64_e32 v[12:13], v[4:5], v[12:13]
	s_wait_loadcnt_dscnt 0x800
	v_mul_f64_e32 v[181:182], v[6:7], v[16:17]
	v_mul_f64_e32 v[16:17], v[8:9], v[16:17]
	v_add_f64_e32 v[171:172], 0, v[171:172]
	v_add_f64_e32 v[175:176], 0, v[175:176]
	v_fma_f64 v[177:178], v[4:5], v[10:11], v[177:178]
	v_fma_f64 v[183:184], v[2:3], v[10:11], -v[12:13]
	ds_load_b128 v[2:5], v1 offset:1104
	scratch_load_b128 v[10:13], off, off offset:288
	v_add_f64_e32 v[171:172], v[171:172], v[179:180]
	v_add_f64_e32 v[173:174], v[175:176], v[173:174]
	v_fma_f64 v[179:180], v[8:9], v[14:15], v[181:182]
	v_fma_f64 v[181:182], v[6:7], v[14:15], -v[16:17]
	ds_load_b128 v[6:9], v1 offset:1120
	scratch_load_b128 v[14:17], off, off offset:304
	s_wait_loadcnt_dscnt 0x901
	v_mul_f64_e32 v[175:176], v[2:3], v[20:21]
	v_mul_f64_e32 v[20:21], v[4:5], v[20:21]
	v_add_f64_e32 v[171:172], v[171:172], v[183:184]
	v_add_f64_e32 v[173:174], v[173:174], v[177:178]
	s_wait_loadcnt_dscnt 0x800
	v_mul_f64_e32 v[177:178], v[6:7], v[24:25]
	v_mul_f64_e32 v[24:25], v[8:9], v[24:25]
	v_fma_f64 v[175:176], v[4:5], v[18:19], v[175:176]
	v_fma_f64 v[183:184], v[2:3], v[18:19], -v[20:21]
	ds_load_b128 v[2:5], v1 offset:1136
	scratch_load_b128 v[18:21], off, off offset:320
	v_add_f64_e32 v[171:172], v[171:172], v[181:182]
	v_add_f64_e32 v[173:174], v[173:174], v[179:180]
	v_fma_f64 v[177:178], v[8:9], v[22:23], v[177:178]
	v_fma_f64 v[181:182], v[6:7], v[22:23], -v[24:25]
	ds_load_b128 v[6:9], v1 offset:1152
	s_wait_loadcnt_dscnt 0x801
	v_mul_f64_e32 v[179:180], v[2:3], v[28:29]
	v_mul_f64_e32 v[28:29], v[4:5], v[28:29]
	scratch_load_b128 v[22:25], off, off offset:336
	v_add_f64_e32 v[171:172], v[171:172], v[183:184]
	v_add_f64_e32 v[173:174], v[173:174], v[175:176]
	s_wait_loadcnt_dscnt 0x800
	v_mul_f64_e32 v[175:176], v[6:7], v[32:33]
	v_mul_f64_e32 v[32:33], v[8:9], v[32:33]
	v_fma_f64 v[179:180], v[4:5], v[26:27], v[179:180]
	v_fma_f64 v[183:184], v[2:3], v[26:27], -v[28:29]
	ds_load_b128 v[2:5], v1 offset:1168
	scratch_load_b128 v[26:29], off, off offset:352
	v_add_f64_e32 v[171:172], v[171:172], v[181:182]
	v_add_f64_e32 v[173:174], v[173:174], v[177:178]
	v_fma_f64 v[175:176], v[8:9], v[30:31], v[175:176]
	v_fma_f64 v[181:182], v[6:7], v[30:31], -v[32:33]
	ds_load_b128 v[6:9], v1 offset:1184
	s_wait_loadcnt_dscnt 0x801
	v_mul_f64_e32 v[177:178], v[2:3], v[36:37]
	v_mul_f64_e32 v[36:37], v[4:5], v[36:37]
	scratch_load_b128 v[30:33], off, off offset:368
	v_add_f64_e32 v[171:172], v[171:172], v[183:184]
	v_add_f64_e32 v[173:174], v[173:174], v[179:180]
	s_wait_loadcnt_dscnt 0x800
	v_mul_f64_e32 v[179:180], v[6:7], v[169:170]
	v_mul_f64_e32 v[169:170], v[8:9], v[169:170]
	v_fma_f64 v[177:178], v[4:5], v[34:35], v[177:178]
	v_fma_f64 v[183:184], v[2:3], v[34:35], -v[36:37]
	ds_load_b128 v[2:5], v1 offset:1200
	scratch_load_b128 v[34:37], off, off offset:384
	v_add_f64_e32 v[171:172], v[171:172], v[181:182]
	v_add_f64_e32 v[173:174], v[173:174], v[175:176]
	v_fma_f64 v[179:180], v[8:9], v[167:168], v[179:180]
	v_fma_f64 v[181:182], v[6:7], v[167:168], -v[169:170]
	ds_load_b128 v[6:9], v1 offset:1216
	scratch_load_b128 v[167:170], off, off offset:400
	s_wait_loadcnt_dscnt 0x901
	v_mul_f64_e32 v[175:176], v[2:3], v[40:41]
	v_mul_f64_e32 v[40:41], v[4:5], v[40:41]
	v_add_f64_e32 v[171:172], v[171:172], v[183:184]
	v_add_f64_e32 v[173:174], v[173:174], v[177:178]
	s_wait_loadcnt_dscnt 0x800
	v_mul_f64_e32 v[177:178], v[6:7], v[165:166]
	v_mul_f64_e32 v[165:166], v[8:9], v[165:166]
	v_fma_f64 v[175:176], v[4:5], v[38:39], v[175:176]
	v_fma_f64 v[183:184], v[2:3], v[38:39], -v[40:41]
	ds_load_b128 v[2:5], v1 offset:1232
	scratch_load_b128 v[38:41], off, off offset:416
	v_add_f64_e32 v[171:172], v[171:172], v[181:182]
	v_add_f64_e32 v[173:174], v[173:174], v[179:180]
	v_fma_f64 v[177:178], v[8:9], v[163:164], v[177:178]
	v_fma_f64 v[181:182], v[6:7], v[163:164], -v[165:166]
	ds_load_b128 v[6:9], v1 offset:1248
	s_wait_loadcnt_dscnt 0x801
	v_mul_f64_e32 v[179:180], v[2:3], v[12:13]
	v_mul_f64_e32 v[12:13], v[4:5], v[12:13]
	scratch_load_b128 v[163:166], off, off offset:432
	v_add_f64_e32 v[171:172], v[171:172], v[183:184]
	v_add_f64_e32 v[173:174], v[173:174], v[175:176]
	s_wait_loadcnt_dscnt 0x800
	v_mul_f64_e32 v[175:176], v[6:7], v[16:17]
	v_mul_f64_e32 v[16:17], v[8:9], v[16:17]
	v_fma_f64 v[179:180], v[4:5], v[10:11], v[179:180]
	v_fma_f64 v[183:184], v[2:3], v[10:11], -v[12:13]
	ds_load_b128 v[2:5], v1 offset:1264
	scratch_load_b128 v[10:13], off, off offset:448
	v_add_f64_e32 v[171:172], v[171:172], v[181:182]
	v_add_f64_e32 v[173:174], v[173:174], v[177:178]
	v_fma_f64 v[175:176], v[8:9], v[14:15], v[175:176]
	v_fma_f64 v[181:182], v[6:7], v[14:15], -v[16:17]
	ds_load_b128 v[6:9], v1 offset:1280
	s_wait_loadcnt_dscnt 0x801
	v_mul_f64_e32 v[177:178], v[2:3], v[20:21]
	v_mul_f64_e32 v[20:21], v[4:5], v[20:21]
	scratch_load_b128 v[14:17], off, off offset:464
	;; [unrolled: 18-line block ×17, first 2 shown]
	v_add_f64_e32 v[171:172], v[171:172], v[183:184]
	v_add_f64_e32 v[173:174], v[173:174], v[179:180]
	s_wait_loadcnt_dscnt 0x800
	v_mul_f64_e32 v[179:180], v[6:7], v[24:25]
	v_mul_f64_e32 v[24:25], v[8:9], v[24:25]
	v_fma_f64 v[177:178], v[4:5], v[18:19], v[177:178]
	v_fma_f64 v[183:184], v[2:3], v[18:19], -v[20:21]
	ds_load_b128 v[2:5], v1 offset:1776
	scratch_load_b128 v[18:21], off, off offset:960
	v_add_f64_e32 v[171:172], v[171:172], v[181:182]
	v_add_f64_e32 v[173:174], v[173:174], v[175:176]
	v_fma_f64 v[179:180], v[8:9], v[22:23], v[179:180]
	v_fma_f64 v[22:23], v[6:7], v[22:23], -v[24:25]
	ds_load_b128 v[6:9], v1 offset:1792
	s_wait_loadcnt_dscnt 0x801
	v_mul_f64_e32 v[175:176], v[2:3], v[28:29]
	v_mul_f64_e32 v[28:29], v[4:5], v[28:29]
	v_add_f64_e32 v[24:25], v[171:172], v[183:184]
	v_add_f64_e32 v[171:172], v[173:174], v[177:178]
	s_wait_loadcnt_dscnt 0x700
	v_mul_f64_e32 v[173:174], v[6:7], v[32:33]
	v_mul_f64_e32 v[32:33], v[8:9], v[32:33]
	v_fma_f64 v[175:176], v[4:5], v[26:27], v[175:176]
	v_fma_f64 v[26:27], v[2:3], v[26:27], -v[28:29]
	ds_load_b128 v[2:5], v1 offset:1808
	v_add_f64_e32 v[22:23], v[24:25], v[22:23]
	v_add_f64_e32 v[24:25], v[171:172], v[179:180]
	v_fma_f64 v[171:172], v[8:9], v[30:31], v[173:174]
	v_fma_f64 v[30:31], v[6:7], v[30:31], -v[32:33]
	ds_load_b128 v[6:9], v1 offset:1824
	s_wait_loadcnt_dscnt 0x500
	v_mul_f64_e32 v[173:174], v[6:7], v[169:170]
	v_mul_f64_e32 v[169:170], v[8:9], v[169:170]
	v_add_f64_e32 v[26:27], v[22:23], v[26:27]
	v_add_f64_e32 v[32:33], v[24:25], v[175:176]
	scratch_load_b128 v[22:25], off, off offset:80
	v_mul_f64_e32 v[28:29], v[2:3], v[36:37]
	v_mul_f64_e32 v[36:37], v[4:5], v[36:37]
	v_add_f64_e32 v[26:27], v[26:27], v[30:31]
	v_add_f64_e32 v[30:31], v[32:33], v[171:172]
	s_delay_alu instid0(VALU_DEP_4) | instskip(NEXT) | instid1(VALU_DEP_4)
	v_fma_f64 v[28:29], v[4:5], v[34:35], v[28:29]
	v_fma_f64 v[34:35], v[2:3], v[34:35], -v[36:37]
	ds_load_b128 v[2:5], v1 offset:1840
	s_wait_loadcnt_dscnt 0x500
	v_mul_f64_e32 v[32:33], v[2:3], v[40:41]
	v_mul_f64_e32 v[36:37], v[4:5], v[40:41]
	v_fma_f64 v[40:41], v[8:9], v[167:168], v[173:174]
	v_fma_f64 v[167:168], v[6:7], v[167:168], -v[169:170]
	ds_load_b128 v[6:9], v1 offset:1856
	v_add_f64_e32 v[28:29], v[30:31], v[28:29]
	v_add_f64_e32 v[26:27], v[26:27], v[34:35]
	v_fma_f64 v[32:33], v[4:5], v[38:39], v[32:33]
	v_fma_f64 v[36:37], v[2:3], v[38:39], -v[36:37]
	ds_load_b128 v[2:5], v1 offset:1872
	s_wait_loadcnt_dscnt 0x401
	v_mul_f64_e32 v[30:31], v[6:7], v[165:166]
	v_mul_f64_e32 v[34:35], v[8:9], v[165:166]
	v_add_f64_e32 v[28:29], v[28:29], v[40:41]
	v_add_f64_e32 v[26:27], v[26:27], v[167:168]
	s_wait_loadcnt_dscnt 0x300
	v_mul_f64_e32 v[38:39], v[2:3], v[12:13]
	v_mul_f64_e32 v[12:13], v[4:5], v[12:13]
	v_fma_f64 v[30:31], v[8:9], v[163:164], v[30:31]
	v_fma_f64 v[34:35], v[6:7], v[163:164], -v[34:35]
	ds_load_b128 v[6:9], v1 offset:1888
	v_add_f64_e32 v[28:29], v[28:29], v[32:33]
	v_add_f64_e32 v[26:27], v[26:27], v[36:37]
	v_fma_f64 v[36:37], v[4:5], v[10:11], v[38:39]
	v_fma_f64 v[10:11], v[2:3], v[10:11], -v[12:13]
	ds_load_b128 v[2:5], v1 offset:1904
	s_wait_loadcnt_dscnt 0x201
	v_mul_f64_e32 v[32:33], v[6:7], v[16:17]
	v_mul_f64_e32 v[16:17], v[8:9], v[16:17]
	v_add_f64_e32 v[12:13], v[26:27], v[34:35]
	v_add_f64_e32 v[26:27], v[28:29], v[30:31]
	s_wait_loadcnt_dscnt 0x100
	v_mul_f64_e32 v[28:29], v[2:3], v[20:21]
	v_mul_f64_e32 v[20:21], v[4:5], v[20:21]
	v_fma_f64 v[8:9], v[8:9], v[14:15], v[32:33]
	v_fma_f64 v[6:7], v[6:7], v[14:15], -v[16:17]
	v_add_f64_e32 v[10:11], v[12:13], v[10:11]
	v_add_f64_e32 v[12:13], v[26:27], v[36:37]
	v_fma_f64 v[4:5], v[4:5], v[18:19], v[28:29]
	v_fma_f64 v[2:3], v[2:3], v[18:19], -v[20:21]
	s_delay_alu instid0(VALU_DEP_4) | instskip(NEXT) | instid1(VALU_DEP_4)
	v_add_f64_e32 v[6:7], v[10:11], v[6:7]
	v_add_f64_e32 v[8:9], v[12:13], v[8:9]
	s_delay_alu instid0(VALU_DEP_2) | instskip(NEXT) | instid1(VALU_DEP_2)
	v_add_f64_e32 v[2:3], v[6:7], v[2:3]
	v_add_f64_e32 v[4:5], v[8:9], v[4:5]
	s_wait_loadcnt 0x0
	s_delay_alu instid0(VALU_DEP_2) | instskip(NEXT) | instid1(VALU_DEP_2)
	v_add_f64_e64 v[2:3], v[22:23], -v[2:3]
	v_add_f64_e64 v[4:5], v[24:25], -v[4:5]
	scratch_store_b128 off, v[2:5], off offset:80
	v_cmpx_lt_u32_e32 3, v0
	s_cbranch_execz .LBB123_367
; %bb.366:
	scratch_load_b128 v[5:8], off, s10
	v_dual_mov_b32 v2, v1 :: v_dual_mov_b32 v3, v1
	v_mov_b32_e32 v4, v1
	scratch_store_b128 off, v[1:4], off offset:64
	s_wait_loadcnt 0x0
	ds_store_b128 v162, v[5:8]
.LBB123_367:
	s_wait_alu 0xfffe
	s_or_b32 exec_lo, exec_lo, s0
	s_wait_storecnt_dscnt 0x0
	s_barrier_signal -1
	s_barrier_wait -1
	global_inv scope:SCOPE_SE
	s_clause 0x7
	scratch_load_b128 v[2:5], off, off offset:80
	scratch_load_b128 v[6:9], off, off offset:96
	scratch_load_b128 v[10:13], off, off offset:112
	scratch_load_b128 v[14:17], off, off offset:128
	scratch_load_b128 v[18:21], off, off offset:144
	scratch_load_b128 v[22:25], off, off offset:160
	scratch_load_b128 v[26:29], off, off offset:176
	scratch_load_b128 v[30:33], off, off offset:192
	ds_load_b128 v[38:41], v1 offset:1024
	ds_load_b128 v[163:166], v1 offset:1040
	s_clause 0x1
	scratch_load_b128 v[34:37], off, off offset:208
	scratch_load_b128 v[167:170], off, off offset:224
	s_mov_b32 s0, exec_lo
	s_wait_loadcnt_dscnt 0x901
	v_mul_f64_e32 v[171:172], v[40:41], v[4:5]
	v_mul_f64_e32 v[4:5], v[38:39], v[4:5]
	s_wait_loadcnt_dscnt 0x800
	v_mul_f64_e32 v[173:174], v[163:164], v[8:9]
	v_mul_f64_e32 v[8:9], v[165:166], v[8:9]
	s_delay_alu instid0(VALU_DEP_4) | instskip(NEXT) | instid1(VALU_DEP_4)
	v_fma_f64 v[171:172], v[38:39], v[2:3], -v[171:172]
	v_fma_f64 v[175:176], v[40:41], v[2:3], v[4:5]
	ds_load_b128 v[2:5], v1 offset:1056
	scratch_load_b128 v[38:41], off, off offset:240
	v_fma_f64 v[173:174], v[165:166], v[6:7], v[173:174]
	v_fma_f64 v[179:180], v[163:164], v[6:7], -v[8:9]
	ds_load_b128 v[6:9], v1 offset:1072
	scratch_load_b128 v[163:166], off, off offset:256
	s_wait_loadcnt_dscnt 0x901
	v_mul_f64_e32 v[177:178], v[2:3], v[12:13]
	v_mul_f64_e32 v[12:13], v[4:5], v[12:13]
	s_wait_loadcnt_dscnt 0x800
	v_mul_f64_e32 v[181:182], v[6:7], v[16:17]
	v_mul_f64_e32 v[16:17], v[8:9], v[16:17]
	v_add_f64_e32 v[171:172], 0, v[171:172]
	v_add_f64_e32 v[175:176], 0, v[175:176]
	v_fma_f64 v[177:178], v[4:5], v[10:11], v[177:178]
	v_fma_f64 v[183:184], v[2:3], v[10:11], -v[12:13]
	ds_load_b128 v[2:5], v1 offset:1088
	scratch_load_b128 v[10:13], off, off offset:272
	v_add_f64_e32 v[171:172], v[171:172], v[179:180]
	v_add_f64_e32 v[173:174], v[175:176], v[173:174]
	v_fma_f64 v[179:180], v[8:9], v[14:15], v[181:182]
	v_fma_f64 v[181:182], v[6:7], v[14:15], -v[16:17]
	ds_load_b128 v[6:9], v1 offset:1104
	scratch_load_b128 v[14:17], off, off offset:288
	s_wait_loadcnt_dscnt 0x901
	v_mul_f64_e32 v[175:176], v[2:3], v[20:21]
	v_mul_f64_e32 v[20:21], v[4:5], v[20:21]
	v_add_f64_e32 v[171:172], v[171:172], v[183:184]
	v_add_f64_e32 v[173:174], v[173:174], v[177:178]
	s_wait_loadcnt_dscnt 0x800
	v_mul_f64_e32 v[177:178], v[6:7], v[24:25]
	v_mul_f64_e32 v[24:25], v[8:9], v[24:25]
	v_fma_f64 v[175:176], v[4:5], v[18:19], v[175:176]
	v_fma_f64 v[183:184], v[2:3], v[18:19], -v[20:21]
	ds_load_b128 v[2:5], v1 offset:1120
	scratch_load_b128 v[18:21], off, off offset:304
	v_add_f64_e32 v[171:172], v[171:172], v[181:182]
	v_add_f64_e32 v[173:174], v[173:174], v[179:180]
	v_fma_f64 v[177:178], v[8:9], v[22:23], v[177:178]
	v_fma_f64 v[181:182], v[6:7], v[22:23], -v[24:25]
	ds_load_b128 v[6:9], v1 offset:1136
	s_wait_loadcnt_dscnt 0x801
	v_mul_f64_e32 v[179:180], v[2:3], v[28:29]
	v_mul_f64_e32 v[28:29], v[4:5], v[28:29]
	scratch_load_b128 v[22:25], off, off offset:320
	v_add_f64_e32 v[171:172], v[171:172], v[183:184]
	v_add_f64_e32 v[173:174], v[173:174], v[175:176]
	s_wait_loadcnt_dscnt 0x800
	v_mul_f64_e32 v[175:176], v[6:7], v[32:33]
	v_mul_f64_e32 v[32:33], v[8:9], v[32:33]
	v_fma_f64 v[179:180], v[4:5], v[26:27], v[179:180]
	v_fma_f64 v[183:184], v[2:3], v[26:27], -v[28:29]
	ds_load_b128 v[2:5], v1 offset:1152
	scratch_load_b128 v[26:29], off, off offset:336
	v_add_f64_e32 v[171:172], v[171:172], v[181:182]
	v_add_f64_e32 v[173:174], v[173:174], v[177:178]
	v_fma_f64 v[175:176], v[8:9], v[30:31], v[175:176]
	v_fma_f64 v[181:182], v[6:7], v[30:31], -v[32:33]
	ds_load_b128 v[6:9], v1 offset:1168
	s_wait_loadcnt_dscnt 0x801
	v_mul_f64_e32 v[177:178], v[2:3], v[36:37]
	v_mul_f64_e32 v[36:37], v[4:5], v[36:37]
	scratch_load_b128 v[30:33], off, off offset:352
	v_add_f64_e32 v[171:172], v[171:172], v[183:184]
	v_add_f64_e32 v[173:174], v[173:174], v[179:180]
	s_wait_loadcnt_dscnt 0x800
	v_mul_f64_e32 v[179:180], v[6:7], v[169:170]
	v_mul_f64_e32 v[169:170], v[8:9], v[169:170]
	v_fma_f64 v[177:178], v[4:5], v[34:35], v[177:178]
	v_fma_f64 v[183:184], v[2:3], v[34:35], -v[36:37]
	ds_load_b128 v[2:5], v1 offset:1184
	scratch_load_b128 v[34:37], off, off offset:368
	v_add_f64_e32 v[171:172], v[171:172], v[181:182]
	v_add_f64_e32 v[173:174], v[173:174], v[175:176]
	v_fma_f64 v[179:180], v[8:9], v[167:168], v[179:180]
	v_fma_f64 v[181:182], v[6:7], v[167:168], -v[169:170]
	ds_load_b128 v[6:9], v1 offset:1200
	scratch_load_b128 v[167:170], off, off offset:384
	s_wait_loadcnt_dscnt 0x901
	v_mul_f64_e32 v[175:176], v[2:3], v[40:41]
	v_mul_f64_e32 v[40:41], v[4:5], v[40:41]
	v_add_f64_e32 v[171:172], v[171:172], v[183:184]
	v_add_f64_e32 v[173:174], v[173:174], v[177:178]
	s_wait_loadcnt_dscnt 0x800
	v_mul_f64_e32 v[177:178], v[6:7], v[165:166]
	v_mul_f64_e32 v[165:166], v[8:9], v[165:166]
	v_fma_f64 v[175:176], v[4:5], v[38:39], v[175:176]
	v_fma_f64 v[183:184], v[2:3], v[38:39], -v[40:41]
	ds_load_b128 v[2:5], v1 offset:1216
	scratch_load_b128 v[38:41], off, off offset:400
	v_add_f64_e32 v[171:172], v[171:172], v[181:182]
	v_add_f64_e32 v[173:174], v[173:174], v[179:180]
	v_fma_f64 v[177:178], v[8:9], v[163:164], v[177:178]
	v_fma_f64 v[181:182], v[6:7], v[163:164], -v[165:166]
	ds_load_b128 v[6:9], v1 offset:1232
	s_wait_loadcnt_dscnt 0x801
	v_mul_f64_e32 v[179:180], v[2:3], v[12:13]
	v_mul_f64_e32 v[12:13], v[4:5], v[12:13]
	scratch_load_b128 v[163:166], off, off offset:416
	v_add_f64_e32 v[171:172], v[171:172], v[183:184]
	v_add_f64_e32 v[173:174], v[173:174], v[175:176]
	s_wait_loadcnt_dscnt 0x800
	v_mul_f64_e32 v[175:176], v[6:7], v[16:17]
	v_mul_f64_e32 v[16:17], v[8:9], v[16:17]
	v_fma_f64 v[179:180], v[4:5], v[10:11], v[179:180]
	v_fma_f64 v[183:184], v[2:3], v[10:11], -v[12:13]
	ds_load_b128 v[2:5], v1 offset:1248
	scratch_load_b128 v[10:13], off, off offset:432
	v_add_f64_e32 v[171:172], v[171:172], v[181:182]
	v_add_f64_e32 v[173:174], v[173:174], v[177:178]
	v_fma_f64 v[175:176], v[8:9], v[14:15], v[175:176]
	v_fma_f64 v[181:182], v[6:7], v[14:15], -v[16:17]
	ds_load_b128 v[6:9], v1 offset:1264
	s_wait_loadcnt_dscnt 0x801
	v_mul_f64_e32 v[177:178], v[2:3], v[20:21]
	v_mul_f64_e32 v[20:21], v[4:5], v[20:21]
	scratch_load_b128 v[14:17], off, off offset:448
	;; [unrolled: 18-line block ×18, first 2 shown]
	v_add_f64_e32 v[171:172], v[171:172], v[183:184]
	v_add_f64_e32 v[173:174], v[173:174], v[177:178]
	s_wait_loadcnt_dscnt 0x800
	v_mul_f64_e32 v[177:178], v[6:7], v[32:33]
	v_mul_f64_e32 v[32:33], v[8:9], v[32:33]
	v_fma_f64 v[175:176], v[4:5], v[26:27], v[175:176]
	v_fma_f64 v[26:27], v[2:3], v[26:27], -v[28:29]
	ds_load_b128 v[2:5], v1 offset:1792
	v_add_f64_e32 v[28:29], v[171:172], v[181:182]
	v_add_f64_e32 v[171:172], v[173:174], v[179:180]
	v_fma_f64 v[177:178], v[8:9], v[30:31], v[177:178]
	v_fma_f64 v[30:31], v[6:7], v[30:31], -v[32:33]
	ds_load_b128 v[6:9], v1 offset:1808
	s_wait_loadcnt_dscnt 0x701
	v_mul_f64_e32 v[173:174], v[2:3], v[36:37]
	v_mul_f64_e32 v[36:37], v[4:5], v[36:37]
	v_add_f64_e32 v[26:27], v[28:29], v[26:27]
	v_add_f64_e32 v[28:29], v[171:172], v[175:176]
	s_delay_alu instid0(VALU_DEP_4) | instskip(NEXT) | instid1(VALU_DEP_4)
	v_fma_f64 v[171:172], v[4:5], v[34:35], v[173:174]
	v_fma_f64 v[34:35], v[2:3], v[34:35], -v[36:37]
	ds_load_b128 v[2:5], v1 offset:1824
	v_add_f64_e32 v[30:31], v[26:27], v[30:31]
	v_add_f64_e32 v[36:37], v[28:29], v[177:178]
	scratch_load_b128 v[26:29], off, off offset:64
	s_wait_loadcnt_dscnt 0x701
	v_mul_f64_e32 v[32:33], v[6:7], v[169:170]
	v_mul_f64_e32 v[169:170], v[8:9], v[169:170]
	v_add_f64_e32 v[30:31], v[30:31], v[34:35]
	v_add_f64_e32 v[34:35], v[36:37], v[171:172]
	s_delay_alu instid0(VALU_DEP_4) | instskip(NEXT) | instid1(VALU_DEP_4)
	v_fma_f64 v[32:33], v[8:9], v[167:168], v[32:33]
	v_fma_f64 v[167:168], v[6:7], v[167:168], -v[169:170]
	ds_load_b128 v[6:9], v1 offset:1840
	s_wait_loadcnt_dscnt 0x601
	v_mul_f64_e32 v[173:174], v[2:3], v[40:41]
	v_mul_f64_e32 v[40:41], v[4:5], v[40:41]
	s_wait_loadcnt_dscnt 0x500
	v_mul_f64_e32 v[36:37], v[6:7], v[165:166]
	v_mul_f64_e32 v[165:166], v[8:9], v[165:166]
	v_add_f64_e32 v[32:33], v[34:35], v[32:33]
	v_add_f64_e32 v[30:31], v[30:31], v[167:168]
	v_fma_f64 v[169:170], v[4:5], v[38:39], v[173:174]
	v_fma_f64 v[38:39], v[2:3], v[38:39], -v[40:41]
	ds_load_b128 v[2:5], v1 offset:1856
	v_fma_f64 v[36:37], v[8:9], v[163:164], v[36:37]
	v_fma_f64 v[40:41], v[6:7], v[163:164], -v[165:166]
	ds_load_b128 v[6:9], v1 offset:1872
	s_wait_loadcnt_dscnt 0x401
	v_mul_f64_e32 v[34:35], v[2:3], v[12:13]
	v_mul_f64_e32 v[12:13], v[4:5], v[12:13]
	v_add_f64_e32 v[32:33], v[32:33], v[169:170]
	v_add_f64_e32 v[30:31], v[30:31], v[38:39]
	s_wait_loadcnt_dscnt 0x300
	v_mul_f64_e32 v[38:39], v[6:7], v[16:17]
	v_mul_f64_e32 v[16:17], v[8:9], v[16:17]
	v_fma_f64 v[34:35], v[4:5], v[10:11], v[34:35]
	v_fma_f64 v[10:11], v[2:3], v[10:11], -v[12:13]
	ds_load_b128 v[2:5], v1 offset:1888
	v_add_f64_e32 v[12:13], v[30:31], v[40:41]
	v_add_f64_e32 v[30:31], v[32:33], v[36:37]
	v_fma_f64 v[36:37], v[8:9], v[14:15], v[38:39]
	v_fma_f64 v[14:15], v[6:7], v[14:15], -v[16:17]
	ds_load_b128 v[6:9], v1 offset:1904
	s_wait_loadcnt_dscnt 0x201
	v_mul_f64_e32 v[32:33], v[2:3], v[20:21]
	v_mul_f64_e32 v[20:21], v[4:5], v[20:21]
	s_wait_loadcnt_dscnt 0x100
	v_mul_f64_e32 v[16:17], v[6:7], v[24:25]
	v_mul_f64_e32 v[24:25], v[8:9], v[24:25]
	v_add_f64_e32 v[10:11], v[12:13], v[10:11]
	v_add_f64_e32 v[12:13], v[30:31], v[34:35]
	v_fma_f64 v[4:5], v[4:5], v[18:19], v[32:33]
	v_fma_f64 v[1:2], v[2:3], v[18:19], -v[20:21]
	v_fma_f64 v[8:9], v[8:9], v[22:23], v[16:17]
	v_fma_f64 v[6:7], v[6:7], v[22:23], -v[24:25]
	v_add_f64_e32 v[10:11], v[10:11], v[14:15]
	v_add_f64_e32 v[12:13], v[12:13], v[36:37]
	s_delay_alu instid0(VALU_DEP_2) | instskip(NEXT) | instid1(VALU_DEP_2)
	v_add_f64_e32 v[1:2], v[10:11], v[1:2]
	v_add_f64_e32 v[3:4], v[12:13], v[4:5]
	s_delay_alu instid0(VALU_DEP_2) | instskip(NEXT) | instid1(VALU_DEP_2)
	v_add_f64_e32 v[1:2], v[1:2], v[6:7]
	v_add_f64_e32 v[3:4], v[3:4], v[8:9]
	s_wait_loadcnt 0x0
	s_delay_alu instid0(VALU_DEP_2) | instskip(NEXT) | instid1(VALU_DEP_2)
	v_add_f64_e64 v[1:2], v[26:27], -v[1:2]
	v_add_f64_e64 v[3:4], v[28:29], -v[3:4]
	scratch_store_b128 off, v[1:4], off offset:64
	v_cmpx_lt_u32_e32 2, v0
	s_cbranch_execz .LBB123_369
; %bb.368:
	scratch_load_b128 v[1:4], off, s13
	v_mov_b32_e32 v5, 0
	s_delay_alu instid0(VALU_DEP_1)
	v_dual_mov_b32 v6, v5 :: v_dual_mov_b32 v7, v5
	v_mov_b32_e32 v8, v5
	scratch_store_b128 off, v[5:8], off offset:48
	s_wait_loadcnt 0x0
	ds_store_b128 v162, v[1:4]
.LBB123_369:
	s_wait_alu 0xfffe
	s_or_b32 exec_lo, exec_lo, s0
	s_wait_storecnt_dscnt 0x0
	s_barrier_signal -1
	s_barrier_wait -1
	global_inv scope:SCOPE_SE
	s_clause 0x7
	scratch_load_b128 v[2:5], off, off offset:64
	scratch_load_b128 v[6:9], off, off offset:80
	;; [unrolled: 1-line block ×8, first 2 shown]
	v_mov_b32_e32 v1, 0
	s_clause 0x1
	scratch_load_b128 v[34:37], off, off offset:192
	scratch_load_b128 v[167:170], off, off offset:208
	s_mov_b32 s0, exec_lo
	ds_load_b128 v[38:41], v1 offset:1008
	ds_load_b128 v[163:166], v1 offset:1024
	s_wait_loadcnt_dscnt 0x901
	v_mul_f64_e32 v[171:172], v[40:41], v[4:5]
	v_mul_f64_e32 v[4:5], v[38:39], v[4:5]
	s_wait_loadcnt_dscnt 0x800
	v_mul_f64_e32 v[173:174], v[163:164], v[8:9]
	v_mul_f64_e32 v[8:9], v[165:166], v[8:9]
	s_delay_alu instid0(VALU_DEP_4) | instskip(NEXT) | instid1(VALU_DEP_4)
	v_fma_f64 v[171:172], v[38:39], v[2:3], -v[171:172]
	v_fma_f64 v[175:176], v[40:41], v[2:3], v[4:5]
	ds_load_b128 v[2:5], v1 offset:1040
	scratch_load_b128 v[38:41], off, off offset:224
	v_fma_f64 v[173:174], v[165:166], v[6:7], v[173:174]
	v_fma_f64 v[179:180], v[163:164], v[6:7], -v[8:9]
	ds_load_b128 v[6:9], v1 offset:1056
	scratch_load_b128 v[163:166], off, off offset:240
	s_wait_loadcnt_dscnt 0x901
	v_mul_f64_e32 v[177:178], v[2:3], v[12:13]
	v_mul_f64_e32 v[12:13], v[4:5], v[12:13]
	s_wait_loadcnt_dscnt 0x800
	v_mul_f64_e32 v[181:182], v[6:7], v[16:17]
	v_mul_f64_e32 v[16:17], v[8:9], v[16:17]
	v_add_f64_e32 v[171:172], 0, v[171:172]
	v_add_f64_e32 v[175:176], 0, v[175:176]
	v_fma_f64 v[177:178], v[4:5], v[10:11], v[177:178]
	v_fma_f64 v[183:184], v[2:3], v[10:11], -v[12:13]
	ds_load_b128 v[2:5], v1 offset:1072
	scratch_load_b128 v[10:13], off, off offset:256
	v_add_f64_e32 v[171:172], v[171:172], v[179:180]
	v_add_f64_e32 v[173:174], v[175:176], v[173:174]
	v_fma_f64 v[179:180], v[8:9], v[14:15], v[181:182]
	v_fma_f64 v[181:182], v[6:7], v[14:15], -v[16:17]
	ds_load_b128 v[6:9], v1 offset:1088
	scratch_load_b128 v[14:17], off, off offset:272
	s_wait_loadcnt_dscnt 0x901
	v_mul_f64_e32 v[175:176], v[2:3], v[20:21]
	v_mul_f64_e32 v[20:21], v[4:5], v[20:21]
	v_add_f64_e32 v[171:172], v[171:172], v[183:184]
	v_add_f64_e32 v[173:174], v[173:174], v[177:178]
	s_wait_loadcnt_dscnt 0x800
	v_mul_f64_e32 v[177:178], v[6:7], v[24:25]
	v_mul_f64_e32 v[24:25], v[8:9], v[24:25]
	v_fma_f64 v[175:176], v[4:5], v[18:19], v[175:176]
	v_fma_f64 v[183:184], v[2:3], v[18:19], -v[20:21]
	ds_load_b128 v[2:5], v1 offset:1104
	scratch_load_b128 v[18:21], off, off offset:288
	v_add_f64_e32 v[171:172], v[171:172], v[181:182]
	v_add_f64_e32 v[173:174], v[173:174], v[179:180]
	v_fma_f64 v[177:178], v[8:9], v[22:23], v[177:178]
	v_fma_f64 v[181:182], v[6:7], v[22:23], -v[24:25]
	ds_load_b128 v[6:9], v1 offset:1120
	s_wait_loadcnt_dscnt 0x801
	v_mul_f64_e32 v[179:180], v[2:3], v[28:29]
	v_mul_f64_e32 v[28:29], v[4:5], v[28:29]
	scratch_load_b128 v[22:25], off, off offset:304
	v_add_f64_e32 v[171:172], v[171:172], v[183:184]
	v_add_f64_e32 v[173:174], v[173:174], v[175:176]
	s_wait_loadcnt_dscnt 0x800
	v_mul_f64_e32 v[175:176], v[6:7], v[32:33]
	v_mul_f64_e32 v[32:33], v[8:9], v[32:33]
	v_fma_f64 v[179:180], v[4:5], v[26:27], v[179:180]
	v_fma_f64 v[183:184], v[2:3], v[26:27], -v[28:29]
	ds_load_b128 v[2:5], v1 offset:1136
	scratch_load_b128 v[26:29], off, off offset:320
	v_add_f64_e32 v[171:172], v[171:172], v[181:182]
	v_add_f64_e32 v[173:174], v[173:174], v[177:178]
	v_fma_f64 v[175:176], v[8:9], v[30:31], v[175:176]
	v_fma_f64 v[181:182], v[6:7], v[30:31], -v[32:33]
	ds_load_b128 v[6:9], v1 offset:1152
	s_wait_loadcnt_dscnt 0x801
	v_mul_f64_e32 v[177:178], v[2:3], v[36:37]
	v_mul_f64_e32 v[36:37], v[4:5], v[36:37]
	scratch_load_b128 v[30:33], off, off offset:336
	v_add_f64_e32 v[171:172], v[171:172], v[183:184]
	v_add_f64_e32 v[173:174], v[173:174], v[179:180]
	s_wait_loadcnt_dscnt 0x800
	v_mul_f64_e32 v[179:180], v[6:7], v[169:170]
	v_mul_f64_e32 v[169:170], v[8:9], v[169:170]
	v_fma_f64 v[177:178], v[4:5], v[34:35], v[177:178]
	v_fma_f64 v[183:184], v[2:3], v[34:35], -v[36:37]
	ds_load_b128 v[2:5], v1 offset:1168
	scratch_load_b128 v[34:37], off, off offset:352
	v_add_f64_e32 v[171:172], v[171:172], v[181:182]
	v_add_f64_e32 v[173:174], v[173:174], v[175:176]
	v_fma_f64 v[179:180], v[8:9], v[167:168], v[179:180]
	v_fma_f64 v[181:182], v[6:7], v[167:168], -v[169:170]
	ds_load_b128 v[6:9], v1 offset:1184
	scratch_load_b128 v[167:170], off, off offset:368
	s_wait_loadcnt_dscnt 0x901
	v_mul_f64_e32 v[175:176], v[2:3], v[40:41]
	v_mul_f64_e32 v[40:41], v[4:5], v[40:41]
	v_add_f64_e32 v[171:172], v[171:172], v[183:184]
	v_add_f64_e32 v[173:174], v[173:174], v[177:178]
	s_wait_loadcnt_dscnt 0x800
	v_mul_f64_e32 v[177:178], v[6:7], v[165:166]
	v_mul_f64_e32 v[165:166], v[8:9], v[165:166]
	v_fma_f64 v[175:176], v[4:5], v[38:39], v[175:176]
	v_fma_f64 v[183:184], v[2:3], v[38:39], -v[40:41]
	ds_load_b128 v[2:5], v1 offset:1200
	scratch_load_b128 v[38:41], off, off offset:384
	v_add_f64_e32 v[171:172], v[171:172], v[181:182]
	v_add_f64_e32 v[173:174], v[173:174], v[179:180]
	v_fma_f64 v[177:178], v[8:9], v[163:164], v[177:178]
	v_fma_f64 v[181:182], v[6:7], v[163:164], -v[165:166]
	ds_load_b128 v[6:9], v1 offset:1216
	s_wait_loadcnt_dscnt 0x801
	v_mul_f64_e32 v[179:180], v[2:3], v[12:13]
	v_mul_f64_e32 v[12:13], v[4:5], v[12:13]
	scratch_load_b128 v[163:166], off, off offset:400
	v_add_f64_e32 v[171:172], v[171:172], v[183:184]
	v_add_f64_e32 v[173:174], v[173:174], v[175:176]
	s_wait_loadcnt_dscnt 0x800
	v_mul_f64_e32 v[175:176], v[6:7], v[16:17]
	v_mul_f64_e32 v[16:17], v[8:9], v[16:17]
	v_fma_f64 v[179:180], v[4:5], v[10:11], v[179:180]
	v_fma_f64 v[183:184], v[2:3], v[10:11], -v[12:13]
	ds_load_b128 v[2:5], v1 offset:1232
	scratch_load_b128 v[10:13], off, off offset:416
	v_add_f64_e32 v[171:172], v[171:172], v[181:182]
	v_add_f64_e32 v[173:174], v[173:174], v[177:178]
	v_fma_f64 v[175:176], v[8:9], v[14:15], v[175:176]
	v_fma_f64 v[181:182], v[6:7], v[14:15], -v[16:17]
	ds_load_b128 v[6:9], v1 offset:1248
	s_wait_loadcnt_dscnt 0x801
	v_mul_f64_e32 v[177:178], v[2:3], v[20:21]
	v_mul_f64_e32 v[20:21], v[4:5], v[20:21]
	scratch_load_b128 v[14:17], off, off offset:432
	;; [unrolled: 18-line block ×18, first 2 shown]
	v_add_f64_e32 v[171:172], v[171:172], v[183:184]
	v_add_f64_e32 v[173:174], v[173:174], v[177:178]
	s_wait_loadcnt_dscnt 0x800
	v_mul_f64_e32 v[177:178], v[6:7], v[32:33]
	v_mul_f64_e32 v[32:33], v[8:9], v[32:33]
	v_fma_f64 v[175:176], v[4:5], v[26:27], v[175:176]
	v_fma_f64 v[183:184], v[2:3], v[26:27], -v[28:29]
	ds_load_b128 v[2:5], v1 offset:1776
	scratch_load_b128 v[26:29], off, off offset:960
	v_add_f64_e32 v[171:172], v[171:172], v[181:182]
	v_add_f64_e32 v[173:174], v[173:174], v[179:180]
	v_fma_f64 v[177:178], v[8:9], v[30:31], v[177:178]
	v_fma_f64 v[30:31], v[6:7], v[30:31], -v[32:33]
	ds_load_b128 v[6:9], v1 offset:1792
	s_wait_loadcnt_dscnt 0x801
	v_mul_f64_e32 v[179:180], v[2:3], v[36:37]
	v_mul_f64_e32 v[36:37], v[4:5], v[36:37]
	v_add_f64_e32 v[32:33], v[171:172], v[183:184]
	v_add_f64_e32 v[171:172], v[173:174], v[175:176]
	s_wait_loadcnt_dscnt 0x700
	v_mul_f64_e32 v[173:174], v[6:7], v[169:170]
	v_mul_f64_e32 v[169:170], v[8:9], v[169:170]
	v_fma_f64 v[175:176], v[4:5], v[34:35], v[179:180]
	v_fma_f64 v[34:35], v[2:3], v[34:35], -v[36:37]
	ds_load_b128 v[2:5], v1 offset:1808
	v_add_f64_e32 v[30:31], v[32:33], v[30:31]
	v_add_f64_e32 v[32:33], v[171:172], v[177:178]
	v_fma_f64 v[171:172], v[8:9], v[167:168], v[173:174]
	v_fma_f64 v[167:168], v[6:7], v[167:168], -v[169:170]
	ds_load_b128 v[6:9], v1 offset:1824
	s_wait_loadcnt_dscnt 0x500
	v_mul_f64_e32 v[173:174], v[6:7], v[165:166]
	v_mul_f64_e32 v[165:166], v[8:9], v[165:166]
	v_add_f64_e32 v[34:35], v[30:31], v[34:35]
	v_add_f64_e32 v[169:170], v[32:33], v[175:176]
	scratch_load_b128 v[30:33], off, off offset:48
	v_mul_f64_e32 v[36:37], v[2:3], v[40:41]
	v_mul_f64_e32 v[40:41], v[4:5], v[40:41]
	v_add_f64_e32 v[34:35], v[34:35], v[167:168]
	s_delay_alu instid0(VALU_DEP_3) | instskip(NEXT) | instid1(VALU_DEP_3)
	v_fma_f64 v[36:37], v[4:5], v[38:39], v[36:37]
	v_fma_f64 v[38:39], v[2:3], v[38:39], -v[40:41]
	v_add_f64_e32 v[40:41], v[169:170], v[171:172]
	ds_load_b128 v[2:5], v1 offset:1840
	v_fma_f64 v[169:170], v[8:9], v[163:164], v[173:174]
	v_fma_f64 v[163:164], v[6:7], v[163:164], -v[165:166]
	ds_load_b128 v[6:9], v1 offset:1856
	s_wait_loadcnt_dscnt 0x501
	v_mul_f64_e32 v[167:168], v[2:3], v[12:13]
	v_mul_f64_e32 v[12:13], v[4:5], v[12:13]
	v_add_f64_e32 v[34:35], v[34:35], v[38:39]
	v_add_f64_e32 v[36:37], v[40:41], v[36:37]
	s_wait_loadcnt_dscnt 0x400
	v_mul_f64_e32 v[38:39], v[6:7], v[16:17]
	v_mul_f64_e32 v[16:17], v[8:9], v[16:17]
	v_fma_f64 v[40:41], v[4:5], v[10:11], v[167:168]
	v_fma_f64 v[10:11], v[2:3], v[10:11], -v[12:13]
	ds_load_b128 v[2:5], v1 offset:1872
	v_add_f64_e32 v[12:13], v[34:35], v[163:164]
	v_add_f64_e32 v[34:35], v[36:37], v[169:170]
	v_fma_f64 v[38:39], v[8:9], v[14:15], v[38:39]
	v_fma_f64 v[14:15], v[6:7], v[14:15], -v[16:17]
	ds_load_b128 v[6:9], v1 offset:1888
	s_wait_loadcnt_dscnt 0x301
	v_mul_f64_e32 v[36:37], v[2:3], v[20:21]
	v_mul_f64_e32 v[20:21], v[4:5], v[20:21]
	s_wait_loadcnt_dscnt 0x200
	v_mul_f64_e32 v[16:17], v[6:7], v[24:25]
	v_mul_f64_e32 v[24:25], v[8:9], v[24:25]
	v_add_f64_e32 v[10:11], v[12:13], v[10:11]
	v_add_f64_e32 v[12:13], v[34:35], v[40:41]
	v_fma_f64 v[34:35], v[4:5], v[18:19], v[36:37]
	v_fma_f64 v[18:19], v[2:3], v[18:19], -v[20:21]
	ds_load_b128 v[2:5], v1 offset:1904
	v_fma_f64 v[8:9], v[8:9], v[22:23], v[16:17]
	v_fma_f64 v[6:7], v[6:7], v[22:23], -v[24:25]
	s_wait_loadcnt_dscnt 0x100
	v_mul_f64_e32 v[20:21], v[4:5], v[28:29]
	v_add_f64_e32 v[10:11], v[10:11], v[14:15]
	v_add_f64_e32 v[12:13], v[12:13], v[38:39]
	v_mul_f64_e32 v[14:15], v[2:3], v[28:29]
	s_delay_alu instid0(VALU_DEP_4) | instskip(NEXT) | instid1(VALU_DEP_4)
	v_fma_f64 v[2:3], v[2:3], v[26:27], -v[20:21]
	v_add_f64_e32 v[10:11], v[10:11], v[18:19]
	s_delay_alu instid0(VALU_DEP_4) | instskip(NEXT) | instid1(VALU_DEP_4)
	v_add_f64_e32 v[12:13], v[12:13], v[34:35]
	v_fma_f64 v[4:5], v[4:5], v[26:27], v[14:15]
	s_delay_alu instid0(VALU_DEP_3) | instskip(NEXT) | instid1(VALU_DEP_3)
	v_add_f64_e32 v[6:7], v[10:11], v[6:7]
	v_add_f64_e32 v[8:9], v[12:13], v[8:9]
	s_delay_alu instid0(VALU_DEP_2) | instskip(NEXT) | instid1(VALU_DEP_2)
	v_add_f64_e32 v[2:3], v[6:7], v[2:3]
	v_add_f64_e32 v[4:5], v[8:9], v[4:5]
	s_wait_loadcnt 0x0
	s_delay_alu instid0(VALU_DEP_2) | instskip(NEXT) | instid1(VALU_DEP_2)
	v_add_f64_e64 v[2:3], v[30:31], -v[2:3]
	v_add_f64_e64 v[4:5], v[32:33], -v[4:5]
	scratch_store_b128 off, v[2:5], off offset:48
	v_cmpx_lt_u32_e32 1, v0
	s_cbranch_execz .LBB123_371
; %bb.370:
	scratch_load_b128 v[5:8], off, s15
	v_dual_mov_b32 v2, v1 :: v_dual_mov_b32 v3, v1
	v_mov_b32_e32 v4, v1
	scratch_store_b128 off, v[1:4], off offset:32
	s_wait_loadcnt 0x0
	ds_store_b128 v162, v[5:8]
.LBB123_371:
	s_wait_alu 0xfffe
	s_or_b32 exec_lo, exec_lo, s0
	s_wait_storecnt_dscnt 0x0
	s_barrier_signal -1
	s_barrier_wait -1
	global_inv scope:SCOPE_SE
	s_clause 0x7
	scratch_load_b128 v[2:5], off, off offset:48
	scratch_load_b128 v[6:9], off, off offset:64
	;; [unrolled: 1-line block ×8, first 2 shown]
	ds_load_b128 v[38:41], v1 offset:992
	ds_load_b128 v[163:166], v1 offset:1008
	s_clause 0x1
	scratch_load_b128 v[34:37], off, off offset:176
	scratch_load_b128 v[167:170], off, off offset:192
	s_mov_b32 s0, exec_lo
	s_wait_loadcnt_dscnt 0x901
	v_mul_f64_e32 v[171:172], v[40:41], v[4:5]
	v_mul_f64_e32 v[4:5], v[38:39], v[4:5]
	s_wait_loadcnt_dscnt 0x800
	v_mul_f64_e32 v[173:174], v[163:164], v[8:9]
	v_mul_f64_e32 v[8:9], v[165:166], v[8:9]
	s_delay_alu instid0(VALU_DEP_4) | instskip(NEXT) | instid1(VALU_DEP_4)
	v_fma_f64 v[171:172], v[38:39], v[2:3], -v[171:172]
	v_fma_f64 v[175:176], v[40:41], v[2:3], v[4:5]
	ds_load_b128 v[2:5], v1 offset:1024
	scratch_load_b128 v[38:41], off, off offset:208
	v_fma_f64 v[173:174], v[165:166], v[6:7], v[173:174]
	v_fma_f64 v[179:180], v[163:164], v[6:7], -v[8:9]
	ds_load_b128 v[6:9], v1 offset:1040
	scratch_load_b128 v[163:166], off, off offset:224
	s_wait_loadcnt_dscnt 0x901
	v_mul_f64_e32 v[177:178], v[2:3], v[12:13]
	v_mul_f64_e32 v[12:13], v[4:5], v[12:13]
	s_wait_loadcnt_dscnt 0x800
	v_mul_f64_e32 v[181:182], v[6:7], v[16:17]
	v_mul_f64_e32 v[16:17], v[8:9], v[16:17]
	v_add_f64_e32 v[171:172], 0, v[171:172]
	v_add_f64_e32 v[175:176], 0, v[175:176]
	v_fma_f64 v[177:178], v[4:5], v[10:11], v[177:178]
	v_fma_f64 v[183:184], v[2:3], v[10:11], -v[12:13]
	ds_load_b128 v[2:5], v1 offset:1056
	scratch_load_b128 v[10:13], off, off offset:240
	v_add_f64_e32 v[171:172], v[171:172], v[179:180]
	v_add_f64_e32 v[173:174], v[175:176], v[173:174]
	v_fma_f64 v[179:180], v[8:9], v[14:15], v[181:182]
	v_fma_f64 v[181:182], v[6:7], v[14:15], -v[16:17]
	ds_load_b128 v[6:9], v1 offset:1072
	scratch_load_b128 v[14:17], off, off offset:256
	s_wait_loadcnt_dscnt 0x901
	v_mul_f64_e32 v[175:176], v[2:3], v[20:21]
	v_mul_f64_e32 v[20:21], v[4:5], v[20:21]
	v_add_f64_e32 v[171:172], v[171:172], v[183:184]
	v_add_f64_e32 v[173:174], v[173:174], v[177:178]
	s_wait_loadcnt_dscnt 0x800
	v_mul_f64_e32 v[177:178], v[6:7], v[24:25]
	v_mul_f64_e32 v[24:25], v[8:9], v[24:25]
	v_fma_f64 v[175:176], v[4:5], v[18:19], v[175:176]
	v_fma_f64 v[183:184], v[2:3], v[18:19], -v[20:21]
	ds_load_b128 v[2:5], v1 offset:1088
	scratch_load_b128 v[18:21], off, off offset:272
	v_add_f64_e32 v[171:172], v[171:172], v[181:182]
	v_add_f64_e32 v[173:174], v[173:174], v[179:180]
	v_fma_f64 v[177:178], v[8:9], v[22:23], v[177:178]
	v_fma_f64 v[181:182], v[6:7], v[22:23], -v[24:25]
	ds_load_b128 v[6:9], v1 offset:1104
	s_wait_loadcnt_dscnt 0x801
	v_mul_f64_e32 v[179:180], v[2:3], v[28:29]
	v_mul_f64_e32 v[28:29], v[4:5], v[28:29]
	scratch_load_b128 v[22:25], off, off offset:288
	v_add_f64_e32 v[171:172], v[171:172], v[183:184]
	v_add_f64_e32 v[173:174], v[173:174], v[175:176]
	s_wait_loadcnt_dscnt 0x800
	v_mul_f64_e32 v[175:176], v[6:7], v[32:33]
	v_mul_f64_e32 v[32:33], v[8:9], v[32:33]
	v_fma_f64 v[179:180], v[4:5], v[26:27], v[179:180]
	v_fma_f64 v[183:184], v[2:3], v[26:27], -v[28:29]
	ds_load_b128 v[2:5], v1 offset:1120
	scratch_load_b128 v[26:29], off, off offset:304
	v_add_f64_e32 v[171:172], v[171:172], v[181:182]
	v_add_f64_e32 v[173:174], v[173:174], v[177:178]
	v_fma_f64 v[175:176], v[8:9], v[30:31], v[175:176]
	v_fma_f64 v[181:182], v[6:7], v[30:31], -v[32:33]
	ds_load_b128 v[6:9], v1 offset:1136
	s_wait_loadcnt_dscnt 0x801
	v_mul_f64_e32 v[177:178], v[2:3], v[36:37]
	v_mul_f64_e32 v[36:37], v[4:5], v[36:37]
	scratch_load_b128 v[30:33], off, off offset:320
	v_add_f64_e32 v[171:172], v[171:172], v[183:184]
	v_add_f64_e32 v[173:174], v[173:174], v[179:180]
	s_wait_loadcnt_dscnt 0x800
	v_mul_f64_e32 v[179:180], v[6:7], v[169:170]
	v_mul_f64_e32 v[169:170], v[8:9], v[169:170]
	v_fma_f64 v[177:178], v[4:5], v[34:35], v[177:178]
	v_fma_f64 v[183:184], v[2:3], v[34:35], -v[36:37]
	ds_load_b128 v[2:5], v1 offset:1152
	scratch_load_b128 v[34:37], off, off offset:336
	v_add_f64_e32 v[171:172], v[171:172], v[181:182]
	v_add_f64_e32 v[173:174], v[173:174], v[175:176]
	v_fma_f64 v[179:180], v[8:9], v[167:168], v[179:180]
	v_fma_f64 v[181:182], v[6:7], v[167:168], -v[169:170]
	ds_load_b128 v[6:9], v1 offset:1168
	scratch_load_b128 v[167:170], off, off offset:352
	s_wait_loadcnt_dscnt 0x901
	v_mul_f64_e32 v[175:176], v[2:3], v[40:41]
	v_mul_f64_e32 v[40:41], v[4:5], v[40:41]
	v_add_f64_e32 v[171:172], v[171:172], v[183:184]
	v_add_f64_e32 v[173:174], v[173:174], v[177:178]
	s_wait_loadcnt_dscnt 0x800
	v_mul_f64_e32 v[177:178], v[6:7], v[165:166]
	v_mul_f64_e32 v[165:166], v[8:9], v[165:166]
	v_fma_f64 v[175:176], v[4:5], v[38:39], v[175:176]
	v_fma_f64 v[183:184], v[2:3], v[38:39], -v[40:41]
	ds_load_b128 v[2:5], v1 offset:1184
	scratch_load_b128 v[38:41], off, off offset:368
	v_add_f64_e32 v[171:172], v[171:172], v[181:182]
	v_add_f64_e32 v[173:174], v[173:174], v[179:180]
	v_fma_f64 v[177:178], v[8:9], v[163:164], v[177:178]
	v_fma_f64 v[181:182], v[6:7], v[163:164], -v[165:166]
	ds_load_b128 v[6:9], v1 offset:1200
	s_wait_loadcnt_dscnt 0x801
	v_mul_f64_e32 v[179:180], v[2:3], v[12:13]
	v_mul_f64_e32 v[12:13], v[4:5], v[12:13]
	scratch_load_b128 v[163:166], off, off offset:384
	v_add_f64_e32 v[171:172], v[171:172], v[183:184]
	v_add_f64_e32 v[173:174], v[173:174], v[175:176]
	s_wait_loadcnt_dscnt 0x800
	v_mul_f64_e32 v[175:176], v[6:7], v[16:17]
	v_mul_f64_e32 v[16:17], v[8:9], v[16:17]
	v_fma_f64 v[179:180], v[4:5], v[10:11], v[179:180]
	v_fma_f64 v[183:184], v[2:3], v[10:11], -v[12:13]
	ds_load_b128 v[2:5], v1 offset:1216
	scratch_load_b128 v[10:13], off, off offset:400
	v_add_f64_e32 v[171:172], v[171:172], v[181:182]
	v_add_f64_e32 v[173:174], v[173:174], v[177:178]
	v_fma_f64 v[175:176], v[8:9], v[14:15], v[175:176]
	v_fma_f64 v[181:182], v[6:7], v[14:15], -v[16:17]
	ds_load_b128 v[6:9], v1 offset:1232
	s_wait_loadcnt_dscnt 0x801
	v_mul_f64_e32 v[177:178], v[2:3], v[20:21]
	v_mul_f64_e32 v[20:21], v[4:5], v[20:21]
	scratch_load_b128 v[14:17], off, off offset:416
	;; [unrolled: 18-line block ×19, first 2 shown]
	v_add_f64_e32 v[171:172], v[171:172], v[183:184]
	v_add_f64_e32 v[173:174], v[173:174], v[175:176]
	s_wait_loadcnt_dscnt 0x800
	v_mul_f64_e32 v[175:176], v[6:7], v[169:170]
	v_mul_f64_e32 v[169:170], v[8:9], v[169:170]
	v_fma_f64 v[179:180], v[4:5], v[34:35], v[179:180]
	v_fma_f64 v[34:35], v[2:3], v[34:35], -v[36:37]
	ds_load_b128 v[2:5], v1 offset:1792
	v_add_f64_e32 v[36:37], v[171:172], v[181:182]
	v_add_f64_e32 v[171:172], v[173:174], v[177:178]
	v_fma_f64 v[175:176], v[8:9], v[167:168], v[175:176]
	v_fma_f64 v[167:168], v[6:7], v[167:168], -v[169:170]
	ds_load_b128 v[6:9], v1 offset:1808
	s_wait_loadcnt_dscnt 0x701
	v_mul_f64_e32 v[173:174], v[2:3], v[40:41]
	v_mul_f64_e32 v[40:41], v[4:5], v[40:41]
	v_add_f64_e32 v[34:35], v[36:37], v[34:35]
	v_add_f64_e32 v[36:37], v[171:172], v[179:180]
	s_delay_alu instid0(VALU_DEP_4) | instskip(NEXT) | instid1(VALU_DEP_4)
	v_fma_f64 v[171:172], v[4:5], v[38:39], v[173:174]
	v_fma_f64 v[38:39], v[2:3], v[38:39], -v[40:41]
	ds_load_b128 v[2:5], v1 offset:1824
	v_add_f64_e32 v[40:41], v[34:35], v[167:168]
	v_add_f64_e32 v[167:168], v[36:37], v[175:176]
	scratch_load_b128 v[34:37], off, off offset:32
	s_wait_loadcnt_dscnt 0x701
	v_mul_f64_e32 v[169:170], v[6:7], v[165:166]
	v_mul_f64_e32 v[165:166], v[8:9], v[165:166]
	v_add_f64_e32 v[38:39], v[40:41], v[38:39]
	v_add_f64_e32 v[40:41], v[167:168], v[171:172]
	s_delay_alu instid0(VALU_DEP_4) | instskip(NEXT) | instid1(VALU_DEP_4)
	v_fma_f64 v[169:170], v[8:9], v[163:164], v[169:170]
	v_fma_f64 v[163:164], v[6:7], v[163:164], -v[165:166]
	ds_load_b128 v[6:9], v1 offset:1840
	s_wait_loadcnt_dscnt 0x601
	v_mul_f64_e32 v[173:174], v[2:3], v[12:13]
	v_mul_f64_e32 v[12:13], v[4:5], v[12:13]
	s_wait_loadcnt_dscnt 0x500
	v_mul_f64_e32 v[165:166], v[6:7], v[16:17]
	v_mul_f64_e32 v[16:17], v[8:9], v[16:17]
	s_delay_alu instid0(VALU_DEP_4) | instskip(NEXT) | instid1(VALU_DEP_4)
	v_fma_f64 v[167:168], v[4:5], v[10:11], v[173:174]
	v_fma_f64 v[10:11], v[2:3], v[10:11], -v[12:13]
	v_add_f64_e32 v[12:13], v[38:39], v[163:164]
	v_add_f64_e32 v[38:39], v[40:41], v[169:170]
	ds_load_b128 v[2:5], v1 offset:1856
	v_fma_f64 v[163:164], v[8:9], v[14:15], v[165:166]
	v_fma_f64 v[14:15], v[6:7], v[14:15], -v[16:17]
	ds_load_b128 v[6:9], v1 offset:1872
	s_wait_loadcnt_dscnt 0x401
	v_mul_f64_e32 v[40:41], v[2:3], v[20:21]
	v_mul_f64_e32 v[20:21], v[4:5], v[20:21]
	v_add_f64_e32 v[10:11], v[12:13], v[10:11]
	v_add_f64_e32 v[12:13], v[38:39], v[167:168]
	s_wait_loadcnt_dscnt 0x300
	v_mul_f64_e32 v[16:17], v[6:7], v[24:25]
	v_mul_f64_e32 v[24:25], v[8:9], v[24:25]
	v_fma_f64 v[38:39], v[4:5], v[18:19], v[40:41]
	v_fma_f64 v[18:19], v[2:3], v[18:19], -v[20:21]
	ds_load_b128 v[2:5], v1 offset:1888
	v_add_f64_e32 v[10:11], v[10:11], v[14:15]
	v_add_f64_e32 v[12:13], v[12:13], v[163:164]
	v_fma_f64 v[16:17], v[8:9], v[22:23], v[16:17]
	v_fma_f64 v[22:23], v[6:7], v[22:23], -v[24:25]
	ds_load_b128 v[6:9], v1 offset:1904
	s_wait_loadcnt_dscnt 0x201
	v_mul_f64_e32 v[14:15], v[2:3], v[28:29]
	v_mul_f64_e32 v[20:21], v[4:5], v[28:29]
	s_wait_loadcnt_dscnt 0x100
	v_mul_f64_e32 v[24:25], v[8:9], v[32:33]
	v_add_f64_e32 v[10:11], v[10:11], v[18:19]
	v_add_f64_e32 v[12:13], v[12:13], v[38:39]
	v_mul_f64_e32 v[18:19], v[6:7], v[32:33]
	v_fma_f64 v[4:5], v[4:5], v[26:27], v[14:15]
	v_fma_f64 v[1:2], v[2:3], v[26:27], -v[20:21]
	v_fma_f64 v[6:7], v[6:7], v[30:31], -v[24:25]
	v_add_f64_e32 v[10:11], v[10:11], v[22:23]
	v_add_f64_e32 v[12:13], v[12:13], v[16:17]
	v_fma_f64 v[8:9], v[8:9], v[30:31], v[18:19]
	s_delay_alu instid0(VALU_DEP_3) | instskip(NEXT) | instid1(VALU_DEP_3)
	v_add_f64_e32 v[1:2], v[10:11], v[1:2]
	v_add_f64_e32 v[3:4], v[12:13], v[4:5]
	s_delay_alu instid0(VALU_DEP_2) | instskip(NEXT) | instid1(VALU_DEP_2)
	v_add_f64_e32 v[1:2], v[1:2], v[6:7]
	v_add_f64_e32 v[3:4], v[3:4], v[8:9]
	s_wait_loadcnt 0x0
	s_delay_alu instid0(VALU_DEP_2) | instskip(NEXT) | instid1(VALU_DEP_2)
	v_add_f64_e64 v[1:2], v[34:35], -v[1:2]
	v_add_f64_e64 v[3:4], v[36:37], -v[3:4]
	scratch_store_b128 off, v[1:4], off offset:32
	v_cmpx_ne_u32_e32 0, v0
	s_cbranch_execz .LBB123_373
; %bb.372:
	scratch_load_b128 v[0:3], off, off offset:16
	v_mov_b32_e32 v4, 0
	s_delay_alu instid0(VALU_DEP_1)
	v_dual_mov_b32 v5, v4 :: v_dual_mov_b32 v6, v4
	v_mov_b32_e32 v7, v4
	scratch_store_b128 off, v[4:7], off offset:16
	s_wait_loadcnt 0x0
	ds_store_b128 v162, v[0:3]
.LBB123_373:
	s_wait_alu 0xfffe
	s_or_b32 exec_lo, exec_lo, s0
	s_wait_storecnt_dscnt 0x0
	s_barrier_signal -1
	s_barrier_wait -1
	global_inv scope:SCOPE_SE
	s_clause 0x7
	scratch_load_b128 v[0:3], off, off offset:32
	scratch_load_b128 v[4:7], off, off offset:48
	;; [unrolled: 1-line block ×8, first 2 shown]
	v_mov_b32_e32 v40, 0
	s_and_b32 vcc_lo, exec_lo, s12
	ds_load_b128 v[36:39], v40 offset:976
	s_clause 0x1
	scratch_load_b128 v[32:35], off, off offset:160
	scratch_load_b128 v[162:165], off, off offset:16
	ds_load_b128 v[166:169], v40 offset:992
	scratch_load_b128 v[170:173], off, off offset:176
	s_wait_loadcnt_dscnt 0xa01
	v_mul_f64_e32 v[174:175], v[38:39], v[2:3]
	v_mul_f64_e32 v[2:3], v[36:37], v[2:3]
	s_delay_alu instid0(VALU_DEP_2) | instskip(NEXT) | instid1(VALU_DEP_2)
	v_fma_f64 v[180:181], v[36:37], v[0:1], -v[174:175]
	v_fma_f64 v[182:183], v[38:39], v[0:1], v[2:3]
	ds_load_b128 v[0:3], v40 offset:1008
	s_wait_loadcnt_dscnt 0x901
	v_mul_f64_e32 v[178:179], v[166:167], v[6:7]
	v_mul_f64_e32 v[6:7], v[168:169], v[6:7]
	scratch_load_b128 v[36:39], off, off offset:192
	ds_load_b128 v[174:177], v40 offset:1024
	s_wait_loadcnt_dscnt 0x901
	v_mul_f64_e32 v[184:185], v[0:1], v[10:11]
	v_mul_f64_e32 v[10:11], v[2:3], v[10:11]
	v_fma_f64 v[168:169], v[168:169], v[4:5], v[178:179]
	v_fma_f64 v[166:167], v[166:167], v[4:5], -v[6:7]
	v_add_f64_e32 v[178:179], 0, v[180:181]
	v_add_f64_e32 v[180:181], 0, v[182:183]
	scratch_load_b128 v[4:7], off, off offset:208
	v_fma_f64 v[184:185], v[2:3], v[8:9], v[184:185]
	v_fma_f64 v[186:187], v[0:1], v[8:9], -v[10:11]
	ds_load_b128 v[0:3], v40 offset:1040
	s_wait_loadcnt_dscnt 0x901
	v_mul_f64_e32 v[182:183], v[174:175], v[14:15]
	v_mul_f64_e32 v[14:15], v[176:177], v[14:15]
	scratch_load_b128 v[8:11], off, off offset:224
	v_add_f64_e32 v[178:179], v[178:179], v[166:167]
	v_add_f64_e32 v[180:181], v[180:181], v[168:169]
	s_wait_loadcnt_dscnt 0x900
	v_mul_f64_e32 v[188:189], v[0:1], v[18:19]
	v_mul_f64_e32 v[18:19], v[2:3], v[18:19]
	ds_load_b128 v[166:169], v40 offset:1056
	v_fma_f64 v[176:177], v[176:177], v[12:13], v[182:183]
	v_fma_f64 v[174:175], v[174:175], v[12:13], -v[14:15]
	scratch_load_b128 v[12:15], off, off offset:240
	v_add_f64_e32 v[178:179], v[178:179], v[186:187]
	v_add_f64_e32 v[180:181], v[180:181], v[184:185]
	v_fma_f64 v[184:185], v[2:3], v[16:17], v[188:189]
	v_fma_f64 v[186:187], v[0:1], v[16:17], -v[18:19]
	ds_load_b128 v[0:3], v40 offset:1072
	s_wait_loadcnt_dscnt 0x901
	v_mul_f64_e32 v[182:183], v[166:167], v[22:23]
	v_mul_f64_e32 v[22:23], v[168:169], v[22:23]
	scratch_load_b128 v[16:19], off, off offset:256
	s_wait_loadcnt_dscnt 0x900
	v_mul_f64_e32 v[188:189], v[0:1], v[26:27]
	v_mul_f64_e32 v[26:27], v[2:3], v[26:27]
	v_add_f64_e32 v[178:179], v[178:179], v[174:175]
	v_add_f64_e32 v[180:181], v[180:181], v[176:177]
	ds_load_b128 v[174:177], v40 offset:1088
	v_fma_f64 v[168:169], v[168:169], v[20:21], v[182:183]
	v_fma_f64 v[166:167], v[166:167], v[20:21], -v[22:23]
	scratch_load_b128 v[20:23], off, off offset:272
	v_add_f64_e32 v[178:179], v[178:179], v[186:187]
	v_add_f64_e32 v[180:181], v[180:181], v[184:185]
	v_fma_f64 v[184:185], v[2:3], v[24:25], v[188:189]
	v_fma_f64 v[186:187], v[0:1], v[24:25], -v[26:27]
	ds_load_b128 v[0:3], v40 offset:1104
	s_wait_loadcnt_dscnt 0x901
	v_mul_f64_e32 v[182:183], v[174:175], v[30:31]
	v_mul_f64_e32 v[30:31], v[176:177], v[30:31]
	scratch_load_b128 v[24:27], off, off offset:288
	s_wait_loadcnt_dscnt 0x900
	v_mul_f64_e32 v[188:189], v[0:1], v[34:35]
	v_mul_f64_e32 v[34:35], v[2:3], v[34:35]
	v_add_f64_e32 v[178:179], v[178:179], v[166:167]
	v_add_f64_e32 v[180:181], v[180:181], v[168:169]
	ds_load_b128 v[166:169], v40 offset:1120
	v_fma_f64 v[176:177], v[176:177], v[28:29], v[182:183]
	v_fma_f64 v[174:175], v[174:175], v[28:29], -v[30:31]
	scratch_load_b128 v[28:31], off, off offset:304
	v_add_f64_e32 v[178:179], v[178:179], v[186:187]
	v_add_f64_e32 v[180:181], v[180:181], v[184:185]
	v_fma_f64 v[186:187], v[2:3], v[32:33], v[188:189]
	v_fma_f64 v[188:189], v[0:1], v[32:33], -v[34:35]
	ds_load_b128 v[0:3], v40 offset:1136
	s_wait_loadcnt_dscnt 0x801
	v_mul_f64_e32 v[182:183], v[166:167], v[172:173]
	v_mul_f64_e32 v[184:185], v[168:169], v[172:173]
	scratch_load_b128 v[32:35], off, off offset:320
	v_add_f64_e32 v[178:179], v[178:179], v[174:175]
	v_add_f64_e32 v[176:177], v[180:181], v[176:177]
	ds_load_b128 v[172:175], v40 offset:1152
	v_fma_f64 v[182:183], v[168:169], v[170:171], v[182:183]
	v_fma_f64 v[170:171], v[166:167], v[170:171], -v[184:185]
	scratch_load_b128 v[166:169], off, off offset:336
	s_wait_loadcnt_dscnt 0x901
	v_mul_f64_e32 v[180:181], v[0:1], v[38:39]
	v_mul_f64_e32 v[38:39], v[2:3], v[38:39]
	v_add_f64_e32 v[178:179], v[178:179], v[188:189]
	v_add_f64_e32 v[176:177], v[176:177], v[186:187]
	s_delay_alu instid0(VALU_DEP_4) | instskip(NEXT) | instid1(VALU_DEP_4)
	v_fma_f64 v[180:181], v[2:3], v[36:37], v[180:181]
	v_fma_f64 v[186:187], v[0:1], v[36:37], -v[38:39]
	ds_load_b128 v[0:3], v40 offset:1168
	s_wait_loadcnt_dscnt 0x801
	v_mul_f64_e32 v[184:185], v[172:173], v[6:7]
	v_mul_f64_e32 v[6:7], v[174:175], v[6:7]
	scratch_load_b128 v[36:39], off, off offset:352
	s_wait_loadcnt_dscnt 0x800
	v_mul_f64_e32 v[188:189], v[0:1], v[10:11]
	v_add_f64_e32 v[170:171], v[178:179], v[170:171]
	v_add_f64_e32 v[182:183], v[176:177], v[182:183]
	v_mul_f64_e32 v[10:11], v[2:3], v[10:11]
	ds_load_b128 v[176:179], v40 offset:1184
	v_fma_f64 v[174:175], v[174:175], v[4:5], v[184:185]
	v_fma_f64 v[172:173], v[172:173], v[4:5], -v[6:7]
	scratch_load_b128 v[4:7], off, off offset:368
	v_fma_f64 v[184:185], v[2:3], v[8:9], v[188:189]
	v_add_f64_e32 v[170:171], v[170:171], v[186:187]
	v_add_f64_e32 v[180:181], v[182:183], v[180:181]
	v_fma_f64 v[186:187], v[0:1], v[8:9], -v[10:11]
	ds_load_b128 v[0:3], v40 offset:1200
	s_wait_loadcnt_dscnt 0x801
	v_mul_f64_e32 v[182:183], v[176:177], v[14:15]
	v_mul_f64_e32 v[14:15], v[178:179], v[14:15]
	scratch_load_b128 v[8:11], off, off offset:384
	v_add_f64_e32 v[188:189], v[170:171], v[172:173]
	v_add_f64_e32 v[174:175], v[180:181], v[174:175]
	s_wait_loadcnt_dscnt 0x800
	v_mul_f64_e32 v[180:181], v[0:1], v[18:19]
	v_mul_f64_e32 v[18:19], v[2:3], v[18:19]
	v_fma_f64 v[178:179], v[178:179], v[12:13], v[182:183]
	v_fma_f64 v[176:177], v[176:177], v[12:13], -v[14:15]
	ds_load_b128 v[170:173], v40 offset:1216
	scratch_load_b128 v[12:15], off, off offset:400
	v_add_f64_e32 v[182:183], v[188:189], v[186:187]
	v_add_f64_e32 v[174:175], v[174:175], v[184:185]
	v_fma_f64 v[180:181], v[2:3], v[16:17], v[180:181]
	v_fma_f64 v[186:187], v[0:1], v[16:17], -v[18:19]
	ds_load_b128 v[0:3], v40 offset:1232
	s_wait_loadcnt_dscnt 0x801
	v_mul_f64_e32 v[184:185], v[170:171], v[22:23]
	v_mul_f64_e32 v[22:23], v[172:173], v[22:23]
	scratch_load_b128 v[16:19], off, off offset:416
	s_wait_loadcnt_dscnt 0x800
	v_mul_f64_e32 v[188:189], v[0:1], v[26:27]
	v_mul_f64_e32 v[26:27], v[2:3], v[26:27]
	v_add_f64_e32 v[182:183], v[182:183], v[176:177]
	v_add_f64_e32 v[178:179], v[174:175], v[178:179]
	ds_load_b128 v[174:177], v40 offset:1248
	v_fma_f64 v[172:173], v[172:173], v[20:21], v[184:185]
	v_fma_f64 v[170:171], v[170:171], v[20:21], -v[22:23]
	scratch_load_b128 v[20:23], off, off offset:432
	v_fma_f64 v[184:185], v[2:3], v[24:25], v[188:189]
	v_add_f64_e32 v[182:183], v[182:183], v[186:187]
	v_add_f64_e32 v[178:179], v[178:179], v[180:181]
	v_fma_f64 v[186:187], v[0:1], v[24:25], -v[26:27]
	ds_load_b128 v[0:3], v40 offset:1264
	s_wait_loadcnt_dscnt 0x801
	v_mul_f64_e32 v[180:181], v[174:175], v[30:31]
	v_mul_f64_e32 v[30:31], v[176:177], v[30:31]
	scratch_load_b128 v[24:27], off, off offset:448
	s_wait_loadcnt_dscnt 0x800
	v_mul_f64_e32 v[188:189], v[0:1], v[34:35]
	v_mul_f64_e32 v[34:35], v[2:3], v[34:35]
	v_add_f64_e32 v[182:183], v[182:183], v[170:171]
	v_add_f64_e32 v[178:179], v[178:179], v[172:173]
	ds_load_b128 v[170:173], v40 offset:1280
	v_fma_f64 v[176:177], v[176:177], v[28:29], v[180:181]
	v_fma_f64 v[174:175], v[174:175], v[28:29], -v[30:31]
	scratch_load_b128 v[28:31], off, off offset:464
	v_add_f64_e32 v[180:181], v[182:183], v[186:187]
	v_add_f64_e32 v[178:179], v[178:179], v[184:185]
	v_fma_f64 v[184:185], v[2:3], v[32:33], v[188:189]
	v_fma_f64 v[186:187], v[0:1], v[32:33], -v[34:35]
	ds_load_b128 v[0:3], v40 offset:1296
	s_wait_loadcnt_dscnt 0x801
	v_mul_f64_e32 v[182:183], v[170:171], v[168:169]
	v_mul_f64_e32 v[168:169], v[172:173], v[168:169]
	scratch_load_b128 v[32:35], off, off offset:480
	s_wait_loadcnt_dscnt 0x800
	v_mul_f64_e32 v[188:189], v[0:1], v[38:39]
	v_mul_f64_e32 v[38:39], v[2:3], v[38:39]
	v_add_f64_e32 v[180:181], v[180:181], v[174:175]
	v_add_f64_e32 v[178:179], v[178:179], v[176:177]
	ds_load_b128 v[174:177], v40 offset:1312
	v_fma_f64 v[172:173], v[172:173], v[166:167], v[182:183]
	v_fma_f64 v[170:171], v[170:171], v[166:167], -v[168:169]
	scratch_load_b128 v[166:169], off, off offset:496
	v_add_f64_e32 v[180:181], v[180:181], v[186:187]
	v_add_f64_e32 v[178:179], v[178:179], v[184:185]
	v_fma_f64 v[184:185], v[2:3], v[36:37], v[188:189]
	;; [unrolled: 18-line block ×6, first 2 shown]
	v_fma_f64 v[188:189], v[0:1], v[32:33], -v[34:35]
	ds_load_b128 v[0:3], v40 offset:1456
	s_wait_loadcnt_dscnt 0x801
	v_mul_f64_e32 v[182:183], v[174:175], v[168:169]
	v_mul_f64_e32 v[184:185], v[176:177], v[168:169]
	scratch_load_b128 v[32:35], off, off offset:640
	v_add_f64_e32 v[180:181], v[180:181], v[170:171]
	v_add_f64_e32 v[172:173], v[178:179], v[172:173]
	s_wait_loadcnt_dscnt 0x800
	v_mul_f64_e32 v[178:179], v[0:1], v[38:39]
	v_mul_f64_e32 v[38:39], v[2:3], v[38:39]
	ds_load_b128 v[168:171], v40 offset:1472
	v_fma_f64 v[176:177], v[176:177], v[166:167], v[182:183]
	v_fma_f64 v[166:167], v[174:175], v[166:167], -v[184:185]
	v_add_f64_e32 v[180:181], v[180:181], v[188:189]
	v_add_f64_e32 v[182:183], v[172:173], v[186:187]
	scratch_load_b128 v[172:175], off, off offset:656
	v_fma_f64 v[186:187], v[2:3], v[36:37], v[178:179]
	v_fma_f64 v[188:189], v[0:1], v[36:37], -v[38:39]
	ds_load_b128 v[0:3], v40 offset:1488
	s_wait_loadcnt_dscnt 0x801
	v_mul_f64_e32 v[184:185], v[168:169], v[6:7]
	v_mul_f64_e32 v[6:7], v[170:171], v[6:7]
	scratch_load_b128 v[36:39], off, off offset:672
	v_add_f64_e32 v[166:167], v[180:181], v[166:167]
	v_add_f64_e32 v[180:181], v[182:183], v[176:177]
	s_wait_loadcnt_dscnt 0x800
	v_mul_f64_e32 v[182:183], v[0:1], v[10:11]
	v_mul_f64_e32 v[10:11], v[2:3], v[10:11]
	ds_load_b128 v[176:179], v40 offset:1504
	v_fma_f64 v[170:171], v[170:171], v[4:5], v[184:185]
	v_fma_f64 v[168:169], v[168:169], v[4:5], -v[6:7]
	scratch_load_b128 v[4:7], off, off offset:688
	v_add_f64_e32 v[166:167], v[166:167], v[188:189]
	v_add_f64_e32 v[180:181], v[180:181], v[186:187]
	v_fma_f64 v[182:183], v[2:3], v[8:9], v[182:183]
	v_fma_f64 v[186:187], v[0:1], v[8:9], -v[10:11]
	ds_load_b128 v[0:3], v40 offset:1520
	s_wait_loadcnt_dscnt 0x801
	v_mul_f64_e32 v[184:185], v[176:177], v[14:15]
	v_mul_f64_e32 v[14:15], v[178:179], v[14:15]
	scratch_load_b128 v[8:11], off, off offset:704
	v_add_f64_e32 v[188:189], v[166:167], v[168:169]
	v_add_f64_e32 v[170:171], v[180:181], v[170:171]
	s_wait_loadcnt_dscnt 0x800
	v_mul_f64_e32 v[180:181], v[0:1], v[18:19]
	v_mul_f64_e32 v[18:19], v[2:3], v[18:19]
	ds_load_b128 v[166:169], v40 offset:1536
	v_fma_f64 v[178:179], v[178:179], v[12:13], v[184:185]
	v_fma_f64 v[176:177], v[176:177], v[12:13], -v[14:15]
	scratch_load_b128 v[12:15], off, off offset:720
	v_add_f64_e32 v[184:185], v[188:189], v[186:187]
	v_add_f64_e32 v[170:171], v[170:171], v[182:183]
	v_fma_f64 v[180:181], v[2:3], v[16:17], v[180:181]
	v_fma_f64 v[186:187], v[0:1], v[16:17], -v[18:19]
	ds_load_b128 v[0:3], v40 offset:1552
	s_wait_loadcnt_dscnt 0x801
	v_mul_f64_e32 v[182:183], v[166:167], v[22:23]
	v_mul_f64_e32 v[22:23], v[168:169], v[22:23]
	scratch_load_b128 v[16:19], off, off offset:736
	s_wait_loadcnt_dscnt 0x800
	v_mul_f64_e32 v[188:189], v[0:1], v[26:27]
	v_mul_f64_e32 v[26:27], v[2:3], v[26:27]
	v_add_f64_e32 v[184:185], v[184:185], v[176:177]
	v_add_f64_e32 v[170:171], v[170:171], v[178:179]
	ds_load_b128 v[176:179], v40 offset:1568
	v_fma_f64 v[168:169], v[168:169], v[20:21], v[182:183]
	v_fma_f64 v[166:167], v[166:167], v[20:21], -v[22:23]
	scratch_load_b128 v[20:23], off, off offset:752
	v_add_f64_e32 v[182:183], v[184:185], v[186:187]
	v_add_f64_e32 v[170:171], v[170:171], v[180:181]
	v_fma_f64 v[184:185], v[2:3], v[24:25], v[188:189]
	v_fma_f64 v[186:187], v[0:1], v[24:25], -v[26:27]
	ds_load_b128 v[0:3], v40 offset:1584
	s_wait_loadcnt_dscnt 0x801
	v_mul_f64_e32 v[180:181], v[176:177], v[30:31]
	v_mul_f64_e32 v[30:31], v[178:179], v[30:31]
	scratch_load_b128 v[24:27], off, off offset:768
	s_wait_loadcnt_dscnt 0x800
	v_mul_f64_e32 v[188:189], v[0:1], v[34:35]
	v_mul_f64_e32 v[34:35], v[2:3], v[34:35]
	v_add_f64_e32 v[182:183], v[182:183], v[166:167]
	v_add_f64_e32 v[170:171], v[170:171], v[168:169]
	ds_load_b128 v[166:169], v40 offset:1600
	v_fma_f64 v[178:179], v[178:179], v[28:29], v[180:181]
	v_fma_f64 v[176:177], v[176:177], v[28:29], -v[30:31]
	scratch_load_b128 v[28:31], off, off offset:784
	v_add_f64_e32 v[180:181], v[182:183], v[186:187]
	v_add_f64_e32 v[170:171], v[170:171], v[184:185]
	v_fma_f64 v[186:187], v[2:3], v[32:33], v[188:189]
	v_fma_f64 v[188:189], v[0:1], v[32:33], -v[34:35]
	ds_load_b128 v[0:3], v40 offset:1616
	scratch_load_b128 v[32:35], off, off offset:800
	s_wait_loadcnt_dscnt 0x901
	v_mul_f64_e32 v[182:183], v[166:167], v[174:175]
	v_mul_f64_e32 v[184:185], v[168:169], v[174:175]
	v_add_f64_e32 v[180:181], v[180:181], v[176:177]
	v_add_f64_e32 v[170:171], v[170:171], v[178:179]
	s_wait_loadcnt_dscnt 0x800
	v_mul_f64_e32 v[178:179], v[0:1], v[38:39]
	v_mul_f64_e32 v[38:39], v[2:3], v[38:39]
	ds_load_b128 v[174:177], v40 offset:1632
	v_fma_f64 v[182:183], v[168:169], v[172:173], v[182:183]
	v_fma_f64 v[172:173], v[166:167], v[172:173], -v[184:185]
	scratch_load_b128 v[166:169], off, off offset:816
	v_add_f64_e32 v[180:181], v[180:181], v[188:189]
	v_add_f64_e32 v[170:171], v[170:171], v[186:187]
	v_fma_f64 v[178:179], v[2:3], v[36:37], v[178:179]
	v_fma_f64 v[186:187], v[0:1], v[36:37], -v[38:39]
	ds_load_b128 v[0:3], v40 offset:1648
	s_wait_loadcnt_dscnt 0x801
	v_mul_f64_e32 v[184:185], v[174:175], v[6:7]
	v_mul_f64_e32 v[6:7], v[176:177], v[6:7]
	scratch_load_b128 v[36:39], off, off offset:832
	s_wait_loadcnt_dscnt 0x800
	v_mul_f64_e32 v[188:189], v[0:1], v[10:11]
	v_mul_f64_e32 v[10:11], v[2:3], v[10:11]
	v_add_f64_e32 v[180:181], v[180:181], v[172:173]
	v_add_f64_e32 v[182:183], v[170:171], v[182:183]
	ds_load_b128 v[170:173], v40 offset:1664
	v_fma_f64 v[176:177], v[176:177], v[4:5], v[184:185]
	v_fma_f64 v[174:175], v[174:175], v[4:5], -v[6:7]
	scratch_load_b128 v[4:7], off, off offset:848
	v_fma_f64 v[184:185], v[2:3], v[8:9], v[188:189]
	v_add_f64_e32 v[180:181], v[180:181], v[186:187]
	v_add_f64_e32 v[178:179], v[182:183], v[178:179]
	v_fma_f64 v[186:187], v[0:1], v[8:9], -v[10:11]
	ds_load_b128 v[0:3], v40 offset:1680
	s_wait_loadcnt_dscnt 0x801
	v_mul_f64_e32 v[182:183], v[170:171], v[14:15]
	v_mul_f64_e32 v[14:15], v[172:173], v[14:15]
	scratch_load_b128 v[8:11], off, off offset:864
	s_wait_loadcnt_dscnt 0x800
	v_mul_f64_e32 v[188:189], v[0:1], v[18:19]
	v_mul_f64_e32 v[18:19], v[2:3], v[18:19]
	v_add_f64_e32 v[180:181], v[180:181], v[174:175]
	v_add_f64_e32 v[178:179], v[178:179], v[176:177]
	ds_load_b128 v[174:177], v40 offset:1696
	v_fma_f64 v[172:173], v[172:173], v[12:13], v[182:183]
	v_fma_f64 v[170:171], v[170:171], v[12:13], -v[14:15]
	scratch_load_b128 v[12:15], off, off offset:880
	v_add_f64_e32 v[180:181], v[180:181], v[186:187]
	v_add_f64_e32 v[178:179], v[178:179], v[184:185]
	v_fma_f64 v[184:185], v[2:3], v[16:17], v[188:189]
	v_fma_f64 v[186:187], v[0:1], v[16:17], -v[18:19]
	ds_load_b128 v[0:3], v40 offset:1712
	s_wait_loadcnt_dscnt 0x801
	v_mul_f64_e32 v[182:183], v[174:175], v[22:23]
	v_mul_f64_e32 v[22:23], v[176:177], v[22:23]
	scratch_load_b128 v[16:19], off, off offset:896
	s_wait_loadcnt_dscnt 0x800
	v_mul_f64_e32 v[188:189], v[0:1], v[26:27]
	v_mul_f64_e32 v[26:27], v[2:3], v[26:27]
	v_add_f64_e32 v[180:181], v[180:181], v[170:171]
	v_add_f64_e32 v[178:179], v[178:179], v[172:173]
	ds_load_b128 v[170:173], v40 offset:1728
	v_fma_f64 v[176:177], v[176:177], v[20:21], v[182:183]
	v_fma_f64 v[174:175], v[174:175], v[20:21], -v[22:23]
	scratch_load_b128 v[20:23], off, off offset:912
	v_add_f64_e32 v[180:181], v[180:181], v[186:187]
	v_add_f64_e32 v[178:179], v[178:179], v[184:185]
	v_fma_f64 v[184:185], v[2:3], v[24:25], v[188:189]
	;; [unrolled: 18-line block ×3, first 2 shown]
	v_fma_f64 v[188:189], v[0:1], v[32:33], -v[34:35]
	ds_load_b128 v[0:3], v40 offset:1776
	s_wait_loadcnt_dscnt 0x801
	v_mul_f64_e32 v[182:183], v[174:175], v[168:169]
	v_mul_f64_e32 v[184:185], v[176:177], v[168:169]
	scratch_load_b128 v[32:35], off, off offset:960
	v_add_f64_e32 v[180:181], v[180:181], v[170:171]
	v_add_f64_e32 v[172:173], v[178:179], v[172:173]
	s_wait_loadcnt_dscnt 0x800
	v_mul_f64_e32 v[178:179], v[0:1], v[38:39]
	v_mul_f64_e32 v[38:39], v[2:3], v[38:39]
	ds_load_b128 v[168:171], v40 offset:1792
	v_fma_f64 v[176:177], v[176:177], v[166:167], v[182:183]
	v_fma_f64 v[166:167], v[174:175], v[166:167], -v[184:185]
	v_add_f64_e32 v[174:175], v[180:181], v[188:189]
	v_add_f64_e32 v[172:173], v[172:173], v[186:187]
	s_wait_loadcnt_dscnt 0x700
	v_mul_f64_e32 v[180:181], v[168:169], v[6:7]
	v_mul_f64_e32 v[6:7], v[170:171], v[6:7]
	v_fma_f64 v[178:179], v[2:3], v[36:37], v[178:179]
	v_fma_f64 v[182:183], v[0:1], v[36:37], -v[38:39]
	ds_load_b128 v[0:3], v40 offset:1808
	ds_load_b128 v[36:39], v40 offset:1824
	v_add_f64_e32 v[166:167], v[174:175], v[166:167]
	v_add_f64_e32 v[172:173], v[172:173], v[176:177]
	s_wait_loadcnt_dscnt 0x601
	v_mul_f64_e32 v[174:175], v[0:1], v[10:11]
	v_mul_f64_e32 v[10:11], v[2:3], v[10:11]
	v_fma_f64 v[170:171], v[170:171], v[4:5], v[180:181]
	v_fma_f64 v[4:5], v[168:169], v[4:5], -v[6:7]
	s_wait_loadcnt_dscnt 0x500
	v_mul_f64_e32 v[168:169], v[36:37], v[14:15]
	v_mul_f64_e32 v[14:15], v[38:39], v[14:15]
	v_add_f64_e32 v[6:7], v[166:167], v[182:183]
	v_add_f64_e32 v[166:167], v[172:173], v[178:179]
	v_fma_f64 v[172:173], v[2:3], v[8:9], v[174:175]
	v_fma_f64 v[8:9], v[0:1], v[8:9], -v[10:11]
	v_fma_f64 v[38:39], v[38:39], v[12:13], v[168:169]
	v_fma_f64 v[12:13], v[36:37], v[12:13], -v[14:15]
	v_add_f64_e32 v[10:11], v[6:7], v[4:5]
	v_add_f64_e32 v[166:167], v[166:167], v[170:171]
	ds_load_b128 v[0:3], v40 offset:1840
	ds_load_b128 v[4:7], v40 offset:1856
	s_wait_loadcnt_dscnt 0x401
	v_mul_f64_e32 v[170:171], v[0:1], v[18:19]
	v_mul_f64_e32 v[18:19], v[2:3], v[18:19]
	s_wait_loadcnt_dscnt 0x300
	v_mul_f64_e32 v[14:15], v[4:5], v[22:23]
	v_mul_f64_e32 v[22:23], v[6:7], v[22:23]
	v_add_f64_e32 v[8:9], v[10:11], v[8:9]
	v_add_f64_e32 v[10:11], v[166:167], v[172:173]
	v_fma_f64 v[36:37], v[2:3], v[16:17], v[170:171]
	v_fma_f64 v[16:17], v[0:1], v[16:17], -v[18:19]
	v_fma_f64 v[6:7], v[6:7], v[20:21], v[14:15]
	v_fma_f64 v[4:5], v[4:5], v[20:21], -v[22:23]
	v_add_f64_e32 v[12:13], v[8:9], v[12:13]
	v_add_f64_e32 v[18:19], v[10:11], v[38:39]
	ds_load_b128 v[0:3], v40 offset:1872
	ds_load_b128 v[8:11], v40 offset:1888
	s_wait_loadcnt_dscnt 0x201
	v_mul_f64_e32 v[38:39], v[0:1], v[26:27]
	v_mul_f64_e32 v[26:27], v[2:3], v[26:27]
	v_add_f64_e32 v[12:13], v[12:13], v[16:17]
	v_add_f64_e32 v[14:15], v[18:19], v[36:37]
	s_wait_loadcnt_dscnt 0x100
	v_mul_f64_e32 v[16:17], v[8:9], v[30:31]
	v_mul_f64_e32 v[18:19], v[10:11], v[30:31]
	v_fma_f64 v[20:21], v[2:3], v[24:25], v[38:39]
	v_fma_f64 v[22:23], v[0:1], v[24:25], -v[26:27]
	ds_load_b128 v[0:3], v40 offset:1904
	v_add_f64_e32 v[4:5], v[12:13], v[4:5]
	v_add_f64_e32 v[6:7], v[14:15], v[6:7]
	v_fma_f64 v[10:11], v[10:11], v[28:29], v[16:17]
	v_fma_f64 v[8:9], v[8:9], v[28:29], -v[18:19]
	s_wait_loadcnt_dscnt 0x0
	v_mul_f64_e32 v[12:13], v[0:1], v[34:35]
	v_mul_f64_e32 v[14:15], v[2:3], v[34:35]
	v_add_f64_e32 v[4:5], v[4:5], v[22:23]
	v_add_f64_e32 v[6:7], v[6:7], v[20:21]
	s_delay_alu instid0(VALU_DEP_4) | instskip(NEXT) | instid1(VALU_DEP_4)
	v_fma_f64 v[2:3], v[2:3], v[32:33], v[12:13]
	v_fma_f64 v[0:1], v[0:1], v[32:33], -v[14:15]
	s_delay_alu instid0(VALU_DEP_4) | instskip(NEXT) | instid1(VALU_DEP_4)
	v_add_f64_e32 v[4:5], v[4:5], v[8:9]
	v_add_f64_e32 v[6:7], v[6:7], v[10:11]
	s_delay_alu instid0(VALU_DEP_2) | instskip(NEXT) | instid1(VALU_DEP_2)
	v_add_f64_e32 v[0:1], v[4:5], v[0:1]
	v_add_f64_e32 v[2:3], v[6:7], v[2:3]
	s_delay_alu instid0(VALU_DEP_2) | instskip(NEXT) | instid1(VALU_DEP_2)
	v_add_f64_e64 v[0:1], v[162:163], -v[0:1]
	v_add_f64_e64 v[2:3], v[164:165], -v[2:3]
	scratch_store_b128 off, v[0:3], off offset:16
	s_wait_alu 0xfffe
	s_cbranch_vccz .LBB123_492
; %bb.374:
	global_load_b32 v0, v40, s[2:3] offset:232
	s_wait_loadcnt 0x0
	v_cmp_ne_u32_e32 vcc_lo, 59, v0
	s_cbranch_vccz .LBB123_376
; %bb.375:
	v_lshlrev_b32_e32 v0, 4, v0
	s_delay_alu instid0(VALU_DEP_1)
	v_add_nc_u32_e32 v8, 16, v0
	s_clause 0x1
	scratch_load_b128 v[0:3], v8, off offset:-16
	scratch_load_b128 v[4:7], off, s11
	s_wait_loadcnt 0x1
	scratch_store_b128 off, v[0:3], s11
	s_wait_loadcnt 0x0
	scratch_store_b128 v8, v[4:7], off offset:-16
.LBB123_376:
	v_mov_b32_e32 v0, 0
	global_load_b32 v1, v0, s[2:3] offset:228
	s_wait_loadcnt 0x0
	v_cmp_eq_u32_e32 vcc_lo, 58, v1
	s_cbranch_vccnz .LBB123_378
; %bb.377:
	v_lshlrev_b32_e32 v1, 4, v1
	s_delay_alu instid0(VALU_DEP_1)
	v_add_nc_u32_e32 v9, 16, v1
	s_clause 0x1
	scratch_load_b128 v[1:4], v9, off offset:-16
	scratch_load_b128 v[5:8], off, s14
	s_wait_loadcnt 0x1
	scratch_store_b128 off, v[1:4], s14
	s_wait_loadcnt 0x0
	scratch_store_b128 v9, v[5:8], off offset:-16
.LBB123_378:
	global_load_b32 v0, v0, s[2:3] offset:224
	s_wait_loadcnt 0x0
	v_cmp_eq_u32_e32 vcc_lo, 57, v0
	s_cbranch_vccnz .LBB123_380
; %bb.379:
	v_lshlrev_b32_e32 v0, 4, v0
	s_delay_alu instid0(VALU_DEP_1)
	v_add_nc_u32_e32 v8, 16, v0
	s_clause 0x1
	scratch_load_b128 v[0:3], v8, off offset:-16
	scratch_load_b128 v[4:7], off, s16
	s_wait_loadcnt 0x1
	scratch_store_b128 off, v[0:3], s16
	s_wait_loadcnt 0x0
	scratch_store_b128 v8, v[4:7], off offset:-16
.LBB123_380:
	v_mov_b32_e32 v0, 0
	global_load_b32 v1, v0, s[2:3] offset:220
	s_wait_loadcnt 0x0
	v_cmp_eq_u32_e32 vcc_lo, 56, v1
	s_cbranch_vccnz .LBB123_382
; %bb.381:
	v_lshlrev_b32_e32 v1, 4, v1
	s_delay_alu instid0(VALU_DEP_1)
	v_add_nc_u32_e32 v9, 16, v1
	s_clause 0x1
	scratch_load_b128 v[1:4], v9, off offset:-16
	scratch_load_b128 v[5:8], off, s17
	s_wait_loadcnt 0x1
	scratch_store_b128 off, v[1:4], s17
	s_wait_loadcnt 0x0
	scratch_store_b128 v9, v[5:8], off offset:-16
.LBB123_382:
	global_load_b32 v0, v0, s[2:3] offset:216
	s_wait_loadcnt 0x0
	v_cmp_eq_u32_e32 vcc_lo, 55, v0
	s_cbranch_vccnz .LBB123_384
; %bb.383:
	v_lshlrev_b32_e32 v0, 4, v0
	s_delay_alu instid0(VALU_DEP_1)
	v_add_nc_u32_e32 v8, 16, v0
	s_clause 0x1
	scratch_load_b128 v[0:3], v8, off offset:-16
	scratch_load_b128 v[4:7], off, s18
	s_wait_loadcnt 0x1
	scratch_store_b128 off, v[0:3], s18
	s_wait_loadcnt 0x0
	scratch_store_b128 v8, v[4:7], off offset:-16
.LBB123_384:
	;; [unrolled: 33-line block ×28, first 2 shown]
	v_mov_b32_e32 v0, 0
	global_load_b32 v1, v0, s[2:3] offset:4
	s_wait_loadcnt 0x0
	v_cmp_eq_u32_e32 vcc_lo, 2, v1
	s_cbranch_vccnz .LBB123_490
; %bb.489:
	v_lshlrev_b32_e32 v1, 4, v1
	s_delay_alu instid0(VALU_DEP_1)
	v_add_nc_u32_e32 v9, 16, v1
	s_clause 0x1
	scratch_load_b128 v[1:4], v9, off offset:-16
	scratch_load_b128 v[5:8], off, s15
	s_wait_loadcnt 0x1
	scratch_store_b128 off, v[1:4], s15
	s_wait_loadcnt 0x0
	scratch_store_b128 v9, v[5:8], off offset:-16
.LBB123_490:
	global_load_b32 v0, v0, s[2:3]
	s_wait_loadcnt 0x0
	v_cmp_eq_u32_e32 vcc_lo, 1, v0
	s_cbranch_vccnz .LBB123_492
; %bb.491:
	v_lshlrev_b32_e32 v0, 4, v0
	s_delay_alu instid0(VALU_DEP_1)
	v_add_nc_u32_e32 v8, 16, v0
	scratch_load_b128 v[0:3], v8, off offset:-16
	scratch_load_b128 v[4:7], off, off offset:16
	s_wait_loadcnt 0x1
	scratch_store_b128 off, v[0:3], off offset:16
	s_wait_loadcnt 0x0
	scratch_store_b128 v8, v[4:7], off offset:-16
.LBB123_492:
	scratch_load_b128 v[0:3], off, off offset:16
	s_wait_loadcnt 0x0
	flat_store_b128 v[42:43], v[0:3]
	scratch_load_b128 v[0:3], off, s15
	s_wait_loadcnt 0x0
	flat_store_b128 v[44:45], v[0:3]
	scratch_load_b128 v[0:3], off, s13
	;; [unrolled: 3-line block ×59, first 2 shown]
	s_wait_loadcnt 0x0
	flat_store_b128 v[160:161], v[0:3]
	s_nop 0
	s_sendmsg sendmsg(MSG_DEALLOC_VGPRS)
	s_endpgm
	.section	.rodata,"a",@progbits
	.p2align	6, 0x0
	.amdhsa_kernel _ZN9rocsolver6v33100L18getri_kernel_smallILi60E19rocblas_complex_numIdEPKPS3_EEvT1_iilPiilS8_bb
		.amdhsa_group_segment_fixed_size 1928
		.amdhsa_private_segment_fixed_size 992
		.amdhsa_kernarg_size 60
		.amdhsa_user_sgpr_count 2
		.amdhsa_user_sgpr_dispatch_ptr 0
		.amdhsa_user_sgpr_queue_ptr 0
		.amdhsa_user_sgpr_kernarg_segment_ptr 1
		.amdhsa_user_sgpr_dispatch_id 0
		.amdhsa_user_sgpr_private_segment_size 0
		.amdhsa_wavefront_size32 1
		.amdhsa_uses_dynamic_stack 0
		.amdhsa_enable_private_segment 1
		.amdhsa_system_sgpr_workgroup_id_x 1
		.amdhsa_system_sgpr_workgroup_id_y 0
		.amdhsa_system_sgpr_workgroup_id_z 0
		.amdhsa_system_sgpr_workgroup_info 0
		.amdhsa_system_vgpr_workitem_id 0
		.amdhsa_next_free_vgpr 190
		.amdhsa_next_free_sgpr 96
		.amdhsa_reserve_vcc 1
		.amdhsa_float_round_mode_32 0
		.amdhsa_float_round_mode_16_64 0
		.amdhsa_float_denorm_mode_32 3
		.amdhsa_float_denorm_mode_16_64 3
		.amdhsa_fp16_overflow 0
		.amdhsa_workgroup_processor_mode 1
		.amdhsa_memory_ordered 1
		.amdhsa_forward_progress 1
		.amdhsa_inst_pref_size 255
		.amdhsa_round_robin_scheduling 0
		.amdhsa_exception_fp_ieee_invalid_op 0
		.amdhsa_exception_fp_denorm_src 0
		.amdhsa_exception_fp_ieee_div_zero 0
		.amdhsa_exception_fp_ieee_overflow 0
		.amdhsa_exception_fp_ieee_underflow 0
		.amdhsa_exception_fp_ieee_inexact 0
		.amdhsa_exception_int_div_zero 0
	.end_amdhsa_kernel
	.section	.text._ZN9rocsolver6v33100L18getri_kernel_smallILi60E19rocblas_complex_numIdEPKPS3_EEvT1_iilPiilS8_bb,"axG",@progbits,_ZN9rocsolver6v33100L18getri_kernel_smallILi60E19rocblas_complex_numIdEPKPS3_EEvT1_iilPiilS8_bb,comdat
.Lfunc_end123:
	.size	_ZN9rocsolver6v33100L18getri_kernel_smallILi60E19rocblas_complex_numIdEPKPS3_EEvT1_iilPiilS8_bb, .Lfunc_end123-_ZN9rocsolver6v33100L18getri_kernel_smallILi60E19rocblas_complex_numIdEPKPS3_EEvT1_iilPiilS8_bb
                                        ; -- End function
	.set _ZN9rocsolver6v33100L18getri_kernel_smallILi60E19rocblas_complex_numIdEPKPS3_EEvT1_iilPiilS8_bb.num_vgpr, 190
	.set _ZN9rocsolver6v33100L18getri_kernel_smallILi60E19rocblas_complex_numIdEPKPS3_EEvT1_iilPiilS8_bb.num_agpr, 0
	.set _ZN9rocsolver6v33100L18getri_kernel_smallILi60E19rocblas_complex_numIdEPKPS3_EEvT1_iilPiilS8_bb.numbered_sgpr, 96
	.set _ZN9rocsolver6v33100L18getri_kernel_smallILi60E19rocblas_complex_numIdEPKPS3_EEvT1_iilPiilS8_bb.num_named_barrier, 0
	.set _ZN9rocsolver6v33100L18getri_kernel_smallILi60E19rocblas_complex_numIdEPKPS3_EEvT1_iilPiilS8_bb.private_seg_size, 992
	.set _ZN9rocsolver6v33100L18getri_kernel_smallILi60E19rocblas_complex_numIdEPKPS3_EEvT1_iilPiilS8_bb.uses_vcc, 1
	.set _ZN9rocsolver6v33100L18getri_kernel_smallILi60E19rocblas_complex_numIdEPKPS3_EEvT1_iilPiilS8_bb.uses_flat_scratch, 1
	.set _ZN9rocsolver6v33100L18getri_kernel_smallILi60E19rocblas_complex_numIdEPKPS3_EEvT1_iilPiilS8_bb.has_dyn_sized_stack, 0
	.set _ZN9rocsolver6v33100L18getri_kernel_smallILi60E19rocblas_complex_numIdEPKPS3_EEvT1_iilPiilS8_bb.has_recursion, 0
	.set _ZN9rocsolver6v33100L18getri_kernel_smallILi60E19rocblas_complex_numIdEPKPS3_EEvT1_iilPiilS8_bb.has_indirect_call, 0
	.section	.AMDGPU.csdata,"",@progbits
; Kernel info:
; codeLenInByte = 139588
; TotalNumSgprs: 98
; NumVgprs: 190
; ScratchSize: 992
; MemoryBound: 0
; FloatMode: 240
; IeeeMode: 1
; LDSByteSize: 1928 bytes/workgroup (compile time only)
; SGPRBlocks: 0
; VGPRBlocks: 23
; NumSGPRsForWavesPerEU: 98
; NumVGPRsForWavesPerEU: 190
; Occupancy: 8
; WaveLimiterHint : 1
; COMPUTE_PGM_RSRC2:SCRATCH_EN: 1
; COMPUTE_PGM_RSRC2:USER_SGPR: 2
; COMPUTE_PGM_RSRC2:TRAP_HANDLER: 0
; COMPUTE_PGM_RSRC2:TGID_X_EN: 1
; COMPUTE_PGM_RSRC2:TGID_Y_EN: 0
; COMPUTE_PGM_RSRC2:TGID_Z_EN: 0
; COMPUTE_PGM_RSRC2:TIDIG_COMP_CNT: 0
	.section	.text._ZN9rocsolver6v33100L18getri_kernel_smallILi61E19rocblas_complex_numIdEPKPS3_EEvT1_iilPiilS8_bb,"axG",@progbits,_ZN9rocsolver6v33100L18getri_kernel_smallILi61E19rocblas_complex_numIdEPKPS3_EEvT1_iilPiilS8_bb,comdat
	.globl	_ZN9rocsolver6v33100L18getri_kernel_smallILi61E19rocblas_complex_numIdEPKPS3_EEvT1_iilPiilS8_bb ; -- Begin function _ZN9rocsolver6v33100L18getri_kernel_smallILi61E19rocblas_complex_numIdEPKPS3_EEvT1_iilPiilS8_bb
	.p2align	8
	.type	_ZN9rocsolver6v33100L18getri_kernel_smallILi61E19rocblas_complex_numIdEPKPS3_EEvT1_iilPiilS8_bb,@function
_ZN9rocsolver6v33100L18getri_kernel_smallILi61E19rocblas_complex_numIdEPKPS3_EEvT1_iilPiilS8_bb: ; @_ZN9rocsolver6v33100L18getri_kernel_smallILi61E19rocblas_complex_numIdEPKPS3_EEvT1_iilPiilS8_bb
; %bb.0:
	s_mov_b32 s2, exec_lo
	v_cmpx_gt_u32_e32 61, v0
	s_cbranch_execz .LBB124_270
; %bb.1:
	s_clause 0x1
	s_load_b32 s15, s[0:1], 0x38
	s_load_b64 s[2:3], s[0:1], 0x0
	s_mov_b32 s10, ttmp9
	s_load_b128 s[4:7], s[0:1], 0x28
	s_wait_kmcnt 0x0
	s_bitcmp1_b32 s15, 8
	s_cselect_b32 s14, -1, 0
	s_ashr_i32 s11, ttmp9, 31
	s_delay_alu instid0(SALU_CYCLE_1) | instskip(NEXT) | instid1(SALU_CYCLE_1)
	s_lshl_b64 s[8:9], s[10:11], 3
	s_add_nc_u64 s[2:3], s[2:3], s[8:9]
                                        ; implicit-def: $sgpr8_sgpr9
	s_load_b64 s[12:13], s[2:3], 0x0
	s_bfe_u32 s2, s15, 0x10008
	s_delay_alu instid0(SALU_CYCLE_1)
	s_cmp_eq_u32 s2, 0
	s_cbranch_scc1 .LBB124_3
; %bb.2:
	s_load_b96 s[16:18], s[0:1], 0x18
	s_mul_u64 s[2:3], s[4:5], s[10:11]
	s_delay_alu instid0(SALU_CYCLE_1)
	s_lshl_b64 s[2:3], s[2:3], 2
	s_wait_kmcnt 0x0
	s_ashr_i32 s5, s18, 31
	s_mov_b32 s4, s18
	s_add_nc_u64 s[2:3], s[16:17], s[2:3]
	s_lshl_b64 s[4:5], s[4:5], 2
	s_delay_alu instid0(SALU_CYCLE_1)
	s_add_nc_u64 s[8:9], s[2:3], s[4:5]
.LBB124_3:
	s_clause 0x1
	s_load_b64 s[2:3], s[0:1], 0x8
	s_load_b32 s72, s[0:1], 0x38
	v_lshlrev_b32_e32 v13, 4, v0
	s_movk_i32 s16, 0xb0
	s_movk_i32 s18, 0xc0
	;; [unrolled: 1-line block ×17, first 2 shown]
	s_wait_kmcnt 0x0
	s_ashr_i32 s1, s2, 31
	s_mov_b32 s0, s2
	s_ashr_i32 s5, s3, 31
	s_lshl_b64 s[0:1], s[0:1], 4
	s_mov_b32 s4, s3
	s_add_nc_u64 s[0:1], s[12:13], s[0:1]
	s_lshl_b64 s[4:5], s[4:5], 4
	v_add_co_u32 v42, s2, s0, v13
	s_delay_alu instid0(VALU_DEP_1) | instskip(SKIP_1) | instid1(VALU_DEP_3)
	v_add_co_ci_u32_e64 v43, null, s1, 0, s2
	v_add3_u32 v5, s3, s3, v0
	v_add_co_u32 v44, vcc_lo, v42, s4
	flat_load_b128 v[1:4], v[42:43]
	v_add_co_ci_u32_e64 v45, null, s5, v43, vcc_lo
	v_ashrrev_i32_e32 v6, 31, v5
	s_movk_i32 s2, 0x70
	s_movk_i32 s5, 0x90
	s_movk_i32 s13, 0xa0
	s_movk_i32 s35, 0x1c0
	v_lshlrev_b64_e32 v[6:7], 4, v[5:6]
	v_add_nc_u32_e32 v5, s3, v5
	s_movk_i32 s36, 0x1d0
	s_movk_i32 s37, 0x1e0
	s_movk_i32 s38, 0x1f0
	s_movk_i32 s39, 0x200
	v_add_co_u32 v46, vcc_lo, s0, v6
	s_wait_alu 0xfffd
	v_add_co_ci_u32_e64 v47, null, s1, v7, vcc_lo
	v_ashrrev_i32_e32 v6, 31, v5
	s_movk_i32 s40, 0x210
	s_movk_i32 s41, 0x220
	s_movk_i32 s73, 0x230
	s_movk_i32 s74, 0x240
	v_lshlrev_b64_e32 v[6:7], 4, v[5:6]
	v_add_nc_u32_e32 v5, s3, v5
	s_movk_i32 s75, 0x250
	s_movk_i32 s76, 0x260
	s_movk_i32 s77, 0x270
	s_movk_i32 s78, 0x280
	v_add_co_u32 v48, vcc_lo, s0, v6
	s_wait_alu 0xfffd
	;; [unrolled: 14-line block ×4, first 2 shown]
	v_add_co_ci_u32_e64 v53, null, s1, v7, vcc_lo
	v_ashrrev_i32_e32 v6, 31, v5
	s_movk_i32 s95, 0x390
	s_movk_i32 s96, 0x3a0
	;; [unrolled: 1-line block ×4, first 2 shown]
	v_lshlrev_b64_e32 v[6:7], 4, v[5:6]
	v_add_nc_u32_e32 v5, s3, v5
	s_wait_alu 0xfffe
	s_add_co_i32 s69, s2, 16
	s_add_co_i32 s67, s5, 16
	s_add_co_i32 s66, s13, 16
	s_add_co_i32 s65, s16, 16
	v_add_co_u32 v54, vcc_lo, s0, v6
	s_wait_alu 0xfffd
	v_add_co_ci_u32_e64 v55, null, s1, v7, vcc_lo
	v_ashrrev_i32_e32 v6, 31, v5
	s_add_co_i32 s64, s18, 16
	s_add_co_i32 s63, s19, 16
	s_add_co_i32 s62, s20, 16
	s_add_co_i32 s61, s21, 16
	v_lshlrev_b64_e32 v[6:7], 4, v[5:6]
	v_add_nc_u32_e32 v5, s3, v5
	s_add_co_i32 s60, s22, 16
	s_add_co_i32 s59, s23, 16
	s_add_co_i32 s58, s24, 16
	s_add_co_i32 s57, s25, 16
	v_add_co_u32 v56, vcc_lo, s0, v6
	s_wait_alu 0xfffd
	v_add_co_ci_u32_e64 v57, null, s1, v7, vcc_lo
	v_ashrrev_i32_e32 v6, 31, v5
	s_add_co_i32 s56, s26, 16
	s_add_co_i32 s55, s27, 16
	s_add_co_i32 s54, s28, 16
	s_add_co_i32 s53, s29, 16
	v_lshlrev_b64_e32 v[6:7], 4, v[5:6]
	v_add_nc_u32_e32 v5, s3, v5
	;; [unrolled: 14-line block ×6, first 2 shown]
	s_add_co_i32 s19, s94, 16
	s_add_co_i32 s18, s95, 16
	;; [unrolled: 1-line block ×4, first 2 shown]
	v_add_co_u32 v66, vcc_lo, s0, v6
	s_wait_alu 0xfffd
	v_add_co_ci_u32_e64 v67, null, s1, v7, vcc_lo
	v_ashrrev_i32_e32 v6, 31, v5
	s_add_co_i32 s5, s98, 16
	s_mov_b32 s17, 32
	s_mov_b32 s15, 48
	;; [unrolled: 1-line block ×3, first 2 shown]
	v_lshlrev_b64_e32 v[6:7], 4, v[5:6]
	v_add_nc_u32_e32 v5, s3, v5
	s_movk_i32 s4, 0x50
	s_delay_alu instid0(VALU_DEP_2) | instskip(SKIP_1) | instid1(VALU_DEP_3)
	v_add_co_u32 v68, vcc_lo, s0, v6
	s_wait_alu 0xfffd
	v_add_co_ci_u32_e64 v69, null, s1, v7, vcc_lo
	v_ashrrev_i32_e32 v6, 31, v5
	s_delay_alu instid0(VALU_DEP_1) | instskip(SKIP_1) | instid1(VALU_DEP_2)
	v_lshlrev_b64_e32 v[6:7], 4, v[5:6]
	v_add_nc_u32_e32 v5, s3, v5
	v_add_co_u32 v70, vcc_lo, s0, v6
	s_wait_alu 0xfffd
	s_delay_alu instid0(VALU_DEP_3) | instskip(NEXT) | instid1(VALU_DEP_3)
	v_add_co_ci_u32_e64 v71, null, s1, v7, vcc_lo
	v_ashrrev_i32_e32 v6, 31, v5
	s_delay_alu instid0(VALU_DEP_1) | instskip(SKIP_1) | instid1(VALU_DEP_2)
	v_lshlrev_b64_e32 v[6:7], 4, v[5:6]
	v_add_nc_u32_e32 v5, s3, v5
	v_add_co_u32 v72, vcc_lo, s0, v6
	s_wait_alu 0xfffd
	s_delay_alu instid0(VALU_DEP_3) | instskip(NEXT) | instid1(VALU_DEP_3)
	;; [unrolled: 8-line block ×9, first 2 shown]
	v_add_co_ci_u32_e64 v87, null, s1, v7, vcc_lo
	v_ashrrev_i32_e32 v6, 31, v5
	s_wait_loadcnt_dscnt 0x0
	scratch_store_b128 off, v[1:4], off offset:16
	flat_load_b128 v[1:4], v[44:45]
	v_lshlrev_b64_e32 v[6:7], 4, v[5:6]
	v_add_nc_u32_e32 v5, s3, v5
	s_delay_alu instid0(VALU_DEP_2) | instskip(SKIP_1) | instid1(VALU_DEP_3)
	v_add_co_u32 v88, vcc_lo, s0, v6
	s_wait_alu 0xfffd
	v_add_co_ci_u32_e64 v89, null, s1, v7, vcc_lo
	s_delay_alu instid0(VALU_DEP_3) | instskip(NEXT) | instid1(VALU_DEP_1)
	v_ashrrev_i32_e32 v6, 31, v5
	v_lshlrev_b64_e32 v[6:7], 4, v[5:6]
	v_add_nc_u32_e32 v5, s3, v5
	s_delay_alu instid0(VALU_DEP_2) | instskip(SKIP_1) | instid1(VALU_DEP_3)
	v_add_co_u32 v90, vcc_lo, s0, v6
	s_wait_alu 0xfffd
	v_add_co_ci_u32_e64 v91, null, s1, v7, vcc_lo
	s_delay_alu instid0(VALU_DEP_3) | instskip(NEXT) | instid1(VALU_DEP_1)
	v_ashrrev_i32_e32 v6, 31, v5
	;; [unrolled: 8-line block ×21, first 2 shown]
	v_lshlrev_b64_e32 v[6:7], 4, v[5:6]
	v_add_nc_u32_e32 v5, s3, v5
	s_wait_loadcnt_dscnt 0x0
	scratch_store_b128 off, v[1:4], off offset:32
	flat_load_b128 v[1:4], v[46:47]
	v_add_co_u32 v130, vcc_lo, s0, v6
	s_wait_alu 0xfffd
	v_add_co_ci_u32_e64 v131, null, s1, v7, vcc_lo
	v_ashrrev_i32_e32 v6, 31, v5
	s_delay_alu instid0(VALU_DEP_1) | instskip(SKIP_1) | instid1(VALU_DEP_2)
	v_lshlrev_b64_e32 v[6:7], 4, v[5:6]
	v_add_nc_u32_e32 v5, s3, v5
	v_add_co_u32 v132, vcc_lo, s0, v6
	s_wait_alu 0xfffd
	s_delay_alu instid0(VALU_DEP_3) | instskip(NEXT) | instid1(VALU_DEP_3)
	v_add_co_ci_u32_e64 v133, null, s1, v7, vcc_lo
	v_ashrrev_i32_e32 v6, 31, v5
	s_delay_alu instid0(VALU_DEP_1) | instskip(SKIP_1) | instid1(VALU_DEP_2)
	v_lshlrev_b64_e32 v[6:7], 4, v[5:6]
	v_add_nc_u32_e32 v5, s3, v5
	v_add_co_u32 v134, vcc_lo, s0, v6
	s_wait_alu 0xfffd
	s_delay_alu instid0(VALU_DEP_3) | instskip(NEXT) | instid1(VALU_DEP_3)
	;; [unrolled: 8-line block ×14, first 2 shown]
	v_add_co_ci_u32_e64 v159, null, s1, v7, vcc_lo
	v_ashrrev_i32_e32 v6, 31, v5
	s_delay_alu instid0(VALU_DEP_1) | instskip(SKIP_4) | instid1(VALU_DEP_2)
	v_lshlrev_b64_e32 v[6:7], 4, v[5:6]
	v_add_nc_u32_e32 v5, s3, v5
	s_movk_i32 s3, 0x80
	s_wait_alu 0xfffe
	s_add_co_i32 s68, s3, 16
	v_add_co_u32 v160, vcc_lo, s0, v6
	s_wait_alu 0xfffd
	v_add_co_ci_u32_e64 v161, null, s1, v7, vcc_lo
	v_ashrrev_i32_e32 v6, 31, v5
	s_delay_alu instid0(VALU_DEP_1) | instskip(NEXT) | instid1(VALU_DEP_1)
	v_lshlrev_b64_e32 v[5:6], 4, v[5:6]
	v_add_co_u32 v162, vcc_lo, s0, v5
	s_wait_alu 0xfffd
	s_delay_alu instid0(VALU_DEP_2)
	v_add_co_ci_u32_e64 v163, null, s1, v6, vcc_lo
	s_movk_i32 s0, 0x50
	s_movk_i32 s1, 0x60
	s_wait_alu 0xfffe
	s_add_co_i32 s71, s0, 16
	s_add_co_i32 s70, s1, 16
	s_bitcmp0_b32 s72, 0
	s_mov_b32 s1, -1
	s_wait_loadcnt_dscnt 0x0
	scratch_store_b128 off, v[1:4], off offset:48
	flat_load_b128 v[1:4], v[48:49]
	s_wait_loadcnt_dscnt 0x0
	scratch_store_b128 off, v[1:4], off offset:64
	flat_load_b128 v[1:4], v[50:51]
	;; [unrolled: 3-line block ×58, first 2 shown]
	s_wait_loadcnt_dscnt 0x0
	scratch_store_b128 off, v[1:4], off offset:976
	s_cbranch_scc1 .LBB124_268
; %bb.4:
	v_cmp_eq_u32_e64 s0, 0, v0
	s_and_saveexec_b32 s1, s0
; %bb.5:
	v_mov_b32_e32 v1, 0
	ds_store_b32 v1, v1 offset:1952
; %bb.6:
	s_wait_alu 0xfffe
	s_or_b32 exec_lo, exec_lo, s1
	s_wait_storecnt_dscnt 0x0
	s_barrier_signal -1
	s_barrier_wait -1
	global_inv scope:SCOPE_SE
	scratch_load_b128 v[1:4], v13, off offset:16
	s_wait_loadcnt 0x0
	v_cmp_eq_f64_e32 vcc_lo, 0, v[1:2]
	v_cmp_eq_f64_e64 s1, 0, v[3:4]
	s_and_b32 s1, vcc_lo, s1
	s_wait_alu 0xfffe
	s_and_saveexec_b32 s2, s1
	s_cbranch_execz .LBB124_10
; %bb.7:
	v_mov_b32_e32 v1, 0
	s_mov_b32 s3, 0
	ds_load_b32 v2, v1 offset:1952
	s_wait_dscnt 0x0
	v_readfirstlane_b32 s1, v2
	v_add_nc_u32_e32 v2, 1, v0
	s_cmp_eq_u32 s1, 0
	s_delay_alu instid0(VALU_DEP_1) | instskip(SKIP_1) | instid1(SALU_CYCLE_1)
	v_cmp_gt_i32_e32 vcc_lo, s1, v2
	s_cselect_b32 s72, -1, 0
	s_or_b32 s72, s72, vcc_lo
	s_delay_alu instid0(SALU_CYCLE_1)
	s_and_b32 exec_lo, exec_lo, s72
	s_cbranch_execz .LBB124_10
; %bb.8:
	v_mov_b32_e32 v3, s1
.LBB124_9:                              ; =>This Inner Loop Header: Depth=1
	ds_cmpstore_rtn_b32 v3, v1, v2, v3 offset:1952
	s_wait_dscnt 0x0
	v_cmp_ne_u32_e32 vcc_lo, 0, v3
	v_cmp_le_i32_e64 s1, v3, v2
	s_and_b32 s1, vcc_lo, s1
	s_wait_alu 0xfffe
	s_and_b32 s1, exec_lo, s1
	s_wait_alu 0xfffe
	s_or_b32 s3, s1, s3
	s_wait_alu 0xfffe
	s_and_not1_b32 exec_lo, exec_lo, s3
	s_cbranch_execnz .LBB124_9
.LBB124_10:
	s_wait_alu 0xfffe
	s_or_b32 exec_lo, exec_lo, s2
	v_mov_b32_e32 v1, 0
	s_barrier_signal -1
	s_barrier_wait -1
	global_inv scope:SCOPE_SE
	ds_load_b32 v2, v1 offset:1952
	s_and_saveexec_b32 s1, s0
	s_cbranch_execz .LBB124_12
; %bb.11:
	s_lshl_b64 s[2:3], s[10:11], 2
	s_wait_alu 0xfffe
	s_add_nc_u64 s[2:3], s[6:7], s[2:3]
	s_wait_dscnt 0x0
	global_store_b32 v1, v2, s[2:3]
.LBB124_12:
	s_wait_alu 0xfffe
	s_or_b32 exec_lo, exec_lo, s1
	s_wait_dscnt 0x0
	v_cmp_ne_u32_e32 vcc_lo, 0, v2
	s_mov_b32 s1, 0
	s_cbranch_vccnz .LBB124_268
; %bb.13:
	v_add_nc_u32_e32 v14, 16, v13
                                        ; implicit-def: $vgpr1_vgpr2
                                        ; implicit-def: $vgpr9_vgpr10
	scratch_load_b128 v[5:8], v14, off
	s_wait_loadcnt 0x0
	v_cmp_ngt_f64_e64 s1, |v[5:6]|, |v[7:8]|
	s_wait_alu 0xfffe
	s_and_saveexec_b32 s2, s1
	s_wait_alu 0xfffe
	s_xor_b32 s1, exec_lo, s2
	s_cbranch_execz .LBB124_15
; %bb.14:
	v_div_scale_f64 v[1:2], null, v[7:8], v[7:8], v[5:6]
	v_div_scale_f64 v[11:12], vcc_lo, v[5:6], v[7:8], v[5:6]
	s_delay_alu instid0(VALU_DEP_2) | instskip(NEXT) | instid1(TRANS32_DEP_1)
	v_rcp_f64_e32 v[3:4], v[1:2]
	v_fma_f64 v[9:10], -v[1:2], v[3:4], 1.0
	s_delay_alu instid0(VALU_DEP_1) | instskip(NEXT) | instid1(VALU_DEP_1)
	v_fma_f64 v[3:4], v[3:4], v[9:10], v[3:4]
	v_fma_f64 v[9:10], -v[1:2], v[3:4], 1.0
	s_delay_alu instid0(VALU_DEP_1) | instskip(NEXT) | instid1(VALU_DEP_1)
	v_fma_f64 v[3:4], v[3:4], v[9:10], v[3:4]
	v_mul_f64_e32 v[9:10], v[11:12], v[3:4]
	s_delay_alu instid0(VALU_DEP_1) | instskip(SKIP_1) | instid1(VALU_DEP_1)
	v_fma_f64 v[1:2], -v[1:2], v[9:10], v[11:12]
	s_wait_alu 0xfffd
	v_div_fmas_f64 v[1:2], v[1:2], v[3:4], v[9:10]
	s_delay_alu instid0(VALU_DEP_1) | instskip(NEXT) | instid1(VALU_DEP_1)
	v_div_fixup_f64 v[1:2], v[1:2], v[7:8], v[5:6]
	v_fma_f64 v[3:4], v[5:6], v[1:2], v[7:8]
	s_delay_alu instid0(VALU_DEP_1) | instskip(SKIP_1) | instid1(VALU_DEP_2)
	v_div_scale_f64 v[5:6], null, v[3:4], v[3:4], 1.0
	v_div_scale_f64 v[11:12], vcc_lo, 1.0, v[3:4], 1.0
	v_rcp_f64_e32 v[7:8], v[5:6]
	s_delay_alu instid0(TRANS32_DEP_1) | instskip(NEXT) | instid1(VALU_DEP_1)
	v_fma_f64 v[9:10], -v[5:6], v[7:8], 1.0
	v_fma_f64 v[7:8], v[7:8], v[9:10], v[7:8]
	s_delay_alu instid0(VALU_DEP_1) | instskip(NEXT) | instid1(VALU_DEP_1)
	v_fma_f64 v[9:10], -v[5:6], v[7:8], 1.0
	v_fma_f64 v[7:8], v[7:8], v[9:10], v[7:8]
	s_delay_alu instid0(VALU_DEP_1) | instskip(NEXT) | instid1(VALU_DEP_1)
	v_mul_f64_e32 v[9:10], v[11:12], v[7:8]
	v_fma_f64 v[5:6], -v[5:6], v[9:10], v[11:12]
	s_wait_alu 0xfffd
	s_delay_alu instid0(VALU_DEP_1) | instskip(NEXT) | instid1(VALU_DEP_1)
	v_div_fmas_f64 v[5:6], v[5:6], v[7:8], v[9:10]
	v_div_fixup_f64 v[3:4], v[5:6], v[3:4], 1.0
                                        ; implicit-def: $vgpr5_vgpr6
	s_delay_alu instid0(VALU_DEP_1) | instskip(SKIP_1) | instid1(VALU_DEP_2)
	v_mul_f64_e32 v[1:2], v[1:2], v[3:4]
	v_xor_b32_e32 v4, 0x80000000, v4
	v_xor_b32_e32 v10, 0x80000000, v2
	s_delay_alu instid0(VALU_DEP_3)
	v_mov_b32_e32 v9, v1
.LBB124_15:
	s_wait_alu 0xfffe
	s_and_not1_saveexec_b32 s1, s1
	s_cbranch_execz .LBB124_17
; %bb.16:
	v_div_scale_f64 v[1:2], null, v[5:6], v[5:6], v[7:8]
	v_div_scale_f64 v[11:12], vcc_lo, v[7:8], v[5:6], v[7:8]
	s_delay_alu instid0(VALU_DEP_2) | instskip(NEXT) | instid1(TRANS32_DEP_1)
	v_rcp_f64_e32 v[3:4], v[1:2]
	v_fma_f64 v[9:10], -v[1:2], v[3:4], 1.0
	s_delay_alu instid0(VALU_DEP_1) | instskip(NEXT) | instid1(VALU_DEP_1)
	v_fma_f64 v[3:4], v[3:4], v[9:10], v[3:4]
	v_fma_f64 v[9:10], -v[1:2], v[3:4], 1.0
	s_delay_alu instid0(VALU_DEP_1) | instskip(NEXT) | instid1(VALU_DEP_1)
	v_fma_f64 v[3:4], v[3:4], v[9:10], v[3:4]
	v_mul_f64_e32 v[9:10], v[11:12], v[3:4]
	s_delay_alu instid0(VALU_DEP_1) | instskip(SKIP_1) | instid1(VALU_DEP_1)
	v_fma_f64 v[1:2], -v[1:2], v[9:10], v[11:12]
	s_wait_alu 0xfffd
	v_div_fmas_f64 v[1:2], v[1:2], v[3:4], v[9:10]
	s_delay_alu instid0(VALU_DEP_1) | instskip(NEXT) | instid1(VALU_DEP_1)
	v_div_fixup_f64 v[3:4], v[1:2], v[5:6], v[7:8]
	v_fma_f64 v[1:2], v[7:8], v[3:4], v[5:6]
	s_delay_alu instid0(VALU_DEP_1) | instskip(NEXT) | instid1(VALU_DEP_1)
	v_div_scale_f64 v[5:6], null, v[1:2], v[1:2], 1.0
	v_rcp_f64_e32 v[7:8], v[5:6]
	s_delay_alu instid0(TRANS32_DEP_1) | instskip(NEXT) | instid1(VALU_DEP_1)
	v_fma_f64 v[9:10], -v[5:6], v[7:8], 1.0
	v_fma_f64 v[7:8], v[7:8], v[9:10], v[7:8]
	s_delay_alu instid0(VALU_DEP_1) | instskip(NEXT) | instid1(VALU_DEP_1)
	v_fma_f64 v[9:10], -v[5:6], v[7:8], 1.0
	v_fma_f64 v[7:8], v[7:8], v[9:10], v[7:8]
	v_div_scale_f64 v[9:10], vcc_lo, 1.0, v[1:2], 1.0
	s_delay_alu instid0(VALU_DEP_1) | instskip(NEXT) | instid1(VALU_DEP_1)
	v_mul_f64_e32 v[11:12], v[9:10], v[7:8]
	v_fma_f64 v[5:6], -v[5:6], v[11:12], v[9:10]
	s_wait_alu 0xfffd
	s_delay_alu instid0(VALU_DEP_1) | instskip(NEXT) | instid1(VALU_DEP_1)
	v_div_fmas_f64 v[5:6], v[5:6], v[7:8], v[11:12]
	v_div_fixup_f64 v[1:2], v[5:6], v[1:2], 1.0
	s_delay_alu instid0(VALU_DEP_1)
	v_mul_f64_e64 v[3:4], v[3:4], -v[1:2]
	v_xor_b32_e32 v10, 0x80000000, v2
	v_mov_b32_e32 v9, v1
.LBB124_17:
	s_wait_alu 0xfffe
	s_or_b32 exec_lo, exec_lo, s1
	scratch_store_b128 v14, v[1:4], off
	scratch_load_b128 v[15:18], off, s17
	v_xor_b32_e32 v12, 0x80000000, v4
	v_mov_b32_e32 v11, v3
	v_add_nc_u32_e32 v5, 0x3d0, v13
	ds_store_b128 v13, v[9:12]
	s_wait_loadcnt 0x0
	ds_store_b128 v13, v[15:18] offset:976
	s_wait_storecnt_dscnt 0x0
	s_barrier_signal -1
	s_barrier_wait -1
	global_inv scope:SCOPE_SE
	s_and_saveexec_b32 s1, s0
	s_cbranch_execz .LBB124_19
; %bb.18:
	scratch_load_b128 v[1:4], v14, off
	ds_load_b128 v[6:9], v5
	v_mov_b32_e32 v10, 0
	ds_load_b128 v[15:18], v10 offset:16
	s_wait_loadcnt_dscnt 0x1
	v_mul_f64_e32 v[10:11], v[6:7], v[3:4]
	v_mul_f64_e32 v[3:4], v[8:9], v[3:4]
	s_delay_alu instid0(VALU_DEP_2) | instskip(NEXT) | instid1(VALU_DEP_2)
	v_fma_f64 v[8:9], v[8:9], v[1:2], v[10:11]
	v_fma_f64 v[1:2], v[6:7], v[1:2], -v[3:4]
	s_delay_alu instid0(VALU_DEP_2) | instskip(NEXT) | instid1(VALU_DEP_2)
	v_add_f64_e32 v[3:4], 0, v[8:9]
	v_add_f64_e32 v[1:2], 0, v[1:2]
	s_wait_dscnt 0x0
	s_delay_alu instid0(VALU_DEP_2) | instskip(NEXT) | instid1(VALU_DEP_2)
	v_mul_f64_e32 v[6:7], v[3:4], v[17:18]
	v_mul_f64_e32 v[8:9], v[1:2], v[17:18]
	s_delay_alu instid0(VALU_DEP_2) | instskip(NEXT) | instid1(VALU_DEP_2)
	v_fma_f64 v[1:2], v[1:2], v[15:16], -v[6:7]
	v_fma_f64 v[3:4], v[3:4], v[15:16], v[8:9]
	scratch_store_b128 off, v[1:4], off offset:32
.LBB124_19:
	s_wait_alu 0xfffe
	s_or_b32 exec_lo, exec_lo, s1
	s_wait_loadcnt 0x0
	s_wait_storecnt 0x0
	s_barrier_signal -1
	s_barrier_wait -1
	global_inv scope:SCOPE_SE
	scratch_load_b128 v[1:4], off, s15
	v_cmp_gt_u32_e32 vcc_lo, 2, v0
	s_wait_loadcnt 0x0
	ds_store_b128 v5, v[1:4]
	s_wait_dscnt 0x0
	s_barrier_signal -1
	s_barrier_wait -1
	global_inv scope:SCOPE_SE
	s_and_saveexec_b32 s1, vcc_lo
	s_cbranch_execz .LBB124_23
; %bb.20:
	scratch_load_b128 v[1:4], v14, off
	ds_load_b128 v[6:9], v5
	s_wait_loadcnt_dscnt 0x0
	v_mul_f64_e32 v[10:11], v[8:9], v[3:4]
	v_mul_f64_e32 v[3:4], v[6:7], v[3:4]
	s_delay_alu instid0(VALU_DEP_2) | instskip(NEXT) | instid1(VALU_DEP_2)
	v_fma_f64 v[6:7], v[6:7], v[1:2], -v[10:11]
	v_fma_f64 v[3:4], v[8:9], v[1:2], v[3:4]
	s_delay_alu instid0(VALU_DEP_2) | instskip(NEXT) | instid1(VALU_DEP_2)
	v_add_f64_e32 v[1:2], 0, v[6:7]
	v_add_f64_e32 v[3:4], 0, v[3:4]
	s_and_saveexec_b32 s2, s0
	s_cbranch_execz .LBB124_22
; %bb.21:
	scratch_load_b128 v[6:9], off, off offset:32
	v_mov_b32_e32 v10, 0
	ds_load_b128 v[15:18], v10 offset:992
	s_wait_loadcnt_dscnt 0x0
	v_mul_f64_e32 v[10:11], v[15:16], v[8:9]
	v_mul_f64_e32 v[8:9], v[17:18], v[8:9]
	s_delay_alu instid0(VALU_DEP_2) | instskip(NEXT) | instid1(VALU_DEP_2)
	v_fma_f64 v[10:11], v[17:18], v[6:7], v[10:11]
	v_fma_f64 v[6:7], v[15:16], v[6:7], -v[8:9]
	s_delay_alu instid0(VALU_DEP_2) | instskip(NEXT) | instid1(VALU_DEP_2)
	v_add_f64_e32 v[3:4], v[3:4], v[10:11]
	v_add_f64_e32 v[1:2], v[1:2], v[6:7]
.LBB124_22:
	s_wait_alu 0xfffe
	s_or_b32 exec_lo, exec_lo, s2
	v_mov_b32_e32 v6, 0
	ds_load_b128 v[6:9], v6 offset:32
	s_wait_dscnt 0x0
	v_mul_f64_e32 v[10:11], v[3:4], v[8:9]
	v_mul_f64_e32 v[8:9], v[1:2], v[8:9]
	s_delay_alu instid0(VALU_DEP_2) | instskip(NEXT) | instid1(VALU_DEP_2)
	v_fma_f64 v[1:2], v[1:2], v[6:7], -v[10:11]
	v_fma_f64 v[3:4], v[3:4], v[6:7], v[8:9]
	scratch_store_b128 off, v[1:4], off offset:48
.LBB124_23:
	s_wait_alu 0xfffe
	s_or_b32 exec_lo, exec_lo, s1
	s_wait_loadcnt 0x0
	s_wait_storecnt 0x0
	s_barrier_signal -1
	s_barrier_wait -1
	global_inv scope:SCOPE_SE
	scratch_load_b128 v[1:4], off, s12
	v_add_nc_u32_e32 v6, -1, v0
	s_mov_b32 s2, exec_lo
	s_wait_loadcnt 0x0
	ds_store_b128 v5, v[1:4]
	s_wait_dscnt 0x0
	s_barrier_signal -1
	s_barrier_wait -1
	global_inv scope:SCOPE_SE
	v_cmpx_gt_u32_e32 3, v0
	s_cbranch_execz .LBB124_27
; %bb.24:
	v_dual_mov_b32 v1, 0 :: v_dual_add_nc_u32 v8, 0x3d0, v13
	v_mov_b32_e32 v3, 0
	v_dual_mov_b32 v2, 0 :: v_dual_add_nc_u32 v7, -1, v0
	v_mov_b32_e32 v4, 0
	v_or_b32_e32 v9, 8, v14
	s_mov_b32 s3, 0
.LBB124_25:                             ; =>This Inner Loop Header: Depth=1
	scratch_load_b128 v[15:18], v9, off offset:-8
	ds_load_b128 v[19:22], v8
	v_add_nc_u32_e32 v7, 1, v7
	v_add_nc_u32_e32 v8, 16, v8
	;; [unrolled: 1-line block ×3, first 2 shown]
	s_delay_alu instid0(VALU_DEP_3)
	v_cmp_lt_u32_e64 s1, 1, v7
	s_wait_alu 0xfffe
	s_or_b32 s3, s1, s3
	s_wait_loadcnt_dscnt 0x0
	v_mul_f64_e32 v[10:11], v[21:22], v[17:18]
	v_mul_f64_e32 v[17:18], v[19:20], v[17:18]
	s_delay_alu instid0(VALU_DEP_2) | instskip(NEXT) | instid1(VALU_DEP_2)
	v_fma_f64 v[10:11], v[19:20], v[15:16], -v[10:11]
	v_fma_f64 v[15:16], v[21:22], v[15:16], v[17:18]
	s_delay_alu instid0(VALU_DEP_2) | instskip(NEXT) | instid1(VALU_DEP_2)
	v_add_f64_e32 v[3:4], v[3:4], v[10:11]
	v_add_f64_e32 v[1:2], v[1:2], v[15:16]
	s_wait_alu 0xfffe
	s_and_not1_b32 exec_lo, exec_lo, s3
	s_cbranch_execnz .LBB124_25
; %bb.26:
	s_or_b32 exec_lo, exec_lo, s3
	v_mov_b32_e32 v7, 0
	ds_load_b128 v[7:10], v7 offset:48
	s_wait_dscnt 0x0
	v_mul_f64_e32 v[11:12], v[1:2], v[9:10]
	v_mul_f64_e32 v[15:16], v[3:4], v[9:10]
	s_delay_alu instid0(VALU_DEP_2) | instskip(NEXT) | instid1(VALU_DEP_2)
	v_fma_f64 v[9:10], v[3:4], v[7:8], -v[11:12]
	v_fma_f64 v[11:12], v[1:2], v[7:8], v[15:16]
	scratch_store_b128 off, v[9:12], off offset:64
.LBB124_27:
	s_wait_alu 0xfffe
	s_or_b32 exec_lo, exec_lo, s2
	s_wait_loadcnt 0x0
	s_wait_storecnt 0x0
	s_barrier_signal -1
	s_barrier_wait -1
	global_inv scope:SCOPE_SE
	scratch_load_b128 v[1:4], off, s4
	v_cmp_gt_u32_e64 s1, 4, v0
	s_wait_loadcnt 0x0
	ds_store_b128 v5, v[1:4]
	s_wait_dscnt 0x0
	s_barrier_signal -1
	s_barrier_wait -1
	global_inv scope:SCOPE_SE
	s_and_saveexec_b32 s3, s1
	s_cbranch_execz .LBB124_31
; %bb.28:
	v_dual_mov_b32 v1, 0 :: v_dual_add_nc_u32 v8, 0x3d0, v13
	v_mov_b32_e32 v3, 0
	v_dual_mov_b32 v2, 0 :: v_dual_add_nc_u32 v7, -1, v0
	v_mov_b32_e32 v4, 0
	v_or_b32_e32 v9, 8, v14
	s_mov_b32 s72, 0
.LBB124_29:                             ; =>This Inner Loop Header: Depth=1
	scratch_load_b128 v[15:18], v9, off offset:-8
	ds_load_b128 v[19:22], v8
	v_add_nc_u32_e32 v7, 1, v7
	v_add_nc_u32_e32 v8, 16, v8
	v_add_nc_u32_e32 v9, 16, v9
	s_delay_alu instid0(VALU_DEP_3) | instskip(SKIP_4) | instid1(VALU_DEP_2)
	v_cmp_lt_u32_e64 s2, 2, v7
	s_or_b32 s72, s2, s72
	s_wait_loadcnt_dscnt 0x0
	v_mul_f64_e32 v[10:11], v[21:22], v[17:18]
	v_mul_f64_e32 v[17:18], v[19:20], v[17:18]
	v_fma_f64 v[10:11], v[19:20], v[15:16], -v[10:11]
	s_delay_alu instid0(VALU_DEP_2) | instskip(NEXT) | instid1(VALU_DEP_2)
	v_fma_f64 v[15:16], v[21:22], v[15:16], v[17:18]
	v_add_f64_e32 v[3:4], v[3:4], v[10:11]
	s_delay_alu instid0(VALU_DEP_2)
	v_add_f64_e32 v[1:2], v[1:2], v[15:16]
	s_and_not1_b32 exec_lo, exec_lo, s72
	s_cbranch_execnz .LBB124_29
; %bb.30:
	s_or_b32 exec_lo, exec_lo, s72
	v_mov_b32_e32 v7, 0
	ds_load_b128 v[7:10], v7 offset:64
	s_wait_dscnt 0x0
	v_mul_f64_e32 v[11:12], v[1:2], v[9:10]
	v_mul_f64_e32 v[15:16], v[3:4], v[9:10]
	s_delay_alu instid0(VALU_DEP_2) | instskip(NEXT) | instid1(VALU_DEP_2)
	v_fma_f64 v[9:10], v[3:4], v[7:8], -v[11:12]
	v_fma_f64 v[11:12], v[1:2], v[7:8], v[15:16]
	scratch_store_b128 off, v[9:12], off offset:80
.LBB124_31:
	s_wait_alu 0xfffe
	s_or_b32 exec_lo, exec_lo, s3
	s_wait_loadcnt 0x0
	s_wait_storecnt 0x0
	s_barrier_signal -1
	s_barrier_wait -1
	global_inv scope:SCOPE_SE
	scratch_load_b128 v[1:4], off, s71
	s_mov_b32 s3, exec_lo
	s_wait_loadcnt 0x0
	ds_store_b128 v5, v[1:4]
	s_wait_dscnt 0x0
	s_barrier_signal -1
	s_barrier_wait -1
	global_inv scope:SCOPE_SE
	v_cmpx_gt_u32_e32 5, v0
	s_cbranch_execz .LBB124_35
; %bb.32:
	v_dual_mov_b32 v1, 0 :: v_dual_add_nc_u32 v8, 0x3d0, v13
	v_mov_b32_e32 v3, 0
	v_dual_mov_b32 v2, 0 :: v_dual_add_nc_u32 v7, -1, v0
	v_mov_b32_e32 v4, 0
	v_or_b32_e32 v9, 8, v14
	s_mov_b32 s72, 0
.LBB124_33:                             ; =>This Inner Loop Header: Depth=1
	scratch_load_b128 v[15:18], v9, off offset:-8
	ds_load_b128 v[19:22], v8
	v_add_nc_u32_e32 v7, 1, v7
	v_add_nc_u32_e32 v8, 16, v8
	;; [unrolled: 1-line block ×3, first 2 shown]
	s_delay_alu instid0(VALU_DEP_3) | instskip(SKIP_4) | instid1(VALU_DEP_2)
	v_cmp_lt_u32_e64 s2, 3, v7
	s_or_b32 s72, s2, s72
	s_wait_loadcnt_dscnt 0x0
	v_mul_f64_e32 v[10:11], v[21:22], v[17:18]
	v_mul_f64_e32 v[17:18], v[19:20], v[17:18]
	v_fma_f64 v[10:11], v[19:20], v[15:16], -v[10:11]
	s_delay_alu instid0(VALU_DEP_2) | instskip(NEXT) | instid1(VALU_DEP_2)
	v_fma_f64 v[15:16], v[21:22], v[15:16], v[17:18]
	v_add_f64_e32 v[3:4], v[3:4], v[10:11]
	s_delay_alu instid0(VALU_DEP_2)
	v_add_f64_e32 v[1:2], v[1:2], v[15:16]
	s_and_not1_b32 exec_lo, exec_lo, s72
	s_cbranch_execnz .LBB124_33
; %bb.34:
	s_or_b32 exec_lo, exec_lo, s72
	v_mov_b32_e32 v7, 0
	ds_load_b128 v[7:10], v7 offset:80
	s_wait_dscnt 0x0
	v_mul_f64_e32 v[11:12], v[1:2], v[9:10]
	v_mul_f64_e32 v[15:16], v[3:4], v[9:10]
	s_delay_alu instid0(VALU_DEP_2) | instskip(NEXT) | instid1(VALU_DEP_2)
	v_fma_f64 v[9:10], v[3:4], v[7:8], -v[11:12]
	v_fma_f64 v[11:12], v[1:2], v[7:8], v[15:16]
	scratch_store_b128 off, v[9:12], off offset:96
.LBB124_35:
	s_wait_alu 0xfffe
	s_or_b32 exec_lo, exec_lo, s3
	s_wait_loadcnt 0x0
	s_wait_storecnt 0x0
	s_barrier_signal -1
	s_barrier_wait -1
	global_inv scope:SCOPE_SE
	scratch_load_b128 v[1:4], off, s70
	v_cmp_gt_u32_e64 s2, 6, v0
	s_wait_loadcnt 0x0
	ds_store_b128 v5, v[1:4]
	s_wait_dscnt 0x0
	s_barrier_signal -1
	s_barrier_wait -1
	global_inv scope:SCOPE_SE
	s_and_saveexec_b32 s72, s2
	s_cbranch_execz .LBB124_39
; %bb.36:
	v_dual_mov_b32 v1, 0 :: v_dual_add_nc_u32 v8, 0x3d0, v13
	v_mov_b32_e32 v3, 0
	v_dual_mov_b32 v2, 0 :: v_dual_add_nc_u32 v7, -1, v0
	v_mov_b32_e32 v4, 0
	v_or_b32_e32 v9, 8, v14
	s_mov_b32 s73, 0
.LBB124_37:                             ; =>This Inner Loop Header: Depth=1
	scratch_load_b128 v[15:18], v9, off offset:-8
	ds_load_b128 v[19:22], v8
	v_add_nc_u32_e32 v7, 1, v7
	v_add_nc_u32_e32 v8, 16, v8
	;; [unrolled: 1-line block ×3, first 2 shown]
	s_delay_alu instid0(VALU_DEP_3) | instskip(SKIP_4) | instid1(VALU_DEP_2)
	v_cmp_lt_u32_e64 s3, 4, v7
	s_or_b32 s73, s3, s73
	s_wait_loadcnt_dscnt 0x0
	v_mul_f64_e32 v[10:11], v[21:22], v[17:18]
	v_mul_f64_e32 v[17:18], v[19:20], v[17:18]
	v_fma_f64 v[10:11], v[19:20], v[15:16], -v[10:11]
	s_delay_alu instid0(VALU_DEP_2) | instskip(NEXT) | instid1(VALU_DEP_2)
	v_fma_f64 v[15:16], v[21:22], v[15:16], v[17:18]
	v_add_f64_e32 v[3:4], v[3:4], v[10:11]
	s_delay_alu instid0(VALU_DEP_2)
	v_add_f64_e32 v[1:2], v[1:2], v[15:16]
	s_and_not1_b32 exec_lo, exec_lo, s73
	s_cbranch_execnz .LBB124_37
; %bb.38:
	s_or_b32 exec_lo, exec_lo, s73
	v_mov_b32_e32 v7, 0
	ds_load_b128 v[7:10], v7 offset:96
	s_wait_dscnt 0x0
	v_mul_f64_e32 v[11:12], v[1:2], v[9:10]
	v_mul_f64_e32 v[15:16], v[3:4], v[9:10]
	s_delay_alu instid0(VALU_DEP_2) | instskip(NEXT) | instid1(VALU_DEP_2)
	v_fma_f64 v[9:10], v[3:4], v[7:8], -v[11:12]
	v_fma_f64 v[11:12], v[1:2], v[7:8], v[15:16]
	scratch_store_b128 off, v[9:12], off offset:112
.LBB124_39:
	s_or_b32 exec_lo, exec_lo, s72
	s_wait_loadcnt 0x0
	s_wait_storecnt 0x0
	s_barrier_signal -1
	s_barrier_wait -1
	global_inv scope:SCOPE_SE
	scratch_load_b128 v[1:4], off, s69
	s_mov_b32 s72, exec_lo
	s_wait_loadcnt 0x0
	ds_store_b128 v5, v[1:4]
	s_wait_dscnt 0x0
	s_barrier_signal -1
	s_barrier_wait -1
	global_inv scope:SCOPE_SE
	v_cmpx_gt_u32_e32 7, v0
	s_cbranch_execz .LBB124_43
; %bb.40:
	v_dual_mov_b32 v1, 0 :: v_dual_add_nc_u32 v8, 0x3d0, v13
	v_mov_b32_e32 v3, 0
	v_dual_mov_b32 v2, 0 :: v_dual_add_nc_u32 v7, -1, v0
	v_mov_b32_e32 v4, 0
	v_or_b32_e32 v9, 8, v14
	s_mov_b32 s73, 0
.LBB124_41:                             ; =>This Inner Loop Header: Depth=1
	scratch_load_b128 v[15:18], v9, off offset:-8
	ds_load_b128 v[19:22], v8
	v_add_nc_u32_e32 v7, 1, v7
	v_add_nc_u32_e32 v8, 16, v8
	;; [unrolled: 1-line block ×3, first 2 shown]
	s_delay_alu instid0(VALU_DEP_3) | instskip(SKIP_4) | instid1(VALU_DEP_2)
	v_cmp_lt_u32_e64 s3, 5, v7
	s_or_b32 s73, s3, s73
	s_wait_loadcnt_dscnt 0x0
	v_mul_f64_e32 v[10:11], v[21:22], v[17:18]
	v_mul_f64_e32 v[17:18], v[19:20], v[17:18]
	v_fma_f64 v[10:11], v[19:20], v[15:16], -v[10:11]
	s_delay_alu instid0(VALU_DEP_2) | instskip(NEXT) | instid1(VALU_DEP_2)
	v_fma_f64 v[15:16], v[21:22], v[15:16], v[17:18]
	v_add_f64_e32 v[3:4], v[3:4], v[10:11]
	s_delay_alu instid0(VALU_DEP_2)
	v_add_f64_e32 v[1:2], v[1:2], v[15:16]
	s_and_not1_b32 exec_lo, exec_lo, s73
	s_cbranch_execnz .LBB124_41
; %bb.42:
	s_or_b32 exec_lo, exec_lo, s73
	v_mov_b32_e32 v7, 0
	ds_load_b128 v[7:10], v7 offset:112
	s_wait_dscnt 0x0
	v_mul_f64_e32 v[11:12], v[1:2], v[9:10]
	v_mul_f64_e32 v[15:16], v[3:4], v[9:10]
	s_delay_alu instid0(VALU_DEP_2) | instskip(NEXT) | instid1(VALU_DEP_2)
	v_fma_f64 v[9:10], v[3:4], v[7:8], -v[11:12]
	v_fma_f64 v[11:12], v[1:2], v[7:8], v[15:16]
	scratch_store_b128 off, v[9:12], off offset:128
.LBB124_43:
	s_or_b32 exec_lo, exec_lo, s72
	s_wait_loadcnt 0x0
	s_wait_storecnt 0x0
	s_barrier_signal -1
	s_barrier_wait -1
	global_inv scope:SCOPE_SE
	scratch_load_b128 v[1:4], off, s68
	s_mov_b32 s72, exec_lo
	s_wait_loadcnt 0x0
	ds_store_b128 v5, v[1:4]
	s_wait_dscnt 0x0
	s_barrier_signal -1
	s_barrier_wait -1
	global_inv scope:SCOPE_SE
	v_cmpx_gt_u32_e32 8, v0
	s_cbranch_execz .LBB124_59
; %bb.44:
	scratch_load_b128 v[1:4], v14, off
	ds_load_b128 v[7:10], v5
	s_mov_b32 s73, exec_lo
	s_wait_loadcnt_dscnt 0x0
	v_mul_f64_e32 v[11:12], v[9:10], v[3:4]
	v_mul_f64_e32 v[3:4], v[7:8], v[3:4]
	s_delay_alu instid0(VALU_DEP_2) | instskip(NEXT) | instid1(VALU_DEP_2)
	v_fma_f64 v[7:8], v[7:8], v[1:2], -v[11:12]
	v_fma_f64 v[1:2], v[9:10], v[1:2], v[3:4]
	s_delay_alu instid0(VALU_DEP_2) | instskip(NEXT) | instid1(VALU_DEP_2)
	v_add_f64_e32 v[3:4], 0, v[7:8]
	v_add_f64_e32 v[1:2], 0, v[1:2]
	v_cmpx_ne_u32_e32 7, v0
	s_cbranch_execz .LBB124_58
; %bb.45:
	scratch_load_b128 v[7:10], v14, off offset:16
	ds_load_b128 v[15:18], v5 offset:16
	s_wait_loadcnt_dscnt 0x0
	v_mul_f64_e32 v[11:12], v[17:18], v[9:10]
	v_mul_f64_e32 v[9:10], v[15:16], v[9:10]
	s_delay_alu instid0(VALU_DEP_2) | instskip(NEXT) | instid1(VALU_DEP_2)
	v_fma_f64 v[11:12], v[15:16], v[7:8], -v[11:12]
	v_fma_f64 v[7:8], v[17:18], v[7:8], v[9:10]
	s_delay_alu instid0(VALU_DEP_2) | instskip(NEXT) | instid1(VALU_DEP_2)
	v_add_f64_e32 v[3:4], v[3:4], v[11:12]
	v_add_f64_e32 v[1:2], v[1:2], v[7:8]
	s_and_saveexec_b32 s3, s2
	s_cbranch_execz .LBB124_57
; %bb.46:
	scratch_load_b128 v[7:10], v14, off offset:32
	ds_load_b128 v[15:18], v5 offset:32
	s_mov_b32 s74, exec_lo
	s_wait_loadcnt_dscnt 0x0
	v_mul_f64_e32 v[11:12], v[17:18], v[9:10]
	v_mul_f64_e32 v[9:10], v[15:16], v[9:10]
	s_delay_alu instid0(VALU_DEP_2) | instskip(NEXT) | instid1(VALU_DEP_2)
	v_fma_f64 v[11:12], v[15:16], v[7:8], -v[11:12]
	v_fma_f64 v[7:8], v[17:18], v[7:8], v[9:10]
	s_delay_alu instid0(VALU_DEP_2) | instskip(NEXT) | instid1(VALU_DEP_2)
	v_add_f64_e32 v[3:4], v[3:4], v[11:12]
	v_add_f64_e32 v[1:2], v[1:2], v[7:8]
	v_cmpx_ne_u32_e32 5, v0
	s_cbranch_execz .LBB124_56
; %bb.47:
	scratch_load_b128 v[7:10], v14, off offset:48
	ds_load_b128 v[15:18], v5 offset:48
	s_wait_loadcnt_dscnt 0x0
	v_mul_f64_e32 v[11:12], v[17:18], v[9:10]
	v_mul_f64_e32 v[9:10], v[15:16], v[9:10]
	s_delay_alu instid0(VALU_DEP_2) | instskip(NEXT) | instid1(VALU_DEP_2)
	v_fma_f64 v[11:12], v[15:16], v[7:8], -v[11:12]
	v_fma_f64 v[7:8], v[17:18], v[7:8], v[9:10]
	s_delay_alu instid0(VALU_DEP_2) | instskip(NEXT) | instid1(VALU_DEP_2)
	v_add_f64_e32 v[3:4], v[3:4], v[11:12]
	v_add_f64_e32 v[1:2], v[1:2], v[7:8]
	s_and_saveexec_b32 s2, s1
	s_cbranch_execz .LBB124_55
; %bb.48:
	scratch_load_b128 v[7:10], v14, off offset:64
	ds_load_b128 v[15:18], v5 offset:64
	s_mov_b32 s75, exec_lo
	s_wait_loadcnt_dscnt 0x0
	v_mul_f64_e32 v[11:12], v[17:18], v[9:10]
	v_mul_f64_e32 v[9:10], v[15:16], v[9:10]
	s_delay_alu instid0(VALU_DEP_2) | instskip(NEXT) | instid1(VALU_DEP_2)
	v_fma_f64 v[11:12], v[15:16], v[7:8], -v[11:12]
	v_fma_f64 v[7:8], v[17:18], v[7:8], v[9:10]
	s_delay_alu instid0(VALU_DEP_2) | instskip(NEXT) | instid1(VALU_DEP_2)
	v_add_f64_e32 v[3:4], v[3:4], v[11:12]
	v_add_f64_e32 v[1:2], v[1:2], v[7:8]
	v_cmpx_ne_u32_e32 3, v0
	s_cbranch_execz .LBB124_54
; %bb.49:
	scratch_load_b128 v[7:10], v14, off offset:80
	ds_load_b128 v[15:18], v5 offset:80
	s_wait_loadcnt_dscnt 0x0
	v_mul_f64_e32 v[11:12], v[17:18], v[9:10]
	v_mul_f64_e32 v[9:10], v[15:16], v[9:10]
	s_delay_alu instid0(VALU_DEP_2) | instskip(NEXT) | instid1(VALU_DEP_2)
	v_fma_f64 v[11:12], v[15:16], v[7:8], -v[11:12]
	v_fma_f64 v[7:8], v[17:18], v[7:8], v[9:10]
	s_delay_alu instid0(VALU_DEP_2) | instskip(NEXT) | instid1(VALU_DEP_2)
	v_add_f64_e32 v[3:4], v[3:4], v[11:12]
	v_add_f64_e32 v[1:2], v[1:2], v[7:8]
	s_and_saveexec_b32 s1, vcc_lo
	s_cbranch_execz .LBB124_53
; %bb.50:
	scratch_load_b128 v[7:10], v14, off offset:96
	ds_load_b128 v[15:18], v5 offset:96
	s_wait_loadcnt_dscnt 0x0
	v_mul_f64_e32 v[11:12], v[17:18], v[9:10]
	v_mul_f64_e32 v[9:10], v[15:16], v[9:10]
	s_delay_alu instid0(VALU_DEP_2) | instskip(NEXT) | instid1(VALU_DEP_2)
	v_fma_f64 v[11:12], v[15:16], v[7:8], -v[11:12]
	v_fma_f64 v[7:8], v[17:18], v[7:8], v[9:10]
	s_delay_alu instid0(VALU_DEP_2) | instskip(NEXT) | instid1(VALU_DEP_2)
	v_add_f64_e32 v[3:4], v[3:4], v[11:12]
	v_add_f64_e32 v[1:2], v[1:2], v[7:8]
	s_and_saveexec_b32 s76, s0
	s_cbranch_execz .LBB124_52
; %bb.51:
	scratch_load_b128 v[7:10], v14, off offset:112
	ds_load_b128 v[15:18], v5 offset:112
	s_wait_loadcnt_dscnt 0x0
	v_mul_f64_e32 v[11:12], v[17:18], v[9:10]
	v_mul_f64_e32 v[9:10], v[15:16], v[9:10]
	s_delay_alu instid0(VALU_DEP_2) | instskip(NEXT) | instid1(VALU_DEP_2)
	v_fma_f64 v[11:12], v[15:16], v[7:8], -v[11:12]
	v_fma_f64 v[7:8], v[17:18], v[7:8], v[9:10]
	s_delay_alu instid0(VALU_DEP_2) | instskip(NEXT) | instid1(VALU_DEP_2)
	v_add_f64_e32 v[3:4], v[3:4], v[11:12]
	v_add_f64_e32 v[1:2], v[1:2], v[7:8]
.LBB124_52:
	s_or_b32 exec_lo, exec_lo, s76
.LBB124_53:
	s_wait_alu 0xfffe
	s_or_b32 exec_lo, exec_lo, s1
.LBB124_54:
	s_delay_alu instid0(SALU_CYCLE_1)
	s_or_b32 exec_lo, exec_lo, s75
.LBB124_55:
	s_wait_alu 0xfffe
	s_or_b32 exec_lo, exec_lo, s2
.LBB124_56:
	s_delay_alu instid0(SALU_CYCLE_1)
	s_or_b32 exec_lo, exec_lo, s74
.LBB124_57:
	s_wait_alu 0xfffe
	s_or_b32 exec_lo, exec_lo, s3
.LBB124_58:
	s_delay_alu instid0(SALU_CYCLE_1)
	s_or_b32 exec_lo, exec_lo, s73
	v_mov_b32_e32 v7, 0
	ds_load_b128 v[7:10], v7 offset:128
	s_wait_dscnt 0x0
	v_mul_f64_e32 v[11:12], v[1:2], v[9:10]
	v_mul_f64_e32 v[15:16], v[3:4], v[9:10]
	s_delay_alu instid0(VALU_DEP_2) | instskip(NEXT) | instid1(VALU_DEP_2)
	v_fma_f64 v[9:10], v[3:4], v[7:8], -v[11:12]
	v_fma_f64 v[11:12], v[1:2], v[7:8], v[15:16]
	scratch_store_b128 off, v[9:12], off offset:144
.LBB124_59:
	s_or_b32 exec_lo, exec_lo, s72
	s_wait_loadcnt 0x0
	s_wait_storecnt 0x0
	s_barrier_signal -1
	s_barrier_wait -1
	global_inv scope:SCOPE_SE
	scratch_load_b128 v[1:4], off, s67
	s_mov_b32 s0, exec_lo
	s_wait_loadcnt 0x0
	ds_store_b128 v5, v[1:4]
	s_wait_dscnt 0x0
	s_barrier_signal -1
	s_barrier_wait -1
	global_inv scope:SCOPE_SE
	v_cmpx_gt_u32_e32 9, v0
	s_cbranch_execz .LBB124_63
; %bb.60:
	v_dual_mov_b32 v1, 0 :: v_dual_add_nc_u32 v8, 0x3d0, v13
	v_mov_b32_e32 v3, 0
	v_dual_mov_b32 v2, 0 :: v_dual_add_nc_u32 v7, -1, v0
	v_mov_b32_e32 v4, 0
	v_or_b32_e32 v9, 8, v14
	s_mov_b32 s1, 0
.LBB124_61:                             ; =>This Inner Loop Header: Depth=1
	scratch_load_b128 v[15:18], v9, off offset:-8
	ds_load_b128 v[19:22], v8
	v_add_nc_u32_e32 v7, 1, v7
	v_add_nc_u32_e32 v8, 16, v8
	v_add_nc_u32_e32 v9, 16, v9
	s_delay_alu instid0(VALU_DEP_3)
	v_cmp_lt_u32_e32 vcc_lo, 7, v7
	s_wait_alu 0xfffe
	s_or_b32 s1, vcc_lo, s1
	s_wait_loadcnt_dscnt 0x0
	v_mul_f64_e32 v[10:11], v[21:22], v[17:18]
	v_mul_f64_e32 v[17:18], v[19:20], v[17:18]
	s_delay_alu instid0(VALU_DEP_2) | instskip(NEXT) | instid1(VALU_DEP_2)
	v_fma_f64 v[10:11], v[19:20], v[15:16], -v[10:11]
	v_fma_f64 v[15:16], v[21:22], v[15:16], v[17:18]
	s_delay_alu instid0(VALU_DEP_2) | instskip(NEXT) | instid1(VALU_DEP_2)
	v_add_f64_e32 v[3:4], v[3:4], v[10:11]
	v_add_f64_e32 v[1:2], v[1:2], v[15:16]
	s_wait_alu 0xfffe
	s_and_not1_b32 exec_lo, exec_lo, s1
	s_cbranch_execnz .LBB124_61
; %bb.62:
	s_or_b32 exec_lo, exec_lo, s1
	v_mov_b32_e32 v7, 0
	ds_load_b128 v[7:10], v7 offset:144
	s_wait_dscnt 0x0
	v_mul_f64_e32 v[11:12], v[1:2], v[9:10]
	v_mul_f64_e32 v[15:16], v[3:4], v[9:10]
	s_delay_alu instid0(VALU_DEP_2) | instskip(NEXT) | instid1(VALU_DEP_2)
	v_fma_f64 v[9:10], v[3:4], v[7:8], -v[11:12]
	v_fma_f64 v[11:12], v[1:2], v[7:8], v[15:16]
	scratch_store_b128 off, v[9:12], off offset:160
.LBB124_63:
	s_wait_alu 0xfffe
	s_or_b32 exec_lo, exec_lo, s0
	s_wait_loadcnt 0x0
	s_wait_storecnt 0x0
	s_barrier_signal -1
	s_barrier_wait -1
	global_inv scope:SCOPE_SE
	scratch_load_b128 v[1:4], off, s66
	s_mov_b32 s0, exec_lo
	s_wait_loadcnt 0x0
	ds_store_b128 v5, v[1:4]
	s_wait_dscnt 0x0
	s_barrier_signal -1
	s_barrier_wait -1
	global_inv scope:SCOPE_SE
	v_cmpx_gt_u32_e32 10, v0
	s_cbranch_execz .LBB124_67
; %bb.64:
	v_dual_mov_b32 v1, 0 :: v_dual_add_nc_u32 v8, 0x3d0, v13
	v_mov_b32_e32 v3, 0
	v_dual_mov_b32 v2, 0 :: v_dual_add_nc_u32 v7, -1, v0
	v_mov_b32_e32 v4, 0
	v_or_b32_e32 v9, 8, v14
	s_mov_b32 s1, 0
.LBB124_65:                             ; =>This Inner Loop Header: Depth=1
	scratch_load_b128 v[15:18], v9, off offset:-8
	ds_load_b128 v[19:22], v8
	v_add_nc_u32_e32 v7, 1, v7
	v_add_nc_u32_e32 v8, 16, v8
	v_add_nc_u32_e32 v9, 16, v9
	s_delay_alu instid0(VALU_DEP_3)
	v_cmp_lt_u32_e32 vcc_lo, 8, v7
	s_wait_alu 0xfffe
	s_or_b32 s1, vcc_lo, s1
	s_wait_loadcnt_dscnt 0x0
	v_mul_f64_e32 v[10:11], v[21:22], v[17:18]
	v_mul_f64_e32 v[17:18], v[19:20], v[17:18]
	s_delay_alu instid0(VALU_DEP_2) | instskip(NEXT) | instid1(VALU_DEP_2)
	v_fma_f64 v[10:11], v[19:20], v[15:16], -v[10:11]
	v_fma_f64 v[15:16], v[21:22], v[15:16], v[17:18]
	s_delay_alu instid0(VALU_DEP_2) | instskip(NEXT) | instid1(VALU_DEP_2)
	v_add_f64_e32 v[3:4], v[3:4], v[10:11]
	v_add_f64_e32 v[1:2], v[1:2], v[15:16]
	s_wait_alu 0xfffe
	s_and_not1_b32 exec_lo, exec_lo, s1
	s_cbranch_execnz .LBB124_65
; %bb.66:
	s_or_b32 exec_lo, exec_lo, s1
	v_mov_b32_e32 v7, 0
	ds_load_b128 v[7:10], v7 offset:160
	s_wait_dscnt 0x0
	v_mul_f64_e32 v[11:12], v[1:2], v[9:10]
	v_mul_f64_e32 v[15:16], v[3:4], v[9:10]
	s_delay_alu instid0(VALU_DEP_2) | instskip(NEXT) | instid1(VALU_DEP_2)
	v_fma_f64 v[9:10], v[3:4], v[7:8], -v[11:12]
	v_fma_f64 v[11:12], v[1:2], v[7:8], v[15:16]
	scratch_store_b128 off, v[9:12], off offset:176
.LBB124_67:
	s_wait_alu 0xfffe
	;; [unrolled: 58-line block ×10, first 2 shown]
	s_or_b32 exec_lo, exec_lo, s0
	s_wait_loadcnt 0x0
	s_wait_storecnt 0x0
	s_barrier_signal -1
	s_barrier_wait -1
	global_inv scope:SCOPE_SE
	scratch_load_b128 v[1:4], off, s57
	s_mov_b32 s0, exec_lo
	s_wait_loadcnt 0x0
	ds_store_b128 v5, v[1:4]
	s_wait_dscnt 0x0
	s_barrier_signal -1
	s_barrier_wait -1
	global_inv scope:SCOPE_SE
	v_cmpx_gt_u32_e32 19, v0
	s_cbranch_execz .LBB124_103
; %bb.100:
	v_dual_mov_b32 v1, 0 :: v_dual_add_nc_u32 v8, 0x3d0, v13
	v_mov_b32_e32 v3, 0
	v_dual_mov_b32 v2, 0 :: v_dual_add_nc_u32 v7, -1, v0
	v_mov_b32_e32 v4, 0
	v_or_b32_e32 v9, 8, v14
	s_mov_b32 s1, 0
.LBB124_101:                            ; =>This Inner Loop Header: Depth=1
	scratch_load_b128 v[15:18], v9, off offset:-8
	ds_load_b128 v[19:22], v8
	v_add_nc_u32_e32 v7, 1, v7
	v_add_nc_u32_e32 v8, 16, v8
	v_add_nc_u32_e32 v9, 16, v9
	s_delay_alu instid0(VALU_DEP_3)
	v_cmp_lt_u32_e32 vcc_lo, 17, v7
	s_wait_alu 0xfffe
	s_or_b32 s1, vcc_lo, s1
	s_wait_loadcnt_dscnt 0x0
	v_mul_f64_e32 v[10:11], v[21:22], v[17:18]
	v_mul_f64_e32 v[17:18], v[19:20], v[17:18]
	s_delay_alu instid0(VALU_DEP_2) | instskip(NEXT) | instid1(VALU_DEP_2)
	v_fma_f64 v[10:11], v[19:20], v[15:16], -v[10:11]
	v_fma_f64 v[15:16], v[21:22], v[15:16], v[17:18]
	s_delay_alu instid0(VALU_DEP_2) | instskip(NEXT) | instid1(VALU_DEP_2)
	v_add_f64_e32 v[3:4], v[3:4], v[10:11]
	v_add_f64_e32 v[1:2], v[1:2], v[15:16]
	s_wait_alu 0xfffe
	s_and_not1_b32 exec_lo, exec_lo, s1
	s_cbranch_execnz .LBB124_101
; %bb.102:
	s_or_b32 exec_lo, exec_lo, s1
	v_mov_b32_e32 v7, 0
	ds_load_b128 v[7:10], v7 offset:304
	s_wait_dscnt 0x0
	v_mul_f64_e32 v[11:12], v[1:2], v[9:10]
	v_mul_f64_e32 v[15:16], v[3:4], v[9:10]
	s_delay_alu instid0(VALU_DEP_2) | instskip(NEXT) | instid1(VALU_DEP_2)
	v_fma_f64 v[9:10], v[3:4], v[7:8], -v[11:12]
	v_fma_f64 v[11:12], v[1:2], v[7:8], v[15:16]
	scratch_store_b128 off, v[9:12], off offset:320
.LBB124_103:
	s_wait_alu 0xfffe
	s_or_b32 exec_lo, exec_lo, s0
	s_wait_loadcnt 0x0
	s_wait_storecnt 0x0
	s_barrier_signal -1
	s_barrier_wait -1
	global_inv scope:SCOPE_SE
	scratch_load_b128 v[1:4], off, s56
	s_mov_b32 s0, exec_lo
	s_wait_loadcnt 0x0
	ds_store_b128 v5, v[1:4]
	s_wait_dscnt 0x0
	s_barrier_signal -1
	s_barrier_wait -1
	global_inv scope:SCOPE_SE
	v_cmpx_gt_u32_e32 20, v0
	s_cbranch_execz .LBB124_107
; %bb.104:
	v_dual_mov_b32 v1, 0 :: v_dual_add_nc_u32 v8, 0x3d0, v13
	v_mov_b32_e32 v3, 0
	v_dual_mov_b32 v2, 0 :: v_dual_add_nc_u32 v7, -1, v0
	v_mov_b32_e32 v4, 0
	v_or_b32_e32 v9, 8, v14
	s_mov_b32 s1, 0
.LBB124_105:                            ; =>This Inner Loop Header: Depth=1
	scratch_load_b128 v[15:18], v9, off offset:-8
	ds_load_b128 v[19:22], v8
	v_add_nc_u32_e32 v7, 1, v7
	v_add_nc_u32_e32 v8, 16, v8
	v_add_nc_u32_e32 v9, 16, v9
	s_delay_alu instid0(VALU_DEP_3)
	v_cmp_lt_u32_e32 vcc_lo, 18, v7
	s_wait_alu 0xfffe
	s_or_b32 s1, vcc_lo, s1
	s_wait_loadcnt_dscnt 0x0
	v_mul_f64_e32 v[10:11], v[21:22], v[17:18]
	v_mul_f64_e32 v[17:18], v[19:20], v[17:18]
	s_delay_alu instid0(VALU_DEP_2) | instskip(NEXT) | instid1(VALU_DEP_2)
	v_fma_f64 v[10:11], v[19:20], v[15:16], -v[10:11]
	v_fma_f64 v[15:16], v[21:22], v[15:16], v[17:18]
	s_delay_alu instid0(VALU_DEP_2) | instskip(NEXT) | instid1(VALU_DEP_2)
	v_add_f64_e32 v[3:4], v[3:4], v[10:11]
	v_add_f64_e32 v[1:2], v[1:2], v[15:16]
	s_wait_alu 0xfffe
	s_and_not1_b32 exec_lo, exec_lo, s1
	s_cbranch_execnz .LBB124_105
; %bb.106:
	s_or_b32 exec_lo, exec_lo, s1
	v_mov_b32_e32 v7, 0
	ds_load_b128 v[7:10], v7 offset:320
	s_wait_dscnt 0x0
	v_mul_f64_e32 v[11:12], v[1:2], v[9:10]
	v_mul_f64_e32 v[15:16], v[3:4], v[9:10]
	s_delay_alu instid0(VALU_DEP_2) | instskip(NEXT) | instid1(VALU_DEP_2)
	v_fma_f64 v[9:10], v[3:4], v[7:8], -v[11:12]
	v_fma_f64 v[11:12], v[1:2], v[7:8], v[15:16]
	scratch_store_b128 off, v[9:12], off offset:336
.LBB124_107:
	s_wait_alu 0xfffe
	;; [unrolled: 58-line block ×41, first 2 shown]
	s_or_b32 exec_lo, exec_lo, s0
	s_wait_loadcnt 0x0
	s_wait_storecnt 0x0
	s_barrier_signal -1
	s_barrier_wait -1
	global_inv scope:SCOPE_SE
	scratch_load_b128 v[1:4], off, s5
	s_mov_b32 s0, exec_lo
	s_wait_loadcnt 0x0
	ds_store_b128 v5, v[1:4]
	s_wait_dscnt 0x0
	s_barrier_signal -1
	s_barrier_wait -1
	global_inv scope:SCOPE_SE
	v_cmpx_ne_u32_e32 60, v0
	s_cbranch_execz .LBB124_267
; %bb.264:
	v_mov_b32_e32 v1, 0
	v_dual_mov_b32 v2, 0 :: v_dual_mov_b32 v3, 0
	v_mov_b32_e32 v4, 0
	v_or_b32_e32 v7, 8, v14
	s_mov_b32 s1, 0
.LBB124_265:                            ; =>This Inner Loop Header: Depth=1
	scratch_load_b128 v[8:11], v7, off offset:-8
	ds_load_b128 v[12:15], v5
	v_add_nc_u32_e32 v6, 1, v6
	v_add_nc_u32_e32 v5, 16, v5
	;; [unrolled: 1-line block ×3, first 2 shown]
	s_delay_alu instid0(VALU_DEP_3)
	v_cmp_lt_u32_e32 vcc_lo, 58, v6
	s_wait_alu 0xfffe
	s_or_b32 s1, vcc_lo, s1
	s_wait_loadcnt_dscnt 0x0
	v_mul_f64_e32 v[16:17], v[14:15], v[10:11]
	v_mul_f64_e32 v[10:11], v[12:13], v[10:11]
	s_delay_alu instid0(VALU_DEP_2) | instskip(NEXT) | instid1(VALU_DEP_2)
	v_fma_f64 v[12:13], v[12:13], v[8:9], -v[16:17]
	v_fma_f64 v[8:9], v[14:15], v[8:9], v[10:11]
	s_delay_alu instid0(VALU_DEP_2) | instskip(NEXT) | instid1(VALU_DEP_2)
	v_add_f64_e32 v[3:4], v[3:4], v[12:13]
	v_add_f64_e32 v[1:2], v[1:2], v[8:9]
	s_wait_alu 0xfffe
	s_and_not1_b32 exec_lo, exec_lo, s1
	s_cbranch_execnz .LBB124_265
; %bb.266:
	s_or_b32 exec_lo, exec_lo, s1
	v_mov_b32_e32 v5, 0
	ds_load_b128 v[5:8], v5 offset:960
	s_wait_dscnt 0x0
	v_mul_f64_e32 v[9:10], v[1:2], v[7:8]
	v_mul_f64_e32 v[7:8], v[3:4], v[7:8]
	s_delay_alu instid0(VALU_DEP_2) | instskip(NEXT) | instid1(VALU_DEP_2)
	v_fma_f64 v[3:4], v[3:4], v[5:6], -v[9:10]
	v_fma_f64 v[5:6], v[1:2], v[5:6], v[7:8]
	scratch_store_b128 off, v[3:6], off offset:976
.LBB124_267:
	s_wait_alu 0xfffe
	s_or_b32 exec_lo, exec_lo, s0
	s_mov_b32 s1, -1
	s_wait_loadcnt 0x0
	s_wait_storecnt 0x0
	s_barrier_signal -1
	s_barrier_wait -1
	global_inv scope:SCOPE_SE
.LBB124_268:
	s_wait_alu 0xfffe
	s_and_b32 vcc_lo, exec_lo, s1
	s_wait_alu 0xfffe
	s_cbranch_vccz .LBB124_270
; %bb.269:
	v_mov_b32_e32 v1, 0
	s_lshl_b64 s[0:1], s[10:11], 2
	s_wait_alu 0xfffe
	s_add_nc_u64 s[0:1], s[6:7], s[0:1]
	global_load_b32 v1, v1, s[0:1]
	s_wait_loadcnt 0x0
	v_cmp_ne_u32_e32 vcc_lo, 0, v1
	s_cbranch_vccz .LBB124_271
.LBB124_270:
	s_nop 0
	s_sendmsg sendmsg(MSG_DEALLOC_VGPRS)
	s_endpgm
.LBB124_271:
	v_lshl_add_u32 v164, v0, 4, 0x3d0
	s_mov_b32 s0, exec_lo
	v_cmpx_eq_u32_e32 60, v0
	s_cbranch_execz .LBB124_273
; %bb.272:
	scratch_load_b128 v[1:4], off, s13
	v_mov_b32_e32 v5, 0
	s_delay_alu instid0(VALU_DEP_1)
	v_dual_mov_b32 v6, v5 :: v_dual_mov_b32 v7, v5
	v_mov_b32_e32 v8, v5
	scratch_store_b128 off, v[5:8], off offset:960
	s_wait_loadcnt 0x0
	ds_store_b128 v164, v[1:4]
.LBB124_273:
	s_wait_alu 0xfffe
	s_or_b32 exec_lo, exec_lo, s0
	s_wait_storecnt_dscnt 0x0
	s_barrier_signal -1
	s_barrier_wait -1
	global_inv scope:SCOPE_SE
	s_clause 0x1
	scratch_load_b128 v[2:5], off, off offset:976
	scratch_load_b128 v[6:9], off, off offset:960
	v_mov_b32_e32 v1, 0
	s_mov_b32 s0, exec_lo
	ds_load_b128 v[10:13], v1 offset:1936
	s_wait_loadcnt_dscnt 0x100
	v_mul_f64_e32 v[14:15], v[12:13], v[4:5]
	v_mul_f64_e32 v[4:5], v[10:11], v[4:5]
	s_delay_alu instid0(VALU_DEP_2) | instskip(NEXT) | instid1(VALU_DEP_2)
	v_fma_f64 v[10:11], v[10:11], v[2:3], -v[14:15]
	v_fma_f64 v[2:3], v[12:13], v[2:3], v[4:5]
	s_delay_alu instid0(VALU_DEP_2) | instskip(NEXT) | instid1(VALU_DEP_2)
	v_add_f64_e32 v[4:5], 0, v[10:11]
	v_add_f64_e32 v[10:11], 0, v[2:3]
	s_wait_loadcnt 0x0
	s_delay_alu instid0(VALU_DEP_2) | instskip(NEXT) | instid1(VALU_DEP_2)
	v_add_f64_e64 v[2:3], v[6:7], -v[4:5]
	v_add_f64_e64 v[4:5], v[8:9], -v[10:11]
	scratch_store_b128 off, v[2:5], off offset:960
	v_cmpx_lt_u32_e32 58, v0
	s_cbranch_execz .LBB124_275
; %bb.274:
	scratch_load_b128 v[5:8], off, s16
	v_dual_mov_b32 v2, v1 :: v_dual_mov_b32 v3, v1
	v_mov_b32_e32 v4, v1
	scratch_store_b128 off, v[1:4], off offset:944
	s_wait_loadcnt 0x0
	ds_store_b128 v164, v[5:8]
.LBB124_275:
	s_wait_alu 0xfffe
	s_or_b32 exec_lo, exec_lo, s0
	s_wait_storecnt_dscnt 0x0
	s_barrier_signal -1
	s_barrier_wait -1
	global_inv scope:SCOPE_SE
	s_clause 0x2
	scratch_load_b128 v[2:5], off, off offset:960
	scratch_load_b128 v[6:9], off, off offset:976
	;; [unrolled: 1-line block ×3, first 2 shown]
	ds_load_b128 v[14:17], v1 offset:1920
	ds_load_b128 v[18:21], v1 offset:1936
	s_mov_b32 s0, exec_lo
	s_wait_loadcnt_dscnt 0x201
	v_mul_f64_e32 v[22:23], v[16:17], v[4:5]
	v_mul_f64_e32 v[4:5], v[14:15], v[4:5]
	s_wait_loadcnt_dscnt 0x100
	v_mul_f64_e32 v[24:25], v[18:19], v[8:9]
	v_mul_f64_e32 v[8:9], v[20:21], v[8:9]
	s_delay_alu instid0(VALU_DEP_4) | instskip(NEXT) | instid1(VALU_DEP_4)
	v_fma_f64 v[14:15], v[14:15], v[2:3], -v[22:23]
	v_fma_f64 v[1:2], v[16:17], v[2:3], v[4:5]
	s_delay_alu instid0(VALU_DEP_4) | instskip(NEXT) | instid1(VALU_DEP_4)
	v_fma_f64 v[3:4], v[20:21], v[6:7], v[24:25]
	v_fma_f64 v[5:6], v[18:19], v[6:7], -v[8:9]
	s_delay_alu instid0(VALU_DEP_4) | instskip(NEXT) | instid1(VALU_DEP_4)
	v_add_f64_e32 v[7:8], 0, v[14:15]
	v_add_f64_e32 v[1:2], 0, v[1:2]
	s_delay_alu instid0(VALU_DEP_2) | instskip(NEXT) | instid1(VALU_DEP_2)
	v_add_f64_e32 v[5:6], v[7:8], v[5:6]
	v_add_f64_e32 v[3:4], v[1:2], v[3:4]
	s_wait_loadcnt 0x0
	s_delay_alu instid0(VALU_DEP_2) | instskip(NEXT) | instid1(VALU_DEP_2)
	v_add_f64_e64 v[1:2], v[10:11], -v[5:6]
	v_add_f64_e64 v[3:4], v[12:13], -v[3:4]
	scratch_store_b128 off, v[1:4], off offset:944
	v_cmpx_lt_u32_e32 57, v0
	s_cbranch_execz .LBB124_277
; %bb.276:
	scratch_load_b128 v[1:4], off, s18
	v_mov_b32_e32 v5, 0
	s_delay_alu instid0(VALU_DEP_1)
	v_dual_mov_b32 v6, v5 :: v_dual_mov_b32 v7, v5
	v_mov_b32_e32 v8, v5
	scratch_store_b128 off, v[5:8], off offset:928
	s_wait_loadcnt 0x0
	ds_store_b128 v164, v[1:4]
.LBB124_277:
	s_wait_alu 0xfffe
	s_or_b32 exec_lo, exec_lo, s0
	s_wait_storecnt_dscnt 0x0
	s_barrier_signal -1
	s_barrier_wait -1
	global_inv scope:SCOPE_SE
	s_clause 0x3
	scratch_load_b128 v[2:5], off, off offset:944
	scratch_load_b128 v[6:9], off, off offset:960
	;; [unrolled: 1-line block ×4, first 2 shown]
	v_mov_b32_e32 v1, 0
	ds_load_b128 v[18:21], v1 offset:1904
	ds_load_b128 v[22:25], v1 offset:1920
	s_mov_b32 s0, exec_lo
	s_wait_loadcnt_dscnt 0x301
	v_mul_f64_e32 v[26:27], v[20:21], v[4:5]
	v_mul_f64_e32 v[4:5], v[18:19], v[4:5]
	s_wait_loadcnt_dscnt 0x200
	v_mul_f64_e32 v[28:29], v[22:23], v[8:9]
	v_mul_f64_e32 v[8:9], v[24:25], v[8:9]
	s_delay_alu instid0(VALU_DEP_4) | instskip(NEXT) | instid1(VALU_DEP_4)
	v_fma_f64 v[18:19], v[18:19], v[2:3], -v[26:27]
	v_fma_f64 v[20:21], v[20:21], v[2:3], v[4:5]
	ds_load_b128 v[2:5], v1 offset:1936
	v_fma_f64 v[24:25], v[24:25], v[6:7], v[28:29]
	v_fma_f64 v[6:7], v[22:23], v[6:7], -v[8:9]
	s_wait_loadcnt_dscnt 0x100
	v_mul_f64_e32 v[26:27], v[2:3], v[12:13]
	v_mul_f64_e32 v[12:13], v[4:5], v[12:13]
	v_add_f64_e32 v[8:9], 0, v[18:19]
	v_add_f64_e32 v[18:19], 0, v[20:21]
	s_delay_alu instid0(VALU_DEP_4) | instskip(NEXT) | instid1(VALU_DEP_4)
	v_fma_f64 v[4:5], v[4:5], v[10:11], v[26:27]
	v_fma_f64 v[2:3], v[2:3], v[10:11], -v[12:13]
	s_delay_alu instid0(VALU_DEP_4) | instskip(NEXT) | instid1(VALU_DEP_4)
	v_add_f64_e32 v[6:7], v[8:9], v[6:7]
	v_add_f64_e32 v[8:9], v[18:19], v[24:25]
	s_delay_alu instid0(VALU_DEP_2) | instskip(NEXT) | instid1(VALU_DEP_2)
	v_add_f64_e32 v[2:3], v[6:7], v[2:3]
	v_add_f64_e32 v[4:5], v[8:9], v[4:5]
	s_wait_loadcnt 0x0
	s_delay_alu instid0(VALU_DEP_2) | instskip(NEXT) | instid1(VALU_DEP_2)
	v_add_f64_e64 v[2:3], v[14:15], -v[2:3]
	v_add_f64_e64 v[4:5], v[16:17], -v[4:5]
	scratch_store_b128 off, v[2:5], off offset:928
	v_cmpx_lt_u32_e32 56, v0
	s_cbranch_execz .LBB124_279
; %bb.278:
	scratch_load_b128 v[5:8], off, s19
	v_dual_mov_b32 v2, v1 :: v_dual_mov_b32 v3, v1
	v_mov_b32_e32 v4, v1
	scratch_store_b128 off, v[1:4], off offset:912
	s_wait_loadcnt 0x0
	ds_store_b128 v164, v[5:8]
.LBB124_279:
	s_wait_alu 0xfffe
	s_or_b32 exec_lo, exec_lo, s0
	s_wait_storecnt_dscnt 0x0
	s_barrier_signal -1
	s_barrier_wait -1
	global_inv scope:SCOPE_SE
	s_clause 0x4
	scratch_load_b128 v[2:5], off, off offset:928
	scratch_load_b128 v[6:9], off, off offset:944
	;; [unrolled: 1-line block ×5, first 2 shown]
	ds_load_b128 v[22:25], v1 offset:1888
	ds_load_b128 v[26:29], v1 offset:1904
	s_mov_b32 s0, exec_lo
	s_wait_loadcnt_dscnt 0x401
	v_mul_f64_e32 v[30:31], v[24:25], v[4:5]
	v_mul_f64_e32 v[4:5], v[22:23], v[4:5]
	s_wait_loadcnt_dscnt 0x300
	v_mul_f64_e32 v[32:33], v[26:27], v[8:9]
	v_mul_f64_e32 v[8:9], v[28:29], v[8:9]
	s_delay_alu instid0(VALU_DEP_4) | instskip(NEXT) | instid1(VALU_DEP_4)
	v_fma_f64 v[30:31], v[22:23], v[2:3], -v[30:31]
	v_fma_f64 v[34:35], v[24:25], v[2:3], v[4:5]
	ds_load_b128 v[2:5], v1 offset:1920
	ds_load_b128 v[22:25], v1 offset:1936
	v_fma_f64 v[28:29], v[28:29], v[6:7], v[32:33]
	v_fma_f64 v[6:7], v[26:27], v[6:7], -v[8:9]
	s_wait_loadcnt_dscnt 0x201
	v_mul_f64_e32 v[36:37], v[2:3], v[12:13]
	v_mul_f64_e32 v[12:13], v[4:5], v[12:13]
	v_add_f64_e32 v[8:9], 0, v[30:31]
	v_add_f64_e32 v[26:27], 0, v[34:35]
	s_wait_loadcnt_dscnt 0x100
	v_mul_f64_e32 v[30:31], v[22:23], v[16:17]
	v_mul_f64_e32 v[16:17], v[24:25], v[16:17]
	v_fma_f64 v[4:5], v[4:5], v[10:11], v[36:37]
	v_fma_f64 v[1:2], v[2:3], v[10:11], -v[12:13]
	v_add_f64_e32 v[6:7], v[8:9], v[6:7]
	v_add_f64_e32 v[8:9], v[26:27], v[28:29]
	v_fma_f64 v[10:11], v[24:25], v[14:15], v[30:31]
	v_fma_f64 v[12:13], v[22:23], v[14:15], -v[16:17]
	s_delay_alu instid0(VALU_DEP_4) | instskip(NEXT) | instid1(VALU_DEP_4)
	v_add_f64_e32 v[1:2], v[6:7], v[1:2]
	v_add_f64_e32 v[3:4], v[8:9], v[4:5]
	s_delay_alu instid0(VALU_DEP_2) | instskip(NEXT) | instid1(VALU_DEP_2)
	v_add_f64_e32 v[1:2], v[1:2], v[12:13]
	v_add_f64_e32 v[3:4], v[3:4], v[10:11]
	s_wait_loadcnt 0x0
	s_delay_alu instid0(VALU_DEP_2) | instskip(NEXT) | instid1(VALU_DEP_2)
	v_add_f64_e64 v[1:2], v[18:19], -v[1:2]
	v_add_f64_e64 v[3:4], v[20:21], -v[3:4]
	scratch_store_b128 off, v[1:4], off offset:912
	v_cmpx_lt_u32_e32 55, v0
	s_cbranch_execz .LBB124_281
; %bb.280:
	scratch_load_b128 v[1:4], off, s20
	v_mov_b32_e32 v5, 0
	s_delay_alu instid0(VALU_DEP_1)
	v_dual_mov_b32 v6, v5 :: v_dual_mov_b32 v7, v5
	v_mov_b32_e32 v8, v5
	scratch_store_b128 off, v[5:8], off offset:896
	s_wait_loadcnt 0x0
	ds_store_b128 v164, v[1:4]
.LBB124_281:
	s_wait_alu 0xfffe
	s_or_b32 exec_lo, exec_lo, s0
	s_wait_storecnt_dscnt 0x0
	s_barrier_signal -1
	s_barrier_wait -1
	global_inv scope:SCOPE_SE
	s_clause 0x5
	scratch_load_b128 v[2:5], off, off offset:912
	scratch_load_b128 v[6:9], off, off offset:928
	;; [unrolled: 1-line block ×6, first 2 shown]
	v_mov_b32_e32 v1, 0
	ds_load_b128 v[26:29], v1 offset:1872
	ds_load_b128 v[30:33], v1 offset:1888
	s_mov_b32 s0, exec_lo
	s_wait_loadcnt_dscnt 0x501
	v_mul_f64_e32 v[34:35], v[28:29], v[4:5]
	v_mul_f64_e32 v[4:5], v[26:27], v[4:5]
	s_wait_loadcnt_dscnt 0x400
	v_mul_f64_e32 v[36:37], v[30:31], v[8:9]
	v_mul_f64_e32 v[8:9], v[32:33], v[8:9]
	s_delay_alu instid0(VALU_DEP_4) | instskip(NEXT) | instid1(VALU_DEP_4)
	v_fma_f64 v[34:35], v[26:27], v[2:3], -v[34:35]
	v_fma_f64 v[38:39], v[28:29], v[2:3], v[4:5]
	ds_load_b128 v[2:5], v1 offset:1904
	ds_load_b128 v[26:29], v1 offset:1920
	v_fma_f64 v[32:33], v[32:33], v[6:7], v[36:37]
	v_fma_f64 v[6:7], v[30:31], v[6:7], -v[8:9]
	s_wait_loadcnt_dscnt 0x301
	v_mul_f64_e32 v[40:41], v[2:3], v[12:13]
	v_mul_f64_e32 v[12:13], v[4:5], v[12:13]
	v_add_f64_e32 v[8:9], 0, v[34:35]
	v_add_f64_e32 v[30:31], 0, v[38:39]
	s_wait_loadcnt_dscnt 0x200
	v_mul_f64_e32 v[34:35], v[26:27], v[16:17]
	v_mul_f64_e32 v[16:17], v[28:29], v[16:17]
	v_fma_f64 v[36:37], v[4:5], v[10:11], v[40:41]
	v_fma_f64 v[10:11], v[2:3], v[10:11], -v[12:13]
	ds_load_b128 v[2:5], v1 offset:1936
	v_add_f64_e32 v[6:7], v[8:9], v[6:7]
	v_add_f64_e32 v[8:9], v[30:31], v[32:33]
	v_fma_f64 v[28:29], v[28:29], v[14:15], v[34:35]
	v_fma_f64 v[14:15], v[26:27], v[14:15], -v[16:17]
	s_wait_loadcnt_dscnt 0x100
	v_mul_f64_e32 v[12:13], v[2:3], v[20:21]
	v_mul_f64_e32 v[20:21], v[4:5], v[20:21]
	v_add_f64_e32 v[6:7], v[6:7], v[10:11]
	v_add_f64_e32 v[8:9], v[8:9], v[36:37]
	s_delay_alu instid0(VALU_DEP_4) | instskip(NEXT) | instid1(VALU_DEP_4)
	v_fma_f64 v[4:5], v[4:5], v[18:19], v[12:13]
	v_fma_f64 v[2:3], v[2:3], v[18:19], -v[20:21]
	s_delay_alu instid0(VALU_DEP_4) | instskip(NEXT) | instid1(VALU_DEP_4)
	v_add_f64_e32 v[6:7], v[6:7], v[14:15]
	v_add_f64_e32 v[8:9], v[8:9], v[28:29]
	s_delay_alu instid0(VALU_DEP_2) | instskip(NEXT) | instid1(VALU_DEP_2)
	v_add_f64_e32 v[2:3], v[6:7], v[2:3]
	v_add_f64_e32 v[4:5], v[8:9], v[4:5]
	s_wait_loadcnt 0x0
	s_delay_alu instid0(VALU_DEP_2) | instskip(NEXT) | instid1(VALU_DEP_2)
	v_add_f64_e64 v[2:3], v[22:23], -v[2:3]
	v_add_f64_e64 v[4:5], v[24:25], -v[4:5]
	scratch_store_b128 off, v[2:5], off offset:896
	v_cmpx_lt_u32_e32 54, v0
	s_cbranch_execz .LBB124_283
; %bb.282:
	scratch_load_b128 v[5:8], off, s21
	v_dual_mov_b32 v2, v1 :: v_dual_mov_b32 v3, v1
	v_mov_b32_e32 v4, v1
	scratch_store_b128 off, v[1:4], off offset:880
	s_wait_loadcnt 0x0
	ds_store_b128 v164, v[5:8]
.LBB124_283:
	s_wait_alu 0xfffe
	s_or_b32 exec_lo, exec_lo, s0
	s_wait_storecnt_dscnt 0x0
	s_barrier_signal -1
	s_barrier_wait -1
	global_inv scope:SCOPE_SE
	s_clause 0x5
	scratch_load_b128 v[2:5], off, off offset:896
	scratch_load_b128 v[6:9], off, off offset:912
	;; [unrolled: 1-line block ×6, first 2 shown]
	ds_load_b128 v[26:29], v1 offset:1856
	ds_load_b128 v[34:37], v1 offset:1872
	scratch_load_b128 v[30:33], off, off offset:880
	s_mov_b32 s0, exec_lo
	s_wait_loadcnt_dscnt 0x601
	v_mul_f64_e32 v[38:39], v[28:29], v[4:5]
	v_mul_f64_e32 v[4:5], v[26:27], v[4:5]
	s_wait_loadcnt_dscnt 0x500
	v_mul_f64_e32 v[40:41], v[34:35], v[8:9]
	v_mul_f64_e32 v[8:9], v[36:37], v[8:9]
	s_delay_alu instid0(VALU_DEP_4) | instskip(NEXT) | instid1(VALU_DEP_4)
	v_fma_f64 v[38:39], v[26:27], v[2:3], -v[38:39]
	v_fma_f64 v[165:166], v[28:29], v[2:3], v[4:5]
	ds_load_b128 v[2:5], v1 offset:1888
	ds_load_b128 v[26:29], v1 offset:1904
	v_fma_f64 v[36:37], v[36:37], v[6:7], v[40:41]
	v_fma_f64 v[6:7], v[34:35], v[6:7], -v[8:9]
	s_wait_loadcnt_dscnt 0x401
	v_mul_f64_e32 v[167:168], v[2:3], v[12:13]
	v_mul_f64_e32 v[12:13], v[4:5], v[12:13]
	v_add_f64_e32 v[8:9], 0, v[38:39]
	v_add_f64_e32 v[34:35], 0, v[165:166]
	s_wait_loadcnt_dscnt 0x300
	v_mul_f64_e32 v[38:39], v[26:27], v[16:17]
	v_mul_f64_e32 v[16:17], v[28:29], v[16:17]
	v_fma_f64 v[40:41], v[4:5], v[10:11], v[167:168]
	v_fma_f64 v[10:11], v[2:3], v[10:11], -v[12:13]
	v_add_f64_e32 v[12:13], v[8:9], v[6:7]
	v_add_f64_e32 v[34:35], v[34:35], v[36:37]
	ds_load_b128 v[2:5], v1 offset:1920
	ds_load_b128 v[6:9], v1 offset:1936
	v_fma_f64 v[28:29], v[28:29], v[14:15], v[38:39]
	v_fma_f64 v[14:15], v[26:27], v[14:15], -v[16:17]
	s_wait_loadcnt_dscnt 0x201
	v_mul_f64_e32 v[36:37], v[2:3], v[20:21]
	v_mul_f64_e32 v[20:21], v[4:5], v[20:21]
	s_wait_loadcnt_dscnt 0x100
	v_mul_f64_e32 v[16:17], v[6:7], v[24:25]
	v_mul_f64_e32 v[24:25], v[8:9], v[24:25]
	v_add_f64_e32 v[10:11], v[12:13], v[10:11]
	v_add_f64_e32 v[12:13], v[34:35], v[40:41]
	v_fma_f64 v[4:5], v[4:5], v[18:19], v[36:37]
	v_fma_f64 v[1:2], v[2:3], v[18:19], -v[20:21]
	v_fma_f64 v[8:9], v[8:9], v[22:23], v[16:17]
	v_fma_f64 v[6:7], v[6:7], v[22:23], -v[24:25]
	v_add_f64_e32 v[10:11], v[10:11], v[14:15]
	v_add_f64_e32 v[12:13], v[12:13], v[28:29]
	s_delay_alu instid0(VALU_DEP_2) | instskip(NEXT) | instid1(VALU_DEP_2)
	v_add_f64_e32 v[1:2], v[10:11], v[1:2]
	v_add_f64_e32 v[3:4], v[12:13], v[4:5]
	s_delay_alu instid0(VALU_DEP_2) | instskip(NEXT) | instid1(VALU_DEP_2)
	v_add_f64_e32 v[1:2], v[1:2], v[6:7]
	v_add_f64_e32 v[3:4], v[3:4], v[8:9]
	s_wait_loadcnt 0x0
	s_delay_alu instid0(VALU_DEP_2) | instskip(NEXT) | instid1(VALU_DEP_2)
	v_add_f64_e64 v[1:2], v[30:31], -v[1:2]
	v_add_f64_e64 v[3:4], v[32:33], -v[3:4]
	scratch_store_b128 off, v[1:4], off offset:880
	v_cmpx_lt_u32_e32 53, v0
	s_cbranch_execz .LBB124_285
; %bb.284:
	scratch_load_b128 v[1:4], off, s22
	v_mov_b32_e32 v5, 0
	s_delay_alu instid0(VALU_DEP_1)
	v_dual_mov_b32 v6, v5 :: v_dual_mov_b32 v7, v5
	v_mov_b32_e32 v8, v5
	scratch_store_b128 off, v[5:8], off offset:864
	s_wait_loadcnt 0x0
	ds_store_b128 v164, v[1:4]
.LBB124_285:
	s_wait_alu 0xfffe
	s_or_b32 exec_lo, exec_lo, s0
	s_wait_storecnt_dscnt 0x0
	s_barrier_signal -1
	s_barrier_wait -1
	global_inv scope:SCOPE_SE
	s_clause 0x6
	scratch_load_b128 v[2:5], off, off offset:880
	scratch_load_b128 v[6:9], off, off offset:896
	;; [unrolled: 1-line block ×7, first 2 shown]
	v_mov_b32_e32 v1, 0
	scratch_load_b128 v[34:37], off, off offset:864
	s_mov_b32 s0, exec_lo
	ds_load_b128 v[30:33], v1 offset:1840
	ds_load_b128 v[38:41], v1 offset:1856
	s_wait_loadcnt_dscnt 0x701
	v_mul_f64_e32 v[165:166], v[32:33], v[4:5]
	v_mul_f64_e32 v[4:5], v[30:31], v[4:5]
	s_wait_loadcnt_dscnt 0x600
	v_mul_f64_e32 v[167:168], v[38:39], v[8:9]
	v_mul_f64_e32 v[8:9], v[40:41], v[8:9]
	s_delay_alu instid0(VALU_DEP_4) | instskip(NEXT) | instid1(VALU_DEP_4)
	v_fma_f64 v[165:166], v[30:31], v[2:3], -v[165:166]
	v_fma_f64 v[169:170], v[32:33], v[2:3], v[4:5]
	ds_load_b128 v[2:5], v1 offset:1872
	ds_load_b128 v[30:33], v1 offset:1888
	v_fma_f64 v[40:41], v[40:41], v[6:7], v[167:168]
	v_fma_f64 v[6:7], v[38:39], v[6:7], -v[8:9]
	s_wait_loadcnt_dscnt 0x501
	v_mul_f64_e32 v[171:172], v[2:3], v[12:13]
	v_mul_f64_e32 v[12:13], v[4:5], v[12:13]
	v_add_f64_e32 v[8:9], 0, v[165:166]
	v_add_f64_e32 v[38:39], 0, v[169:170]
	s_wait_loadcnt_dscnt 0x400
	v_mul_f64_e32 v[165:166], v[30:31], v[16:17]
	v_mul_f64_e32 v[16:17], v[32:33], v[16:17]
	v_fma_f64 v[167:168], v[4:5], v[10:11], v[171:172]
	v_fma_f64 v[10:11], v[2:3], v[10:11], -v[12:13]
	v_add_f64_e32 v[12:13], v[8:9], v[6:7]
	v_add_f64_e32 v[38:39], v[38:39], v[40:41]
	ds_load_b128 v[2:5], v1 offset:1904
	ds_load_b128 v[6:9], v1 offset:1920
	v_fma_f64 v[32:33], v[32:33], v[14:15], v[165:166]
	v_fma_f64 v[14:15], v[30:31], v[14:15], -v[16:17]
	s_wait_loadcnt_dscnt 0x301
	v_mul_f64_e32 v[40:41], v[2:3], v[20:21]
	v_mul_f64_e32 v[20:21], v[4:5], v[20:21]
	s_wait_loadcnt_dscnt 0x200
	v_mul_f64_e32 v[16:17], v[6:7], v[24:25]
	v_mul_f64_e32 v[24:25], v[8:9], v[24:25]
	v_add_f64_e32 v[10:11], v[12:13], v[10:11]
	v_add_f64_e32 v[12:13], v[38:39], v[167:168]
	v_fma_f64 v[30:31], v[4:5], v[18:19], v[40:41]
	v_fma_f64 v[18:19], v[2:3], v[18:19], -v[20:21]
	ds_load_b128 v[2:5], v1 offset:1936
	v_fma_f64 v[8:9], v[8:9], v[22:23], v[16:17]
	v_fma_f64 v[6:7], v[6:7], v[22:23], -v[24:25]
	v_add_f64_e32 v[10:11], v[10:11], v[14:15]
	v_add_f64_e32 v[12:13], v[12:13], v[32:33]
	s_wait_loadcnt_dscnt 0x100
	v_mul_f64_e32 v[14:15], v[2:3], v[28:29]
	v_mul_f64_e32 v[20:21], v[4:5], v[28:29]
	s_delay_alu instid0(VALU_DEP_4) | instskip(NEXT) | instid1(VALU_DEP_4)
	v_add_f64_e32 v[10:11], v[10:11], v[18:19]
	v_add_f64_e32 v[12:13], v[12:13], v[30:31]
	s_delay_alu instid0(VALU_DEP_4) | instskip(NEXT) | instid1(VALU_DEP_4)
	v_fma_f64 v[4:5], v[4:5], v[26:27], v[14:15]
	v_fma_f64 v[2:3], v[2:3], v[26:27], -v[20:21]
	s_delay_alu instid0(VALU_DEP_4) | instskip(NEXT) | instid1(VALU_DEP_4)
	v_add_f64_e32 v[6:7], v[10:11], v[6:7]
	v_add_f64_e32 v[8:9], v[12:13], v[8:9]
	s_delay_alu instid0(VALU_DEP_2) | instskip(NEXT) | instid1(VALU_DEP_2)
	v_add_f64_e32 v[2:3], v[6:7], v[2:3]
	v_add_f64_e32 v[4:5], v[8:9], v[4:5]
	s_wait_loadcnt 0x0
	s_delay_alu instid0(VALU_DEP_2) | instskip(NEXT) | instid1(VALU_DEP_2)
	v_add_f64_e64 v[2:3], v[34:35], -v[2:3]
	v_add_f64_e64 v[4:5], v[36:37], -v[4:5]
	scratch_store_b128 off, v[2:5], off offset:864
	v_cmpx_lt_u32_e32 52, v0
	s_cbranch_execz .LBB124_287
; %bb.286:
	scratch_load_b128 v[5:8], off, s23
	v_dual_mov_b32 v2, v1 :: v_dual_mov_b32 v3, v1
	v_mov_b32_e32 v4, v1
	scratch_store_b128 off, v[1:4], off offset:848
	s_wait_loadcnt 0x0
	ds_store_b128 v164, v[5:8]
.LBB124_287:
	s_wait_alu 0xfffe
	s_or_b32 exec_lo, exec_lo, s0
	s_wait_storecnt_dscnt 0x0
	s_barrier_signal -1
	s_barrier_wait -1
	global_inv scope:SCOPE_SE
	s_clause 0x7
	scratch_load_b128 v[2:5], off, off offset:864
	scratch_load_b128 v[6:9], off, off offset:880
	;; [unrolled: 1-line block ×8, first 2 shown]
	ds_load_b128 v[34:37], v1 offset:1824
	ds_load_b128 v[38:41], v1 offset:1840
	scratch_load_b128 v[165:168], off, off offset:848
	s_mov_b32 s0, exec_lo
	s_wait_loadcnt_dscnt 0x801
	v_mul_f64_e32 v[169:170], v[36:37], v[4:5]
	v_mul_f64_e32 v[4:5], v[34:35], v[4:5]
	s_wait_loadcnt_dscnt 0x700
	v_mul_f64_e32 v[171:172], v[38:39], v[8:9]
	v_mul_f64_e32 v[8:9], v[40:41], v[8:9]
	s_delay_alu instid0(VALU_DEP_4) | instskip(NEXT) | instid1(VALU_DEP_4)
	v_fma_f64 v[169:170], v[34:35], v[2:3], -v[169:170]
	v_fma_f64 v[173:174], v[36:37], v[2:3], v[4:5]
	ds_load_b128 v[2:5], v1 offset:1856
	ds_load_b128 v[34:37], v1 offset:1872
	v_fma_f64 v[40:41], v[40:41], v[6:7], v[171:172]
	v_fma_f64 v[6:7], v[38:39], v[6:7], -v[8:9]
	s_wait_loadcnt_dscnt 0x601
	v_mul_f64_e32 v[175:176], v[2:3], v[12:13]
	v_mul_f64_e32 v[12:13], v[4:5], v[12:13]
	v_add_f64_e32 v[8:9], 0, v[169:170]
	v_add_f64_e32 v[38:39], 0, v[173:174]
	s_wait_loadcnt_dscnt 0x500
	v_mul_f64_e32 v[169:170], v[34:35], v[16:17]
	v_mul_f64_e32 v[16:17], v[36:37], v[16:17]
	v_fma_f64 v[171:172], v[4:5], v[10:11], v[175:176]
	v_fma_f64 v[10:11], v[2:3], v[10:11], -v[12:13]
	v_add_f64_e32 v[12:13], v[8:9], v[6:7]
	v_add_f64_e32 v[38:39], v[38:39], v[40:41]
	ds_load_b128 v[2:5], v1 offset:1888
	ds_load_b128 v[6:9], v1 offset:1904
	v_fma_f64 v[36:37], v[36:37], v[14:15], v[169:170]
	v_fma_f64 v[14:15], v[34:35], v[14:15], -v[16:17]
	s_wait_loadcnt_dscnt 0x401
	v_mul_f64_e32 v[40:41], v[2:3], v[20:21]
	v_mul_f64_e32 v[20:21], v[4:5], v[20:21]
	s_wait_loadcnt_dscnt 0x300
	v_mul_f64_e32 v[16:17], v[6:7], v[24:25]
	v_mul_f64_e32 v[24:25], v[8:9], v[24:25]
	v_add_f64_e32 v[10:11], v[12:13], v[10:11]
	v_add_f64_e32 v[12:13], v[38:39], v[171:172]
	v_fma_f64 v[34:35], v[4:5], v[18:19], v[40:41]
	v_fma_f64 v[18:19], v[2:3], v[18:19], -v[20:21]
	v_fma_f64 v[8:9], v[8:9], v[22:23], v[16:17]
	v_fma_f64 v[6:7], v[6:7], v[22:23], -v[24:25]
	v_add_f64_e32 v[14:15], v[10:11], v[14:15]
	v_add_f64_e32 v[20:21], v[12:13], v[36:37]
	ds_load_b128 v[2:5], v1 offset:1920
	ds_load_b128 v[10:13], v1 offset:1936
	s_wait_loadcnt_dscnt 0x201
	v_mul_f64_e32 v[36:37], v[2:3], v[28:29]
	v_mul_f64_e32 v[28:29], v[4:5], v[28:29]
	v_add_f64_e32 v[14:15], v[14:15], v[18:19]
	v_add_f64_e32 v[16:17], v[20:21], v[34:35]
	s_wait_loadcnt_dscnt 0x100
	v_mul_f64_e32 v[18:19], v[10:11], v[32:33]
	v_mul_f64_e32 v[20:21], v[12:13], v[32:33]
	v_fma_f64 v[4:5], v[4:5], v[26:27], v[36:37]
	v_fma_f64 v[1:2], v[2:3], v[26:27], -v[28:29]
	v_add_f64_e32 v[6:7], v[14:15], v[6:7]
	v_add_f64_e32 v[8:9], v[16:17], v[8:9]
	v_fma_f64 v[12:13], v[12:13], v[30:31], v[18:19]
	v_fma_f64 v[10:11], v[10:11], v[30:31], -v[20:21]
	s_delay_alu instid0(VALU_DEP_4) | instskip(NEXT) | instid1(VALU_DEP_4)
	v_add_f64_e32 v[1:2], v[6:7], v[1:2]
	v_add_f64_e32 v[3:4], v[8:9], v[4:5]
	s_delay_alu instid0(VALU_DEP_2) | instskip(NEXT) | instid1(VALU_DEP_2)
	v_add_f64_e32 v[1:2], v[1:2], v[10:11]
	v_add_f64_e32 v[3:4], v[3:4], v[12:13]
	s_wait_loadcnt 0x0
	s_delay_alu instid0(VALU_DEP_2) | instskip(NEXT) | instid1(VALU_DEP_2)
	v_add_f64_e64 v[1:2], v[165:166], -v[1:2]
	v_add_f64_e64 v[3:4], v[167:168], -v[3:4]
	scratch_store_b128 off, v[1:4], off offset:848
	v_cmpx_lt_u32_e32 51, v0
	s_cbranch_execz .LBB124_289
; %bb.288:
	scratch_load_b128 v[1:4], off, s24
	v_mov_b32_e32 v5, 0
	s_delay_alu instid0(VALU_DEP_1)
	v_dual_mov_b32 v6, v5 :: v_dual_mov_b32 v7, v5
	v_mov_b32_e32 v8, v5
	scratch_store_b128 off, v[5:8], off offset:832
	s_wait_loadcnt 0x0
	ds_store_b128 v164, v[1:4]
.LBB124_289:
	s_wait_alu 0xfffe
	s_or_b32 exec_lo, exec_lo, s0
	s_wait_storecnt_dscnt 0x0
	s_barrier_signal -1
	s_barrier_wait -1
	global_inv scope:SCOPE_SE
	s_clause 0x7
	scratch_load_b128 v[2:5], off, off offset:848
	scratch_load_b128 v[6:9], off, off offset:864
	;; [unrolled: 1-line block ×8, first 2 shown]
	v_mov_b32_e32 v1, 0
	s_mov_b32 s0, exec_lo
	ds_load_b128 v[34:37], v1 offset:1808
	s_clause 0x1
	scratch_load_b128 v[38:41], off, off offset:976
	scratch_load_b128 v[165:168], off, off offset:832
	ds_load_b128 v[169:172], v1 offset:1824
	s_wait_loadcnt_dscnt 0x901
	v_mul_f64_e32 v[173:174], v[36:37], v[4:5]
	v_mul_f64_e32 v[4:5], v[34:35], v[4:5]
	s_wait_loadcnt_dscnt 0x800
	v_mul_f64_e32 v[175:176], v[169:170], v[8:9]
	v_mul_f64_e32 v[8:9], v[171:172], v[8:9]
	s_delay_alu instid0(VALU_DEP_4) | instskip(NEXT) | instid1(VALU_DEP_4)
	v_fma_f64 v[173:174], v[34:35], v[2:3], -v[173:174]
	v_fma_f64 v[177:178], v[36:37], v[2:3], v[4:5]
	ds_load_b128 v[2:5], v1 offset:1840
	ds_load_b128 v[34:37], v1 offset:1856
	v_fma_f64 v[171:172], v[171:172], v[6:7], v[175:176]
	v_fma_f64 v[6:7], v[169:170], v[6:7], -v[8:9]
	s_wait_loadcnt_dscnt 0x701
	v_mul_f64_e32 v[179:180], v[2:3], v[12:13]
	v_mul_f64_e32 v[12:13], v[4:5], v[12:13]
	v_add_f64_e32 v[8:9], 0, v[173:174]
	v_add_f64_e32 v[169:170], 0, v[177:178]
	s_wait_loadcnt_dscnt 0x600
	v_mul_f64_e32 v[173:174], v[34:35], v[16:17]
	v_mul_f64_e32 v[16:17], v[36:37], v[16:17]
	v_fma_f64 v[175:176], v[4:5], v[10:11], v[179:180]
	v_fma_f64 v[10:11], v[2:3], v[10:11], -v[12:13]
	v_add_f64_e32 v[12:13], v[8:9], v[6:7]
	v_add_f64_e32 v[169:170], v[169:170], v[171:172]
	ds_load_b128 v[2:5], v1 offset:1872
	ds_load_b128 v[6:9], v1 offset:1888
	v_fma_f64 v[36:37], v[36:37], v[14:15], v[173:174]
	v_fma_f64 v[14:15], v[34:35], v[14:15], -v[16:17]
	s_wait_loadcnt_dscnt 0x501
	v_mul_f64_e32 v[171:172], v[2:3], v[20:21]
	v_mul_f64_e32 v[20:21], v[4:5], v[20:21]
	s_wait_loadcnt_dscnt 0x400
	v_mul_f64_e32 v[16:17], v[6:7], v[24:25]
	v_mul_f64_e32 v[24:25], v[8:9], v[24:25]
	v_add_f64_e32 v[10:11], v[12:13], v[10:11]
	v_add_f64_e32 v[12:13], v[169:170], v[175:176]
	v_fma_f64 v[34:35], v[4:5], v[18:19], v[171:172]
	v_fma_f64 v[18:19], v[2:3], v[18:19], -v[20:21]
	v_fma_f64 v[8:9], v[8:9], v[22:23], v[16:17]
	v_fma_f64 v[6:7], v[6:7], v[22:23], -v[24:25]
	v_add_f64_e32 v[14:15], v[10:11], v[14:15]
	v_add_f64_e32 v[20:21], v[12:13], v[36:37]
	ds_load_b128 v[2:5], v1 offset:1904
	ds_load_b128 v[10:13], v1 offset:1920
	s_wait_loadcnt_dscnt 0x301
	v_mul_f64_e32 v[36:37], v[2:3], v[28:29]
	v_mul_f64_e32 v[28:29], v[4:5], v[28:29]
	v_add_f64_e32 v[14:15], v[14:15], v[18:19]
	v_add_f64_e32 v[16:17], v[20:21], v[34:35]
	s_wait_loadcnt_dscnt 0x200
	v_mul_f64_e32 v[18:19], v[10:11], v[32:33]
	v_mul_f64_e32 v[20:21], v[12:13], v[32:33]
	v_fma_f64 v[22:23], v[4:5], v[26:27], v[36:37]
	v_fma_f64 v[24:25], v[2:3], v[26:27], -v[28:29]
	ds_load_b128 v[2:5], v1 offset:1936
	v_add_f64_e32 v[6:7], v[14:15], v[6:7]
	v_add_f64_e32 v[8:9], v[16:17], v[8:9]
	v_fma_f64 v[12:13], v[12:13], v[30:31], v[18:19]
	v_fma_f64 v[10:11], v[10:11], v[30:31], -v[20:21]
	s_wait_loadcnt_dscnt 0x100
	v_mul_f64_e32 v[14:15], v[2:3], v[40:41]
	v_mul_f64_e32 v[16:17], v[4:5], v[40:41]
	v_add_f64_e32 v[6:7], v[6:7], v[24:25]
	v_add_f64_e32 v[8:9], v[8:9], v[22:23]
	s_delay_alu instid0(VALU_DEP_4) | instskip(NEXT) | instid1(VALU_DEP_4)
	v_fma_f64 v[4:5], v[4:5], v[38:39], v[14:15]
	v_fma_f64 v[2:3], v[2:3], v[38:39], -v[16:17]
	s_delay_alu instid0(VALU_DEP_4) | instskip(NEXT) | instid1(VALU_DEP_4)
	v_add_f64_e32 v[6:7], v[6:7], v[10:11]
	v_add_f64_e32 v[8:9], v[8:9], v[12:13]
	s_delay_alu instid0(VALU_DEP_2) | instskip(NEXT) | instid1(VALU_DEP_2)
	v_add_f64_e32 v[2:3], v[6:7], v[2:3]
	v_add_f64_e32 v[4:5], v[8:9], v[4:5]
	s_wait_loadcnt 0x0
	s_delay_alu instid0(VALU_DEP_2) | instskip(NEXT) | instid1(VALU_DEP_2)
	v_add_f64_e64 v[2:3], v[165:166], -v[2:3]
	v_add_f64_e64 v[4:5], v[167:168], -v[4:5]
	scratch_store_b128 off, v[2:5], off offset:832
	v_cmpx_lt_u32_e32 50, v0
	s_cbranch_execz .LBB124_291
; %bb.290:
	scratch_load_b128 v[5:8], off, s25
	v_dual_mov_b32 v2, v1 :: v_dual_mov_b32 v3, v1
	v_mov_b32_e32 v4, v1
	scratch_store_b128 off, v[1:4], off offset:816
	s_wait_loadcnt 0x0
	ds_store_b128 v164, v[5:8]
.LBB124_291:
	s_wait_alu 0xfffe
	s_or_b32 exec_lo, exec_lo, s0
	s_wait_storecnt_dscnt 0x0
	s_barrier_signal -1
	s_barrier_wait -1
	global_inv scope:SCOPE_SE
	s_clause 0x8
	scratch_load_b128 v[2:5], off, off offset:832
	scratch_load_b128 v[6:9], off, off offset:848
	;; [unrolled: 1-line block ×9, first 2 shown]
	ds_load_b128 v[38:41], v1 offset:1792
	ds_load_b128 v[165:168], v1 offset:1808
	s_clause 0x1
	scratch_load_b128 v[169:172], off, off offset:816
	scratch_load_b128 v[173:176], off, off offset:976
	s_mov_b32 s0, exec_lo
	s_wait_loadcnt_dscnt 0xa01
	v_mul_f64_e32 v[177:178], v[40:41], v[4:5]
	v_mul_f64_e32 v[4:5], v[38:39], v[4:5]
	s_wait_loadcnt_dscnt 0x900
	v_mul_f64_e32 v[179:180], v[165:166], v[8:9]
	v_mul_f64_e32 v[8:9], v[167:168], v[8:9]
	s_delay_alu instid0(VALU_DEP_4) | instskip(NEXT) | instid1(VALU_DEP_4)
	v_fma_f64 v[177:178], v[38:39], v[2:3], -v[177:178]
	v_fma_f64 v[181:182], v[40:41], v[2:3], v[4:5]
	ds_load_b128 v[2:5], v1 offset:1824
	ds_load_b128 v[38:41], v1 offset:1840
	v_fma_f64 v[167:168], v[167:168], v[6:7], v[179:180]
	v_fma_f64 v[6:7], v[165:166], v[6:7], -v[8:9]
	s_wait_loadcnt_dscnt 0x801
	v_mul_f64_e32 v[183:184], v[2:3], v[12:13]
	v_mul_f64_e32 v[12:13], v[4:5], v[12:13]
	v_add_f64_e32 v[8:9], 0, v[177:178]
	v_add_f64_e32 v[165:166], 0, v[181:182]
	s_wait_loadcnt_dscnt 0x700
	v_mul_f64_e32 v[177:178], v[38:39], v[16:17]
	v_mul_f64_e32 v[16:17], v[40:41], v[16:17]
	v_fma_f64 v[179:180], v[4:5], v[10:11], v[183:184]
	v_fma_f64 v[10:11], v[2:3], v[10:11], -v[12:13]
	v_add_f64_e32 v[12:13], v[8:9], v[6:7]
	v_add_f64_e32 v[165:166], v[165:166], v[167:168]
	ds_load_b128 v[2:5], v1 offset:1856
	ds_load_b128 v[6:9], v1 offset:1872
	v_fma_f64 v[40:41], v[40:41], v[14:15], v[177:178]
	v_fma_f64 v[14:15], v[38:39], v[14:15], -v[16:17]
	s_wait_loadcnt_dscnt 0x601
	v_mul_f64_e32 v[167:168], v[2:3], v[20:21]
	v_mul_f64_e32 v[20:21], v[4:5], v[20:21]
	s_wait_loadcnt_dscnt 0x500
	v_mul_f64_e32 v[16:17], v[6:7], v[24:25]
	v_mul_f64_e32 v[24:25], v[8:9], v[24:25]
	v_add_f64_e32 v[10:11], v[12:13], v[10:11]
	v_add_f64_e32 v[12:13], v[165:166], v[179:180]
	v_fma_f64 v[38:39], v[4:5], v[18:19], v[167:168]
	v_fma_f64 v[18:19], v[2:3], v[18:19], -v[20:21]
	v_fma_f64 v[8:9], v[8:9], v[22:23], v[16:17]
	v_fma_f64 v[6:7], v[6:7], v[22:23], -v[24:25]
	v_add_f64_e32 v[14:15], v[10:11], v[14:15]
	v_add_f64_e32 v[20:21], v[12:13], v[40:41]
	ds_load_b128 v[2:5], v1 offset:1888
	ds_load_b128 v[10:13], v1 offset:1904
	s_wait_loadcnt_dscnt 0x401
	v_mul_f64_e32 v[40:41], v[2:3], v[28:29]
	v_mul_f64_e32 v[28:29], v[4:5], v[28:29]
	v_add_f64_e32 v[14:15], v[14:15], v[18:19]
	v_add_f64_e32 v[16:17], v[20:21], v[38:39]
	s_wait_loadcnt_dscnt 0x300
	v_mul_f64_e32 v[18:19], v[10:11], v[32:33]
	v_mul_f64_e32 v[20:21], v[12:13], v[32:33]
	v_fma_f64 v[22:23], v[4:5], v[26:27], v[40:41]
	v_fma_f64 v[24:25], v[2:3], v[26:27], -v[28:29]
	v_add_f64_e32 v[14:15], v[14:15], v[6:7]
	v_add_f64_e32 v[16:17], v[16:17], v[8:9]
	ds_load_b128 v[2:5], v1 offset:1920
	ds_load_b128 v[6:9], v1 offset:1936
	v_fma_f64 v[12:13], v[12:13], v[30:31], v[18:19]
	v_fma_f64 v[10:11], v[10:11], v[30:31], -v[20:21]
	s_wait_loadcnt_dscnt 0x201
	v_mul_f64_e32 v[26:27], v[2:3], v[36:37]
	v_mul_f64_e32 v[28:29], v[4:5], v[36:37]
	s_wait_loadcnt_dscnt 0x0
	v_mul_f64_e32 v[18:19], v[6:7], v[175:176]
	v_mul_f64_e32 v[20:21], v[8:9], v[175:176]
	v_add_f64_e32 v[14:15], v[14:15], v[24:25]
	v_add_f64_e32 v[16:17], v[16:17], v[22:23]
	v_fma_f64 v[4:5], v[4:5], v[34:35], v[26:27]
	v_fma_f64 v[1:2], v[2:3], v[34:35], -v[28:29]
	v_fma_f64 v[8:9], v[8:9], v[173:174], v[18:19]
	v_fma_f64 v[6:7], v[6:7], v[173:174], -v[20:21]
	v_add_f64_e32 v[10:11], v[14:15], v[10:11]
	v_add_f64_e32 v[12:13], v[16:17], v[12:13]
	s_delay_alu instid0(VALU_DEP_2) | instskip(NEXT) | instid1(VALU_DEP_2)
	v_add_f64_e32 v[1:2], v[10:11], v[1:2]
	v_add_f64_e32 v[3:4], v[12:13], v[4:5]
	s_delay_alu instid0(VALU_DEP_2) | instskip(NEXT) | instid1(VALU_DEP_2)
	;; [unrolled: 3-line block ×3, first 2 shown]
	v_add_f64_e64 v[1:2], v[169:170], -v[1:2]
	v_add_f64_e64 v[3:4], v[171:172], -v[3:4]
	scratch_store_b128 off, v[1:4], off offset:816
	v_cmpx_lt_u32_e32 49, v0
	s_cbranch_execz .LBB124_293
; %bb.292:
	scratch_load_b128 v[1:4], off, s26
	v_mov_b32_e32 v5, 0
	s_delay_alu instid0(VALU_DEP_1)
	v_dual_mov_b32 v6, v5 :: v_dual_mov_b32 v7, v5
	v_mov_b32_e32 v8, v5
	scratch_store_b128 off, v[5:8], off offset:800
	s_wait_loadcnt 0x0
	ds_store_b128 v164, v[1:4]
.LBB124_293:
	s_wait_alu 0xfffe
	s_or_b32 exec_lo, exec_lo, s0
	s_wait_storecnt_dscnt 0x0
	s_barrier_signal -1
	s_barrier_wait -1
	global_inv scope:SCOPE_SE
	s_clause 0x7
	scratch_load_b128 v[2:5], off, off offset:816
	scratch_load_b128 v[6:9], off, off offset:832
	;; [unrolled: 1-line block ×8, first 2 shown]
	v_mov_b32_e32 v1, 0
	s_mov_b32 s0, exec_lo
	ds_load_b128 v[34:37], v1 offset:1776
	s_clause 0x1
	scratch_load_b128 v[38:41], off, off offset:944
	scratch_load_b128 v[165:168], off, off offset:800
	ds_load_b128 v[169:172], v1 offset:1792
	scratch_load_b128 v[173:176], off, off offset:960
	s_wait_loadcnt_dscnt 0xa01
	v_mul_f64_e32 v[177:178], v[36:37], v[4:5]
	v_mul_f64_e32 v[4:5], v[34:35], v[4:5]
	s_delay_alu instid0(VALU_DEP_2) | instskip(NEXT) | instid1(VALU_DEP_2)
	v_fma_f64 v[183:184], v[34:35], v[2:3], -v[177:178]
	v_fma_f64 v[185:186], v[36:37], v[2:3], v[4:5]
	ds_load_b128 v[2:5], v1 offset:1808
	s_wait_loadcnt_dscnt 0x901
	v_mul_f64_e32 v[181:182], v[169:170], v[8:9]
	v_mul_f64_e32 v[8:9], v[171:172], v[8:9]
	scratch_load_b128 v[34:37], off, off offset:976
	ds_load_b128 v[177:180], v1 offset:1824
	s_wait_loadcnt_dscnt 0x901
	v_mul_f64_e32 v[187:188], v[2:3], v[12:13]
	v_mul_f64_e32 v[12:13], v[4:5], v[12:13]
	v_fma_f64 v[171:172], v[171:172], v[6:7], v[181:182]
	v_fma_f64 v[6:7], v[169:170], v[6:7], -v[8:9]
	v_add_f64_e32 v[8:9], 0, v[183:184]
	v_add_f64_e32 v[169:170], 0, v[185:186]
	s_wait_loadcnt_dscnt 0x800
	v_mul_f64_e32 v[181:182], v[177:178], v[16:17]
	v_mul_f64_e32 v[16:17], v[179:180], v[16:17]
	v_fma_f64 v[183:184], v[4:5], v[10:11], v[187:188]
	v_fma_f64 v[10:11], v[2:3], v[10:11], -v[12:13]
	v_add_f64_e32 v[12:13], v[8:9], v[6:7]
	v_add_f64_e32 v[169:170], v[169:170], v[171:172]
	ds_load_b128 v[2:5], v1 offset:1840
	ds_load_b128 v[6:9], v1 offset:1856
	v_fma_f64 v[179:180], v[179:180], v[14:15], v[181:182]
	v_fma_f64 v[14:15], v[177:178], v[14:15], -v[16:17]
	s_wait_loadcnt_dscnt 0x701
	v_mul_f64_e32 v[171:172], v[2:3], v[20:21]
	v_mul_f64_e32 v[20:21], v[4:5], v[20:21]
	s_wait_loadcnt_dscnt 0x600
	v_mul_f64_e32 v[16:17], v[6:7], v[24:25]
	v_mul_f64_e32 v[24:25], v[8:9], v[24:25]
	v_add_f64_e32 v[10:11], v[12:13], v[10:11]
	v_add_f64_e32 v[12:13], v[169:170], v[183:184]
	v_fma_f64 v[169:170], v[4:5], v[18:19], v[171:172]
	v_fma_f64 v[18:19], v[2:3], v[18:19], -v[20:21]
	v_fma_f64 v[8:9], v[8:9], v[22:23], v[16:17]
	v_fma_f64 v[6:7], v[6:7], v[22:23], -v[24:25]
	v_add_f64_e32 v[14:15], v[10:11], v[14:15]
	v_add_f64_e32 v[20:21], v[12:13], v[179:180]
	ds_load_b128 v[2:5], v1 offset:1872
	ds_load_b128 v[10:13], v1 offset:1888
	s_wait_loadcnt_dscnt 0x501
	v_mul_f64_e32 v[171:172], v[2:3], v[28:29]
	v_mul_f64_e32 v[28:29], v[4:5], v[28:29]
	v_add_f64_e32 v[14:15], v[14:15], v[18:19]
	v_add_f64_e32 v[16:17], v[20:21], v[169:170]
	s_wait_loadcnt_dscnt 0x400
	v_mul_f64_e32 v[18:19], v[10:11], v[32:33]
	v_mul_f64_e32 v[20:21], v[12:13], v[32:33]
	v_fma_f64 v[22:23], v[4:5], v[26:27], v[171:172]
	v_fma_f64 v[24:25], v[2:3], v[26:27], -v[28:29]
	v_add_f64_e32 v[14:15], v[14:15], v[6:7]
	v_add_f64_e32 v[16:17], v[16:17], v[8:9]
	ds_load_b128 v[2:5], v1 offset:1904
	ds_load_b128 v[6:9], v1 offset:1920
	v_fma_f64 v[12:13], v[12:13], v[30:31], v[18:19]
	v_fma_f64 v[10:11], v[10:11], v[30:31], -v[20:21]
	s_wait_loadcnt_dscnt 0x301
	v_mul_f64_e32 v[26:27], v[2:3], v[40:41]
	v_mul_f64_e32 v[28:29], v[4:5], v[40:41]
	s_wait_loadcnt_dscnt 0x100
	v_mul_f64_e32 v[18:19], v[6:7], v[175:176]
	v_mul_f64_e32 v[20:21], v[8:9], v[175:176]
	v_add_f64_e32 v[14:15], v[14:15], v[24:25]
	v_add_f64_e32 v[16:17], v[16:17], v[22:23]
	v_fma_f64 v[22:23], v[4:5], v[38:39], v[26:27]
	v_fma_f64 v[24:25], v[2:3], v[38:39], -v[28:29]
	ds_load_b128 v[2:5], v1 offset:1936
	v_fma_f64 v[8:9], v[8:9], v[173:174], v[18:19]
	v_fma_f64 v[6:7], v[6:7], v[173:174], -v[20:21]
	v_add_f64_e32 v[10:11], v[14:15], v[10:11]
	v_add_f64_e32 v[12:13], v[16:17], v[12:13]
	s_wait_loadcnt_dscnt 0x0
	v_mul_f64_e32 v[14:15], v[2:3], v[36:37]
	v_mul_f64_e32 v[16:17], v[4:5], v[36:37]
	s_delay_alu instid0(VALU_DEP_4) | instskip(NEXT) | instid1(VALU_DEP_4)
	v_add_f64_e32 v[10:11], v[10:11], v[24:25]
	v_add_f64_e32 v[12:13], v[12:13], v[22:23]
	s_delay_alu instid0(VALU_DEP_4) | instskip(NEXT) | instid1(VALU_DEP_4)
	v_fma_f64 v[4:5], v[4:5], v[34:35], v[14:15]
	v_fma_f64 v[2:3], v[2:3], v[34:35], -v[16:17]
	s_delay_alu instid0(VALU_DEP_4) | instskip(NEXT) | instid1(VALU_DEP_4)
	v_add_f64_e32 v[6:7], v[10:11], v[6:7]
	v_add_f64_e32 v[8:9], v[12:13], v[8:9]
	s_delay_alu instid0(VALU_DEP_2) | instskip(NEXT) | instid1(VALU_DEP_2)
	v_add_f64_e32 v[2:3], v[6:7], v[2:3]
	v_add_f64_e32 v[4:5], v[8:9], v[4:5]
	s_delay_alu instid0(VALU_DEP_2) | instskip(NEXT) | instid1(VALU_DEP_2)
	v_add_f64_e64 v[2:3], v[165:166], -v[2:3]
	v_add_f64_e64 v[4:5], v[167:168], -v[4:5]
	scratch_store_b128 off, v[2:5], off offset:800
	v_cmpx_lt_u32_e32 48, v0
	s_cbranch_execz .LBB124_295
; %bb.294:
	scratch_load_b128 v[5:8], off, s27
	v_dual_mov_b32 v2, v1 :: v_dual_mov_b32 v3, v1
	v_mov_b32_e32 v4, v1
	scratch_store_b128 off, v[1:4], off offset:784
	s_wait_loadcnt 0x0
	ds_store_b128 v164, v[5:8]
.LBB124_295:
	s_wait_alu 0xfffe
	s_or_b32 exec_lo, exec_lo, s0
	s_wait_storecnt_dscnt 0x0
	s_barrier_signal -1
	s_barrier_wait -1
	global_inv scope:SCOPE_SE
	s_clause 0x8
	scratch_load_b128 v[2:5], off, off offset:800
	scratch_load_b128 v[6:9], off, off offset:816
	;; [unrolled: 1-line block ×9, first 2 shown]
	ds_load_b128 v[38:41], v1 offset:1760
	ds_load_b128 v[165:168], v1 offset:1776
	s_clause 0x1
	scratch_load_b128 v[169:172], off, off offset:784
	scratch_load_b128 v[173:176], off, off offset:944
	s_mov_b32 s0, exec_lo
	s_wait_loadcnt_dscnt 0xa01
	v_mul_f64_e32 v[177:178], v[40:41], v[4:5]
	v_mul_f64_e32 v[4:5], v[38:39], v[4:5]
	s_wait_loadcnt_dscnt 0x900
	v_mul_f64_e32 v[181:182], v[165:166], v[8:9]
	v_mul_f64_e32 v[8:9], v[167:168], v[8:9]
	s_delay_alu instid0(VALU_DEP_4) | instskip(NEXT) | instid1(VALU_DEP_4)
	v_fma_f64 v[183:184], v[38:39], v[2:3], -v[177:178]
	v_fma_f64 v[185:186], v[40:41], v[2:3], v[4:5]
	ds_load_b128 v[2:5], v1 offset:1792
	ds_load_b128 v[177:180], v1 offset:1808
	scratch_load_b128 v[38:41], off, off offset:960
	v_fma_f64 v[167:168], v[167:168], v[6:7], v[181:182]
	v_fma_f64 v[165:166], v[165:166], v[6:7], -v[8:9]
	scratch_load_b128 v[6:9], off, off offset:976
	s_wait_loadcnt_dscnt 0xa01
	v_mul_f64_e32 v[187:188], v[2:3], v[12:13]
	v_mul_f64_e32 v[12:13], v[4:5], v[12:13]
	v_add_f64_e32 v[181:182], 0, v[183:184]
	v_add_f64_e32 v[183:184], 0, v[185:186]
	s_wait_loadcnt_dscnt 0x900
	v_mul_f64_e32 v[185:186], v[177:178], v[16:17]
	v_mul_f64_e32 v[16:17], v[179:180], v[16:17]
	v_fma_f64 v[187:188], v[4:5], v[10:11], v[187:188]
	v_fma_f64 v[189:190], v[2:3], v[10:11], -v[12:13]
	ds_load_b128 v[2:5], v1 offset:1824
	ds_load_b128 v[10:13], v1 offset:1840
	v_add_f64_e32 v[165:166], v[181:182], v[165:166]
	v_add_f64_e32 v[167:168], v[183:184], v[167:168]
	v_fma_f64 v[179:180], v[179:180], v[14:15], v[185:186]
	v_fma_f64 v[14:15], v[177:178], v[14:15], -v[16:17]
	s_wait_loadcnt_dscnt 0x801
	v_mul_f64_e32 v[181:182], v[2:3], v[20:21]
	v_mul_f64_e32 v[20:21], v[4:5], v[20:21]
	v_add_f64_e32 v[16:17], v[165:166], v[189:190]
	v_add_f64_e32 v[165:166], v[167:168], v[187:188]
	s_wait_loadcnt_dscnt 0x700
	v_mul_f64_e32 v[167:168], v[10:11], v[24:25]
	v_mul_f64_e32 v[24:25], v[12:13], v[24:25]
	v_fma_f64 v[177:178], v[4:5], v[18:19], v[181:182]
	v_fma_f64 v[18:19], v[2:3], v[18:19], -v[20:21]
	v_add_f64_e32 v[20:21], v[16:17], v[14:15]
	v_add_f64_e32 v[165:166], v[165:166], v[179:180]
	ds_load_b128 v[2:5], v1 offset:1856
	ds_load_b128 v[14:17], v1 offset:1872
	v_fma_f64 v[12:13], v[12:13], v[22:23], v[167:168]
	v_fma_f64 v[10:11], v[10:11], v[22:23], -v[24:25]
	s_wait_loadcnt_dscnt 0x601
	v_mul_f64_e32 v[179:180], v[2:3], v[28:29]
	v_mul_f64_e32 v[28:29], v[4:5], v[28:29]
	s_wait_loadcnt_dscnt 0x500
	v_mul_f64_e32 v[22:23], v[14:15], v[32:33]
	v_mul_f64_e32 v[24:25], v[16:17], v[32:33]
	v_add_f64_e32 v[18:19], v[20:21], v[18:19]
	v_add_f64_e32 v[20:21], v[165:166], v[177:178]
	v_fma_f64 v[32:33], v[4:5], v[26:27], v[179:180]
	v_fma_f64 v[26:27], v[2:3], v[26:27], -v[28:29]
	v_fma_f64 v[16:17], v[16:17], v[30:31], v[22:23]
	v_fma_f64 v[14:15], v[14:15], v[30:31], -v[24:25]
	v_add_f64_e32 v[18:19], v[18:19], v[10:11]
	v_add_f64_e32 v[20:21], v[20:21], v[12:13]
	ds_load_b128 v[2:5], v1 offset:1888
	ds_load_b128 v[10:13], v1 offset:1904
	s_wait_loadcnt_dscnt 0x401
	v_mul_f64_e32 v[28:29], v[2:3], v[36:37]
	v_mul_f64_e32 v[36:37], v[4:5], v[36:37]
	s_wait_loadcnt_dscnt 0x200
	v_mul_f64_e32 v[22:23], v[10:11], v[175:176]
	v_mul_f64_e32 v[24:25], v[12:13], v[175:176]
	v_add_f64_e32 v[18:19], v[18:19], v[26:27]
	v_add_f64_e32 v[20:21], v[20:21], v[32:33]
	v_fma_f64 v[26:27], v[4:5], v[34:35], v[28:29]
	v_fma_f64 v[28:29], v[2:3], v[34:35], -v[36:37]
	v_fma_f64 v[12:13], v[12:13], v[173:174], v[22:23]
	v_fma_f64 v[10:11], v[10:11], v[173:174], -v[24:25]
	v_add_f64_e32 v[18:19], v[18:19], v[14:15]
	v_add_f64_e32 v[20:21], v[20:21], v[16:17]
	ds_load_b128 v[2:5], v1 offset:1920
	ds_load_b128 v[14:17], v1 offset:1936
	s_wait_loadcnt_dscnt 0x101
	v_mul_f64_e32 v[30:31], v[2:3], v[40:41]
	v_mul_f64_e32 v[32:33], v[4:5], v[40:41]
	s_wait_loadcnt_dscnt 0x0
	v_mul_f64_e32 v[22:23], v[14:15], v[8:9]
	v_mul_f64_e32 v[8:9], v[16:17], v[8:9]
	v_add_f64_e32 v[18:19], v[18:19], v[28:29]
	v_add_f64_e32 v[20:21], v[20:21], v[26:27]
	v_fma_f64 v[4:5], v[4:5], v[38:39], v[30:31]
	v_fma_f64 v[1:2], v[2:3], v[38:39], -v[32:33]
	v_fma_f64 v[16:17], v[16:17], v[6:7], v[22:23]
	v_fma_f64 v[6:7], v[14:15], v[6:7], -v[8:9]
	v_add_f64_e32 v[10:11], v[18:19], v[10:11]
	v_add_f64_e32 v[12:13], v[20:21], v[12:13]
	s_delay_alu instid0(VALU_DEP_2) | instskip(NEXT) | instid1(VALU_DEP_2)
	v_add_f64_e32 v[1:2], v[10:11], v[1:2]
	v_add_f64_e32 v[3:4], v[12:13], v[4:5]
	s_delay_alu instid0(VALU_DEP_2) | instskip(NEXT) | instid1(VALU_DEP_2)
	;; [unrolled: 3-line block ×3, first 2 shown]
	v_add_f64_e64 v[1:2], v[169:170], -v[1:2]
	v_add_f64_e64 v[3:4], v[171:172], -v[3:4]
	scratch_store_b128 off, v[1:4], off offset:784
	v_cmpx_lt_u32_e32 47, v0
	s_cbranch_execz .LBB124_297
; %bb.296:
	scratch_load_b128 v[1:4], off, s28
	v_mov_b32_e32 v5, 0
	s_delay_alu instid0(VALU_DEP_1)
	v_dual_mov_b32 v6, v5 :: v_dual_mov_b32 v7, v5
	v_mov_b32_e32 v8, v5
	scratch_store_b128 off, v[5:8], off offset:768
	s_wait_loadcnt 0x0
	ds_store_b128 v164, v[1:4]
.LBB124_297:
	s_wait_alu 0xfffe
	s_or_b32 exec_lo, exec_lo, s0
	s_wait_storecnt_dscnt 0x0
	s_barrier_signal -1
	s_barrier_wait -1
	global_inv scope:SCOPE_SE
	s_clause 0x7
	scratch_load_b128 v[2:5], off, off offset:784
	scratch_load_b128 v[6:9], off, off offset:800
	;; [unrolled: 1-line block ×8, first 2 shown]
	v_mov_b32_e32 v1, 0
	s_clause 0x1
	scratch_load_b128 v[38:41], off, off offset:912
	scratch_load_b128 v[169:172], off, off offset:928
	s_mov_b32 s0, exec_lo
	ds_load_b128 v[34:37], v1 offset:1744
	ds_load_b128 v[165:168], v1 offset:1760
	s_wait_loadcnt_dscnt 0x901
	v_mul_f64_e32 v[173:174], v[36:37], v[4:5]
	v_mul_f64_e32 v[4:5], v[34:35], v[4:5]
	s_wait_loadcnt_dscnt 0x800
	v_mul_f64_e32 v[175:176], v[165:166], v[8:9]
	v_mul_f64_e32 v[8:9], v[167:168], v[8:9]
	s_delay_alu instid0(VALU_DEP_4) | instskip(NEXT) | instid1(VALU_DEP_4)
	v_fma_f64 v[173:174], v[34:35], v[2:3], -v[173:174]
	v_fma_f64 v[177:178], v[36:37], v[2:3], v[4:5]
	ds_load_b128 v[2:5], v1 offset:1776
	scratch_load_b128 v[34:37], off, off offset:944
	v_fma_f64 v[175:176], v[167:168], v[6:7], v[175:176]
	v_fma_f64 v[181:182], v[165:166], v[6:7], -v[8:9]
	ds_load_b128 v[6:9], v1 offset:1792
	scratch_load_b128 v[165:168], off, off offset:960
	s_wait_loadcnt_dscnt 0x901
	v_mul_f64_e32 v[179:180], v[2:3], v[12:13]
	v_mul_f64_e32 v[12:13], v[4:5], v[12:13]
	s_wait_loadcnt_dscnt 0x800
	v_mul_f64_e32 v[183:184], v[6:7], v[16:17]
	v_mul_f64_e32 v[16:17], v[8:9], v[16:17]
	v_add_f64_e32 v[173:174], 0, v[173:174]
	v_add_f64_e32 v[177:178], 0, v[177:178]
	v_fma_f64 v[179:180], v[4:5], v[10:11], v[179:180]
	v_fma_f64 v[185:186], v[2:3], v[10:11], -v[12:13]
	ds_load_b128 v[2:5], v1 offset:1808
	scratch_load_b128 v[10:13], off, off offset:976
	v_add_f64_e32 v[173:174], v[173:174], v[181:182]
	v_add_f64_e32 v[175:176], v[177:178], v[175:176]
	v_fma_f64 v[181:182], v[8:9], v[14:15], v[183:184]
	v_fma_f64 v[14:15], v[6:7], v[14:15], -v[16:17]
	ds_load_b128 v[6:9], v1 offset:1824
	s_wait_loadcnt_dscnt 0x801
	v_mul_f64_e32 v[177:178], v[2:3], v[20:21]
	v_mul_f64_e32 v[20:21], v[4:5], v[20:21]
	v_add_f64_e32 v[16:17], v[173:174], v[185:186]
	v_add_f64_e32 v[173:174], v[175:176], v[179:180]
	s_wait_loadcnt_dscnt 0x700
	v_mul_f64_e32 v[175:176], v[6:7], v[24:25]
	v_mul_f64_e32 v[24:25], v[8:9], v[24:25]
	v_fma_f64 v[177:178], v[4:5], v[18:19], v[177:178]
	v_fma_f64 v[18:19], v[2:3], v[18:19], -v[20:21]
	ds_load_b128 v[2:5], v1 offset:1840
	v_add_f64_e32 v[14:15], v[16:17], v[14:15]
	v_add_f64_e32 v[16:17], v[173:174], v[181:182]
	v_fma_f64 v[173:174], v[8:9], v[22:23], v[175:176]
	v_fma_f64 v[22:23], v[6:7], v[22:23], -v[24:25]
	ds_load_b128 v[6:9], v1 offset:1856
	s_wait_loadcnt_dscnt 0x601
	v_mul_f64_e32 v[20:21], v[2:3], v[28:29]
	v_mul_f64_e32 v[28:29], v[4:5], v[28:29]
	s_wait_loadcnt_dscnt 0x500
	v_mul_f64_e32 v[175:176], v[6:7], v[32:33]
	v_mul_f64_e32 v[32:33], v[8:9], v[32:33]
	v_add_f64_e32 v[18:19], v[14:15], v[18:19]
	v_add_f64_e32 v[24:25], v[16:17], v[177:178]
	scratch_load_b128 v[14:17], off, off offset:768
	v_fma_f64 v[20:21], v[4:5], v[26:27], v[20:21]
	v_fma_f64 v[26:27], v[2:3], v[26:27], -v[28:29]
	ds_load_b128 v[2:5], v1 offset:1872
	s_wait_loadcnt_dscnt 0x500
	v_mul_f64_e32 v[28:29], v[4:5], v[40:41]
	v_add_f64_e32 v[18:19], v[18:19], v[22:23]
	v_add_f64_e32 v[22:23], v[24:25], v[173:174]
	v_mul_f64_e32 v[24:25], v[2:3], v[40:41]
	v_fma_f64 v[40:41], v[8:9], v[30:31], v[175:176]
	v_fma_f64 v[30:31], v[6:7], v[30:31], -v[32:33]
	ds_load_b128 v[6:9], v1 offset:1888
	v_fma_f64 v[28:29], v[2:3], v[38:39], -v[28:29]
	v_add_f64_e32 v[18:19], v[18:19], v[26:27]
	v_add_f64_e32 v[20:21], v[22:23], v[20:21]
	v_fma_f64 v[24:25], v[4:5], v[38:39], v[24:25]
	ds_load_b128 v[2:5], v1 offset:1904
	s_wait_loadcnt_dscnt 0x401
	v_mul_f64_e32 v[22:23], v[6:7], v[171:172]
	v_mul_f64_e32 v[26:27], v[8:9], v[171:172]
	v_add_f64_e32 v[18:19], v[18:19], v[30:31]
	v_add_f64_e32 v[20:21], v[20:21], v[40:41]
	s_delay_alu instid0(VALU_DEP_4) | instskip(NEXT) | instid1(VALU_DEP_4)
	v_fma_f64 v[22:23], v[8:9], v[169:170], v[22:23]
	v_fma_f64 v[26:27], v[6:7], v[169:170], -v[26:27]
	ds_load_b128 v[6:9], v1 offset:1920
	s_wait_loadcnt_dscnt 0x301
	v_mul_f64_e32 v[30:31], v[2:3], v[36:37]
	v_mul_f64_e32 v[32:33], v[4:5], v[36:37]
	v_add_f64_e32 v[18:19], v[18:19], v[28:29]
	v_add_f64_e32 v[20:21], v[20:21], v[24:25]
	s_delay_alu instid0(VALU_DEP_4) | instskip(NEXT) | instid1(VALU_DEP_4)
	v_fma_f64 v[30:31], v[4:5], v[34:35], v[30:31]
	v_fma_f64 v[32:33], v[2:3], v[34:35], -v[32:33]
	ds_load_b128 v[2:5], v1 offset:1936
	s_wait_loadcnt_dscnt 0x201
	v_mul_f64_e32 v[24:25], v[6:7], v[167:168]
	v_mul_f64_e32 v[28:29], v[8:9], v[167:168]
	v_add_f64_e32 v[18:19], v[18:19], v[26:27]
	v_add_f64_e32 v[20:21], v[20:21], v[22:23]
	s_wait_loadcnt_dscnt 0x100
	v_mul_f64_e32 v[22:23], v[2:3], v[12:13]
	v_mul_f64_e32 v[12:13], v[4:5], v[12:13]
	v_fma_f64 v[8:9], v[8:9], v[165:166], v[24:25]
	v_fma_f64 v[6:7], v[6:7], v[165:166], -v[28:29]
	v_add_f64_e32 v[18:19], v[18:19], v[32:33]
	v_add_f64_e32 v[20:21], v[20:21], v[30:31]
	v_fma_f64 v[4:5], v[4:5], v[10:11], v[22:23]
	v_fma_f64 v[2:3], v[2:3], v[10:11], -v[12:13]
	s_delay_alu instid0(VALU_DEP_4) | instskip(NEXT) | instid1(VALU_DEP_4)
	v_add_f64_e32 v[6:7], v[18:19], v[6:7]
	v_add_f64_e32 v[8:9], v[20:21], v[8:9]
	s_delay_alu instid0(VALU_DEP_2) | instskip(NEXT) | instid1(VALU_DEP_2)
	v_add_f64_e32 v[2:3], v[6:7], v[2:3]
	v_add_f64_e32 v[4:5], v[8:9], v[4:5]
	s_wait_loadcnt 0x0
	s_delay_alu instid0(VALU_DEP_2) | instskip(NEXT) | instid1(VALU_DEP_2)
	v_add_f64_e64 v[2:3], v[14:15], -v[2:3]
	v_add_f64_e64 v[4:5], v[16:17], -v[4:5]
	scratch_store_b128 off, v[2:5], off offset:768
	v_cmpx_lt_u32_e32 46, v0
	s_cbranch_execz .LBB124_299
; %bb.298:
	scratch_load_b128 v[5:8], off, s29
	v_dual_mov_b32 v2, v1 :: v_dual_mov_b32 v3, v1
	v_mov_b32_e32 v4, v1
	scratch_store_b128 off, v[1:4], off offset:752
	s_wait_loadcnt 0x0
	ds_store_b128 v164, v[5:8]
.LBB124_299:
	s_wait_alu 0xfffe
	s_or_b32 exec_lo, exec_lo, s0
	s_wait_storecnt_dscnt 0x0
	s_barrier_signal -1
	s_barrier_wait -1
	global_inv scope:SCOPE_SE
	s_clause 0x7
	scratch_load_b128 v[2:5], off, off offset:768
	scratch_load_b128 v[6:9], off, off offset:784
	;; [unrolled: 1-line block ×8, first 2 shown]
	ds_load_b128 v[34:37], v1 offset:1728
	ds_load_b128 v[165:168], v1 offset:1744
	s_clause 0x1
	scratch_load_b128 v[38:41], off, off offset:896
	scratch_load_b128 v[169:172], off, off offset:912
	s_mov_b32 s0, exec_lo
	s_wait_loadcnt_dscnt 0x901
	v_mul_f64_e32 v[173:174], v[36:37], v[4:5]
	v_mul_f64_e32 v[4:5], v[34:35], v[4:5]
	s_wait_loadcnt_dscnt 0x800
	v_mul_f64_e32 v[175:176], v[165:166], v[8:9]
	v_mul_f64_e32 v[8:9], v[167:168], v[8:9]
	s_delay_alu instid0(VALU_DEP_4) | instskip(NEXT) | instid1(VALU_DEP_4)
	v_fma_f64 v[173:174], v[34:35], v[2:3], -v[173:174]
	v_fma_f64 v[177:178], v[36:37], v[2:3], v[4:5]
	ds_load_b128 v[2:5], v1 offset:1760
	scratch_load_b128 v[34:37], off, off offset:928
	v_fma_f64 v[175:176], v[167:168], v[6:7], v[175:176]
	v_fma_f64 v[181:182], v[165:166], v[6:7], -v[8:9]
	ds_load_b128 v[6:9], v1 offset:1776
	scratch_load_b128 v[165:168], off, off offset:944
	s_wait_loadcnt_dscnt 0x901
	v_mul_f64_e32 v[179:180], v[2:3], v[12:13]
	v_mul_f64_e32 v[12:13], v[4:5], v[12:13]
	s_wait_loadcnt_dscnt 0x800
	v_mul_f64_e32 v[183:184], v[6:7], v[16:17]
	v_mul_f64_e32 v[16:17], v[8:9], v[16:17]
	v_add_f64_e32 v[173:174], 0, v[173:174]
	v_add_f64_e32 v[177:178], 0, v[177:178]
	v_fma_f64 v[179:180], v[4:5], v[10:11], v[179:180]
	v_fma_f64 v[185:186], v[2:3], v[10:11], -v[12:13]
	ds_load_b128 v[2:5], v1 offset:1792
	scratch_load_b128 v[10:13], off, off offset:960
	v_add_f64_e32 v[173:174], v[173:174], v[181:182]
	v_add_f64_e32 v[175:176], v[177:178], v[175:176]
	v_fma_f64 v[181:182], v[8:9], v[14:15], v[183:184]
	v_fma_f64 v[183:184], v[6:7], v[14:15], -v[16:17]
	ds_load_b128 v[6:9], v1 offset:1808
	scratch_load_b128 v[14:17], off, off offset:976
	s_wait_loadcnt_dscnt 0x901
	v_mul_f64_e32 v[177:178], v[2:3], v[20:21]
	v_mul_f64_e32 v[20:21], v[4:5], v[20:21]
	v_add_f64_e32 v[173:174], v[173:174], v[185:186]
	v_add_f64_e32 v[175:176], v[175:176], v[179:180]
	s_wait_loadcnt_dscnt 0x800
	v_mul_f64_e32 v[179:180], v[6:7], v[24:25]
	v_mul_f64_e32 v[24:25], v[8:9], v[24:25]
	v_fma_f64 v[177:178], v[4:5], v[18:19], v[177:178]
	v_fma_f64 v[18:19], v[2:3], v[18:19], -v[20:21]
	ds_load_b128 v[2:5], v1 offset:1824
	v_add_f64_e32 v[20:21], v[173:174], v[183:184]
	v_add_f64_e32 v[173:174], v[175:176], v[181:182]
	v_fma_f64 v[179:180], v[8:9], v[22:23], v[179:180]
	v_fma_f64 v[22:23], v[6:7], v[22:23], -v[24:25]
	ds_load_b128 v[6:9], v1 offset:1840
	s_wait_loadcnt_dscnt 0x701
	v_mul_f64_e32 v[175:176], v[2:3], v[28:29]
	v_mul_f64_e32 v[28:29], v[4:5], v[28:29]
	s_wait_loadcnt_dscnt 0x600
	v_mul_f64_e32 v[24:25], v[6:7], v[32:33]
	v_mul_f64_e32 v[32:33], v[8:9], v[32:33]
	v_add_f64_e32 v[18:19], v[20:21], v[18:19]
	v_add_f64_e32 v[20:21], v[173:174], v[177:178]
	v_fma_f64 v[173:174], v[4:5], v[26:27], v[175:176]
	v_fma_f64 v[26:27], v[2:3], v[26:27], -v[28:29]
	ds_load_b128 v[2:5], v1 offset:1856
	v_fma_f64 v[24:25], v[8:9], v[30:31], v[24:25]
	v_fma_f64 v[30:31], v[6:7], v[30:31], -v[32:33]
	ds_load_b128 v[6:9], v1 offset:1872
	v_add_f64_e32 v[22:23], v[18:19], v[22:23]
	v_add_f64_e32 v[28:29], v[20:21], v[179:180]
	scratch_load_b128 v[18:21], off, off offset:752
	s_wait_loadcnt_dscnt 0x601
	v_mul_f64_e32 v[175:176], v[2:3], v[40:41]
	v_mul_f64_e32 v[40:41], v[4:5], v[40:41]
	s_wait_loadcnt_dscnt 0x500
	v_mul_f64_e32 v[32:33], v[8:9], v[171:172]
	v_add_f64_e32 v[22:23], v[22:23], v[26:27]
	v_add_f64_e32 v[26:27], v[28:29], v[173:174]
	v_mul_f64_e32 v[28:29], v[6:7], v[171:172]
	v_fma_f64 v[171:172], v[4:5], v[38:39], v[175:176]
	v_fma_f64 v[38:39], v[2:3], v[38:39], -v[40:41]
	ds_load_b128 v[2:5], v1 offset:1888
	v_fma_f64 v[32:33], v[6:7], v[169:170], -v[32:33]
	v_add_f64_e32 v[22:23], v[22:23], v[30:31]
	v_add_f64_e32 v[24:25], v[26:27], v[24:25]
	v_fma_f64 v[28:29], v[8:9], v[169:170], v[28:29]
	ds_load_b128 v[6:9], v1 offset:1904
	s_wait_loadcnt_dscnt 0x401
	v_mul_f64_e32 v[26:27], v[2:3], v[36:37]
	v_mul_f64_e32 v[30:31], v[4:5], v[36:37]
	s_wait_loadcnt_dscnt 0x300
	v_mul_f64_e32 v[36:37], v[6:7], v[167:168]
	v_add_f64_e32 v[22:23], v[22:23], v[38:39]
	v_add_f64_e32 v[24:25], v[24:25], v[171:172]
	v_mul_f64_e32 v[38:39], v[8:9], v[167:168]
	v_fma_f64 v[26:27], v[4:5], v[34:35], v[26:27]
	v_fma_f64 v[30:31], v[2:3], v[34:35], -v[30:31]
	ds_load_b128 v[2:5], v1 offset:1920
	v_add_f64_e32 v[22:23], v[22:23], v[32:33]
	v_add_f64_e32 v[24:25], v[24:25], v[28:29]
	v_fma_f64 v[32:33], v[8:9], v[165:166], v[36:37]
	v_fma_f64 v[34:35], v[6:7], v[165:166], -v[38:39]
	ds_load_b128 v[6:9], v1 offset:1936
	s_wait_loadcnt_dscnt 0x201
	v_mul_f64_e32 v[28:29], v[2:3], v[12:13]
	v_mul_f64_e32 v[12:13], v[4:5], v[12:13]
	v_add_f64_e32 v[22:23], v[22:23], v[30:31]
	v_add_f64_e32 v[24:25], v[24:25], v[26:27]
	s_wait_loadcnt_dscnt 0x100
	v_mul_f64_e32 v[26:27], v[6:7], v[16:17]
	v_mul_f64_e32 v[16:17], v[8:9], v[16:17]
	v_fma_f64 v[4:5], v[4:5], v[10:11], v[28:29]
	v_fma_f64 v[1:2], v[2:3], v[10:11], -v[12:13]
	v_add_f64_e32 v[10:11], v[22:23], v[34:35]
	v_add_f64_e32 v[12:13], v[24:25], v[32:33]
	v_fma_f64 v[8:9], v[8:9], v[14:15], v[26:27]
	v_fma_f64 v[6:7], v[6:7], v[14:15], -v[16:17]
	s_delay_alu instid0(VALU_DEP_4) | instskip(NEXT) | instid1(VALU_DEP_4)
	v_add_f64_e32 v[1:2], v[10:11], v[1:2]
	v_add_f64_e32 v[3:4], v[12:13], v[4:5]
	s_delay_alu instid0(VALU_DEP_2) | instskip(NEXT) | instid1(VALU_DEP_2)
	v_add_f64_e32 v[1:2], v[1:2], v[6:7]
	v_add_f64_e32 v[3:4], v[3:4], v[8:9]
	s_wait_loadcnt 0x0
	s_delay_alu instid0(VALU_DEP_2) | instskip(NEXT) | instid1(VALU_DEP_2)
	v_add_f64_e64 v[1:2], v[18:19], -v[1:2]
	v_add_f64_e64 v[3:4], v[20:21], -v[3:4]
	scratch_store_b128 off, v[1:4], off offset:752
	v_cmpx_lt_u32_e32 45, v0
	s_cbranch_execz .LBB124_301
; %bb.300:
	scratch_load_b128 v[1:4], off, s30
	v_mov_b32_e32 v5, 0
	s_delay_alu instid0(VALU_DEP_1)
	v_dual_mov_b32 v6, v5 :: v_dual_mov_b32 v7, v5
	v_mov_b32_e32 v8, v5
	scratch_store_b128 off, v[5:8], off offset:736
	s_wait_loadcnt 0x0
	ds_store_b128 v164, v[1:4]
.LBB124_301:
	s_wait_alu 0xfffe
	s_or_b32 exec_lo, exec_lo, s0
	s_wait_storecnt_dscnt 0x0
	s_barrier_signal -1
	s_barrier_wait -1
	global_inv scope:SCOPE_SE
	s_clause 0x7
	scratch_load_b128 v[2:5], off, off offset:752
	scratch_load_b128 v[6:9], off, off offset:768
	scratch_load_b128 v[10:13], off, off offset:784
	scratch_load_b128 v[14:17], off, off offset:800
	scratch_load_b128 v[18:21], off, off offset:816
	scratch_load_b128 v[22:25], off, off offset:832
	scratch_load_b128 v[26:29], off, off offset:848
	scratch_load_b128 v[30:33], off, off offset:864
	v_mov_b32_e32 v1, 0
	s_clause 0x1
	scratch_load_b128 v[38:41], off, off offset:880
	scratch_load_b128 v[169:172], off, off offset:896
	s_mov_b32 s0, exec_lo
	ds_load_b128 v[34:37], v1 offset:1712
	ds_load_b128 v[165:168], v1 offset:1728
	s_wait_loadcnt_dscnt 0x901
	v_mul_f64_e32 v[173:174], v[36:37], v[4:5]
	v_mul_f64_e32 v[4:5], v[34:35], v[4:5]
	s_wait_loadcnt_dscnt 0x800
	v_mul_f64_e32 v[175:176], v[165:166], v[8:9]
	v_mul_f64_e32 v[8:9], v[167:168], v[8:9]
	s_delay_alu instid0(VALU_DEP_4) | instskip(NEXT) | instid1(VALU_DEP_4)
	v_fma_f64 v[173:174], v[34:35], v[2:3], -v[173:174]
	v_fma_f64 v[177:178], v[36:37], v[2:3], v[4:5]
	ds_load_b128 v[2:5], v1 offset:1744
	scratch_load_b128 v[34:37], off, off offset:912
	v_fma_f64 v[175:176], v[167:168], v[6:7], v[175:176]
	v_fma_f64 v[181:182], v[165:166], v[6:7], -v[8:9]
	ds_load_b128 v[6:9], v1 offset:1760
	scratch_load_b128 v[165:168], off, off offset:928
	s_wait_loadcnt_dscnt 0x901
	v_mul_f64_e32 v[179:180], v[2:3], v[12:13]
	v_mul_f64_e32 v[12:13], v[4:5], v[12:13]
	s_wait_loadcnt_dscnt 0x800
	v_mul_f64_e32 v[183:184], v[6:7], v[16:17]
	v_mul_f64_e32 v[16:17], v[8:9], v[16:17]
	v_add_f64_e32 v[173:174], 0, v[173:174]
	v_add_f64_e32 v[177:178], 0, v[177:178]
	v_fma_f64 v[179:180], v[4:5], v[10:11], v[179:180]
	v_fma_f64 v[185:186], v[2:3], v[10:11], -v[12:13]
	ds_load_b128 v[2:5], v1 offset:1776
	scratch_load_b128 v[10:13], off, off offset:944
	v_add_f64_e32 v[173:174], v[173:174], v[181:182]
	v_add_f64_e32 v[175:176], v[177:178], v[175:176]
	v_fma_f64 v[181:182], v[8:9], v[14:15], v[183:184]
	v_fma_f64 v[183:184], v[6:7], v[14:15], -v[16:17]
	ds_load_b128 v[6:9], v1 offset:1792
	scratch_load_b128 v[14:17], off, off offset:960
	s_wait_loadcnt_dscnt 0x901
	v_mul_f64_e32 v[177:178], v[2:3], v[20:21]
	v_mul_f64_e32 v[20:21], v[4:5], v[20:21]
	v_add_f64_e32 v[173:174], v[173:174], v[185:186]
	v_add_f64_e32 v[175:176], v[175:176], v[179:180]
	s_wait_loadcnt_dscnt 0x800
	v_mul_f64_e32 v[179:180], v[6:7], v[24:25]
	v_mul_f64_e32 v[24:25], v[8:9], v[24:25]
	v_fma_f64 v[177:178], v[4:5], v[18:19], v[177:178]
	v_fma_f64 v[185:186], v[2:3], v[18:19], -v[20:21]
	ds_load_b128 v[2:5], v1 offset:1808
	scratch_load_b128 v[18:21], off, off offset:976
	v_add_f64_e32 v[173:174], v[173:174], v[183:184]
	v_add_f64_e32 v[175:176], v[175:176], v[181:182]
	v_fma_f64 v[179:180], v[8:9], v[22:23], v[179:180]
	v_fma_f64 v[22:23], v[6:7], v[22:23], -v[24:25]
	ds_load_b128 v[6:9], v1 offset:1824
	s_wait_loadcnt_dscnt 0x801
	v_mul_f64_e32 v[181:182], v[2:3], v[28:29]
	v_mul_f64_e32 v[28:29], v[4:5], v[28:29]
	v_add_f64_e32 v[24:25], v[173:174], v[185:186]
	v_add_f64_e32 v[173:174], v[175:176], v[177:178]
	s_wait_loadcnt_dscnt 0x700
	v_mul_f64_e32 v[175:176], v[6:7], v[32:33]
	v_mul_f64_e32 v[32:33], v[8:9], v[32:33]
	v_fma_f64 v[177:178], v[4:5], v[26:27], v[181:182]
	v_fma_f64 v[26:27], v[2:3], v[26:27], -v[28:29]
	ds_load_b128 v[2:5], v1 offset:1840
	v_add_f64_e32 v[22:23], v[24:25], v[22:23]
	v_add_f64_e32 v[24:25], v[173:174], v[179:180]
	v_fma_f64 v[173:174], v[8:9], v[30:31], v[175:176]
	v_fma_f64 v[30:31], v[6:7], v[30:31], -v[32:33]
	ds_load_b128 v[6:9], v1 offset:1856
	s_wait_loadcnt_dscnt 0x500
	v_mul_f64_e32 v[175:176], v[6:7], v[171:172]
	v_mul_f64_e32 v[171:172], v[8:9], v[171:172]
	v_add_f64_e32 v[26:27], v[22:23], v[26:27]
	v_add_f64_e32 v[32:33], v[24:25], v[177:178]
	scratch_load_b128 v[22:25], off, off offset:736
	v_mul_f64_e32 v[28:29], v[2:3], v[40:41]
	v_mul_f64_e32 v[40:41], v[4:5], v[40:41]
	v_add_f64_e32 v[26:27], v[26:27], v[30:31]
	v_add_f64_e32 v[30:31], v[32:33], v[173:174]
	s_delay_alu instid0(VALU_DEP_4) | instskip(NEXT) | instid1(VALU_DEP_4)
	v_fma_f64 v[28:29], v[4:5], v[38:39], v[28:29]
	v_fma_f64 v[38:39], v[2:3], v[38:39], -v[40:41]
	ds_load_b128 v[2:5], v1 offset:1872
	v_fma_f64 v[40:41], v[8:9], v[169:170], v[175:176]
	v_fma_f64 v[169:170], v[6:7], v[169:170], -v[171:172]
	ds_load_b128 v[6:9], v1 offset:1888
	s_wait_loadcnt_dscnt 0x501
	v_mul_f64_e32 v[32:33], v[2:3], v[36:37]
	v_mul_f64_e32 v[36:37], v[4:5], v[36:37]
	v_add_f64_e32 v[28:29], v[30:31], v[28:29]
	v_add_f64_e32 v[26:27], v[26:27], v[38:39]
	s_wait_loadcnt_dscnt 0x400
	v_mul_f64_e32 v[30:31], v[6:7], v[167:168]
	v_mul_f64_e32 v[38:39], v[8:9], v[167:168]
	v_fma_f64 v[32:33], v[4:5], v[34:35], v[32:33]
	v_fma_f64 v[34:35], v[2:3], v[34:35], -v[36:37]
	ds_load_b128 v[2:5], v1 offset:1904
	v_add_f64_e32 v[28:29], v[28:29], v[40:41]
	v_add_f64_e32 v[26:27], v[26:27], v[169:170]
	v_fma_f64 v[30:31], v[8:9], v[165:166], v[30:31]
	v_fma_f64 v[38:39], v[6:7], v[165:166], -v[38:39]
	ds_load_b128 v[6:9], v1 offset:1920
	s_wait_loadcnt_dscnt 0x301
	v_mul_f64_e32 v[36:37], v[2:3], v[12:13]
	v_mul_f64_e32 v[12:13], v[4:5], v[12:13]
	v_add_f64_e32 v[28:29], v[28:29], v[32:33]
	v_add_f64_e32 v[26:27], v[26:27], v[34:35]
	s_wait_loadcnt_dscnt 0x200
	v_mul_f64_e32 v[32:33], v[6:7], v[16:17]
	v_mul_f64_e32 v[16:17], v[8:9], v[16:17]
	v_fma_f64 v[34:35], v[4:5], v[10:11], v[36:37]
	v_fma_f64 v[10:11], v[2:3], v[10:11], -v[12:13]
	ds_load_b128 v[2:5], v1 offset:1936
	v_add_f64_e32 v[12:13], v[26:27], v[38:39]
	v_add_f64_e32 v[26:27], v[28:29], v[30:31]
	s_wait_loadcnt_dscnt 0x100
	v_mul_f64_e32 v[28:29], v[2:3], v[20:21]
	v_mul_f64_e32 v[20:21], v[4:5], v[20:21]
	v_fma_f64 v[8:9], v[8:9], v[14:15], v[32:33]
	v_fma_f64 v[6:7], v[6:7], v[14:15], -v[16:17]
	v_add_f64_e32 v[10:11], v[12:13], v[10:11]
	v_add_f64_e32 v[12:13], v[26:27], v[34:35]
	v_fma_f64 v[4:5], v[4:5], v[18:19], v[28:29]
	v_fma_f64 v[2:3], v[2:3], v[18:19], -v[20:21]
	s_delay_alu instid0(VALU_DEP_4) | instskip(NEXT) | instid1(VALU_DEP_4)
	v_add_f64_e32 v[6:7], v[10:11], v[6:7]
	v_add_f64_e32 v[8:9], v[12:13], v[8:9]
	s_delay_alu instid0(VALU_DEP_2) | instskip(NEXT) | instid1(VALU_DEP_2)
	v_add_f64_e32 v[2:3], v[6:7], v[2:3]
	v_add_f64_e32 v[4:5], v[8:9], v[4:5]
	s_wait_loadcnt 0x0
	s_delay_alu instid0(VALU_DEP_2) | instskip(NEXT) | instid1(VALU_DEP_2)
	v_add_f64_e64 v[2:3], v[22:23], -v[2:3]
	v_add_f64_e64 v[4:5], v[24:25], -v[4:5]
	scratch_store_b128 off, v[2:5], off offset:736
	v_cmpx_lt_u32_e32 44, v0
	s_cbranch_execz .LBB124_303
; %bb.302:
	scratch_load_b128 v[5:8], off, s31
	v_dual_mov_b32 v2, v1 :: v_dual_mov_b32 v3, v1
	v_mov_b32_e32 v4, v1
	scratch_store_b128 off, v[1:4], off offset:720
	s_wait_loadcnt 0x0
	ds_store_b128 v164, v[5:8]
.LBB124_303:
	s_wait_alu 0xfffe
	s_or_b32 exec_lo, exec_lo, s0
	s_wait_storecnt_dscnt 0x0
	s_barrier_signal -1
	s_barrier_wait -1
	global_inv scope:SCOPE_SE
	s_clause 0x7
	scratch_load_b128 v[2:5], off, off offset:736
	scratch_load_b128 v[6:9], off, off offset:752
	;; [unrolled: 1-line block ×8, first 2 shown]
	ds_load_b128 v[34:37], v1 offset:1696
	ds_load_b128 v[165:168], v1 offset:1712
	s_clause 0x1
	scratch_load_b128 v[38:41], off, off offset:864
	scratch_load_b128 v[169:172], off, off offset:880
	s_mov_b32 s0, exec_lo
	s_wait_loadcnt_dscnt 0x901
	v_mul_f64_e32 v[173:174], v[36:37], v[4:5]
	v_mul_f64_e32 v[4:5], v[34:35], v[4:5]
	s_wait_loadcnt_dscnt 0x800
	v_mul_f64_e32 v[175:176], v[165:166], v[8:9]
	v_mul_f64_e32 v[8:9], v[167:168], v[8:9]
	s_delay_alu instid0(VALU_DEP_4) | instskip(NEXT) | instid1(VALU_DEP_4)
	v_fma_f64 v[173:174], v[34:35], v[2:3], -v[173:174]
	v_fma_f64 v[177:178], v[36:37], v[2:3], v[4:5]
	ds_load_b128 v[2:5], v1 offset:1728
	scratch_load_b128 v[34:37], off, off offset:896
	v_fma_f64 v[175:176], v[167:168], v[6:7], v[175:176]
	v_fma_f64 v[181:182], v[165:166], v[6:7], -v[8:9]
	ds_load_b128 v[6:9], v1 offset:1744
	scratch_load_b128 v[165:168], off, off offset:912
	s_wait_loadcnt_dscnt 0x901
	v_mul_f64_e32 v[179:180], v[2:3], v[12:13]
	v_mul_f64_e32 v[12:13], v[4:5], v[12:13]
	s_wait_loadcnt_dscnt 0x800
	v_mul_f64_e32 v[183:184], v[6:7], v[16:17]
	v_mul_f64_e32 v[16:17], v[8:9], v[16:17]
	v_add_f64_e32 v[173:174], 0, v[173:174]
	v_add_f64_e32 v[177:178], 0, v[177:178]
	v_fma_f64 v[179:180], v[4:5], v[10:11], v[179:180]
	v_fma_f64 v[185:186], v[2:3], v[10:11], -v[12:13]
	ds_load_b128 v[2:5], v1 offset:1760
	scratch_load_b128 v[10:13], off, off offset:928
	v_add_f64_e32 v[173:174], v[173:174], v[181:182]
	v_add_f64_e32 v[175:176], v[177:178], v[175:176]
	v_fma_f64 v[181:182], v[8:9], v[14:15], v[183:184]
	v_fma_f64 v[183:184], v[6:7], v[14:15], -v[16:17]
	ds_load_b128 v[6:9], v1 offset:1776
	scratch_load_b128 v[14:17], off, off offset:944
	s_wait_loadcnt_dscnt 0x901
	v_mul_f64_e32 v[177:178], v[2:3], v[20:21]
	v_mul_f64_e32 v[20:21], v[4:5], v[20:21]
	v_add_f64_e32 v[173:174], v[173:174], v[185:186]
	v_add_f64_e32 v[175:176], v[175:176], v[179:180]
	s_wait_loadcnt_dscnt 0x800
	v_mul_f64_e32 v[179:180], v[6:7], v[24:25]
	v_mul_f64_e32 v[24:25], v[8:9], v[24:25]
	v_fma_f64 v[177:178], v[4:5], v[18:19], v[177:178]
	v_fma_f64 v[185:186], v[2:3], v[18:19], -v[20:21]
	ds_load_b128 v[2:5], v1 offset:1792
	scratch_load_b128 v[18:21], off, off offset:960
	v_add_f64_e32 v[173:174], v[173:174], v[183:184]
	v_add_f64_e32 v[175:176], v[175:176], v[181:182]
	v_fma_f64 v[179:180], v[8:9], v[22:23], v[179:180]
	v_fma_f64 v[183:184], v[6:7], v[22:23], -v[24:25]
	ds_load_b128 v[6:9], v1 offset:1808
	s_wait_loadcnt_dscnt 0x801
	v_mul_f64_e32 v[181:182], v[2:3], v[28:29]
	v_mul_f64_e32 v[28:29], v[4:5], v[28:29]
	scratch_load_b128 v[22:25], off, off offset:976
	v_add_f64_e32 v[173:174], v[173:174], v[185:186]
	v_add_f64_e32 v[175:176], v[175:176], v[177:178]
	s_wait_loadcnt_dscnt 0x800
	v_mul_f64_e32 v[177:178], v[6:7], v[32:33]
	v_mul_f64_e32 v[32:33], v[8:9], v[32:33]
	v_fma_f64 v[181:182], v[4:5], v[26:27], v[181:182]
	v_fma_f64 v[26:27], v[2:3], v[26:27], -v[28:29]
	ds_load_b128 v[2:5], v1 offset:1824
	v_add_f64_e32 v[28:29], v[173:174], v[183:184]
	v_add_f64_e32 v[173:174], v[175:176], v[179:180]
	v_fma_f64 v[177:178], v[8:9], v[30:31], v[177:178]
	v_fma_f64 v[30:31], v[6:7], v[30:31], -v[32:33]
	ds_load_b128 v[6:9], v1 offset:1840
	s_wait_loadcnt_dscnt 0x701
	v_mul_f64_e32 v[175:176], v[2:3], v[40:41]
	v_mul_f64_e32 v[40:41], v[4:5], v[40:41]
	v_add_f64_e32 v[26:27], v[28:29], v[26:27]
	v_add_f64_e32 v[28:29], v[173:174], v[181:182]
	s_delay_alu instid0(VALU_DEP_4) | instskip(NEXT) | instid1(VALU_DEP_4)
	v_fma_f64 v[173:174], v[4:5], v[38:39], v[175:176]
	v_fma_f64 v[38:39], v[2:3], v[38:39], -v[40:41]
	ds_load_b128 v[2:5], v1 offset:1856
	v_add_f64_e32 v[30:31], v[26:27], v[30:31]
	v_add_f64_e32 v[40:41], v[28:29], v[177:178]
	scratch_load_b128 v[26:29], off, off offset:720
	s_wait_loadcnt_dscnt 0x701
	v_mul_f64_e32 v[32:33], v[6:7], v[171:172]
	v_mul_f64_e32 v[171:172], v[8:9], v[171:172]
	v_add_f64_e32 v[30:31], v[30:31], v[38:39]
	v_add_f64_e32 v[38:39], v[40:41], v[173:174]
	s_delay_alu instid0(VALU_DEP_4) | instskip(NEXT) | instid1(VALU_DEP_4)
	v_fma_f64 v[32:33], v[8:9], v[169:170], v[32:33]
	v_fma_f64 v[169:170], v[6:7], v[169:170], -v[171:172]
	ds_load_b128 v[6:9], v1 offset:1872
	s_wait_loadcnt_dscnt 0x601
	v_mul_f64_e32 v[175:176], v[2:3], v[36:37]
	v_mul_f64_e32 v[36:37], v[4:5], v[36:37]
	s_wait_loadcnt_dscnt 0x500
	v_mul_f64_e32 v[40:41], v[6:7], v[167:168]
	v_mul_f64_e32 v[167:168], v[8:9], v[167:168]
	v_add_f64_e32 v[32:33], v[38:39], v[32:33]
	v_add_f64_e32 v[30:31], v[30:31], v[169:170]
	v_fma_f64 v[171:172], v[4:5], v[34:35], v[175:176]
	v_fma_f64 v[34:35], v[2:3], v[34:35], -v[36:37]
	ds_load_b128 v[2:5], v1 offset:1888
	v_fma_f64 v[38:39], v[8:9], v[165:166], v[40:41]
	v_fma_f64 v[40:41], v[6:7], v[165:166], -v[167:168]
	ds_load_b128 v[6:9], v1 offset:1904
	s_wait_loadcnt_dscnt 0x401
	v_mul_f64_e32 v[36:37], v[2:3], v[12:13]
	v_mul_f64_e32 v[12:13], v[4:5], v[12:13]
	v_add_f64_e32 v[32:33], v[32:33], v[171:172]
	v_add_f64_e32 v[30:31], v[30:31], v[34:35]
	s_wait_loadcnt_dscnt 0x300
	v_mul_f64_e32 v[34:35], v[6:7], v[16:17]
	v_mul_f64_e32 v[16:17], v[8:9], v[16:17]
	v_fma_f64 v[36:37], v[4:5], v[10:11], v[36:37]
	v_fma_f64 v[10:11], v[2:3], v[10:11], -v[12:13]
	ds_load_b128 v[2:5], v1 offset:1920
	v_add_f64_e32 v[12:13], v[30:31], v[40:41]
	v_add_f64_e32 v[30:31], v[32:33], v[38:39]
	v_fma_f64 v[34:35], v[8:9], v[14:15], v[34:35]
	v_fma_f64 v[14:15], v[6:7], v[14:15], -v[16:17]
	ds_load_b128 v[6:9], v1 offset:1936
	s_wait_loadcnt_dscnt 0x201
	v_mul_f64_e32 v[32:33], v[2:3], v[20:21]
	v_mul_f64_e32 v[20:21], v[4:5], v[20:21]
	s_wait_loadcnt_dscnt 0x100
	v_mul_f64_e32 v[16:17], v[6:7], v[24:25]
	v_mul_f64_e32 v[24:25], v[8:9], v[24:25]
	v_add_f64_e32 v[10:11], v[12:13], v[10:11]
	v_add_f64_e32 v[12:13], v[30:31], v[36:37]
	v_fma_f64 v[4:5], v[4:5], v[18:19], v[32:33]
	v_fma_f64 v[1:2], v[2:3], v[18:19], -v[20:21]
	v_fma_f64 v[8:9], v[8:9], v[22:23], v[16:17]
	v_fma_f64 v[6:7], v[6:7], v[22:23], -v[24:25]
	v_add_f64_e32 v[10:11], v[10:11], v[14:15]
	v_add_f64_e32 v[12:13], v[12:13], v[34:35]
	s_delay_alu instid0(VALU_DEP_2) | instskip(NEXT) | instid1(VALU_DEP_2)
	v_add_f64_e32 v[1:2], v[10:11], v[1:2]
	v_add_f64_e32 v[3:4], v[12:13], v[4:5]
	s_delay_alu instid0(VALU_DEP_2) | instskip(NEXT) | instid1(VALU_DEP_2)
	v_add_f64_e32 v[1:2], v[1:2], v[6:7]
	v_add_f64_e32 v[3:4], v[3:4], v[8:9]
	s_wait_loadcnt 0x0
	s_delay_alu instid0(VALU_DEP_2) | instskip(NEXT) | instid1(VALU_DEP_2)
	v_add_f64_e64 v[1:2], v[26:27], -v[1:2]
	v_add_f64_e64 v[3:4], v[28:29], -v[3:4]
	scratch_store_b128 off, v[1:4], off offset:720
	v_cmpx_lt_u32_e32 43, v0
	s_cbranch_execz .LBB124_305
; %bb.304:
	scratch_load_b128 v[1:4], off, s33
	v_mov_b32_e32 v5, 0
	s_delay_alu instid0(VALU_DEP_1)
	v_dual_mov_b32 v6, v5 :: v_dual_mov_b32 v7, v5
	v_mov_b32_e32 v8, v5
	scratch_store_b128 off, v[5:8], off offset:704
	s_wait_loadcnt 0x0
	ds_store_b128 v164, v[1:4]
.LBB124_305:
	s_wait_alu 0xfffe
	s_or_b32 exec_lo, exec_lo, s0
	s_wait_storecnt_dscnt 0x0
	s_barrier_signal -1
	s_barrier_wait -1
	global_inv scope:SCOPE_SE
	s_clause 0x7
	scratch_load_b128 v[2:5], off, off offset:720
	scratch_load_b128 v[6:9], off, off offset:736
	;; [unrolled: 1-line block ×8, first 2 shown]
	v_mov_b32_e32 v1, 0
	s_clause 0x1
	scratch_load_b128 v[38:41], off, off offset:848
	scratch_load_b128 v[169:172], off, off offset:864
	s_mov_b32 s0, exec_lo
	ds_load_b128 v[34:37], v1 offset:1680
	ds_load_b128 v[165:168], v1 offset:1696
	s_wait_loadcnt_dscnt 0x901
	v_mul_f64_e32 v[173:174], v[36:37], v[4:5]
	v_mul_f64_e32 v[4:5], v[34:35], v[4:5]
	s_wait_loadcnt_dscnt 0x800
	v_mul_f64_e32 v[175:176], v[165:166], v[8:9]
	v_mul_f64_e32 v[8:9], v[167:168], v[8:9]
	s_delay_alu instid0(VALU_DEP_4) | instskip(NEXT) | instid1(VALU_DEP_4)
	v_fma_f64 v[173:174], v[34:35], v[2:3], -v[173:174]
	v_fma_f64 v[177:178], v[36:37], v[2:3], v[4:5]
	ds_load_b128 v[2:5], v1 offset:1712
	scratch_load_b128 v[34:37], off, off offset:880
	v_fma_f64 v[175:176], v[167:168], v[6:7], v[175:176]
	v_fma_f64 v[181:182], v[165:166], v[6:7], -v[8:9]
	ds_load_b128 v[6:9], v1 offset:1728
	scratch_load_b128 v[165:168], off, off offset:896
	s_wait_loadcnt_dscnt 0x901
	v_mul_f64_e32 v[179:180], v[2:3], v[12:13]
	v_mul_f64_e32 v[12:13], v[4:5], v[12:13]
	s_wait_loadcnt_dscnt 0x800
	v_mul_f64_e32 v[183:184], v[6:7], v[16:17]
	v_mul_f64_e32 v[16:17], v[8:9], v[16:17]
	v_add_f64_e32 v[173:174], 0, v[173:174]
	v_add_f64_e32 v[177:178], 0, v[177:178]
	v_fma_f64 v[179:180], v[4:5], v[10:11], v[179:180]
	v_fma_f64 v[185:186], v[2:3], v[10:11], -v[12:13]
	ds_load_b128 v[2:5], v1 offset:1744
	scratch_load_b128 v[10:13], off, off offset:912
	v_add_f64_e32 v[173:174], v[173:174], v[181:182]
	v_add_f64_e32 v[175:176], v[177:178], v[175:176]
	v_fma_f64 v[181:182], v[8:9], v[14:15], v[183:184]
	v_fma_f64 v[183:184], v[6:7], v[14:15], -v[16:17]
	ds_load_b128 v[6:9], v1 offset:1760
	scratch_load_b128 v[14:17], off, off offset:928
	s_wait_loadcnt_dscnt 0x901
	v_mul_f64_e32 v[177:178], v[2:3], v[20:21]
	v_mul_f64_e32 v[20:21], v[4:5], v[20:21]
	v_add_f64_e32 v[173:174], v[173:174], v[185:186]
	v_add_f64_e32 v[175:176], v[175:176], v[179:180]
	s_wait_loadcnt_dscnt 0x800
	v_mul_f64_e32 v[179:180], v[6:7], v[24:25]
	v_mul_f64_e32 v[24:25], v[8:9], v[24:25]
	v_fma_f64 v[177:178], v[4:5], v[18:19], v[177:178]
	v_fma_f64 v[185:186], v[2:3], v[18:19], -v[20:21]
	ds_load_b128 v[2:5], v1 offset:1776
	scratch_load_b128 v[18:21], off, off offset:944
	v_add_f64_e32 v[173:174], v[173:174], v[183:184]
	v_add_f64_e32 v[175:176], v[175:176], v[181:182]
	v_fma_f64 v[179:180], v[8:9], v[22:23], v[179:180]
	v_fma_f64 v[183:184], v[6:7], v[22:23], -v[24:25]
	ds_load_b128 v[6:9], v1 offset:1792
	s_wait_loadcnt_dscnt 0x801
	v_mul_f64_e32 v[181:182], v[2:3], v[28:29]
	v_mul_f64_e32 v[28:29], v[4:5], v[28:29]
	scratch_load_b128 v[22:25], off, off offset:960
	v_add_f64_e32 v[173:174], v[173:174], v[185:186]
	v_add_f64_e32 v[175:176], v[175:176], v[177:178]
	s_wait_loadcnt_dscnt 0x800
	v_mul_f64_e32 v[177:178], v[6:7], v[32:33]
	v_mul_f64_e32 v[32:33], v[8:9], v[32:33]
	v_fma_f64 v[181:182], v[4:5], v[26:27], v[181:182]
	v_fma_f64 v[185:186], v[2:3], v[26:27], -v[28:29]
	ds_load_b128 v[2:5], v1 offset:1808
	scratch_load_b128 v[26:29], off, off offset:976
	v_add_f64_e32 v[173:174], v[173:174], v[183:184]
	v_add_f64_e32 v[175:176], v[175:176], v[179:180]
	v_fma_f64 v[177:178], v[8:9], v[30:31], v[177:178]
	v_fma_f64 v[30:31], v[6:7], v[30:31], -v[32:33]
	ds_load_b128 v[6:9], v1 offset:1824
	s_wait_loadcnt_dscnt 0x801
	v_mul_f64_e32 v[179:180], v[2:3], v[40:41]
	v_mul_f64_e32 v[40:41], v[4:5], v[40:41]
	v_add_f64_e32 v[32:33], v[173:174], v[185:186]
	v_add_f64_e32 v[173:174], v[175:176], v[181:182]
	s_wait_loadcnt_dscnt 0x700
	v_mul_f64_e32 v[175:176], v[6:7], v[171:172]
	v_mul_f64_e32 v[171:172], v[8:9], v[171:172]
	v_fma_f64 v[179:180], v[4:5], v[38:39], v[179:180]
	v_fma_f64 v[38:39], v[2:3], v[38:39], -v[40:41]
	ds_load_b128 v[2:5], v1 offset:1840
	v_add_f64_e32 v[30:31], v[32:33], v[30:31]
	v_add_f64_e32 v[32:33], v[173:174], v[177:178]
	v_fma_f64 v[173:174], v[8:9], v[169:170], v[175:176]
	v_fma_f64 v[169:170], v[6:7], v[169:170], -v[171:172]
	ds_load_b128 v[6:9], v1 offset:1856
	s_wait_loadcnt_dscnt 0x500
	v_mul_f64_e32 v[175:176], v[6:7], v[167:168]
	v_mul_f64_e32 v[167:168], v[8:9], v[167:168]
	v_add_f64_e32 v[38:39], v[30:31], v[38:39]
	v_add_f64_e32 v[171:172], v[32:33], v[179:180]
	scratch_load_b128 v[30:33], off, off offset:704
	v_mul_f64_e32 v[40:41], v[2:3], v[36:37]
	v_mul_f64_e32 v[36:37], v[4:5], v[36:37]
	s_delay_alu instid0(VALU_DEP_2) | instskip(NEXT) | instid1(VALU_DEP_2)
	v_fma_f64 v[40:41], v[4:5], v[34:35], v[40:41]
	v_fma_f64 v[34:35], v[2:3], v[34:35], -v[36:37]
	v_add_f64_e32 v[36:37], v[38:39], v[169:170]
	v_add_f64_e32 v[38:39], v[171:172], v[173:174]
	ds_load_b128 v[2:5], v1 offset:1872
	v_fma_f64 v[171:172], v[8:9], v[165:166], v[175:176]
	v_fma_f64 v[165:166], v[6:7], v[165:166], -v[167:168]
	ds_load_b128 v[6:9], v1 offset:1888
	s_wait_loadcnt_dscnt 0x501
	v_mul_f64_e32 v[169:170], v[2:3], v[12:13]
	v_mul_f64_e32 v[12:13], v[4:5], v[12:13]
	v_add_f64_e32 v[34:35], v[36:37], v[34:35]
	v_add_f64_e32 v[36:37], v[38:39], v[40:41]
	s_wait_loadcnt_dscnt 0x400
	v_mul_f64_e32 v[38:39], v[6:7], v[16:17]
	v_mul_f64_e32 v[16:17], v[8:9], v[16:17]
	v_fma_f64 v[40:41], v[4:5], v[10:11], v[169:170]
	v_fma_f64 v[10:11], v[2:3], v[10:11], -v[12:13]
	ds_load_b128 v[2:5], v1 offset:1904
	v_add_f64_e32 v[12:13], v[34:35], v[165:166]
	v_add_f64_e32 v[34:35], v[36:37], v[171:172]
	v_fma_f64 v[38:39], v[8:9], v[14:15], v[38:39]
	v_fma_f64 v[14:15], v[6:7], v[14:15], -v[16:17]
	ds_load_b128 v[6:9], v1 offset:1920
	s_wait_loadcnt_dscnt 0x301
	v_mul_f64_e32 v[36:37], v[2:3], v[20:21]
	v_mul_f64_e32 v[20:21], v[4:5], v[20:21]
	s_wait_loadcnt_dscnt 0x200
	v_mul_f64_e32 v[16:17], v[6:7], v[24:25]
	v_mul_f64_e32 v[24:25], v[8:9], v[24:25]
	v_add_f64_e32 v[10:11], v[12:13], v[10:11]
	v_add_f64_e32 v[12:13], v[34:35], v[40:41]
	v_fma_f64 v[34:35], v[4:5], v[18:19], v[36:37]
	v_fma_f64 v[18:19], v[2:3], v[18:19], -v[20:21]
	ds_load_b128 v[2:5], v1 offset:1936
	v_fma_f64 v[8:9], v[8:9], v[22:23], v[16:17]
	v_fma_f64 v[6:7], v[6:7], v[22:23], -v[24:25]
	s_wait_loadcnt_dscnt 0x100
	v_mul_f64_e32 v[20:21], v[4:5], v[28:29]
	v_add_f64_e32 v[10:11], v[10:11], v[14:15]
	v_add_f64_e32 v[12:13], v[12:13], v[38:39]
	v_mul_f64_e32 v[14:15], v[2:3], v[28:29]
	s_delay_alu instid0(VALU_DEP_4) | instskip(NEXT) | instid1(VALU_DEP_4)
	v_fma_f64 v[2:3], v[2:3], v[26:27], -v[20:21]
	v_add_f64_e32 v[10:11], v[10:11], v[18:19]
	s_delay_alu instid0(VALU_DEP_4) | instskip(NEXT) | instid1(VALU_DEP_4)
	v_add_f64_e32 v[12:13], v[12:13], v[34:35]
	v_fma_f64 v[4:5], v[4:5], v[26:27], v[14:15]
	s_delay_alu instid0(VALU_DEP_3) | instskip(NEXT) | instid1(VALU_DEP_3)
	v_add_f64_e32 v[6:7], v[10:11], v[6:7]
	v_add_f64_e32 v[8:9], v[12:13], v[8:9]
	s_delay_alu instid0(VALU_DEP_2) | instskip(NEXT) | instid1(VALU_DEP_2)
	v_add_f64_e32 v[2:3], v[6:7], v[2:3]
	v_add_f64_e32 v[4:5], v[8:9], v[4:5]
	s_wait_loadcnt 0x0
	s_delay_alu instid0(VALU_DEP_2) | instskip(NEXT) | instid1(VALU_DEP_2)
	v_add_f64_e64 v[2:3], v[30:31], -v[2:3]
	v_add_f64_e64 v[4:5], v[32:33], -v[4:5]
	scratch_store_b128 off, v[2:5], off offset:704
	v_cmpx_lt_u32_e32 42, v0
	s_cbranch_execz .LBB124_307
; %bb.306:
	scratch_load_b128 v[5:8], off, s34
	v_dual_mov_b32 v2, v1 :: v_dual_mov_b32 v3, v1
	v_mov_b32_e32 v4, v1
	scratch_store_b128 off, v[1:4], off offset:688
	s_wait_loadcnt 0x0
	ds_store_b128 v164, v[5:8]
.LBB124_307:
	s_wait_alu 0xfffe
	s_or_b32 exec_lo, exec_lo, s0
	s_wait_storecnt_dscnt 0x0
	s_barrier_signal -1
	s_barrier_wait -1
	global_inv scope:SCOPE_SE
	s_clause 0x7
	scratch_load_b128 v[2:5], off, off offset:704
	scratch_load_b128 v[6:9], off, off offset:720
	;; [unrolled: 1-line block ×8, first 2 shown]
	ds_load_b128 v[34:37], v1 offset:1664
	ds_load_b128 v[165:168], v1 offset:1680
	s_clause 0x1
	scratch_load_b128 v[38:41], off, off offset:832
	scratch_load_b128 v[169:172], off, off offset:848
	s_mov_b32 s0, exec_lo
	s_wait_loadcnt_dscnt 0x901
	v_mul_f64_e32 v[173:174], v[36:37], v[4:5]
	v_mul_f64_e32 v[4:5], v[34:35], v[4:5]
	s_wait_loadcnt_dscnt 0x800
	v_mul_f64_e32 v[175:176], v[165:166], v[8:9]
	v_mul_f64_e32 v[8:9], v[167:168], v[8:9]
	s_delay_alu instid0(VALU_DEP_4) | instskip(NEXT) | instid1(VALU_DEP_4)
	v_fma_f64 v[173:174], v[34:35], v[2:3], -v[173:174]
	v_fma_f64 v[177:178], v[36:37], v[2:3], v[4:5]
	scratch_load_b128 v[34:37], off, off offset:864
	ds_load_b128 v[2:5], v1 offset:1696
	v_fma_f64 v[175:176], v[167:168], v[6:7], v[175:176]
	v_fma_f64 v[181:182], v[165:166], v[6:7], -v[8:9]
	ds_load_b128 v[6:9], v1 offset:1712
	scratch_load_b128 v[165:168], off, off offset:880
	s_wait_loadcnt_dscnt 0x901
	v_mul_f64_e32 v[179:180], v[2:3], v[12:13]
	v_mul_f64_e32 v[12:13], v[4:5], v[12:13]
	s_wait_loadcnt_dscnt 0x800
	v_mul_f64_e32 v[183:184], v[6:7], v[16:17]
	v_mul_f64_e32 v[16:17], v[8:9], v[16:17]
	v_add_f64_e32 v[173:174], 0, v[173:174]
	v_add_f64_e32 v[177:178], 0, v[177:178]
	v_fma_f64 v[179:180], v[4:5], v[10:11], v[179:180]
	v_fma_f64 v[185:186], v[2:3], v[10:11], -v[12:13]
	ds_load_b128 v[2:5], v1 offset:1728
	scratch_load_b128 v[10:13], off, off offset:896
	v_add_f64_e32 v[173:174], v[173:174], v[181:182]
	v_add_f64_e32 v[175:176], v[177:178], v[175:176]
	v_fma_f64 v[181:182], v[8:9], v[14:15], v[183:184]
	v_fma_f64 v[183:184], v[6:7], v[14:15], -v[16:17]
	ds_load_b128 v[6:9], v1 offset:1744
	scratch_load_b128 v[14:17], off, off offset:912
	s_wait_loadcnt_dscnt 0x901
	v_mul_f64_e32 v[177:178], v[2:3], v[20:21]
	v_mul_f64_e32 v[20:21], v[4:5], v[20:21]
	v_add_f64_e32 v[173:174], v[173:174], v[185:186]
	v_add_f64_e32 v[175:176], v[175:176], v[179:180]
	s_wait_loadcnt_dscnt 0x800
	v_mul_f64_e32 v[179:180], v[6:7], v[24:25]
	v_mul_f64_e32 v[24:25], v[8:9], v[24:25]
	v_fma_f64 v[177:178], v[4:5], v[18:19], v[177:178]
	v_fma_f64 v[185:186], v[2:3], v[18:19], -v[20:21]
	ds_load_b128 v[2:5], v1 offset:1760
	scratch_load_b128 v[18:21], off, off offset:928
	v_add_f64_e32 v[173:174], v[173:174], v[183:184]
	v_add_f64_e32 v[175:176], v[175:176], v[181:182]
	v_fma_f64 v[179:180], v[8:9], v[22:23], v[179:180]
	v_fma_f64 v[183:184], v[6:7], v[22:23], -v[24:25]
	ds_load_b128 v[6:9], v1 offset:1776
	s_wait_loadcnt_dscnt 0x801
	v_mul_f64_e32 v[181:182], v[2:3], v[28:29]
	v_mul_f64_e32 v[28:29], v[4:5], v[28:29]
	scratch_load_b128 v[22:25], off, off offset:944
	v_add_f64_e32 v[173:174], v[173:174], v[185:186]
	v_add_f64_e32 v[175:176], v[175:176], v[177:178]
	s_wait_loadcnt_dscnt 0x800
	v_mul_f64_e32 v[177:178], v[6:7], v[32:33]
	v_mul_f64_e32 v[32:33], v[8:9], v[32:33]
	v_fma_f64 v[181:182], v[4:5], v[26:27], v[181:182]
	v_fma_f64 v[185:186], v[2:3], v[26:27], -v[28:29]
	ds_load_b128 v[2:5], v1 offset:1792
	scratch_load_b128 v[26:29], off, off offset:960
	v_add_f64_e32 v[173:174], v[173:174], v[183:184]
	v_add_f64_e32 v[175:176], v[175:176], v[179:180]
	v_fma_f64 v[177:178], v[8:9], v[30:31], v[177:178]
	v_fma_f64 v[183:184], v[6:7], v[30:31], -v[32:33]
	ds_load_b128 v[6:9], v1 offset:1808
	s_wait_loadcnt_dscnt 0x801
	v_mul_f64_e32 v[179:180], v[2:3], v[40:41]
	v_mul_f64_e32 v[40:41], v[4:5], v[40:41]
	scratch_load_b128 v[30:33], off, off offset:976
	v_add_f64_e32 v[173:174], v[173:174], v[185:186]
	v_add_f64_e32 v[175:176], v[175:176], v[181:182]
	v_fma_f64 v[179:180], v[4:5], v[38:39], v[179:180]
	v_fma_f64 v[38:39], v[2:3], v[38:39], -v[40:41]
	ds_load_b128 v[2:5], v1 offset:1824
	v_add_f64_e32 v[40:41], v[173:174], v[183:184]
	v_add_f64_e32 v[173:174], v[175:176], v[177:178]
	s_wait_loadcnt_dscnt 0x700
	v_mul_f64_e32 v[175:176], v[2:3], v[36:37]
	v_mul_f64_e32 v[36:37], v[4:5], v[36:37]
	s_delay_alu instid0(VALU_DEP_4) | instskip(NEXT) | instid1(VALU_DEP_4)
	v_add_f64_e32 v[38:39], v[40:41], v[38:39]
	v_add_f64_e32 v[40:41], v[173:174], v[179:180]
	s_delay_alu instid0(VALU_DEP_4) | instskip(NEXT) | instid1(VALU_DEP_4)
	v_fma_f64 v[173:174], v[4:5], v[34:35], v[175:176]
	v_fma_f64 v[175:176], v[2:3], v[34:35], -v[36:37]
	scratch_load_b128 v[34:37], off, off offset:688
	v_mul_f64_e32 v[181:182], v[6:7], v[171:172]
	v_mul_f64_e32 v[171:172], v[8:9], v[171:172]
	ds_load_b128 v[2:5], v1 offset:1856
	v_fma_f64 v[177:178], v[8:9], v[169:170], v[181:182]
	v_fma_f64 v[169:170], v[6:7], v[169:170], -v[171:172]
	ds_load_b128 v[6:9], v1 offset:1840
	s_wait_loadcnt_dscnt 0x700
	v_mul_f64_e32 v[171:172], v[6:7], v[167:168]
	v_mul_f64_e32 v[167:168], v[8:9], v[167:168]
	v_add_f64_e32 v[40:41], v[40:41], v[177:178]
	v_add_f64_e32 v[38:39], v[38:39], v[169:170]
	s_wait_loadcnt 0x6
	v_mul_f64_e32 v[169:170], v[2:3], v[12:13]
	v_mul_f64_e32 v[12:13], v[4:5], v[12:13]
	v_fma_f64 v[171:172], v[8:9], v[165:166], v[171:172]
	v_fma_f64 v[165:166], v[6:7], v[165:166], -v[167:168]
	ds_load_b128 v[6:9], v1 offset:1872
	v_add_f64_e32 v[40:41], v[40:41], v[173:174]
	v_add_f64_e32 v[38:39], v[38:39], v[175:176]
	v_fma_f64 v[169:170], v[4:5], v[10:11], v[169:170]
	v_fma_f64 v[10:11], v[2:3], v[10:11], -v[12:13]
	ds_load_b128 v[2:5], v1 offset:1888
	s_wait_loadcnt_dscnt 0x501
	v_mul_f64_e32 v[167:168], v[6:7], v[16:17]
	v_mul_f64_e32 v[16:17], v[8:9], v[16:17]
	v_add_f64_e32 v[12:13], v[38:39], v[165:166]
	v_add_f64_e32 v[38:39], v[40:41], v[171:172]
	s_wait_loadcnt_dscnt 0x400
	v_mul_f64_e32 v[40:41], v[2:3], v[20:21]
	v_mul_f64_e32 v[20:21], v[4:5], v[20:21]
	v_fma_f64 v[165:166], v[8:9], v[14:15], v[167:168]
	v_fma_f64 v[14:15], v[6:7], v[14:15], -v[16:17]
	ds_load_b128 v[6:9], v1 offset:1904
	v_add_f64_e32 v[10:11], v[12:13], v[10:11]
	v_add_f64_e32 v[12:13], v[38:39], v[169:170]
	v_fma_f64 v[38:39], v[4:5], v[18:19], v[40:41]
	v_fma_f64 v[18:19], v[2:3], v[18:19], -v[20:21]
	ds_load_b128 v[2:5], v1 offset:1920
	s_wait_loadcnt_dscnt 0x301
	v_mul_f64_e32 v[16:17], v[6:7], v[24:25]
	v_mul_f64_e32 v[24:25], v[8:9], v[24:25]
	s_wait_loadcnt_dscnt 0x200
	v_mul_f64_e32 v[20:21], v[4:5], v[28:29]
	v_add_f64_e32 v[10:11], v[10:11], v[14:15]
	v_add_f64_e32 v[12:13], v[12:13], v[165:166]
	v_mul_f64_e32 v[14:15], v[2:3], v[28:29]
	v_fma_f64 v[16:17], v[8:9], v[22:23], v[16:17]
	v_fma_f64 v[22:23], v[6:7], v[22:23], -v[24:25]
	ds_load_b128 v[6:9], v1 offset:1936
	v_fma_f64 v[1:2], v[2:3], v[26:27], -v[20:21]
	s_wait_loadcnt_dscnt 0x100
	v_mul_f64_e32 v[24:25], v[8:9], v[32:33]
	v_add_f64_e32 v[10:11], v[10:11], v[18:19]
	v_add_f64_e32 v[12:13], v[12:13], v[38:39]
	v_mul_f64_e32 v[18:19], v[6:7], v[32:33]
	v_fma_f64 v[4:5], v[4:5], v[26:27], v[14:15]
	v_fma_f64 v[6:7], v[6:7], v[30:31], -v[24:25]
	v_add_f64_e32 v[10:11], v[10:11], v[22:23]
	v_add_f64_e32 v[12:13], v[12:13], v[16:17]
	v_fma_f64 v[8:9], v[8:9], v[30:31], v[18:19]
	s_delay_alu instid0(VALU_DEP_3) | instskip(NEXT) | instid1(VALU_DEP_3)
	v_add_f64_e32 v[1:2], v[10:11], v[1:2]
	v_add_f64_e32 v[3:4], v[12:13], v[4:5]
	s_delay_alu instid0(VALU_DEP_2) | instskip(NEXT) | instid1(VALU_DEP_2)
	v_add_f64_e32 v[1:2], v[1:2], v[6:7]
	v_add_f64_e32 v[3:4], v[3:4], v[8:9]
	s_wait_loadcnt 0x0
	s_delay_alu instid0(VALU_DEP_2) | instskip(NEXT) | instid1(VALU_DEP_2)
	v_add_f64_e64 v[1:2], v[34:35], -v[1:2]
	v_add_f64_e64 v[3:4], v[36:37], -v[3:4]
	scratch_store_b128 off, v[1:4], off offset:688
	v_cmpx_lt_u32_e32 41, v0
	s_cbranch_execz .LBB124_309
; %bb.308:
	scratch_load_b128 v[1:4], off, s35
	v_mov_b32_e32 v5, 0
	s_delay_alu instid0(VALU_DEP_1)
	v_dual_mov_b32 v6, v5 :: v_dual_mov_b32 v7, v5
	v_mov_b32_e32 v8, v5
	scratch_store_b128 off, v[5:8], off offset:672
	s_wait_loadcnt 0x0
	ds_store_b128 v164, v[1:4]
.LBB124_309:
	s_wait_alu 0xfffe
	s_or_b32 exec_lo, exec_lo, s0
	s_wait_storecnt_dscnt 0x0
	s_barrier_signal -1
	s_barrier_wait -1
	global_inv scope:SCOPE_SE
	s_clause 0x7
	scratch_load_b128 v[2:5], off, off offset:688
	scratch_load_b128 v[6:9], off, off offset:704
	;; [unrolled: 1-line block ×8, first 2 shown]
	v_mov_b32_e32 v1, 0
	s_clause 0x1
	scratch_load_b128 v[38:41], off, off offset:816
	scratch_load_b128 v[169:172], off, off offset:832
	s_mov_b32 s0, exec_lo
	ds_load_b128 v[34:37], v1 offset:1648
	ds_load_b128 v[165:168], v1 offset:1664
	s_wait_loadcnt_dscnt 0x901
	v_mul_f64_e32 v[173:174], v[36:37], v[4:5]
	v_mul_f64_e32 v[4:5], v[34:35], v[4:5]
	s_wait_loadcnt_dscnt 0x800
	v_mul_f64_e32 v[175:176], v[165:166], v[8:9]
	v_mul_f64_e32 v[8:9], v[167:168], v[8:9]
	s_delay_alu instid0(VALU_DEP_4) | instskip(NEXT) | instid1(VALU_DEP_4)
	v_fma_f64 v[173:174], v[34:35], v[2:3], -v[173:174]
	v_fma_f64 v[177:178], v[36:37], v[2:3], v[4:5]
	ds_load_b128 v[2:5], v1 offset:1680
	scratch_load_b128 v[34:37], off, off offset:848
	v_fma_f64 v[175:176], v[167:168], v[6:7], v[175:176]
	v_fma_f64 v[181:182], v[165:166], v[6:7], -v[8:9]
	ds_load_b128 v[6:9], v1 offset:1696
	scratch_load_b128 v[165:168], off, off offset:864
	s_wait_loadcnt_dscnt 0x901
	v_mul_f64_e32 v[179:180], v[2:3], v[12:13]
	v_mul_f64_e32 v[12:13], v[4:5], v[12:13]
	s_wait_loadcnt_dscnt 0x800
	v_mul_f64_e32 v[183:184], v[6:7], v[16:17]
	v_mul_f64_e32 v[16:17], v[8:9], v[16:17]
	v_add_f64_e32 v[173:174], 0, v[173:174]
	v_add_f64_e32 v[177:178], 0, v[177:178]
	v_fma_f64 v[179:180], v[4:5], v[10:11], v[179:180]
	v_fma_f64 v[185:186], v[2:3], v[10:11], -v[12:13]
	ds_load_b128 v[2:5], v1 offset:1712
	scratch_load_b128 v[10:13], off, off offset:880
	v_add_f64_e32 v[173:174], v[173:174], v[181:182]
	v_add_f64_e32 v[175:176], v[177:178], v[175:176]
	v_fma_f64 v[181:182], v[8:9], v[14:15], v[183:184]
	v_fma_f64 v[183:184], v[6:7], v[14:15], -v[16:17]
	ds_load_b128 v[6:9], v1 offset:1728
	scratch_load_b128 v[14:17], off, off offset:896
	s_wait_loadcnt_dscnt 0x901
	v_mul_f64_e32 v[177:178], v[2:3], v[20:21]
	v_mul_f64_e32 v[20:21], v[4:5], v[20:21]
	v_add_f64_e32 v[173:174], v[173:174], v[185:186]
	v_add_f64_e32 v[175:176], v[175:176], v[179:180]
	s_wait_loadcnt_dscnt 0x800
	v_mul_f64_e32 v[179:180], v[6:7], v[24:25]
	v_mul_f64_e32 v[24:25], v[8:9], v[24:25]
	v_fma_f64 v[177:178], v[4:5], v[18:19], v[177:178]
	v_fma_f64 v[185:186], v[2:3], v[18:19], -v[20:21]
	ds_load_b128 v[2:5], v1 offset:1744
	scratch_load_b128 v[18:21], off, off offset:912
	v_add_f64_e32 v[173:174], v[173:174], v[183:184]
	v_add_f64_e32 v[175:176], v[175:176], v[181:182]
	v_fma_f64 v[179:180], v[8:9], v[22:23], v[179:180]
	v_fma_f64 v[183:184], v[6:7], v[22:23], -v[24:25]
	ds_load_b128 v[6:9], v1 offset:1760
	s_wait_loadcnt_dscnt 0x801
	v_mul_f64_e32 v[181:182], v[2:3], v[28:29]
	v_mul_f64_e32 v[28:29], v[4:5], v[28:29]
	scratch_load_b128 v[22:25], off, off offset:928
	v_add_f64_e32 v[173:174], v[173:174], v[185:186]
	v_add_f64_e32 v[175:176], v[175:176], v[177:178]
	s_wait_loadcnt_dscnt 0x800
	v_mul_f64_e32 v[177:178], v[6:7], v[32:33]
	v_mul_f64_e32 v[32:33], v[8:9], v[32:33]
	v_fma_f64 v[181:182], v[4:5], v[26:27], v[181:182]
	v_fma_f64 v[185:186], v[2:3], v[26:27], -v[28:29]
	ds_load_b128 v[2:5], v1 offset:1776
	scratch_load_b128 v[26:29], off, off offset:944
	v_add_f64_e32 v[173:174], v[173:174], v[183:184]
	v_add_f64_e32 v[175:176], v[175:176], v[179:180]
	v_fma_f64 v[177:178], v[8:9], v[30:31], v[177:178]
	v_fma_f64 v[183:184], v[6:7], v[30:31], -v[32:33]
	ds_load_b128 v[6:9], v1 offset:1792
	s_wait_loadcnt_dscnt 0x801
	v_mul_f64_e32 v[179:180], v[2:3], v[40:41]
	v_mul_f64_e32 v[40:41], v[4:5], v[40:41]
	scratch_load_b128 v[30:33], off, off offset:960
	v_add_f64_e32 v[173:174], v[173:174], v[185:186]
	v_add_f64_e32 v[175:176], v[175:176], v[181:182]
	s_wait_loadcnt_dscnt 0x800
	v_mul_f64_e32 v[181:182], v[6:7], v[171:172]
	v_mul_f64_e32 v[171:172], v[8:9], v[171:172]
	v_fma_f64 v[179:180], v[4:5], v[38:39], v[179:180]
	v_fma_f64 v[185:186], v[2:3], v[38:39], -v[40:41]
	ds_load_b128 v[2:5], v1 offset:1808
	scratch_load_b128 v[38:41], off, off offset:976
	v_add_f64_e32 v[173:174], v[173:174], v[183:184]
	v_add_f64_e32 v[175:176], v[175:176], v[177:178]
	v_fma_f64 v[181:182], v[8:9], v[169:170], v[181:182]
	v_fma_f64 v[169:170], v[6:7], v[169:170], -v[171:172]
	ds_load_b128 v[6:9], v1 offset:1824
	s_wait_loadcnt_dscnt 0x801
	v_mul_f64_e32 v[177:178], v[2:3], v[36:37]
	v_mul_f64_e32 v[36:37], v[4:5], v[36:37]
	v_add_f64_e32 v[171:172], v[173:174], v[185:186]
	v_add_f64_e32 v[173:174], v[175:176], v[179:180]
	s_wait_loadcnt_dscnt 0x700
	v_mul_f64_e32 v[175:176], v[6:7], v[167:168]
	v_mul_f64_e32 v[167:168], v[8:9], v[167:168]
	v_fma_f64 v[177:178], v[4:5], v[34:35], v[177:178]
	v_fma_f64 v[34:35], v[2:3], v[34:35], -v[36:37]
	ds_load_b128 v[2:5], v1 offset:1840
	v_add_f64_e32 v[36:37], v[171:172], v[169:170]
	v_add_f64_e32 v[169:170], v[173:174], v[181:182]
	v_fma_f64 v[173:174], v[8:9], v[165:166], v[175:176]
	v_fma_f64 v[165:166], v[6:7], v[165:166], -v[167:168]
	ds_load_b128 v[6:9], v1 offset:1856
	s_wait_loadcnt_dscnt 0x500
	v_mul_f64_e32 v[175:176], v[6:7], v[16:17]
	v_mul_f64_e32 v[16:17], v[8:9], v[16:17]
	v_add_f64_e32 v[167:168], v[36:37], v[34:35]
	v_add_f64_e32 v[169:170], v[169:170], v[177:178]
	scratch_load_b128 v[34:37], off, off offset:672
	v_mul_f64_e32 v[171:172], v[2:3], v[12:13]
	v_mul_f64_e32 v[12:13], v[4:5], v[12:13]
	s_delay_alu instid0(VALU_DEP_2) | instskip(NEXT) | instid1(VALU_DEP_2)
	v_fma_f64 v[171:172], v[4:5], v[10:11], v[171:172]
	v_fma_f64 v[10:11], v[2:3], v[10:11], -v[12:13]
	v_add_f64_e32 v[12:13], v[167:168], v[165:166]
	v_add_f64_e32 v[165:166], v[169:170], v[173:174]
	ds_load_b128 v[2:5], v1 offset:1872
	v_fma_f64 v[169:170], v[8:9], v[14:15], v[175:176]
	v_fma_f64 v[14:15], v[6:7], v[14:15], -v[16:17]
	ds_load_b128 v[6:9], v1 offset:1888
	s_wait_loadcnt_dscnt 0x501
	v_mul_f64_e32 v[167:168], v[2:3], v[20:21]
	v_mul_f64_e32 v[20:21], v[4:5], v[20:21]
	s_wait_loadcnt_dscnt 0x400
	v_mul_f64_e32 v[16:17], v[6:7], v[24:25]
	v_mul_f64_e32 v[24:25], v[8:9], v[24:25]
	v_add_f64_e32 v[10:11], v[12:13], v[10:11]
	v_add_f64_e32 v[12:13], v[165:166], v[171:172]
	v_fma_f64 v[165:166], v[4:5], v[18:19], v[167:168]
	v_fma_f64 v[18:19], v[2:3], v[18:19], -v[20:21]
	ds_load_b128 v[2:5], v1 offset:1904
	v_fma_f64 v[16:17], v[8:9], v[22:23], v[16:17]
	v_fma_f64 v[22:23], v[6:7], v[22:23], -v[24:25]
	ds_load_b128 v[6:9], v1 offset:1920
	v_add_f64_e32 v[10:11], v[10:11], v[14:15]
	v_add_f64_e32 v[12:13], v[12:13], v[169:170]
	s_wait_loadcnt_dscnt 0x301
	v_mul_f64_e32 v[14:15], v[2:3], v[28:29]
	v_mul_f64_e32 v[20:21], v[4:5], v[28:29]
	s_wait_loadcnt_dscnt 0x200
	v_mul_f64_e32 v[24:25], v[8:9], v[32:33]
	v_add_f64_e32 v[10:11], v[10:11], v[18:19]
	v_add_f64_e32 v[12:13], v[12:13], v[165:166]
	v_mul_f64_e32 v[18:19], v[6:7], v[32:33]
	v_fma_f64 v[14:15], v[4:5], v[26:27], v[14:15]
	v_fma_f64 v[20:21], v[2:3], v[26:27], -v[20:21]
	ds_load_b128 v[2:5], v1 offset:1936
	v_fma_f64 v[6:7], v[6:7], v[30:31], -v[24:25]
	v_add_f64_e32 v[10:11], v[10:11], v[22:23]
	v_add_f64_e32 v[12:13], v[12:13], v[16:17]
	s_wait_loadcnt_dscnt 0x100
	v_mul_f64_e32 v[16:17], v[2:3], v[40:41]
	v_mul_f64_e32 v[22:23], v[4:5], v[40:41]
	v_fma_f64 v[8:9], v[8:9], v[30:31], v[18:19]
	v_add_f64_e32 v[10:11], v[10:11], v[20:21]
	v_add_f64_e32 v[12:13], v[12:13], v[14:15]
	v_fma_f64 v[4:5], v[4:5], v[38:39], v[16:17]
	v_fma_f64 v[2:3], v[2:3], v[38:39], -v[22:23]
	s_delay_alu instid0(VALU_DEP_4) | instskip(NEXT) | instid1(VALU_DEP_4)
	v_add_f64_e32 v[6:7], v[10:11], v[6:7]
	v_add_f64_e32 v[8:9], v[12:13], v[8:9]
	s_delay_alu instid0(VALU_DEP_2) | instskip(NEXT) | instid1(VALU_DEP_2)
	v_add_f64_e32 v[2:3], v[6:7], v[2:3]
	v_add_f64_e32 v[4:5], v[8:9], v[4:5]
	s_wait_loadcnt 0x0
	s_delay_alu instid0(VALU_DEP_2) | instskip(NEXT) | instid1(VALU_DEP_2)
	v_add_f64_e64 v[2:3], v[34:35], -v[2:3]
	v_add_f64_e64 v[4:5], v[36:37], -v[4:5]
	scratch_store_b128 off, v[2:5], off offset:672
	v_cmpx_lt_u32_e32 40, v0
	s_cbranch_execz .LBB124_311
; %bb.310:
	scratch_load_b128 v[5:8], off, s36
	v_dual_mov_b32 v2, v1 :: v_dual_mov_b32 v3, v1
	v_mov_b32_e32 v4, v1
	scratch_store_b128 off, v[1:4], off offset:656
	s_wait_loadcnt 0x0
	ds_store_b128 v164, v[5:8]
.LBB124_311:
	s_wait_alu 0xfffe
	s_or_b32 exec_lo, exec_lo, s0
	s_wait_storecnt_dscnt 0x0
	s_barrier_signal -1
	s_barrier_wait -1
	global_inv scope:SCOPE_SE
	s_clause 0x7
	scratch_load_b128 v[2:5], off, off offset:672
	scratch_load_b128 v[6:9], off, off offset:688
	;; [unrolled: 1-line block ×8, first 2 shown]
	ds_load_b128 v[34:37], v1 offset:1632
	ds_load_b128 v[165:168], v1 offset:1648
	s_clause 0x1
	scratch_load_b128 v[38:41], off, off offset:800
	scratch_load_b128 v[169:172], off, off offset:816
	s_mov_b32 s0, exec_lo
	s_wait_loadcnt_dscnt 0x901
	v_mul_f64_e32 v[173:174], v[36:37], v[4:5]
	v_mul_f64_e32 v[4:5], v[34:35], v[4:5]
	s_wait_loadcnt_dscnt 0x800
	v_mul_f64_e32 v[175:176], v[165:166], v[8:9]
	v_mul_f64_e32 v[8:9], v[167:168], v[8:9]
	s_delay_alu instid0(VALU_DEP_4) | instskip(NEXT) | instid1(VALU_DEP_4)
	v_fma_f64 v[173:174], v[34:35], v[2:3], -v[173:174]
	v_fma_f64 v[177:178], v[36:37], v[2:3], v[4:5]
	ds_load_b128 v[2:5], v1 offset:1664
	scratch_load_b128 v[34:37], off, off offset:832
	v_fma_f64 v[175:176], v[167:168], v[6:7], v[175:176]
	v_fma_f64 v[181:182], v[165:166], v[6:7], -v[8:9]
	ds_load_b128 v[6:9], v1 offset:1680
	scratch_load_b128 v[165:168], off, off offset:848
	s_wait_loadcnt_dscnt 0x901
	v_mul_f64_e32 v[179:180], v[2:3], v[12:13]
	v_mul_f64_e32 v[12:13], v[4:5], v[12:13]
	s_wait_loadcnt_dscnt 0x800
	v_mul_f64_e32 v[183:184], v[6:7], v[16:17]
	v_mul_f64_e32 v[16:17], v[8:9], v[16:17]
	v_add_f64_e32 v[173:174], 0, v[173:174]
	v_add_f64_e32 v[177:178], 0, v[177:178]
	v_fma_f64 v[179:180], v[4:5], v[10:11], v[179:180]
	v_fma_f64 v[185:186], v[2:3], v[10:11], -v[12:13]
	scratch_load_b128 v[10:13], off, off offset:864
	ds_load_b128 v[2:5], v1 offset:1696
	v_add_f64_e32 v[173:174], v[173:174], v[181:182]
	v_add_f64_e32 v[175:176], v[177:178], v[175:176]
	v_fma_f64 v[181:182], v[8:9], v[14:15], v[183:184]
	v_fma_f64 v[183:184], v[6:7], v[14:15], -v[16:17]
	ds_load_b128 v[6:9], v1 offset:1712
	scratch_load_b128 v[14:17], off, off offset:880
	s_wait_loadcnt_dscnt 0x901
	v_mul_f64_e32 v[177:178], v[2:3], v[20:21]
	v_mul_f64_e32 v[20:21], v[4:5], v[20:21]
	v_add_f64_e32 v[173:174], v[173:174], v[185:186]
	v_add_f64_e32 v[175:176], v[175:176], v[179:180]
	s_wait_loadcnt_dscnt 0x800
	v_mul_f64_e32 v[179:180], v[6:7], v[24:25]
	v_mul_f64_e32 v[24:25], v[8:9], v[24:25]
	v_fma_f64 v[177:178], v[4:5], v[18:19], v[177:178]
	v_fma_f64 v[185:186], v[2:3], v[18:19], -v[20:21]
	ds_load_b128 v[2:5], v1 offset:1728
	scratch_load_b128 v[18:21], off, off offset:896
	v_add_f64_e32 v[173:174], v[173:174], v[183:184]
	v_add_f64_e32 v[175:176], v[175:176], v[181:182]
	v_fma_f64 v[179:180], v[8:9], v[22:23], v[179:180]
	v_fma_f64 v[183:184], v[6:7], v[22:23], -v[24:25]
	ds_load_b128 v[6:9], v1 offset:1744
	s_wait_loadcnt_dscnt 0x801
	v_mul_f64_e32 v[181:182], v[2:3], v[28:29]
	v_mul_f64_e32 v[28:29], v[4:5], v[28:29]
	scratch_load_b128 v[22:25], off, off offset:912
	v_add_f64_e32 v[173:174], v[173:174], v[185:186]
	v_add_f64_e32 v[175:176], v[175:176], v[177:178]
	s_wait_loadcnt_dscnt 0x800
	v_mul_f64_e32 v[177:178], v[6:7], v[32:33]
	v_mul_f64_e32 v[32:33], v[8:9], v[32:33]
	v_fma_f64 v[181:182], v[4:5], v[26:27], v[181:182]
	v_fma_f64 v[185:186], v[2:3], v[26:27], -v[28:29]
	ds_load_b128 v[2:5], v1 offset:1760
	scratch_load_b128 v[26:29], off, off offset:928
	v_add_f64_e32 v[173:174], v[173:174], v[183:184]
	v_add_f64_e32 v[175:176], v[175:176], v[179:180]
	v_fma_f64 v[177:178], v[8:9], v[30:31], v[177:178]
	v_fma_f64 v[183:184], v[6:7], v[30:31], -v[32:33]
	ds_load_b128 v[6:9], v1 offset:1776
	s_wait_loadcnt_dscnt 0x801
	v_mul_f64_e32 v[179:180], v[2:3], v[40:41]
	v_mul_f64_e32 v[40:41], v[4:5], v[40:41]
	scratch_load_b128 v[30:33], off, off offset:944
	v_add_f64_e32 v[173:174], v[173:174], v[185:186]
	v_add_f64_e32 v[175:176], v[175:176], v[181:182]
	s_wait_loadcnt_dscnt 0x800
	v_mul_f64_e32 v[181:182], v[6:7], v[171:172]
	v_mul_f64_e32 v[171:172], v[8:9], v[171:172]
	v_fma_f64 v[179:180], v[4:5], v[38:39], v[179:180]
	v_fma_f64 v[185:186], v[2:3], v[38:39], -v[40:41]
	ds_load_b128 v[2:5], v1 offset:1792
	scratch_load_b128 v[38:41], off, off offset:960
	v_add_f64_e32 v[173:174], v[173:174], v[183:184]
	v_add_f64_e32 v[175:176], v[175:176], v[177:178]
	v_fma_f64 v[181:182], v[8:9], v[169:170], v[181:182]
	v_fma_f64 v[183:184], v[6:7], v[169:170], -v[171:172]
	ds_load_b128 v[6:9], v1 offset:1808
	scratch_load_b128 v[169:172], off, off offset:976
	s_wait_loadcnt_dscnt 0x901
	v_mul_f64_e32 v[177:178], v[2:3], v[36:37]
	v_mul_f64_e32 v[36:37], v[4:5], v[36:37]
	v_add_f64_e32 v[173:174], v[173:174], v[185:186]
	v_add_f64_e32 v[175:176], v[175:176], v[179:180]
	s_delay_alu instid0(VALU_DEP_4) | instskip(NEXT) | instid1(VALU_DEP_4)
	v_fma_f64 v[177:178], v[4:5], v[34:35], v[177:178]
	v_fma_f64 v[34:35], v[2:3], v[34:35], -v[36:37]
	ds_load_b128 v[2:5], v1 offset:1824
	v_add_f64_e32 v[36:37], v[173:174], v[183:184]
	v_add_f64_e32 v[173:174], v[175:176], v[181:182]
	s_wait_loadcnt_dscnt 0x700
	v_mul_f64_e32 v[175:176], v[2:3], v[12:13]
	v_mul_f64_e32 v[12:13], v[4:5], v[12:13]
	s_delay_alu instid0(VALU_DEP_4) | instskip(NEXT) | instid1(VALU_DEP_4)
	v_add_f64_e32 v[34:35], v[36:37], v[34:35]
	v_add_f64_e32 v[36:37], v[173:174], v[177:178]
	s_delay_alu instid0(VALU_DEP_4) | instskip(NEXT) | instid1(VALU_DEP_4)
	v_fma_f64 v[173:174], v[4:5], v[10:11], v[175:176]
	v_fma_f64 v[175:176], v[2:3], v[10:11], -v[12:13]
	scratch_load_b128 v[10:13], off, off offset:656
	v_mul_f64_e32 v[179:180], v[6:7], v[167:168]
	v_mul_f64_e32 v[167:168], v[8:9], v[167:168]
	ds_load_b128 v[2:5], v1 offset:1856
	v_fma_f64 v[179:180], v[8:9], v[165:166], v[179:180]
	v_fma_f64 v[165:166], v[6:7], v[165:166], -v[167:168]
	ds_load_b128 v[6:9], v1 offset:1840
	s_wait_loadcnt_dscnt 0x700
	v_mul_f64_e32 v[167:168], v[6:7], v[16:17]
	v_mul_f64_e32 v[16:17], v[8:9], v[16:17]
	v_add_f64_e32 v[36:37], v[36:37], v[179:180]
	v_add_f64_e32 v[34:35], v[34:35], v[165:166]
	s_wait_loadcnt 0x6
	v_mul_f64_e32 v[165:166], v[2:3], v[20:21]
	v_mul_f64_e32 v[20:21], v[4:5], v[20:21]
	v_fma_f64 v[167:168], v[8:9], v[14:15], v[167:168]
	v_fma_f64 v[14:15], v[6:7], v[14:15], -v[16:17]
	ds_load_b128 v[6:9], v1 offset:1872
	v_add_f64_e32 v[16:17], v[34:35], v[175:176]
	v_add_f64_e32 v[34:35], v[36:37], v[173:174]
	v_fma_f64 v[165:166], v[4:5], v[18:19], v[165:166]
	v_fma_f64 v[18:19], v[2:3], v[18:19], -v[20:21]
	ds_load_b128 v[2:5], v1 offset:1888
	s_wait_loadcnt_dscnt 0x501
	v_mul_f64_e32 v[36:37], v[6:7], v[24:25]
	v_mul_f64_e32 v[24:25], v[8:9], v[24:25]
	s_wait_loadcnt_dscnt 0x400
	v_mul_f64_e32 v[20:21], v[2:3], v[28:29]
	v_mul_f64_e32 v[28:29], v[4:5], v[28:29]
	v_add_f64_e32 v[14:15], v[16:17], v[14:15]
	v_add_f64_e32 v[16:17], v[34:35], v[167:168]
	v_fma_f64 v[34:35], v[8:9], v[22:23], v[36:37]
	v_fma_f64 v[22:23], v[6:7], v[22:23], -v[24:25]
	ds_load_b128 v[6:9], v1 offset:1904
	v_fma_f64 v[20:21], v[4:5], v[26:27], v[20:21]
	v_fma_f64 v[26:27], v[2:3], v[26:27], -v[28:29]
	ds_load_b128 v[2:5], v1 offset:1920
	s_wait_loadcnt_dscnt 0x301
	v_mul_f64_e32 v[24:25], v[8:9], v[32:33]
	v_add_f64_e32 v[14:15], v[14:15], v[18:19]
	v_add_f64_e32 v[16:17], v[16:17], v[165:166]
	v_mul_f64_e32 v[18:19], v[6:7], v[32:33]
	s_wait_loadcnt_dscnt 0x200
	v_mul_f64_e32 v[28:29], v[4:5], v[40:41]
	v_fma_f64 v[24:25], v[6:7], v[30:31], -v[24:25]
	v_add_f64_e32 v[14:15], v[14:15], v[22:23]
	v_add_f64_e32 v[16:17], v[16:17], v[34:35]
	v_mul_f64_e32 v[22:23], v[2:3], v[40:41]
	v_fma_f64 v[18:19], v[8:9], v[30:31], v[18:19]
	ds_load_b128 v[6:9], v1 offset:1936
	v_fma_f64 v[1:2], v[2:3], v[38:39], -v[28:29]
	v_add_f64_e32 v[14:15], v[14:15], v[26:27]
	v_add_f64_e32 v[16:17], v[16:17], v[20:21]
	s_wait_loadcnt_dscnt 0x100
	v_mul_f64_e32 v[20:21], v[6:7], v[171:172]
	v_mul_f64_e32 v[26:27], v[8:9], v[171:172]
	v_fma_f64 v[4:5], v[4:5], v[38:39], v[22:23]
	v_add_f64_e32 v[14:15], v[14:15], v[24:25]
	v_add_f64_e32 v[16:17], v[16:17], v[18:19]
	v_fma_f64 v[8:9], v[8:9], v[169:170], v[20:21]
	v_fma_f64 v[6:7], v[6:7], v[169:170], -v[26:27]
	s_delay_alu instid0(VALU_DEP_4) | instskip(NEXT) | instid1(VALU_DEP_4)
	v_add_f64_e32 v[1:2], v[14:15], v[1:2]
	v_add_f64_e32 v[3:4], v[16:17], v[4:5]
	s_delay_alu instid0(VALU_DEP_2) | instskip(NEXT) | instid1(VALU_DEP_2)
	v_add_f64_e32 v[1:2], v[1:2], v[6:7]
	v_add_f64_e32 v[3:4], v[3:4], v[8:9]
	s_wait_loadcnt 0x0
	s_delay_alu instid0(VALU_DEP_2) | instskip(NEXT) | instid1(VALU_DEP_2)
	v_add_f64_e64 v[1:2], v[10:11], -v[1:2]
	v_add_f64_e64 v[3:4], v[12:13], -v[3:4]
	scratch_store_b128 off, v[1:4], off offset:656
	v_cmpx_lt_u32_e32 39, v0
	s_cbranch_execz .LBB124_313
; %bb.312:
	scratch_load_b128 v[1:4], off, s37
	v_mov_b32_e32 v5, 0
	s_delay_alu instid0(VALU_DEP_1)
	v_dual_mov_b32 v6, v5 :: v_dual_mov_b32 v7, v5
	v_mov_b32_e32 v8, v5
	scratch_store_b128 off, v[5:8], off offset:640
	s_wait_loadcnt 0x0
	ds_store_b128 v164, v[1:4]
.LBB124_313:
	s_wait_alu 0xfffe
	s_or_b32 exec_lo, exec_lo, s0
	s_wait_storecnt_dscnt 0x0
	s_barrier_signal -1
	s_barrier_wait -1
	global_inv scope:SCOPE_SE
	s_clause 0x7
	scratch_load_b128 v[2:5], off, off offset:656
	scratch_load_b128 v[6:9], off, off offset:672
	;; [unrolled: 1-line block ×8, first 2 shown]
	v_mov_b32_e32 v1, 0
	s_clause 0x1
	scratch_load_b128 v[38:41], off, off offset:784
	scratch_load_b128 v[169:172], off, off offset:800
	s_mov_b32 s0, exec_lo
	ds_load_b128 v[34:37], v1 offset:1616
	ds_load_b128 v[165:168], v1 offset:1632
	s_wait_loadcnt_dscnt 0x901
	v_mul_f64_e32 v[173:174], v[36:37], v[4:5]
	v_mul_f64_e32 v[4:5], v[34:35], v[4:5]
	s_wait_loadcnt_dscnt 0x800
	v_mul_f64_e32 v[175:176], v[165:166], v[8:9]
	v_mul_f64_e32 v[8:9], v[167:168], v[8:9]
	s_delay_alu instid0(VALU_DEP_4) | instskip(NEXT) | instid1(VALU_DEP_4)
	v_fma_f64 v[173:174], v[34:35], v[2:3], -v[173:174]
	v_fma_f64 v[177:178], v[36:37], v[2:3], v[4:5]
	ds_load_b128 v[2:5], v1 offset:1648
	scratch_load_b128 v[34:37], off, off offset:816
	v_fma_f64 v[175:176], v[167:168], v[6:7], v[175:176]
	v_fma_f64 v[181:182], v[165:166], v[6:7], -v[8:9]
	ds_load_b128 v[6:9], v1 offset:1664
	scratch_load_b128 v[165:168], off, off offset:832
	s_wait_loadcnt_dscnt 0x901
	v_mul_f64_e32 v[179:180], v[2:3], v[12:13]
	v_mul_f64_e32 v[12:13], v[4:5], v[12:13]
	s_wait_loadcnt_dscnt 0x800
	v_mul_f64_e32 v[183:184], v[6:7], v[16:17]
	v_mul_f64_e32 v[16:17], v[8:9], v[16:17]
	v_add_f64_e32 v[173:174], 0, v[173:174]
	v_add_f64_e32 v[177:178], 0, v[177:178]
	v_fma_f64 v[179:180], v[4:5], v[10:11], v[179:180]
	v_fma_f64 v[185:186], v[2:3], v[10:11], -v[12:13]
	ds_load_b128 v[2:5], v1 offset:1680
	scratch_load_b128 v[10:13], off, off offset:848
	v_add_f64_e32 v[173:174], v[173:174], v[181:182]
	v_add_f64_e32 v[175:176], v[177:178], v[175:176]
	v_fma_f64 v[181:182], v[8:9], v[14:15], v[183:184]
	v_fma_f64 v[183:184], v[6:7], v[14:15], -v[16:17]
	ds_load_b128 v[6:9], v1 offset:1696
	scratch_load_b128 v[14:17], off, off offset:864
	s_wait_loadcnt_dscnt 0x901
	v_mul_f64_e32 v[177:178], v[2:3], v[20:21]
	v_mul_f64_e32 v[20:21], v[4:5], v[20:21]
	v_add_f64_e32 v[173:174], v[173:174], v[185:186]
	v_add_f64_e32 v[175:176], v[175:176], v[179:180]
	s_wait_loadcnt_dscnt 0x800
	v_mul_f64_e32 v[179:180], v[6:7], v[24:25]
	v_mul_f64_e32 v[24:25], v[8:9], v[24:25]
	v_fma_f64 v[177:178], v[4:5], v[18:19], v[177:178]
	v_fma_f64 v[185:186], v[2:3], v[18:19], -v[20:21]
	ds_load_b128 v[2:5], v1 offset:1712
	scratch_load_b128 v[18:21], off, off offset:880
	v_add_f64_e32 v[173:174], v[173:174], v[183:184]
	v_add_f64_e32 v[175:176], v[175:176], v[181:182]
	v_fma_f64 v[179:180], v[8:9], v[22:23], v[179:180]
	v_fma_f64 v[183:184], v[6:7], v[22:23], -v[24:25]
	ds_load_b128 v[6:9], v1 offset:1728
	s_wait_loadcnt_dscnt 0x801
	v_mul_f64_e32 v[181:182], v[2:3], v[28:29]
	v_mul_f64_e32 v[28:29], v[4:5], v[28:29]
	scratch_load_b128 v[22:25], off, off offset:896
	v_add_f64_e32 v[173:174], v[173:174], v[185:186]
	v_add_f64_e32 v[175:176], v[175:176], v[177:178]
	s_wait_loadcnt_dscnt 0x800
	v_mul_f64_e32 v[177:178], v[6:7], v[32:33]
	v_mul_f64_e32 v[32:33], v[8:9], v[32:33]
	v_fma_f64 v[181:182], v[4:5], v[26:27], v[181:182]
	v_fma_f64 v[185:186], v[2:3], v[26:27], -v[28:29]
	ds_load_b128 v[2:5], v1 offset:1744
	scratch_load_b128 v[26:29], off, off offset:912
	v_add_f64_e32 v[173:174], v[173:174], v[183:184]
	v_add_f64_e32 v[175:176], v[175:176], v[179:180]
	v_fma_f64 v[177:178], v[8:9], v[30:31], v[177:178]
	v_fma_f64 v[183:184], v[6:7], v[30:31], -v[32:33]
	ds_load_b128 v[6:9], v1 offset:1760
	s_wait_loadcnt_dscnt 0x801
	v_mul_f64_e32 v[179:180], v[2:3], v[40:41]
	v_mul_f64_e32 v[40:41], v[4:5], v[40:41]
	scratch_load_b128 v[30:33], off, off offset:928
	v_add_f64_e32 v[173:174], v[173:174], v[185:186]
	v_add_f64_e32 v[175:176], v[175:176], v[181:182]
	s_wait_loadcnt_dscnt 0x800
	v_mul_f64_e32 v[181:182], v[6:7], v[171:172]
	v_mul_f64_e32 v[171:172], v[8:9], v[171:172]
	v_fma_f64 v[179:180], v[4:5], v[38:39], v[179:180]
	v_fma_f64 v[185:186], v[2:3], v[38:39], -v[40:41]
	ds_load_b128 v[2:5], v1 offset:1776
	scratch_load_b128 v[38:41], off, off offset:944
	v_add_f64_e32 v[173:174], v[173:174], v[183:184]
	v_add_f64_e32 v[175:176], v[175:176], v[177:178]
	v_fma_f64 v[181:182], v[8:9], v[169:170], v[181:182]
	v_fma_f64 v[183:184], v[6:7], v[169:170], -v[171:172]
	ds_load_b128 v[6:9], v1 offset:1792
	scratch_load_b128 v[169:172], off, off offset:960
	s_wait_loadcnt_dscnt 0x901
	v_mul_f64_e32 v[177:178], v[2:3], v[36:37]
	v_mul_f64_e32 v[36:37], v[4:5], v[36:37]
	v_add_f64_e32 v[173:174], v[173:174], v[185:186]
	v_add_f64_e32 v[175:176], v[175:176], v[179:180]
	s_wait_loadcnt_dscnt 0x800
	v_mul_f64_e32 v[179:180], v[6:7], v[167:168]
	v_mul_f64_e32 v[167:168], v[8:9], v[167:168]
	v_fma_f64 v[177:178], v[4:5], v[34:35], v[177:178]
	v_fma_f64 v[185:186], v[2:3], v[34:35], -v[36:37]
	ds_load_b128 v[2:5], v1 offset:1808
	scratch_load_b128 v[34:37], off, off offset:976
	v_add_f64_e32 v[173:174], v[173:174], v[183:184]
	v_add_f64_e32 v[175:176], v[175:176], v[181:182]
	v_fma_f64 v[179:180], v[8:9], v[165:166], v[179:180]
	v_fma_f64 v[165:166], v[6:7], v[165:166], -v[167:168]
	ds_load_b128 v[6:9], v1 offset:1824
	s_wait_loadcnt_dscnt 0x801
	v_mul_f64_e32 v[181:182], v[2:3], v[12:13]
	v_mul_f64_e32 v[12:13], v[4:5], v[12:13]
	v_add_f64_e32 v[167:168], v[173:174], v[185:186]
	v_add_f64_e32 v[173:174], v[175:176], v[177:178]
	s_wait_loadcnt_dscnt 0x700
	v_mul_f64_e32 v[175:176], v[6:7], v[16:17]
	v_mul_f64_e32 v[16:17], v[8:9], v[16:17]
	v_fma_f64 v[177:178], v[4:5], v[10:11], v[181:182]
	v_fma_f64 v[10:11], v[2:3], v[10:11], -v[12:13]
	ds_load_b128 v[2:5], v1 offset:1840
	v_add_f64_e32 v[12:13], v[167:168], v[165:166]
	v_add_f64_e32 v[165:166], v[173:174], v[179:180]
	v_fma_f64 v[173:174], v[8:9], v[14:15], v[175:176]
	v_fma_f64 v[14:15], v[6:7], v[14:15], -v[16:17]
	ds_load_b128 v[6:9], v1 offset:1856
	s_wait_loadcnt_dscnt 0x500
	v_mul_f64_e32 v[175:176], v[6:7], v[24:25]
	v_mul_f64_e32 v[24:25], v[8:9], v[24:25]
	v_add_f64_e32 v[16:17], v[12:13], v[10:11]
	v_add_f64_e32 v[165:166], v[165:166], v[177:178]
	scratch_load_b128 v[10:13], off, off offset:640
	v_mul_f64_e32 v[167:168], v[2:3], v[20:21]
	v_mul_f64_e32 v[20:21], v[4:5], v[20:21]
	v_add_f64_e32 v[14:15], v[16:17], v[14:15]
	v_add_f64_e32 v[16:17], v[165:166], v[173:174]
	v_fma_f64 v[165:166], v[8:9], v[22:23], v[175:176]
	v_fma_f64 v[167:168], v[4:5], v[18:19], v[167:168]
	v_fma_f64 v[18:19], v[2:3], v[18:19], -v[20:21]
	ds_load_b128 v[2:5], v1 offset:1872
	v_fma_f64 v[22:23], v[6:7], v[22:23], -v[24:25]
	ds_load_b128 v[6:9], v1 offset:1888
	s_wait_loadcnt_dscnt 0x501
	v_mul_f64_e32 v[20:21], v[2:3], v[28:29]
	v_mul_f64_e32 v[28:29], v[4:5], v[28:29]
	s_wait_loadcnt_dscnt 0x400
	v_mul_f64_e32 v[24:25], v[8:9], v[32:33]
	v_add_f64_e32 v[16:17], v[16:17], v[167:168]
	v_add_f64_e32 v[14:15], v[14:15], v[18:19]
	v_mul_f64_e32 v[18:19], v[6:7], v[32:33]
	v_fma_f64 v[20:21], v[4:5], v[26:27], v[20:21]
	v_fma_f64 v[26:27], v[2:3], v[26:27], -v[28:29]
	ds_load_b128 v[2:5], v1 offset:1904
	v_fma_f64 v[24:25], v[6:7], v[30:31], -v[24:25]
	v_add_f64_e32 v[16:17], v[16:17], v[165:166]
	v_add_f64_e32 v[14:15], v[14:15], v[22:23]
	v_fma_f64 v[18:19], v[8:9], v[30:31], v[18:19]
	ds_load_b128 v[6:9], v1 offset:1920
	s_wait_loadcnt_dscnt 0x301
	v_mul_f64_e32 v[22:23], v[2:3], v[40:41]
	v_mul_f64_e32 v[28:29], v[4:5], v[40:41]
	v_add_f64_e32 v[16:17], v[16:17], v[20:21]
	v_add_f64_e32 v[14:15], v[14:15], v[26:27]
	s_wait_loadcnt_dscnt 0x200
	v_mul_f64_e32 v[20:21], v[6:7], v[171:172]
	v_mul_f64_e32 v[26:27], v[8:9], v[171:172]
	v_fma_f64 v[22:23], v[4:5], v[38:39], v[22:23]
	v_fma_f64 v[28:29], v[2:3], v[38:39], -v[28:29]
	ds_load_b128 v[2:5], v1 offset:1936
	v_add_f64_e32 v[16:17], v[16:17], v[18:19]
	v_add_f64_e32 v[14:15], v[14:15], v[24:25]
	s_wait_loadcnt_dscnt 0x100
	v_mul_f64_e32 v[18:19], v[2:3], v[36:37]
	v_mul_f64_e32 v[24:25], v[4:5], v[36:37]
	v_fma_f64 v[8:9], v[8:9], v[169:170], v[20:21]
	v_fma_f64 v[6:7], v[6:7], v[169:170], -v[26:27]
	v_add_f64_e32 v[16:17], v[16:17], v[22:23]
	v_add_f64_e32 v[14:15], v[14:15], v[28:29]
	v_fma_f64 v[4:5], v[4:5], v[34:35], v[18:19]
	v_fma_f64 v[2:3], v[2:3], v[34:35], -v[24:25]
	s_delay_alu instid0(VALU_DEP_4) | instskip(NEXT) | instid1(VALU_DEP_4)
	v_add_f64_e32 v[8:9], v[16:17], v[8:9]
	v_add_f64_e32 v[6:7], v[14:15], v[6:7]
	s_delay_alu instid0(VALU_DEP_2) | instskip(NEXT) | instid1(VALU_DEP_2)
	v_add_f64_e32 v[4:5], v[8:9], v[4:5]
	v_add_f64_e32 v[2:3], v[6:7], v[2:3]
	s_wait_loadcnt 0x0
	s_delay_alu instid0(VALU_DEP_2) | instskip(NEXT) | instid1(VALU_DEP_2)
	v_add_f64_e64 v[4:5], v[12:13], -v[4:5]
	v_add_f64_e64 v[2:3], v[10:11], -v[2:3]
	scratch_store_b128 off, v[2:5], off offset:640
	v_cmpx_lt_u32_e32 38, v0
	s_cbranch_execz .LBB124_315
; %bb.314:
	scratch_load_b128 v[5:8], off, s38
	v_dual_mov_b32 v2, v1 :: v_dual_mov_b32 v3, v1
	v_mov_b32_e32 v4, v1
	scratch_store_b128 off, v[1:4], off offset:624
	s_wait_loadcnt 0x0
	ds_store_b128 v164, v[5:8]
.LBB124_315:
	s_wait_alu 0xfffe
	s_or_b32 exec_lo, exec_lo, s0
	s_wait_storecnt_dscnt 0x0
	s_barrier_signal -1
	s_barrier_wait -1
	global_inv scope:SCOPE_SE
	s_clause 0x7
	scratch_load_b128 v[2:5], off, off offset:640
	scratch_load_b128 v[6:9], off, off offset:656
	;; [unrolled: 1-line block ×8, first 2 shown]
	ds_load_b128 v[34:37], v1 offset:1600
	ds_load_b128 v[165:168], v1 offset:1616
	s_clause 0x1
	scratch_load_b128 v[38:41], off, off offset:768
	scratch_load_b128 v[169:172], off, off offset:784
	s_mov_b32 s0, exec_lo
	s_wait_loadcnt_dscnt 0x901
	v_mul_f64_e32 v[173:174], v[36:37], v[4:5]
	v_mul_f64_e32 v[4:5], v[34:35], v[4:5]
	s_wait_loadcnt_dscnt 0x800
	v_mul_f64_e32 v[175:176], v[165:166], v[8:9]
	v_mul_f64_e32 v[8:9], v[167:168], v[8:9]
	s_delay_alu instid0(VALU_DEP_4) | instskip(NEXT) | instid1(VALU_DEP_4)
	v_fma_f64 v[173:174], v[34:35], v[2:3], -v[173:174]
	v_fma_f64 v[177:178], v[36:37], v[2:3], v[4:5]
	ds_load_b128 v[2:5], v1 offset:1632
	scratch_load_b128 v[34:37], off, off offset:800
	v_fma_f64 v[175:176], v[167:168], v[6:7], v[175:176]
	v_fma_f64 v[181:182], v[165:166], v[6:7], -v[8:9]
	ds_load_b128 v[6:9], v1 offset:1648
	scratch_load_b128 v[165:168], off, off offset:816
	s_wait_loadcnt_dscnt 0x901
	v_mul_f64_e32 v[179:180], v[2:3], v[12:13]
	v_mul_f64_e32 v[12:13], v[4:5], v[12:13]
	s_wait_loadcnt_dscnt 0x800
	v_mul_f64_e32 v[183:184], v[6:7], v[16:17]
	v_mul_f64_e32 v[16:17], v[8:9], v[16:17]
	v_add_f64_e32 v[173:174], 0, v[173:174]
	v_add_f64_e32 v[177:178], 0, v[177:178]
	v_fma_f64 v[179:180], v[4:5], v[10:11], v[179:180]
	v_fma_f64 v[185:186], v[2:3], v[10:11], -v[12:13]
	ds_load_b128 v[2:5], v1 offset:1664
	scratch_load_b128 v[10:13], off, off offset:832
	v_add_f64_e32 v[173:174], v[173:174], v[181:182]
	v_add_f64_e32 v[175:176], v[177:178], v[175:176]
	v_fma_f64 v[181:182], v[8:9], v[14:15], v[183:184]
	v_fma_f64 v[183:184], v[6:7], v[14:15], -v[16:17]
	ds_load_b128 v[6:9], v1 offset:1680
	scratch_load_b128 v[14:17], off, off offset:848
	s_wait_loadcnt_dscnt 0x901
	v_mul_f64_e32 v[177:178], v[2:3], v[20:21]
	v_mul_f64_e32 v[20:21], v[4:5], v[20:21]
	v_add_f64_e32 v[173:174], v[173:174], v[185:186]
	v_add_f64_e32 v[175:176], v[175:176], v[179:180]
	s_wait_loadcnt_dscnt 0x800
	v_mul_f64_e32 v[179:180], v[6:7], v[24:25]
	v_mul_f64_e32 v[24:25], v[8:9], v[24:25]
	v_fma_f64 v[177:178], v[4:5], v[18:19], v[177:178]
	v_fma_f64 v[185:186], v[2:3], v[18:19], -v[20:21]
	ds_load_b128 v[2:5], v1 offset:1696
	scratch_load_b128 v[18:21], off, off offset:864
	v_add_f64_e32 v[173:174], v[173:174], v[183:184]
	v_add_f64_e32 v[175:176], v[175:176], v[181:182]
	v_fma_f64 v[179:180], v[8:9], v[22:23], v[179:180]
	v_fma_f64 v[183:184], v[6:7], v[22:23], -v[24:25]
	ds_load_b128 v[6:9], v1 offset:1712
	s_wait_loadcnt_dscnt 0x801
	v_mul_f64_e32 v[181:182], v[2:3], v[28:29]
	v_mul_f64_e32 v[28:29], v[4:5], v[28:29]
	scratch_load_b128 v[22:25], off, off offset:880
	v_add_f64_e32 v[173:174], v[173:174], v[185:186]
	v_add_f64_e32 v[175:176], v[175:176], v[177:178]
	s_wait_loadcnt_dscnt 0x800
	v_mul_f64_e32 v[177:178], v[6:7], v[32:33]
	v_mul_f64_e32 v[32:33], v[8:9], v[32:33]
	v_fma_f64 v[181:182], v[4:5], v[26:27], v[181:182]
	v_fma_f64 v[185:186], v[2:3], v[26:27], -v[28:29]
	ds_load_b128 v[2:5], v1 offset:1728
	scratch_load_b128 v[26:29], off, off offset:896
	v_add_f64_e32 v[173:174], v[173:174], v[183:184]
	v_add_f64_e32 v[175:176], v[175:176], v[179:180]
	v_fma_f64 v[177:178], v[8:9], v[30:31], v[177:178]
	v_fma_f64 v[183:184], v[6:7], v[30:31], -v[32:33]
	ds_load_b128 v[6:9], v1 offset:1744
	s_wait_loadcnt_dscnt 0x801
	v_mul_f64_e32 v[179:180], v[2:3], v[40:41]
	v_mul_f64_e32 v[40:41], v[4:5], v[40:41]
	scratch_load_b128 v[30:33], off, off offset:912
	v_add_f64_e32 v[173:174], v[173:174], v[185:186]
	v_add_f64_e32 v[175:176], v[175:176], v[181:182]
	s_wait_loadcnt_dscnt 0x800
	v_mul_f64_e32 v[181:182], v[6:7], v[171:172]
	v_mul_f64_e32 v[171:172], v[8:9], v[171:172]
	v_fma_f64 v[179:180], v[4:5], v[38:39], v[179:180]
	v_fma_f64 v[185:186], v[2:3], v[38:39], -v[40:41]
	ds_load_b128 v[2:5], v1 offset:1760
	scratch_load_b128 v[38:41], off, off offset:928
	v_add_f64_e32 v[173:174], v[173:174], v[183:184]
	v_add_f64_e32 v[175:176], v[175:176], v[177:178]
	v_fma_f64 v[181:182], v[8:9], v[169:170], v[181:182]
	v_fma_f64 v[183:184], v[6:7], v[169:170], -v[171:172]
	ds_load_b128 v[6:9], v1 offset:1776
	scratch_load_b128 v[169:172], off, off offset:944
	s_wait_loadcnt_dscnt 0x901
	v_mul_f64_e32 v[177:178], v[2:3], v[36:37]
	v_mul_f64_e32 v[36:37], v[4:5], v[36:37]
	v_add_f64_e32 v[173:174], v[173:174], v[185:186]
	v_add_f64_e32 v[175:176], v[175:176], v[179:180]
	s_wait_loadcnt_dscnt 0x800
	v_mul_f64_e32 v[179:180], v[6:7], v[167:168]
	v_mul_f64_e32 v[167:168], v[8:9], v[167:168]
	v_fma_f64 v[177:178], v[4:5], v[34:35], v[177:178]
	v_fma_f64 v[185:186], v[2:3], v[34:35], -v[36:37]
	ds_load_b128 v[2:5], v1 offset:1792
	scratch_load_b128 v[34:37], off, off offset:960
	v_add_f64_e32 v[173:174], v[173:174], v[183:184]
	v_add_f64_e32 v[175:176], v[175:176], v[181:182]
	v_fma_f64 v[179:180], v[8:9], v[165:166], v[179:180]
	v_fma_f64 v[183:184], v[6:7], v[165:166], -v[167:168]
	ds_load_b128 v[6:9], v1 offset:1808
	s_wait_loadcnt_dscnt 0x801
	v_mul_f64_e32 v[181:182], v[2:3], v[12:13]
	v_mul_f64_e32 v[12:13], v[4:5], v[12:13]
	scratch_load_b128 v[165:168], off, off offset:976
	v_add_f64_e32 v[173:174], v[173:174], v[185:186]
	v_add_f64_e32 v[175:176], v[175:176], v[177:178]
	s_wait_loadcnt_dscnt 0x800
	v_mul_f64_e32 v[177:178], v[6:7], v[16:17]
	v_mul_f64_e32 v[16:17], v[8:9], v[16:17]
	v_fma_f64 v[181:182], v[4:5], v[10:11], v[181:182]
	v_fma_f64 v[10:11], v[2:3], v[10:11], -v[12:13]
	ds_load_b128 v[2:5], v1 offset:1824
	v_add_f64_e32 v[12:13], v[173:174], v[183:184]
	v_add_f64_e32 v[173:174], v[175:176], v[179:180]
	v_fma_f64 v[177:178], v[8:9], v[14:15], v[177:178]
	v_fma_f64 v[14:15], v[6:7], v[14:15], -v[16:17]
	ds_load_b128 v[6:9], v1 offset:1840
	s_wait_loadcnt_dscnt 0x701
	v_mul_f64_e32 v[175:176], v[2:3], v[20:21]
	v_mul_f64_e32 v[20:21], v[4:5], v[20:21]
	v_add_f64_e32 v[10:11], v[12:13], v[10:11]
	v_add_f64_e32 v[12:13], v[173:174], v[181:182]
	s_delay_alu instid0(VALU_DEP_4) | instskip(NEXT) | instid1(VALU_DEP_4)
	v_fma_f64 v[173:174], v[4:5], v[18:19], v[175:176]
	v_fma_f64 v[18:19], v[2:3], v[18:19], -v[20:21]
	ds_load_b128 v[2:5], v1 offset:1856
	v_add_f64_e32 v[14:15], v[10:11], v[14:15]
	v_add_f64_e32 v[20:21], v[12:13], v[177:178]
	scratch_load_b128 v[10:13], off, off offset:624
	s_wait_loadcnt_dscnt 0x701
	v_mul_f64_e32 v[16:17], v[6:7], v[24:25]
	v_mul_f64_e32 v[24:25], v[8:9], v[24:25]
	v_add_f64_e32 v[14:15], v[14:15], v[18:19]
	v_add_f64_e32 v[18:19], v[20:21], v[173:174]
	s_delay_alu instid0(VALU_DEP_4) | instskip(NEXT) | instid1(VALU_DEP_4)
	v_fma_f64 v[16:17], v[8:9], v[22:23], v[16:17]
	v_fma_f64 v[22:23], v[6:7], v[22:23], -v[24:25]
	ds_load_b128 v[6:9], v1 offset:1872
	s_wait_loadcnt_dscnt 0x601
	v_mul_f64_e32 v[175:176], v[2:3], v[28:29]
	v_mul_f64_e32 v[28:29], v[4:5], v[28:29]
	s_wait_loadcnt_dscnt 0x500
	v_mul_f64_e32 v[20:21], v[6:7], v[32:33]
	v_mul_f64_e32 v[24:25], v[8:9], v[32:33]
	v_add_f64_e32 v[16:17], v[18:19], v[16:17]
	v_add_f64_e32 v[14:15], v[14:15], v[22:23]
	v_fma_f64 v[32:33], v[4:5], v[26:27], v[175:176]
	v_fma_f64 v[26:27], v[2:3], v[26:27], -v[28:29]
	ds_load_b128 v[2:5], v1 offset:1888
	v_fma_f64 v[20:21], v[8:9], v[30:31], v[20:21]
	v_fma_f64 v[24:25], v[6:7], v[30:31], -v[24:25]
	ds_load_b128 v[6:9], v1 offset:1904
	s_wait_loadcnt_dscnt 0x401
	v_mul_f64_e32 v[18:19], v[2:3], v[40:41]
	v_mul_f64_e32 v[22:23], v[4:5], v[40:41]
	v_add_f64_e32 v[16:17], v[16:17], v[32:33]
	v_add_f64_e32 v[14:15], v[14:15], v[26:27]
	s_wait_loadcnt_dscnt 0x300
	v_mul_f64_e32 v[26:27], v[6:7], v[171:172]
	v_mul_f64_e32 v[28:29], v[8:9], v[171:172]
	v_fma_f64 v[18:19], v[4:5], v[38:39], v[18:19]
	v_fma_f64 v[22:23], v[2:3], v[38:39], -v[22:23]
	ds_load_b128 v[2:5], v1 offset:1920
	v_add_f64_e32 v[16:17], v[16:17], v[20:21]
	v_add_f64_e32 v[14:15], v[14:15], v[24:25]
	v_fma_f64 v[26:27], v[8:9], v[169:170], v[26:27]
	v_fma_f64 v[28:29], v[6:7], v[169:170], -v[28:29]
	ds_load_b128 v[6:9], v1 offset:1936
	s_wait_loadcnt_dscnt 0x201
	v_mul_f64_e32 v[20:21], v[2:3], v[36:37]
	v_mul_f64_e32 v[24:25], v[4:5], v[36:37]
	v_add_f64_e32 v[16:17], v[16:17], v[18:19]
	v_add_f64_e32 v[14:15], v[14:15], v[22:23]
	s_wait_loadcnt_dscnt 0x100
	v_mul_f64_e32 v[18:19], v[6:7], v[167:168]
	v_mul_f64_e32 v[22:23], v[8:9], v[167:168]
	v_fma_f64 v[4:5], v[4:5], v[34:35], v[20:21]
	v_fma_f64 v[1:2], v[2:3], v[34:35], -v[24:25]
	v_add_f64_e32 v[16:17], v[16:17], v[26:27]
	v_add_f64_e32 v[14:15], v[14:15], v[28:29]
	v_fma_f64 v[8:9], v[8:9], v[165:166], v[18:19]
	v_fma_f64 v[6:7], v[6:7], v[165:166], -v[22:23]
	s_delay_alu instid0(VALU_DEP_4) | instskip(NEXT) | instid1(VALU_DEP_4)
	v_add_f64_e32 v[3:4], v[16:17], v[4:5]
	v_add_f64_e32 v[1:2], v[14:15], v[1:2]
	s_delay_alu instid0(VALU_DEP_2) | instskip(NEXT) | instid1(VALU_DEP_2)
	v_add_f64_e32 v[3:4], v[3:4], v[8:9]
	v_add_f64_e32 v[1:2], v[1:2], v[6:7]
	s_wait_loadcnt 0x0
	s_delay_alu instid0(VALU_DEP_2) | instskip(NEXT) | instid1(VALU_DEP_2)
	v_add_f64_e64 v[3:4], v[12:13], -v[3:4]
	v_add_f64_e64 v[1:2], v[10:11], -v[1:2]
	scratch_store_b128 off, v[1:4], off offset:624
	v_cmpx_lt_u32_e32 37, v0
	s_cbranch_execz .LBB124_317
; %bb.316:
	scratch_load_b128 v[1:4], off, s39
	v_mov_b32_e32 v5, 0
	s_delay_alu instid0(VALU_DEP_1)
	v_dual_mov_b32 v6, v5 :: v_dual_mov_b32 v7, v5
	v_mov_b32_e32 v8, v5
	scratch_store_b128 off, v[5:8], off offset:608
	s_wait_loadcnt 0x0
	ds_store_b128 v164, v[1:4]
.LBB124_317:
	s_wait_alu 0xfffe
	s_or_b32 exec_lo, exec_lo, s0
	s_wait_storecnt_dscnt 0x0
	s_barrier_signal -1
	s_barrier_wait -1
	global_inv scope:SCOPE_SE
	s_clause 0x7
	scratch_load_b128 v[2:5], off, off offset:624
	scratch_load_b128 v[6:9], off, off offset:640
	;; [unrolled: 1-line block ×8, first 2 shown]
	v_mov_b32_e32 v1, 0
	s_clause 0x1
	scratch_load_b128 v[38:41], off, off offset:752
	scratch_load_b128 v[169:172], off, off offset:768
	s_mov_b32 s0, exec_lo
	ds_load_b128 v[34:37], v1 offset:1584
	ds_load_b128 v[165:168], v1 offset:1600
	s_wait_loadcnt_dscnt 0x901
	v_mul_f64_e32 v[173:174], v[36:37], v[4:5]
	v_mul_f64_e32 v[4:5], v[34:35], v[4:5]
	s_wait_loadcnt_dscnt 0x800
	v_mul_f64_e32 v[175:176], v[165:166], v[8:9]
	v_mul_f64_e32 v[8:9], v[167:168], v[8:9]
	s_delay_alu instid0(VALU_DEP_4) | instskip(NEXT) | instid1(VALU_DEP_4)
	v_fma_f64 v[173:174], v[34:35], v[2:3], -v[173:174]
	v_fma_f64 v[177:178], v[36:37], v[2:3], v[4:5]
	ds_load_b128 v[2:5], v1 offset:1616
	scratch_load_b128 v[34:37], off, off offset:784
	v_fma_f64 v[175:176], v[167:168], v[6:7], v[175:176]
	v_fma_f64 v[181:182], v[165:166], v[6:7], -v[8:9]
	ds_load_b128 v[6:9], v1 offset:1632
	scratch_load_b128 v[165:168], off, off offset:800
	s_wait_loadcnt_dscnt 0x901
	v_mul_f64_e32 v[179:180], v[2:3], v[12:13]
	v_mul_f64_e32 v[12:13], v[4:5], v[12:13]
	s_wait_loadcnt_dscnt 0x800
	v_mul_f64_e32 v[183:184], v[6:7], v[16:17]
	v_mul_f64_e32 v[16:17], v[8:9], v[16:17]
	v_add_f64_e32 v[173:174], 0, v[173:174]
	v_add_f64_e32 v[177:178], 0, v[177:178]
	v_fma_f64 v[179:180], v[4:5], v[10:11], v[179:180]
	v_fma_f64 v[185:186], v[2:3], v[10:11], -v[12:13]
	ds_load_b128 v[2:5], v1 offset:1648
	scratch_load_b128 v[10:13], off, off offset:816
	v_add_f64_e32 v[173:174], v[173:174], v[181:182]
	v_add_f64_e32 v[175:176], v[177:178], v[175:176]
	v_fma_f64 v[181:182], v[8:9], v[14:15], v[183:184]
	v_fma_f64 v[183:184], v[6:7], v[14:15], -v[16:17]
	ds_load_b128 v[6:9], v1 offset:1664
	scratch_load_b128 v[14:17], off, off offset:832
	s_wait_loadcnt_dscnt 0x901
	v_mul_f64_e32 v[177:178], v[2:3], v[20:21]
	v_mul_f64_e32 v[20:21], v[4:5], v[20:21]
	v_add_f64_e32 v[173:174], v[173:174], v[185:186]
	v_add_f64_e32 v[175:176], v[175:176], v[179:180]
	s_wait_loadcnt_dscnt 0x800
	v_mul_f64_e32 v[179:180], v[6:7], v[24:25]
	v_mul_f64_e32 v[24:25], v[8:9], v[24:25]
	v_fma_f64 v[177:178], v[4:5], v[18:19], v[177:178]
	v_fma_f64 v[185:186], v[2:3], v[18:19], -v[20:21]
	ds_load_b128 v[2:5], v1 offset:1680
	scratch_load_b128 v[18:21], off, off offset:848
	v_add_f64_e32 v[173:174], v[173:174], v[183:184]
	v_add_f64_e32 v[175:176], v[175:176], v[181:182]
	v_fma_f64 v[179:180], v[8:9], v[22:23], v[179:180]
	v_fma_f64 v[183:184], v[6:7], v[22:23], -v[24:25]
	ds_load_b128 v[6:9], v1 offset:1696
	s_wait_loadcnt_dscnt 0x801
	v_mul_f64_e32 v[181:182], v[2:3], v[28:29]
	v_mul_f64_e32 v[28:29], v[4:5], v[28:29]
	scratch_load_b128 v[22:25], off, off offset:864
	v_add_f64_e32 v[173:174], v[173:174], v[185:186]
	v_add_f64_e32 v[175:176], v[175:176], v[177:178]
	s_wait_loadcnt_dscnt 0x800
	v_mul_f64_e32 v[177:178], v[6:7], v[32:33]
	v_mul_f64_e32 v[32:33], v[8:9], v[32:33]
	v_fma_f64 v[181:182], v[4:5], v[26:27], v[181:182]
	v_fma_f64 v[185:186], v[2:3], v[26:27], -v[28:29]
	ds_load_b128 v[2:5], v1 offset:1712
	scratch_load_b128 v[26:29], off, off offset:880
	v_add_f64_e32 v[173:174], v[173:174], v[183:184]
	v_add_f64_e32 v[175:176], v[175:176], v[179:180]
	v_fma_f64 v[177:178], v[8:9], v[30:31], v[177:178]
	v_fma_f64 v[183:184], v[6:7], v[30:31], -v[32:33]
	ds_load_b128 v[6:9], v1 offset:1728
	s_wait_loadcnt_dscnt 0x801
	v_mul_f64_e32 v[179:180], v[2:3], v[40:41]
	v_mul_f64_e32 v[40:41], v[4:5], v[40:41]
	scratch_load_b128 v[30:33], off, off offset:896
	v_add_f64_e32 v[173:174], v[173:174], v[185:186]
	v_add_f64_e32 v[175:176], v[175:176], v[181:182]
	s_wait_loadcnt_dscnt 0x800
	v_mul_f64_e32 v[181:182], v[6:7], v[171:172]
	v_mul_f64_e32 v[171:172], v[8:9], v[171:172]
	v_fma_f64 v[179:180], v[4:5], v[38:39], v[179:180]
	v_fma_f64 v[185:186], v[2:3], v[38:39], -v[40:41]
	ds_load_b128 v[2:5], v1 offset:1744
	scratch_load_b128 v[38:41], off, off offset:912
	v_add_f64_e32 v[173:174], v[173:174], v[183:184]
	v_add_f64_e32 v[175:176], v[175:176], v[177:178]
	v_fma_f64 v[181:182], v[8:9], v[169:170], v[181:182]
	v_fma_f64 v[183:184], v[6:7], v[169:170], -v[171:172]
	ds_load_b128 v[6:9], v1 offset:1760
	scratch_load_b128 v[169:172], off, off offset:928
	s_wait_loadcnt_dscnt 0x901
	v_mul_f64_e32 v[177:178], v[2:3], v[36:37]
	v_mul_f64_e32 v[36:37], v[4:5], v[36:37]
	v_add_f64_e32 v[173:174], v[173:174], v[185:186]
	v_add_f64_e32 v[175:176], v[175:176], v[179:180]
	s_wait_loadcnt_dscnt 0x800
	v_mul_f64_e32 v[179:180], v[6:7], v[167:168]
	v_mul_f64_e32 v[167:168], v[8:9], v[167:168]
	v_fma_f64 v[177:178], v[4:5], v[34:35], v[177:178]
	v_fma_f64 v[185:186], v[2:3], v[34:35], -v[36:37]
	ds_load_b128 v[2:5], v1 offset:1776
	scratch_load_b128 v[34:37], off, off offset:944
	v_add_f64_e32 v[173:174], v[173:174], v[183:184]
	v_add_f64_e32 v[175:176], v[175:176], v[181:182]
	v_fma_f64 v[179:180], v[8:9], v[165:166], v[179:180]
	v_fma_f64 v[183:184], v[6:7], v[165:166], -v[167:168]
	ds_load_b128 v[6:9], v1 offset:1792
	s_wait_loadcnt_dscnt 0x801
	v_mul_f64_e32 v[181:182], v[2:3], v[12:13]
	v_mul_f64_e32 v[12:13], v[4:5], v[12:13]
	scratch_load_b128 v[165:168], off, off offset:960
	v_add_f64_e32 v[173:174], v[173:174], v[185:186]
	v_add_f64_e32 v[175:176], v[175:176], v[177:178]
	s_wait_loadcnt_dscnt 0x800
	v_mul_f64_e32 v[177:178], v[6:7], v[16:17]
	v_mul_f64_e32 v[16:17], v[8:9], v[16:17]
	v_fma_f64 v[181:182], v[4:5], v[10:11], v[181:182]
	v_fma_f64 v[185:186], v[2:3], v[10:11], -v[12:13]
	ds_load_b128 v[2:5], v1 offset:1808
	scratch_load_b128 v[10:13], off, off offset:976
	v_add_f64_e32 v[173:174], v[173:174], v[183:184]
	v_add_f64_e32 v[175:176], v[175:176], v[179:180]
	v_fma_f64 v[177:178], v[8:9], v[14:15], v[177:178]
	v_fma_f64 v[14:15], v[6:7], v[14:15], -v[16:17]
	ds_load_b128 v[6:9], v1 offset:1824
	s_wait_loadcnt_dscnt 0x801
	v_mul_f64_e32 v[179:180], v[2:3], v[20:21]
	v_mul_f64_e32 v[20:21], v[4:5], v[20:21]
	v_add_f64_e32 v[16:17], v[173:174], v[185:186]
	v_add_f64_e32 v[173:174], v[175:176], v[181:182]
	s_wait_loadcnt_dscnt 0x700
	v_mul_f64_e32 v[175:176], v[6:7], v[24:25]
	v_mul_f64_e32 v[24:25], v[8:9], v[24:25]
	v_fma_f64 v[179:180], v[4:5], v[18:19], v[179:180]
	v_fma_f64 v[18:19], v[2:3], v[18:19], -v[20:21]
	ds_load_b128 v[2:5], v1 offset:1840
	v_add_f64_e32 v[14:15], v[16:17], v[14:15]
	v_add_f64_e32 v[16:17], v[173:174], v[177:178]
	v_fma_f64 v[173:174], v[8:9], v[22:23], v[175:176]
	v_fma_f64 v[22:23], v[6:7], v[22:23], -v[24:25]
	ds_load_b128 v[6:9], v1 offset:1856
	s_wait_loadcnt_dscnt 0x500
	v_mul_f64_e32 v[175:176], v[6:7], v[32:33]
	v_mul_f64_e32 v[32:33], v[8:9], v[32:33]
	v_add_f64_e32 v[18:19], v[14:15], v[18:19]
	v_add_f64_e32 v[24:25], v[16:17], v[179:180]
	scratch_load_b128 v[14:17], off, off offset:608
	v_mul_f64_e32 v[20:21], v[2:3], v[28:29]
	v_mul_f64_e32 v[28:29], v[4:5], v[28:29]
	v_add_f64_e32 v[18:19], v[18:19], v[22:23]
	v_add_f64_e32 v[22:23], v[24:25], v[173:174]
	s_delay_alu instid0(VALU_DEP_4) | instskip(NEXT) | instid1(VALU_DEP_4)
	v_fma_f64 v[20:21], v[4:5], v[26:27], v[20:21]
	v_fma_f64 v[26:27], v[2:3], v[26:27], -v[28:29]
	ds_load_b128 v[2:5], v1 offset:1872
	s_wait_loadcnt_dscnt 0x500
	v_mul_f64_e32 v[24:25], v[2:3], v[40:41]
	v_mul_f64_e32 v[28:29], v[4:5], v[40:41]
	v_fma_f64 v[40:41], v[8:9], v[30:31], v[175:176]
	v_fma_f64 v[30:31], v[6:7], v[30:31], -v[32:33]
	ds_load_b128 v[6:9], v1 offset:1888
	v_add_f64_e32 v[20:21], v[22:23], v[20:21]
	v_add_f64_e32 v[18:19], v[18:19], v[26:27]
	v_fma_f64 v[24:25], v[4:5], v[38:39], v[24:25]
	v_fma_f64 v[28:29], v[2:3], v[38:39], -v[28:29]
	ds_load_b128 v[2:5], v1 offset:1904
	s_wait_loadcnt_dscnt 0x401
	v_mul_f64_e32 v[22:23], v[6:7], v[171:172]
	v_mul_f64_e32 v[26:27], v[8:9], v[171:172]
	v_add_f64_e32 v[20:21], v[20:21], v[40:41]
	v_add_f64_e32 v[18:19], v[18:19], v[30:31]
	s_wait_loadcnt_dscnt 0x300
	v_mul_f64_e32 v[30:31], v[2:3], v[36:37]
	v_mul_f64_e32 v[32:33], v[4:5], v[36:37]
	v_fma_f64 v[22:23], v[8:9], v[169:170], v[22:23]
	v_fma_f64 v[26:27], v[6:7], v[169:170], -v[26:27]
	ds_load_b128 v[6:9], v1 offset:1920
	v_add_f64_e32 v[20:21], v[20:21], v[24:25]
	v_add_f64_e32 v[18:19], v[18:19], v[28:29]
	v_fma_f64 v[30:31], v[4:5], v[34:35], v[30:31]
	v_fma_f64 v[32:33], v[2:3], v[34:35], -v[32:33]
	ds_load_b128 v[2:5], v1 offset:1936
	s_wait_loadcnt_dscnt 0x201
	v_mul_f64_e32 v[24:25], v[6:7], v[167:168]
	v_mul_f64_e32 v[28:29], v[8:9], v[167:168]
	v_add_f64_e32 v[20:21], v[20:21], v[22:23]
	v_add_f64_e32 v[18:19], v[18:19], v[26:27]
	s_wait_loadcnt_dscnt 0x100
	v_mul_f64_e32 v[22:23], v[2:3], v[12:13]
	v_mul_f64_e32 v[12:13], v[4:5], v[12:13]
	v_fma_f64 v[8:9], v[8:9], v[165:166], v[24:25]
	v_fma_f64 v[6:7], v[6:7], v[165:166], -v[28:29]
	v_add_f64_e32 v[20:21], v[20:21], v[30:31]
	v_add_f64_e32 v[18:19], v[18:19], v[32:33]
	v_fma_f64 v[4:5], v[4:5], v[10:11], v[22:23]
	v_fma_f64 v[2:3], v[2:3], v[10:11], -v[12:13]
	s_delay_alu instid0(VALU_DEP_4) | instskip(NEXT) | instid1(VALU_DEP_4)
	v_add_f64_e32 v[8:9], v[20:21], v[8:9]
	v_add_f64_e32 v[6:7], v[18:19], v[6:7]
	s_delay_alu instid0(VALU_DEP_2) | instskip(NEXT) | instid1(VALU_DEP_2)
	v_add_f64_e32 v[4:5], v[8:9], v[4:5]
	v_add_f64_e32 v[2:3], v[6:7], v[2:3]
	s_wait_loadcnt 0x0
	s_delay_alu instid0(VALU_DEP_2) | instskip(NEXT) | instid1(VALU_DEP_2)
	v_add_f64_e64 v[4:5], v[16:17], -v[4:5]
	v_add_f64_e64 v[2:3], v[14:15], -v[2:3]
	scratch_store_b128 off, v[2:5], off offset:608
	v_cmpx_lt_u32_e32 36, v0
	s_cbranch_execz .LBB124_319
; %bb.318:
	scratch_load_b128 v[5:8], off, s40
	v_dual_mov_b32 v2, v1 :: v_dual_mov_b32 v3, v1
	v_mov_b32_e32 v4, v1
	scratch_store_b128 off, v[1:4], off offset:592
	s_wait_loadcnt 0x0
	ds_store_b128 v164, v[5:8]
.LBB124_319:
	s_wait_alu 0xfffe
	s_or_b32 exec_lo, exec_lo, s0
	s_wait_storecnt_dscnt 0x0
	s_barrier_signal -1
	s_barrier_wait -1
	global_inv scope:SCOPE_SE
	s_clause 0x7
	scratch_load_b128 v[2:5], off, off offset:608
	scratch_load_b128 v[6:9], off, off offset:624
	;; [unrolled: 1-line block ×8, first 2 shown]
	ds_load_b128 v[34:37], v1 offset:1568
	ds_load_b128 v[165:168], v1 offset:1584
	s_clause 0x1
	scratch_load_b128 v[38:41], off, off offset:736
	scratch_load_b128 v[169:172], off, off offset:752
	s_mov_b32 s0, exec_lo
	s_wait_loadcnt_dscnt 0x901
	v_mul_f64_e32 v[173:174], v[36:37], v[4:5]
	v_mul_f64_e32 v[4:5], v[34:35], v[4:5]
	s_wait_loadcnt_dscnt 0x800
	v_mul_f64_e32 v[175:176], v[165:166], v[8:9]
	v_mul_f64_e32 v[8:9], v[167:168], v[8:9]
	s_delay_alu instid0(VALU_DEP_4) | instskip(NEXT) | instid1(VALU_DEP_4)
	v_fma_f64 v[173:174], v[34:35], v[2:3], -v[173:174]
	v_fma_f64 v[177:178], v[36:37], v[2:3], v[4:5]
	ds_load_b128 v[2:5], v1 offset:1600
	scratch_load_b128 v[34:37], off, off offset:768
	v_fma_f64 v[175:176], v[167:168], v[6:7], v[175:176]
	v_fma_f64 v[181:182], v[165:166], v[6:7], -v[8:9]
	ds_load_b128 v[6:9], v1 offset:1616
	scratch_load_b128 v[165:168], off, off offset:784
	s_wait_loadcnt_dscnt 0x901
	v_mul_f64_e32 v[179:180], v[2:3], v[12:13]
	v_mul_f64_e32 v[12:13], v[4:5], v[12:13]
	s_wait_loadcnt_dscnt 0x800
	v_mul_f64_e32 v[183:184], v[6:7], v[16:17]
	v_mul_f64_e32 v[16:17], v[8:9], v[16:17]
	v_add_f64_e32 v[173:174], 0, v[173:174]
	v_add_f64_e32 v[177:178], 0, v[177:178]
	v_fma_f64 v[179:180], v[4:5], v[10:11], v[179:180]
	v_fma_f64 v[185:186], v[2:3], v[10:11], -v[12:13]
	ds_load_b128 v[2:5], v1 offset:1632
	scratch_load_b128 v[10:13], off, off offset:800
	v_add_f64_e32 v[173:174], v[173:174], v[181:182]
	v_add_f64_e32 v[175:176], v[177:178], v[175:176]
	v_fma_f64 v[181:182], v[8:9], v[14:15], v[183:184]
	v_fma_f64 v[183:184], v[6:7], v[14:15], -v[16:17]
	ds_load_b128 v[6:9], v1 offset:1648
	scratch_load_b128 v[14:17], off, off offset:816
	s_wait_loadcnt_dscnt 0x901
	v_mul_f64_e32 v[177:178], v[2:3], v[20:21]
	v_mul_f64_e32 v[20:21], v[4:5], v[20:21]
	v_add_f64_e32 v[173:174], v[173:174], v[185:186]
	v_add_f64_e32 v[175:176], v[175:176], v[179:180]
	s_wait_loadcnt_dscnt 0x800
	v_mul_f64_e32 v[179:180], v[6:7], v[24:25]
	v_mul_f64_e32 v[24:25], v[8:9], v[24:25]
	v_fma_f64 v[177:178], v[4:5], v[18:19], v[177:178]
	v_fma_f64 v[185:186], v[2:3], v[18:19], -v[20:21]
	ds_load_b128 v[2:5], v1 offset:1664
	scratch_load_b128 v[18:21], off, off offset:832
	v_add_f64_e32 v[173:174], v[173:174], v[183:184]
	v_add_f64_e32 v[175:176], v[175:176], v[181:182]
	v_fma_f64 v[179:180], v[8:9], v[22:23], v[179:180]
	v_fma_f64 v[183:184], v[6:7], v[22:23], -v[24:25]
	ds_load_b128 v[6:9], v1 offset:1680
	s_wait_loadcnt_dscnt 0x801
	v_mul_f64_e32 v[181:182], v[2:3], v[28:29]
	v_mul_f64_e32 v[28:29], v[4:5], v[28:29]
	scratch_load_b128 v[22:25], off, off offset:848
	v_add_f64_e32 v[173:174], v[173:174], v[185:186]
	v_add_f64_e32 v[175:176], v[175:176], v[177:178]
	s_wait_loadcnt_dscnt 0x800
	v_mul_f64_e32 v[177:178], v[6:7], v[32:33]
	v_mul_f64_e32 v[32:33], v[8:9], v[32:33]
	v_fma_f64 v[181:182], v[4:5], v[26:27], v[181:182]
	v_fma_f64 v[185:186], v[2:3], v[26:27], -v[28:29]
	ds_load_b128 v[2:5], v1 offset:1696
	scratch_load_b128 v[26:29], off, off offset:864
	v_add_f64_e32 v[173:174], v[173:174], v[183:184]
	v_add_f64_e32 v[175:176], v[175:176], v[179:180]
	v_fma_f64 v[177:178], v[8:9], v[30:31], v[177:178]
	v_fma_f64 v[183:184], v[6:7], v[30:31], -v[32:33]
	ds_load_b128 v[6:9], v1 offset:1712
	s_wait_loadcnt_dscnt 0x801
	v_mul_f64_e32 v[179:180], v[2:3], v[40:41]
	v_mul_f64_e32 v[40:41], v[4:5], v[40:41]
	scratch_load_b128 v[30:33], off, off offset:880
	v_add_f64_e32 v[173:174], v[173:174], v[185:186]
	v_add_f64_e32 v[175:176], v[175:176], v[181:182]
	s_wait_loadcnt_dscnt 0x800
	v_mul_f64_e32 v[181:182], v[6:7], v[171:172]
	v_mul_f64_e32 v[171:172], v[8:9], v[171:172]
	v_fma_f64 v[179:180], v[4:5], v[38:39], v[179:180]
	v_fma_f64 v[185:186], v[2:3], v[38:39], -v[40:41]
	ds_load_b128 v[2:5], v1 offset:1728
	scratch_load_b128 v[38:41], off, off offset:896
	v_add_f64_e32 v[173:174], v[173:174], v[183:184]
	v_add_f64_e32 v[175:176], v[175:176], v[177:178]
	v_fma_f64 v[181:182], v[8:9], v[169:170], v[181:182]
	v_fma_f64 v[183:184], v[6:7], v[169:170], -v[171:172]
	ds_load_b128 v[6:9], v1 offset:1744
	scratch_load_b128 v[169:172], off, off offset:912
	s_wait_loadcnt_dscnt 0x901
	v_mul_f64_e32 v[177:178], v[2:3], v[36:37]
	v_mul_f64_e32 v[36:37], v[4:5], v[36:37]
	v_add_f64_e32 v[173:174], v[173:174], v[185:186]
	v_add_f64_e32 v[175:176], v[175:176], v[179:180]
	s_wait_loadcnt_dscnt 0x800
	v_mul_f64_e32 v[179:180], v[6:7], v[167:168]
	v_mul_f64_e32 v[167:168], v[8:9], v[167:168]
	v_fma_f64 v[177:178], v[4:5], v[34:35], v[177:178]
	v_fma_f64 v[185:186], v[2:3], v[34:35], -v[36:37]
	ds_load_b128 v[2:5], v1 offset:1760
	scratch_load_b128 v[34:37], off, off offset:928
	v_add_f64_e32 v[173:174], v[173:174], v[183:184]
	v_add_f64_e32 v[175:176], v[175:176], v[181:182]
	v_fma_f64 v[179:180], v[8:9], v[165:166], v[179:180]
	v_fma_f64 v[183:184], v[6:7], v[165:166], -v[167:168]
	ds_load_b128 v[6:9], v1 offset:1776
	s_wait_loadcnt_dscnt 0x801
	v_mul_f64_e32 v[181:182], v[2:3], v[12:13]
	v_mul_f64_e32 v[12:13], v[4:5], v[12:13]
	scratch_load_b128 v[165:168], off, off offset:944
	v_add_f64_e32 v[173:174], v[173:174], v[185:186]
	v_add_f64_e32 v[175:176], v[175:176], v[177:178]
	s_wait_loadcnt_dscnt 0x800
	v_mul_f64_e32 v[177:178], v[6:7], v[16:17]
	v_mul_f64_e32 v[16:17], v[8:9], v[16:17]
	v_fma_f64 v[181:182], v[4:5], v[10:11], v[181:182]
	v_fma_f64 v[185:186], v[2:3], v[10:11], -v[12:13]
	ds_load_b128 v[2:5], v1 offset:1792
	scratch_load_b128 v[10:13], off, off offset:960
	v_add_f64_e32 v[173:174], v[173:174], v[183:184]
	v_add_f64_e32 v[175:176], v[175:176], v[179:180]
	v_fma_f64 v[177:178], v[8:9], v[14:15], v[177:178]
	v_fma_f64 v[183:184], v[6:7], v[14:15], -v[16:17]
	ds_load_b128 v[6:9], v1 offset:1808
	s_wait_loadcnt_dscnt 0x801
	v_mul_f64_e32 v[179:180], v[2:3], v[20:21]
	v_mul_f64_e32 v[20:21], v[4:5], v[20:21]
	scratch_load_b128 v[14:17], off, off offset:976
	v_add_f64_e32 v[173:174], v[173:174], v[185:186]
	v_add_f64_e32 v[175:176], v[175:176], v[181:182]
	s_wait_loadcnt_dscnt 0x800
	v_mul_f64_e32 v[181:182], v[6:7], v[24:25]
	v_mul_f64_e32 v[24:25], v[8:9], v[24:25]
	v_fma_f64 v[179:180], v[4:5], v[18:19], v[179:180]
	v_fma_f64 v[18:19], v[2:3], v[18:19], -v[20:21]
	ds_load_b128 v[2:5], v1 offset:1824
	v_add_f64_e32 v[20:21], v[173:174], v[183:184]
	v_add_f64_e32 v[173:174], v[175:176], v[177:178]
	v_fma_f64 v[177:178], v[8:9], v[22:23], v[181:182]
	v_fma_f64 v[22:23], v[6:7], v[22:23], -v[24:25]
	ds_load_b128 v[6:9], v1 offset:1840
	s_wait_loadcnt_dscnt 0x701
	v_mul_f64_e32 v[175:176], v[2:3], v[28:29]
	v_mul_f64_e32 v[28:29], v[4:5], v[28:29]
	v_add_f64_e32 v[18:19], v[20:21], v[18:19]
	v_add_f64_e32 v[20:21], v[173:174], v[179:180]
	s_delay_alu instid0(VALU_DEP_4) | instskip(NEXT) | instid1(VALU_DEP_4)
	v_fma_f64 v[173:174], v[4:5], v[26:27], v[175:176]
	v_fma_f64 v[26:27], v[2:3], v[26:27], -v[28:29]
	ds_load_b128 v[2:5], v1 offset:1856
	v_add_f64_e32 v[22:23], v[18:19], v[22:23]
	v_add_f64_e32 v[28:29], v[20:21], v[177:178]
	scratch_load_b128 v[18:21], off, off offset:592
	s_wait_loadcnt_dscnt 0x701
	v_mul_f64_e32 v[24:25], v[6:7], v[32:33]
	v_mul_f64_e32 v[32:33], v[8:9], v[32:33]
	v_add_f64_e32 v[22:23], v[22:23], v[26:27]
	v_add_f64_e32 v[26:27], v[28:29], v[173:174]
	s_delay_alu instid0(VALU_DEP_4) | instskip(NEXT) | instid1(VALU_DEP_4)
	v_fma_f64 v[24:25], v[8:9], v[30:31], v[24:25]
	v_fma_f64 v[30:31], v[6:7], v[30:31], -v[32:33]
	ds_load_b128 v[6:9], v1 offset:1872
	s_wait_loadcnt_dscnt 0x601
	v_mul_f64_e32 v[175:176], v[2:3], v[40:41]
	v_mul_f64_e32 v[40:41], v[4:5], v[40:41]
	s_wait_loadcnt_dscnt 0x500
	v_mul_f64_e32 v[28:29], v[6:7], v[171:172]
	v_mul_f64_e32 v[32:33], v[8:9], v[171:172]
	v_add_f64_e32 v[24:25], v[26:27], v[24:25]
	v_add_f64_e32 v[22:23], v[22:23], v[30:31]
	v_fma_f64 v[171:172], v[4:5], v[38:39], v[175:176]
	v_fma_f64 v[38:39], v[2:3], v[38:39], -v[40:41]
	ds_load_b128 v[2:5], v1 offset:1888
	v_fma_f64 v[28:29], v[8:9], v[169:170], v[28:29]
	v_fma_f64 v[32:33], v[6:7], v[169:170], -v[32:33]
	ds_load_b128 v[6:9], v1 offset:1904
	s_wait_loadcnt_dscnt 0x401
	v_mul_f64_e32 v[26:27], v[2:3], v[36:37]
	v_mul_f64_e32 v[30:31], v[4:5], v[36:37]
	v_add_f64_e32 v[24:25], v[24:25], v[171:172]
	v_add_f64_e32 v[22:23], v[22:23], v[38:39]
	s_wait_loadcnt_dscnt 0x300
	v_mul_f64_e32 v[36:37], v[6:7], v[167:168]
	v_mul_f64_e32 v[38:39], v[8:9], v[167:168]
	v_fma_f64 v[26:27], v[4:5], v[34:35], v[26:27]
	v_fma_f64 v[30:31], v[2:3], v[34:35], -v[30:31]
	ds_load_b128 v[2:5], v1 offset:1920
	v_add_f64_e32 v[24:25], v[24:25], v[28:29]
	v_add_f64_e32 v[22:23], v[22:23], v[32:33]
	v_fma_f64 v[32:33], v[8:9], v[165:166], v[36:37]
	v_fma_f64 v[34:35], v[6:7], v[165:166], -v[38:39]
	ds_load_b128 v[6:9], v1 offset:1936
	s_wait_loadcnt_dscnt 0x201
	v_mul_f64_e32 v[28:29], v[2:3], v[12:13]
	v_mul_f64_e32 v[12:13], v[4:5], v[12:13]
	v_add_f64_e32 v[24:25], v[24:25], v[26:27]
	v_add_f64_e32 v[22:23], v[22:23], v[30:31]
	s_wait_loadcnt_dscnt 0x100
	v_mul_f64_e32 v[26:27], v[6:7], v[16:17]
	v_mul_f64_e32 v[16:17], v[8:9], v[16:17]
	v_fma_f64 v[4:5], v[4:5], v[10:11], v[28:29]
	v_fma_f64 v[1:2], v[2:3], v[10:11], -v[12:13]
	v_add_f64_e32 v[12:13], v[24:25], v[32:33]
	v_add_f64_e32 v[10:11], v[22:23], v[34:35]
	v_fma_f64 v[8:9], v[8:9], v[14:15], v[26:27]
	v_fma_f64 v[6:7], v[6:7], v[14:15], -v[16:17]
	s_delay_alu instid0(VALU_DEP_4) | instskip(NEXT) | instid1(VALU_DEP_4)
	v_add_f64_e32 v[3:4], v[12:13], v[4:5]
	v_add_f64_e32 v[1:2], v[10:11], v[1:2]
	s_delay_alu instid0(VALU_DEP_2) | instskip(NEXT) | instid1(VALU_DEP_2)
	v_add_f64_e32 v[3:4], v[3:4], v[8:9]
	v_add_f64_e32 v[1:2], v[1:2], v[6:7]
	s_wait_loadcnt 0x0
	s_delay_alu instid0(VALU_DEP_2) | instskip(NEXT) | instid1(VALU_DEP_2)
	v_add_f64_e64 v[3:4], v[20:21], -v[3:4]
	v_add_f64_e64 v[1:2], v[18:19], -v[1:2]
	scratch_store_b128 off, v[1:4], off offset:592
	v_cmpx_lt_u32_e32 35, v0
	s_cbranch_execz .LBB124_321
; %bb.320:
	scratch_load_b128 v[1:4], off, s41
	v_mov_b32_e32 v5, 0
	s_delay_alu instid0(VALU_DEP_1)
	v_dual_mov_b32 v6, v5 :: v_dual_mov_b32 v7, v5
	v_mov_b32_e32 v8, v5
	scratch_store_b128 off, v[5:8], off offset:576
	s_wait_loadcnt 0x0
	ds_store_b128 v164, v[1:4]
.LBB124_321:
	s_wait_alu 0xfffe
	s_or_b32 exec_lo, exec_lo, s0
	s_wait_storecnt_dscnt 0x0
	s_barrier_signal -1
	s_barrier_wait -1
	global_inv scope:SCOPE_SE
	s_clause 0x7
	scratch_load_b128 v[2:5], off, off offset:592
	scratch_load_b128 v[6:9], off, off offset:608
	;; [unrolled: 1-line block ×8, first 2 shown]
	v_mov_b32_e32 v1, 0
	s_clause 0x1
	scratch_load_b128 v[38:41], off, off offset:720
	scratch_load_b128 v[169:172], off, off offset:736
	s_mov_b32 s0, exec_lo
	ds_load_b128 v[34:37], v1 offset:1552
	ds_load_b128 v[165:168], v1 offset:1568
	s_wait_loadcnt_dscnt 0x901
	v_mul_f64_e32 v[173:174], v[36:37], v[4:5]
	v_mul_f64_e32 v[4:5], v[34:35], v[4:5]
	s_wait_loadcnt_dscnt 0x800
	v_mul_f64_e32 v[175:176], v[165:166], v[8:9]
	v_mul_f64_e32 v[8:9], v[167:168], v[8:9]
	s_delay_alu instid0(VALU_DEP_4) | instskip(NEXT) | instid1(VALU_DEP_4)
	v_fma_f64 v[173:174], v[34:35], v[2:3], -v[173:174]
	v_fma_f64 v[177:178], v[36:37], v[2:3], v[4:5]
	ds_load_b128 v[2:5], v1 offset:1584
	scratch_load_b128 v[34:37], off, off offset:752
	v_fma_f64 v[175:176], v[167:168], v[6:7], v[175:176]
	v_fma_f64 v[181:182], v[165:166], v[6:7], -v[8:9]
	ds_load_b128 v[6:9], v1 offset:1600
	scratch_load_b128 v[165:168], off, off offset:768
	s_wait_loadcnt_dscnt 0x901
	v_mul_f64_e32 v[179:180], v[2:3], v[12:13]
	v_mul_f64_e32 v[12:13], v[4:5], v[12:13]
	s_wait_loadcnt_dscnt 0x800
	v_mul_f64_e32 v[183:184], v[6:7], v[16:17]
	v_mul_f64_e32 v[16:17], v[8:9], v[16:17]
	v_add_f64_e32 v[173:174], 0, v[173:174]
	v_add_f64_e32 v[177:178], 0, v[177:178]
	v_fma_f64 v[179:180], v[4:5], v[10:11], v[179:180]
	v_fma_f64 v[185:186], v[2:3], v[10:11], -v[12:13]
	ds_load_b128 v[2:5], v1 offset:1616
	scratch_load_b128 v[10:13], off, off offset:784
	v_add_f64_e32 v[173:174], v[173:174], v[181:182]
	v_add_f64_e32 v[175:176], v[177:178], v[175:176]
	v_fma_f64 v[181:182], v[8:9], v[14:15], v[183:184]
	v_fma_f64 v[183:184], v[6:7], v[14:15], -v[16:17]
	ds_load_b128 v[6:9], v1 offset:1632
	scratch_load_b128 v[14:17], off, off offset:800
	s_wait_loadcnt_dscnt 0x901
	v_mul_f64_e32 v[177:178], v[2:3], v[20:21]
	v_mul_f64_e32 v[20:21], v[4:5], v[20:21]
	v_add_f64_e32 v[173:174], v[173:174], v[185:186]
	v_add_f64_e32 v[175:176], v[175:176], v[179:180]
	s_wait_loadcnt_dscnt 0x800
	v_mul_f64_e32 v[179:180], v[6:7], v[24:25]
	v_mul_f64_e32 v[24:25], v[8:9], v[24:25]
	v_fma_f64 v[177:178], v[4:5], v[18:19], v[177:178]
	v_fma_f64 v[185:186], v[2:3], v[18:19], -v[20:21]
	ds_load_b128 v[2:5], v1 offset:1648
	scratch_load_b128 v[18:21], off, off offset:816
	v_add_f64_e32 v[173:174], v[173:174], v[183:184]
	v_add_f64_e32 v[175:176], v[175:176], v[181:182]
	v_fma_f64 v[179:180], v[8:9], v[22:23], v[179:180]
	v_fma_f64 v[183:184], v[6:7], v[22:23], -v[24:25]
	ds_load_b128 v[6:9], v1 offset:1664
	s_wait_loadcnt_dscnt 0x801
	v_mul_f64_e32 v[181:182], v[2:3], v[28:29]
	v_mul_f64_e32 v[28:29], v[4:5], v[28:29]
	scratch_load_b128 v[22:25], off, off offset:832
	v_add_f64_e32 v[173:174], v[173:174], v[185:186]
	v_add_f64_e32 v[175:176], v[175:176], v[177:178]
	s_wait_loadcnt_dscnt 0x800
	v_mul_f64_e32 v[177:178], v[6:7], v[32:33]
	v_mul_f64_e32 v[32:33], v[8:9], v[32:33]
	v_fma_f64 v[181:182], v[4:5], v[26:27], v[181:182]
	v_fma_f64 v[185:186], v[2:3], v[26:27], -v[28:29]
	ds_load_b128 v[2:5], v1 offset:1680
	scratch_load_b128 v[26:29], off, off offset:848
	v_add_f64_e32 v[173:174], v[173:174], v[183:184]
	v_add_f64_e32 v[175:176], v[175:176], v[179:180]
	v_fma_f64 v[177:178], v[8:9], v[30:31], v[177:178]
	v_fma_f64 v[183:184], v[6:7], v[30:31], -v[32:33]
	ds_load_b128 v[6:9], v1 offset:1696
	s_wait_loadcnt_dscnt 0x801
	v_mul_f64_e32 v[179:180], v[2:3], v[40:41]
	v_mul_f64_e32 v[40:41], v[4:5], v[40:41]
	scratch_load_b128 v[30:33], off, off offset:864
	v_add_f64_e32 v[173:174], v[173:174], v[185:186]
	v_add_f64_e32 v[175:176], v[175:176], v[181:182]
	s_wait_loadcnt_dscnt 0x800
	v_mul_f64_e32 v[181:182], v[6:7], v[171:172]
	v_mul_f64_e32 v[171:172], v[8:9], v[171:172]
	v_fma_f64 v[179:180], v[4:5], v[38:39], v[179:180]
	v_fma_f64 v[185:186], v[2:3], v[38:39], -v[40:41]
	ds_load_b128 v[2:5], v1 offset:1712
	scratch_load_b128 v[38:41], off, off offset:880
	v_add_f64_e32 v[173:174], v[173:174], v[183:184]
	v_add_f64_e32 v[175:176], v[175:176], v[177:178]
	v_fma_f64 v[181:182], v[8:9], v[169:170], v[181:182]
	v_fma_f64 v[183:184], v[6:7], v[169:170], -v[171:172]
	ds_load_b128 v[6:9], v1 offset:1728
	scratch_load_b128 v[169:172], off, off offset:896
	s_wait_loadcnt_dscnt 0x901
	v_mul_f64_e32 v[177:178], v[2:3], v[36:37]
	v_mul_f64_e32 v[36:37], v[4:5], v[36:37]
	v_add_f64_e32 v[173:174], v[173:174], v[185:186]
	v_add_f64_e32 v[175:176], v[175:176], v[179:180]
	s_wait_loadcnt_dscnt 0x800
	v_mul_f64_e32 v[179:180], v[6:7], v[167:168]
	v_mul_f64_e32 v[167:168], v[8:9], v[167:168]
	v_fma_f64 v[177:178], v[4:5], v[34:35], v[177:178]
	v_fma_f64 v[185:186], v[2:3], v[34:35], -v[36:37]
	ds_load_b128 v[2:5], v1 offset:1744
	scratch_load_b128 v[34:37], off, off offset:912
	v_add_f64_e32 v[173:174], v[173:174], v[183:184]
	v_add_f64_e32 v[175:176], v[175:176], v[181:182]
	v_fma_f64 v[179:180], v[8:9], v[165:166], v[179:180]
	v_fma_f64 v[183:184], v[6:7], v[165:166], -v[167:168]
	ds_load_b128 v[6:9], v1 offset:1760
	s_wait_loadcnt_dscnt 0x801
	v_mul_f64_e32 v[181:182], v[2:3], v[12:13]
	v_mul_f64_e32 v[12:13], v[4:5], v[12:13]
	scratch_load_b128 v[165:168], off, off offset:928
	v_add_f64_e32 v[173:174], v[173:174], v[185:186]
	v_add_f64_e32 v[175:176], v[175:176], v[177:178]
	s_wait_loadcnt_dscnt 0x800
	v_mul_f64_e32 v[177:178], v[6:7], v[16:17]
	v_mul_f64_e32 v[16:17], v[8:9], v[16:17]
	v_fma_f64 v[181:182], v[4:5], v[10:11], v[181:182]
	v_fma_f64 v[185:186], v[2:3], v[10:11], -v[12:13]
	ds_load_b128 v[2:5], v1 offset:1776
	scratch_load_b128 v[10:13], off, off offset:944
	v_add_f64_e32 v[173:174], v[173:174], v[183:184]
	v_add_f64_e32 v[175:176], v[175:176], v[179:180]
	v_fma_f64 v[177:178], v[8:9], v[14:15], v[177:178]
	v_fma_f64 v[183:184], v[6:7], v[14:15], -v[16:17]
	ds_load_b128 v[6:9], v1 offset:1792
	s_wait_loadcnt_dscnt 0x801
	v_mul_f64_e32 v[179:180], v[2:3], v[20:21]
	v_mul_f64_e32 v[20:21], v[4:5], v[20:21]
	scratch_load_b128 v[14:17], off, off offset:960
	v_add_f64_e32 v[173:174], v[173:174], v[185:186]
	v_add_f64_e32 v[175:176], v[175:176], v[181:182]
	s_wait_loadcnt_dscnt 0x800
	v_mul_f64_e32 v[181:182], v[6:7], v[24:25]
	v_mul_f64_e32 v[24:25], v[8:9], v[24:25]
	v_fma_f64 v[179:180], v[4:5], v[18:19], v[179:180]
	v_fma_f64 v[185:186], v[2:3], v[18:19], -v[20:21]
	ds_load_b128 v[2:5], v1 offset:1808
	scratch_load_b128 v[18:21], off, off offset:976
	v_add_f64_e32 v[173:174], v[173:174], v[183:184]
	v_add_f64_e32 v[175:176], v[175:176], v[177:178]
	v_fma_f64 v[181:182], v[8:9], v[22:23], v[181:182]
	v_fma_f64 v[22:23], v[6:7], v[22:23], -v[24:25]
	ds_load_b128 v[6:9], v1 offset:1824
	s_wait_loadcnt_dscnt 0x801
	v_mul_f64_e32 v[177:178], v[2:3], v[28:29]
	v_mul_f64_e32 v[28:29], v[4:5], v[28:29]
	v_add_f64_e32 v[24:25], v[173:174], v[185:186]
	v_add_f64_e32 v[173:174], v[175:176], v[179:180]
	s_wait_loadcnt_dscnt 0x700
	v_mul_f64_e32 v[175:176], v[6:7], v[32:33]
	v_mul_f64_e32 v[32:33], v[8:9], v[32:33]
	v_fma_f64 v[177:178], v[4:5], v[26:27], v[177:178]
	v_fma_f64 v[26:27], v[2:3], v[26:27], -v[28:29]
	ds_load_b128 v[2:5], v1 offset:1840
	v_add_f64_e32 v[22:23], v[24:25], v[22:23]
	v_add_f64_e32 v[24:25], v[173:174], v[181:182]
	v_fma_f64 v[173:174], v[8:9], v[30:31], v[175:176]
	v_fma_f64 v[30:31], v[6:7], v[30:31], -v[32:33]
	ds_load_b128 v[6:9], v1 offset:1856
	s_wait_loadcnt_dscnt 0x500
	v_mul_f64_e32 v[175:176], v[6:7], v[171:172]
	v_mul_f64_e32 v[171:172], v[8:9], v[171:172]
	v_add_f64_e32 v[26:27], v[22:23], v[26:27]
	v_add_f64_e32 v[32:33], v[24:25], v[177:178]
	scratch_load_b128 v[22:25], off, off offset:576
	v_mul_f64_e32 v[28:29], v[2:3], v[40:41]
	v_mul_f64_e32 v[40:41], v[4:5], v[40:41]
	v_add_f64_e32 v[26:27], v[26:27], v[30:31]
	v_add_f64_e32 v[30:31], v[32:33], v[173:174]
	s_delay_alu instid0(VALU_DEP_4) | instskip(NEXT) | instid1(VALU_DEP_4)
	v_fma_f64 v[28:29], v[4:5], v[38:39], v[28:29]
	v_fma_f64 v[38:39], v[2:3], v[38:39], -v[40:41]
	ds_load_b128 v[2:5], v1 offset:1872
	v_fma_f64 v[40:41], v[8:9], v[169:170], v[175:176]
	v_fma_f64 v[169:170], v[6:7], v[169:170], -v[171:172]
	ds_load_b128 v[6:9], v1 offset:1888
	s_wait_loadcnt_dscnt 0x501
	v_mul_f64_e32 v[32:33], v[2:3], v[36:37]
	v_mul_f64_e32 v[36:37], v[4:5], v[36:37]
	v_add_f64_e32 v[28:29], v[30:31], v[28:29]
	v_add_f64_e32 v[26:27], v[26:27], v[38:39]
	s_wait_loadcnt_dscnt 0x400
	v_mul_f64_e32 v[30:31], v[6:7], v[167:168]
	v_mul_f64_e32 v[38:39], v[8:9], v[167:168]
	v_fma_f64 v[32:33], v[4:5], v[34:35], v[32:33]
	v_fma_f64 v[34:35], v[2:3], v[34:35], -v[36:37]
	ds_load_b128 v[2:5], v1 offset:1904
	v_add_f64_e32 v[28:29], v[28:29], v[40:41]
	v_add_f64_e32 v[26:27], v[26:27], v[169:170]
	v_fma_f64 v[30:31], v[8:9], v[165:166], v[30:31]
	v_fma_f64 v[38:39], v[6:7], v[165:166], -v[38:39]
	ds_load_b128 v[6:9], v1 offset:1920
	s_wait_loadcnt_dscnt 0x301
	v_mul_f64_e32 v[36:37], v[2:3], v[12:13]
	v_mul_f64_e32 v[12:13], v[4:5], v[12:13]
	v_add_f64_e32 v[28:29], v[28:29], v[32:33]
	v_add_f64_e32 v[26:27], v[26:27], v[34:35]
	s_wait_loadcnt_dscnt 0x200
	v_mul_f64_e32 v[32:33], v[6:7], v[16:17]
	v_mul_f64_e32 v[16:17], v[8:9], v[16:17]
	v_fma_f64 v[34:35], v[4:5], v[10:11], v[36:37]
	v_fma_f64 v[10:11], v[2:3], v[10:11], -v[12:13]
	ds_load_b128 v[2:5], v1 offset:1936
	v_add_f64_e32 v[12:13], v[26:27], v[38:39]
	v_add_f64_e32 v[26:27], v[28:29], v[30:31]
	s_wait_loadcnt_dscnt 0x100
	v_mul_f64_e32 v[28:29], v[2:3], v[20:21]
	v_mul_f64_e32 v[20:21], v[4:5], v[20:21]
	v_fma_f64 v[8:9], v[8:9], v[14:15], v[32:33]
	v_fma_f64 v[6:7], v[6:7], v[14:15], -v[16:17]
	v_add_f64_e32 v[10:11], v[12:13], v[10:11]
	v_add_f64_e32 v[12:13], v[26:27], v[34:35]
	v_fma_f64 v[4:5], v[4:5], v[18:19], v[28:29]
	v_fma_f64 v[2:3], v[2:3], v[18:19], -v[20:21]
	s_delay_alu instid0(VALU_DEP_4) | instskip(NEXT) | instid1(VALU_DEP_4)
	v_add_f64_e32 v[6:7], v[10:11], v[6:7]
	v_add_f64_e32 v[8:9], v[12:13], v[8:9]
	s_delay_alu instid0(VALU_DEP_2) | instskip(NEXT) | instid1(VALU_DEP_2)
	v_add_f64_e32 v[2:3], v[6:7], v[2:3]
	v_add_f64_e32 v[4:5], v[8:9], v[4:5]
	s_wait_loadcnt 0x0
	s_delay_alu instid0(VALU_DEP_2) | instskip(NEXT) | instid1(VALU_DEP_2)
	v_add_f64_e64 v[2:3], v[22:23], -v[2:3]
	v_add_f64_e64 v[4:5], v[24:25], -v[4:5]
	scratch_store_b128 off, v[2:5], off offset:576
	v_cmpx_lt_u32_e32 34, v0
	s_cbranch_execz .LBB124_323
; %bb.322:
	scratch_load_b128 v[5:8], off, s42
	v_dual_mov_b32 v2, v1 :: v_dual_mov_b32 v3, v1
	v_mov_b32_e32 v4, v1
	scratch_store_b128 off, v[1:4], off offset:560
	s_wait_loadcnt 0x0
	ds_store_b128 v164, v[5:8]
.LBB124_323:
	s_wait_alu 0xfffe
	s_or_b32 exec_lo, exec_lo, s0
	s_wait_storecnt_dscnt 0x0
	s_barrier_signal -1
	s_barrier_wait -1
	global_inv scope:SCOPE_SE
	s_clause 0x7
	scratch_load_b128 v[2:5], off, off offset:576
	scratch_load_b128 v[6:9], off, off offset:592
	;; [unrolled: 1-line block ×8, first 2 shown]
	ds_load_b128 v[34:37], v1 offset:1536
	ds_load_b128 v[165:168], v1 offset:1552
	s_clause 0x1
	scratch_load_b128 v[38:41], off, off offset:704
	scratch_load_b128 v[169:172], off, off offset:720
	s_mov_b32 s0, exec_lo
	s_wait_loadcnt_dscnt 0x901
	v_mul_f64_e32 v[173:174], v[36:37], v[4:5]
	v_mul_f64_e32 v[4:5], v[34:35], v[4:5]
	s_wait_loadcnt_dscnt 0x800
	v_mul_f64_e32 v[175:176], v[165:166], v[8:9]
	v_mul_f64_e32 v[8:9], v[167:168], v[8:9]
	s_delay_alu instid0(VALU_DEP_4) | instskip(NEXT) | instid1(VALU_DEP_4)
	v_fma_f64 v[173:174], v[34:35], v[2:3], -v[173:174]
	v_fma_f64 v[177:178], v[36:37], v[2:3], v[4:5]
	ds_load_b128 v[2:5], v1 offset:1568
	scratch_load_b128 v[34:37], off, off offset:736
	v_fma_f64 v[175:176], v[167:168], v[6:7], v[175:176]
	v_fma_f64 v[181:182], v[165:166], v[6:7], -v[8:9]
	ds_load_b128 v[6:9], v1 offset:1584
	scratch_load_b128 v[165:168], off, off offset:752
	s_wait_loadcnt_dscnt 0x901
	v_mul_f64_e32 v[179:180], v[2:3], v[12:13]
	v_mul_f64_e32 v[12:13], v[4:5], v[12:13]
	s_wait_loadcnt_dscnt 0x800
	v_mul_f64_e32 v[183:184], v[6:7], v[16:17]
	v_mul_f64_e32 v[16:17], v[8:9], v[16:17]
	v_add_f64_e32 v[173:174], 0, v[173:174]
	v_add_f64_e32 v[177:178], 0, v[177:178]
	v_fma_f64 v[179:180], v[4:5], v[10:11], v[179:180]
	v_fma_f64 v[185:186], v[2:3], v[10:11], -v[12:13]
	ds_load_b128 v[2:5], v1 offset:1600
	scratch_load_b128 v[10:13], off, off offset:768
	v_add_f64_e32 v[173:174], v[173:174], v[181:182]
	v_add_f64_e32 v[175:176], v[177:178], v[175:176]
	v_fma_f64 v[181:182], v[8:9], v[14:15], v[183:184]
	v_fma_f64 v[183:184], v[6:7], v[14:15], -v[16:17]
	ds_load_b128 v[6:9], v1 offset:1616
	scratch_load_b128 v[14:17], off, off offset:784
	s_wait_loadcnt_dscnt 0x901
	v_mul_f64_e32 v[177:178], v[2:3], v[20:21]
	v_mul_f64_e32 v[20:21], v[4:5], v[20:21]
	v_add_f64_e32 v[173:174], v[173:174], v[185:186]
	v_add_f64_e32 v[175:176], v[175:176], v[179:180]
	s_wait_loadcnt_dscnt 0x800
	v_mul_f64_e32 v[179:180], v[6:7], v[24:25]
	v_mul_f64_e32 v[24:25], v[8:9], v[24:25]
	v_fma_f64 v[177:178], v[4:5], v[18:19], v[177:178]
	v_fma_f64 v[185:186], v[2:3], v[18:19], -v[20:21]
	ds_load_b128 v[2:5], v1 offset:1632
	scratch_load_b128 v[18:21], off, off offset:800
	v_add_f64_e32 v[173:174], v[173:174], v[183:184]
	v_add_f64_e32 v[175:176], v[175:176], v[181:182]
	v_fma_f64 v[179:180], v[8:9], v[22:23], v[179:180]
	v_fma_f64 v[183:184], v[6:7], v[22:23], -v[24:25]
	ds_load_b128 v[6:9], v1 offset:1648
	s_wait_loadcnt_dscnt 0x801
	v_mul_f64_e32 v[181:182], v[2:3], v[28:29]
	v_mul_f64_e32 v[28:29], v[4:5], v[28:29]
	scratch_load_b128 v[22:25], off, off offset:816
	v_add_f64_e32 v[173:174], v[173:174], v[185:186]
	v_add_f64_e32 v[175:176], v[175:176], v[177:178]
	s_wait_loadcnt_dscnt 0x800
	v_mul_f64_e32 v[177:178], v[6:7], v[32:33]
	v_mul_f64_e32 v[32:33], v[8:9], v[32:33]
	v_fma_f64 v[181:182], v[4:5], v[26:27], v[181:182]
	v_fma_f64 v[185:186], v[2:3], v[26:27], -v[28:29]
	ds_load_b128 v[2:5], v1 offset:1664
	scratch_load_b128 v[26:29], off, off offset:832
	v_add_f64_e32 v[173:174], v[173:174], v[183:184]
	v_add_f64_e32 v[175:176], v[175:176], v[179:180]
	v_fma_f64 v[177:178], v[8:9], v[30:31], v[177:178]
	v_fma_f64 v[183:184], v[6:7], v[30:31], -v[32:33]
	ds_load_b128 v[6:9], v1 offset:1680
	s_wait_loadcnt_dscnt 0x801
	v_mul_f64_e32 v[179:180], v[2:3], v[40:41]
	v_mul_f64_e32 v[40:41], v[4:5], v[40:41]
	scratch_load_b128 v[30:33], off, off offset:848
	v_add_f64_e32 v[173:174], v[173:174], v[185:186]
	v_add_f64_e32 v[175:176], v[175:176], v[181:182]
	s_wait_loadcnt_dscnt 0x800
	v_mul_f64_e32 v[181:182], v[6:7], v[171:172]
	v_mul_f64_e32 v[171:172], v[8:9], v[171:172]
	v_fma_f64 v[179:180], v[4:5], v[38:39], v[179:180]
	v_fma_f64 v[185:186], v[2:3], v[38:39], -v[40:41]
	ds_load_b128 v[2:5], v1 offset:1696
	scratch_load_b128 v[38:41], off, off offset:864
	v_add_f64_e32 v[173:174], v[173:174], v[183:184]
	v_add_f64_e32 v[175:176], v[175:176], v[177:178]
	v_fma_f64 v[181:182], v[8:9], v[169:170], v[181:182]
	v_fma_f64 v[183:184], v[6:7], v[169:170], -v[171:172]
	ds_load_b128 v[6:9], v1 offset:1712
	scratch_load_b128 v[169:172], off, off offset:880
	s_wait_loadcnt_dscnt 0x901
	v_mul_f64_e32 v[177:178], v[2:3], v[36:37]
	v_mul_f64_e32 v[36:37], v[4:5], v[36:37]
	v_add_f64_e32 v[173:174], v[173:174], v[185:186]
	v_add_f64_e32 v[175:176], v[175:176], v[179:180]
	s_wait_loadcnt_dscnt 0x800
	v_mul_f64_e32 v[179:180], v[6:7], v[167:168]
	v_mul_f64_e32 v[167:168], v[8:9], v[167:168]
	v_fma_f64 v[177:178], v[4:5], v[34:35], v[177:178]
	v_fma_f64 v[185:186], v[2:3], v[34:35], -v[36:37]
	ds_load_b128 v[2:5], v1 offset:1728
	scratch_load_b128 v[34:37], off, off offset:896
	v_add_f64_e32 v[173:174], v[173:174], v[183:184]
	v_add_f64_e32 v[175:176], v[175:176], v[181:182]
	v_fma_f64 v[179:180], v[8:9], v[165:166], v[179:180]
	v_fma_f64 v[183:184], v[6:7], v[165:166], -v[167:168]
	ds_load_b128 v[6:9], v1 offset:1744
	s_wait_loadcnt_dscnt 0x801
	v_mul_f64_e32 v[181:182], v[2:3], v[12:13]
	v_mul_f64_e32 v[12:13], v[4:5], v[12:13]
	scratch_load_b128 v[165:168], off, off offset:912
	v_add_f64_e32 v[173:174], v[173:174], v[185:186]
	v_add_f64_e32 v[175:176], v[175:176], v[177:178]
	s_wait_loadcnt_dscnt 0x800
	v_mul_f64_e32 v[177:178], v[6:7], v[16:17]
	v_mul_f64_e32 v[16:17], v[8:9], v[16:17]
	v_fma_f64 v[181:182], v[4:5], v[10:11], v[181:182]
	v_fma_f64 v[185:186], v[2:3], v[10:11], -v[12:13]
	ds_load_b128 v[2:5], v1 offset:1760
	scratch_load_b128 v[10:13], off, off offset:928
	v_add_f64_e32 v[173:174], v[173:174], v[183:184]
	v_add_f64_e32 v[175:176], v[175:176], v[179:180]
	v_fma_f64 v[177:178], v[8:9], v[14:15], v[177:178]
	v_fma_f64 v[183:184], v[6:7], v[14:15], -v[16:17]
	ds_load_b128 v[6:9], v1 offset:1776
	s_wait_loadcnt_dscnt 0x801
	v_mul_f64_e32 v[179:180], v[2:3], v[20:21]
	v_mul_f64_e32 v[20:21], v[4:5], v[20:21]
	scratch_load_b128 v[14:17], off, off offset:944
	;; [unrolled: 18-line block ×3, first 2 shown]
	v_add_f64_e32 v[173:174], v[173:174], v[185:186]
	v_add_f64_e32 v[175:176], v[175:176], v[179:180]
	s_wait_loadcnt_dscnt 0x800
	v_mul_f64_e32 v[179:180], v[6:7], v[32:33]
	v_mul_f64_e32 v[32:33], v[8:9], v[32:33]
	v_fma_f64 v[177:178], v[4:5], v[26:27], v[177:178]
	v_fma_f64 v[26:27], v[2:3], v[26:27], -v[28:29]
	ds_load_b128 v[2:5], v1 offset:1824
	v_add_f64_e32 v[28:29], v[173:174], v[183:184]
	v_add_f64_e32 v[173:174], v[175:176], v[181:182]
	v_fma_f64 v[179:180], v[8:9], v[30:31], v[179:180]
	v_fma_f64 v[30:31], v[6:7], v[30:31], -v[32:33]
	ds_load_b128 v[6:9], v1 offset:1840
	s_wait_loadcnt_dscnt 0x701
	v_mul_f64_e32 v[175:176], v[2:3], v[40:41]
	v_mul_f64_e32 v[40:41], v[4:5], v[40:41]
	v_add_f64_e32 v[26:27], v[28:29], v[26:27]
	v_add_f64_e32 v[28:29], v[173:174], v[177:178]
	s_delay_alu instid0(VALU_DEP_4) | instskip(NEXT) | instid1(VALU_DEP_4)
	v_fma_f64 v[173:174], v[4:5], v[38:39], v[175:176]
	v_fma_f64 v[38:39], v[2:3], v[38:39], -v[40:41]
	ds_load_b128 v[2:5], v1 offset:1856
	v_add_f64_e32 v[30:31], v[26:27], v[30:31]
	v_add_f64_e32 v[40:41], v[28:29], v[179:180]
	scratch_load_b128 v[26:29], off, off offset:560
	s_wait_loadcnt_dscnt 0x701
	v_mul_f64_e32 v[32:33], v[6:7], v[171:172]
	v_mul_f64_e32 v[171:172], v[8:9], v[171:172]
	v_add_f64_e32 v[30:31], v[30:31], v[38:39]
	v_add_f64_e32 v[38:39], v[40:41], v[173:174]
	s_delay_alu instid0(VALU_DEP_4) | instskip(NEXT) | instid1(VALU_DEP_4)
	v_fma_f64 v[32:33], v[8:9], v[169:170], v[32:33]
	v_fma_f64 v[169:170], v[6:7], v[169:170], -v[171:172]
	ds_load_b128 v[6:9], v1 offset:1872
	s_wait_loadcnt_dscnt 0x601
	v_mul_f64_e32 v[175:176], v[2:3], v[36:37]
	v_mul_f64_e32 v[36:37], v[4:5], v[36:37]
	s_wait_loadcnt_dscnt 0x500
	v_mul_f64_e32 v[40:41], v[6:7], v[167:168]
	v_mul_f64_e32 v[167:168], v[8:9], v[167:168]
	v_add_f64_e32 v[32:33], v[38:39], v[32:33]
	v_add_f64_e32 v[30:31], v[30:31], v[169:170]
	v_fma_f64 v[171:172], v[4:5], v[34:35], v[175:176]
	v_fma_f64 v[34:35], v[2:3], v[34:35], -v[36:37]
	ds_load_b128 v[2:5], v1 offset:1888
	v_fma_f64 v[38:39], v[8:9], v[165:166], v[40:41]
	v_fma_f64 v[40:41], v[6:7], v[165:166], -v[167:168]
	ds_load_b128 v[6:9], v1 offset:1904
	s_wait_loadcnt_dscnt 0x401
	v_mul_f64_e32 v[36:37], v[2:3], v[12:13]
	v_mul_f64_e32 v[12:13], v[4:5], v[12:13]
	v_add_f64_e32 v[32:33], v[32:33], v[171:172]
	v_add_f64_e32 v[30:31], v[30:31], v[34:35]
	s_wait_loadcnt_dscnt 0x300
	v_mul_f64_e32 v[34:35], v[6:7], v[16:17]
	v_mul_f64_e32 v[16:17], v[8:9], v[16:17]
	v_fma_f64 v[36:37], v[4:5], v[10:11], v[36:37]
	v_fma_f64 v[10:11], v[2:3], v[10:11], -v[12:13]
	ds_load_b128 v[2:5], v1 offset:1920
	v_add_f64_e32 v[12:13], v[30:31], v[40:41]
	v_add_f64_e32 v[30:31], v[32:33], v[38:39]
	v_fma_f64 v[34:35], v[8:9], v[14:15], v[34:35]
	v_fma_f64 v[14:15], v[6:7], v[14:15], -v[16:17]
	ds_load_b128 v[6:9], v1 offset:1936
	s_wait_loadcnt_dscnt 0x201
	v_mul_f64_e32 v[32:33], v[2:3], v[20:21]
	v_mul_f64_e32 v[20:21], v[4:5], v[20:21]
	s_wait_loadcnt_dscnt 0x100
	v_mul_f64_e32 v[16:17], v[6:7], v[24:25]
	v_mul_f64_e32 v[24:25], v[8:9], v[24:25]
	v_add_f64_e32 v[10:11], v[12:13], v[10:11]
	v_add_f64_e32 v[12:13], v[30:31], v[36:37]
	v_fma_f64 v[4:5], v[4:5], v[18:19], v[32:33]
	v_fma_f64 v[1:2], v[2:3], v[18:19], -v[20:21]
	v_fma_f64 v[8:9], v[8:9], v[22:23], v[16:17]
	v_fma_f64 v[6:7], v[6:7], v[22:23], -v[24:25]
	v_add_f64_e32 v[10:11], v[10:11], v[14:15]
	v_add_f64_e32 v[12:13], v[12:13], v[34:35]
	s_delay_alu instid0(VALU_DEP_2) | instskip(NEXT) | instid1(VALU_DEP_2)
	v_add_f64_e32 v[1:2], v[10:11], v[1:2]
	v_add_f64_e32 v[3:4], v[12:13], v[4:5]
	s_delay_alu instid0(VALU_DEP_2) | instskip(NEXT) | instid1(VALU_DEP_2)
	v_add_f64_e32 v[1:2], v[1:2], v[6:7]
	v_add_f64_e32 v[3:4], v[3:4], v[8:9]
	s_wait_loadcnt 0x0
	s_delay_alu instid0(VALU_DEP_2) | instskip(NEXT) | instid1(VALU_DEP_2)
	v_add_f64_e64 v[1:2], v[26:27], -v[1:2]
	v_add_f64_e64 v[3:4], v[28:29], -v[3:4]
	scratch_store_b128 off, v[1:4], off offset:560
	v_cmpx_lt_u32_e32 33, v0
	s_cbranch_execz .LBB124_325
; %bb.324:
	scratch_load_b128 v[1:4], off, s43
	v_mov_b32_e32 v5, 0
	s_delay_alu instid0(VALU_DEP_1)
	v_dual_mov_b32 v6, v5 :: v_dual_mov_b32 v7, v5
	v_mov_b32_e32 v8, v5
	scratch_store_b128 off, v[5:8], off offset:544
	s_wait_loadcnt 0x0
	ds_store_b128 v164, v[1:4]
.LBB124_325:
	s_wait_alu 0xfffe
	s_or_b32 exec_lo, exec_lo, s0
	s_wait_storecnt_dscnt 0x0
	s_barrier_signal -1
	s_barrier_wait -1
	global_inv scope:SCOPE_SE
	s_clause 0x7
	scratch_load_b128 v[2:5], off, off offset:560
	scratch_load_b128 v[6:9], off, off offset:576
	;; [unrolled: 1-line block ×8, first 2 shown]
	v_mov_b32_e32 v1, 0
	s_clause 0x1
	scratch_load_b128 v[38:41], off, off offset:688
	scratch_load_b128 v[169:172], off, off offset:704
	s_mov_b32 s0, exec_lo
	ds_load_b128 v[34:37], v1 offset:1520
	ds_load_b128 v[165:168], v1 offset:1536
	s_wait_loadcnt_dscnt 0x901
	v_mul_f64_e32 v[173:174], v[36:37], v[4:5]
	v_mul_f64_e32 v[4:5], v[34:35], v[4:5]
	s_wait_loadcnt_dscnt 0x800
	v_mul_f64_e32 v[175:176], v[165:166], v[8:9]
	v_mul_f64_e32 v[8:9], v[167:168], v[8:9]
	s_delay_alu instid0(VALU_DEP_4) | instskip(NEXT) | instid1(VALU_DEP_4)
	v_fma_f64 v[173:174], v[34:35], v[2:3], -v[173:174]
	v_fma_f64 v[177:178], v[36:37], v[2:3], v[4:5]
	ds_load_b128 v[2:5], v1 offset:1552
	scratch_load_b128 v[34:37], off, off offset:720
	v_fma_f64 v[175:176], v[167:168], v[6:7], v[175:176]
	v_fma_f64 v[181:182], v[165:166], v[6:7], -v[8:9]
	ds_load_b128 v[6:9], v1 offset:1568
	scratch_load_b128 v[165:168], off, off offset:736
	s_wait_loadcnt_dscnt 0x901
	v_mul_f64_e32 v[179:180], v[2:3], v[12:13]
	v_mul_f64_e32 v[12:13], v[4:5], v[12:13]
	s_wait_loadcnt_dscnt 0x800
	v_mul_f64_e32 v[183:184], v[6:7], v[16:17]
	v_mul_f64_e32 v[16:17], v[8:9], v[16:17]
	v_add_f64_e32 v[173:174], 0, v[173:174]
	v_add_f64_e32 v[177:178], 0, v[177:178]
	v_fma_f64 v[179:180], v[4:5], v[10:11], v[179:180]
	v_fma_f64 v[185:186], v[2:3], v[10:11], -v[12:13]
	ds_load_b128 v[2:5], v1 offset:1584
	scratch_load_b128 v[10:13], off, off offset:752
	v_add_f64_e32 v[173:174], v[173:174], v[181:182]
	v_add_f64_e32 v[175:176], v[177:178], v[175:176]
	v_fma_f64 v[181:182], v[8:9], v[14:15], v[183:184]
	v_fma_f64 v[183:184], v[6:7], v[14:15], -v[16:17]
	ds_load_b128 v[6:9], v1 offset:1600
	scratch_load_b128 v[14:17], off, off offset:768
	s_wait_loadcnt_dscnt 0x901
	v_mul_f64_e32 v[177:178], v[2:3], v[20:21]
	v_mul_f64_e32 v[20:21], v[4:5], v[20:21]
	v_add_f64_e32 v[173:174], v[173:174], v[185:186]
	v_add_f64_e32 v[175:176], v[175:176], v[179:180]
	s_wait_loadcnt_dscnt 0x800
	v_mul_f64_e32 v[179:180], v[6:7], v[24:25]
	v_mul_f64_e32 v[24:25], v[8:9], v[24:25]
	v_fma_f64 v[177:178], v[4:5], v[18:19], v[177:178]
	v_fma_f64 v[185:186], v[2:3], v[18:19], -v[20:21]
	ds_load_b128 v[2:5], v1 offset:1616
	scratch_load_b128 v[18:21], off, off offset:784
	v_add_f64_e32 v[173:174], v[173:174], v[183:184]
	v_add_f64_e32 v[175:176], v[175:176], v[181:182]
	v_fma_f64 v[179:180], v[8:9], v[22:23], v[179:180]
	v_fma_f64 v[183:184], v[6:7], v[22:23], -v[24:25]
	ds_load_b128 v[6:9], v1 offset:1632
	s_wait_loadcnt_dscnt 0x801
	v_mul_f64_e32 v[181:182], v[2:3], v[28:29]
	v_mul_f64_e32 v[28:29], v[4:5], v[28:29]
	scratch_load_b128 v[22:25], off, off offset:800
	v_add_f64_e32 v[173:174], v[173:174], v[185:186]
	v_add_f64_e32 v[175:176], v[175:176], v[177:178]
	s_wait_loadcnt_dscnt 0x800
	v_mul_f64_e32 v[177:178], v[6:7], v[32:33]
	v_mul_f64_e32 v[32:33], v[8:9], v[32:33]
	v_fma_f64 v[181:182], v[4:5], v[26:27], v[181:182]
	v_fma_f64 v[185:186], v[2:3], v[26:27], -v[28:29]
	ds_load_b128 v[2:5], v1 offset:1648
	scratch_load_b128 v[26:29], off, off offset:816
	v_add_f64_e32 v[173:174], v[173:174], v[183:184]
	v_add_f64_e32 v[175:176], v[175:176], v[179:180]
	v_fma_f64 v[177:178], v[8:9], v[30:31], v[177:178]
	v_fma_f64 v[183:184], v[6:7], v[30:31], -v[32:33]
	ds_load_b128 v[6:9], v1 offset:1664
	s_wait_loadcnt_dscnt 0x801
	v_mul_f64_e32 v[179:180], v[2:3], v[40:41]
	v_mul_f64_e32 v[40:41], v[4:5], v[40:41]
	scratch_load_b128 v[30:33], off, off offset:832
	v_add_f64_e32 v[173:174], v[173:174], v[185:186]
	v_add_f64_e32 v[175:176], v[175:176], v[181:182]
	s_wait_loadcnt_dscnt 0x800
	v_mul_f64_e32 v[181:182], v[6:7], v[171:172]
	v_mul_f64_e32 v[171:172], v[8:9], v[171:172]
	v_fma_f64 v[179:180], v[4:5], v[38:39], v[179:180]
	v_fma_f64 v[185:186], v[2:3], v[38:39], -v[40:41]
	ds_load_b128 v[2:5], v1 offset:1680
	scratch_load_b128 v[38:41], off, off offset:848
	v_add_f64_e32 v[173:174], v[173:174], v[183:184]
	v_add_f64_e32 v[175:176], v[175:176], v[177:178]
	v_fma_f64 v[181:182], v[8:9], v[169:170], v[181:182]
	v_fma_f64 v[183:184], v[6:7], v[169:170], -v[171:172]
	ds_load_b128 v[6:9], v1 offset:1696
	scratch_load_b128 v[169:172], off, off offset:864
	s_wait_loadcnt_dscnt 0x901
	v_mul_f64_e32 v[177:178], v[2:3], v[36:37]
	v_mul_f64_e32 v[36:37], v[4:5], v[36:37]
	v_add_f64_e32 v[173:174], v[173:174], v[185:186]
	v_add_f64_e32 v[175:176], v[175:176], v[179:180]
	s_wait_loadcnt_dscnt 0x800
	v_mul_f64_e32 v[179:180], v[6:7], v[167:168]
	v_mul_f64_e32 v[167:168], v[8:9], v[167:168]
	v_fma_f64 v[177:178], v[4:5], v[34:35], v[177:178]
	v_fma_f64 v[185:186], v[2:3], v[34:35], -v[36:37]
	ds_load_b128 v[2:5], v1 offset:1712
	scratch_load_b128 v[34:37], off, off offset:880
	v_add_f64_e32 v[173:174], v[173:174], v[183:184]
	v_add_f64_e32 v[175:176], v[175:176], v[181:182]
	v_fma_f64 v[179:180], v[8:9], v[165:166], v[179:180]
	v_fma_f64 v[183:184], v[6:7], v[165:166], -v[167:168]
	ds_load_b128 v[6:9], v1 offset:1728
	s_wait_loadcnt_dscnt 0x801
	v_mul_f64_e32 v[181:182], v[2:3], v[12:13]
	v_mul_f64_e32 v[12:13], v[4:5], v[12:13]
	scratch_load_b128 v[165:168], off, off offset:896
	v_add_f64_e32 v[173:174], v[173:174], v[185:186]
	v_add_f64_e32 v[175:176], v[175:176], v[177:178]
	s_wait_loadcnt_dscnt 0x800
	v_mul_f64_e32 v[177:178], v[6:7], v[16:17]
	v_mul_f64_e32 v[16:17], v[8:9], v[16:17]
	v_fma_f64 v[181:182], v[4:5], v[10:11], v[181:182]
	v_fma_f64 v[185:186], v[2:3], v[10:11], -v[12:13]
	ds_load_b128 v[2:5], v1 offset:1744
	scratch_load_b128 v[10:13], off, off offset:912
	v_add_f64_e32 v[173:174], v[173:174], v[183:184]
	v_add_f64_e32 v[175:176], v[175:176], v[179:180]
	v_fma_f64 v[177:178], v[8:9], v[14:15], v[177:178]
	v_fma_f64 v[183:184], v[6:7], v[14:15], -v[16:17]
	ds_load_b128 v[6:9], v1 offset:1760
	s_wait_loadcnt_dscnt 0x801
	v_mul_f64_e32 v[179:180], v[2:3], v[20:21]
	v_mul_f64_e32 v[20:21], v[4:5], v[20:21]
	scratch_load_b128 v[14:17], off, off offset:928
	;; [unrolled: 18-line block ×3, first 2 shown]
	v_add_f64_e32 v[173:174], v[173:174], v[185:186]
	v_add_f64_e32 v[175:176], v[175:176], v[179:180]
	s_wait_loadcnt_dscnt 0x800
	v_mul_f64_e32 v[179:180], v[6:7], v[32:33]
	v_mul_f64_e32 v[32:33], v[8:9], v[32:33]
	v_fma_f64 v[177:178], v[4:5], v[26:27], v[177:178]
	v_fma_f64 v[185:186], v[2:3], v[26:27], -v[28:29]
	ds_load_b128 v[2:5], v1 offset:1808
	scratch_load_b128 v[26:29], off, off offset:976
	v_add_f64_e32 v[173:174], v[173:174], v[183:184]
	v_add_f64_e32 v[175:176], v[175:176], v[181:182]
	v_fma_f64 v[179:180], v[8:9], v[30:31], v[179:180]
	v_fma_f64 v[30:31], v[6:7], v[30:31], -v[32:33]
	ds_load_b128 v[6:9], v1 offset:1824
	s_wait_loadcnt_dscnt 0x801
	v_mul_f64_e32 v[181:182], v[2:3], v[40:41]
	v_mul_f64_e32 v[40:41], v[4:5], v[40:41]
	v_add_f64_e32 v[32:33], v[173:174], v[185:186]
	v_add_f64_e32 v[173:174], v[175:176], v[177:178]
	s_wait_loadcnt_dscnt 0x700
	v_mul_f64_e32 v[175:176], v[6:7], v[171:172]
	v_mul_f64_e32 v[171:172], v[8:9], v[171:172]
	v_fma_f64 v[177:178], v[4:5], v[38:39], v[181:182]
	v_fma_f64 v[38:39], v[2:3], v[38:39], -v[40:41]
	ds_load_b128 v[2:5], v1 offset:1840
	v_add_f64_e32 v[30:31], v[32:33], v[30:31]
	v_add_f64_e32 v[32:33], v[173:174], v[179:180]
	v_fma_f64 v[173:174], v[8:9], v[169:170], v[175:176]
	v_fma_f64 v[169:170], v[6:7], v[169:170], -v[171:172]
	ds_load_b128 v[6:9], v1 offset:1856
	s_wait_loadcnt_dscnt 0x500
	v_mul_f64_e32 v[175:176], v[6:7], v[167:168]
	v_mul_f64_e32 v[167:168], v[8:9], v[167:168]
	v_add_f64_e32 v[38:39], v[30:31], v[38:39]
	v_add_f64_e32 v[171:172], v[32:33], v[177:178]
	scratch_load_b128 v[30:33], off, off offset:544
	v_mul_f64_e32 v[40:41], v[2:3], v[36:37]
	v_mul_f64_e32 v[36:37], v[4:5], v[36:37]
	s_delay_alu instid0(VALU_DEP_2) | instskip(NEXT) | instid1(VALU_DEP_2)
	v_fma_f64 v[40:41], v[4:5], v[34:35], v[40:41]
	v_fma_f64 v[34:35], v[2:3], v[34:35], -v[36:37]
	v_add_f64_e32 v[36:37], v[38:39], v[169:170]
	v_add_f64_e32 v[38:39], v[171:172], v[173:174]
	ds_load_b128 v[2:5], v1 offset:1872
	v_fma_f64 v[171:172], v[8:9], v[165:166], v[175:176]
	v_fma_f64 v[165:166], v[6:7], v[165:166], -v[167:168]
	ds_load_b128 v[6:9], v1 offset:1888
	s_wait_loadcnt_dscnt 0x501
	v_mul_f64_e32 v[169:170], v[2:3], v[12:13]
	v_mul_f64_e32 v[12:13], v[4:5], v[12:13]
	v_add_f64_e32 v[34:35], v[36:37], v[34:35]
	v_add_f64_e32 v[36:37], v[38:39], v[40:41]
	s_wait_loadcnt_dscnt 0x400
	v_mul_f64_e32 v[38:39], v[6:7], v[16:17]
	v_mul_f64_e32 v[16:17], v[8:9], v[16:17]
	v_fma_f64 v[40:41], v[4:5], v[10:11], v[169:170]
	v_fma_f64 v[10:11], v[2:3], v[10:11], -v[12:13]
	ds_load_b128 v[2:5], v1 offset:1904
	v_add_f64_e32 v[12:13], v[34:35], v[165:166]
	v_add_f64_e32 v[34:35], v[36:37], v[171:172]
	v_fma_f64 v[38:39], v[8:9], v[14:15], v[38:39]
	v_fma_f64 v[14:15], v[6:7], v[14:15], -v[16:17]
	ds_load_b128 v[6:9], v1 offset:1920
	s_wait_loadcnt_dscnt 0x301
	v_mul_f64_e32 v[36:37], v[2:3], v[20:21]
	v_mul_f64_e32 v[20:21], v[4:5], v[20:21]
	s_wait_loadcnt_dscnt 0x200
	v_mul_f64_e32 v[16:17], v[6:7], v[24:25]
	v_mul_f64_e32 v[24:25], v[8:9], v[24:25]
	v_add_f64_e32 v[10:11], v[12:13], v[10:11]
	v_add_f64_e32 v[12:13], v[34:35], v[40:41]
	v_fma_f64 v[34:35], v[4:5], v[18:19], v[36:37]
	v_fma_f64 v[18:19], v[2:3], v[18:19], -v[20:21]
	ds_load_b128 v[2:5], v1 offset:1936
	v_fma_f64 v[8:9], v[8:9], v[22:23], v[16:17]
	v_fma_f64 v[6:7], v[6:7], v[22:23], -v[24:25]
	s_wait_loadcnt_dscnt 0x100
	v_mul_f64_e32 v[20:21], v[4:5], v[28:29]
	v_add_f64_e32 v[10:11], v[10:11], v[14:15]
	v_add_f64_e32 v[12:13], v[12:13], v[38:39]
	v_mul_f64_e32 v[14:15], v[2:3], v[28:29]
	s_delay_alu instid0(VALU_DEP_4) | instskip(NEXT) | instid1(VALU_DEP_4)
	v_fma_f64 v[2:3], v[2:3], v[26:27], -v[20:21]
	v_add_f64_e32 v[10:11], v[10:11], v[18:19]
	s_delay_alu instid0(VALU_DEP_4) | instskip(NEXT) | instid1(VALU_DEP_4)
	v_add_f64_e32 v[12:13], v[12:13], v[34:35]
	v_fma_f64 v[4:5], v[4:5], v[26:27], v[14:15]
	s_delay_alu instid0(VALU_DEP_3) | instskip(NEXT) | instid1(VALU_DEP_3)
	v_add_f64_e32 v[6:7], v[10:11], v[6:7]
	v_add_f64_e32 v[8:9], v[12:13], v[8:9]
	s_delay_alu instid0(VALU_DEP_2) | instskip(NEXT) | instid1(VALU_DEP_2)
	v_add_f64_e32 v[2:3], v[6:7], v[2:3]
	v_add_f64_e32 v[4:5], v[8:9], v[4:5]
	s_wait_loadcnt 0x0
	s_delay_alu instid0(VALU_DEP_2) | instskip(NEXT) | instid1(VALU_DEP_2)
	v_add_f64_e64 v[2:3], v[30:31], -v[2:3]
	v_add_f64_e64 v[4:5], v[32:33], -v[4:5]
	scratch_store_b128 off, v[2:5], off offset:544
	v_cmpx_lt_u32_e32 32, v0
	s_cbranch_execz .LBB124_327
; %bb.326:
	scratch_load_b128 v[5:8], off, s44
	v_dual_mov_b32 v2, v1 :: v_dual_mov_b32 v3, v1
	v_mov_b32_e32 v4, v1
	scratch_store_b128 off, v[1:4], off offset:528
	s_wait_loadcnt 0x0
	ds_store_b128 v164, v[5:8]
.LBB124_327:
	s_wait_alu 0xfffe
	s_or_b32 exec_lo, exec_lo, s0
	s_wait_storecnt_dscnt 0x0
	s_barrier_signal -1
	s_barrier_wait -1
	global_inv scope:SCOPE_SE
	s_clause 0x7
	scratch_load_b128 v[2:5], off, off offset:544
	scratch_load_b128 v[6:9], off, off offset:560
	scratch_load_b128 v[10:13], off, off offset:576
	scratch_load_b128 v[14:17], off, off offset:592
	scratch_load_b128 v[18:21], off, off offset:608
	scratch_load_b128 v[22:25], off, off offset:624
	scratch_load_b128 v[26:29], off, off offset:640
	scratch_load_b128 v[30:33], off, off offset:656
	ds_load_b128 v[34:37], v1 offset:1504
	ds_load_b128 v[165:168], v1 offset:1520
	s_clause 0x1
	scratch_load_b128 v[38:41], off, off offset:672
	scratch_load_b128 v[169:172], off, off offset:688
	s_mov_b32 s0, exec_lo
	s_wait_loadcnt_dscnt 0x901
	v_mul_f64_e32 v[173:174], v[36:37], v[4:5]
	v_mul_f64_e32 v[4:5], v[34:35], v[4:5]
	s_wait_loadcnt_dscnt 0x800
	v_mul_f64_e32 v[175:176], v[165:166], v[8:9]
	v_mul_f64_e32 v[8:9], v[167:168], v[8:9]
	s_delay_alu instid0(VALU_DEP_4) | instskip(NEXT) | instid1(VALU_DEP_4)
	v_fma_f64 v[173:174], v[34:35], v[2:3], -v[173:174]
	v_fma_f64 v[177:178], v[36:37], v[2:3], v[4:5]
	scratch_load_b128 v[34:37], off, off offset:704
	ds_load_b128 v[2:5], v1 offset:1536
	v_fma_f64 v[175:176], v[167:168], v[6:7], v[175:176]
	v_fma_f64 v[181:182], v[165:166], v[6:7], -v[8:9]
	ds_load_b128 v[6:9], v1 offset:1552
	scratch_load_b128 v[165:168], off, off offset:720
	s_wait_loadcnt_dscnt 0x901
	v_mul_f64_e32 v[179:180], v[2:3], v[12:13]
	v_mul_f64_e32 v[12:13], v[4:5], v[12:13]
	s_wait_loadcnt_dscnt 0x800
	v_mul_f64_e32 v[183:184], v[6:7], v[16:17]
	v_mul_f64_e32 v[16:17], v[8:9], v[16:17]
	v_add_f64_e32 v[173:174], 0, v[173:174]
	v_add_f64_e32 v[177:178], 0, v[177:178]
	v_fma_f64 v[179:180], v[4:5], v[10:11], v[179:180]
	v_fma_f64 v[185:186], v[2:3], v[10:11], -v[12:13]
	ds_load_b128 v[2:5], v1 offset:1568
	scratch_load_b128 v[10:13], off, off offset:736
	v_add_f64_e32 v[173:174], v[173:174], v[181:182]
	v_add_f64_e32 v[175:176], v[177:178], v[175:176]
	v_fma_f64 v[181:182], v[8:9], v[14:15], v[183:184]
	v_fma_f64 v[183:184], v[6:7], v[14:15], -v[16:17]
	ds_load_b128 v[6:9], v1 offset:1584
	scratch_load_b128 v[14:17], off, off offset:752
	s_wait_loadcnt_dscnt 0x901
	v_mul_f64_e32 v[177:178], v[2:3], v[20:21]
	v_mul_f64_e32 v[20:21], v[4:5], v[20:21]
	v_add_f64_e32 v[173:174], v[173:174], v[185:186]
	v_add_f64_e32 v[175:176], v[175:176], v[179:180]
	s_wait_loadcnt_dscnt 0x800
	v_mul_f64_e32 v[179:180], v[6:7], v[24:25]
	v_mul_f64_e32 v[24:25], v[8:9], v[24:25]
	v_fma_f64 v[177:178], v[4:5], v[18:19], v[177:178]
	v_fma_f64 v[185:186], v[2:3], v[18:19], -v[20:21]
	ds_load_b128 v[2:5], v1 offset:1600
	scratch_load_b128 v[18:21], off, off offset:768
	v_add_f64_e32 v[173:174], v[173:174], v[183:184]
	v_add_f64_e32 v[175:176], v[175:176], v[181:182]
	v_fma_f64 v[179:180], v[8:9], v[22:23], v[179:180]
	v_fma_f64 v[183:184], v[6:7], v[22:23], -v[24:25]
	ds_load_b128 v[6:9], v1 offset:1616
	s_wait_loadcnt_dscnt 0x801
	v_mul_f64_e32 v[181:182], v[2:3], v[28:29]
	v_mul_f64_e32 v[28:29], v[4:5], v[28:29]
	scratch_load_b128 v[22:25], off, off offset:784
	v_add_f64_e32 v[173:174], v[173:174], v[185:186]
	v_add_f64_e32 v[175:176], v[175:176], v[177:178]
	s_wait_loadcnt_dscnt 0x800
	v_mul_f64_e32 v[177:178], v[6:7], v[32:33]
	v_mul_f64_e32 v[32:33], v[8:9], v[32:33]
	v_fma_f64 v[181:182], v[4:5], v[26:27], v[181:182]
	v_fma_f64 v[185:186], v[2:3], v[26:27], -v[28:29]
	ds_load_b128 v[2:5], v1 offset:1632
	scratch_load_b128 v[26:29], off, off offset:800
	v_add_f64_e32 v[173:174], v[173:174], v[183:184]
	v_add_f64_e32 v[175:176], v[175:176], v[179:180]
	v_fma_f64 v[177:178], v[8:9], v[30:31], v[177:178]
	v_fma_f64 v[183:184], v[6:7], v[30:31], -v[32:33]
	ds_load_b128 v[6:9], v1 offset:1648
	s_wait_loadcnt_dscnt 0x801
	v_mul_f64_e32 v[179:180], v[2:3], v[40:41]
	v_mul_f64_e32 v[40:41], v[4:5], v[40:41]
	scratch_load_b128 v[30:33], off, off offset:816
	v_add_f64_e32 v[173:174], v[173:174], v[185:186]
	v_add_f64_e32 v[175:176], v[175:176], v[181:182]
	s_wait_loadcnt_dscnt 0x800
	v_mul_f64_e32 v[181:182], v[6:7], v[171:172]
	v_mul_f64_e32 v[171:172], v[8:9], v[171:172]
	v_fma_f64 v[179:180], v[4:5], v[38:39], v[179:180]
	v_fma_f64 v[185:186], v[2:3], v[38:39], -v[40:41]
	ds_load_b128 v[2:5], v1 offset:1664
	scratch_load_b128 v[38:41], off, off offset:832
	v_add_f64_e32 v[173:174], v[173:174], v[183:184]
	v_add_f64_e32 v[175:176], v[175:176], v[177:178]
	v_fma_f64 v[181:182], v[8:9], v[169:170], v[181:182]
	v_fma_f64 v[183:184], v[6:7], v[169:170], -v[171:172]
	ds_load_b128 v[6:9], v1 offset:1680
	scratch_load_b128 v[169:172], off, off offset:848
	s_wait_loadcnt_dscnt 0x901
	v_mul_f64_e32 v[177:178], v[2:3], v[36:37]
	v_mul_f64_e32 v[36:37], v[4:5], v[36:37]
	v_add_f64_e32 v[173:174], v[173:174], v[185:186]
	v_add_f64_e32 v[175:176], v[175:176], v[179:180]
	s_wait_loadcnt_dscnt 0x800
	v_mul_f64_e32 v[179:180], v[6:7], v[167:168]
	v_mul_f64_e32 v[167:168], v[8:9], v[167:168]
	v_fma_f64 v[177:178], v[4:5], v[34:35], v[177:178]
	v_fma_f64 v[185:186], v[2:3], v[34:35], -v[36:37]
	scratch_load_b128 v[34:37], off, off offset:864
	ds_load_b128 v[2:5], v1 offset:1696
	v_add_f64_e32 v[173:174], v[173:174], v[183:184]
	v_add_f64_e32 v[175:176], v[175:176], v[181:182]
	v_fma_f64 v[179:180], v[8:9], v[165:166], v[179:180]
	v_fma_f64 v[183:184], v[6:7], v[165:166], -v[167:168]
	ds_load_b128 v[6:9], v1 offset:1712
	s_wait_loadcnt_dscnt 0x801
	v_mul_f64_e32 v[181:182], v[2:3], v[12:13]
	v_mul_f64_e32 v[12:13], v[4:5], v[12:13]
	scratch_load_b128 v[165:168], off, off offset:880
	v_add_f64_e32 v[173:174], v[173:174], v[185:186]
	v_add_f64_e32 v[175:176], v[175:176], v[177:178]
	s_wait_loadcnt_dscnt 0x800
	v_mul_f64_e32 v[177:178], v[6:7], v[16:17]
	v_mul_f64_e32 v[16:17], v[8:9], v[16:17]
	v_fma_f64 v[181:182], v[4:5], v[10:11], v[181:182]
	v_fma_f64 v[185:186], v[2:3], v[10:11], -v[12:13]
	ds_load_b128 v[2:5], v1 offset:1728
	scratch_load_b128 v[10:13], off, off offset:896
	v_add_f64_e32 v[173:174], v[173:174], v[183:184]
	v_add_f64_e32 v[175:176], v[175:176], v[179:180]
	v_fma_f64 v[177:178], v[8:9], v[14:15], v[177:178]
	v_fma_f64 v[183:184], v[6:7], v[14:15], -v[16:17]
	ds_load_b128 v[6:9], v1 offset:1744
	s_wait_loadcnt_dscnt 0x801
	v_mul_f64_e32 v[179:180], v[2:3], v[20:21]
	v_mul_f64_e32 v[20:21], v[4:5], v[20:21]
	scratch_load_b128 v[14:17], off, off offset:912
	v_add_f64_e32 v[173:174], v[173:174], v[185:186]
	v_add_f64_e32 v[175:176], v[175:176], v[181:182]
	s_wait_loadcnt_dscnt 0x800
	v_mul_f64_e32 v[181:182], v[6:7], v[24:25]
	v_mul_f64_e32 v[24:25], v[8:9], v[24:25]
	v_fma_f64 v[179:180], v[4:5], v[18:19], v[179:180]
	v_fma_f64 v[185:186], v[2:3], v[18:19], -v[20:21]
	ds_load_b128 v[2:5], v1 offset:1760
	scratch_load_b128 v[18:21], off, off offset:928
	;; [unrolled: 18-line block ×3, first 2 shown]
	v_add_f64_e32 v[173:174], v[173:174], v[183:184]
	v_add_f64_e32 v[175:176], v[175:176], v[181:182]
	v_fma_f64 v[179:180], v[8:9], v[30:31], v[179:180]
	v_fma_f64 v[183:184], v[6:7], v[30:31], -v[32:33]
	ds_load_b128 v[6:9], v1 offset:1808
	s_wait_loadcnt_dscnt 0x801
	v_mul_f64_e32 v[181:182], v[2:3], v[40:41]
	v_mul_f64_e32 v[40:41], v[4:5], v[40:41]
	scratch_load_b128 v[30:33], off, off offset:976
	v_add_f64_e32 v[173:174], v[173:174], v[185:186]
	v_add_f64_e32 v[175:176], v[175:176], v[177:178]
	v_fma_f64 v[181:182], v[4:5], v[38:39], v[181:182]
	v_fma_f64 v[38:39], v[2:3], v[38:39], -v[40:41]
	ds_load_b128 v[2:5], v1 offset:1824
	v_add_f64_e32 v[40:41], v[173:174], v[183:184]
	v_add_f64_e32 v[173:174], v[175:176], v[179:180]
	s_wait_loadcnt_dscnt 0x700
	v_mul_f64_e32 v[175:176], v[2:3], v[36:37]
	v_mul_f64_e32 v[36:37], v[4:5], v[36:37]
	s_delay_alu instid0(VALU_DEP_4) | instskip(NEXT) | instid1(VALU_DEP_4)
	v_add_f64_e32 v[38:39], v[40:41], v[38:39]
	v_add_f64_e32 v[40:41], v[173:174], v[181:182]
	s_delay_alu instid0(VALU_DEP_4) | instskip(NEXT) | instid1(VALU_DEP_4)
	v_fma_f64 v[173:174], v[4:5], v[34:35], v[175:176]
	v_fma_f64 v[175:176], v[2:3], v[34:35], -v[36:37]
	scratch_load_b128 v[34:37], off, off offset:528
	v_mul_f64_e32 v[177:178], v[6:7], v[171:172]
	v_mul_f64_e32 v[171:172], v[8:9], v[171:172]
	ds_load_b128 v[2:5], v1 offset:1856
	v_fma_f64 v[177:178], v[8:9], v[169:170], v[177:178]
	v_fma_f64 v[169:170], v[6:7], v[169:170], -v[171:172]
	ds_load_b128 v[6:9], v1 offset:1840
	s_wait_loadcnt_dscnt 0x700
	v_mul_f64_e32 v[171:172], v[6:7], v[167:168]
	v_mul_f64_e32 v[167:168], v[8:9], v[167:168]
	v_add_f64_e32 v[40:41], v[40:41], v[177:178]
	v_add_f64_e32 v[38:39], v[38:39], v[169:170]
	s_wait_loadcnt 0x6
	v_mul_f64_e32 v[169:170], v[2:3], v[12:13]
	v_mul_f64_e32 v[12:13], v[4:5], v[12:13]
	v_fma_f64 v[171:172], v[8:9], v[165:166], v[171:172]
	v_fma_f64 v[165:166], v[6:7], v[165:166], -v[167:168]
	ds_load_b128 v[6:9], v1 offset:1872
	v_add_f64_e32 v[40:41], v[40:41], v[173:174]
	v_add_f64_e32 v[38:39], v[38:39], v[175:176]
	v_fma_f64 v[169:170], v[4:5], v[10:11], v[169:170]
	v_fma_f64 v[10:11], v[2:3], v[10:11], -v[12:13]
	ds_load_b128 v[2:5], v1 offset:1888
	s_wait_loadcnt_dscnt 0x501
	v_mul_f64_e32 v[167:168], v[6:7], v[16:17]
	v_mul_f64_e32 v[16:17], v[8:9], v[16:17]
	v_add_f64_e32 v[12:13], v[38:39], v[165:166]
	v_add_f64_e32 v[38:39], v[40:41], v[171:172]
	s_wait_loadcnt_dscnt 0x400
	v_mul_f64_e32 v[40:41], v[2:3], v[20:21]
	v_mul_f64_e32 v[20:21], v[4:5], v[20:21]
	v_fma_f64 v[165:166], v[8:9], v[14:15], v[167:168]
	v_fma_f64 v[14:15], v[6:7], v[14:15], -v[16:17]
	ds_load_b128 v[6:9], v1 offset:1904
	v_add_f64_e32 v[10:11], v[12:13], v[10:11]
	v_add_f64_e32 v[12:13], v[38:39], v[169:170]
	v_fma_f64 v[38:39], v[4:5], v[18:19], v[40:41]
	v_fma_f64 v[18:19], v[2:3], v[18:19], -v[20:21]
	ds_load_b128 v[2:5], v1 offset:1920
	s_wait_loadcnt_dscnt 0x301
	v_mul_f64_e32 v[16:17], v[6:7], v[24:25]
	v_mul_f64_e32 v[24:25], v[8:9], v[24:25]
	s_wait_loadcnt_dscnt 0x200
	v_mul_f64_e32 v[20:21], v[4:5], v[28:29]
	v_add_f64_e32 v[10:11], v[10:11], v[14:15]
	v_add_f64_e32 v[12:13], v[12:13], v[165:166]
	v_mul_f64_e32 v[14:15], v[2:3], v[28:29]
	v_fma_f64 v[16:17], v[8:9], v[22:23], v[16:17]
	v_fma_f64 v[22:23], v[6:7], v[22:23], -v[24:25]
	ds_load_b128 v[6:9], v1 offset:1936
	v_fma_f64 v[1:2], v[2:3], v[26:27], -v[20:21]
	s_wait_loadcnt_dscnt 0x100
	v_mul_f64_e32 v[24:25], v[8:9], v[32:33]
	v_add_f64_e32 v[10:11], v[10:11], v[18:19]
	v_add_f64_e32 v[12:13], v[12:13], v[38:39]
	v_mul_f64_e32 v[18:19], v[6:7], v[32:33]
	v_fma_f64 v[4:5], v[4:5], v[26:27], v[14:15]
	v_fma_f64 v[6:7], v[6:7], v[30:31], -v[24:25]
	v_add_f64_e32 v[10:11], v[10:11], v[22:23]
	v_add_f64_e32 v[12:13], v[12:13], v[16:17]
	v_fma_f64 v[8:9], v[8:9], v[30:31], v[18:19]
	s_delay_alu instid0(VALU_DEP_3) | instskip(NEXT) | instid1(VALU_DEP_3)
	v_add_f64_e32 v[1:2], v[10:11], v[1:2]
	v_add_f64_e32 v[3:4], v[12:13], v[4:5]
	s_delay_alu instid0(VALU_DEP_2) | instskip(NEXT) | instid1(VALU_DEP_2)
	v_add_f64_e32 v[1:2], v[1:2], v[6:7]
	v_add_f64_e32 v[3:4], v[3:4], v[8:9]
	s_wait_loadcnt 0x0
	s_delay_alu instid0(VALU_DEP_2) | instskip(NEXT) | instid1(VALU_DEP_2)
	v_add_f64_e64 v[1:2], v[34:35], -v[1:2]
	v_add_f64_e64 v[3:4], v[36:37], -v[3:4]
	scratch_store_b128 off, v[1:4], off offset:528
	v_cmpx_lt_u32_e32 31, v0
	s_cbranch_execz .LBB124_329
; %bb.328:
	scratch_load_b128 v[1:4], off, s45
	v_mov_b32_e32 v5, 0
	s_delay_alu instid0(VALU_DEP_1)
	v_dual_mov_b32 v6, v5 :: v_dual_mov_b32 v7, v5
	v_mov_b32_e32 v8, v5
	scratch_store_b128 off, v[5:8], off offset:512
	s_wait_loadcnt 0x0
	ds_store_b128 v164, v[1:4]
.LBB124_329:
	s_wait_alu 0xfffe
	s_or_b32 exec_lo, exec_lo, s0
	s_wait_storecnt_dscnt 0x0
	s_barrier_signal -1
	s_barrier_wait -1
	global_inv scope:SCOPE_SE
	s_clause 0x7
	scratch_load_b128 v[2:5], off, off offset:528
	scratch_load_b128 v[6:9], off, off offset:544
	;; [unrolled: 1-line block ×8, first 2 shown]
	v_mov_b32_e32 v1, 0
	s_clause 0x1
	scratch_load_b128 v[38:41], off, off offset:656
	scratch_load_b128 v[169:172], off, off offset:672
	s_mov_b32 s0, exec_lo
	ds_load_b128 v[34:37], v1 offset:1488
	ds_load_b128 v[165:168], v1 offset:1504
	s_wait_loadcnt_dscnt 0x901
	v_mul_f64_e32 v[173:174], v[36:37], v[4:5]
	v_mul_f64_e32 v[4:5], v[34:35], v[4:5]
	s_wait_loadcnt_dscnt 0x800
	v_mul_f64_e32 v[175:176], v[165:166], v[8:9]
	v_mul_f64_e32 v[8:9], v[167:168], v[8:9]
	s_delay_alu instid0(VALU_DEP_4) | instskip(NEXT) | instid1(VALU_DEP_4)
	v_fma_f64 v[173:174], v[34:35], v[2:3], -v[173:174]
	v_fma_f64 v[177:178], v[36:37], v[2:3], v[4:5]
	ds_load_b128 v[2:5], v1 offset:1520
	scratch_load_b128 v[34:37], off, off offset:688
	v_fma_f64 v[175:176], v[167:168], v[6:7], v[175:176]
	v_fma_f64 v[181:182], v[165:166], v[6:7], -v[8:9]
	ds_load_b128 v[6:9], v1 offset:1536
	scratch_load_b128 v[165:168], off, off offset:704
	s_wait_loadcnt_dscnt 0x901
	v_mul_f64_e32 v[179:180], v[2:3], v[12:13]
	v_mul_f64_e32 v[12:13], v[4:5], v[12:13]
	s_wait_loadcnt_dscnt 0x800
	v_mul_f64_e32 v[183:184], v[6:7], v[16:17]
	v_mul_f64_e32 v[16:17], v[8:9], v[16:17]
	v_add_f64_e32 v[173:174], 0, v[173:174]
	v_add_f64_e32 v[177:178], 0, v[177:178]
	v_fma_f64 v[179:180], v[4:5], v[10:11], v[179:180]
	v_fma_f64 v[185:186], v[2:3], v[10:11], -v[12:13]
	ds_load_b128 v[2:5], v1 offset:1552
	scratch_load_b128 v[10:13], off, off offset:720
	v_add_f64_e32 v[173:174], v[173:174], v[181:182]
	v_add_f64_e32 v[175:176], v[177:178], v[175:176]
	v_fma_f64 v[181:182], v[8:9], v[14:15], v[183:184]
	v_fma_f64 v[183:184], v[6:7], v[14:15], -v[16:17]
	ds_load_b128 v[6:9], v1 offset:1568
	scratch_load_b128 v[14:17], off, off offset:736
	s_wait_loadcnt_dscnt 0x901
	v_mul_f64_e32 v[177:178], v[2:3], v[20:21]
	v_mul_f64_e32 v[20:21], v[4:5], v[20:21]
	v_add_f64_e32 v[173:174], v[173:174], v[185:186]
	v_add_f64_e32 v[175:176], v[175:176], v[179:180]
	s_wait_loadcnt_dscnt 0x800
	v_mul_f64_e32 v[179:180], v[6:7], v[24:25]
	v_mul_f64_e32 v[24:25], v[8:9], v[24:25]
	v_fma_f64 v[177:178], v[4:5], v[18:19], v[177:178]
	v_fma_f64 v[185:186], v[2:3], v[18:19], -v[20:21]
	ds_load_b128 v[2:5], v1 offset:1584
	scratch_load_b128 v[18:21], off, off offset:752
	v_add_f64_e32 v[173:174], v[173:174], v[183:184]
	v_add_f64_e32 v[175:176], v[175:176], v[181:182]
	v_fma_f64 v[179:180], v[8:9], v[22:23], v[179:180]
	v_fma_f64 v[183:184], v[6:7], v[22:23], -v[24:25]
	ds_load_b128 v[6:9], v1 offset:1600
	s_wait_loadcnt_dscnt 0x801
	v_mul_f64_e32 v[181:182], v[2:3], v[28:29]
	v_mul_f64_e32 v[28:29], v[4:5], v[28:29]
	scratch_load_b128 v[22:25], off, off offset:768
	v_add_f64_e32 v[173:174], v[173:174], v[185:186]
	v_add_f64_e32 v[175:176], v[175:176], v[177:178]
	s_wait_loadcnt_dscnt 0x800
	v_mul_f64_e32 v[177:178], v[6:7], v[32:33]
	v_mul_f64_e32 v[32:33], v[8:9], v[32:33]
	v_fma_f64 v[181:182], v[4:5], v[26:27], v[181:182]
	v_fma_f64 v[185:186], v[2:3], v[26:27], -v[28:29]
	ds_load_b128 v[2:5], v1 offset:1616
	scratch_load_b128 v[26:29], off, off offset:784
	v_add_f64_e32 v[173:174], v[173:174], v[183:184]
	v_add_f64_e32 v[175:176], v[175:176], v[179:180]
	v_fma_f64 v[177:178], v[8:9], v[30:31], v[177:178]
	v_fma_f64 v[183:184], v[6:7], v[30:31], -v[32:33]
	ds_load_b128 v[6:9], v1 offset:1632
	s_wait_loadcnt_dscnt 0x801
	v_mul_f64_e32 v[179:180], v[2:3], v[40:41]
	v_mul_f64_e32 v[40:41], v[4:5], v[40:41]
	scratch_load_b128 v[30:33], off, off offset:800
	v_add_f64_e32 v[173:174], v[173:174], v[185:186]
	v_add_f64_e32 v[175:176], v[175:176], v[181:182]
	s_wait_loadcnt_dscnt 0x800
	v_mul_f64_e32 v[181:182], v[6:7], v[171:172]
	v_mul_f64_e32 v[171:172], v[8:9], v[171:172]
	v_fma_f64 v[179:180], v[4:5], v[38:39], v[179:180]
	v_fma_f64 v[185:186], v[2:3], v[38:39], -v[40:41]
	ds_load_b128 v[2:5], v1 offset:1648
	scratch_load_b128 v[38:41], off, off offset:816
	v_add_f64_e32 v[173:174], v[173:174], v[183:184]
	v_add_f64_e32 v[175:176], v[175:176], v[177:178]
	v_fma_f64 v[181:182], v[8:9], v[169:170], v[181:182]
	v_fma_f64 v[183:184], v[6:7], v[169:170], -v[171:172]
	ds_load_b128 v[6:9], v1 offset:1664
	scratch_load_b128 v[169:172], off, off offset:832
	s_wait_loadcnt_dscnt 0x901
	v_mul_f64_e32 v[177:178], v[2:3], v[36:37]
	v_mul_f64_e32 v[36:37], v[4:5], v[36:37]
	v_add_f64_e32 v[173:174], v[173:174], v[185:186]
	v_add_f64_e32 v[175:176], v[175:176], v[179:180]
	s_wait_loadcnt_dscnt 0x800
	v_mul_f64_e32 v[179:180], v[6:7], v[167:168]
	v_mul_f64_e32 v[167:168], v[8:9], v[167:168]
	v_fma_f64 v[177:178], v[4:5], v[34:35], v[177:178]
	v_fma_f64 v[185:186], v[2:3], v[34:35], -v[36:37]
	ds_load_b128 v[2:5], v1 offset:1680
	scratch_load_b128 v[34:37], off, off offset:848
	v_add_f64_e32 v[173:174], v[173:174], v[183:184]
	v_add_f64_e32 v[175:176], v[175:176], v[181:182]
	v_fma_f64 v[179:180], v[8:9], v[165:166], v[179:180]
	v_fma_f64 v[183:184], v[6:7], v[165:166], -v[167:168]
	ds_load_b128 v[6:9], v1 offset:1696
	s_wait_loadcnt_dscnt 0x801
	v_mul_f64_e32 v[181:182], v[2:3], v[12:13]
	v_mul_f64_e32 v[12:13], v[4:5], v[12:13]
	scratch_load_b128 v[165:168], off, off offset:864
	v_add_f64_e32 v[173:174], v[173:174], v[185:186]
	v_add_f64_e32 v[175:176], v[175:176], v[177:178]
	s_wait_loadcnt_dscnt 0x800
	v_mul_f64_e32 v[177:178], v[6:7], v[16:17]
	v_mul_f64_e32 v[16:17], v[8:9], v[16:17]
	v_fma_f64 v[181:182], v[4:5], v[10:11], v[181:182]
	v_fma_f64 v[185:186], v[2:3], v[10:11], -v[12:13]
	ds_load_b128 v[2:5], v1 offset:1712
	scratch_load_b128 v[10:13], off, off offset:880
	v_add_f64_e32 v[173:174], v[173:174], v[183:184]
	v_add_f64_e32 v[175:176], v[175:176], v[179:180]
	v_fma_f64 v[177:178], v[8:9], v[14:15], v[177:178]
	v_fma_f64 v[183:184], v[6:7], v[14:15], -v[16:17]
	ds_load_b128 v[6:9], v1 offset:1728
	s_wait_loadcnt_dscnt 0x801
	v_mul_f64_e32 v[179:180], v[2:3], v[20:21]
	v_mul_f64_e32 v[20:21], v[4:5], v[20:21]
	scratch_load_b128 v[14:17], off, off offset:896
	;; [unrolled: 18-line block ×4, first 2 shown]
	v_add_f64_e32 v[173:174], v[173:174], v[185:186]
	v_add_f64_e32 v[175:176], v[175:176], v[177:178]
	s_wait_loadcnt_dscnt 0x800
	v_mul_f64_e32 v[177:178], v[6:7], v[171:172]
	v_mul_f64_e32 v[171:172], v[8:9], v[171:172]
	v_fma_f64 v[181:182], v[4:5], v[38:39], v[181:182]
	v_fma_f64 v[185:186], v[2:3], v[38:39], -v[40:41]
	ds_load_b128 v[2:5], v1 offset:1808
	scratch_load_b128 v[38:41], off, off offset:976
	v_add_f64_e32 v[173:174], v[173:174], v[183:184]
	v_add_f64_e32 v[175:176], v[175:176], v[179:180]
	v_fma_f64 v[177:178], v[8:9], v[169:170], v[177:178]
	v_fma_f64 v[169:170], v[6:7], v[169:170], -v[171:172]
	ds_load_b128 v[6:9], v1 offset:1824
	s_wait_loadcnt_dscnt 0x801
	v_mul_f64_e32 v[179:180], v[2:3], v[36:37]
	v_mul_f64_e32 v[36:37], v[4:5], v[36:37]
	v_add_f64_e32 v[171:172], v[173:174], v[185:186]
	v_add_f64_e32 v[173:174], v[175:176], v[181:182]
	s_wait_loadcnt_dscnt 0x700
	v_mul_f64_e32 v[175:176], v[6:7], v[167:168]
	v_mul_f64_e32 v[167:168], v[8:9], v[167:168]
	v_fma_f64 v[179:180], v[4:5], v[34:35], v[179:180]
	v_fma_f64 v[34:35], v[2:3], v[34:35], -v[36:37]
	ds_load_b128 v[2:5], v1 offset:1840
	v_add_f64_e32 v[36:37], v[171:172], v[169:170]
	v_add_f64_e32 v[169:170], v[173:174], v[177:178]
	v_fma_f64 v[173:174], v[8:9], v[165:166], v[175:176]
	v_fma_f64 v[165:166], v[6:7], v[165:166], -v[167:168]
	ds_load_b128 v[6:9], v1 offset:1856
	s_wait_loadcnt_dscnt 0x500
	v_mul_f64_e32 v[175:176], v[6:7], v[16:17]
	v_mul_f64_e32 v[16:17], v[8:9], v[16:17]
	v_add_f64_e32 v[167:168], v[36:37], v[34:35]
	v_add_f64_e32 v[169:170], v[169:170], v[179:180]
	scratch_load_b128 v[34:37], off, off offset:512
	v_mul_f64_e32 v[171:172], v[2:3], v[12:13]
	v_mul_f64_e32 v[12:13], v[4:5], v[12:13]
	s_delay_alu instid0(VALU_DEP_2) | instskip(NEXT) | instid1(VALU_DEP_2)
	v_fma_f64 v[171:172], v[4:5], v[10:11], v[171:172]
	v_fma_f64 v[10:11], v[2:3], v[10:11], -v[12:13]
	v_add_f64_e32 v[12:13], v[167:168], v[165:166]
	v_add_f64_e32 v[165:166], v[169:170], v[173:174]
	ds_load_b128 v[2:5], v1 offset:1872
	v_fma_f64 v[169:170], v[8:9], v[14:15], v[175:176]
	v_fma_f64 v[14:15], v[6:7], v[14:15], -v[16:17]
	ds_load_b128 v[6:9], v1 offset:1888
	s_wait_loadcnt_dscnt 0x501
	v_mul_f64_e32 v[167:168], v[2:3], v[20:21]
	v_mul_f64_e32 v[20:21], v[4:5], v[20:21]
	s_wait_loadcnt_dscnt 0x400
	v_mul_f64_e32 v[16:17], v[6:7], v[24:25]
	v_mul_f64_e32 v[24:25], v[8:9], v[24:25]
	v_add_f64_e32 v[10:11], v[12:13], v[10:11]
	v_add_f64_e32 v[12:13], v[165:166], v[171:172]
	v_fma_f64 v[165:166], v[4:5], v[18:19], v[167:168]
	v_fma_f64 v[18:19], v[2:3], v[18:19], -v[20:21]
	ds_load_b128 v[2:5], v1 offset:1904
	v_fma_f64 v[16:17], v[8:9], v[22:23], v[16:17]
	v_fma_f64 v[22:23], v[6:7], v[22:23], -v[24:25]
	ds_load_b128 v[6:9], v1 offset:1920
	v_add_f64_e32 v[10:11], v[10:11], v[14:15]
	v_add_f64_e32 v[12:13], v[12:13], v[169:170]
	s_wait_loadcnt_dscnt 0x301
	v_mul_f64_e32 v[14:15], v[2:3], v[28:29]
	v_mul_f64_e32 v[20:21], v[4:5], v[28:29]
	s_wait_loadcnt_dscnt 0x200
	v_mul_f64_e32 v[24:25], v[8:9], v[32:33]
	v_add_f64_e32 v[10:11], v[10:11], v[18:19]
	v_add_f64_e32 v[12:13], v[12:13], v[165:166]
	v_mul_f64_e32 v[18:19], v[6:7], v[32:33]
	v_fma_f64 v[14:15], v[4:5], v[26:27], v[14:15]
	v_fma_f64 v[20:21], v[2:3], v[26:27], -v[20:21]
	ds_load_b128 v[2:5], v1 offset:1936
	v_fma_f64 v[6:7], v[6:7], v[30:31], -v[24:25]
	v_add_f64_e32 v[10:11], v[10:11], v[22:23]
	v_add_f64_e32 v[12:13], v[12:13], v[16:17]
	s_wait_loadcnt_dscnt 0x100
	v_mul_f64_e32 v[16:17], v[2:3], v[40:41]
	v_mul_f64_e32 v[22:23], v[4:5], v[40:41]
	v_fma_f64 v[8:9], v[8:9], v[30:31], v[18:19]
	v_add_f64_e32 v[10:11], v[10:11], v[20:21]
	v_add_f64_e32 v[12:13], v[12:13], v[14:15]
	v_fma_f64 v[4:5], v[4:5], v[38:39], v[16:17]
	v_fma_f64 v[2:3], v[2:3], v[38:39], -v[22:23]
	s_delay_alu instid0(VALU_DEP_4) | instskip(NEXT) | instid1(VALU_DEP_4)
	v_add_f64_e32 v[6:7], v[10:11], v[6:7]
	v_add_f64_e32 v[8:9], v[12:13], v[8:9]
	s_delay_alu instid0(VALU_DEP_2) | instskip(NEXT) | instid1(VALU_DEP_2)
	v_add_f64_e32 v[2:3], v[6:7], v[2:3]
	v_add_f64_e32 v[4:5], v[8:9], v[4:5]
	s_wait_loadcnt 0x0
	s_delay_alu instid0(VALU_DEP_2) | instskip(NEXT) | instid1(VALU_DEP_2)
	v_add_f64_e64 v[2:3], v[34:35], -v[2:3]
	v_add_f64_e64 v[4:5], v[36:37], -v[4:5]
	scratch_store_b128 off, v[2:5], off offset:512
	v_cmpx_lt_u32_e32 30, v0
	s_cbranch_execz .LBB124_331
; %bb.330:
	scratch_load_b128 v[5:8], off, s46
	v_dual_mov_b32 v2, v1 :: v_dual_mov_b32 v3, v1
	v_mov_b32_e32 v4, v1
	scratch_store_b128 off, v[1:4], off offset:496
	s_wait_loadcnt 0x0
	ds_store_b128 v164, v[5:8]
.LBB124_331:
	s_wait_alu 0xfffe
	s_or_b32 exec_lo, exec_lo, s0
	s_wait_storecnt_dscnt 0x0
	s_barrier_signal -1
	s_barrier_wait -1
	global_inv scope:SCOPE_SE
	s_clause 0x7
	scratch_load_b128 v[2:5], off, off offset:512
	scratch_load_b128 v[6:9], off, off offset:528
	;; [unrolled: 1-line block ×8, first 2 shown]
	ds_load_b128 v[34:37], v1 offset:1472
	ds_load_b128 v[165:168], v1 offset:1488
	s_clause 0x1
	scratch_load_b128 v[38:41], off, off offset:640
	scratch_load_b128 v[169:172], off, off offset:656
	s_mov_b32 s0, exec_lo
	s_wait_loadcnt_dscnt 0x901
	v_mul_f64_e32 v[173:174], v[36:37], v[4:5]
	v_mul_f64_e32 v[4:5], v[34:35], v[4:5]
	s_wait_loadcnt_dscnt 0x800
	v_mul_f64_e32 v[175:176], v[165:166], v[8:9]
	v_mul_f64_e32 v[8:9], v[167:168], v[8:9]
	s_delay_alu instid0(VALU_DEP_4) | instskip(NEXT) | instid1(VALU_DEP_4)
	v_fma_f64 v[173:174], v[34:35], v[2:3], -v[173:174]
	v_fma_f64 v[177:178], v[36:37], v[2:3], v[4:5]
	ds_load_b128 v[2:5], v1 offset:1504
	scratch_load_b128 v[34:37], off, off offset:672
	v_fma_f64 v[175:176], v[167:168], v[6:7], v[175:176]
	v_fma_f64 v[181:182], v[165:166], v[6:7], -v[8:9]
	ds_load_b128 v[6:9], v1 offset:1520
	scratch_load_b128 v[165:168], off, off offset:688
	s_wait_loadcnt_dscnt 0x901
	v_mul_f64_e32 v[179:180], v[2:3], v[12:13]
	v_mul_f64_e32 v[12:13], v[4:5], v[12:13]
	s_wait_loadcnt_dscnt 0x800
	v_mul_f64_e32 v[183:184], v[6:7], v[16:17]
	v_mul_f64_e32 v[16:17], v[8:9], v[16:17]
	v_add_f64_e32 v[173:174], 0, v[173:174]
	v_add_f64_e32 v[177:178], 0, v[177:178]
	v_fma_f64 v[179:180], v[4:5], v[10:11], v[179:180]
	v_fma_f64 v[185:186], v[2:3], v[10:11], -v[12:13]
	scratch_load_b128 v[10:13], off, off offset:704
	ds_load_b128 v[2:5], v1 offset:1536
	v_add_f64_e32 v[173:174], v[173:174], v[181:182]
	v_add_f64_e32 v[175:176], v[177:178], v[175:176]
	v_fma_f64 v[181:182], v[8:9], v[14:15], v[183:184]
	v_fma_f64 v[183:184], v[6:7], v[14:15], -v[16:17]
	ds_load_b128 v[6:9], v1 offset:1552
	scratch_load_b128 v[14:17], off, off offset:720
	s_wait_loadcnt_dscnt 0x901
	v_mul_f64_e32 v[177:178], v[2:3], v[20:21]
	v_mul_f64_e32 v[20:21], v[4:5], v[20:21]
	v_add_f64_e32 v[173:174], v[173:174], v[185:186]
	v_add_f64_e32 v[175:176], v[175:176], v[179:180]
	s_wait_loadcnt_dscnt 0x800
	v_mul_f64_e32 v[179:180], v[6:7], v[24:25]
	v_mul_f64_e32 v[24:25], v[8:9], v[24:25]
	v_fma_f64 v[177:178], v[4:5], v[18:19], v[177:178]
	v_fma_f64 v[185:186], v[2:3], v[18:19], -v[20:21]
	ds_load_b128 v[2:5], v1 offset:1568
	scratch_load_b128 v[18:21], off, off offset:736
	v_add_f64_e32 v[173:174], v[173:174], v[183:184]
	v_add_f64_e32 v[175:176], v[175:176], v[181:182]
	v_fma_f64 v[179:180], v[8:9], v[22:23], v[179:180]
	v_fma_f64 v[183:184], v[6:7], v[22:23], -v[24:25]
	ds_load_b128 v[6:9], v1 offset:1584
	s_wait_loadcnt_dscnt 0x801
	v_mul_f64_e32 v[181:182], v[2:3], v[28:29]
	v_mul_f64_e32 v[28:29], v[4:5], v[28:29]
	scratch_load_b128 v[22:25], off, off offset:752
	v_add_f64_e32 v[173:174], v[173:174], v[185:186]
	v_add_f64_e32 v[175:176], v[175:176], v[177:178]
	s_wait_loadcnt_dscnt 0x800
	v_mul_f64_e32 v[177:178], v[6:7], v[32:33]
	v_mul_f64_e32 v[32:33], v[8:9], v[32:33]
	v_fma_f64 v[181:182], v[4:5], v[26:27], v[181:182]
	v_fma_f64 v[185:186], v[2:3], v[26:27], -v[28:29]
	ds_load_b128 v[2:5], v1 offset:1600
	scratch_load_b128 v[26:29], off, off offset:768
	v_add_f64_e32 v[173:174], v[173:174], v[183:184]
	v_add_f64_e32 v[175:176], v[175:176], v[179:180]
	v_fma_f64 v[177:178], v[8:9], v[30:31], v[177:178]
	v_fma_f64 v[183:184], v[6:7], v[30:31], -v[32:33]
	ds_load_b128 v[6:9], v1 offset:1616
	s_wait_loadcnt_dscnt 0x801
	v_mul_f64_e32 v[179:180], v[2:3], v[40:41]
	v_mul_f64_e32 v[40:41], v[4:5], v[40:41]
	scratch_load_b128 v[30:33], off, off offset:784
	v_add_f64_e32 v[173:174], v[173:174], v[185:186]
	v_add_f64_e32 v[175:176], v[175:176], v[181:182]
	s_wait_loadcnt_dscnt 0x800
	v_mul_f64_e32 v[181:182], v[6:7], v[171:172]
	v_mul_f64_e32 v[171:172], v[8:9], v[171:172]
	v_fma_f64 v[179:180], v[4:5], v[38:39], v[179:180]
	v_fma_f64 v[185:186], v[2:3], v[38:39], -v[40:41]
	ds_load_b128 v[2:5], v1 offset:1632
	scratch_load_b128 v[38:41], off, off offset:800
	v_add_f64_e32 v[173:174], v[173:174], v[183:184]
	v_add_f64_e32 v[175:176], v[175:176], v[177:178]
	v_fma_f64 v[181:182], v[8:9], v[169:170], v[181:182]
	v_fma_f64 v[183:184], v[6:7], v[169:170], -v[171:172]
	ds_load_b128 v[6:9], v1 offset:1648
	scratch_load_b128 v[169:172], off, off offset:816
	s_wait_loadcnt_dscnt 0x901
	v_mul_f64_e32 v[177:178], v[2:3], v[36:37]
	v_mul_f64_e32 v[36:37], v[4:5], v[36:37]
	v_add_f64_e32 v[173:174], v[173:174], v[185:186]
	v_add_f64_e32 v[175:176], v[175:176], v[179:180]
	s_wait_loadcnt_dscnt 0x800
	v_mul_f64_e32 v[179:180], v[6:7], v[167:168]
	v_mul_f64_e32 v[167:168], v[8:9], v[167:168]
	v_fma_f64 v[177:178], v[4:5], v[34:35], v[177:178]
	v_fma_f64 v[185:186], v[2:3], v[34:35], -v[36:37]
	ds_load_b128 v[2:5], v1 offset:1664
	scratch_load_b128 v[34:37], off, off offset:832
	v_add_f64_e32 v[173:174], v[173:174], v[183:184]
	v_add_f64_e32 v[175:176], v[175:176], v[181:182]
	v_fma_f64 v[179:180], v[8:9], v[165:166], v[179:180]
	v_fma_f64 v[183:184], v[6:7], v[165:166], -v[167:168]
	ds_load_b128 v[6:9], v1 offset:1680
	s_wait_loadcnt_dscnt 0x801
	v_mul_f64_e32 v[181:182], v[2:3], v[12:13]
	v_mul_f64_e32 v[12:13], v[4:5], v[12:13]
	scratch_load_b128 v[165:168], off, off offset:848
	v_add_f64_e32 v[173:174], v[173:174], v[185:186]
	v_add_f64_e32 v[175:176], v[175:176], v[177:178]
	s_wait_loadcnt_dscnt 0x800
	v_mul_f64_e32 v[177:178], v[6:7], v[16:17]
	v_mul_f64_e32 v[16:17], v[8:9], v[16:17]
	v_fma_f64 v[181:182], v[4:5], v[10:11], v[181:182]
	v_fma_f64 v[185:186], v[2:3], v[10:11], -v[12:13]
	scratch_load_b128 v[10:13], off, off offset:864
	ds_load_b128 v[2:5], v1 offset:1696
	v_add_f64_e32 v[173:174], v[173:174], v[183:184]
	v_add_f64_e32 v[175:176], v[175:176], v[179:180]
	v_fma_f64 v[177:178], v[8:9], v[14:15], v[177:178]
	v_fma_f64 v[183:184], v[6:7], v[14:15], -v[16:17]
	ds_load_b128 v[6:9], v1 offset:1712
	s_wait_loadcnt_dscnt 0x801
	v_mul_f64_e32 v[179:180], v[2:3], v[20:21]
	v_mul_f64_e32 v[20:21], v[4:5], v[20:21]
	scratch_load_b128 v[14:17], off, off offset:880
	v_add_f64_e32 v[173:174], v[173:174], v[185:186]
	v_add_f64_e32 v[175:176], v[175:176], v[181:182]
	s_wait_loadcnt_dscnt 0x800
	v_mul_f64_e32 v[181:182], v[6:7], v[24:25]
	v_mul_f64_e32 v[24:25], v[8:9], v[24:25]
	v_fma_f64 v[179:180], v[4:5], v[18:19], v[179:180]
	v_fma_f64 v[185:186], v[2:3], v[18:19], -v[20:21]
	ds_load_b128 v[2:5], v1 offset:1728
	scratch_load_b128 v[18:21], off, off offset:896
	v_add_f64_e32 v[173:174], v[173:174], v[183:184]
	v_add_f64_e32 v[175:176], v[175:176], v[177:178]
	v_fma_f64 v[181:182], v[8:9], v[22:23], v[181:182]
	v_fma_f64 v[183:184], v[6:7], v[22:23], -v[24:25]
	ds_load_b128 v[6:9], v1 offset:1744
	s_wait_loadcnt_dscnt 0x801
	v_mul_f64_e32 v[177:178], v[2:3], v[28:29]
	v_mul_f64_e32 v[28:29], v[4:5], v[28:29]
	scratch_load_b128 v[22:25], off, off offset:912
	v_add_f64_e32 v[173:174], v[173:174], v[185:186]
	v_add_f64_e32 v[175:176], v[175:176], v[179:180]
	s_wait_loadcnt_dscnt 0x800
	v_mul_f64_e32 v[179:180], v[6:7], v[32:33]
	v_mul_f64_e32 v[32:33], v[8:9], v[32:33]
	v_fma_f64 v[177:178], v[4:5], v[26:27], v[177:178]
	v_fma_f64 v[185:186], v[2:3], v[26:27], -v[28:29]
	ds_load_b128 v[2:5], v1 offset:1760
	scratch_load_b128 v[26:29], off, off offset:928
	;; [unrolled: 18-line block ×3, first 2 shown]
	v_add_f64_e32 v[173:174], v[173:174], v[183:184]
	v_add_f64_e32 v[175:176], v[175:176], v[179:180]
	v_fma_f64 v[177:178], v[8:9], v[169:170], v[177:178]
	v_fma_f64 v[183:184], v[6:7], v[169:170], -v[171:172]
	ds_load_b128 v[6:9], v1 offset:1808
	s_wait_loadcnt_dscnt 0x801
	v_mul_f64_e32 v[179:180], v[2:3], v[36:37]
	v_mul_f64_e32 v[36:37], v[4:5], v[36:37]
	scratch_load_b128 v[169:172], off, off offset:976
	v_add_f64_e32 v[173:174], v[173:174], v[185:186]
	v_add_f64_e32 v[175:176], v[175:176], v[181:182]
	v_fma_f64 v[179:180], v[4:5], v[34:35], v[179:180]
	v_fma_f64 v[34:35], v[2:3], v[34:35], -v[36:37]
	ds_load_b128 v[2:5], v1 offset:1824
	v_add_f64_e32 v[36:37], v[173:174], v[183:184]
	v_add_f64_e32 v[173:174], v[175:176], v[177:178]
	s_wait_loadcnt_dscnt 0x700
	v_mul_f64_e32 v[175:176], v[2:3], v[12:13]
	v_mul_f64_e32 v[12:13], v[4:5], v[12:13]
	s_delay_alu instid0(VALU_DEP_4) | instskip(NEXT) | instid1(VALU_DEP_4)
	v_add_f64_e32 v[34:35], v[36:37], v[34:35]
	v_add_f64_e32 v[36:37], v[173:174], v[179:180]
	s_delay_alu instid0(VALU_DEP_4) | instskip(NEXT) | instid1(VALU_DEP_4)
	v_fma_f64 v[173:174], v[4:5], v[10:11], v[175:176]
	v_fma_f64 v[175:176], v[2:3], v[10:11], -v[12:13]
	scratch_load_b128 v[10:13], off, off offset:496
	v_mul_f64_e32 v[181:182], v[6:7], v[167:168]
	v_mul_f64_e32 v[167:168], v[8:9], v[167:168]
	ds_load_b128 v[2:5], v1 offset:1856
	v_fma_f64 v[177:178], v[8:9], v[165:166], v[181:182]
	v_fma_f64 v[165:166], v[6:7], v[165:166], -v[167:168]
	ds_load_b128 v[6:9], v1 offset:1840
	s_wait_loadcnt_dscnt 0x700
	v_mul_f64_e32 v[167:168], v[6:7], v[16:17]
	v_mul_f64_e32 v[16:17], v[8:9], v[16:17]
	v_add_f64_e32 v[36:37], v[36:37], v[177:178]
	v_add_f64_e32 v[34:35], v[34:35], v[165:166]
	s_wait_loadcnt 0x6
	v_mul_f64_e32 v[165:166], v[2:3], v[20:21]
	v_mul_f64_e32 v[20:21], v[4:5], v[20:21]
	v_fma_f64 v[167:168], v[8:9], v[14:15], v[167:168]
	v_fma_f64 v[14:15], v[6:7], v[14:15], -v[16:17]
	ds_load_b128 v[6:9], v1 offset:1872
	v_add_f64_e32 v[16:17], v[34:35], v[175:176]
	v_add_f64_e32 v[34:35], v[36:37], v[173:174]
	v_fma_f64 v[165:166], v[4:5], v[18:19], v[165:166]
	v_fma_f64 v[18:19], v[2:3], v[18:19], -v[20:21]
	ds_load_b128 v[2:5], v1 offset:1888
	s_wait_loadcnt_dscnt 0x501
	v_mul_f64_e32 v[36:37], v[6:7], v[24:25]
	v_mul_f64_e32 v[24:25], v[8:9], v[24:25]
	s_wait_loadcnt_dscnt 0x400
	v_mul_f64_e32 v[20:21], v[2:3], v[28:29]
	v_mul_f64_e32 v[28:29], v[4:5], v[28:29]
	v_add_f64_e32 v[14:15], v[16:17], v[14:15]
	v_add_f64_e32 v[16:17], v[34:35], v[167:168]
	v_fma_f64 v[34:35], v[8:9], v[22:23], v[36:37]
	v_fma_f64 v[22:23], v[6:7], v[22:23], -v[24:25]
	ds_load_b128 v[6:9], v1 offset:1904
	v_fma_f64 v[20:21], v[4:5], v[26:27], v[20:21]
	v_fma_f64 v[26:27], v[2:3], v[26:27], -v[28:29]
	ds_load_b128 v[2:5], v1 offset:1920
	s_wait_loadcnt_dscnt 0x301
	v_mul_f64_e32 v[24:25], v[8:9], v[32:33]
	v_add_f64_e32 v[14:15], v[14:15], v[18:19]
	v_add_f64_e32 v[16:17], v[16:17], v[165:166]
	v_mul_f64_e32 v[18:19], v[6:7], v[32:33]
	s_wait_loadcnt_dscnt 0x200
	v_mul_f64_e32 v[28:29], v[4:5], v[40:41]
	v_fma_f64 v[24:25], v[6:7], v[30:31], -v[24:25]
	v_add_f64_e32 v[14:15], v[14:15], v[22:23]
	v_add_f64_e32 v[16:17], v[16:17], v[34:35]
	v_mul_f64_e32 v[22:23], v[2:3], v[40:41]
	v_fma_f64 v[18:19], v[8:9], v[30:31], v[18:19]
	ds_load_b128 v[6:9], v1 offset:1936
	v_fma_f64 v[1:2], v[2:3], v[38:39], -v[28:29]
	v_add_f64_e32 v[14:15], v[14:15], v[26:27]
	v_add_f64_e32 v[16:17], v[16:17], v[20:21]
	s_wait_loadcnt_dscnt 0x100
	v_mul_f64_e32 v[20:21], v[6:7], v[171:172]
	v_mul_f64_e32 v[26:27], v[8:9], v[171:172]
	v_fma_f64 v[4:5], v[4:5], v[38:39], v[22:23]
	v_add_f64_e32 v[14:15], v[14:15], v[24:25]
	v_add_f64_e32 v[16:17], v[16:17], v[18:19]
	v_fma_f64 v[8:9], v[8:9], v[169:170], v[20:21]
	v_fma_f64 v[6:7], v[6:7], v[169:170], -v[26:27]
	s_delay_alu instid0(VALU_DEP_4) | instskip(NEXT) | instid1(VALU_DEP_4)
	v_add_f64_e32 v[1:2], v[14:15], v[1:2]
	v_add_f64_e32 v[3:4], v[16:17], v[4:5]
	s_delay_alu instid0(VALU_DEP_2) | instskip(NEXT) | instid1(VALU_DEP_2)
	v_add_f64_e32 v[1:2], v[1:2], v[6:7]
	v_add_f64_e32 v[3:4], v[3:4], v[8:9]
	s_wait_loadcnt 0x0
	s_delay_alu instid0(VALU_DEP_2) | instskip(NEXT) | instid1(VALU_DEP_2)
	v_add_f64_e64 v[1:2], v[10:11], -v[1:2]
	v_add_f64_e64 v[3:4], v[12:13], -v[3:4]
	scratch_store_b128 off, v[1:4], off offset:496
	v_cmpx_lt_u32_e32 29, v0
	s_cbranch_execz .LBB124_333
; %bb.332:
	scratch_load_b128 v[1:4], off, s47
	v_mov_b32_e32 v5, 0
	s_delay_alu instid0(VALU_DEP_1)
	v_dual_mov_b32 v6, v5 :: v_dual_mov_b32 v7, v5
	v_mov_b32_e32 v8, v5
	scratch_store_b128 off, v[5:8], off offset:480
	s_wait_loadcnt 0x0
	ds_store_b128 v164, v[1:4]
.LBB124_333:
	s_wait_alu 0xfffe
	s_or_b32 exec_lo, exec_lo, s0
	s_wait_storecnt_dscnt 0x0
	s_barrier_signal -1
	s_barrier_wait -1
	global_inv scope:SCOPE_SE
	s_clause 0x7
	scratch_load_b128 v[2:5], off, off offset:496
	scratch_load_b128 v[6:9], off, off offset:512
	;; [unrolled: 1-line block ×8, first 2 shown]
	v_mov_b32_e32 v1, 0
	s_clause 0x1
	scratch_load_b128 v[38:41], off, off offset:624
	scratch_load_b128 v[169:172], off, off offset:640
	s_mov_b32 s0, exec_lo
	ds_load_b128 v[34:37], v1 offset:1456
	ds_load_b128 v[165:168], v1 offset:1472
	s_wait_loadcnt_dscnt 0x901
	v_mul_f64_e32 v[173:174], v[36:37], v[4:5]
	v_mul_f64_e32 v[4:5], v[34:35], v[4:5]
	s_wait_loadcnt_dscnt 0x800
	v_mul_f64_e32 v[175:176], v[165:166], v[8:9]
	v_mul_f64_e32 v[8:9], v[167:168], v[8:9]
	s_delay_alu instid0(VALU_DEP_4) | instskip(NEXT) | instid1(VALU_DEP_4)
	v_fma_f64 v[173:174], v[34:35], v[2:3], -v[173:174]
	v_fma_f64 v[177:178], v[36:37], v[2:3], v[4:5]
	ds_load_b128 v[2:5], v1 offset:1488
	scratch_load_b128 v[34:37], off, off offset:656
	v_fma_f64 v[175:176], v[167:168], v[6:7], v[175:176]
	v_fma_f64 v[181:182], v[165:166], v[6:7], -v[8:9]
	ds_load_b128 v[6:9], v1 offset:1504
	scratch_load_b128 v[165:168], off, off offset:672
	s_wait_loadcnt_dscnt 0x901
	v_mul_f64_e32 v[179:180], v[2:3], v[12:13]
	v_mul_f64_e32 v[12:13], v[4:5], v[12:13]
	s_wait_loadcnt_dscnt 0x800
	v_mul_f64_e32 v[183:184], v[6:7], v[16:17]
	v_mul_f64_e32 v[16:17], v[8:9], v[16:17]
	v_add_f64_e32 v[173:174], 0, v[173:174]
	v_add_f64_e32 v[177:178], 0, v[177:178]
	v_fma_f64 v[179:180], v[4:5], v[10:11], v[179:180]
	v_fma_f64 v[185:186], v[2:3], v[10:11], -v[12:13]
	ds_load_b128 v[2:5], v1 offset:1520
	scratch_load_b128 v[10:13], off, off offset:688
	v_add_f64_e32 v[173:174], v[173:174], v[181:182]
	v_add_f64_e32 v[175:176], v[177:178], v[175:176]
	v_fma_f64 v[181:182], v[8:9], v[14:15], v[183:184]
	v_fma_f64 v[183:184], v[6:7], v[14:15], -v[16:17]
	ds_load_b128 v[6:9], v1 offset:1536
	scratch_load_b128 v[14:17], off, off offset:704
	s_wait_loadcnt_dscnt 0x901
	v_mul_f64_e32 v[177:178], v[2:3], v[20:21]
	v_mul_f64_e32 v[20:21], v[4:5], v[20:21]
	v_add_f64_e32 v[173:174], v[173:174], v[185:186]
	v_add_f64_e32 v[175:176], v[175:176], v[179:180]
	s_wait_loadcnt_dscnt 0x800
	v_mul_f64_e32 v[179:180], v[6:7], v[24:25]
	v_mul_f64_e32 v[24:25], v[8:9], v[24:25]
	v_fma_f64 v[177:178], v[4:5], v[18:19], v[177:178]
	v_fma_f64 v[185:186], v[2:3], v[18:19], -v[20:21]
	ds_load_b128 v[2:5], v1 offset:1552
	scratch_load_b128 v[18:21], off, off offset:720
	v_add_f64_e32 v[173:174], v[173:174], v[183:184]
	v_add_f64_e32 v[175:176], v[175:176], v[181:182]
	v_fma_f64 v[179:180], v[8:9], v[22:23], v[179:180]
	v_fma_f64 v[183:184], v[6:7], v[22:23], -v[24:25]
	ds_load_b128 v[6:9], v1 offset:1568
	s_wait_loadcnt_dscnt 0x801
	v_mul_f64_e32 v[181:182], v[2:3], v[28:29]
	v_mul_f64_e32 v[28:29], v[4:5], v[28:29]
	scratch_load_b128 v[22:25], off, off offset:736
	v_add_f64_e32 v[173:174], v[173:174], v[185:186]
	v_add_f64_e32 v[175:176], v[175:176], v[177:178]
	s_wait_loadcnt_dscnt 0x800
	v_mul_f64_e32 v[177:178], v[6:7], v[32:33]
	v_mul_f64_e32 v[32:33], v[8:9], v[32:33]
	v_fma_f64 v[181:182], v[4:5], v[26:27], v[181:182]
	v_fma_f64 v[185:186], v[2:3], v[26:27], -v[28:29]
	ds_load_b128 v[2:5], v1 offset:1584
	scratch_load_b128 v[26:29], off, off offset:752
	v_add_f64_e32 v[173:174], v[173:174], v[183:184]
	v_add_f64_e32 v[175:176], v[175:176], v[179:180]
	v_fma_f64 v[177:178], v[8:9], v[30:31], v[177:178]
	v_fma_f64 v[183:184], v[6:7], v[30:31], -v[32:33]
	ds_load_b128 v[6:9], v1 offset:1600
	s_wait_loadcnt_dscnt 0x801
	v_mul_f64_e32 v[179:180], v[2:3], v[40:41]
	v_mul_f64_e32 v[40:41], v[4:5], v[40:41]
	scratch_load_b128 v[30:33], off, off offset:768
	v_add_f64_e32 v[173:174], v[173:174], v[185:186]
	v_add_f64_e32 v[175:176], v[175:176], v[181:182]
	s_wait_loadcnt_dscnt 0x800
	v_mul_f64_e32 v[181:182], v[6:7], v[171:172]
	v_mul_f64_e32 v[171:172], v[8:9], v[171:172]
	v_fma_f64 v[179:180], v[4:5], v[38:39], v[179:180]
	v_fma_f64 v[185:186], v[2:3], v[38:39], -v[40:41]
	ds_load_b128 v[2:5], v1 offset:1616
	scratch_load_b128 v[38:41], off, off offset:784
	v_add_f64_e32 v[173:174], v[173:174], v[183:184]
	v_add_f64_e32 v[175:176], v[175:176], v[177:178]
	v_fma_f64 v[181:182], v[8:9], v[169:170], v[181:182]
	v_fma_f64 v[183:184], v[6:7], v[169:170], -v[171:172]
	ds_load_b128 v[6:9], v1 offset:1632
	scratch_load_b128 v[169:172], off, off offset:800
	s_wait_loadcnt_dscnt 0x901
	v_mul_f64_e32 v[177:178], v[2:3], v[36:37]
	v_mul_f64_e32 v[36:37], v[4:5], v[36:37]
	v_add_f64_e32 v[173:174], v[173:174], v[185:186]
	v_add_f64_e32 v[175:176], v[175:176], v[179:180]
	s_wait_loadcnt_dscnt 0x800
	v_mul_f64_e32 v[179:180], v[6:7], v[167:168]
	v_mul_f64_e32 v[167:168], v[8:9], v[167:168]
	v_fma_f64 v[177:178], v[4:5], v[34:35], v[177:178]
	v_fma_f64 v[185:186], v[2:3], v[34:35], -v[36:37]
	ds_load_b128 v[2:5], v1 offset:1648
	scratch_load_b128 v[34:37], off, off offset:816
	v_add_f64_e32 v[173:174], v[173:174], v[183:184]
	v_add_f64_e32 v[175:176], v[175:176], v[181:182]
	v_fma_f64 v[179:180], v[8:9], v[165:166], v[179:180]
	v_fma_f64 v[183:184], v[6:7], v[165:166], -v[167:168]
	ds_load_b128 v[6:9], v1 offset:1664
	s_wait_loadcnt_dscnt 0x801
	v_mul_f64_e32 v[181:182], v[2:3], v[12:13]
	v_mul_f64_e32 v[12:13], v[4:5], v[12:13]
	scratch_load_b128 v[165:168], off, off offset:832
	v_add_f64_e32 v[173:174], v[173:174], v[185:186]
	v_add_f64_e32 v[175:176], v[175:176], v[177:178]
	s_wait_loadcnt_dscnt 0x800
	v_mul_f64_e32 v[177:178], v[6:7], v[16:17]
	v_mul_f64_e32 v[16:17], v[8:9], v[16:17]
	v_fma_f64 v[181:182], v[4:5], v[10:11], v[181:182]
	v_fma_f64 v[185:186], v[2:3], v[10:11], -v[12:13]
	ds_load_b128 v[2:5], v1 offset:1680
	scratch_load_b128 v[10:13], off, off offset:848
	v_add_f64_e32 v[173:174], v[173:174], v[183:184]
	v_add_f64_e32 v[175:176], v[175:176], v[179:180]
	v_fma_f64 v[177:178], v[8:9], v[14:15], v[177:178]
	v_fma_f64 v[183:184], v[6:7], v[14:15], -v[16:17]
	ds_load_b128 v[6:9], v1 offset:1696
	s_wait_loadcnt_dscnt 0x801
	v_mul_f64_e32 v[179:180], v[2:3], v[20:21]
	v_mul_f64_e32 v[20:21], v[4:5], v[20:21]
	scratch_load_b128 v[14:17], off, off offset:864
	;; [unrolled: 18-line block ×5, first 2 shown]
	v_add_f64_e32 v[173:174], v[173:174], v[185:186]
	v_add_f64_e32 v[175:176], v[175:176], v[181:182]
	s_wait_loadcnt_dscnt 0x800
	v_mul_f64_e32 v[181:182], v[6:7], v[167:168]
	v_mul_f64_e32 v[167:168], v[8:9], v[167:168]
	v_fma_f64 v[179:180], v[4:5], v[34:35], v[179:180]
	v_fma_f64 v[185:186], v[2:3], v[34:35], -v[36:37]
	ds_load_b128 v[2:5], v1 offset:1808
	scratch_load_b128 v[34:37], off, off offset:976
	v_add_f64_e32 v[173:174], v[173:174], v[183:184]
	v_add_f64_e32 v[175:176], v[175:176], v[177:178]
	v_fma_f64 v[181:182], v[8:9], v[165:166], v[181:182]
	v_fma_f64 v[165:166], v[6:7], v[165:166], -v[167:168]
	ds_load_b128 v[6:9], v1 offset:1824
	s_wait_loadcnt_dscnt 0x801
	v_mul_f64_e32 v[177:178], v[2:3], v[12:13]
	v_mul_f64_e32 v[12:13], v[4:5], v[12:13]
	v_add_f64_e32 v[167:168], v[173:174], v[185:186]
	v_add_f64_e32 v[173:174], v[175:176], v[179:180]
	s_wait_loadcnt_dscnt 0x700
	v_mul_f64_e32 v[175:176], v[6:7], v[16:17]
	v_mul_f64_e32 v[16:17], v[8:9], v[16:17]
	v_fma_f64 v[177:178], v[4:5], v[10:11], v[177:178]
	v_fma_f64 v[10:11], v[2:3], v[10:11], -v[12:13]
	ds_load_b128 v[2:5], v1 offset:1840
	v_add_f64_e32 v[12:13], v[167:168], v[165:166]
	v_add_f64_e32 v[165:166], v[173:174], v[181:182]
	v_fma_f64 v[173:174], v[8:9], v[14:15], v[175:176]
	v_fma_f64 v[14:15], v[6:7], v[14:15], -v[16:17]
	ds_load_b128 v[6:9], v1 offset:1856
	s_wait_loadcnt_dscnt 0x500
	v_mul_f64_e32 v[175:176], v[6:7], v[24:25]
	v_mul_f64_e32 v[24:25], v[8:9], v[24:25]
	v_add_f64_e32 v[16:17], v[12:13], v[10:11]
	v_add_f64_e32 v[165:166], v[165:166], v[177:178]
	scratch_load_b128 v[10:13], off, off offset:480
	v_mul_f64_e32 v[167:168], v[2:3], v[20:21]
	v_mul_f64_e32 v[20:21], v[4:5], v[20:21]
	v_add_f64_e32 v[14:15], v[16:17], v[14:15]
	v_add_f64_e32 v[16:17], v[165:166], v[173:174]
	v_fma_f64 v[165:166], v[8:9], v[22:23], v[175:176]
	v_fma_f64 v[167:168], v[4:5], v[18:19], v[167:168]
	v_fma_f64 v[18:19], v[2:3], v[18:19], -v[20:21]
	ds_load_b128 v[2:5], v1 offset:1872
	v_fma_f64 v[22:23], v[6:7], v[22:23], -v[24:25]
	ds_load_b128 v[6:9], v1 offset:1888
	s_wait_loadcnt_dscnt 0x501
	v_mul_f64_e32 v[20:21], v[2:3], v[28:29]
	v_mul_f64_e32 v[28:29], v[4:5], v[28:29]
	s_wait_loadcnt_dscnt 0x400
	v_mul_f64_e32 v[24:25], v[8:9], v[32:33]
	v_add_f64_e32 v[16:17], v[16:17], v[167:168]
	v_add_f64_e32 v[14:15], v[14:15], v[18:19]
	v_mul_f64_e32 v[18:19], v[6:7], v[32:33]
	v_fma_f64 v[20:21], v[4:5], v[26:27], v[20:21]
	v_fma_f64 v[26:27], v[2:3], v[26:27], -v[28:29]
	ds_load_b128 v[2:5], v1 offset:1904
	v_fma_f64 v[24:25], v[6:7], v[30:31], -v[24:25]
	v_add_f64_e32 v[16:17], v[16:17], v[165:166]
	v_add_f64_e32 v[14:15], v[14:15], v[22:23]
	v_fma_f64 v[18:19], v[8:9], v[30:31], v[18:19]
	ds_load_b128 v[6:9], v1 offset:1920
	s_wait_loadcnt_dscnt 0x301
	v_mul_f64_e32 v[22:23], v[2:3], v[40:41]
	v_mul_f64_e32 v[28:29], v[4:5], v[40:41]
	v_add_f64_e32 v[16:17], v[16:17], v[20:21]
	v_add_f64_e32 v[14:15], v[14:15], v[26:27]
	s_wait_loadcnt_dscnt 0x200
	v_mul_f64_e32 v[20:21], v[6:7], v[171:172]
	v_mul_f64_e32 v[26:27], v[8:9], v[171:172]
	v_fma_f64 v[22:23], v[4:5], v[38:39], v[22:23]
	v_fma_f64 v[28:29], v[2:3], v[38:39], -v[28:29]
	ds_load_b128 v[2:5], v1 offset:1936
	v_add_f64_e32 v[16:17], v[16:17], v[18:19]
	v_add_f64_e32 v[14:15], v[14:15], v[24:25]
	s_wait_loadcnt_dscnt 0x100
	v_mul_f64_e32 v[18:19], v[2:3], v[36:37]
	v_mul_f64_e32 v[24:25], v[4:5], v[36:37]
	v_fma_f64 v[8:9], v[8:9], v[169:170], v[20:21]
	v_fma_f64 v[6:7], v[6:7], v[169:170], -v[26:27]
	v_add_f64_e32 v[16:17], v[16:17], v[22:23]
	v_add_f64_e32 v[14:15], v[14:15], v[28:29]
	v_fma_f64 v[4:5], v[4:5], v[34:35], v[18:19]
	v_fma_f64 v[2:3], v[2:3], v[34:35], -v[24:25]
	s_delay_alu instid0(VALU_DEP_4) | instskip(NEXT) | instid1(VALU_DEP_4)
	v_add_f64_e32 v[8:9], v[16:17], v[8:9]
	v_add_f64_e32 v[6:7], v[14:15], v[6:7]
	s_delay_alu instid0(VALU_DEP_2) | instskip(NEXT) | instid1(VALU_DEP_2)
	v_add_f64_e32 v[4:5], v[8:9], v[4:5]
	v_add_f64_e32 v[2:3], v[6:7], v[2:3]
	s_wait_loadcnt 0x0
	s_delay_alu instid0(VALU_DEP_2) | instskip(NEXT) | instid1(VALU_DEP_2)
	v_add_f64_e64 v[4:5], v[12:13], -v[4:5]
	v_add_f64_e64 v[2:3], v[10:11], -v[2:3]
	scratch_store_b128 off, v[2:5], off offset:480
	v_cmpx_lt_u32_e32 28, v0
	s_cbranch_execz .LBB124_335
; %bb.334:
	scratch_load_b128 v[5:8], off, s48
	v_dual_mov_b32 v2, v1 :: v_dual_mov_b32 v3, v1
	v_mov_b32_e32 v4, v1
	scratch_store_b128 off, v[1:4], off offset:464
	s_wait_loadcnt 0x0
	ds_store_b128 v164, v[5:8]
.LBB124_335:
	s_wait_alu 0xfffe
	s_or_b32 exec_lo, exec_lo, s0
	s_wait_storecnt_dscnt 0x0
	s_barrier_signal -1
	s_barrier_wait -1
	global_inv scope:SCOPE_SE
	s_clause 0x7
	scratch_load_b128 v[2:5], off, off offset:480
	scratch_load_b128 v[6:9], off, off offset:496
	;; [unrolled: 1-line block ×8, first 2 shown]
	ds_load_b128 v[34:37], v1 offset:1440
	ds_load_b128 v[165:168], v1 offset:1456
	s_clause 0x1
	scratch_load_b128 v[38:41], off, off offset:608
	scratch_load_b128 v[169:172], off, off offset:624
	s_mov_b32 s0, exec_lo
	s_wait_loadcnt_dscnt 0x901
	v_mul_f64_e32 v[173:174], v[36:37], v[4:5]
	v_mul_f64_e32 v[4:5], v[34:35], v[4:5]
	s_wait_loadcnt_dscnt 0x800
	v_mul_f64_e32 v[175:176], v[165:166], v[8:9]
	v_mul_f64_e32 v[8:9], v[167:168], v[8:9]
	s_delay_alu instid0(VALU_DEP_4) | instskip(NEXT) | instid1(VALU_DEP_4)
	v_fma_f64 v[173:174], v[34:35], v[2:3], -v[173:174]
	v_fma_f64 v[177:178], v[36:37], v[2:3], v[4:5]
	ds_load_b128 v[2:5], v1 offset:1472
	scratch_load_b128 v[34:37], off, off offset:640
	v_fma_f64 v[175:176], v[167:168], v[6:7], v[175:176]
	v_fma_f64 v[181:182], v[165:166], v[6:7], -v[8:9]
	ds_load_b128 v[6:9], v1 offset:1488
	scratch_load_b128 v[165:168], off, off offset:656
	s_wait_loadcnt_dscnt 0x901
	v_mul_f64_e32 v[179:180], v[2:3], v[12:13]
	v_mul_f64_e32 v[12:13], v[4:5], v[12:13]
	s_wait_loadcnt_dscnt 0x800
	v_mul_f64_e32 v[183:184], v[6:7], v[16:17]
	v_mul_f64_e32 v[16:17], v[8:9], v[16:17]
	v_add_f64_e32 v[173:174], 0, v[173:174]
	v_add_f64_e32 v[177:178], 0, v[177:178]
	v_fma_f64 v[179:180], v[4:5], v[10:11], v[179:180]
	v_fma_f64 v[185:186], v[2:3], v[10:11], -v[12:13]
	ds_load_b128 v[2:5], v1 offset:1504
	scratch_load_b128 v[10:13], off, off offset:672
	v_add_f64_e32 v[173:174], v[173:174], v[181:182]
	v_add_f64_e32 v[175:176], v[177:178], v[175:176]
	v_fma_f64 v[181:182], v[8:9], v[14:15], v[183:184]
	v_fma_f64 v[183:184], v[6:7], v[14:15], -v[16:17]
	ds_load_b128 v[6:9], v1 offset:1520
	scratch_load_b128 v[14:17], off, off offset:688
	s_wait_loadcnt_dscnt 0x901
	v_mul_f64_e32 v[177:178], v[2:3], v[20:21]
	v_mul_f64_e32 v[20:21], v[4:5], v[20:21]
	v_add_f64_e32 v[173:174], v[173:174], v[185:186]
	v_add_f64_e32 v[175:176], v[175:176], v[179:180]
	s_wait_loadcnt_dscnt 0x800
	v_mul_f64_e32 v[179:180], v[6:7], v[24:25]
	v_mul_f64_e32 v[24:25], v[8:9], v[24:25]
	v_fma_f64 v[177:178], v[4:5], v[18:19], v[177:178]
	v_fma_f64 v[185:186], v[2:3], v[18:19], -v[20:21]
	ds_load_b128 v[2:5], v1 offset:1536
	scratch_load_b128 v[18:21], off, off offset:704
	v_add_f64_e32 v[173:174], v[173:174], v[183:184]
	v_add_f64_e32 v[175:176], v[175:176], v[181:182]
	v_fma_f64 v[179:180], v[8:9], v[22:23], v[179:180]
	v_fma_f64 v[183:184], v[6:7], v[22:23], -v[24:25]
	ds_load_b128 v[6:9], v1 offset:1552
	s_wait_loadcnt_dscnt 0x801
	v_mul_f64_e32 v[181:182], v[2:3], v[28:29]
	v_mul_f64_e32 v[28:29], v[4:5], v[28:29]
	scratch_load_b128 v[22:25], off, off offset:720
	v_add_f64_e32 v[173:174], v[173:174], v[185:186]
	v_add_f64_e32 v[175:176], v[175:176], v[177:178]
	s_wait_loadcnt_dscnt 0x800
	v_mul_f64_e32 v[177:178], v[6:7], v[32:33]
	v_mul_f64_e32 v[32:33], v[8:9], v[32:33]
	v_fma_f64 v[181:182], v[4:5], v[26:27], v[181:182]
	v_fma_f64 v[185:186], v[2:3], v[26:27], -v[28:29]
	ds_load_b128 v[2:5], v1 offset:1568
	scratch_load_b128 v[26:29], off, off offset:736
	v_add_f64_e32 v[173:174], v[173:174], v[183:184]
	v_add_f64_e32 v[175:176], v[175:176], v[179:180]
	v_fma_f64 v[177:178], v[8:9], v[30:31], v[177:178]
	v_fma_f64 v[183:184], v[6:7], v[30:31], -v[32:33]
	ds_load_b128 v[6:9], v1 offset:1584
	s_wait_loadcnt_dscnt 0x801
	v_mul_f64_e32 v[179:180], v[2:3], v[40:41]
	v_mul_f64_e32 v[40:41], v[4:5], v[40:41]
	scratch_load_b128 v[30:33], off, off offset:752
	v_add_f64_e32 v[173:174], v[173:174], v[185:186]
	v_add_f64_e32 v[175:176], v[175:176], v[181:182]
	s_wait_loadcnt_dscnt 0x800
	v_mul_f64_e32 v[181:182], v[6:7], v[171:172]
	v_mul_f64_e32 v[171:172], v[8:9], v[171:172]
	v_fma_f64 v[179:180], v[4:5], v[38:39], v[179:180]
	v_fma_f64 v[185:186], v[2:3], v[38:39], -v[40:41]
	ds_load_b128 v[2:5], v1 offset:1600
	scratch_load_b128 v[38:41], off, off offset:768
	v_add_f64_e32 v[173:174], v[173:174], v[183:184]
	v_add_f64_e32 v[175:176], v[175:176], v[177:178]
	v_fma_f64 v[181:182], v[8:9], v[169:170], v[181:182]
	v_fma_f64 v[183:184], v[6:7], v[169:170], -v[171:172]
	ds_load_b128 v[6:9], v1 offset:1616
	scratch_load_b128 v[169:172], off, off offset:784
	s_wait_loadcnt_dscnt 0x901
	v_mul_f64_e32 v[177:178], v[2:3], v[36:37]
	v_mul_f64_e32 v[36:37], v[4:5], v[36:37]
	v_add_f64_e32 v[173:174], v[173:174], v[185:186]
	v_add_f64_e32 v[175:176], v[175:176], v[179:180]
	s_wait_loadcnt_dscnt 0x800
	v_mul_f64_e32 v[179:180], v[6:7], v[167:168]
	v_mul_f64_e32 v[167:168], v[8:9], v[167:168]
	v_fma_f64 v[177:178], v[4:5], v[34:35], v[177:178]
	v_fma_f64 v[185:186], v[2:3], v[34:35], -v[36:37]
	ds_load_b128 v[2:5], v1 offset:1632
	scratch_load_b128 v[34:37], off, off offset:800
	v_add_f64_e32 v[173:174], v[173:174], v[183:184]
	v_add_f64_e32 v[175:176], v[175:176], v[181:182]
	v_fma_f64 v[179:180], v[8:9], v[165:166], v[179:180]
	v_fma_f64 v[183:184], v[6:7], v[165:166], -v[167:168]
	ds_load_b128 v[6:9], v1 offset:1648
	s_wait_loadcnt_dscnt 0x801
	v_mul_f64_e32 v[181:182], v[2:3], v[12:13]
	v_mul_f64_e32 v[12:13], v[4:5], v[12:13]
	scratch_load_b128 v[165:168], off, off offset:816
	v_add_f64_e32 v[173:174], v[173:174], v[185:186]
	v_add_f64_e32 v[175:176], v[175:176], v[177:178]
	s_wait_loadcnt_dscnt 0x800
	v_mul_f64_e32 v[177:178], v[6:7], v[16:17]
	v_mul_f64_e32 v[16:17], v[8:9], v[16:17]
	v_fma_f64 v[181:182], v[4:5], v[10:11], v[181:182]
	v_fma_f64 v[185:186], v[2:3], v[10:11], -v[12:13]
	ds_load_b128 v[2:5], v1 offset:1664
	scratch_load_b128 v[10:13], off, off offset:832
	v_add_f64_e32 v[173:174], v[173:174], v[183:184]
	v_add_f64_e32 v[175:176], v[175:176], v[179:180]
	v_fma_f64 v[177:178], v[8:9], v[14:15], v[177:178]
	v_fma_f64 v[183:184], v[6:7], v[14:15], -v[16:17]
	ds_load_b128 v[6:9], v1 offset:1680
	s_wait_loadcnt_dscnt 0x801
	v_mul_f64_e32 v[179:180], v[2:3], v[20:21]
	v_mul_f64_e32 v[20:21], v[4:5], v[20:21]
	scratch_load_b128 v[14:17], off, off offset:848
	;; [unrolled: 18-line block ×6, first 2 shown]
	v_add_f64_e32 v[173:174], v[173:174], v[185:186]
	v_add_f64_e32 v[175:176], v[175:176], v[179:180]
	s_wait_loadcnt_dscnt 0x800
	v_mul_f64_e32 v[179:180], v[6:7], v[16:17]
	v_mul_f64_e32 v[16:17], v[8:9], v[16:17]
	v_fma_f64 v[177:178], v[4:5], v[10:11], v[177:178]
	v_fma_f64 v[10:11], v[2:3], v[10:11], -v[12:13]
	ds_load_b128 v[2:5], v1 offset:1824
	v_add_f64_e32 v[12:13], v[173:174], v[183:184]
	v_add_f64_e32 v[173:174], v[175:176], v[181:182]
	v_fma_f64 v[179:180], v[8:9], v[14:15], v[179:180]
	v_fma_f64 v[14:15], v[6:7], v[14:15], -v[16:17]
	ds_load_b128 v[6:9], v1 offset:1840
	s_wait_loadcnt_dscnt 0x701
	v_mul_f64_e32 v[175:176], v[2:3], v[20:21]
	v_mul_f64_e32 v[20:21], v[4:5], v[20:21]
	v_add_f64_e32 v[10:11], v[12:13], v[10:11]
	v_add_f64_e32 v[12:13], v[173:174], v[177:178]
	s_delay_alu instid0(VALU_DEP_4) | instskip(NEXT) | instid1(VALU_DEP_4)
	v_fma_f64 v[173:174], v[4:5], v[18:19], v[175:176]
	v_fma_f64 v[18:19], v[2:3], v[18:19], -v[20:21]
	ds_load_b128 v[2:5], v1 offset:1856
	v_add_f64_e32 v[14:15], v[10:11], v[14:15]
	v_add_f64_e32 v[20:21], v[12:13], v[179:180]
	scratch_load_b128 v[10:13], off, off offset:464
	s_wait_loadcnt_dscnt 0x701
	v_mul_f64_e32 v[16:17], v[6:7], v[24:25]
	v_mul_f64_e32 v[24:25], v[8:9], v[24:25]
	v_add_f64_e32 v[14:15], v[14:15], v[18:19]
	v_add_f64_e32 v[18:19], v[20:21], v[173:174]
	s_delay_alu instid0(VALU_DEP_4) | instskip(NEXT) | instid1(VALU_DEP_4)
	v_fma_f64 v[16:17], v[8:9], v[22:23], v[16:17]
	v_fma_f64 v[22:23], v[6:7], v[22:23], -v[24:25]
	ds_load_b128 v[6:9], v1 offset:1872
	s_wait_loadcnt_dscnt 0x601
	v_mul_f64_e32 v[175:176], v[2:3], v[28:29]
	v_mul_f64_e32 v[28:29], v[4:5], v[28:29]
	s_wait_loadcnt_dscnt 0x500
	v_mul_f64_e32 v[20:21], v[6:7], v[32:33]
	v_mul_f64_e32 v[24:25], v[8:9], v[32:33]
	v_add_f64_e32 v[16:17], v[18:19], v[16:17]
	v_add_f64_e32 v[14:15], v[14:15], v[22:23]
	v_fma_f64 v[32:33], v[4:5], v[26:27], v[175:176]
	v_fma_f64 v[26:27], v[2:3], v[26:27], -v[28:29]
	ds_load_b128 v[2:5], v1 offset:1888
	v_fma_f64 v[20:21], v[8:9], v[30:31], v[20:21]
	v_fma_f64 v[24:25], v[6:7], v[30:31], -v[24:25]
	ds_load_b128 v[6:9], v1 offset:1904
	s_wait_loadcnt_dscnt 0x401
	v_mul_f64_e32 v[18:19], v[2:3], v[40:41]
	v_mul_f64_e32 v[22:23], v[4:5], v[40:41]
	v_add_f64_e32 v[16:17], v[16:17], v[32:33]
	v_add_f64_e32 v[14:15], v[14:15], v[26:27]
	s_wait_loadcnt_dscnt 0x300
	v_mul_f64_e32 v[26:27], v[6:7], v[171:172]
	v_mul_f64_e32 v[28:29], v[8:9], v[171:172]
	v_fma_f64 v[18:19], v[4:5], v[38:39], v[18:19]
	v_fma_f64 v[22:23], v[2:3], v[38:39], -v[22:23]
	ds_load_b128 v[2:5], v1 offset:1920
	v_add_f64_e32 v[16:17], v[16:17], v[20:21]
	v_add_f64_e32 v[14:15], v[14:15], v[24:25]
	v_fma_f64 v[26:27], v[8:9], v[169:170], v[26:27]
	v_fma_f64 v[28:29], v[6:7], v[169:170], -v[28:29]
	ds_load_b128 v[6:9], v1 offset:1936
	s_wait_loadcnt_dscnt 0x201
	v_mul_f64_e32 v[20:21], v[2:3], v[36:37]
	v_mul_f64_e32 v[24:25], v[4:5], v[36:37]
	v_add_f64_e32 v[16:17], v[16:17], v[18:19]
	v_add_f64_e32 v[14:15], v[14:15], v[22:23]
	s_wait_loadcnt_dscnt 0x100
	v_mul_f64_e32 v[18:19], v[6:7], v[167:168]
	v_mul_f64_e32 v[22:23], v[8:9], v[167:168]
	v_fma_f64 v[4:5], v[4:5], v[34:35], v[20:21]
	v_fma_f64 v[1:2], v[2:3], v[34:35], -v[24:25]
	v_add_f64_e32 v[16:17], v[16:17], v[26:27]
	v_add_f64_e32 v[14:15], v[14:15], v[28:29]
	v_fma_f64 v[8:9], v[8:9], v[165:166], v[18:19]
	v_fma_f64 v[6:7], v[6:7], v[165:166], -v[22:23]
	s_delay_alu instid0(VALU_DEP_4) | instskip(NEXT) | instid1(VALU_DEP_4)
	v_add_f64_e32 v[3:4], v[16:17], v[4:5]
	v_add_f64_e32 v[1:2], v[14:15], v[1:2]
	s_delay_alu instid0(VALU_DEP_2) | instskip(NEXT) | instid1(VALU_DEP_2)
	v_add_f64_e32 v[3:4], v[3:4], v[8:9]
	v_add_f64_e32 v[1:2], v[1:2], v[6:7]
	s_wait_loadcnt 0x0
	s_delay_alu instid0(VALU_DEP_2) | instskip(NEXT) | instid1(VALU_DEP_2)
	v_add_f64_e64 v[3:4], v[12:13], -v[3:4]
	v_add_f64_e64 v[1:2], v[10:11], -v[1:2]
	scratch_store_b128 off, v[1:4], off offset:464
	v_cmpx_lt_u32_e32 27, v0
	s_cbranch_execz .LBB124_337
; %bb.336:
	scratch_load_b128 v[1:4], off, s49
	v_mov_b32_e32 v5, 0
	s_delay_alu instid0(VALU_DEP_1)
	v_dual_mov_b32 v6, v5 :: v_dual_mov_b32 v7, v5
	v_mov_b32_e32 v8, v5
	scratch_store_b128 off, v[5:8], off offset:448
	s_wait_loadcnt 0x0
	ds_store_b128 v164, v[1:4]
.LBB124_337:
	s_wait_alu 0xfffe
	s_or_b32 exec_lo, exec_lo, s0
	s_wait_storecnt_dscnt 0x0
	s_barrier_signal -1
	s_barrier_wait -1
	global_inv scope:SCOPE_SE
	s_clause 0x7
	scratch_load_b128 v[2:5], off, off offset:464
	scratch_load_b128 v[6:9], off, off offset:480
	;; [unrolled: 1-line block ×8, first 2 shown]
	v_mov_b32_e32 v1, 0
	s_clause 0x1
	scratch_load_b128 v[38:41], off, off offset:592
	scratch_load_b128 v[169:172], off, off offset:608
	s_mov_b32 s0, exec_lo
	ds_load_b128 v[34:37], v1 offset:1424
	ds_load_b128 v[165:168], v1 offset:1440
	s_wait_loadcnt_dscnt 0x901
	v_mul_f64_e32 v[173:174], v[36:37], v[4:5]
	v_mul_f64_e32 v[4:5], v[34:35], v[4:5]
	s_wait_loadcnt_dscnt 0x800
	v_mul_f64_e32 v[175:176], v[165:166], v[8:9]
	v_mul_f64_e32 v[8:9], v[167:168], v[8:9]
	s_delay_alu instid0(VALU_DEP_4) | instskip(NEXT) | instid1(VALU_DEP_4)
	v_fma_f64 v[173:174], v[34:35], v[2:3], -v[173:174]
	v_fma_f64 v[177:178], v[36:37], v[2:3], v[4:5]
	ds_load_b128 v[2:5], v1 offset:1456
	scratch_load_b128 v[34:37], off, off offset:624
	v_fma_f64 v[175:176], v[167:168], v[6:7], v[175:176]
	v_fma_f64 v[181:182], v[165:166], v[6:7], -v[8:9]
	ds_load_b128 v[6:9], v1 offset:1472
	scratch_load_b128 v[165:168], off, off offset:640
	s_wait_loadcnt_dscnt 0x901
	v_mul_f64_e32 v[179:180], v[2:3], v[12:13]
	v_mul_f64_e32 v[12:13], v[4:5], v[12:13]
	s_wait_loadcnt_dscnt 0x800
	v_mul_f64_e32 v[183:184], v[6:7], v[16:17]
	v_mul_f64_e32 v[16:17], v[8:9], v[16:17]
	v_add_f64_e32 v[173:174], 0, v[173:174]
	v_add_f64_e32 v[177:178], 0, v[177:178]
	v_fma_f64 v[179:180], v[4:5], v[10:11], v[179:180]
	v_fma_f64 v[185:186], v[2:3], v[10:11], -v[12:13]
	ds_load_b128 v[2:5], v1 offset:1488
	scratch_load_b128 v[10:13], off, off offset:656
	v_add_f64_e32 v[173:174], v[173:174], v[181:182]
	v_add_f64_e32 v[175:176], v[177:178], v[175:176]
	v_fma_f64 v[181:182], v[8:9], v[14:15], v[183:184]
	v_fma_f64 v[183:184], v[6:7], v[14:15], -v[16:17]
	ds_load_b128 v[6:9], v1 offset:1504
	scratch_load_b128 v[14:17], off, off offset:672
	s_wait_loadcnt_dscnt 0x901
	v_mul_f64_e32 v[177:178], v[2:3], v[20:21]
	v_mul_f64_e32 v[20:21], v[4:5], v[20:21]
	v_add_f64_e32 v[173:174], v[173:174], v[185:186]
	v_add_f64_e32 v[175:176], v[175:176], v[179:180]
	s_wait_loadcnt_dscnt 0x800
	v_mul_f64_e32 v[179:180], v[6:7], v[24:25]
	v_mul_f64_e32 v[24:25], v[8:9], v[24:25]
	v_fma_f64 v[177:178], v[4:5], v[18:19], v[177:178]
	v_fma_f64 v[185:186], v[2:3], v[18:19], -v[20:21]
	ds_load_b128 v[2:5], v1 offset:1520
	scratch_load_b128 v[18:21], off, off offset:688
	v_add_f64_e32 v[173:174], v[173:174], v[183:184]
	v_add_f64_e32 v[175:176], v[175:176], v[181:182]
	v_fma_f64 v[179:180], v[8:9], v[22:23], v[179:180]
	v_fma_f64 v[183:184], v[6:7], v[22:23], -v[24:25]
	ds_load_b128 v[6:9], v1 offset:1536
	s_wait_loadcnt_dscnt 0x801
	v_mul_f64_e32 v[181:182], v[2:3], v[28:29]
	v_mul_f64_e32 v[28:29], v[4:5], v[28:29]
	scratch_load_b128 v[22:25], off, off offset:704
	v_add_f64_e32 v[173:174], v[173:174], v[185:186]
	v_add_f64_e32 v[175:176], v[175:176], v[177:178]
	s_wait_loadcnt_dscnt 0x800
	v_mul_f64_e32 v[177:178], v[6:7], v[32:33]
	v_mul_f64_e32 v[32:33], v[8:9], v[32:33]
	v_fma_f64 v[181:182], v[4:5], v[26:27], v[181:182]
	v_fma_f64 v[185:186], v[2:3], v[26:27], -v[28:29]
	ds_load_b128 v[2:5], v1 offset:1552
	scratch_load_b128 v[26:29], off, off offset:720
	v_add_f64_e32 v[173:174], v[173:174], v[183:184]
	v_add_f64_e32 v[175:176], v[175:176], v[179:180]
	v_fma_f64 v[177:178], v[8:9], v[30:31], v[177:178]
	v_fma_f64 v[183:184], v[6:7], v[30:31], -v[32:33]
	ds_load_b128 v[6:9], v1 offset:1568
	s_wait_loadcnt_dscnt 0x801
	v_mul_f64_e32 v[179:180], v[2:3], v[40:41]
	v_mul_f64_e32 v[40:41], v[4:5], v[40:41]
	scratch_load_b128 v[30:33], off, off offset:736
	v_add_f64_e32 v[173:174], v[173:174], v[185:186]
	v_add_f64_e32 v[175:176], v[175:176], v[181:182]
	s_wait_loadcnt_dscnt 0x800
	v_mul_f64_e32 v[181:182], v[6:7], v[171:172]
	v_mul_f64_e32 v[171:172], v[8:9], v[171:172]
	v_fma_f64 v[179:180], v[4:5], v[38:39], v[179:180]
	v_fma_f64 v[185:186], v[2:3], v[38:39], -v[40:41]
	ds_load_b128 v[2:5], v1 offset:1584
	scratch_load_b128 v[38:41], off, off offset:752
	v_add_f64_e32 v[173:174], v[173:174], v[183:184]
	v_add_f64_e32 v[175:176], v[175:176], v[177:178]
	v_fma_f64 v[181:182], v[8:9], v[169:170], v[181:182]
	v_fma_f64 v[183:184], v[6:7], v[169:170], -v[171:172]
	ds_load_b128 v[6:9], v1 offset:1600
	scratch_load_b128 v[169:172], off, off offset:768
	s_wait_loadcnt_dscnt 0x901
	v_mul_f64_e32 v[177:178], v[2:3], v[36:37]
	v_mul_f64_e32 v[36:37], v[4:5], v[36:37]
	v_add_f64_e32 v[173:174], v[173:174], v[185:186]
	v_add_f64_e32 v[175:176], v[175:176], v[179:180]
	s_wait_loadcnt_dscnt 0x800
	v_mul_f64_e32 v[179:180], v[6:7], v[167:168]
	v_mul_f64_e32 v[167:168], v[8:9], v[167:168]
	v_fma_f64 v[177:178], v[4:5], v[34:35], v[177:178]
	v_fma_f64 v[185:186], v[2:3], v[34:35], -v[36:37]
	ds_load_b128 v[2:5], v1 offset:1616
	scratch_load_b128 v[34:37], off, off offset:784
	v_add_f64_e32 v[173:174], v[173:174], v[183:184]
	v_add_f64_e32 v[175:176], v[175:176], v[181:182]
	v_fma_f64 v[179:180], v[8:9], v[165:166], v[179:180]
	v_fma_f64 v[183:184], v[6:7], v[165:166], -v[167:168]
	ds_load_b128 v[6:9], v1 offset:1632
	s_wait_loadcnt_dscnt 0x801
	v_mul_f64_e32 v[181:182], v[2:3], v[12:13]
	v_mul_f64_e32 v[12:13], v[4:5], v[12:13]
	scratch_load_b128 v[165:168], off, off offset:800
	v_add_f64_e32 v[173:174], v[173:174], v[185:186]
	v_add_f64_e32 v[175:176], v[175:176], v[177:178]
	s_wait_loadcnt_dscnt 0x800
	v_mul_f64_e32 v[177:178], v[6:7], v[16:17]
	v_mul_f64_e32 v[16:17], v[8:9], v[16:17]
	v_fma_f64 v[181:182], v[4:5], v[10:11], v[181:182]
	v_fma_f64 v[185:186], v[2:3], v[10:11], -v[12:13]
	ds_load_b128 v[2:5], v1 offset:1648
	scratch_load_b128 v[10:13], off, off offset:816
	v_add_f64_e32 v[173:174], v[173:174], v[183:184]
	v_add_f64_e32 v[175:176], v[175:176], v[179:180]
	v_fma_f64 v[177:178], v[8:9], v[14:15], v[177:178]
	v_fma_f64 v[183:184], v[6:7], v[14:15], -v[16:17]
	ds_load_b128 v[6:9], v1 offset:1664
	s_wait_loadcnt_dscnt 0x801
	v_mul_f64_e32 v[179:180], v[2:3], v[20:21]
	v_mul_f64_e32 v[20:21], v[4:5], v[20:21]
	scratch_load_b128 v[14:17], off, off offset:832
	v_add_f64_e32 v[173:174], v[173:174], v[185:186]
	v_add_f64_e32 v[175:176], v[175:176], v[181:182]
	s_wait_loadcnt_dscnt 0x800
	v_mul_f64_e32 v[181:182], v[6:7], v[24:25]
	v_mul_f64_e32 v[24:25], v[8:9], v[24:25]
	v_fma_f64 v[179:180], v[4:5], v[18:19], v[179:180]
	v_fma_f64 v[185:186], v[2:3], v[18:19], -v[20:21]
	ds_load_b128 v[2:5], v1 offset:1680
	scratch_load_b128 v[18:21], off, off offset:848
	v_add_f64_e32 v[173:174], v[173:174], v[183:184]
	v_add_f64_e32 v[175:176], v[175:176], v[177:178]
	v_fma_f64 v[181:182], v[8:9], v[22:23], v[181:182]
	v_fma_f64 v[183:184], v[6:7], v[22:23], -v[24:25]
	ds_load_b128 v[6:9], v1 offset:1696
	s_wait_loadcnt_dscnt 0x801
	v_mul_f64_e32 v[177:178], v[2:3], v[28:29]
	v_mul_f64_e32 v[28:29], v[4:5], v[28:29]
	scratch_load_b128 v[22:25], off, off offset:864
	v_add_f64_e32 v[173:174], v[173:174], v[185:186]
	v_add_f64_e32 v[175:176], v[175:176], v[179:180]
	s_wait_loadcnt_dscnt 0x800
	v_mul_f64_e32 v[179:180], v[6:7], v[32:33]
	v_mul_f64_e32 v[32:33], v[8:9], v[32:33]
	v_fma_f64 v[177:178], v[4:5], v[26:27], v[177:178]
	v_fma_f64 v[185:186], v[2:3], v[26:27], -v[28:29]
	ds_load_b128 v[2:5], v1 offset:1712
	scratch_load_b128 v[26:29], off, off offset:880
	v_add_f64_e32 v[173:174], v[173:174], v[183:184]
	v_add_f64_e32 v[175:176], v[175:176], v[181:182]
	v_fma_f64 v[179:180], v[8:9], v[30:31], v[179:180]
	v_fma_f64 v[183:184], v[6:7], v[30:31], -v[32:33]
	ds_load_b128 v[6:9], v1 offset:1728
	s_wait_loadcnt_dscnt 0x801
	v_mul_f64_e32 v[181:182], v[2:3], v[40:41]
	v_mul_f64_e32 v[40:41], v[4:5], v[40:41]
	scratch_load_b128 v[30:33], off, off offset:896
	v_add_f64_e32 v[173:174], v[173:174], v[185:186]
	v_add_f64_e32 v[175:176], v[175:176], v[177:178]
	s_wait_loadcnt_dscnt 0x800
	v_mul_f64_e32 v[177:178], v[6:7], v[171:172]
	v_mul_f64_e32 v[171:172], v[8:9], v[171:172]
	v_fma_f64 v[181:182], v[4:5], v[38:39], v[181:182]
	v_fma_f64 v[185:186], v[2:3], v[38:39], -v[40:41]
	ds_load_b128 v[2:5], v1 offset:1744
	scratch_load_b128 v[38:41], off, off offset:912
	v_add_f64_e32 v[173:174], v[173:174], v[183:184]
	v_add_f64_e32 v[175:176], v[175:176], v[179:180]
	v_fma_f64 v[177:178], v[8:9], v[169:170], v[177:178]
	v_fma_f64 v[183:184], v[6:7], v[169:170], -v[171:172]
	ds_load_b128 v[6:9], v1 offset:1760
	s_wait_loadcnt_dscnt 0x801
	v_mul_f64_e32 v[179:180], v[2:3], v[36:37]
	v_mul_f64_e32 v[36:37], v[4:5], v[36:37]
	scratch_load_b128 v[169:172], off, off offset:928
	v_add_f64_e32 v[173:174], v[173:174], v[185:186]
	v_add_f64_e32 v[175:176], v[175:176], v[181:182]
	s_wait_loadcnt_dscnt 0x800
	v_mul_f64_e32 v[181:182], v[6:7], v[167:168]
	v_mul_f64_e32 v[167:168], v[8:9], v[167:168]
	v_fma_f64 v[179:180], v[4:5], v[34:35], v[179:180]
	v_fma_f64 v[185:186], v[2:3], v[34:35], -v[36:37]
	ds_load_b128 v[2:5], v1 offset:1776
	scratch_load_b128 v[34:37], off, off offset:944
	v_add_f64_e32 v[173:174], v[173:174], v[183:184]
	v_add_f64_e32 v[175:176], v[175:176], v[177:178]
	v_fma_f64 v[181:182], v[8:9], v[165:166], v[181:182]
	v_fma_f64 v[183:184], v[6:7], v[165:166], -v[167:168]
	ds_load_b128 v[6:9], v1 offset:1792
	s_wait_loadcnt_dscnt 0x801
	v_mul_f64_e32 v[177:178], v[2:3], v[12:13]
	v_mul_f64_e32 v[12:13], v[4:5], v[12:13]
	scratch_load_b128 v[165:168], off, off offset:960
	v_add_f64_e32 v[173:174], v[173:174], v[185:186]
	v_add_f64_e32 v[175:176], v[175:176], v[179:180]
	s_wait_loadcnt_dscnt 0x800
	v_mul_f64_e32 v[179:180], v[6:7], v[16:17]
	v_mul_f64_e32 v[16:17], v[8:9], v[16:17]
	v_fma_f64 v[177:178], v[4:5], v[10:11], v[177:178]
	v_fma_f64 v[185:186], v[2:3], v[10:11], -v[12:13]
	ds_load_b128 v[2:5], v1 offset:1808
	scratch_load_b128 v[10:13], off, off offset:976
	v_add_f64_e32 v[173:174], v[173:174], v[183:184]
	v_add_f64_e32 v[175:176], v[175:176], v[181:182]
	v_fma_f64 v[179:180], v[8:9], v[14:15], v[179:180]
	v_fma_f64 v[14:15], v[6:7], v[14:15], -v[16:17]
	ds_load_b128 v[6:9], v1 offset:1824
	s_wait_loadcnt_dscnt 0x801
	v_mul_f64_e32 v[181:182], v[2:3], v[20:21]
	v_mul_f64_e32 v[20:21], v[4:5], v[20:21]
	v_add_f64_e32 v[16:17], v[173:174], v[185:186]
	v_add_f64_e32 v[173:174], v[175:176], v[177:178]
	s_wait_loadcnt_dscnt 0x700
	v_mul_f64_e32 v[175:176], v[6:7], v[24:25]
	v_mul_f64_e32 v[24:25], v[8:9], v[24:25]
	v_fma_f64 v[177:178], v[4:5], v[18:19], v[181:182]
	v_fma_f64 v[18:19], v[2:3], v[18:19], -v[20:21]
	ds_load_b128 v[2:5], v1 offset:1840
	v_add_f64_e32 v[14:15], v[16:17], v[14:15]
	v_add_f64_e32 v[16:17], v[173:174], v[179:180]
	v_fma_f64 v[173:174], v[8:9], v[22:23], v[175:176]
	v_fma_f64 v[22:23], v[6:7], v[22:23], -v[24:25]
	ds_load_b128 v[6:9], v1 offset:1856
	s_wait_loadcnt_dscnt 0x500
	v_mul_f64_e32 v[175:176], v[6:7], v[32:33]
	v_mul_f64_e32 v[32:33], v[8:9], v[32:33]
	v_add_f64_e32 v[18:19], v[14:15], v[18:19]
	v_add_f64_e32 v[24:25], v[16:17], v[177:178]
	scratch_load_b128 v[14:17], off, off offset:448
	v_mul_f64_e32 v[20:21], v[2:3], v[28:29]
	v_mul_f64_e32 v[28:29], v[4:5], v[28:29]
	v_add_f64_e32 v[18:19], v[18:19], v[22:23]
	v_add_f64_e32 v[22:23], v[24:25], v[173:174]
	s_delay_alu instid0(VALU_DEP_4) | instskip(NEXT) | instid1(VALU_DEP_4)
	v_fma_f64 v[20:21], v[4:5], v[26:27], v[20:21]
	v_fma_f64 v[26:27], v[2:3], v[26:27], -v[28:29]
	ds_load_b128 v[2:5], v1 offset:1872
	s_wait_loadcnt_dscnt 0x500
	v_mul_f64_e32 v[24:25], v[2:3], v[40:41]
	v_mul_f64_e32 v[28:29], v[4:5], v[40:41]
	v_fma_f64 v[40:41], v[8:9], v[30:31], v[175:176]
	v_fma_f64 v[30:31], v[6:7], v[30:31], -v[32:33]
	ds_load_b128 v[6:9], v1 offset:1888
	v_add_f64_e32 v[20:21], v[22:23], v[20:21]
	v_add_f64_e32 v[18:19], v[18:19], v[26:27]
	v_fma_f64 v[24:25], v[4:5], v[38:39], v[24:25]
	v_fma_f64 v[28:29], v[2:3], v[38:39], -v[28:29]
	ds_load_b128 v[2:5], v1 offset:1904
	s_wait_loadcnt_dscnt 0x401
	v_mul_f64_e32 v[22:23], v[6:7], v[171:172]
	v_mul_f64_e32 v[26:27], v[8:9], v[171:172]
	v_add_f64_e32 v[20:21], v[20:21], v[40:41]
	v_add_f64_e32 v[18:19], v[18:19], v[30:31]
	s_wait_loadcnt_dscnt 0x300
	v_mul_f64_e32 v[30:31], v[2:3], v[36:37]
	v_mul_f64_e32 v[32:33], v[4:5], v[36:37]
	v_fma_f64 v[22:23], v[8:9], v[169:170], v[22:23]
	v_fma_f64 v[26:27], v[6:7], v[169:170], -v[26:27]
	ds_load_b128 v[6:9], v1 offset:1920
	v_add_f64_e32 v[20:21], v[20:21], v[24:25]
	v_add_f64_e32 v[18:19], v[18:19], v[28:29]
	v_fma_f64 v[30:31], v[4:5], v[34:35], v[30:31]
	v_fma_f64 v[32:33], v[2:3], v[34:35], -v[32:33]
	ds_load_b128 v[2:5], v1 offset:1936
	s_wait_loadcnt_dscnt 0x201
	v_mul_f64_e32 v[24:25], v[6:7], v[167:168]
	v_mul_f64_e32 v[28:29], v[8:9], v[167:168]
	v_add_f64_e32 v[20:21], v[20:21], v[22:23]
	v_add_f64_e32 v[18:19], v[18:19], v[26:27]
	s_wait_loadcnt_dscnt 0x100
	v_mul_f64_e32 v[22:23], v[2:3], v[12:13]
	v_mul_f64_e32 v[12:13], v[4:5], v[12:13]
	v_fma_f64 v[8:9], v[8:9], v[165:166], v[24:25]
	v_fma_f64 v[6:7], v[6:7], v[165:166], -v[28:29]
	v_add_f64_e32 v[20:21], v[20:21], v[30:31]
	v_add_f64_e32 v[18:19], v[18:19], v[32:33]
	v_fma_f64 v[4:5], v[4:5], v[10:11], v[22:23]
	v_fma_f64 v[2:3], v[2:3], v[10:11], -v[12:13]
	s_delay_alu instid0(VALU_DEP_4) | instskip(NEXT) | instid1(VALU_DEP_4)
	v_add_f64_e32 v[8:9], v[20:21], v[8:9]
	v_add_f64_e32 v[6:7], v[18:19], v[6:7]
	s_delay_alu instid0(VALU_DEP_2) | instskip(NEXT) | instid1(VALU_DEP_2)
	v_add_f64_e32 v[4:5], v[8:9], v[4:5]
	v_add_f64_e32 v[2:3], v[6:7], v[2:3]
	s_wait_loadcnt 0x0
	s_delay_alu instid0(VALU_DEP_2) | instskip(NEXT) | instid1(VALU_DEP_2)
	v_add_f64_e64 v[4:5], v[16:17], -v[4:5]
	v_add_f64_e64 v[2:3], v[14:15], -v[2:3]
	scratch_store_b128 off, v[2:5], off offset:448
	v_cmpx_lt_u32_e32 26, v0
	s_cbranch_execz .LBB124_339
; %bb.338:
	scratch_load_b128 v[5:8], off, s50
	v_dual_mov_b32 v2, v1 :: v_dual_mov_b32 v3, v1
	v_mov_b32_e32 v4, v1
	scratch_store_b128 off, v[1:4], off offset:432
	s_wait_loadcnt 0x0
	ds_store_b128 v164, v[5:8]
.LBB124_339:
	s_wait_alu 0xfffe
	s_or_b32 exec_lo, exec_lo, s0
	s_wait_storecnt_dscnt 0x0
	s_barrier_signal -1
	s_barrier_wait -1
	global_inv scope:SCOPE_SE
	s_clause 0x7
	scratch_load_b128 v[2:5], off, off offset:448
	scratch_load_b128 v[6:9], off, off offset:464
	scratch_load_b128 v[10:13], off, off offset:480
	scratch_load_b128 v[14:17], off, off offset:496
	scratch_load_b128 v[18:21], off, off offset:512
	scratch_load_b128 v[22:25], off, off offset:528
	scratch_load_b128 v[26:29], off, off offset:544
	scratch_load_b128 v[30:33], off, off offset:560
	ds_load_b128 v[38:41], v1 offset:1408
	ds_load_b128 v[165:168], v1 offset:1424
	s_clause 0x1
	scratch_load_b128 v[34:37], off, off offset:576
	scratch_load_b128 v[169:172], off, off offset:592
	s_mov_b32 s0, exec_lo
	s_wait_loadcnt_dscnt 0x901
	v_mul_f64_e32 v[173:174], v[40:41], v[4:5]
	v_mul_f64_e32 v[4:5], v[38:39], v[4:5]
	s_wait_loadcnt_dscnt 0x800
	v_mul_f64_e32 v[175:176], v[165:166], v[8:9]
	v_mul_f64_e32 v[8:9], v[167:168], v[8:9]
	s_delay_alu instid0(VALU_DEP_4) | instskip(NEXT) | instid1(VALU_DEP_4)
	v_fma_f64 v[173:174], v[38:39], v[2:3], -v[173:174]
	v_fma_f64 v[177:178], v[40:41], v[2:3], v[4:5]
	ds_load_b128 v[2:5], v1 offset:1440
	scratch_load_b128 v[38:41], off, off offset:608
	v_fma_f64 v[175:176], v[167:168], v[6:7], v[175:176]
	v_fma_f64 v[181:182], v[165:166], v[6:7], -v[8:9]
	ds_load_b128 v[6:9], v1 offset:1456
	scratch_load_b128 v[165:168], off, off offset:624
	s_wait_loadcnt_dscnt 0x901
	v_mul_f64_e32 v[179:180], v[2:3], v[12:13]
	v_mul_f64_e32 v[12:13], v[4:5], v[12:13]
	s_wait_loadcnt_dscnt 0x800
	v_mul_f64_e32 v[183:184], v[6:7], v[16:17]
	v_mul_f64_e32 v[16:17], v[8:9], v[16:17]
	v_add_f64_e32 v[173:174], 0, v[173:174]
	v_add_f64_e32 v[177:178], 0, v[177:178]
	v_fma_f64 v[179:180], v[4:5], v[10:11], v[179:180]
	v_fma_f64 v[185:186], v[2:3], v[10:11], -v[12:13]
	ds_load_b128 v[2:5], v1 offset:1472
	scratch_load_b128 v[10:13], off, off offset:640
	v_add_f64_e32 v[173:174], v[173:174], v[181:182]
	v_add_f64_e32 v[175:176], v[177:178], v[175:176]
	v_fma_f64 v[181:182], v[8:9], v[14:15], v[183:184]
	v_fma_f64 v[183:184], v[6:7], v[14:15], -v[16:17]
	ds_load_b128 v[6:9], v1 offset:1488
	scratch_load_b128 v[14:17], off, off offset:656
	s_wait_loadcnt_dscnt 0x901
	v_mul_f64_e32 v[177:178], v[2:3], v[20:21]
	v_mul_f64_e32 v[20:21], v[4:5], v[20:21]
	v_add_f64_e32 v[173:174], v[173:174], v[185:186]
	v_add_f64_e32 v[175:176], v[175:176], v[179:180]
	s_wait_loadcnt_dscnt 0x800
	v_mul_f64_e32 v[179:180], v[6:7], v[24:25]
	v_mul_f64_e32 v[24:25], v[8:9], v[24:25]
	v_fma_f64 v[177:178], v[4:5], v[18:19], v[177:178]
	v_fma_f64 v[185:186], v[2:3], v[18:19], -v[20:21]
	ds_load_b128 v[2:5], v1 offset:1504
	scratch_load_b128 v[18:21], off, off offset:672
	v_add_f64_e32 v[173:174], v[173:174], v[183:184]
	v_add_f64_e32 v[175:176], v[175:176], v[181:182]
	v_fma_f64 v[179:180], v[8:9], v[22:23], v[179:180]
	v_fma_f64 v[183:184], v[6:7], v[22:23], -v[24:25]
	ds_load_b128 v[6:9], v1 offset:1520
	s_wait_loadcnt_dscnt 0x801
	v_mul_f64_e32 v[181:182], v[2:3], v[28:29]
	v_mul_f64_e32 v[28:29], v[4:5], v[28:29]
	scratch_load_b128 v[22:25], off, off offset:688
	v_add_f64_e32 v[173:174], v[173:174], v[185:186]
	v_add_f64_e32 v[175:176], v[175:176], v[177:178]
	s_wait_loadcnt_dscnt 0x800
	v_mul_f64_e32 v[177:178], v[6:7], v[32:33]
	v_mul_f64_e32 v[32:33], v[8:9], v[32:33]
	v_fma_f64 v[181:182], v[4:5], v[26:27], v[181:182]
	v_fma_f64 v[185:186], v[2:3], v[26:27], -v[28:29]
	ds_load_b128 v[2:5], v1 offset:1536
	scratch_load_b128 v[26:29], off, off offset:704
	v_add_f64_e32 v[173:174], v[173:174], v[183:184]
	v_add_f64_e32 v[175:176], v[175:176], v[179:180]
	v_fma_f64 v[177:178], v[8:9], v[30:31], v[177:178]
	v_fma_f64 v[183:184], v[6:7], v[30:31], -v[32:33]
	ds_load_b128 v[6:9], v1 offset:1552
	s_wait_loadcnt_dscnt 0x801
	v_mul_f64_e32 v[179:180], v[2:3], v[36:37]
	v_mul_f64_e32 v[36:37], v[4:5], v[36:37]
	scratch_load_b128 v[30:33], off, off offset:720
	v_add_f64_e32 v[173:174], v[173:174], v[185:186]
	v_add_f64_e32 v[175:176], v[175:176], v[181:182]
	s_wait_loadcnt_dscnt 0x800
	v_mul_f64_e32 v[181:182], v[6:7], v[171:172]
	v_mul_f64_e32 v[171:172], v[8:9], v[171:172]
	v_fma_f64 v[179:180], v[4:5], v[34:35], v[179:180]
	v_fma_f64 v[185:186], v[2:3], v[34:35], -v[36:37]
	ds_load_b128 v[2:5], v1 offset:1568
	scratch_load_b128 v[34:37], off, off offset:736
	v_add_f64_e32 v[173:174], v[173:174], v[183:184]
	v_add_f64_e32 v[175:176], v[175:176], v[177:178]
	v_fma_f64 v[181:182], v[8:9], v[169:170], v[181:182]
	v_fma_f64 v[183:184], v[6:7], v[169:170], -v[171:172]
	ds_load_b128 v[6:9], v1 offset:1584
	scratch_load_b128 v[169:172], off, off offset:752
	s_wait_loadcnt_dscnt 0x901
	v_mul_f64_e32 v[177:178], v[2:3], v[40:41]
	v_mul_f64_e32 v[40:41], v[4:5], v[40:41]
	v_add_f64_e32 v[173:174], v[173:174], v[185:186]
	v_add_f64_e32 v[175:176], v[175:176], v[179:180]
	s_wait_loadcnt_dscnt 0x800
	v_mul_f64_e32 v[179:180], v[6:7], v[167:168]
	v_mul_f64_e32 v[167:168], v[8:9], v[167:168]
	v_fma_f64 v[177:178], v[4:5], v[38:39], v[177:178]
	v_fma_f64 v[185:186], v[2:3], v[38:39], -v[40:41]
	ds_load_b128 v[2:5], v1 offset:1600
	scratch_load_b128 v[38:41], off, off offset:768
	v_add_f64_e32 v[173:174], v[173:174], v[183:184]
	v_add_f64_e32 v[175:176], v[175:176], v[181:182]
	v_fma_f64 v[179:180], v[8:9], v[165:166], v[179:180]
	v_fma_f64 v[183:184], v[6:7], v[165:166], -v[167:168]
	ds_load_b128 v[6:9], v1 offset:1616
	s_wait_loadcnt_dscnt 0x801
	v_mul_f64_e32 v[181:182], v[2:3], v[12:13]
	v_mul_f64_e32 v[12:13], v[4:5], v[12:13]
	scratch_load_b128 v[165:168], off, off offset:784
	v_add_f64_e32 v[173:174], v[173:174], v[185:186]
	v_add_f64_e32 v[175:176], v[175:176], v[177:178]
	s_wait_loadcnt_dscnt 0x800
	v_mul_f64_e32 v[177:178], v[6:7], v[16:17]
	v_mul_f64_e32 v[16:17], v[8:9], v[16:17]
	v_fma_f64 v[181:182], v[4:5], v[10:11], v[181:182]
	v_fma_f64 v[185:186], v[2:3], v[10:11], -v[12:13]
	ds_load_b128 v[2:5], v1 offset:1632
	scratch_load_b128 v[10:13], off, off offset:800
	v_add_f64_e32 v[173:174], v[173:174], v[183:184]
	v_add_f64_e32 v[175:176], v[175:176], v[179:180]
	v_fma_f64 v[177:178], v[8:9], v[14:15], v[177:178]
	v_fma_f64 v[183:184], v[6:7], v[14:15], -v[16:17]
	ds_load_b128 v[6:9], v1 offset:1648
	s_wait_loadcnt_dscnt 0x801
	v_mul_f64_e32 v[179:180], v[2:3], v[20:21]
	v_mul_f64_e32 v[20:21], v[4:5], v[20:21]
	scratch_load_b128 v[14:17], off, off offset:816
	;; [unrolled: 18-line block ×7, first 2 shown]
	v_add_f64_e32 v[173:174], v[173:174], v[185:186]
	v_add_f64_e32 v[175:176], v[175:176], v[177:178]
	s_wait_loadcnt_dscnt 0x800
	v_mul_f64_e32 v[177:178], v[6:7], v[24:25]
	v_mul_f64_e32 v[24:25], v[8:9], v[24:25]
	v_fma_f64 v[181:182], v[4:5], v[18:19], v[181:182]
	v_fma_f64 v[18:19], v[2:3], v[18:19], -v[20:21]
	ds_load_b128 v[2:5], v1 offset:1824
	v_add_f64_e32 v[20:21], v[173:174], v[183:184]
	v_add_f64_e32 v[173:174], v[175:176], v[179:180]
	v_fma_f64 v[177:178], v[8:9], v[22:23], v[177:178]
	v_fma_f64 v[22:23], v[6:7], v[22:23], -v[24:25]
	ds_load_b128 v[6:9], v1 offset:1840
	s_wait_loadcnt_dscnt 0x701
	v_mul_f64_e32 v[175:176], v[2:3], v[28:29]
	v_mul_f64_e32 v[28:29], v[4:5], v[28:29]
	v_add_f64_e32 v[18:19], v[20:21], v[18:19]
	v_add_f64_e32 v[20:21], v[173:174], v[181:182]
	s_delay_alu instid0(VALU_DEP_4) | instskip(NEXT) | instid1(VALU_DEP_4)
	v_fma_f64 v[173:174], v[4:5], v[26:27], v[175:176]
	v_fma_f64 v[26:27], v[2:3], v[26:27], -v[28:29]
	ds_load_b128 v[2:5], v1 offset:1856
	v_add_f64_e32 v[22:23], v[18:19], v[22:23]
	v_add_f64_e32 v[28:29], v[20:21], v[177:178]
	scratch_load_b128 v[18:21], off, off offset:432
	s_wait_loadcnt_dscnt 0x701
	v_mul_f64_e32 v[24:25], v[6:7], v[32:33]
	v_mul_f64_e32 v[32:33], v[8:9], v[32:33]
	v_add_f64_e32 v[22:23], v[22:23], v[26:27]
	v_add_f64_e32 v[26:27], v[28:29], v[173:174]
	s_delay_alu instid0(VALU_DEP_4) | instskip(NEXT) | instid1(VALU_DEP_4)
	v_fma_f64 v[24:25], v[8:9], v[30:31], v[24:25]
	v_fma_f64 v[30:31], v[6:7], v[30:31], -v[32:33]
	ds_load_b128 v[6:9], v1 offset:1872
	s_wait_loadcnt_dscnt 0x601
	v_mul_f64_e32 v[175:176], v[2:3], v[36:37]
	v_mul_f64_e32 v[36:37], v[4:5], v[36:37]
	s_wait_loadcnt_dscnt 0x500
	v_mul_f64_e32 v[28:29], v[6:7], v[171:172]
	v_mul_f64_e32 v[32:33], v[8:9], v[171:172]
	v_add_f64_e32 v[24:25], v[26:27], v[24:25]
	v_add_f64_e32 v[22:23], v[22:23], v[30:31]
	v_fma_f64 v[171:172], v[4:5], v[34:35], v[175:176]
	v_fma_f64 v[34:35], v[2:3], v[34:35], -v[36:37]
	ds_load_b128 v[2:5], v1 offset:1888
	v_fma_f64 v[28:29], v[8:9], v[169:170], v[28:29]
	v_fma_f64 v[32:33], v[6:7], v[169:170], -v[32:33]
	ds_load_b128 v[6:9], v1 offset:1904
	s_wait_loadcnt_dscnt 0x401
	v_mul_f64_e32 v[26:27], v[2:3], v[40:41]
	v_mul_f64_e32 v[30:31], v[4:5], v[40:41]
	v_add_f64_e32 v[24:25], v[24:25], v[171:172]
	v_add_f64_e32 v[22:23], v[22:23], v[34:35]
	s_wait_loadcnt_dscnt 0x300
	v_mul_f64_e32 v[34:35], v[6:7], v[167:168]
	v_mul_f64_e32 v[36:37], v[8:9], v[167:168]
	v_fma_f64 v[26:27], v[4:5], v[38:39], v[26:27]
	v_fma_f64 v[30:31], v[2:3], v[38:39], -v[30:31]
	ds_load_b128 v[2:5], v1 offset:1920
	v_add_f64_e32 v[24:25], v[24:25], v[28:29]
	v_add_f64_e32 v[22:23], v[22:23], v[32:33]
	v_fma_f64 v[32:33], v[8:9], v[165:166], v[34:35]
	v_fma_f64 v[34:35], v[6:7], v[165:166], -v[36:37]
	ds_load_b128 v[6:9], v1 offset:1936
	s_wait_loadcnt_dscnt 0x201
	v_mul_f64_e32 v[28:29], v[2:3], v[12:13]
	v_mul_f64_e32 v[12:13], v[4:5], v[12:13]
	v_add_f64_e32 v[24:25], v[24:25], v[26:27]
	v_add_f64_e32 v[22:23], v[22:23], v[30:31]
	s_wait_loadcnt_dscnt 0x100
	v_mul_f64_e32 v[26:27], v[6:7], v[16:17]
	v_mul_f64_e32 v[16:17], v[8:9], v[16:17]
	v_fma_f64 v[4:5], v[4:5], v[10:11], v[28:29]
	v_fma_f64 v[1:2], v[2:3], v[10:11], -v[12:13]
	v_add_f64_e32 v[12:13], v[24:25], v[32:33]
	v_add_f64_e32 v[10:11], v[22:23], v[34:35]
	v_fma_f64 v[8:9], v[8:9], v[14:15], v[26:27]
	v_fma_f64 v[6:7], v[6:7], v[14:15], -v[16:17]
	s_delay_alu instid0(VALU_DEP_4) | instskip(NEXT) | instid1(VALU_DEP_4)
	v_add_f64_e32 v[3:4], v[12:13], v[4:5]
	v_add_f64_e32 v[1:2], v[10:11], v[1:2]
	s_delay_alu instid0(VALU_DEP_2) | instskip(NEXT) | instid1(VALU_DEP_2)
	v_add_f64_e32 v[3:4], v[3:4], v[8:9]
	v_add_f64_e32 v[1:2], v[1:2], v[6:7]
	s_wait_loadcnt 0x0
	s_delay_alu instid0(VALU_DEP_2) | instskip(NEXT) | instid1(VALU_DEP_2)
	v_add_f64_e64 v[3:4], v[20:21], -v[3:4]
	v_add_f64_e64 v[1:2], v[18:19], -v[1:2]
	scratch_store_b128 off, v[1:4], off offset:432
	v_cmpx_lt_u32_e32 25, v0
	s_cbranch_execz .LBB124_341
; %bb.340:
	scratch_load_b128 v[1:4], off, s51
	v_mov_b32_e32 v5, 0
	s_delay_alu instid0(VALU_DEP_1)
	v_dual_mov_b32 v6, v5 :: v_dual_mov_b32 v7, v5
	v_mov_b32_e32 v8, v5
	scratch_store_b128 off, v[5:8], off offset:416
	s_wait_loadcnt 0x0
	ds_store_b128 v164, v[1:4]
.LBB124_341:
	s_wait_alu 0xfffe
	s_or_b32 exec_lo, exec_lo, s0
	s_wait_storecnt_dscnt 0x0
	s_barrier_signal -1
	s_barrier_wait -1
	global_inv scope:SCOPE_SE
	s_clause 0x7
	scratch_load_b128 v[2:5], off, off offset:432
	scratch_load_b128 v[6:9], off, off offset:448
	scratch_load_b128 v[10:13], off, off offset:464
	scratch_load_b128 v[14:17], off, off offset:480
	scratch_load_b128 v[18:21], off, off offset:496
	scratch_load_b128 v[22:25], off, off offset:512
	scratch_load_b128 v[26:29], off, off offset:528
	scratch_load_b128 v[30:33], off, off offset:544
	v_mov_b32_e32 v1, 0
	s_clause 0x1
	scratch_load_b128 v[34:37], off, off offset:560
	scratch_load_b128 v[169:172], off, off offset:576
	s_mov_b32 s0, exec_lo
	ds_load_b128 v[38:41], v1 offset:1392
	ds_load_b128 v[165:168], v1 offset:1408
	s_wait_loadcnt_dscnt 0x901
	v_mul_f64_e32 v[173:174], v[40:41], v[4:5]
	v_mul_f64_e32 v[4:5], v[38:39], v[4:5]
	s_wait_loadcnt_dscnt 0x800
	v_mul_f64_e32 v[175:176], v[165:166], v[8:9]
	v_mul_f64_e32 v[8:9], v[167:168], v[8:9]
	s_delay_alu instid0(VALU_DEP_4) | instskip(NEXT) | instid1(VALU_DEP_4)
	v_fma_f64 v[173:174], v[38:39], v[2:3], -v[173:174]
	v_fma_f64 v[177:178], v[40:41], v[2:3], v[4:5]
	ds_load_b128 v[2:5], v1 offset:1424
	scratch_load_b128 v[38:41], off, off offset:592
	v_fma_f64 v[175:176], v[167:168], v[6:7], v[175:176]
	v_fma_f64 v[181:182], v[165:166], v[6:7], -v[8:9]
	ds_load_b128 v[6:9], v1 offset:1440
	scratch_load_b128 v[165:168], off, off offset:608
	s_wait_loadcnt_dscnt 0x901
	v_mul_f64_e32 v[179:180], v[2:3], v[12:13]
	v_mul_f64_e32 v[12:13], v[4:5], v[12:13]
	s_wait_loadcnt_dscnt 0x800
	v_mul_f64_e32 v[183:184], v[6:7], v[16:17]
	v_mul_f64_e32 v[16:17], v[8:9], v[16:17]
	v_add_f64_e32 v[173:174], 0, v[173:174]
	v_add_f64_e32 v[177:178], 0, v[177:178]
	v_fma_f64 v[179:180], v[4:5], v[10:11], v[179:180]
	v_fma_f64 v[185:186], v[2:3], v[10:11], -v[12:13]
	ds_load_b128 v[2:5], v1 offset:1456
	scratch_load_b128 v[10:13], off, off offset:624
	v_add_f64_e32 v[173:174], v[173:174], v[181:182]
	v_add_f64_e32 v[175:176], v[177:178], v[175:176]
	v_fma_f64 v[181:182], v[8:9], v[14:15], v[183:184]
	v_fma_f64 v[183:184], v[6:7], v[14:15], -v[16:17]
	ds_load_b128 v[6:9], v1 offset:1472
	scratch_load_b128 v[14:17], off, off offset:640
	s_wait_loadcnt_dscnt 0x901
	v_mul_f64_e32 v[177:178], v[2:3], v[20:21]
	v_mul_f64_e32 v[20:21], v[4:5], v[20:21]
	v_add_f64_e32 v[173:174], v[173:174], v[185:186]
	v_add_f64_e32 v[175:176], v[175:176], v[179:180]
	s_wait_loadcnt_dscnt 0x800
	v_mul_f64_e32 v[179:180], v[6:7], v[24:25]
	v_mul_f64_e32 v[24:25], v[8:9], v[24:25]
	v_fma_f64 v[177:178], v[4:5], v[18:19], v[177:178]
	v_fma_f64 v[185:186], v[2:3], v[18:19], -v[20:21]
	ds_load_b128 v[2:5], v1 offset:1488
	scratch_load_b128 v[18:21], off, off offset:656
	v_add_f64_e32 v[173:174], v[173:174], v[183:184]
	v_add_f64_e32 v[175:176], v[175:176], v[181:182]
	v_fma_f64 v[179:180], v[8:9], v[22:23], v[179:180]
	v_fma_f64 v[183:184], v[6:7], v[22:23], -v[24:25]
	ds_load_b128 v[6:9], v1 offset:1504
	s_wait_loadcnt_dscnt 0x801
	v_mul_f64_e32 v[181:182], v[2:3], v[28:29]
	v_mul_f64_e32 v[28:29], v[4:5], v[28:29]
	scratch_load_b128 v[22:25], off, off offset:672
	v_add_f64_e32 v[173:174], v[173:174], v[185:186]
	v_add_f64_e32 v[175:176], v[175:176], v[177:178]
	s_wait_loadcnt_dscnt 0x800
	v_mul_f64_e32 v[177:178], v[6:7], v[32:33]
	v_mul_f64_e32 v[32:33], v[8:9], v[32:33]
	v_fma_f64 v[181:182], v[4:5], v[26:27], v[181:182]
	v_fma_f64 v[185:186], v[2:3], v[26:27], -v[28:29]
	ds_load_b128 v[2:5], v1 offset:1520
	scratch_load_b128 v[26:29], off, off offset:688
	v_add_f64_e32 v[173:174], v[173:174], v[183:184]
	v_add_f64_e32 v[175:176], v[175:176], v[179:180]
	v_fma_f64 v[177:178], v[8:9], v[30:31], v[177:178]
	v_fma_f64 v[183:184], v[6:7], v[30:31], -v[32:33]
	ds_load_b128 v[6:9], v1 offset:1536
	s_wait_loadcnt_dscnt 0x801
	v_mul_f64_e32 v[179:180], v[2:3], v[36:37]
	v_mul_f64_e32 v[36:37], v[4:5], v[36:37]
	scratch_load_b128 v[30:33], off, off offset:704
	v_add_f64_e32 v[173:174], v[173:174], v[185:186]
	v_add_f64_e32 v[175:176], v[175:176], v[181:182]
	s_wait_loadcnt_dscnt 0x800
	v_mul_f64_e32 v[181:182], v[6:7], v[171:172]
	v_mul_f64_e32 v[171:172], v[8:9], v[171:172]
	v_fma_f64 v[179:180], v[4:5], v[34:35], v[179:180]
	v_fma_f64 v[185:186], v[2:3], v[34:35], -v[36:37]
	ds_load_b128 v[2:5], v1 offset:1552
	scratch_load_b128 v[34:37], off, off offset:720
	v_add_f64_e32 v[173:174], v[173:174], v[183:184]
	v_add_f64_e32 v[175:176], v[175:176], v[177:178]
	v_fma_f64 v[181:182], v[8:9], v[169:170], v[181:182]
	v_fma_f64 v[183:184], v[6:7], v[169:170], -v[171:172]
	ds_load_b128 v[6:9], v1 offset:1568
	scratch_load_b128 v[169:172], off, off offset:736
	s_wait_loadcnt_dscnt 0x901
	v_mul_f64_e32 v[177:178], v[2:3], v[40:41]
	v_mul_f64_e32 v[40:41], v[4:5], v[40:41]
	v_add_f64_e32 v[173:174], v[173:174], v[185:186]
	v_add_f64_e32 v[175:176], v[175:176], v[179:180]
	s_wait_loadcnt_dscnt 0x800
	v_mul_f64_e32 v[179:180], v[6:7], v[167:168]
	v_mul_f64_e32 v[167:168], v[8:9], v[167:168]
	v_fma_f64 v[177:178], v[4:5], v[38:39], v[177:178]
	v_fma_f64 v[185:186], v[2:3], v[38:39], -v[40:41]
	ds_load_b128 v[2:5], v1 offset:1584
	scratch_load_b128 v[38:41], off, off offset:752
	v_add_f64_e32 v[173:174], v[173:174], v[183:184]
	v_add_f64_e32 v[175:176], v[175:176], v[181:182]
	v_fma_f64 v[179:180], v[8:9], v[165:166], v[179:180]
	v_fma_f64 v[183:184], v[6:7], v[165:166], -v[167:168]
	ds_load_b128 v[6:9], v1 offset:1600
	s_wait_loadcnt_dscnt 0x801
	v_mul_f64_e32 v[181:182], v[2:3], v[12:13]
	v_mul_f64_e32 v[12:13], v[4:5], v[12:13]
	scratch_load_b128 v[165:168], off, off offset:768
	v_add_f64_e32 v[173:174], v[173:174], v[185:186]
	v_add_f64_e32 v[175:176], v[175:176], v[177:178]
	s_wait_loadcnt_dscnt 0x800
	v_mul_f64_e32 v[177:178], v[6:7], v[16:17]
	v_mul_f64_e32 v[16:17], v[8:9], v[16:17]
	v_fma_f64 v[181:182], v[4:5], v[10:11], v[181:182]
	v_fma_f64 v[185:186], v[2:3], v[10:11], -v[12:13]
	ds_load_b128 v[2:5], v1 offset:1616
	scratch_load_b128 v[10:13], off, off offset:784
	v_add_f64_e32 v[173:174], v[173:174], v[183:184]
	v_add_f64_e32 v[175:176], v[175:176], v[179:180]
	v_fma_f64 v[177:178], v[8:9], v[14:15], v[177:178]
	v_fma_f64 v[183:184], v[6:7], v[14:15], -v[16:17]
	ds_load_b128 v[6:9], v1 offset:1632
	s_wait_loadcnt_dscnt 0x801
	v_mul_f64_e32 v[179:180], v[2:3], v[20:21]
	v_mul_f64_e32 v[20:21], v[4:5], v[20:21]
	scratch_load_b128 v[14:17], off, off offset:800
	;; [unrolled: 18-line block ×7, first 2 shown]
	v_add_f64_e32 v[173:174], v[173:174], v[185:186]
	v_add_f64_e32 v[175:176], v[175:176], v[177:178]
	s_wait_loadcnt_dscnt 0x800
	v_mul_f64_e32 v[177:178], v[6:7], v[24:25]
	v_mul_f64_e32 v[24:25], v[8:9], v[24:25]
	v_fma_f64 v[181:182], v[4:5], v[18:19], v[181:182]
	v_fma_f64 v[185:186], v[2:3], v[18:19], -v[20:21]
	ds_load_b128 v[2:5], v1 offset:1808
	scratch_load_b128 v[18:21], off, off offset:976
	v_add_f64_e32 v[173:174], v[173:174], v[183:184]
	v_add_f64_e32 v[175:176], v[175:176], v[179:180]
	v_fma_f64 v[177:178], v[8:9], v[22:23], v[177:178]
	v_fma_f64 v[22:23], v[6:7], v[22:23], -v[24:25]
	ds_load_b128 v[6:9], v1 offset:1824
	s_wait_loadcnt_dscnt 0x801
	v_mul_f64_e32 v[179:180], v[2:3], v[28:29]
	v_mul_f64_e32 v[28:29], v[4:5], v[28:29]
	v_add_f64_e32 v[24:25], v[173:174], v[185:186]
	v_add_f64_e32 v[173:174], v[175:176], v[181:182]
	s_wait_loadcnt_dscnt 0x700
	v_mul_f64_e32 v[175:176], v[6:7], v[32:33]
	v_mul_f64_e32 v[32:33], v[8:9], v[32:33]
	v_fma_f64 v[179:180], v[4:5], v[26:27], v[179:180]
	v_fma_f64 v[26:27], v[2:3], v[26:27], -v[28:29]
	ds_load_b128 v[2:5], v1 offset:1840
	v_add_f64_e32 v[22:23], v[24:25], v[22:23]
	v_add_f64_e32 v[24:25], v[173:174], v[177:178]
	v_fma_f64 v[173:174], v[8:9], v[30:31], v[175:176]
	v_fma_f64 v[30:31], v[6:7], v[30:31], -v[32:33]
	ds_load_b128 v[6:9], v1 offset:1856
	s_wait_loadcnt_dscnt 0x500
	v_mul_f64_e32 v[175:176], v[6:7], v[171:172]
	v_mul_f64_e32 v[171:172], v[8:9], v[171:172]
	v_add_f64_e32 v[26:27], v[22:23], v[26:27]
	v_add_f64_e32 v[32:33], v[24:25], v[179:180]
	scratch_load_b128 v[22:25], off, off offset:416
	v_mul_f64_e32 v[28:29], v[2:3], v[36:37]
	v_mul_f64_e32 v[36:37], v[4:5], v[36:37]
	v_add_f64_e32 v[26:27], v[26:27], v[30:31]
	v_add_f64_e32 v[30:31], v[32:33], v[173:174]
	s_delay_alu instid0(VALU_DEP_4) | instskip(NEXT) | instid1(VALU_DEP_4)
	v_fma_f64 v[28:29], v[4:5], v[34:35], v[28:29]
	v_fma_f64 v[34:35], v[2:3], v[34:35], -v[36:37]
	ds_load_b128 v[2:5], v1 offset:1872
	s_wait_loadcnt_dscnt 0x500
	v_mul_f64_e32 v[32:33], v[2:3], v[40:41]
	v_mul_f64_e32 v[36:37], v[4:5], v[40:41]
	v_fma_f64 v[40:41], v[8:9], v[169:170], v[175:176]
	v_fma_f64 v[169:170], v[6:7], v[169:170], -v[171:172]
	ds_load_b128 v[6:9], v1 offset:1888
	v_add_f64_e32 v[28:29], v[30:31], v[28:29]
	v_add_f64_e32 v[26:27], v[26:27], v[34:35]
	v_fma_f64 v[32:33], v[4:5], v[38:39], v[32:33]
	v_fma_f64 v[36:37], v[2:3], v[38:39], -v[36:37]
	ds_load_b128 v[2:5], v1 offset:1904
	s_wait_loadcnt_dscnt 0x401
	v_mul_f64_e32 v[30:31], v[6:7], v[167:168]
	v_mul_f64_e32 v[34:35], v[8:9], v[167:168]
	v_add_f64_e32 v[28:29], v[28:29], v[40:41]
	v_add_f64_e32 v[26:27], v[26:27], v[169:170]
	s_wait_loadcnt_dscnt 0x300
	v_mul_f64_e32 v[38:39], v[2:3], v[12:13]
	v_mul_f64_e32 v[12:13], v[4:5], v[12:13]
	v_fma_f64 v[30:31], v[8:9], v[165:166], v[30:31]
	v_fma_f64 v[34:35], v[6:7], v[165:166], -v[34:35]
	ds_load_b128 v[6:9], v1 offset:1920
	v_add_f64_e32 v[28:29], v[28:29], v[32:33]
	v_add_f64_e32 v[26:27], v[26:27], v[36:37]
	v_fma_f64 v[36:37], v[4:5], v[10:11], v[38:39]
	v_fma_f64 v[10:11], v[2:3], v[10:11], -v[12:13]
	ds_load_b128 v[2:5], v1 offset:1936
	s_wait_loadcnt_dscnt 0x201
	v_mul_f64_e32 v[32:33], v[6:7], v[16:17]
	v_mul_f64_e32 v[16:17], v[8:9], v[16:17]
	v_add_f64_e32 v[12:13], v[26:27], v[34:35]
	v_add_f64_e32 v[26:27], v[28:29], v[30:31]
	s_wait_loadcnt_dscnt 0x100
	v_mul_f64_e32 v[28:29], v[2:3], v[20:21]
	v_mul_f64_e32 v[20:21], v[4:5], v[20:21]
	v_fma_f64 v[8:9], v[8:9], v[14:15], v[32:33]
	v_fma_f64 v[6:7], v[6:7], v[14:15], -v[16:17]
	v_add_f64_e32 v[10:11], v[12:13], v[10:11]
	v_add_f64_e32 v[12:13], v[26:27], v[36:37]
	v_fma_f64 v[4:5], v[4:5], v[18:19], v[28:29]
	v_fma_f64 v[2:3], v[2:3], v[18:19], -v[20:21]
	s_delay_alu instid0(VALU_DEP_4) | instskip(NEXT) | instid1(VALU_DEP_4)
	v_add_f64_e32 v[6:7], v[10:11], v[6:7]
	v_add_f64_e32 v[8:9], v[12:13], v[8:9]
	s_delay_alu instid0(VALU_DEP_2) | instskip(NEXT) | instid1(VALU_DEP_2)
	v_add_f64_e32 v[2:3], v[6:7], v[2:3]
	v_add_f64_e32 v[4:5], v[8:9], v[4:5]
	s_wait_loadcnt 0x0
	s_delay_alu instid0(VALU_DEP_2) | instskip(NEXT) | instid1(VALU_DEP_2)
	v_add_f64_e64 v[2:3], v[22:23], -v[2:3]
	v_add_f64_e64 v[4:5], v[24:25], -v[4:5]
	scratch_store_b128 off, v[2:5], off offset:416
	v_cmpx_lt_u32_e32 24, v0
	s_cbranch_execz .LBB124_343
; %bb.342:
	scratch_load_b128 v[5:8], off, s52
	v_dual_mov_b32 v2, v1 :: v_dual_mov_b32 v3, v1
	v_mov_b32_e32 v4, v1
	scratch_store_b128 off, v[1:4], off offset:400
	s_wait_loadcnt 0x0
	ds_store_b128 v164, v[5:8]
.LBB124_343:
	s_wait_alu 0xfffe
	s_or_b32 exec_lo, exec_lo, s0
	s_wait_storecnt_dscnt 0x0
	s_barrier_signal -1
	s_barrier_wait -1
	global_inv scope:SCOPE_SE
	s_clause 0x7
	scratch_load_b128 v[2:5], off, off offset:416
	scratch_load_b128 v[6:9], off, off offset:432
	;; [unrolled: 1-line block ×8, first 2 shown]
	ds_load_b128 v[38:41], v1 offset:1376
	ds_load_b128 v[165:168], v1 offset:1392
	s_clause 0x1
	scratch_load_b128 v[34:37], off, off offset:544
	scratch_load_b128 v[169:172], off, off offset:560
	s_mov_b32 s0, exec_lo
	s_wait_loadcnt_dscnt 0x901
	v_mul_f64_e32 v[173:174], v[40:41], v[4:5]
	v_mul_f64_e32 v[4:5], v[38:39], v[4:5]
	s_wait_loadcnt_dscnt 0x800
	v_mul_f64_e32 v[175:176], v[165:166], v[8:9]
	v_mul_f64_e32 v[8:9], v[167:168], v[8:9]
	s_delay_alu instid0(VALU_DEP_4) | instskip(NEXT) | instid1(VALU_DEP_4)
	v_fma_f64 v[173:174], v[38:39], v[2:3], -v[173:174]
	v_fma_f64 v[177:178], v[40:41], v[2:3], v[4:5]
	ds_load_b128 v[2:5], v1 offset:1408
	scratch_load_b128 v[38:41], off, off offset:576
	v_fma_f64 v[175:176], v[167:168], v[6:7], v[175:176]
	v_fma_f64 v[181:182], v[165:166], v[6:7], -v[8:9]
	ds_load_b128 v[6:9], v1 offset:1424
	scratch_load_b128 v[165:168], off, off offset:592
	s_wait_loadcnt_dscnt 0x901
	v_mul_f64_e32 v[179:180], v[2:3], v[12:13]
	v_mul_f64_e32 v[12:13], v[4:5], v[12:13]
	s_wait_loadcnt_dscnt 0x800
	v_mul_f64_e32 v[183:184], v[6:7], v[16:17]
	v_mul_f64_e32 v[16:17], v[8:9], v[16:17]
	v_add_f64_e32 v[173:174], 0, v[173:174]
	v_add_f64_e32 v[177:178], 0, v[177:178]
	v_fma_f64 v[179:180], v[4:5], v[10:11], v[179:180]
	v_fma_f64 v[185:186], v[2:3], v[10:11], -v[12:13]
	ds_load_b128 v[2:5], v1 offset:1440
	scratch_load_b128 v[10:13], off, off offset:608
	v_add_f64_e32 v[173:174], v[173:174], v[181:182]
	v_add_f64_e32 v[175:176], v[177:178], v[175:176]
	v_fma_f64 v[181:182], v[8:9], v[14:15], v[183:184]
	v_fma_f64 v[183:184], v[6:7], v[14:15], -v[16:17]
	ds_load_b128 v[6:9], v1 offset:1456
	scratch_load_b128 v[14:17], off, off offset:624
	s_wait_loadcnt_dscnt 0x901
	v_mul_f64_e32 v[177:178], v[2:3], v[20:21]
	v_mul_f64_e32 v[20:21], v[4:5], v[20:21]
	v_add_f64_e32 v[173:174], v[173:174], v[185:186]
	v_add_f64_e32 v[175:176], v[175:176], v[179:180]
	s_wait_loadcnt_dscnt 0x800
	v_mul_f64_e32 v[179:180], v[6:7], v[24:25]
	v_mul_f64_e32 v[24:25], v[8:9], v[24:25]
	v_fma_f64 v[177:178], v[4:5], v[18:19], v[177:178]
	v_fma_f64 v[185:186], v[2:3], v[18:19], -v[20:21]
	ds_load_b128 v[2:5], v1 offset:1472
	scratch_load_b128 v[18:21], off, off offset:640
	v_add_f64_e32 v[173:174], v[173:174], v[183:184]
	v_add_f64_e32 v[175:176], v[175:176], v[181:182]
	v_fma_f64 v[179:180], v[8:9], v[22:23], v[179:180]
	v_fma_f64 v[183:184], v[6:7], v[22:23], -v[24:25]
	ds_load_b128 v[6:9], v1 offset:1488
	s_wait_loadcnt_dscnt 0x801
	v_mul_f64_e32 v[181:182], v[2:3], v[28:29]
	v_mul_f64_e32 v[28:29], v[4:5], v[28:29]
	scratch_load_b128 v[22:25], off, off offset:656
	v_add_f64_e32 v[173:174], v[173:174], v[185:186]
	v_add_f64_e32 v[175:176], v[175:176], v[177:178]
	s_wait_loadcnt_dscnt 0x800
	v_mul_f64_e32 v[177:178], v[6:7], v[32:33]
	v_mul_f64_e32 v[32:33], v[8:9], v[32:33]
	v_fma_f64 v[181:182], v[4:5], v[26:27], v[181:182]
	v_fma_f64 v[185:186], v[2:3], v[26:27], -v[28:29]
	ds_load_b128 v[2:5], v1 offset:1504
	scratch_load_b128 v[26:29], off, off offset:672
	v_add_f64_e32 v[173:174], v[173:174], v[183:184]
	v_add_f64_e32 v[175:176], v[175:176], v[179:180]
	v_fma_f64 v[177:178], v[8:9], v[30:31], v[177:178]
	v_fma_f64 v[183:184], v[6:7], v[30:31], -v[32:33]
	ds_load_b128 v[6:9], v1 offset:1520
	s_wait_loadcnt_dscnt 0x801
	v_mul_f64_e32 v[179:180], v[2:3], v[36:37]
	v_mul_f64_e32 v[36:37], v[4:5], v[36:37]
	scratch_load_b128 v[30:33], off, off offset:688
	v_add_f64_e32 v[173:174], v[173:174], v[185:186]
	v_add_f64_e32 v[175:176], v[175:176], v[181:182]
	s_wait_loadcnt_dscnt 0x800
	v_mul_f64_e32 v[181:182], v[6:7], v[171:172]
	v_mul_f64_e32 v[171:172], v[8:9], v[171:172]
	v_fma_f64 v[179:180], v[4:5], v[34:35], v[179:180]
	v_fma_f64 v[185:186], v[2:3], v[34:35], -v[36:37]
	ds_load_b128 v[2:5], v1 offset:1536
	scratch_load_b128 v[34:37], off, off offset:704
	v_add_f64_e32 v[173:174], v[173:174], v[183:184]
	v_add_f64_e32 v[175:176], v[175:176], v[177:178]
	v_fma_f64 v[181:182], v[8:9], v[169:170], v[181:182]
	v_fma_f64 v[183:184], v[6:7], v[169:170], -v[171:172]
	ds_load_b128 v[6:9], v1 offset:1552
	scratch_load_b128 v[169:172], off, off offset:720
	s_wait_loadcnt_dscnt 0x901
	v_mul_f64_e32 v[177:178], v[2:3], v[40:41]
	v_mul_f64_e32 v[40:41], v[4:5], v[40:41]
	v_add_f64_e32 v[173:174], v[173:174], v[185:186]
	v_add_f64_e32 v[175:176], v[175:176], v[179:180]
	s_wait_loadcnt_dscnt 0x800
	v_mul_f64_e32 v[179:180], v[6:7], v[167:168]
	v_mul_f64_e32 v[167:168], v[8:9], v[167:168]
	v_fma_f64 v[177:178], v[4:5], v[38:39], v[177:178]
	v_fma_f64 v[185:186], v[2:3], v[38:39], -v[40:41]
	ds_load_b128 v[2:5], v1 offset:1568
	scratch_load_b128 v[38:41], off, off offset:736
	v_add_f64_e32 v[173:174], v[173:174], v[183:184]
	v_add_f64_e32 v[175:176], v[175:176], v[181:182]
	v_fma_f64 v[179:180], v[8:9], v[165:166], v[179:180]
	v_fma_f64 v[183:184], v[6:7], v[165:166], -v[167:168]
	ds_load_b128 v[6:9], v1 offset:1584
	s_wait_loadcnt_dscnt 0x801
	v_mul_f64_e32 v[181:182], v[2:3], v[12:13]
	v_mul_f64_e32 v[12:13], v[4:5], v[12:13]
	scratch_load_b128 v[165:168], off, off offset:752
	v_add_f64_e32 v[173:174], v[173:174], v[185:186]
	v_add_f64_e32 v[175:176], v[175:176], v[177:178]
	s_wait_loadcnt_dscnt 0x800
	v_mul_f64_e32 v[177:178], v[6:7], v[16:17]
	v_mul_f64_e32 v[16:17], v[8:9], v[16:17]
	v_fma_f64 v[181:182], v[4:5], v[10:11], v[181:182]
	v_fma_f64 v[185:186], v[2:3], v[10:11], -v[12:13]
	ds_load_b128 v[2:5], v1 offset:1600
	scratch_load_b128 v[10:13], off, off offset:768
	v_add_f64_e32 v[173:174], v[173:174], v[183:184]
	v_add_f64_e32 v[175:176], v[175:176], v[179:180]
	v_fma_f64 v[177:178], v[8:9], v[14:15], v[177:178]
	v_fma_f64 v[183:184], v[6:7], v[14:15], -v[16:17]
	ds_load_b128 v[6:9], v1 offset:1616
	s_wait_loadcnt_dscnt 0x801
	v_mul_f64_e32 v[179:180], v[2:3], v[20:21]
	v_mul_f64_e32 v[20:21], v[4:5], v[20:21]
	scratch_load_b128 v[14:17], off, off offset:784
	;; [unrolled: 18-line block ×8, first 2 shown]
	v_add_f64_e32 v[173:174], v[173:174], v[185:186]
	v_add_f64_e32 v[175:176], v[175:176], v[181:182]
	s_wait_loadcnt_dscnt 0x800
	v_mul_f64_e32 v[181:182], v[6:7], v[32:33]
	v_mul_f64_e32 v[32:33], v[8:9], v[32:33]
	v_fma_f64 v[179:180], v[4:5], v[26:27], v[179:180]
	v_fma_f64 v[26:27], v[2:3], v[26:27], -v[28:29]
	ds_load_b128 v[2:5], v1 offset:1824
	v_add_f64_e32 v[28:29], v[173:174], v[183:184]
	v_add_f64_e32 v[173:174], v[175:176], v[177:178]
	v_fma_f64 v[177:178], v[8:9], v[30:31], v[181:182]
	v_fma_f64 v[30:31], v[6:7], v[30:31], -v[32:33]
	ds_load_b128 v[6:9], v1 offset:1840
	s_wait_loadcnt_dscnt 0x701
	v_mul_f64_e32 v[175:176], v[2:3], v[36:37]
	v_mul_f64_e32 v[36:37], v[4:5], v[36:37]
	v_add_f64_e32 v[26:27], v[28:29], v[26:27]
	v_add_f64_e32 v[28:29], v[173:174], v[179:180]
	s_delay_alu instid0(VALU_DEP_4) | instskip(NEXT) | instid1(VALU_DEP_4)
	v_fma_f64 v[173:174], v[4:5], v[34:35], v[175:176]
	v_fma_f64 v[34:35], v[2:3], v[34:35], -v[36:37]
	ds_load_b128 v[2:5], v1 offset:1856
	v_add_f64_e32 v[30:31], v[26:27], v[30:31]
	v_add_f64_e32 v[36:37], v[28:29], v[177:178]
	scratch_load_b128 v[26:29], off, off offset:400
	s_wait_loadcnt_dscnt 0x701
	v_mul_f64_e32 v[32:33], v[6:7], v[171:172]
	v_mul_f64_e32 v[171:172], v[8:9], v[171:172]
	v_add_f64_e32 v[30:31], v[30:31], v[34:35]
	v_add_f64_e32 v[34:35], v[36:37], v[173:174]
	s_delay_alu instid0(VALU_DEP_4) | instskip(NEXT) | instid1(VALU_DEP_4)
	v_fma_f64 v[32:33], v[8:9], v[169:170], v[32:33]
	v_fma_f64 v[169:170], v[6:7], v[169:170], -v[171:172]
	ds_load_b128 v[6:9], v1 offset:1872
	s_wait_loadcnt_dscnt 0x601
	v_mul_f64_e32 v[175:176], v[2:3], v[40:41]
	v_mul_f64_e32 v[40:41], v[4:5], v[40:41]
	s_wait_loadcnt_dscnt 0x500
	v_mul_f64_e32 v[36:37], v[6:7], v[167:168]
	v_mul_f64_e32 v[167:168], v[8:9], v[167:168]
	v_add_f64_e32 v[32:33], v[34:35], v[32:33]
	v_add_f64_e32 v[30:31], v[30:31], v[169:170]
	v_fma_f64 v[171:172], v[4:5], v[38:39], v[175:176]
	v_fma_f64 v[38:39], v[2:3], v[38:39], -v[40:41]
	ds_load_b128 v[2:5], v1 offset:1888
	v_fma_f64 v[36:37], v[8:9], v[165:166], v[36:37]
	v_fma_f64 v[40:41], v[6:7], v[165:166], -v[167:168]
	ds_load_b128 v[6:9], v1 offset:1904
	s_wait_loadcnt_dscnt 0x401
	v_mul_f64_e32 v[34:35], v[2:3], v[12:13]
	v_mul_f64_e32 v[12:13], v[4:5], v[12:13]
	v_add_f64_e32 v[32:33], v[32:33], v[171:172]
	v_add_f64_e32 v[30:31], v[30:31], v[38:39]
	s_wait_loadcnt_dscnt 0x300
	v_mul_f64_e32 v[38:39], v[6:7], v[16:17]
	v_mul_f64_e32 v[16:17], v[8:9], v[16:17]
	v_fma_f64 v[34:35], v[4:5], v[10:11], v[34:35]
	v_fma_f64 v[10:11], v[2:3], v[10:11], -v[12:13]
	ds_load_b128 v[2:5], v1 offset:1920
	v_add_f64_e32 v[12:13], v[30:31], v[40:41]
	v_add_f64_e32 v[30:31], v[32:33], v[36:37]
	v_fma_f64 v[36:37], v[8:9], v[14:15], v[38:39]
	v_fma_f64 v[14:15], v[6:7], v[14:15], -v[16:17]
	ds_load_b128 v[6:9], v1 offset:1936
	s_wait_loadcnt_dscnt 0x201
	v_mul_f64_e32 v[32:33], v[2:3], v[20:21]
	v_mul_f64_e32 v[20:21], v[4:5], v[20:21]
	s_wait_loadcnt_dscnt 0x100
	v_mul_f64_e32 v[16:17], v[6:7], v[24:25]
	v_mul_f64_e32 v[24:25], v[8:9], v[24:25]
	v_add_f64_e32 v[10:11], v[12:13], v[10:11]
	v_add_f64_e32 v[12:13], v[30:31], v[34:35]
	v_fma_f64 v[4:5], v[4:5], v[18:19], v[32:33]
	v_fma_f64 v[1:2], v[2:3], v[18:19], -v[20:21]
	v_fma_f64 v[8:9], v[8:9], v[22:23], v[16:17]
	v_fma_f64 v[6:7], v[6:7], v[22:23], -v[24:25]
	v_add_f64_e32 v[10:11], v[10:11], v[14:15]
	v_add_f64_e32 v[12:13], v[12:13], v[36:37]
	s_delay_alu instid0(VALU_DEP_2) | instskip(NEXT) | instid1(VALU_DEP_2)
	v_add_f64_e32 v[1:2], v[10:11], v[1:2]
	v_add_f64_e32 v[3:4], v[12:13], v[4:5]
	s_delay_alu instid0(VALU_DEP_2) | instskip(NEXT) | instid1(VALU_DEP_2)
	v_add_f64_e32 v[1:2], v[1:2], v[6:7]
	v_add_f64_e32 v[3:4], v[3:4], v[8:9]
	s_wait_loadcnt 0x0
	s_delay_alu instid0(VALU_DEP_2) | instskip(NEXT) | instid1(VALU_DEP_2)
	v_add_f64_e64 v[1:2], v[26:27], -v[1:2]
	v_add_f64_e64 v[3:4], v[28:29], -v[3:4]
	scratch_store_b128 off, v[1:4], off offset:400
	v_cmpx_lt_u32_e32 23, v0
	s_cbranch_execz .LBB124_345
; %bb.344:
	scratch_load_b128 v[1:4], off, s53
	v_mov_b32_e32 v5, 0
	s_delay_alu instid0(VALU_DEP_1)
	v_dual_mov_b32 v6, v5 :: v_dual_mov_b32 v7, v5
	v_mov_b32_e32 v8, v5
	scratch_store_b128 off, v[5:8], off offset:384
	s_wait_loadcnt 0x0
	ds_store_b128 v164, v[1:4]
.LBB124_345:
	s_wait_alu 0xfffe
	s_or_b32 exec_lo, exec_lo, s0
	s_wait_storecnt_dscnt 0x0
	s_barrier_signal -1
	s_barrier_wait -1
	global_inv scope:SCOPE_SE
	s_clause 0x7
	scratch_load_b128 v[2:5], off, off offset:400
	scratch_load_b128 v[6:9], off, off offset:416
	;; [unrolled: 1-line block ×8, first 2 shown]
	v_mov_b32_e32 v1, 0
	s_clause 0x1
	scratch_load_b128 v[34:37], off, off offset:528
	scratch_load_b128 v[169:172], off, off offset:544
	s_mov_b32 s0, exec_lo
	ds_load_b128 v[38:41], v1 offset:1360
	ds_load_b128 v[165:168], v1 offset:1376
	s_wait_loadcnt_dscnt 0x901
	v_mul_f64_e32 v[173:174], v[40:41], v[4:5]
	v_mul_f64_e32 v[4:5], v[38:39], v[4:5]
	s_wait_loadcnt_dscnt 0x800
	v_mul_f64_e32 v[175:176], v[165:166], v[8:9]
	v_mul_f64_e32 v[8:9], v[167:168], v[8:9]
	s_delay_alu instid0(VALU_DEP_4) | instskip(NEXT) | instid1(VALU_DEP_4)
	v_fma_f64 v[173:174], v[38:39], v[2:3], -v[173:174]
	v_fma_f64 v[177:178], v[40:41], v[2:3], v[4:5]
	ds_load_b128 v[2:5], v1 offset:1392
	scratch_load_b128 v[38:41], off, off offset:560
	v_fma_f64 v[175:176], v[167:168], v[6:7], v[175:176]
	v_fma_f64 v[181:182], v[165:166], v[6:7], -v[8:9]
	ds_load_b128 v[6:9], v1 offset:1408
	scratch_load_b128 v[165:168], off, off offset:576
	s_wait_loadcnt_dscnt 0x901
	v_mul_f64_e32 v[179:180], v[2:3], v[12:13]
	v_mul_f64_e32 v[12:13], v[4:5], v[12:13]
	s_wait_loadcnt_dscnt 0x800
	v_mul_f64_e32 v[183:184], v[6:7], v[16:17]
	v_mul_f64_e32 v[16:17], v[8:9], v[16:17]
	v_add_f64_e32 v[173:174], 0, v[173:174]
	v_add_f64_e32 v[177:178], 0, v[177:178]
	v_fma_f64 v[179:180], v[4:5], v[10:11], v[179:180]
	v_fma_f64 v[185:186], v[2:3], v[10:11], -v[12:13]
	ds_load_b128 v[2:5], v1 offset:1424
	scratch_load_b128 v[10:13], off, off offset:592
	v_add_f64_e32 v[173:174], v[173:174], v[181:182]
	v_add_f64_e32 v[175:176], v[177:178], v[175:176]
	v_fma_f64 v[181:182], v[8:9], v[14:15], v[183:184]
	v_fma_f64 v[183:184], v[6:7], v[14:15], -v[16:17]
	ds_load_b128 v[6:9], v1 offset:1440
	scratch_load_b128 v[14:17], off, off offset:608
	s_wait_loadcnt_dscnt 0x901
	v_mul_f64_e32 v[177:178], v[2:3], v[20:21]
	v_mul_f64_e32 v[20:21], v[4:5], v[20:21]
	v_add_f64_e32 v[173:174], v[173:174], v[185:186]
	v_add_f64_e32 v[175:176], v[175:176], v[179:180]
	s_wait_loadcnt_dscnt 0x800
	v_mul_f64_e32 v[179:180], v[6:7], v[24:25]
	v_mul_f64_e32 v[24:25], v[8:9], v[24:25]
	v_fma_f64 v[177:178], v[4:5], v[18:19], v[177:178]
	v_fma_f64 v[185:186], v[2:3], v[18:19], -v[20:21]
	ds_load_b128 v[2:5], v1 offset:1456
	scratch_load_b128 v[18:21], off, off offset:624
	v_add_f64_e32 v[173:174], v[173:174], v[183:184]
	v_add_f64_e32 v[175:176], v[175:176], v[181:182]
	v_fma_f64 v[179:180], v[8:9], v[22:23], v[179:180]
	v_fma_f64 v[183:184], v[6:7], v[22:23], -v[24:25]
	ds_load_b128 v[6:9], v1 offset:1472
	s_wait_loadcnt_dscnt 0x801
	v_mul_f64_e32 v[181:182], v[2:3], v[28:29]
	v_mul_f64_e32 v[28:29], v[4:5], v[28:29]
	scratch_load_b128 v[22:25], off, off offset:640
	v_add_f64_e32 v[173:174], v[173:174], v[185:186]
	v_add_f64_e32 v[175:176], v[175:176], v[177:178]
	s_wait_loadcnt_dscnt 0x800
	v_mul_f64_e32 v[177:178], v[6:7], v[32:33]
	v_mul_f64_e32 v[32:33], v[8:9], v[32:33]
	v_fma_f64 v[181:182], v[4:5], v[26:27], v[181:182]
	v_fma_f64 v[185:186], v[2:3], v[26:27], -v[28:29]
	ds_load_b128 v[2:5], v1 offset:1488
	scratch_load_b128 v[26:29], off, off offset:656
	v_add_f64_e32 v[173:174], v[173:174], v[183:184]
	v_add_f64_e32 v[175:176], v[175:176], v[179:180]
	v_fma_f64 v[177:178], v[8:9], v[30:31], v[177:178]
	v_fma_f64 v[183:184], v[6:7], v[30:31], -v[32:33]
	ds_load_b128 v[6:9], v1 offset:1504
	s_wait_loadcnt_dscnt 0x801
	v_mul_f64_e32 v[179:180], v[2:3], v[36:37]
	v_mul_f64_e32 v[36:37], v[4:5], v[36:37]
	scratch_load_b128 v[30:33], off, off offset:672
	v_add_f64_e32 v[173:174], v[173:174], v[185:186]
	v_add_f64_e32 v[175:176], v[175:176], v[181:182]
	s_wait_loadcnt_dscnt 0x800
	v_mul_f64_e32 v[181:182], v[6:7], v[171:172]
	v_mul_f64_e32 v[171:172], v[8:9], v[171:172]
	v_fma_f64 v[179:180], v[4:5], v[34:35], v[179:180]
	v_fma_f64 v[185:186], v[2:3], v[34:35], -v[36:37]
	ds_load_b128 v[2:5], v1 offset:1520
	scratch_load_b128 v[34:37], off, off offset:688
	v_add_f64_e32 v[173:174], v[173:174], v[183:184]
	v_add_f64_e32 v[175:176], v[175:176], v[177:178]
	v_fma_f64 v[181:182], v[8:9], v[169:170], v[181:182]
	v_fma_f64 v[183:184], v[6:7], v[169:170], -v[171:172]
	ds_load_b128 v[6:9], v1 offset:1536
	scratch_load_b128 v[169:172], off, off offset:704
	s_wait_loadcnt_dscnt 0x901
	v_mul_f64_e32 v[177:178], v[2:3], v[40:41]
	v_mul_f64_e32 v[40:41], v[4:5], v[40:41]
	v_add_f64_e32 v[173:174], v[173:174], v[185:186]
	v_add_f64_e32 v[175:176], v[175:176], v[179:180]
	s_wait_loadcnt_dscnt 0x800
	v_mul_f64_e32 v[179:180], v[6:7], v[167:168]
	v_mul_f64_e32 v[167:168], v[8:9], v[167:168]
	v_fma_f64 v[177:178], v[4:5], v[38:39], v[177:178]
	v_fma_f64 v[185:186], v[2:3], v[38:39], -v[40:41]
	ds_load_b128 v[2:5], v1 offset:1552
	scratch_load_b128 v[38:41], off, off offset:720
	v_add_f64_e32 v[173:174], v[173:174], v[183:184]
	v_add_f64_e32 v[175:176], v[175:176], v[181:182]
	v_fma_f64 v[179:180], v[8:9], v[165:166], v[179:180]
	v_fma_f64 v[183:184], v[6:7], v[165:166], -v[167:168]
	ds_load_b128 v[6:9], v1 offset:1568
	s_wait_loadcnt_dscnt 0x801
	v_mul_f64_e32 v[181:182], v[2:3], v[12:13]
	v_mul_f64_e32 v[12:13], v[4:5], v[12:13]
	scratch_load_b128 v[165:168], off, off offset:736
	v_add_f64_e32 v[173:174], v[173:174], v[185:186]
	v_add_f64_e32 v[175:176], v[175:176], v[177:178]
	s_wait_loadcnt_dscnt 0x800
	v_mul_f64_e32 v[177:178], v[6:7], v[16:17]
	v_mul_f64_e32 v[16:17], v[8:9], v[16:17]
	v_fma_f64 v[181:182], v[4:5], v[10:11], v[181:182]
	v_fma_f64 v[185:186], v[2:3], v[10:11], -v[12:13]
	ds_load_b128 v[2:5], v1 offset:1584
	scratch_load_b128 v[10:13], off, off offset:752
	v_add_f64_e32 v[173:174], v[173:174], v[183:184]
	v_add_f64_e32 v[175:176], v[175:176], v[179:180]
	v_fma_f64 v[177:178], v[8:9], v[14:15], v[177:178]
	v_fma_f64 v[183:184], v[6:7], v[14:15], -v[16:17]
	ds_load_b128 v[6:9], v1 offset:1600
	s_wait_loadcnt_dscnt 0x801
	v_mul_f64_e32 v[179:180], v[2:3], v[20:21]
	v_mul_f64_e32 v[20:21], v[4:5], v[20:21]
	scratch_load_b128 v[14:17], off, off offset:768
	;; [unrolled: 18-line block ×8, first 2 shown]
	v_add_f64_e32 v[173:174], v[173:174], v[185:186]
	v_add_f64_e32 v[175:176], v[175:176], v[181:182]
	s_wait_loadcnt_dscnt 0x800
	v_mul_f64_e32 v[181:182], v[6:7], v[32:33]
	v_mul_f64_e32 v[32:33], v[8:9], v[32:33]
	v_fma_f64 v[179:180], v[4:5], v[26:27], v[179:180]
	v_fma_f64 v[185:186], v[2:3], v[26:27], -v[28:29]
	ds_load_b128 v[2:5], v1 offset:1808
	scratch_load_b128 v[26:29], off, off offset:976
	v_add_f64_e32 v[173:174], v[173:174], v[183:184]
	v_add_f64_e32 v[175:176], v[175:176], v[177:178]
	v_fma_f64 v[181:182], v[8:9], v[30:31], v[181:182]
	v_fma_f64 v[30:31], v[6:7], v[30:31], -v[32:33]
	ds_load_b128 v[6:9], v1 offset:1824
	s_wait_loadcnt_dscnt 0x801
	v_mul_f64_e32 v[177:178], v[2:3], v[36:37]
	v_mul_f64_e32 v[36:37], v[4:5], v[36:37]
	v_add_f64_e32 v[32:33], v[173:174], v[185:186]
	v_add_f64_e32 v[173:174], v[175:176], v[179:180]
	s_wait_loadcnt_dscnt 0x700
	v_mul_f64_e32 v[175:176], v[6:7], v[171:172]
	v_mul_f64_e32 v[171:172], v[8:9], v[171:172]
	v_fma_f64 v[177:178], v[4:5], v[34:35], v[177:178]
	v_fma_f64 v[34:35], v[2:3], v[34:35], -v[36:37]
	ds_load_b128 v[2:5], v1 offset:1840
	v_add_f64_e32 v[30:31], v[32:33], v[30:31]
	v_add_f64_e32 v[32:33], v[173:174], v[181:182]
	v_fma_f64 v[173:174], v[8:9], v[169:170], v[175:176]
	v_fma_f64 v[169:170], v[6:7], v[169:170], -v[171:172]
	ds_load_b128 v[6:9], v1 offset:1856
	s_wait_loadcnt_dscnt 0x500
	v_mul_f64_e32 v[175:176], v[6:7], v[167:168]
	v_mul_f64_e32 v[167:168], v[8:9], v[167:168]
	v_add_f64_e32 v[34:35], v[30:31], v[34:35]
	v_add_f64_e32 v[171:172], v[32:33], v[177:178]
	scratch_load_b128 v[30:33], off, off offset:384
	v_mul_f64_e32 v[36:37], v[2:3], v[40:41]
	v_mul_f64_e32 v[40:41], v[4:5], v[40:41]
	v_add_f64_e32 v[34:35], v[34:35], v[169:170]
	s_delay_alu instid0(VALU_DEP_3) | instskip(NEXT) | instid1(VALU_DEP_3)
	v_fma_f64 v[36:37], v[4:5], v[38:39], v[36:37]
	v_fma_f64 v[38:39], v[2:3], v[38:39], -v[40:41]
	v_add_f64_e32 v[40:41], v[171:172], v[173:174]
	ds_load_b128 v[2:5], v1 offset:1872
	v_fma_f64 v[171:172], v[8:9], v[165:166], v[175:176]
	v_fma_f64 v[165:166], v[6:7], v[165:166], -v[167:168]
	ds_load_b128 v[6:9], v1 offset:1888
	s_wait_loadcnt_dscnt 0x501
	v_mul_f64_e32 v[169:170], v[2:3], v[12:13]
	v_mul_f64_e32 v[12:13], v[4:5], v[12:13]
	v_add_f64_e32 v[34:35], v[34:35], v[38:39]
	v_add_f64_e32 v[36:37], v[40:41], v[36:37]
	s_wait_loadcnt_dscnt 0x400
	v_mul_f64_e32 v[38:39], v[6:7], v[16:17]
	v_mul_f64_e32 v[16:17], v[8:9], v[16:17]
	v_fma_f64 v[40:41], v[4:5], v[10:11], v[169:170]
	v_fma_f64 v[10:11], v[2:3], v[10:11], -v[12:13]
	ds_load_b128 v[2:5], v1 offset:1904
	v_add_f64_e32 v[12:13], v[34:35], v[165:166]
	v_add_f64_e32 v[34:35], v[36:37], v[171:172]
	v_fma_f64 v[38:39], v[8:9], v[14:15], v[38:39]
	v_fma_f64 v[14:15], v[6:7], v[14:15], -v[16:17]
	ds_load_b128 v[6:9], v1 offset:1920
	s_wait_loadcnt_dscnt 0x301
	v_mul_f64_e32 v[36:37], v[2:3], v[20:21]
	v_mul_f64_e32 v[20:21], v[4:5], v[20:21]
	s_wait_loadcnt_dscnt 0x200
	v_mul_f64_e32 v[16:17], v[6:7], v[24:25]
	v_mul_f64_e32 v[24:25], v[8:9], v[24:25]
	v_add_f64_e32 v[10:11], v[12:13], v[10:11]
	v_add_f64_e32 v[12:13], v[34:35], v[40:41]
	v_fma_f64 v[34:35], v[4:5], v[18:19], v[36:37]
	v_fma_f64 v[18:19], v[2:3], v[18:19], -v[20:21]
	ds_load_b128 v[2:5], v1 offset:1936
	v_fma_f64 v[8:9], v[8:9], v[22:23], v[16:17]
	v_fma_f64 v[6:7], v[6:7], v[22:23], -v[24:25]
	s_wait_loadcnt_dscnt 0x100
	v_mul_f64_e32 v[20:21], v[4:5], v[28:29]
	v_add_f64_e32 v[10:11], v[10:11], v[14:15]
	v_add_f64_e32 v[12:13], v[12:13], v[38:39]
	v_mul_f64_e32 v[14:15], v[2:3], v[28:29]
	s_delay_alu instid0(VALU_DEP_4) | instskip(NEXT) | instid1(VALU_DEP_4)
	v_fma_f64 v[2:3], v[2:3], v[26:27], -v[20:21]
	v_add_f64_e32 v[10:11], v[10:11], v[18:19]
	s_delay_alu instid0(VALU_DEP_4) | instskip(NEXT) | instid1(VALU_DEP_4)
	v_add_f64_e32 v[12:13], v[12:13], v[34:35]
	v_fma_f64 v[4:5], v[4:5], v[26:27], v[14:15]
	s_delay_alu instid0(VALU_DEP_3) | instskip(NEXT) | instid1(VALU_DEP_3)
	v_add_f64_e32 v[6:7], v[10:11], v[6:7]
	v_add_f64_e32 v[8:9], v[12:13], v[8:9]
	s_delay_alu instid0(VALU_DEP_2) | instskip(NEXT) | instid1(VALU_DEP_2)
	v_add_f64_e32 v[2:3], v[6:7], v[2:3]
	v_add_f64_e32 v[4:5], v[8:9], v[4:5]
	s_wait_loadcnt 0x0
	s_delay_alu instid0(VALU_DEP_2) | instskip(NEXT) | instid1(VALU_DEP_2)
	v_add_f64_e64 v[2:3], v[30:31], -v[2:3]
	v_add_f64_e64 v[4:5], v[32:33], -v[4:5]
	scratch_store_b128 off, v[2:5], off offset:384
	v_cmpx_lt_u32_e32 22, v0
	s_cbranch_execz .LBB124_347
; %bb.346:
	scratch_load_b128 v[5:8], off, s54
	v_dual_mov_b32 v2, v1 :: v_dual_mov_b32 v3, v1
	v_mov_b32_e32 v4, v1
	scratch_store_b128 off, v[1:4], off offset:368
	s_wait_loadcnt 0x0
	ds_store_b128 v164, v[5:8]
.LBB124_347:
	s_wait_alu 0xfffe
	s_or_b32 exec_lo, exec_lo, s0
	s_wait_storecnt_dscnt 0x0
	s_barrier_signal -1
	s_barrier_wait -1
	global_inv scope:SCOPE_SE
	s_clause 0x7
	scratch_load_b128 v[2:5], off, off offset:384
	scratch_load_b128 v[6:9], off, off offset:400
	;; [unrolled: 1-line block ×8, first 2 shown]
	ds_load_b128 v[38:41], v1 offset:1344
	ds_load_b128 v[165:168], v1 offset:1360
	s_clause 0x1
	scratch_load_b128 v[34:37], off, off offset:512
	scratch_load_b128 v[169:172], off, off offset:528
	s_mov_b32 s0, exec_lo
	s_wait_loadcnt_dscnt 0x901
	v_mul_f64_e32 v[173:174], v[40:41], v[4:5]
	v_mul_f64_e32 v[4:5], v[38:39], v[4:5]
	s_wait_loadcnt_dscnt 0x800
	v_mul_f64_e32 v[175:176], v[165:166], v[8:9]
	v_mul_f64_e32 v[8:9], v[167:168], v[8:9]
	s_delay_alu instid0(VALU_DEP_4) | instskip(NEXT) | instid1(VALU_DEP_4)
	v_fma_f64 v[173:174], v[38:39], v[2:3], -v[173:174]
	v_fma_f64 v[177:178], v[40:41], v[2:3], v[4:5]
	ds_load_b128 v[2:5], v1 offset:1376
	scratch_load_b128 v[38:41], off, off offset:544
	v_fma_f64 v[175:176], v[167:168], v[6:7], v[175:176]
	v_fma_f64 v[181:182], v[165:166], v[6:7], -v[8:9]
	ds_load_b128 v[6:9], v1 offset:1392
	scratch_load_b128 v[165:168], off, off offset:560
	s_wait_loadcnt_dscnt 0x901
	v_mul_f64_e32 v[179:180], v[2:3], v[12:13]
	v_mul_f64_e32 v[12:13], v[4:5], v[12:13]
	s_wait_loadcnt_dscnt 0x800
	v_mul_f64_e32 v[183:184], v[6:7], v[16:17]
	v_mul_f64_e32 v[16:17], v[8:9], v[16:17]
	v_add_f64_e32 v[173:174], 0, v[173:174]
	v_add_f64_e32 v[177:178], 0, v[177:178]
	v_fma_f64 v[179:180], v[4:5], v[10:11], v[179:180]
	v_fma_f64 v[185:186], v[2:3], v[10:11], -v[12:13]
	ds_load_b128 v[2:5], v1 offset:1408
	scratch_load_b128 v[10:13], off, off offset:576
	v_add_f64_e32 v[173:174], v[173:174], v[181:182]
	v_add_f64_e32 v[175:176], v[177:178], v[175:176]
	v_fma_f64 v[181:182], v[8:9], v[14:15], v[183:184]
	v_fma_f64 v[183:184], v[6:7], v[14:15], -v[16:17]
	ds_load_b128 v[6:9], v1 offset:1424
	scratch_load_b128 v[14:17], off, off offset:592
	s_wait_loadcnt_dscnt 0x901
	v_mul_f64_e32 v[177:178], v[2:3], v[20:21]
	v_mul_f64_e32 v[20:21], v[4:5], v[20:21]
	v_add_f64_e32 v[173:174], v[173:174], v[185:186]
	v_add_f64_e32 v[175:176], v[175:176], v[179:180]
	s_wait_loadcnt_dscnt 0x800
	v_mul_f64_e32 v[179:180], v[6:7], v[24:25]
	v_mul_f64_e32 v[24:25], v[8:9], v[24:25]
	v_fma_f64 v[177:178], v[4:5], v[18:19], v[177:178]
	v_fma_f64 v[185:186], v[2:3], v[18:19], -v[20:21]
	ds_load_b128 v[2:5], v1 offset:1440
	scratch_load_b128 v[18:21], off, off offset:608
	v_add_f64_e32 v[173:174], v[173:174], v[183:184]
	v_add_f64_e32 v[175:176], v[175:176], v[181:182]
	v_fma_f64 v[179:180], v[8:9], v[22:23], v[179:180]
	v_fma_f64 v[183:184], v[6:7], v[22:23], -v[24:25]
	ds_load_b128 v[6:9], v1 offset:1456
	s_wait_loadcnt_dscnt 0x801
	v_mul_f64_e32 v[181:182], v[2:3], v[28:29]
	v_mul_f64_e32 v[28:29], v[4:5], v[28:29]
	scratch_load_b128 v[22:25], off, off offset:624
	v_add_f64_e32 v[173:174], v[173:174], v[185:186]
	v_add_f64_e32 v[175:176], v[175:176], v[177:178]
	s_wait_loadcnt_dscnt 0x800
	v_mul_f64_e32 v[177:178], v[6:7], v[32:33]
	v_mul_f64_e32 v[32:33], v[8:9], v[32:33]
	v_fma_f64 v[181:182], v[4:5], v[26:27], v[181:182]
	v_fma_f64 v[185:186], v[2:3], v[26:27], -v[28:29]
	ds_load_b128 v[2:5], v1 offset:1472
	scratch_load_b128 v[26:29], off, off offset:640
	v_add_f64_e32 v[173:174], v[173:174], v[183:184]
	v_add_f64_e32 v[175:176], v[175:176], v[179:180]
	v_fma_f64 v[177:178], v[8:9], v[30:31], v[177:178]
	v_fma_f64 v[183:184], v[6:7], v[30:31], -v[32:33]
	ds_load_b128 v[6:9], v1 offset:1488
	s_wait_loadcnt_dscnt 0x801
	v_mul_f64_e32 v[179:180], v[2:3], v[36:37]
	v_mul_f64_e32 v[36:37], v[4:5], v[36:37]
	scratch_load_b128 v[30:33], off, off offset:656
	v_add_f64_e32 v[173:174], v[173:174], v[185:186]
	v_add_f64_e32 v[175:176], v[175:176], v[181:182]
	s_wait_loadcnt_dscnt 0x800
	v_mul_f64_e32 v[181:182], v[6:7], v[171:172]
	v_mul_f64_e32 v[171:172], v[8:9], v[171:172]
	v_fma_f64 v[179:180], v[4:5], v[34:35], v[179:180]
	v_fma_f64 v[185:186], v[2:3], v[34:35], -v[36:37]
	ds_load_b128 v[2:5], v1 offset:1504
	scratch_load_b128 v[34:37], off, off offset:672
	v_add_f64_e32 v[173:174], v[173:174], v[183:184]
	v_add_f64_e32 v[175:176], v[175:176], v[177:178]
	v_fma_f64 v[181:182], v[8:9], v[169:170], v[181:182]
	v_fma_f64 v[183:184], v[6:7], v[169:170], -v[171:172]
	ds_load_b128 v[6:9], v1 offset:1520
	scratch_load_b128 v[169:172], off, off offset:688
	s_wait_loadcnt_dscnt 0x901
	v_mul_f64_e32 v[177:178], v[2:3], v[40:41]
	v_mul_f64_e32 v[40:41], v[4:5], v[40:41]
	v_add_f64_e32 v[173:174], v[173:174], v[185:186]
	v_add_f64_e32 v[175:176], v[175:176], v[179:180]
	s_wait_loadcnt_dscnt 0x800
	v_mul_f64_e32 v[179:180], v[6:7], v[167:168]
	v_mul_f64_e32 v[167:168], v[8:9], v[167:168]
	v_fma_f64 v[177:178], v[4:5], v[38:39], v[177:178]
	v_fma_f64 v[185:186], v[2:3], v[38:39], -v[40:41]
	ds_load_b128 v[2:5], v1 offset:1536
	scratch_load_b128 v[38:41], off, off offset:704
	v_add_f64_e32 v[173:174], v[173:174], v[183:184]
	v_add_f64_e32 v[175:176], v[175:176], v[181:182]
	v_fma_f64 v[179:180], v[8:9], v[165:166], v[179:180]
	v_fma_f64 v[183:184], v[6:7], v[165:166], -v[167:168]
	ds_load_b128 v[6:9], v1 offset:1552
	s_wait_loadcnt_dscnt 0x801
	v_mul_f64_e32 v[181:182], v[2:3], v[12:13]
	v_mul_f64_e32 v[12:13], v[4:5], v[12:13]
	scratch_load_b128 v[165:168], off, off offset:720
	v_add_f64_e32 v[173:174], v[173:174], v[185:186]
	v_add_f64_e32 v[175:176], v[175:176], v[177:178]
	s_wait_loadcnt_dscnt 0x800
	v_mul_f64_e32 v[177:178], v[6:7], v[16:17]
	v_mul_f64_e32 v[16:17], v[8:9], v[16:17]
	v_fma_f64 v[181:182], v[4:5], v[10:11], v[181:182]
	v_fma_f64 v[185:186], v[2:3], v[10:11], -v[12:13]
	ds_load_b128 v[2:5], v1 offset:1568
	scratch_load_b128 v[10:13], off, off offset:736
	v_add_f64_e32 v[173:174], v[173:174], v[183:184]
	v_add_f64_e32 v[175:176], v[175:176], v[179:180]
	v_fma_f64 v[177:178], v[8:9], v[14:15], v[177:178]
	v_fma_f64 v[183:184], v[6:7], v[14:15], -v[16:17]
	ds_load_b128 v[6:9], v1 offset:1584
	s_wait_loadcnt_dscnt 0x801
	v_mul_f64_e32 v[179:180], v[2:3], v[20:21]
	v_mul_f64_e32 v[20:21], v[4:5], v[20:21]
	scratch_load_b128 v[14:17], off, off offset:752
	;; [unrolled: 18-line block ×9, first 2 shown]
	v_add_f64_e32 v[173:174], v[173:174], v[185:186]
	v_add_f64_e32 v[175:176], v[175:176], v[179:180]
	s_wait_loadcnt_dscnt 0x800
	v_mul_f64_e32 v[179:180], v[6:7], v[171:172]
	v_mul_f64_e32 v[171:172], v[8:9], v[171:172]
	v_fma_f64 v[177:178], v[4:5], v[34:35], v[177:178]
	v_fma_f64 v[34:35], v[2:3], v[34:35], -v[36:37]
	ds_load_b128 v[2:5], v1 offset:1824
	v_add_f64_e32 v[36:37], v[173:174], v[183:184]
	v_add_f64_e32 v[173:174], v[175:176], v[181:182]
	v_fma_f64 v[179:180], v[8:9], v[169:170], v[179:180]
	v_fma_f64 v[169:170], v[6:7], v[169:170], -v[171:172]
	ds_load_b128 v[6:9], v1 offset:1840
	s_wait_loadcnt_dscnt 0x701
	v_mul_f64_e32 v[175:176], v[2:3], v[40:41]
	v_mul_f64_e32 v[40:41], v[4:5], v[40:41]
	v_add_f64_e32 v[34:35], v[36:37], v[34:35]
	v_add_f64_e32 v[36:37], v[173:174], v[177:178]
	s_delay_alu instid0(VALU_DEP_4) | instskip(NEXT) | instid1(VALU_DEP_4)
	v_fma_f64 v[173:174], v[4:5], v[38:39], v[175:176]
	v_fma_f64 v[38:39], v[2:3], v[38:39], -v[40:41]
	ds_load_b128 v[2:5], v1 offset:1856
	v_add_f64_e32 v[40:41], v[34:35], v[169:170]
	v_add_f64_e32 v[169:170], v[36:37], v[179:180]
	scratch_load_b128 v[34:37], off, off offset:368
	s_wait_loadcnt_dscnt 0x701
	v_mul_f64_e32 v[171:172], v[6:7], v[167:168]
	v_mul_f64_e32 v[167:168], v[8:9], v[167:168]
	v_add_f64_e32 v[38:39], v[40:41], v[38:39]
	v_add_f64_e32 v[40:41], v[169:170], v[173:174]
	s_delay_alu instid0(VALU_DEP_4) | instskip(NEXT) | instid1(VALU_DEP_4)
	v_fma_f64 v[171:172], v[8:9], v[165:166], v[171:172]
	v_fma_f64 v[165:166], v[6:7], v[165:166], -v[167:168]
	ds_load_b128 v[6:9], v1 offset:1872
	s_wait_loadcnt_dscnt 0x601
	v_mul_f64_e32 v[175:176], v[2:3], v[12:13]
	v_mul_f64_e32 v[12:13], v[4:5], v[12:13]
	s_wait_loadcnt_dscnt 0x500
	v_mul_f64_e32 v[167:168], v[6:7], v[16:17]
	v_mul_f64_e32 v[16:17], v[8:9], v[16:17]
	s_delay_alu instid0(VALU_DEP_4) | instskip(NEXT) | instid1(VALU_DEP_4)
	v_fma_f64 v[169:170], v[4:5], v[10:11], v[175:176]
	v_fma_f64 v[10:11], v[2:3], v[10:11], -v[12:13]
	v_add_f64_e32 v[12:13], v[38:39], v[165:166]
	v_add_f64_e32 v[38:39], v[40:41], v[171:172]
	ds_load_b128 v[2:5], v1 offset:1888
	v_fma_f64 v[165:166], v[8:9], v[14:15], v[167:168]
	v_fma_f64 v[14:15], v[6:7], v[14:15], -v[16:17]
	ds_load_b128 v[6:9], v1 offset:1904
	s_wait_loadcnt_dscnt 0x401
	v_mul_f64_e32 v[40:41], v[2:3], v[20:21]
	v_mul_f64_e32 v[20:21], v[4:5], v[20:21]
	v_add_f64_e32 v[10:11], v[12:13], v[10:11]
	v_add_f64_e32 v[12:13], v[38:39], v[169:170]
	s_wait_loadcnt_dscnt 0x300
	v_mul_f64_e32 v[16:17], v[6:7], v[24:25]
	v_mul_f64_e32 v[24:25], v[8:9], v[24:25]
	v_fma_f64 v[38:39], v[4:5], v[18:19], v[40:41]
	v_fma_f64 v[18:19], v[2:3], v[18:19], -v[20:21]
	ds_load_b128 v[2:5], v1 offset:1920
	v_add_f64_e32 v[10:11], v[10:11], v[14:15]
	v_add_f64_e32 v[12:13], v[12:13], v[165:166]
	v_fma_f64 v[16:17], v[8:9], v[22:23], v[16:17]
	v_fma_f64 v[22:23], v[6:7], v[22:23], -v[24:25]
	ds_load_b128 v[6:9], v1 offset:1936
	s_wait_loadcnt_dscnt 0x201
	v_mul_f64_e32 v[14:15], v[2:3], v[28:29]
	v_mul_f64_e32 v[20:21], v[4:5], v[28:29]
	s_wait_loadcnt_dscnt 0x100
	v_mul_f64_e32 v[24:25], v[8:9], v[32:33]
	v_add_f64_e32 v[10:11], v[10:11], v[18:19]
	v_add_f64_e32 v[12:13], v[12:13], v[38:39]
	v_mul_f64_e32 v[18:19], v[6:7], v[32:33]
	v_fma_f64 v[4:5], v[4:5], v[26:27], v[14:15]
	v_fma_f64 v[1:2], v[2:3], v[26:27], -v[20:21]
	v_fma_f64 v[6:7], v[6:7], v[30:31], -v[24:25]
	v_add_f64_e32 v[10:11], v[10:11], v[22:23]
	v_add_f64_e32 v[12:13], v[12:13], v[16:17]
	v_fma_f64 v[8:9], v[8:9], v[30:31], v[18:19]
	s_delay_alu instid0(VALU_DEP_3) | instskip(NEXT) | instid1(VALU_DEP_3)
	v_add_f64_e32 v[1:2], v[10:11], v[1:2]
	v_add_f64_e32 v[3:4], v[12:13], v[4:5]
	s_delay_alu instid0(VALU_DEP_2) | instskip(NEXT) | instid1(VALU_DEP_2)
	v_add_f64_e32 v[1:2], v[1:2], v[6:7]
	v_add_f64_e32 v[3:4], v[3:4], v[8:9]
	s_wait_loadcnt 0x0
	s_delay_alu instid0(VALU_DEP_2) | instskip(NEXT) | instid1(VALU_DEP_2)
	v_add_f64_e64 v[1:2], v[34:35], -v[1:2]
	v_add_f64_e64 v[3:4], v[36:37], -v[3:4]
	scratch_store_b128 off, v[1:4], off offset:368
	v_cmpx_lt_u32_e32 21, v0
	s_cbranch_execz .LBB124_349
; %bb.348:
	scratch_load_b128 v[1:4], off, s55
	v_mov_b32_e32 v5, 0
	s_delay_alu instid0(VALU_DEP_1)
	v_dual_mov_b32 v6, v5 :: v_dual_mov_b32 v7, v5
	v_mov_b32_e32 v8, v5
	scratch_store_b128 off, v[5:8], off offset:352
	s_wait_loadcnt 0x0
	ds_store_b128 v164, v[1:4]
.LBB124_349:
	s_wait_alu 0xfffe
	s_or_b32 exec_lo, exec_lo, s0
	s_wait_storecnt_dscnt 0x0
	s_barrier_signal -1
	s_barrier_wait -1
	global_inv scope:SCOPE_SE
	s_clause 0x7
	scratch_load_b128 v[2:5], off, off offset:368
	scratch_load_b128 v[6:9], off, off offset:384
	;; [unrolled: 1-line block ×8, first 2 shown]
	v_mov_b32_e32 v1, 0
	s_clause 0x1
	scratch_load_b128 v[34:37], off, off offset:496
	scratch_load_b128 v[169:172], off, off offset:512
	s_mov_b32 s0, exec_lo
	ds_load_b128 v[38:41], v1 offset:1328
	ds_load_b128 v[165:168], v1 offset:1344
	s_wait_loadcnt_dscnt 0x901
	v_mul_f64_e32 v[173:174], v[40:41], v[4:5]
	v_mul_f64_e32 v[4:5], v[38:39], v[4:5]
	s_wait_loadcnt_dscnt 0x800
	v_mul_f64_e32 v[175:176], v[165:166], v[8:9]
	v_mul_f64_e32 v[8:9], v[167:168], v[8:9]
	s_delay_alu instid0(VALU_DEP_4) | instskip(NEXT) | instid1(VALU_DEP_4)
	v_fma_f64 v[173:174], v[38:39], v[2:3], -v[173:174]
	v_fma_f64 v[177:178], v[40:41], v[2:3], v[4:5]
	ds_load_b128 v[2:5], v1 offset:1360
	scratch_load_b128 v[38:41], off, off offset:528
	v_fma_f64 v[175:176], v[167:168], v[6:7], v[175:176]
	v_fma_f64 v[181:182], v[165:166], v[6:7], -v[8:9]
	ds_load_b128 v[6:9], v1 offset:1376
	scratch_load_b128 v[165:168], off, off offset:544
	s_wait_loadcnt_dscnt 0x901
	v_mul_f64_e32 v[179:180], v[2:3], v[12:13]
	v_mul_f64_e32 v[12:13], v[4:5], v[12:13]
	s_wait_loadcnt_dscnt 0x800
	v_mul_f64_e32 v[183:184], v[6:7], v[16:17]
	v_mul_f64_e32 v[16:17], v[8:9], v[16:17]
	v_add_f64_e32 v[173:174], 0, v[173:174]
	v_add_f64_e32 v[177:178], 0, v[177:178]
	v_fma_f64 v[179:180], v[4:5], v[10:11], v[179:180]
	v_fma_f64 v[185:186], v[2:3], v[10:11], -v[12:13]
	ds_load_b128 v[2:5], v1 offset:1392
	scratch_load_b128 v[10:13], off, off offset:560
	v_add_f64_e32 v[173:174], v[173:174], v[181:182]
	v_add_f64_e32 v[175:176], v[177:178], v[175:176]
	v_fma_f64 v[181:182], v[8:9], v[14:15], v[183:184]
	v_fma_f64 v[183:184], v[6:7], v[14:15], -v[16:17]
	ds_load_b128 v[6:9], v1 offset:1408
	scratch_load_b128 v[14:17], off, off offset:576
	s_wait_loadcnt_dscnt 0x901
	v_mul_f64_e32 v[177:178], v[2:3], v[20:21]
	v_mul_f64_e32 v[20:21], v[4:5], v[20:21]
	v_add_f64_e32 v[173:174], v[173:174], v[185:186]
	v_add_f64_e32 v[175:176], v[175:176], v[179:180]
	s_wait_loadcnt_dscnt 0x800
	v_mul_f64_e32 v[179:180], v[6:7], v[24:25]
	v_mul_f64_e32 v[24:25], v[8:9], v[24:25]
	v_fma_f64 v[177:178], v[4:5], v[18:19], v[177:178]
	v_fma_f64 v[185:186], v[2:3], v[18:19], -v[20:21]
	ds_load_b128 v[2:5], v1 offset:1424
	scratch_load_b128 v[18:21], off, off offset:592
	v_add_f64_e32 v[173:174], v[173:174], v[183:184]
	v_add_f64_e32 v[175:176], v[175:176], v[181:182]
	v_fma_f64 v[179:180], v[8:9], v[22:23], v[179:180]
	v_fma_f64 v[183:184], v[6:7], v[22:23], -v[24:25]
	ds_load_b128 v[6:9], v1 offset:1440
	s_wait_loadcnt_dscnt 0x801
	v_mul_f64_e32 v[181:182], v[2:3], v[28:29]
	v_mul_f64_e32 v[28:29], v[4:5], v[28:29]
	scratch_load_b128 v[22:25], off, off offset:608
	v_add_f64_e32 v[173:174], v[173:174], v[185:186]
	v_add_f64_e32 v[175:176], v[175:176], v[177:178]
	s_wait_loadcnt_dscnt 0x800
	v_mul_f64_e32 v[177:178], v[6:7], v[32:33]
	v_mul_f64_e32 v[32:33], v[8:9], v[32:33]
	v_fma_f64 v[181:182], v[4:5], v[26:27], v[181:182]
	v_fma_f64 v[185:186], v[2:3], v[26:27], -v[28:29]
	ds_load_b128 v[2:5], v1 offset:1456
	scratch_load_b128 v[26:29], off, off offset:624
	v_add_f64_e32 v[173:174], v[173:174], v[183:184]
	v_add_f64_e32 v[175:176], v[175:176], v[179:180]
	v_fma_f64 v[177:178], v[8:9], v[30:31], v[177:178]
	v_fma_f64 v[183:184], v[6:7], v[30:31], -v[32:33]
	ds_load_b128 v[6:9], v1 offset:1472
	s_wait_loadcnt_dscnt 0x801
	v_mul_f64_e32 v[179:180], v[2:3], v[36:37]
	v_mul_f64_e32 v[36:37], v[4:5], v[36:37]
	scratch_load_b128 v[30:33], off, off offset:640
	v_add_f64_e32 v[173:174], v[173:174], v[185:186]
	v_add_f64_e32 v[175:176], v[175:176], v[181:182]
	s_wait_loadcnt_dscnt 0x800
	v_mul_f64_e32 v[181:182], v[6:7], v[171:172]
	v_mul_f64_e32 v[171:172], v[8:9], v[171:172]
	v_fma_f64 v[179:180], v[4:5], v[34:35], v[179:180]
	v_fma_f64 v[185:186], v[2:3], v[34:35], -v[36:37]
	ds_load_b128 v[2:5], v1 offset:1488
	scratch_load_b128 v[34:37], off, off offset:656
	v_add_f64_e32 v[173:174], v[173:174], v[183:184]
	v_add_f64_e32 v[175:176], v[175:176], v[177:178]
	v_fma_f64 v[181:182], v[8:9], v[169:170], v[181:182]
	v_fma_f64 v[183:184], v[6:7], v[169:170], -v[171:172]
	ds_load_b128 v[6:9], v1 offset:1504
	scratch_load_b128 v[169:172], off, off offset:672
	s_wait_loadcnt_dscnt 0x901
	v_mul_f64_e32 v[177:178], v[2:3], v[40:41]
	v_mul_f64_e32 v[40:41], v[4:5], v[40:41]
	v_add_f64_e32 v[173:174], v[173:174], v[185:186]
	v_add_f64_e32 v[175:176], v[175:176], v[179:180]
	s_wait_loadcnt_dscnt 0x800
	v_mul_f64_e32 v[179:180], v[6:7], v[167:168]
	v_mul_f64_e32 v[167:168], v[8:9], v[167:168]
	v_fma_f64 v[177:178], v[4:5], v[38:39], v[177:178]
	v_fma_f64 v[185:186], v[2:3], v[38:39], -v[40:41]
	ds_load_b128 v[2:5], v1 offset:1520
	scratch_load_b128 v[38:41], off, off offset:688
	v_add_f64_e32 v[173:174], v[173:174], v[183:184]
	v_add_f64_e32 v[175:176], v[175:176], v[181:182]
	v_fma_f64 v[179:180], v[8:9], v[165:166], v[179:180]
	v_fma_f64 v[183:184], v[6:7], v[165:166], -v[167:168]
	ds_load_b128 v[6:9], v1 offset:1536
	s_wait_loadcnt_dscnt 0x801
	v_mul_f64_e32 v[181:182], v[2:3], v[12:13]
	v_mul_f64_e32 v[12:13], v[4:5], v[12:13]
	scratch_load_b128 v[165:168], off, off offset:704
	v_add_f64_e32 v[173:174], v[173:174], v[185:186]
	v_add_f64_e32 v[175:176], v[175:176], v[177:178]
	s_wait_loadcnt_dscnt 0x800
	v_mul_f64_e32 v[177:178], v[6:7], v[16:17]
	v_mul_f64_e32 v[16:17], v[8:9], v[16:17]
	v_fma_f64 v[181:182], v[4:5], v[10:11], v[181:182]
	v_fma_f64 v[185:186], v[2:3], v[10:11], -v[12:13]
	ds_load_b128 v[2:5], v1 offset:1552
	scratch_load_b128 v[10:13], off, off offset:720
	v_add_f64_e32 v[173:174], v[173:174], v[183:184]
	v_add_f64_e32 v[175:176], v[175:176], v[179:180]
	v_fma_f64 v[177:178], v[8:9], v[14:15], v[177:178]
	v_fma_f64 v[183:184], v[6:7], v[14:15], -v[16:17]
	ds_load_b128 v[6:9], v1 offset:1568
	s_wait_loadcnt_dscnt 0x801
	v_mul_f64_e32 v[179:180], v[2:3], v[20:21]
	v_mul_f64_e32 v[20:21], v[4:5], v[20:21]
	scratch_load_b128 v[14:17], off, off offset:736
	;; [unrolled: 18-line block ×9, first 2 shown]
	v_add_f64_e32 v[173:174], v[173:174], v[185:186]
	v_add_f64_e32 v[175:176], v[175:176], v[179:180]
	s_wait_loadcnt_dscnt 0x800
	v_mul_f64_e32 v[179:180], v[6:7], v[171:172]
	v_mul_f64_e32 v[171:172], v[8:9], v[171:172]
	v_fma_f64 v[177:178], v[4:5], v[34:35], v[177:178]
	v_fma_f64 v[185:186], v[2:3], v[34:35], -v[36:37]
	ds_load_b128 v[2:5], v1 offset:1808
	scratch_load_b128 v[34:37], off, off offset:976
	v_add_f64_e32 v[173:174], v[173:174], v[183:184]
	v_add_f64_e32 v[175:176], v[175:176], v[181:182]
	v_fma_f64 v[179:180], v[8:9], v[169:170], v[179:180]
	v_fma_f64 v[169:170], v[6:7], v[169:170], -v[171:172]
	ds_load_b128 v[6:9], v1 offset:1824
	s_wait_loadcnt_dscnt 0x801
	v_mul_f64_e32 v[181:182], v[2:3], v[40:41]
	v_mul_f64_e32 v[40:41], v[4:5], v[40:41]
	v_add_f64_e32 v[171:172], v[173:174], v[185:186]
	v_add_f64_e32 v[173:174], v[175:176], v[177:178]
	s_wait_loadcnt_dscnt 0x700
	v_mul_f64_e32 v[175:176], v[6:7], v[167:168]
	v_mul_f64_e32 v[167:168], v[8:9], v[167:168]
	v_fma_f64 v[177:178], v[4:5], v[38:39], v[181:182]
	v_fma_f64 v[38:39], v[2:3], v[38:39], -v[40:41]
	ds_load_b128 v[2:5], v1 offset:1840
	v_add_f64_e32 v[40:41], v[171:172], v[169:170]
	v_add_f64_e32 v[169:170], v[173:174], v[179:180]
	v_fma_f64 v[173:174], v[8:9], v[165:166], v[175:176]
	v_fma_f64 v[165:166], v[6:7], v[165:166], -v[167:168]
	ds_load_b128 v[6:9], v1 offset:1856
	s_wait_loadcnt_dscnt 0x500
	v_mul_f64_e32 v[175:176], v[6:7], v[16:17]
	v_mul_f64_e32 v[16:17], v[8:9], v[16:17]
	v_add_f64_e32 v[167:168], v[40:41], v[38:39]
	v_add_f64_e32 v[169:170], v[169:170], v[177:178]
	scratch_load_b128 v[38:41], off, off offset:352
	v_mul_f64_e32 v[171:172], v[2:3], v[12:13]
	v_mul_f64_e32 v[12:13], v[4:5], v[12:13]
	s_delay_alu instid0(VALU_DEP_2) | instskip(NEXT) | instid1(VALU_DEP_2)
	v_fma_f64 v[171:172], v[4:5], v[10:11], v[171:172]
	v_fma_f64 v[10:11], v[2:3], v[10:11], -v[12:13]
	v_add_f64_e32 v[12:13], v[167:168], v[165:166]
	v_add_f64_e32 v[165:166], v[169:170], v[173:174]
	ds_load_b128 v[2:5], v1 offset:1872
	v_fma_f64 v[169:170], v[8:9], v[14:15], v[175:176]
	v_fma_f64 v[14:15], v[6:7], v[14:15], -v[16:17]
	ds_load_b128 v[6:9], v1 offset:1888
	s_wait_loadcnt_dscnt 0x501
	v_mul_f64_e32 v[167:168], v[2:3], v[20:21]
	v_mul_f64_e32 v[20:21], v[4:5], v[20:21]
	s_wait_loadcnt_dscnt 0x400
	v_mul_f64_e32 v[16:17], v[6:7], v[24:25]
	v_mul_f64_e32 v[24:25], v[8:9], v[24:25]
	v_add_f64_e32 v[10:11], v[12:13], v[10:11]
	v_add_f64_e32 v[12:13], v[165:166], v[171:172]
	v_fma_f64 v[165:166], v[4:5], v[18:19], v[167:168]
	v_fma_f64 v[18:19], v[2:3], v[18:19], -v[20:21]
	ds_load_b128 v[2:5], v1 offset:1904
	v_fma_f64 v[16:17], v[8:9], v[22:23], v[16:17]
	v_fma_f64 v[22:23], v[6:7], v[22:23], -v[24:25]
	ds_load_b128 v[6:9], v1 offset:1920
	v_add_f64_e32 v[10:11], v[10:11], v[14:15]
	v_add_f64_e32 v[12:13], v[12:13], v[169:170]
	s_wait_loadcnt_dscnt 0x301
	v_mul_f64_e32 v[14:15], v[2:3], v[28:29]
	v_mul_f64_e32 v[20:21], v[4:5], v[28:29]
	s_wait_loadcnt_dscnt 0x200
	v_mul_f64_e32 v[24:25], v[8:9], v[32:33]
	v_add_f64_e32 v[10:11], v[10:11], v[18:19]
	v_add_f64_e32 v[12:13], v[12:13], v[165:166]
	v_mul_f64_e32 v[18:19], v[6:7], v[32:33]
	v_fma_f64 v[14:15], v[4:5], v[26:27], v[14:15]
	v_fma_f64 v[20:21], v[2:3], v[26:27], -v[20:21]
	ds_load_b128 v[2:5], v1 offset:1936
	v_fma_f64 v[6:7], v[6:7], v[30:31], -v[24:25]
	v_add_f64_e32 v[10:11], v[10:11], v[22:23]
	v_add_f64_e32 v[12:13], v[12:13], v[16:17]
	s_wait_loadcnt_dscnt 0x100
	v_mul_f64_e32 v[16:17], v[2:3], v[36:37]
	v_mul_f64_e32 v[22:23], v[4:5], v[36:37]
	v_fma_f64 v[8:9], v[8:9], v[30:31], v[18:19]
	v_add_f64_e32 v[10:11], v[10:11], v[20:21]
	v_add_f64_e32 v[12:13], v[12:13], v[14:15]
	v_fma_f64 v[4:5], v[4:5], v[34:35], v[16:17]
	v_fma_f64 v[2:3], v[2:3], v[34:35], -v[22:23]
	s_delay_alu instid0(VALU_DEP_4) | instskip(NEXT) | instid1(VALU_DEP_4)
	v_add_f64_e32 v[6:7], v[10:11], v[6:7]
	v_add_f64_e32 v[8:9], v[12:13], v[8:9]
	s_delay_alu instid0(VALU_DEP_2) | instskip(NEXT) | instid1(VALU_DEP_2)
	v_add_f64_e32 v[2:3], v[6:7], v[2:3]
	v_add_f64_e32 v[4:5], v[8:9], v[4:5]
	s_wait_loadcnt 0x0
	s_delay_alu instid0(VALU_DEP_2) | instskip(NEXT) | instid1(VALU_DEP_2)
	v_add_f64_e64 v[2:3], v[38:39], -v[2:3]
	v_add_f64_e64 v[4:5], v[40:41], -v[4:5]
	scratch_store_b128 off, v[2:5], off offset:352
	v_cmpx_lt_u32_e32 20, v0
	s_cbranch_execz .LBB124_351
; %bb.350:
	scratch_load_b128 v[5:8], off, s56
	v_dual_mov_b32 v2, v1 :: v_dual_mov_b32 v3, v1
	v_mov_b32_e32 v4, v1
	scratch_store_b128 off, v[1:4], off offset:336
	s_wait_loadcnt 0x0
	ds_store_b128 v164, v[5:8]
.LBB124_351:
	s_wait_alu 0xfffe
	s_or_b32 exec_lo, exec_lo, s0
	s_wait_storecnt_dscnt 0x0
	s_barrier_signal -1
	s_barrier_wait -1
	global_inv scope:SCOPE_SE
	s_clause 0x7
	scratch_load_b128 v[2:5], off, off offset:352
	scratch_load_b128 v[6:9], off, off offset:368
	;; [unrolled: 1-line block ×8, first 2 shown]
	ds_load_b128 v[38:41], v1 offset:1312
	ds_load_b128 v[165:168], v1 offset:1328
	s_clause 0x1
	scratch_load_b128 v[34:37], off, off offset:480
	scratch_load_b128 v[169:172], off, off offset:496
	s_mov_b32 s0, exec_lo
	s_wait_loadcnt_dscnt 0x901
	v_mul_f64_e32 v[173:174], v[40:41], v[4:5]
	v_mul_f64_e32 v[4:5], v[38:39], v[4:5]
	s_wait_loadcnt_dscnt 0x800
	v_mul_f64_e32 v[175:176], v[165:166], v[8:9]
	v_mul_f64_e32 v[8:9], v[167:168], v[8:9]
	s_delay_alu instid0(VALU_DEP_4) | instskip(NEXT) | instid1(VALU_DEP_4)
	v_fma_f64 v[173:174], v[38:39], v[2:3], -v[173:174]
	v_fma_f64 v[177:178], v[40:41], v[2:3], v[4:5]
	ds_load_b128 v[2:5], v1 offset:1344
	scratch_load_b128 v[38:41], off, off offset:512
	v_fma_f64 v[175:176], v[167:168], v[6:7], v[175:176]
	v_fma_f64 v[181:182], v[165:166], v[6:7], -v[8:9]
	ds_load_b128 v[6:9], v1 offset:1360
	scratch_load_b128 v[165:168], off, off offset:528
	s_wait_loadcnt_dscnt 0x901
	v_mul_f64_e32 v[179:180], v[2:3], v[12:13]
	v_mul_f64_e32 v[12:13], v[4:5], v[12:13]
	s_wait_loadcnt_dscnt 0x800
	v_mul_f64_e32 v[183:184], v[6:7], v[16:17]
	v_mul_f64_e32 v[16:17], v[8:9], v[16:17]
	v_add_f64_e32 v[173:174], 0, v[173:174]
	v_add_f64_e32 v[177:178], 0, v[177:178]
	v_fma_f64 v[179:180], v[4:5], v[10:11], v[179:180]
	v_fma_f64 v[185:186], v[2:3], v[10:11], -v[12:13]
	ds_load_b128 v[2:5], v1 offset:1376
	scratch_load_b128 v[10:13], off, off offset:544
	v_add_f64_e32 v[173:174], v[173:174], v[181:182]
	v_add_f64_e32 v[175:176], v[177:178], v[175:176]
	v_fma_f64 v[181:182], v[8:9], v[14:15], v[183:184]
	v_fma_f64 v[183:184], v[6:7], v[14:15], -v[16:17]
	ds_load_b128 v[6:9], v1 offset:1392
	scratch_load_b128 v[14:17], off, off offset:560
	s_wait_loadcnt_dscnt 0x901
	v_mul_f64_e32 v[177:178], v[2:3], v[20:21]
	v_mul_f64_e32 v[20:21], v[4:5], v[20:21]
	v_add_f64_e32 v[173:174], v[173:174], v[185:186]
	v_add_f64_e32 v[175:176], v[175:176], v[179:180]
	s_wait_loadcnt_dscnt 0x800
	v_mul_f64_e32 v[179:180], v[6:7], v[24:25]
	v_mul_f64_e32 v[24:25], v[8:9], v[24:25]
	v_fma_f64 v[177:178], v[4:5], v[18:19], v[177:178]
	v_fma_f64 v[185:186], v[2:3], v[18:19], -v[20:21]
	ds_load_b128 v[2:5], v1 offset:1408
	scratch_load_b128 v[18:21], off, off offset:576
	v_add_f64_e32 v[173:174], v[173:174], v[183:184]
	v_add_f64_e32 v[175:176], v[175:176], v[181:182]
	v_fma_f64 v[179:180], v[8:9], v[22:23], v[179:180]
	v_fma_f64 v[183:184], v[6:7], v[22:23], -v[24:25]
	ds_load_b128 v[6:9], v1 offset:1424
	s_wait_loadcnt_dscnt 0x801
	v_mul_f64_e32 v[181:182], v[2:3], v[28:29]
	v_mul_f64_e32 v[28:29], v[4:5], v[28:29]
	scratch_load_b128 v[22:25], off, off offset:592
	v_add_f64_e32 v[173:174], v[173:174], v[185:186]
	v_add_f64_e32 v[175:176], v[175:176], v[177:178]
	s_wait_loadcnt_dscnt 0x800
	v_mul_f64_e32 v[177:178], v[6:7], v[32:33]
	v_mul_f64_e32 v[32:33], v[8:9], v[32:33]
	v_fma_f64 v[181:182], v[4:5], v[26:27], v[181:182]
	v_fma_f64 v[185:186], v[2:3], v[26:27], -v[28:29]
	ds_load_b128 v[2:5], v1 offset:1440
	scratch_load_b128 v[26:29], off, off offset:608
	v_add_f64_e32 v[173:174], v[173:174], v[183:184]
	v_add_f64_e32 v[175:176], v[175:176], v[179:180]
	v_fma_f64 v[177:178], v[8:9], v[30:31], v[177:178]
	v_fma_f64 v[183:184], v[6:7], v[30:31], -v[32:33]
	ds_load_b128 v[6:9], v1 offset:1456
	s_wait_loadcnt_dscnt 0x801
	v_mul_f64_e32 v[179:180], v[2:3], v[36:37]
	v_mul_f64_e32 v[36:37], v[4:5], v[36:37]
	scratch_load_b128 v[30:33], off, off offset:624
	v_add_f64_e32 v[173:174], v[173:174], v[185:186]
	v_add_f64_e32 v[175:176], v[175:176], v[181:182]
	s_wait_loadcnt_dscnt 0x800
	v_mul_f64_e32 v[181:182], v[6:7], v[171:172]
	v_mul_f64_e32 v[171:172], v[8:9], v[171:172]
	v_fma_f64 v[179:180], v[4:5], v[34:35], v[179:180]
	v_fma_f64 v[185:186], v[2:3], v[34:35], -v[36:37]
	ds_load_b128 v[2:5], v1 offset:1472
	scratch_load_b128 v[34:37], off, off offset:640
	v_add_f64_e32 v[173:174], v[173:174], v[183:184]
	v_add_f64_e32 v[175:176], v[175:176], v[177:178]
	v_fma_f64 v[181:182], v[8:9], v[169:170], v[181:182]
	v_fma_f64 v[183:184], v[6:7], v[169:170], -v[171:172]
	ds_load_b128 v[6:9], v1 offset:1488
	scratch_load_b128 v[169:172], off, off offset:656
	s_wait_loadcnt_dscnt 0x901
	v_mul_f64_e32 v[177:178], v[2:3], v[40:41]
	v_mul_f64_e32 v[40:41], v[4:5], v[40:41]
	v_add_f64_e32 v[173:174], v[173:174], v[185:186]
	v_add_f64_e32 v[175:176], v[175:176], v[179:180]
	s_wait_loadcnt_dscnt 0x800
	v_mul_f64_e32 v[179:180], v[6:7], v[167:168]
	v_mul_f64_e32 v[167:168], v[8:9], v[167:168]
	v_fma_f64 v[177:178], v[4:5], v[38:39], v[177:178]
	v_fma_f64 v[185:186], v[2:3], v[38:39], -v[40:41]
	ds_load_b128 v[2:5], v1 offset:1504
	scratch_load_b128 v[38:41], off, off offset:672
	v_add_f64_e32 v[173:174], v[173:174], v[183:184]
	v_add_f64_e32 v[175:176], v[175:176], v[181:182]
	v_fma_f64 v[179:180], v[8:9], v[165:166], v[179:180]
	v_fma_f64 v[183:184], v[6:7], v[165:166], -v[167:168]
	ds_load_b128 v[6:9], v1 offset:1520
	s_wait_loadcnt_dscnt 0x801
	v_mul_f64_e32 v[181:182], v[2:3], v[12:13]
	v_mul_f64_e32 v[12:13], v[4:5], v[12:13]
	scratch_load_b128 v[165:168], off, off offset:688
	v_add_f64_e32 v[173:174], v[173:174], v[185:186]
	v_add_f64_e32 v[175:176], v[175:176], v[177:178]
	s_wait_loadcnt_dscnt 0x800
	v_mul_f64_e32 v[177:178], v[6:7], v[16:17]
	v_mul_f64_e32 v[16:17], v[8:9], v[16:17]
	v_fma_f64 v[181:182], v[4:5], v[10:11], v[181:182]
	v_fma_f64 v[185:186], v[2:3], v[10:11], -v[12:13]
	scratch_load_b128 v[10:13], off, off offset:704
	ds_load_b128 v[2:5], v1 offset:1536
	v_add_f64_e32 v[173:174], v[173:174], v[183:184]
	v_add_f64_e32 v[175:176], v[175:176], v[179:180]
	v_fma_f64 v[177:178], v[8:9], v[14:15], v[177:178]
	v_fma_f64 v[183:184], v[6:7], v[14:15], -v[16:17]
	ds_load_b128 v[6:9], v1 offset:1552
	s_wait_loadcnt_dscnt 0x801
	v_mul_f64_e32 v[179:180], v[2:3], v[20:21]
	v_mul_f64_e32 v[20:21], v[4:5], v[20:21]
	scratch_load_b128 v[14:17], off, off offset:720
	v_add_f64_e32 v[173:174], v[173:174], v[185:186]
	v_add_f64_e32 v[175:176], v[175:176], v[181:182]
	s_wait_loadcnt_dscnt 0x800
	v_mul_f64_e32 v[181:182], v[6:7], v[24:25]
	v_mul_f64_e32 v[24:25], v[8:9], v[24:25]
	v_fma_f64 v[179:180], v[4:5], v[18:19], v[179:180]
	v_fma_f64 v[185:186], v[2:3], v[18:19], -v[20:21]
	ds_load_b128 v[2:5], v1 offset:1568
	scratch_load_b128 v[18:21], off, off offset:736
	v_add_f64_e32 v[173:174], v[173:174], v[183:184]
	v_add_f64_e32 v[175:176], v[175:176], v[177:178]
	v_fma_f64 v[181:182], v[8:9], v[22:23], v[181:182]
	v_fma_f64 v[183:184], v[6:7], v[22:23], -v[24:25]
	ds_load_b128 v[6:9], v1 offset:1584
	s_wait_loadcnt_dscnt 0x801
	v_mul_f64_e32 v[177:178], v[2:3], v[28:29]
	v_mul_f64_e32 v[28:29], v[4:5], v[28:29]
	scratch_load_b128 v[22:25], off, off offset:752
	v_add_f64_e32 v[173:174], v[173:174], v[185:186]
	v_add_f64_e32 v[175:176], v[175:176], v[179:180]
	s_wait_loadcnt_dscnt 0x800
	v_mul_f64_e32 v[179:180], v[6:7], v[32:33]
	v_mul_f64_e32 v[32:33], v[8:9], v[32:33]
	v_fma_f64 v[177:178], v[4:5], v[26:27], v[177:178]
	v_fma_f64 v[185:186], v[2:3], v[26:27], -v[28:29]
	ds_load_b128 v[2:5], v1 offset:1600
	scratch_load_b128 v[26:29], off, off offset:768
	;; [unrolled: 18-line block ×4, first 2 shown]
	v_add_f64_e32 v[173:174], v[173:174], v[183:184]
	v_add_f64_e32 v[175:176], v[175:176], v[177:178]
	v_fma_f64 v[181:182], v[8:9], v[165:166], v[181:182]
	v_fma_f64 v[183:184], v[6:7], v[165:166], -v[167:168]
	ds_load_b128 v[6:9], v1 offset:1680
	s_wait_loadcnt_dscnt 0x801
	v_mul_f64_e32 v[177:178], v[2:3], v[12:13]
	v_mul_f64_e32 v[12:13], v[4:5], v[12:13]
	scratch_load_b128 v[165:168], off, off offset:848
	v_add_f64_e32 v[173:174], v[173:174], v[185:186]
	v_add_f64_e32 v[175:176], v[175:176], v[179:180]
	s_wait_loadcnt_dscnt 0x800
	v_mul_f64_e32 v[179:180], v[6:7], v[16:17]
	v_mul_f64_e32 v[16:17], v[8:9], v[16:17]
	v_fma_f64 v[177:178], v[4:5], v[10:11], v[177:178]
	v_fma_f64 v[185:186], v[2:3], v[10:11], -v[12:13]
	scratch_load_b128 v[10:13], off, off offset:864
	ds_load_b128 v[2:5], v1 offset:1696
	v_add_f64_e32 v[173:174], v[173:174], v[183:184]
	v_add_f64_e32 v[175:176], v[175:176], v[181:182]
	v_fma_f64 v[179:180], v[8:9], v[14:15], v[179:180]
	v_fma_f64 v[183:184], v[6:7], v[14:15], -v[16:17]
	ds_load_b128 v[6:9], v1 offset:1712
	s_wait_loadcnt_dscnt 0x801
	v_mul_f64_e32 v[181:182], v[2:3], v[20:21]
	v_mul_f64_e32 v[20:21], v[4:5], v[20:21]
	scratch_load_b128 v[14:17], off, off offset:880
	v_add_f64_e32 v[173:174], v[173:174], v[185:186]
	v_add_f64_e32 v[175:176], v[175:176], v[177:178]
	s_wait_loadcnt_dscnt 0x800
	v_mul_f64_e32 v[177:178], v[6:7], v[24:25]
	v_mul_f64_e32 v[24:25], v[8:9], v[24:25]
	v_fma_f64 v[181:182], v[4:5], v[18:19], v[181:182]
	v_fma_f64 v[185:186], v[2:3], v[18:19], -v[20:21]
	ds_load_b128 v[2:5], v1 offset:1728
	scratch_load_b128 v[18:21], off, off offset:896
	v_add_f64_e32 v[173:174], v[173:174], v[183:184]
	v_add_f64_e32 v[175:176], v[175:176], v[179:180]
	v_fma_f64 v[177:178], v[8:9], v[22:23], v[177:178]
	v_fma_f64 v[183:184], v[6:7], v[22:23], -v[24:25]
	ds_load_b128 v[6:9], v1 offset:1744
	s_wait_loadcnt_dscnt 0x801
	v_mul_f64_e32 v[179:180], v[2:3], v[28:29]
	v_mul_f64_e32 v[28:29], v[4:5], v[28:29]
	scratch_load_b128 v[22:25], off, off offset:912
	v_add_f64_e32 v[173:174], v[173:174], v[185:186]
	v_add_f64_e32 v[175:176], v[175:176], v[181:182]
	s_wait_loadcnt_dscnt 0x800
	v_mul_f64_e32 v[181:182], v[6:7], v[32:33]
	v_mul_f64_e32 v[32:33], v[8:9], v[32:33]
	v_fma_f64 v[179:180], v[4:5], v[26:27], v[179:180]
	v_fma_f64 v[185:186], v[2:3], v[26:27], -v[28:29]
	ds_load_b128 v[2:5], v1 offset:1760
	scratch_load_b128 v[26:29], off, off offset:928
	;; [unrolled: 18-line block ×3, first 2 shown]
	v_add_f64_e32 v[173:174], v[173:174], v[183:184]
	v_add_f64_e32 v[175:176], v[175:176], v[181:182]
	v_fma_f64 v[179:180], v[8:9], v[169:170], v[179:180]
	v_fma_f64 v[183:184], v[6:7], v[169:170], -v[171:172]
	ds_load_b128 v[6:9], v1 offset:1808
	s_wait_loadcnt_dscnt 0x801
	v_mul_f64_e32 v[181:182], v[2:3], v[40:41]
	v_mul_f64_e32 v[40:41], v[4:5], v[40:41]
	scratch_load_b128 v[169:172], off, off offset:976
	v_add_f64_e32 v[173:174], v[173:174], v[185:186]
	v_add_f64_e32 v[175:176], v[175:176], v[177:178]
	v_fma_f64 v[181:182], v[4:5], v[38:39], v[181:182]
	v_fma_f64 v[38:39], v[2:3], v[38:39], -v[40:41]
	ds_load_b128 v[2:5], v1 offset:1824
	v_add_f64_e32 v[40:41], v[173:174], v[183:184]
	v_add_f64_e32 v[173:174], v[175:176], v[179:180]
	s_wait_loadcnt_dscnt 0x700
	v_mul_f64_e32 v[175:176], v[2:3], v[12:13]
	v_mul_f64_e32 v[12:13], v[4:5], v[12:13]
	s_delay_alu instid0(VALU_DEP_4) | instskip(NEXT) | instid1(VALU_DEP_4)
	v_add_f64_e32 v[38:39], v[40:41], v[38:39]
	v_add_f64_e32 v[40:41], v[173:174], v[181:182]
	s_delay_alu instid0(VALU_DEP_4) | instskip(NEXT) | instid1(VALU_DEP_4)
	v_fma_f64 v[173:174], v[4:5], v[10:11], v[175:176]
	v_fma_f64 v[175:176], v[2:3], v[10:11], -v[12:13]
	scratch_load_b128 v[10:13], off, off offset:336
	v_mul_f64_e32 v[177:178], v[6:7], v[167:168]
	v_mul_f64_e32 v[167:168], v[8:9], v[167:168]
	ds_load_b128 v[2:5], v1 offset:1856
	v_fma_f64 v[177:178], v[8:9], v[165:166], v[177:178]
	v_fma_f64 v[165:166], v[6:7], v[165:166], -v[167:168]
	ds_load_b128 v[6:9], v1 offset:1840
	s_wait_loadcnt_dscnt 0x700
	v_mul_f64_e32 v[167:168], v[6:7], v[16:17]
	v_mul_f64_e32 v[16:17], v[8:9], v[16:17]
	v_add_f64_e32 v[40:41], v[40:41], v[177:178]
	v_add_f64_e32 v[38:39], v[38:39], v[165:166]
	s_wait_loadcnt 0x6
	v_mul_f64_e32 v[165:166], v[2:3], v[20:21]
	v_mul_f64_e32 v[20:21], v[4:5], v[20:21]
	v_fma_f64 v[167:168], v[8:9], v[14:15], v[167:168]
	v_fma_f64 v[14:15], v[6:7], v[14:15], -v[16:17]
	ds_load_b128 v[6:9], v1 offset:1872
	v_add_f64_e32 v[16:17], v[38:39], v[175:176]
	v_add_f64_e32 v[38:39], v[40:41], v[173:174]
	v_fma_f64 v[165:166], v[4:5], v[18:19], v[165:166]
	v_fma_f64 v[18:19], v[2:3], v[18:19], -v[20:21]
	ds_load_b128 v[2:5], v1 offset:1888
	s_wait_loadcnt_dscnt 0x501
	v_mul_f64_e32 v[40:41], v[6:7], v[24:25]
	v_mul_f64_e32 v[24:25], v[8:9], v[24:25]
	s_wait_loadcnt_dscnt 0x400
	v_mul_f64_e32 v[20:21], v[2:3], v[28:29]
	v_mul_f64_e32 v[28:29], v[4:5], v[28:29]
	v_add_f64_e32 v[14:15], v[16:17], v[14:15]
	v_add_f64_e32 v[16:17], v[38:39], v[167:168]
	v_fma_f64 v[38:39], v[8:9], v[22:23], v[40:41]
	v_fma_f64 v[22:23], v[6:7], v[22:23], -v[24:25]
	ds_load_b128 v[6:9], v1 offset:1904
	v_fma_f64 v[20:21], v[4:5], v[26:27], v[20:21]
	v_fma_f64 v[26:27], v[2:3], v[26:27], -v[28:29]
	ds_load_b128 v[2:5], v1 offset:1920
	s_wait_loadcnt_dscnt 0x301
	v_mul_f64_e32 v[24:25], v[8:9], v[32:33]
	v_add_f64_e32 v[14:15], v[14:15], v[18:19]
	v_add_f64_e32 v[16:17], v[16:17], v[165:166]
	v_mul_f64_e32 v[18:19], v[6:7], v[32:33]
	s_wait_loadcnt_dscnt 0x200
	v_mul_f64_e32 v[28:29], v[4:5], v[36:37]
	v_fma_f64 v[24:25], v[6:7], v[30:31], -v[24:25]
	v_add_f64_e32 v[14:15], v[14:15], v[22:23]
	v_add_f64_e32 v[16:17], v[16:17], v[38:39]
	v_mul_f64_e32 v[22:23], v[2:3], v[36:37]
	v_fma_f64 v[18:19], v[8:9], v[30:31], v[18:19]
	ds_load_b128 v[6:9], v1 offset:1936
	v_fma_f64 v[1:2], v[2:3], v[34:35], -v[28:29]
	v_add_f64_e32 v[14:15], v[14:15], v[26:27]
	v_add_f64_e32 v[16:17], v[16:17], v[20:21]
	s_wait_loadcnt_dscnt 0x100
	v_mul_f64_e32 v[20:21], v[6:7], v[171:172]
	v_mul_f64_e32 v[26:27], v[8:9], v[171:172]
	v_fma_f64 v[4:5], v[4:5], v[34:35], v[22:23]
	v_add_f64_e32 v[14:15], v[14:15], v[24:25]
	v_add_f64_e32 v[16:17], v[16:17], v[18:19]
	v_fma_f64 v[8:9], v[8:9], v[169:170], v[20:21]
	v_fma_f64 v[6:7], v[6:7], v[169:170], -v[26:27]
	s_delay_alu instid0(VALU_DEP_4) | instskip(NEXT) | instid1(VALU_DEP_4)
	v_add_f64_e32 v[1:2], v[14:15], v[1:2]
	v_add_f64_e32 v[3:4], v[16:17], v[4:5]
	s_delay_alu instid0(VALU_DEP_2) | instskip(NEXT) | instid1(VALU_DEP_2)
	v_add_f64_e32 v[1:2], v[1:2], v[6:7]
	v_add_f64_e32 v[3:4], v[3:4], v[8:9]
	s_wait_loadcnt 0x0
	s_delay_alu instid0(VALU_DEP_2) | instskip(NEXT) | instid1(VALU_DEP_2)
	v_add_f64_e64 v[1:2], v[10:11], -v[1:2]
	v_add_f64_e64 v[3:4], v[12:13], -v[3:4]
	scratch_store_b128 off, v[1:4], off offset:336
	v_cmpx_lt_u32_e32 19, v0
	s_cbranch_execz .LBB124_353
; %bb.352:
	scratch_load_b128 v[1:4], off, s57
	v_mov_b32_e32 v5, 0
	s_delay_alu instid0(VALU_DEP_1)
	v_dual_mov_b32 v6, v5 :: v_dual_mov_b32 v7, v5
	v_mov_b32_e32 v8, v5
	scratch_store_b128 off, v[5:8], off offset:320
	s_wait_loadcnt 0x0
	ds_store_b128 v164, v[1:4]
.LBB124_353:
	s_wait_alu 0xfffe
	s_or_b32 exec_lo, exec_lo, s0
	s_wait_storecnt_dscnt 0x0
	s_barrier_signal -1
	s_barrier_wait -1
	global_inv scope:SCOPE_SE
	s_clause 0x7
	scratch_load_b128 v[2:5], off, off offset:336
	scratch_load_b128 v[6:9], off, off offset:352
	;; [unrolled: 1-line block ×8, first 2 shown]
	v_mov_b32_e32 v1, 0
	s_clause 0x1
	scratch_load_b128 v[34:37], off, off offset:464
	scratch_load_b128 v[169:172], off, off offset:480
	s_mov_b32 s0, exec_lo
	ds_load_b128 v[38:41], v1 offset:1296
	ds_load_b128 v[165:168], v1 offset:1312
	s_wait_loadcnt_dscnt 0x901
	v_mul_f64_e32 v[173:174], v[40:41], v[4:5]
	v_mul_f64_e32 v[4:5], v[38:39], v[4:5]
	s_wait_loadcnt_dscnt 0x800
	v_mul_f64_e32 v[175:176], v[165:166], v[8:9]
	v_mul_f64_e32 v[8:9], v[167:168], v[8:9]
	s_delay_alu instid0(VALU_DEP_4) | instskip(NEXT) | instid1(VALU_DEP_4)
	v_fma_f64 v[173:174], v[38:39], v[2:3], -v[173:174]
	v_fma_f64 v[177:178], v[40:41], v[2:3], v[4:5]
	ds_load_b128 v[2:5], v1 offset:1328
	scratch_load_b128 v[38:41], off, off offset:496
	v_fma_f64 v[175:176], v[167:168], v[6:7], v[175:176]
	v_fma_f64 v[181:182], v[165:166], v[6:7], -v[8:9]
	ds_load_b128 v[6:9], v1 offset:1344
	scratch_load_b128 v[165:168], off, off offset:512
	s_wait_loadcnt_dscnt 0x901
	v_mul_f64_e32 v[179:180], v[2:3], v[12:13]
	v_mul_f64_e32 v[12:13], v[4:5], v[12:13]
	s_wait_loadcnt_dscnt 0x800
	v_mul_f64_e32 v[183:184], v[6:7], v[16:17]
	v_mul_f64_e32 v[16:17], v[8:9], v[16:17]
	v_add_f64_e32 v[173:174], 0, v[173:174]
	v_add_f64_e32 v[177:178], 0, v[177:178]
	v_fma_f64 v[179:180], v[4:5], v[10:11], v[179:180]
	v_fma_f64 v[185:186], v[2:3], v[10:11], -v[12:13]
	ds_load_b128 v[2:5], v1 offset:1360
	scratch_load_b128 v[10:13], off, off offset:528
	v_add_f64_e32 v[173:174], v[173:174], v[181:182]
	v_add_f64_e32 v[175:176], v[177:178], v[175:176]
	v_fma_f64 v[181:182], v[8:9], v[14:15], v[183:184]
	v_fma_f64 v[183:184], v[6:7], v[14:15], -v[16:17]
	ds_load_b128 v[6:9], v1 offset:1376
	scratch_load_b128 v[14:17], off, off offset:544
	s_wait_loadcnt_dscnt 0x901
	v_mul_f64_e32 v[177:178], v[2:3], v[20:21]
	v_mul_f64_e32 v[20:21], v[4:5], v[20:21]
	v_add_f64_e32 v[173:174], v[173:174], v[185:186]
	v_add_f64_e32 v[175:176], v[175:176], v[179:180]
	s_wait_loadcnt_dscnt 0x800
	v_mul_f64_e32 v[179:180], v[6:7], v[24:25]
	v_mul_f64_e32 v[24:25], v[8:9], v[24:25]
	v_fma_f64 v[177:178], v[4:5], v[18:19], v[177:178]
	v_fma_f64 v[185:186], v[2:3], v[18:19], -v[20:21]
	ds_load_b128 v[2:5], v1 offset:1392
	scratch_load_b128 v[18:21], off, off offset:560
	v_add_f64_e32 v[173:174], v[173:174], v[183:184]
	v_add_f64_e32 v[175:176], v[175:176], v[181:182]
	v_fma_f64 v[179:180], v[8:9], v[22:23], v[179:180]
	v_fma_f64 v[183:184], v[6:7], v[22:23], -v[24:25]
	ds_load_b128 v[6:9], v1 offset:1408
	s_wait_loadcnt_dscnt 0x801
	v_mul_f64_e32 v[181:182], v[2:3], v[28:29]
	v_mul_f64_e32 v[28:29], v[4:5], v[28:29]
	scratch_load_b128 v[22:25], off, off offset:576
	v_add_f64_e32 v[173:174], v[173:174], v[185:186]
	v_add_f64_e32 v[175:176], v[175:176], v[177:178]
	s_wait_loadcnt_dscnt 0x800
	v_mul_f64_e32 v[177:178], v[6:7], v[32:33]
	v_mul_f64_e32 v[32:33], v[8:9], v[32:33]
	v_fma_f64 v[181:182], v[4:5], v[26:27], v[181:182]
	v_fma_f64 v[185:186], v[2:3], v[26:27], -v[28:29]
	ds_load_b128 v[2:5], v1 offset:1424
	scratch_load_b128 v[26:29], off, off offset:592
	v_add_f64_e32 v[173:174], v[173:174], v[183:184]
	v_add_f64_e32 v[175:176], v[175:176], v[179:180]
	v_fma_f64 v[177:178], v[8:9], v[30:31], v[177:178]
	v_fma_f64 v[183:184], v[6:7], v[30:31], -v[32:33]
	ds_load_b128 v[6:9], v1 offset:1440
	s_wait_loadcnt_dscnt 0x801
	v_mul_f64_e32 v[179:180], v[2:3], v[36:37]
	v_mul_f64_e32 v[36:37], v[4:5], v[36:37]
	scratch_load_b128 v[30:33], off, off offset:608
	v_add_f64_e32 v[173:174], v[173:174], v[185:186]
	v_add_f64_e32 v[175:176], v[175:176], v[181:182]
	s_wait_loadcnt_dscnt 0x800
	v_mul_f64_e32 v[181:182], v[6:7], v[171:172]
	v_mul_f64_e32 v[171:172], v[8:9], v[171:172]
	v_fma_f64 v[179:180], v[4:5], v[34:35], v[179:180]
	v_fma_f64 v[185:186], v[2:3], v[34:35], -v[36:37]
	ds_load_b128 v[2:5], v1 offset:1456
	scratch_load_b128 v[34:37], off, off offset:624
	v_add_f64_e32 v[173:174], v[173:174], v[183:184]
	v_add_f64_e32 v[175:176], v[175:176], v[177:178]
	v_fma_f64 v[181:182], v[8:9], v[169:170], v[181:182]
	v_fma_f64 v[183:184], v[6:7], v[169:170], -v[171:172]
	ds_load_b128 v[6:9], v1 offset:1472
	scratch_load_b128 v[169:172], off, off offset:640
	s_wait_loadcnt_dscnt 0x901
	v_mul_f64_e32 v[177:178], v[2:3], v[40:41]
	v_mul_f64_e32 v[40:41], v[4:5], v[40:41]
	v_add_f64_e32 v[173:174], v[173:174], v[185:186]
	v_add_f64_e32 v[175:176], v[175:176], v[179:180]
	s_wait_loadcnt_dscnt 0x800
	v_mul_f64_e32 v[179:180], v[6:7], v[167:168]
	v_mul_f64_e32 v[167:168], v[8:9], v[167:168]
	v_fma_f64 v[177:178], v[4:5], v[38:39], v[177:178]
	v_fma_f64 v[185:186], v[2:3], v[38:39], -v[40:41]
	ds_load_b128 v[2:5], v1 offset:1488
	scratch_load_b128 v[38:41], off, off offset:656
	v_add_f64_e32 v[173:174], v[173:174], v[183:184]
	v_add_f64_e32 v[175:176], v[175:176], v[181:182]
	v_fma_f64 v[179:180], v[8:9], v[165:166], v[179:180]
	v_fma_f64 v[183:184], v[6:7], v[165:166], -v[167:168]
	ds_load_b128 v[6:9], v1 offset:1504
	s_wait_loadcnt_dscnt 0x801
	v_mul_f64_e32 v[181:182], v[2:3], v[12:13]
	v_mul_f64_e32 v[12:13], v[4:5], v[12:13]
	scratch_load_b128 v[165:168], off, off offset:672
	v_add_f64_e32 v[173:174], v[173:174], v[185:186]
	v_add_f64_e32 v[175:176], v[175:176], v[177:178]
	s_wait_loadcnt_dscnt 0x800
	v_mul_f64_e32 v[177:178], v[6:7], v[16:17]
	v_mul_f64_e32 v[16:17], v[8:9], v[16:17]
	v_fma_f64 v[181:182], v[4:5], v[10:11], v[181:182]
	v_fma_f64 v[185:186], v[2:3], v[10:11], -v[12:13]
	ds_load_b128 v[2:5], v1 offset:1520
	scratch_load_b128 v[10:13], off, off offset:688
	v_add_f64_e32 v[173:174], v[173:174], v[183:184]
	v_add_f64_e32 v[175:176], v[175:176], v[179:180]
	v_fma_f64 v[177:178], v[8:9], v[14:15], v[177:178]
	v_fma_f64 v[183:184], v[6:7], v[14:15], -v[16:17]
	ds_load_b128 v[6:9], v1 offset:1536
	s_wait_loadcnt_dscnt 0x801
	v_mul_f64_e32 v[179:180], v[2:3], v[20:21]
	v_mul_f64_e32 v[20:21], v[4:5], v[20:21]
	scratch_load_b128 v[14:17], off, off offset:704
	;; [unrolled: 18-line block ×10, first 2 shown]
	v_add_f64_e32 v[173:174], v[173:174], v[185:186]
	v_add_f64_e32 v[175:176], v[175:176], v[177:178]
	s_wait_loadcnt_dscnt 0x800
	v_mul_f64_e32 v[177:178], v[6:7], v[167:168]
	v_mul_f64_e32 v[167:168], v[8:9], v[167:168]
	v_fma_f64 v[181:182], v[4:5], v[38:39], v[181:182]
	v_fma_f64 v[185:186], v[2:3], v[38:39], -v[40:41]
	ds_load_b128 v[2:5], v1 offset:1808
	scratch_load_b128 v[38:41], off, off offset:976
	v_add_f64_e32 v[173:174], v[173:174], v[183:184]
	v_add_f64_e32 v[175:176], v[175:176], v[179:180]
	v_fma_f64 v[177:178], v[8:9], v[165:166], v[177:178]
	v_fma_f64 v[165:166], v[6:7], v[165:166], -v[167:168]
	ds_load_b128 v[6:9], v1 offset:1824
	s_wait_loadcnt_dscnt 0x801
	v_mul_f64_e32 v[179:180], v[2:3], v[12:13]
	v_mul_f64_e32 v[12:13], v[4:5], v[12:13]
	v_add_f64_e32 v[167:168], v[173:174], v[185:186]
	v_add_f64_e32 v[173:174], v[175:176], v[181:182]
	s_wait_loadcnt_dscnt 0x700
	v_mul_f64_e32 v[175:176], v[6:7], v[16:17]
	v_mul_f64_e32 v[16:17], v[8:9], v[16:17]
	v_fma_f64 v[179:180], v[4:5], v[10:11], v[179:180]
	v_fma_f64 v[10:11], v[2:3], v[10:11], -v[12:13]
	ds_load_b128 v[2:5], v1 offset:1840
	v_add_f64_e32 v[12:13], v[167:168], v[165:166]
	v_add_f64_e32 v[165:166], v[173:174], v[177:178]
	v_fma_f64 v[173:174], v[8:9], v[14:15], v[175:176]
	v_fma_f64 v[14:15], v[6:7], v[14:15], -v[16:17]
	ds_load_b128 v[6:9], v1 offset:1856
	s_wait_loadcnt_dscnt 0x500
	v_mul_f64_e32 v[175:176], v[6:7], v[24:25]
	v_mul_f64_e32 v[24:25], v[8:9], v[24:25]
	v_add_f64_e32 v[16:17], v[12:13], v[10:11]
	v_add_f64_e32 v[165:166], v[165:166], v[179:180]
	scratch_load_b128 v[10:13], off, off offset:320
	v_mul_f64_e32 v[167:168], v[2:3], v[20:21]
	v_mul_f64_e32 v[20:21], v[4:5], v[20:21]
	v_add_f64_e32 v[14:15], v[16:17], v[14:15]
	v_add_f64_e32 v[16:17], v[165:166], v[173:174]
	v_fma_f64 v[165:166], v[8:9], v[22:23], v[175:176]
	v_fma_f64 v[167:168], v[4:5], v[18:19], v[167:168]
	v_fma_f64 v[18:19], v[2:3], v[18:19], -v[20:21]
	ds_load_b128 v[2:5], v1 offset:1872
	v_fma_f64 v[22:23], v[6:7], v[22:23], -v[24:25]
	ds_load_b128 v[6:9], v1 offset:1888
	s_wait_loadcnt_dscnt 0x501
	v_mul_f64_e32 v[20:21], v[2:3], v[28:29]
	v_mul_f64_e32 v[28:29], v[4:5], v[28:29]
	s_wait_loadcnt_dscnt 0x400
	v_mul_f64_e32 v[24:25], v[8:9], v[32:33]
	v_add_f64_e32 v[16:17], v[16:17], v[167:168]
	v_add_f64_e32 v[14:15], v[14:15], v[18:19]
	v_mul_f64_e32 v[18:19], v[6:7], v[32:33]
	v_fma_f64 v[20:21], v[4:5], v[26:27], v[20:21]
	v_fma_f64 v[26:27], v[2:3], v[26:27], -v[28:29]
	ds_load_b128 v[2:5], v1 offset:1904
	v_fma_f64 v[24:25], v[6:7], v[30:31], -v[24:25]
	v_add_f64_e32 v[16:17], v[16:17], v[165:166]
	v_add_f64_e32 v[14:15], v[14:15], v[22:23]
	v_fma_f64 v[18:19], v[8:9], v[30:31], v[18:19]
	ds_load_b128 v[6:9], v1 offset:1920
	s_wait_loadcnt_dscnt 0x301
	v_mul_f64_e32 v[22:23], v[2:3], v[36:37]
	v_mul_f64_e32 v[28:29], v[4:5], v[36:37]
	v_add_f64_e32 v[16:17], v[16:17], v[20:21]
	v_add_f64_e32 v[14:15], v[14:15], v[26:27]
	s_wait_loadcnt_dscnt 0x200
	v_mul_f64_e32 v[20:21], v[6:7], v[171:172]
	v_mul_f64_e32 v[26:27], v[8:9], v[171:172]
	v_fma_f64 v[22:23], v[4:5], v[34:35], v[22:23]
	v_fma_f64 v[28:29], v[2:3], v[34:35], -v[28:29]
	ds_load_b128 v[2:5], v1 offset:1936
	v_add_f64_e32 v[16:17], v[16:17], v[18:19]
	v_add_f64_e32 v[14:15], v[14:15], v[24:25]
	s_wait_loadcnt_dscnt 0x100
	v_mul_f64_e32 v[18:19], v[2:3], v[40:41]
	v_mul_f64_e32 v[24:25], v[4:5], v[40:41]
	v_fma_f64 v[8:9], v[8:9], v[169:170], v[20:21]
	v_fma_f64 v[6:7], v[6:7], v[169:170], -v[26:27]
	v_add_f64_e32 v[16:17], v[16:17], v[22:23]
	v_add_f64_e32 v[14:15], v[14:15], v[28:29]
	v_fma_f64 v[4:5], v[4:5], v[38:39], v[18:19]
	v_fma_f64 v[2:3], v[2:3], v[38:39], -v[24:25]
	s_delay_alu instid0(VALU_DEP_4) | instskip(NEXT) | instid1(VALU_DEP_4)
	v_add_f64_e32 v[8:9], v[16:17], v[8:9]
	v_add_f64_e32 v[6:7], v[14:15], v[6:7]
	s_delay_alu instid0(VALU_DEP_2) | instskip(NEXT) | instid1(VALU_DEP_2)
	v_add_f64_e32 v[4:5], v[8:9], v[4:5]
	v_add_f64_e32 v[2:3], v[6:7], v[2:3]
	s_wait_loadcnt 0x0
	s_delay_alu instid0(VALU_DEP_2) | instskip(NEXT) | instid1(VALU_DEP_2)
	v_add_f64_e64 v[4:5], v[12:13], -v[4:5]
	v_add_f64_e64 v[2:3], v[10:11], -v[2:3]
	scratch_store_b128 off, v[2:5], off offset:320
	v_cmpx_lt_u32_e32 18, v0
	s_cbranch_execz .LBB124_355
; %bb.354:
	scratch_load_b128 v[5:8], off, s58
	v_dual_mov_b32 v2, v1 :: v_dual_mov_b32 v3, v1
	v_mov_b32_e32 v4, v1
	scratch_store_b128 off, v[1:4], off offset:304
	s_wait_loadcnt 0x0
	ds_store_b128 v164, v[5:8]
.LBB124_355:
	s_wait_alu 0xfffe
	s_or_b32 exec_lo, exec_lo, s0
	s_wait_storecnt_dscnt 0x0
	s_barrier_signal -1
	s_barrier_wait -1
	global_inv scope:SCOPE_SE
	s_clause 0x7
	scratch_load_b128 v[2:5], off, off offset:320
	scratch_load_b128 v[6:9], off, off offset:336
	;; [unrolled: 1-line block ×8, first 2 shown]
	ds_load_b128 v[38:41], v1 offset:1280
	ds_load_b128 v[165:168], v1 offset:1296
	s_clause 0x1
	scratch_load_b128 v[34:37], off, off offset:448
	scratch_load_b128 v[169:172], off, off offset:464
	s_mov_b32 s0, exec_lo
	s_wait_loadcnt_dscnt 0x901
	v_mul_f64_e32 v[173:174], v[40:41], v[4:5]
	v_mul_f64_e32 v[4:5], v[38:39], v[4:5]
	s_wait_loadcnt_dscnt 0x800
	v_mul_f64_e32 v[175:176], v[165:166], v[8:9]
	v_mul_f64_e32 v[8:9], v[167:168], v[8:9]
	s_delay_alu instid0(VALU_DEP_4) | instskip(NEXT) | instid1(VALU_DEP_4)
	v_fma_f64 v[173:174], v[38:39], v[2:3], -v[173:174]
	v_fma_f64 v[177:178], v[40:41], v[2:3], v[4:5]
	ds_load_b128 v[2:5], v1 offset:1312
	scratch_load_b128 v[38:41], off, off offset:480
	v_fma_f64 v[175:176], v[167:168], v[6:7], v[175:176]
	v_fma_f64 v[181:182], v[165:166], v[6:7], -v[8:9]
	ds_load_b128 v[6:9], v1 offset:1328
	scratch_load_b128 v[165:168], off, off offset:496
	s_wait_loadcnt_dscnt 0x901
	v_mul_f64_e32 v[179:180], v[2:3], v[12:13]
	v_mul_f64_e32 v[12:13], v[4:5], v[12:13]
	s_wait_loadcnt_dscnt 0x800
	v_mul_f64_e32 v[183:184], v[6:7], v[16:17]
	v_mul_f64_e32 v[16:17], v[8:9], v[16:17]
	v_add_f64_e32 v[173:174], 0, v[173:174]
	v_add_f64_e32 v[177:178], 0, v[177:178]
	v_fma_f64 v[179:180], v[4:5], v[10:11], v[179:180]
	v_fma_f64 v[185:186], v[2:3], v[10:11], -v[12:13]
	ds_load_b128 v[2:5], v1 offset:1344
	scratch_load_b128 v[10:13], off, off offset:512
	v_add_f64_e32 v[173:174], v[173:174], v[181:182]
	v_add_f64_e32 v[175:176], v[177:178], v[175:176]
	v_fma_f64 v[181:182], v[8:9], v[14:15], v[183:184]
	v_fma_f64 v[183:184], v[6:7], v[14:15], -v[16:17]
	ds_load_b128 v[6:9], v1 offset:1360
	scratch_load_b128 v[14:17], off, off offset:528
	s_wait_loadcnt_dscnt 0x901
	v_mul_f64_e32 v[177:178], v[2:3], v[20:21]
	v_mul_f64_e32 v[20:21], v[4:5], v[20:21]
	v_add_f64_e32 v[173:174], v[173:174], v[185:186]
	v_add_f64_e32 v[175:176], v[175:176], v[179:180]
	s_wait_loadcnt_dscnt 0x800
	v_mul_f64_e32 v[179:180], v[6:7], v[24:25]
	v_mul_f64_e32 v[24:25], v[8:9], v[24:25]
	v_fma_f64 v[177:178], v[4:5], v[18:19], v[177:178]
	v_fma_f64 v[185:186], v[2:3], v[18:19], -v[20:21]
	ds_load_b128 v[2:5], v1 offset:1376
	scratch_load_b128 v[18:21], off, off offset:544
	v_add_f64_e32 v[173:174], v[173:174], v[183:184]
	v_add_f64_e32 v[175:176], v[175:176], v[181:182]
	v_fma_f64 v[179:180], v[8:9], v[22:23], v[179:180]
	v_fma_f64 v[183:184], v[6:7], v[22:23], -v[24:25]
	ds_load_b128 v[6:9], v1 offset:1392
	s_wait_loadcnt_dscnt 0x801
	v_mul_f64_e32 v[181:182], v[2:3], v[28:29]
	v_mul_f64_e32 v[28:29], v[4:5], v[28:29]
	scratch_load_b128 v[22:25], off, off offset:560
	v_add_f64_e32 v[173:174], v[173:174], v[185:186]
	v_add_f64_e32 v[175:176], v[175:176], v[177:178]
	s_wait_loadcnt_dscnt 0x800
	v_mul_f64_e32 v[177:178], v[6:7], v[32:33]
	v_mul_f64_e32 v[32:33], v[8:9], v[32:33]
	v_fma_f64 v[181:182], v[4:5], v[26:27], v[181:182]
	v_fma_f64 v[185:186], v[2:3], v[26:27], -v[28:29]
	ds_load_b128 v[2:5], v1 offset:1408
	scratch_load_b128 v[26:29], off, off offset:576
	v_add_f64_e32 v[173:174], v[173:174], v[183:184]
	v_add_f64_e32 v[175:176], v[175:176], v[179:180]
	v_fma_f64 v[177:178], v[8:9], v[30:31], v[177:178]
	v_fma_f64 v[183:184], v[6:7], v[30:31], -v[32:33]
	ds_load_b128 v[6:9], v1 offset:1424
	s_wait_loadcnt_dscnt 0x801
	v_mul_f64_e32 v[179:180], v[2:3], v[36:37]
	v_mul_f64_e32 v[36:37], v[4:5], v[36:37]
	scratch_load_b128 v[30:33], off, off offset:592
	v_add_f64_e32 v[173:174], v[173:174], v[185:186]
	v_add_f64_e32 v[175:176], v[175:176], v[181:182]
	s_wait_loadcnt_dscnt 0x800
	v_mul_f64_e32 v[181:182], v[6:7], v[171:172]
	v_mul_f64_e32 v[171:172], v[8:9], v[171:172]
	v_fma_f64 v[179:180], v[4:5], v[34:35], v[179:180]
	v_fma_f64 v[185:186], v[2:3], v[34:35], -v[36:37]
	ds_load_b128 v[2:5], v1 offset:1440
	scratch_load_b128 v[34:37], off, off offset:608
	v_add_f64_e32 v[173:174], v[173:174], v[183:184]
	v_add_f64_e32 v[175:176], v[175:176], v[177:178]
	v_fma_f64 v[181:182], v[8:9], v[169:170], v[181:182]
	v_fma_f64 v[183:184], v[6:7], v[169:170], -v[171:172]
	ds_load_b128 v[6:9], v1 offset:1456
	scratch_load_b128 v[169:172], off, off offset:624
	s_wait_loadcnt_dscnt 0x901
	v_mul_f64_e32 v[177:178], v[2:3], v[40:41]
	v_mul_f64_e32 v[40:41], v[4:5], v[40:41]
	v_add_f64_e32 v[173:174], v[173:174], v[185:186]
	v_add_f64_e32 v[175:176], v[175:176], v[179:180]
	s_wait_loadcnt_dscnt 0x800
	v_mul_f64_e32 v[179:180], v[6:7], v[167:168]
	v_mul_f64_e32 v[167:168], v[8:9], v[167:168]
	v_fma_f64 v[177:178], v[4:5], v[38:39], v[177:178]
	v_fma_f64 v[185:186], v[2:3], v[38:39], -v[40:41]
	ds_load_b128 v[2:5], v1 offset:1472
	scratch_load_b128 v[38:41], off, off offset:640
	v_add_f64_e32 v[173:174], v[173:174], v[183:184]
	v_add_f64_e32 v[175:176], v[175:176], v[181:182]
	v_fma_f64 v[179:180], v[8:9], v[165:166], v[179:180]
	v_fma_f64 v[183:184], v[6:7], v[165:166], -v[167:168]
	ds_load_b128 v[6:9], v1 offset:1488
	s_wait_loadcnt_dscnt 0x801
	v_mul_f64_e32 v[181:182], v[2:3], v[12:13]
	v_mul_f64_e32 v[12:13], v[4:5], v[12:13]
	scratch_load_b128 v[165:168], off, off offset:656
	v_add_f64_e32 v[173:174], v[173:174], v[185:186]
	v_add_f64_e32 v[175:176], v[175:176], v[177:178]
	s_wait_loadcnt_dscnt 0x800
	v_mul_f64_e32 v[177:178], v[6:7], v[16:17]
	v_mul_f64_e32 v[16:17], v[8:9], v[16:17]
	v_fma_f64 v[181:182], v[4:5], v[10:11], v[181:182]
	v_fma_f64 v[185:186], v[2:3], v[10:11], -v[12:13]
	ds_load_b128 v[2:5], v1 offset:1504
	scratch_load_b128 v[10:13], off, off offset:672
	v_add_f64_e32 v[173:174], v[173:174], v[183:184]
	v_add_f64_e32 v[175:176], v[175:176], v[179:180]
	v_fma_f64 v[177:178], v[8:9], v[14:15], v[177:178]
	v_fma_f64 v[183:184], v[6:7], v[14:15], -v[16:17]
	ds_load_b128 v[6:9], v1 offset:1520
	s_wait_loadcnt_dscnt 0x801
	v_mul_f64_e32 v[179:180], v[2:3], v[20:21]
	v_mul_f64_e32 v[20:21], v[4:5], v[20:21]
	scratch_load_b128 v[14:17], off, off offset:688
	;; [unrolled: 18-line block ×11, first 2 shown]
	v_add_f64_e32 v[173:174], v[173:174], v[185:186]
	v_add_f64_e32 v[175:176], v[175:176], v[181:182]
	s_wait_loadcnt_dscnt 0x800
	v_mul_f64_e32 v[181:182], v[6:7], v[16:17]
	v_mul_f64_e32 v[16:17], v[8:9], v[16:17]
	v_fma_f64 v[179:180], v[4:5], v[10:11], v[179:180]
	v_fma_f64 v[10:11], v[2:3], v[10:11], -v[12:13]
	ds_load_b128 v[2:5], v1 offset:1824
	v_add_f64_e32 v[12:13], v[173:174], v[183:184]
	v_add_f64_e32 v[173:174], v[175:176], v[177:178]
	v_fma_f64 v[177:178], v[8:9], v[14:15], v[181:182]
	v_fma_f64 v[14:15], v[6:7], v[14:15], -v[16:17]
	ds_load_b128 v[6:9], v1 offset:1840
	s_wait_loadcnt_dscnt 0x701
	v_mul_f64_e32 v[175:176], v[2:3], v[20:21]
	v_mul_f64_e32 v[20:21], v[4:5], v[20:21]
	v_add_f64_e32 v[10:11], v[12:13], v[10:11]
	v_add_f64_e32 v[12:13], v[173:174], v[179:180]
	s_delay_alu instid0(VALU_DEP_4) | instskip(NEXT) | instid1(VALU_DEP_4)
	v_fma_f64 v[173:174], v[4:5], v[18:19], v[175:176]
	v_fma_f64 v[18:19], v[2:3], v[18:19], -v[20:21]
	ds_load_b128 v[2:5], v1 offset:1856
	v_add_f64_e32 v[14:15], v[10:11], v[14:15]
	v_add_f64_e32 v[20:21], v[12:13], v[177:178]
	scratch_load_b128 v[10:13], off, off offset:304
	s_wait_loadcnt_dscnt 0x701
	v_mul_f64_e32 v[16:17], v[6:7], v[24:25]
	v_mul_f64_e32 v[24:25], v[8:9], v[24:25]
	v_add_f64_e32 v[14:15], v[14:15], v[18:19]
	v_add_f64_e32 v[18:19], v[20:21], v[173:174]
	s_delay_alu instid0(VALU_DEP_4) | instskip(NEXT) | instid1(VALU_DEP_4)
	v_fma_f64 v[16:17], v[8:9], v[22:23], v[16:17]
	v_fma_f64 v[22:23], v[6:7], v[22:23], -v[24:25]
	ds_load_b128 v[6:9], v1 offset:1872
	s_wait_loadcnt_dscnt 0x601
	v_mul_f64_e32 v[175:176], v[2:3], v[28:29]
	v_mul_f64_e32 v[28:29], v[4:5], v[28:29]
	s_wait_loadcnt_dscnt 0x500
	v_mul_f64_e32 v[20:21], v[6:7], v[32:33]
	v_mul_f64_e32 v[24:25], v[8:9], v[32:33]
	v_add_f64_e32 v[16:17], v[18:19], v[16:17]
	v_add_f64_e32 v[14:15], v[14:15], v[22:23]
	v_fma_f64 v[32:33], v[4:5], v[26:27], v[175:176]
	v_fma_f64 v[26:27], v[2:3], v[26:27], -v[28:29]
	ds_load_b128 v[2:5], v1 offset:1888
	v_fma_f64 v[20:21], v[8:9], v[30:31], v[20:21]
	v_fma_f64 v[24:25], v[6:7], v[30:31], -v[24:25]
	ds_load_b128 v[6:9], v1 offset:1904
	s_wait_loadcnt_dscnt 0x401
	v_mul_f64_e32 v[18:19], v[2:3], v[36:37]
	v_mul_f64_e32 v[22:23], v[4:5], v[36:37]
	v_add_f64_e32 v[16:17], v[16:17], v[32:33]
	v_add_f64_e32 v[14:15], v[14:15], v[26:27]
	s_wait_loadcnt_dscnt 0x300
	v_mul_f64_e32 v[26:27], v[6:7], v[171:172]
	v_mul_f64_e32 v[28:29], v[8:9], v[171:172]
	v_fma_f64 v[18:19], v[4:5], v[34:35], v[18:19]
	v_fma_f64 v[22:23], v[2:3], v[34:35], -v[22:23]
	ds_load_b128 v[2:5], v1 offset:1920
	v_add_f64_e32 v[16:17], v[16:17], v[20:21]
	v_add_f64_e32 v[14:15], v[14:15], v[24:25]
	v_fma_f64 v[26:27], v[8:9], v[169:170], v[26:27]
	v_fma_f64 v[28:29], v[6:7], v[169:170], -v[28:29]
	ds_load_b128 v[6:9], v1 offset:1936
	s_wait_loadcnt_dscnt 0x201
	v_mul_f64_e32 v[20:21], v[2:3], v[40:41]
	v_mul_f64_e32 v[24:25], v[4:5], v[40:41]
	v_add_f64_e32 v[16:17], v[16:17], v[18:19]
	v_add_f64_e32 v[14:15], v[14:15], v[22:23]
	s_wait_loadcnt_dscnt 0x100
	v_mul_f64_e32 v[18:19], v[6:7], v[167:168]
	v_mul_f64_e32 v[22:23], v[8:9], v[167:168]
	v_fma_f64 v[4:5], v[4:5], v[38:39], v[20:21]
	v_fma_f64 v[1:2], v[2:3], v[38:39], -v[24:25]
	v_add_f64_e32 v[16:17], v[16:17], v[26:27]
	v_add_f64_e32 v[14:15], v[14:15], v[28:29]
	v_fma_f64 v[8:9], v[8:9], v[165:166], v[18:19]
	v_fma_f64 v[6:7], v[6:7], v[165:166], -v[22:23]
	s_delay_alu instid0(VALU_DEP_4) | instskip(NEXT) | instid1(VALU_DEP_4)
	v_add_f64_e32 v[3:4], v[16:17], v[4:5]
	v_add_f64_e32 v[1:2], v[14:15], v[1:2]
	s_delay_alu instid0(VALU_DEP_2) | instskip(NEXT) | instid1(VALU_DEP_2)
	v_add_f64_e32 v[3:4], v[3:4], v[8:9]
	v_add_f64_e32 v[1:2], v[1:2], v[6:7]
	s_wait_loadcnt 0x0
	s_delay_alu instid0(VALU_DEP_2) | instskip(NEXT) | instid1(VALU_DEP_2)
	v_add_f64_e64 v[3:4], v[12:13], -v[3:4]
	v_add_f64_e64 v[1:2], v[10:11], -v[1:2]
	scratch_store_b128 off, v[1:4], off offset:304
	v_cmpx_lt_u32_e32 17, v0
	s_cbranch_execz .LBB124_357
; %bb.356:
	scratch_load_b128 v[1:4], off, s59
	v_mov_b32_e32 v5, 0
	s_delay_alu instid0(VALU_DEP_1)
	v_dual_mov_b32 v6, v5 :: v_dual_mov_b32 v7, v5
	v_mov_b32_e32 v8, v5
	scratch_store_b128 off, v[5:8], off offset:288
	s_wait_loadcnt 0x0
	ds_store_b128 v164, v[1:4]
.LBB124_357:
	s_wait_alu 0xfffe
	s_or_b32 exec_lo, exec_lo, s0
	s_wait_storecnt_dscnt 0x0
	s_barrier_signal -1
	s_barrier_wait -1
	global_inv scope:SCOPE_SE
	s_clause 0x7
	scratch_load_b128 v[2:5], off, off offset:304
	scratch_load_b128 v[6:9], off, off offset:320
	;; [unrolled: 1-line block ×8, first 2 shown]
	v_mov_b32_e32 v1, 0
	s_clause 0x1
	scratch_load_b128 v[34:37], off, off offset:432
	scratch_load_b128 v[169:172], off, off offset:448
	s_mov_b32 s0, exec_lo
	ds_load_b128 v[38:41], v1 offset:1264
	ds_load_b128 v[165:168], v1 offset:1280
	s_wait_loadcnt_dscnt 0x901
	v_mul_f64_e32 v[173:174], v[40:41], v[4:5]
	v_mul_f64_e32 v[4:5], v[38:39], v[4:5]
	s_wait_loadcnt_dscnt 0x800
	v_mul_f64_e32 v[175:176], v[165:166], v[8:9]
	v_mul_f64_e32 v[8:9], v[167:168], v[8:9]
	s_delay_alu instid0(VALU_DEP_4) | instskip(NEXT) | instid1(VALU_DEP_4)
	v_fma_f64 v[173:174], v[38:39], v[2:3], -v[173:174]
	v_fma_f64 v[177:178], v[40:41], v[2:3], v[4:5]
	ds_load_b128 v[2:5], v1 offset:1296
	scratch_load_b128 v[38:41], off, off offset:464
	v_fma_f64 v[175:176], v[167:168], v[6:7], v[175:176]
	v_fma_f64 v[181:182], v[165:166], v[6:7], -v[8:9]
	ds_load_b128 v[6:9], v1 offset:1312
	scratch_load_b128 v[165:168], off, off offset:480
	s_wait_loadcnt_dscnt 0x901
	v_mul_f64_e32 v[179:180], v[2:3], v[12:13]
	v_mul_f64_e32 v[12:13], v[4:5], v[12:13]
	s_wait_loadcnt_dscnt 0x800
	v_mul_f64_e32 v[183:184], v[6:7], v[16:17]
	v_mul_f64_e32 v[16:17], v[8:9], v[16:17]
	v_add_f64_e32 v[173:174], 0, v[173:174]
	v_add_f64_e32 v[177:178], 0, v[177:178]
	v_fma_f64 v[179:180], v[4:5], v[10:11], v[179:180]
	v_fma_f64 v[185:186], v[2:3], v[10:11], -v[12:13]
	ds_load_b128 v[2:5], v1 offset:1328
	scratch_load_b128 v[10:13], off, off offset:496
	v_add_f64_e32 v[173:174], v[173:174], v[181:182]
	v_add_f64_e32 v[175:176], v[177:178], v[175:176]
	v_fma_f64 v[181:182], v[8:9], v[14:15], v[183:184]
	v_fma_f64 v[183:184], v[6:7], v[14:15], -v[16:17]
	ds_load_b128 v[6:9], v1 offset:1344
	scratch_load_b128 v[14:17], off, off offset:512
	s_wait_loadcnt_dscnt 0x901
	v_mul_f64_e32 v[177:178], v[2:3], v[20:21]
	v_mul_f64_e32 v[20:21], v[4:5], v[20:21]
	v_add_f64_e32 v[173:174], v[173:174], v[185:186]
	v_add_f64_e32 v[175:176], v[175:176], v[179:180]
	s_wait_loadcnt_dscnt 0x800
	v_mul_f64_e32 v[179:180], v[6:7], v[24:25]
	v_mul_f64_e32 v[24:25], v[8:9], v[24:25]
	v_fma_f64 v[177:178], v[4:5], v[18:19], v[177:178]
	v_fma_f64 v[185:186], v[2:3], v[18:19], -v[20:21]
	ds_load_b128 v[2:5], v1 offset:1360
	scratch_load_b128 v[18:21], off, off offset:528
	v_add_f64_e32 v[173:174], v[173:174], v[183:184]
	v_add_f64_e32 v[175:176], v[175:176], v[181:182]
	v_fma_f64 v[179:180], v[8:9], v[22:23], v[179:180]
	v_fma_f64 v[183:184], v[6:7], v[22:23], -v[24:25]
	ds_load_b128 v[6:9], v1 offset:1376
	s_wait_loadcnt_dscnt 0x801
	v_mul_f64_e32 v[181:182], v[2:3], v[28:29]
	v_mul_f64_e32 v[28:29], v[4:5], v[28:29]
	scratch_load_b128 v[22:25], off, off offset:544
	v_add_f64_e32 v[173:174], v[173:174], v[185:186]
	v_add_f64_e32 v[175:176], v[175:176], v[177:178]
	s_wait_loadcnt_dscnt 0x800
	v_mul_f64_e32 v[177:178], v[6:7], v[32:33]
	v_mul_f64_e32 v[32:33], v[8:9], v[32:33]
	v_fma_f64 v[181:182], v[4:5], v[26:27], v[181:182]
	v_fma_f64 v[185:186], v[2:3], v[26:27], -v[28:29]
	ds_load_b128 v[2:5], v1 offset:1392
	scratch_load_b128 v[26:29], off, off offset:560
	v_add_f64_e32 v[173:174], v[173:174], v[183:184]
	v_add_f64_e32 v[175:176], v[175:176], v[179:180]
	v_fma_f64 v[177:178], v[8:9], v[30:31], v[177:178]
	v_fma_f64 v[183:184], v[6:7], v[30:31], -v[32:33]
	ds_load_b128 v[6:9], v1 offset:1408
	s_wait_loadcnt_dscnt 0x801
	v_mul_f64_e32 v[179:180], v[2:3], v[36:37]
	v_mul_f64_e32 v[36:37], v[4:5], v[36:37]
	scratch_load_b128 v[30:33], off, off offset:576
	v_add_f64_e32 v[173:174], v[173:174], v[185:186]
	v_add_f64_e32 v[175:176], v[175:176], v[181:182]
	s_wait_loadcnt_dscnt 0x800
	v_mul_f64_e32 v[181:182], v[6:7], v[171:172]
	v_mul_f64_e32 v[171:172], v[8:9], v[171:172]
	v_fma_f64 v[179:180], v[4:5], v[34:35], v[179:180]
	v_fma_f64 v[185:186], v[2:3], v[34:35], -v[36:37]
	ds_load_b128 v[2:5], v1 offset:1424
	scratch_load_b128 v[34:37], off, off offset:592
	v_add_f64_e32 v[173:174], v[173:174], v[183:184]
	v_add_f64_e32 v[175:176], v[175:176], v[177:178]
	v_fma_f64 v[181:182], v[8:9], v[169:170], v[181:182]
	v_fma_f64 v[183:184], v[6:7], v[169:170], -v[171:172]
	ds_load_b128 v[6:9], v1 offset:1440
	scratch_load_b128 v[169:172], off, off offset:608
	s_wait_loadcnt_dscnt 0x901
	v_mul_f64_e32 v[177:178], v[2:3], v[40:41]
	v_mul_f64_e32 v[40:41], v[4:5], v[40:41]
	v_add_f64_e32 v[173:174], v[173:174], v[185:186]
	v_add_f64_e32 v[175:176], v[175:176], v[179:180]
	s_wait_loadcnt_dscnt 0x800
	v_mul_f64_e32 v[179:180], v[6:7], v[167:168]
	v_mul_f64_e32 v[167:168], v[8:9], v[167:168]
	v_fma_f64 v[177:178], v[4:5], v[38:39], v[177:178]
	v_fma_f64 v[185:186], v[2:3], v[38:39], -v[40:41]
	ds_load_b128 v[2:5], v1 offset:1456
	scratch_load_b128 v[38:41], off, off offset:624
	v_add_f64_e32 v[173:174], v[173:174], v[183:184]
	v_add_f64_e32 v[175:176], v[175:176], v[181:182]
	v_fma_f64 v[179:180], v[8:9], v[165:166], v[179:180]
	v_fma_f64 v[183:184], v[6:7], v[165:166], -v[167:168]
	ds_load_b128 v[6:9], v1 offset:1472
	s_wait_loadcnt_dscnt 0x801
	v_mul_f64_e32 v[181:182], v[2:3], v[12:13]
	v_mul_f64_e32 v[12:13], v[4:5], v[12:13]
	scratch_load_b128 v[165:168], off, off offset:640
	v_add_f64_e32 v[173:174], v[173:174], v[185:186]
	v_add_f64_e32 v[175:176], v[175:176], v[177:178]
	s_wait_loadcnt_dscnt 0x800
	v_mul_f64_e32 v[177:178], v[6:7], v[16:17]
	v_mul_f64_e32 v[16:17], v[8:9], v[16:17]
	v_fma_f64 v[181:182], v[4:5], v[10:11], v[181:182]
	v_fma_f64 v[185:186], v[2:3], v[10:11], -v[12:13]
	ds_load_b128 v[2:5], v1 offset:1488
	scratch_load_b128 v[10:13], off, off offset:656
	v_add_f64_e32 v[173:174], v[173:174], v[183:184]
	v_add_f64_e32 v[175:176], v[175:176], v[179:180]
	v_fma_f64 v[177:178], v[8:9], v[14:15], v[177:178]
	v_fma_f64 v[183:184], v[6:7], v[14:15], -v[16:17]
	ds_load_b128 v[6:9], v1 offset:1504
	s_wait_loadcnt_dscnt 0x801
	v_mul_f64_e32 v[179:180], v[2:3], v[20:21]
	v_mul_f64_e32 v[20:21], v[4:5], v[20:21]
	scratch_load_b128 v[14:17], off, off offset:672
	;; [unrolled: 18-line block ×11, first 2 shown]
	v_add_f64_e32 v[173:174], v[173:174], v[185:186]
	v_add_f64_e32 v[175:176], v[175:176], v[181:182]
	s_wait_loadcnt_dscnt 0x800
	v_mul_f64_e32 v[181:182], v[6:7], v[16:17]
	v_mul_f64_e32 v[16:17], v[8:9], v[16:17]
	v_fma_f64 v[179:180], v[4:5], v[10:11], v[179:180]
	v_fma_f64 v[185:186], v[2:3], v[10:11], -v[12:13]
	ds_load_b128 v[2:5], v1 offset:1808
	scratch_load_b128 v[10:13], off, off offset:976
	v_add_f64_e32 v[173:174], v[173:174], v[183:184]
	v_add_f64_e32 v[175:176], v[175:176], v[177:178]
	v_fma_f64 v[181:182], v[8:9], v[14:15], v[181:182]
	v_fma_f64 v[14:15], v[6:7], v[14:15], -v[16:17]
	ds_load_b128 v[6:9], v1 offset:1824
	s_wait_loadcnt_dscnt 0x801
	v_mul_f64_e32 v[177:178], v[2:3], v[20:21]
	v_mul_f64_e32 v[20:21], v[4:5], v[20:21]
	v_add_f64_e32 v[16:17], v[173:174], v[185:186]
	v_add_f64_e32 v[173:174], v[175:176], v[179:180]
	s_wait_loadcnt_dscnt 0x700
	v_mul_f64_e32 v[175:176], v[6:7], v[24:25]
	v_mul_f64_e32 v[24:25], v[8:9], v[24:25]
	v_fma_f64 v[177:178], v[4:5], v[18:19], v[177:178]
	v_fma_f64 v[18:19], v[2:3], v[18:19], -v[20:21]
	ds_load_b128 v[2:5], v1 offset:1840
	v_add_f64_e32 v[14:15], v[16:17], v[14:15]
	v_add_f64_e32 v[16:17], v[173:174], v[181:182]
	v_fma_f64 v[173:174], v[8:9], v[22:23], v[175:176]
	v_fma_f64 v[22:23], v[6:7], v[22:23], -v[24:25]
	ds_load_b128 v[6:9], v1 offset:1856
	s_wait_loadcnt_dscnt 0x500
	v_mul_f64_e32 v[175:176], v[6:7], v[32:33]
	v_mul_f64_e32 v[32:33], v[8:9], v[32:33]
	v_add_f64_e32 v[18:19], v[14:15], v[18:19]
	v_add_f64_e32 v[24:25], v[16:17], v[177:178]
	scratch_load_b128 v[14:17], off, off offset:288
	v_mul_f64_e32 v[20:21], v[2:3], v[28:29]
	v_mul_f64_e32 v[28:29], v[4:5], v[28:29]
	v_add_f64_e32 v[18:19], v[18:19], v[22:23]
	v_add_f64_e32 v[22:23], v[24:25], v[173:174]
	s_delay_alu instid0(VALU_DEP_4) | instskip(NEXT) | instid1(VALU_DEP_4)
	v_fma_f64 v[20:21], v[4:5], v[26:27], v[20:21]
	v_fma_f64 v[26:27], v[2:3], v[26:27], -v[28:29]
	ds_load_b128 v[2:5], v1 offset:1872
	s_wait_loadcnt_dscnt 0x500
	v_mul_f64_e32 v[24:25], v[2:3], v[36:37]
	v_mul_f64_e32 v[28:29], v[4:5], v[36:37]
	v_fma_f64 v[36:37], v[8:9], v[30:31], v[175:176]
	v_fma_f64 v[30:31], v[6:7], v[30:31], -v[32:33]
	ds_load_b128 v[6:9], v1 offset:1888
	v_add_f64_e32 v[20:21], v[22:23], v[20:21]
	v_add_f64_e32 v[18:19], v[18:19], v[26:27]
	v_fma_f64 v[24:25], v[4:5], v[34:35], v[24:25]
	v_fma_f64 v[28:29], v[2:3], v[34:35], -v[28:29]
	ds_load_b128 v[2:5], v1 offset:1904
	s_wait_loadcnt_dscnt 0x401
	v_mul_f64_e32 v[22:23], v[6:7], v[171:172]
	v_mul_f64_e32 v[26:27], v[8:9], v[171:172]
	v_add_f64_e32 v[20:21], v[20:21], v[36:37]
	v_add_f64_e32 v[18:19], v[18:19], v[30:31]
	s_wait_loadcnt_dscnt 0x300
	v_mul_f64_e32 v[30:31], v[2:3], v[40:41]
	v_mul_f64_e32 v[32:33], v[4:5], v[40:41]
	v_fma_f64 v[22:23], v[8:9], v[169:170], v[22:23]
	v_fma_f64 v[26:27], v[6:7], v[169:170], -v[26:27]
	ds_load_b128 v[6:9], v1 offset:1920
	v_add_f64_e32 v[20:21], v[20:21], v[24:25]
	v_add_f64_e32 v[18:19], v[18:19], v[28:29]
	v_fma_f64 v[30:31], v[4:5], v[38:39], v[30:31]
	v_fma_f64 v[32:33], v[2:3], v[38:39], -v[32:33]
	ds_load_b128 v[2:5], v1 offset:1936
	s_wait_loadcnt_dscnt 0x201
	v_mul_f64_e32 v[24:25], v[6:7], v[167:168]
	v_mul_f64_e32 v[28:29], v[8:9], v[167:168]
	v_add_f64_e32 v[20:21], v[20:21], v[22:23]
	v_add_f64_e32 v[18:19], v[18:19], v[26:27]
	s_wait_loadcnt_dscnt 0x100
	v_mul_f64_e32 v[22:23], v[2:3], v[12:13]
	v_mul_f64_e32 v[12:13], v[4:5], v[12:13]
	v_fma_f64 v[8:9], v[8:9], v[165:166], v[24:25]
	v_fma_f64 v[6:7], v[6:7], v[165:166], -v[28:29]
	v_add_f64_e32 v[20:21], v[20:21], v[30:31]
	v_add_f64_e32 v[18:19], v[18:19], v[32:33]
	v_fma_f64 v[4:5], v[4:5], v[10:11], v[22:23]
	v_fma_f64 v[2:3], v[2:3], v[10:11], -v[12:13]
	s_delay_alu instid0(VALU_DEP_4) | instskip(NEXT) | instid1(VALU_DEP_4)
	v_add_f64_e32 v[8:9], v[20:21], v[8:9]
	v_add_f64_e32 v[6:7], v[18:19], v[6:7]
	s_delay_alu instid0(VALU_DEP_2) | instskip(NEXT) | instid1(VALU_DEP_2)
	v_add_f64_e32 v[4:5], v[8:9], v[4:5]
	v_add_f64_e32 v[2:3], v[6:7], v[2:3]
	s_wait_loadcnt 0x0
	s_delay_alu instid0(VALU_DEP_2) | instskip(NEXT) | instid1(VALU_DEP_2)
	v_add_f64_e64 v[4:5], v[16:17], -v[4:5]
	v_add_f64_e64 v[2:3], v[14:15], -v[2:3]
	scratch_store_b128 off, v[2:5], off offset:288
	v_cmpx_lt_u32_e32 16, v0
	s_cbranch_execz .LBB124_359
; %bb.358:
	scratch_load_b128 v[5:8], off, s60
	v_dual_mov_b32 v2, v1 :: v_dual_mov_b32 v3, v1
	v_mov_b32_e32 v4, v1
	scratch_store_b128 off, v[1:4], off offset:272
	s_wait_loadcnt 0x0
	ds_store_b128 v164, v[5:8]
.LBB124_359:
	s_wait_alu 0xfffe
	s_or_b32 exec_lo, exec_lo, s0
	s_wait_storecnt_dscnt 0x0
	s_barrier_signal -1
	s_barrier_wait -1
	global_inv scope:SCOPE_SE
	s_clause 0x7
	scratch_load_b128 v[2:5], off, off offset:288
	scratch_load_b128 v[6:9], off, off offset:304
	;; [unrolled: 1-line block ×8, first 2 shown]
	ds_load_b128 v[38:41], v1 offset:1248
	ds_load_b128 v[165:168], v1 offset:1264
	s_clause 0x1
	scratch_load_b128 v[34:37], off, off offset:416
	scratch_load_b128 v[169:172], off, off offset:432
	s_mov_b32 s0, exec_lo
	s_wait_loadcnt_dscnt 0x901
	v_mul_f64_e32 v[173:174], v[40:41], v[4:5]
	v_mul_f64_e32 v[4:5], v[38:39], v[4:5]
	s_wait_loadcnt_dscnt 0x800
	v_mul_f64_e32 v[175:176], v[165:166], v[8:9]
	v_mul_f64_e32 v[8:9], v[167:168], v[8:9]
	s_delay_alu instid0(VALU_DEP_4) | instskip(NEXT) | instid1(VALU_DEP_4)
	v_fma_f64 v[173:174], v[38:39], v[2:3], -v[173:174]
	v_fma_f64 v[177:178], v[40:41], v[2:3], v[4:5]
	ds_load_b128 v[2:5], v1 offset:1280
	scratch_load_b128 v[38:41], off, off offset:448
	v_fma_f64 v[175:176], v[167:168], v[6:7], v[175:176]
	v_fma_f64 v[181:182], v[165:166], v[6:7], -v[8:9]
	ds_load_b128 v[6:9], v1 offset:1296
	scratch_load_b128 v[165:168], off, off offset:464
	s_wait_loadcnt_dscnt 0x901
	v_mul_f64_e32 v[179:180], v[2:3], v[12:13]
	v_mul_f64_e32 v[12:13], v[4:5], v[12:13]
	s_wait_loadcnt_dscnt 0x800
	v_mul_f64_e32 v[183:184], v[6:7], v[16:17]
	v_mul_f64_e32 v[16:17], v[8:9], v[16:17]
	v_add_f64_e32 v[173:174], 0, v[173:174]
	v_add_f64_e32 v[177:178], 0, v[177:178]
	v_fma_f64 v[179:180], v[4:5], v[10:11], v[179:180]
	v_fma_f64 v[185:186], v[2:3], v[10:11], -v[12:13]
	ds_load_b128 v[2:5], v1 offset:1312
	scratch_load_b128 v[10:13], off, off offset:480
	v_add_f64_e32 v[173:174], v[173:174], v[181:182]
	v_add_f64_e32 v[175:176], v[177:178], v[175:176]
	v_fma_f64 v[181:182], v[8:9], v[14:15], v[183:184]
	v_fma_f64 v[183:184], v[6:7], v[14:15], -v[16:17]
	ds_load_b128 v[6:9], v1 offset:1328
	scratch_load_b128 v[14:17], off, off offset:496
	s_wait_loadcnt_dscnt 0x901
	v_mul_f64_e32 v[177:178], v[2:3], v[20:21]
	v_mul_f64_e32 v[20:21], v[4:5], v[20:21]
	v_add_f64_e32 v[173:174], v[173:174], v[185:186]
	v_add_f64_e32 v[175:176], v[175:176], v[179:180]
	s_wait_loadcnt_dscnt 0x800
	v_mul_f64_e32 v[179:180], v[6:7], v[24:25]
	v_mul_f64_e32 v[24:25], v[8:9], v[24:25]
	v_fma_f64 v[177:178], v[4:5], v[18:19], v[177:178]
	v_fma_f64 v[185:186], v[2:3], v[18:19], -v[20:21]
	ds_load_b128 v[2:5], v1 offset:1344
	scratch_load_b128 v[18:21], off, off offset:512
	v_add_f64_e32 v[173:174], v[173:174], v[183:184]
	v_add_f64_e32 v[175:176], v[175:176], v[181:182]
	v_fma_f64 v[179:180], v[8:9], v[22:23], v[179:180]
	v_fma_f64 v[183:184], v[6:7], v[22:23], -v[24:25]
	ds_load_b128 v[6:9], v1 offset:1360
	s_wait_loadcnt_dscnt 0x801
	v_mul_f64_e32 v[181:182], v[2:3], v[28:29]
	v_mul_f64_e32 v[28:29], v[4:5], v[28:29]
	scratch_load_b128 v[22:25], off, off offset:528
	v_add_f64_e32 v[173:174], v[173:174], v[185:186]
	v_add_f64_e32 v[175:176], v[175:176], v[177:178]
	s_wait_loadcnt_dscnt 0x800
	v_mul_f64_e32 v[177:178], v[6:7], v[32:33]
	v_mul_f64_e32 v[32:33], v[8:9], v[32:33]
	v_fma_f64 v[181:182], v[4:5], v[26:27], v[181:182]
	v_fma_f64 v[185:186], v[2:3], v[26:27], -v[28:29]
	ds_load_b128 v[2:5], v1 offset:1376
	scratch_load_b128 v[26:29], off, off offset:544
	v_add_f64_e32 v[173:174], v[173:174], v[183:184]
	v_add_f64_e32 v[175:176], v[175:176], v[179:180]
	v_fma_f64 v[177:178], v[8:9], v[30:31], v[177:178]
	v_fma_f64 v[183:184], v[6:7], v[30:31], -v[32:33]
	ds_load_b128 v[6:9], v1 offset:1392
	s_wait_loadcnt_dscnt 0x801
	v_mul_f64_e32 v[179:180], v[2:3], v[36:37]
	v_mul_f64_e32 v[36:37], v[4:5], v[36:37]
	scratch_load_b128 v[30:33], off, off offset:560
	v_add_f64_e32 v[173:174], v[173:174], v[185:186]
	v_add_f64_e32 v[175:176], v[175:176], v[181:182]
	s_wait_loadcnt_dscnt 0x800
	v_mul_f64_e32 v[181:182], v[6:7], v[171:172]
	v_mul_f64_e32 v[171:172], v[8:9], v[171:172]
	v_fma_f64 v[179:180], v[4:5], v[34:35], v[179:180]
	v_fma_f64 v[185:186], v[2:3], v[34:35], -v[36:37]
	ds_load_b128 v[2:5], v1 offset:1408
	scratch_load_b128 v[34:37], off, off offset:576
	v_add_f64_e32 v[173:174], v[173:174], v[183:184]
	v_add_f64_e32 v[175:176], v[175:176], v[177:178]
	v_fma_f64 v[181:182], v[8:9], v[169:170], v[181:182]
	v_fma_f64 v[183:184], v[6:7], v[169:170], -v[171:172]
	ds_load_b128 v[6:9], v1 offset:1424
	scratch_load_b128 v[169:172], off, off offset:592
	s_wait_loadcnt_dscnt 0x901
	v_mul_f64_e32 v[177:178], v[2:3], v[40:41]
	v_mul_f64_e32 v[40:41], v[4:5], v[40:41]
	v_add_f64_e32 v[173:174], v[173:174], v[185:186]
	v_add_f64_e32 v[175:176], v[175:176], v[179:180]
	s_wait_loadcnt_dscnt 0x800
	v_mul_f64_e32 v[179:180], v[6:7], v[167:168]
	v_mul_f64_e32 v[167:168], v[8:9], v[167:168]
	v_fma_f64 v[177:178], v[4:5], v[38:39], v[177:178]
	v_fma_f64 v[185:186], v[2:3], v[38:39], -v[40:41]
	ds_load_b128 v[2:5], v1 offset:1440
	scratch_load_b128 v[38:41], off, off offset:608
	v_add_f64_e32 v[173:174], v[173:174], v[183:184]
	v_add_f64_e32 v[175:176], v[175:176], v[181:182]
	v_fma_f64 v[179:180], v[8:9], v[165:166], v[179:180]
	v_fma_f64 v[183:184], v[6:7], v[165:166], -v[167:168]
	ds_load_b128 v[6:9], v1 offset:1456
	s_wait_loadcnt_dscnt 0x801
	v_mul_f64_e32 v[181:182], v[2:3], v[12:13]
	v_mul_f64_e32 v[12:13], v[4:5], v[12:13]
	scratch_load_b128 v[165:168], off, off offset:624
	v_add_f64_e32 v[173:174], v[173:174], v[185:186]
	v_add_f64_e32 v[175:176], v[175:176], v[177:178]
	s_wait_loadcnt_dscnt 0x800
	v_mul_f64_e32 v[177:178], v[6:7], v[16:17]
	v_mul_f64_e32 v[16:17], v[8:9], v[16:17]
	v_fma_f64 v[181:182], v[4:5], v[10:11], v[181:182]
	v_fma_f64 v[185:186], v[2:3], v[10:11], -v[12:13]
	ds_load_b128 v[2:5], v1 offset:1472
	scratch_load_b128 v[10:13], off, off offset:640
	v_add_f64_e32 v[173:174], v[173:174], v[183:184]
	v_add_f64_e32 v[175:176], v[175:176], v[179:180]
	v_fma_f64 v[177:178], v[8:9], v[14:15], v[177:178]
	v_fma_f64 v[183:184], v[6:7], v[14:15], -v[16:17]
	ds_load_b128 v[6:9], v1 offset:1488
	s_wait_loadcnt_dscnt 0x801
	v_mul_f64_e32 v[179:180], v[2:3], v[20:21]
	v_mul_f64_e32 v[20:21], v[4:5], v[20:21]
	scratch_load_b128 v[14:17], off, off offset:656
	;; [unrolled: 18-line block ×12, first 2 shown]
	v_add_f64_e32 v[173:174], v[173:174], v[185:186]
	v_add_f64_e32 v[175:176], v[175:176], v[179:180]
	s_wait_loadcnt_dscnt 0x800
	v_mul_f64_e32 v[179:180], v[6:7], v[24:25]
	v_mul_f64_e32 v[24:25], v[8:9], v[24:25]
	v_fma_f64 v[177:178], v[4:5], v[18:19], v[177:178]
	v_fma_f64 v[18:19], v[2:3], v[18:19], -v[20:21]
	ds_load_b128 v[2:5], v1 offset:1824
	v_add_f64_e32 v[20:21], v[173:174], v[183:184]
	v_add_f64_e32 v[173:174], v[175:176], v[181:182]
	v_fma_f64 v[179:180], v[8:9], v[22:23], v[179:180]
	v_fma_f64 v[22:23], v[6:7], v[22:23], -v[24:25]
	ds_load_b128 v[6:9], v1 offset:1840
	s_wait_loadcnt_dscnt 0x701
	v_mul_f64_e32 v[175:176], v[2:3], v[28:29]
	v_mul_f64_e32 v[28:29], v[4:5], v[28:29]
	v_add_f64_e32 v[18:19], v[20:21], v[18:19]
	v_add_f64_e32 v[20:21], v[173:174], v[177:178]
	s_delay_alu instid0(VALU_DEP_4) | instskip(NEXT) | instid1(VALU_DEP_4)
	v_fma_f64 v[173:174], v[4:5], v[26:27], v[175:176]
	v_fma_f64 v[26:27], v[2:3], v[26:27], -v[28:29]
	ds_load_b128 v[2:5], v1 offset:1856
	v_add_f64_e32 v[22:23], v[18:19], v[22:23]
	v_add_f64_e32 v[28:29], v[20:21], v[179:180]
	scratch_load_b128 v[18:21], off, off offset:272
	s_wait_loadcnt_dscnt 0x701
	v_mul_f64_e32 v[24:25], v[6:7], v[32:33]
	v_mul_f64_e32 v[32:33], v[8:9], v[32:33]
	v_add_f64_e32 v[22:23], v[22:23], v[26:27]
	v_add_f64_e32 v[26:27], v[28:29], v[173:174]
	s_delay_alu instid0(VALU_DEP_4) | instskip(NEXT) | instid1(VALU_DEP_4)
	v_fma_f64 v[24:25], v[8:9], v[30:31], v[24:25]
	v_fma_f64 v[30:31], v[6:7], v[30:31], -v[32:33]
	ds_load_b128 v[6:9], v1 offset:1872
	s_wait_loadcnt_dscnt 0x601
	v_mul_f64_e32 v[175:176], v[2:3], v[36:37]
	v_mul_f64_e32 v[36:37], v[4:5], v[36:37]
	s_wait_loadcnt_dscnt 0x500
	v_mul_f64_e32 v[28:29], v[6:7], v[171:172]
	v_mul_f64_e32 v[32:33], v[8:9], v[171:172]
	v_add_f64_e32 v[24:25], v[26:27], v[24:25]
	v_add_f64_e32 v[22:23], v[22:23], v[30:31]
	v_fma_f64 v[171:172], v[4:5], v[34:35], v[175:176]
	v_fma_f64 v[34:35], v[2:3], v[34:35], -v[36:37]
	ds_load_b128 v[2:5], v1 offset:1888
	v_fma_f64 v[28:29], v[8:9], v[169:170], v[28:29]
	v_fma_f64 v[32:33], v[6:7], v[169:170], -v[32:33]
	ds_load_b128 v[6:9], v1 offset:1904
	s_wait_loadcnt_dscnt 0x401
	v_mul_f64_e32 v[26:27], v[2:3], v[40:41]
	v_mul_f64_e32 v[30:31], v[4:5], v[40:41]
	v_add_f64_e32 v[24:25], v[24:25], v[171:172]
	v_add_f64_e32 v[22:23], v[22:23], v[34:35]
	s_wait_loadcnt_dscnt 0x300
	v_mul_f64_e32 v[34:35], v[6:7], v[167:168]
	v_mul_f64_e32 v[36:37], v[8:9], v[167:168]
	v_fma_f64 v[26:27], v[4:5], v[38:39], v[26:27]
	v_fma_f64 v[30:31], v[2:3], v[38:39], -v[30:31]
	ds_load_b128 v[2:5], v1 offset:1920
	v_add_f64_e32 v[24:25], v[24:25], v[28:29]
	v_add_f64_e32 v[22:23], v[22:23], v[32:33]
	v_fma_f64 v[32:33], v[8:9], v[165:166], v[34:35]
	v_fma_f64 v[34:35], v[6:7], v[165:166], -v[36:37]
	ds_load_b128 v[6:9], v1 offset:1936
	s_wait_loadcnt_dscnt 0x201
	v_mul_f64_e32 v[28:29], v[2:3], v[12:13]
	v_mul_f64_e32 v[12:13], v[4:5], v[12:13]
	v_add_f64_e32 v[24:25], v[24:25], v[26:27]
	v_add_f64_e32 v[22:23], v[22:23], v[30:31]
	s_wait_loadcnt_dscnt 0x100
	v_mul_f64_e32 v[26:27], v[6:7], v[16:17]
	v_mul_f64_e32 v[16:17], v[8:9], v[16:17]
	v_fma_f64 v[4:5], v[4:5], v[10:11], v[28:29]
	v_fma_f64 v[1:2], v[2:3], v[10:11], -v[12:13]
	v_add_f64_e32 v[12:13], v[24:25], v[32:33]
	v_add_f64_e32 v[10:11], v[22:23], v[34:35]
	v_fma_f64 v[8:9], v[8:9], v[14:15], v[26:27]
	v_fma_f64 v[6:7], v[6:7], v[14:15], -v[16:17]
	s_delay_alu instid0(VALU_DEP_4) | instskip(NEXT) | instid1(VALU_DEP_4)
	v_add_f64_e32 v[3:4], v[12:13], v[4:5]
	v_add_f64_e32 v[1:2], v[10:11], v[1:2]
	s_delay_alu instid0(VALU_DEP_2) | instskip(NEXT) | instid1(VALU_DEP_2)
	v_add_f64_e32 v[3:4], v[3:4], v[8:9]
	v_add_f64_e32 v[1:2], v[1:2], v[6:7]
	s_wait_loadcnt 0x0
	s_delay_alu instid0(VALU_DEP_2) | instskip(NEXT) | instid1(VALU_DEP_2)
	v_add_f64_e64 v[3:4], v[20:21], -v[3:4]
	v_add_f64_e64 v[1:2], v[18:19], -v[1:2]
	scratch_store_b128 off, v[1:4], off offset:272
	v_cmpx_lt_u32_e32 15, v0
	s_cbranch_execz .LBB124_361
; %bb.360:
	scratch_load_b128 v[1:4], off, s61
	v_mov_b32_e32 v5, 0
	s_delay_alu instid0(VALU_DEP_1)
	v_dual_mov_b32 v6, v5 :: v_dual_mov_b32 v7, v5
	v_mov_b32_e32 v8, v5
	scratch_store_b128 off, v[5:8], off offset:256
	s_wait_loadcnt 0x0
	ds_store_b128 v164, v[1:4]
.LBB124_361:
	s_wait_alu 0xfffe
	s_or_b32 exec_lo, exec_lo, s0
	s_wait_storecnt_dscnt 0x0
	s_barrier_signal -1
	s_barrier_wait -1
	global_inv scope:SCOPE_SE
	s_clause 0x7
	scratch_load_b128 v[2:5], off, off offset:272
	scratch_load_b128 v[6:9], off, off offset:288
	;; [unrolled: 1-line block ×8, first 2 shown]
	v_mov_b32_e32 v1, 0
	s_clause 0x1
	scratch_load_b128 v[34:37], off, off offset:400
	scratch_load_b128 v[169:172], off, off offset:416
	s_mov_b32 s0, exec_lo
	ds_load_b128 v[38:41], v1 offset:1232
	ds_load_b128 v[165:168], v1 offset:1248
	s_wait_loadcnt_dscnt 0x901
	v_mul_f64_e32 v[173:174], v[40:41], v[4:5]
	v_mul_f64_e32 v[4:5], v[38:39], v[4:5]
	s_wait_loadcnt_dscnt 0x800
	v_mul_f64_e32 v[175:176], v[165:166], v[8:9]
	v_mul_f64_e32 v[8:9], v[167:168], v[8:9]
	s_delay_alu instid0(VALU_DEP_4) | instskip(NEXT) | instid1(VALU_DEP_4)
	v_fma_f64 v[173:174], v[38:39], v[2:3], -v[173:174]
	v_fma_f64 v[177:178], v[40:41], v[2:3], v[4:5]
	ds_load_b128 v[2:5], v1 offset:1264
	scratch_load_b128 v[38:41], off, off offset:432
	v_fma_f64 v[175:176], v[167:168], v[6:7], v[175:176]
	v_fma_f64 v[181:182], v[165:166], v[6:7], -v[8:9]
	ds_load_b128 v[6:9], v1 offset:1280
	scratch_load_b128 v[165:168], off, off offset:448
	s_wait_loadcnt_dscnt 0x901
	v_mul_f64_e32 v[179:180], v[2:3], v[12:13]
	v_mul_f64_e32 v[12:13], v[4:5], v[12:13]
	s_wait_loadcnt_dscnt 0x800
	v_mul_f64_e32 v[183:184], v[6:7], v[16:17]
	v_mul_f64_e32 v[16:17], v[8:9], v[16:17]
	v_add_f64_e32 v[173:174], 0, v[173:174]
	v_add_f64_e32 v[177:178], 0, v[177:178]
	v_fma_f64 v[179:180], v[4:5], v[10:11], v[179:180]
	v_fma_f64 v[185:186], v[2:3], v[10:11], -v[12:13]
	ds_load_b128 v[2:5], v1 offset:1296
	scratch_load_b128 v[10:13], off, off offset:464
	v_add_f64_e32 v[173:174], v[173:174], v[181:182]
	v_add_f64_e32 v[175:176], v[177:178], v[175:176]
	v_fma_f64 v[181:182], v[8:9], v[14:15], v[183:184]
	v_fma_f64 v[183:184], v[6:7], v[14:15], -v[16:17]
	ds_load_b128 v[6:9], v1 offset:1312
	scratch_load_b128 v[14:17], off, off offset:480
	s_wait_loadcnt_dscnt 0x901
	v_mul_f64_e32 v[177:178], v[2:3], v[20:21]
	v_mul_f64_e32 v[20:21], v[4:5], v[20:21]
	v_add_f64_e32 v[173:174], v[173:174], v[185:186]
	v_add_f64_e32 v[175:176], v[175:176], v[179:180]
	s_wait_loadcnt_dscnt 0x800
	v_mul_f64_e32 v[179:180], v[6:7], v[24:25]
	v_mul_f64_e32 v[24:25], v[8:9], v[24:25]
	v_fma_f64 v[177:178], v[4:5], v[18:19], v[177:178]
	v_fma_f64 v[185:186], v[2:3], v[18:19], -v[20:21]
	ds_load_b128 v[2:5], v1 offset:1328
	scratch_load_b128 v[18:21], off, off offset:496
	v_add_f64_e32 v[173:174], v[173:174], v[183:184]
	v_add_f64_e32 v[175:176], v[175:176], v[181:182]
	v_fma_f64 v[179:180], v[8:9], v[22:23], v[179:180]
	v_fma_f64 v[183:184], v[6:7], v[22:23], -v[24:25]
	ds_load_b128 v[6:9], v1 offset:1344
	s_wait_loadcnt_dscnt 0x801
	v_mul_f64_e32 v[181:182], v[2:3], v[28:29]
	v_mul_f64_e32 v[28:29], v[4:5], v[28:29]
	scratch_load_b128 v[22:25], off, off offset:512
	v_add_f64_e32 v[173:174], v[173:174], v[185:186]
	v_add_f64_e32 v[175:176], v[175:176], v[177:178]
	s_wait_loadcnt_dscnt 0x800
	v_mul_f64_e32 v[177:178], v[6:7], v[32:33]
	v_mul_f64_e32 v[32:33], v[8:9], v[32:33]
	v_fma_f64 v[181:182], v[4:5], v[26:27], v[181:182]
	v_fma_f64 v[185:186], v[2:3], v[26:27], -v[28:29]
	ds_load_b128 v[2:5], v1 offset:1360
	scratch_load_b128 v[26:29], off, off offset:528
	v_add_f64_e32 v[173:174], v[173:174], v[183:184]
	v_add_f64_e32 v[175:176], v[175:176], v[179:180]
	v_fma_f64 v[177:178], v[8:9], v[30:31], v[177:178]
	v_fma_f64 v[183:184], v[6:7], v[30:31], -v[32:33]
	ds_load_b128 v[6:9], v1 offset:1376
	s_wait_loadcnt_dscnt 0x801
	v_mul_f64_e32 v[179:180], v[2:3], v[36:37]
	v_mul_f64_e32 v[36:37], v[4:5], v[36:37]
	scratch_load_b128 v[30:33], off, off offset:544
	v_add_f64_e32 v[173:174], v[173:174], v[185:186]
	v_add_f64_e32 v[175:176], v[175:176], v[181:182]
	s_wait_loadcnt_dscnt 0x800
	v_mul_f64_e32 v[181:182], v[6:7], v[171:172]
	v_mul_f64_e32 v[171:172], v[8:9], v[171:172]
	v_fma_f64 v[179:180], v[4:5], v[34:35], v[179:180]
	v_fma_f64 v[185:186], v[2:3], v[34:35], -v[36:37]
	ds_load_b128 v[2:5], v1 offset:1392
	scratch_load_b128 v[34:37], off, off offset:560
	v_add_f64_e32 v[173:174], v[173:174], v[183:184]
	v_add_f64_e32 v[175:176], v[175:176], v[177:178]
	v_fma_f64 v[181:182], v[8:9], v[169:170], v[181:182]
	v_fma_f64 v[183:184], v[6:7], v[169:170], -v[171:172]
	ds_load_b128 v[6:9], v1 offset:1408
	scratch_load_b128 v[169:172], off, off offset:576
	s_wait_loadcnt_dscnt 0x901
	v_mul_f64_e32 v[177:178], v[2:3], v[40:41]
	v_mul_f64_e32 v[40:41], v[4:5], v[40:41]
	v_add_f64_e32 v[173:174], v[173:174], v[185:186]
	v_add_f64_e32 v[175:176], v[175:176], v[179:180]
	s_wait_loadcnt_dscnt 0x800
	v_mul_f64_e32 v[179:180], v[6:7], v[167:168]
	v_mul_f64_e32 v[167:168], v[8:9], v[167:168]
	v_fma_f64 v[177:178], v[4:5], v[38:39], v[177:178]
	v_fma_f64 v[185:186], v[2:3], v[38:39], -v[40:41]
	ds_load_b128 v[2:5], v1 offset:1424
	scratch_load_b128 v[38:41], off, off offset:592
	v_add_f64_e32 v[173:174], v[173:174], v[183:184]
	v_add_f64_e32 v[175:176], v[175:176], v[181:182]
	v_fma_f64 v[179:180], v[8:9], v[165:166], v[179:180]
	v_fma_f64 v[183:184], v[6:7], v[165:166], -v[167:168]
	ds_load_b128 v[6:9], v1 offset:1440
	s_wait_loadcnt_dscnt 0x801
	v_mul_f64_e32 v[181:182], v[2:3], v[12:13]
	v_mul_f64_e32 v[12:13], v[4:5], v[12:13]
	scratch_load_b128 v[165:168], off, off offset:608
	v_add_f64_e32 v[173:174], v[173:174], v[185:186]
	v_add_f64_e32 v[175:176], v[175:176], v[177:178]
	s_wait_loadcnt_dscnt 0x800
	v_mul_f64_e32 v[177:178], v[6:7], v[16:17]
	v_mul_f64_e32 v[16:17], v[8:9], v[16:17]
	v_fma_f64 v[181:182], v[4:5], v[10:11], v[181:182]
	v_fma_f64 v[185:186], v[2:3], v[10:11], -v[12:13]
	ds_load_b128 v[2:5], v1 offset:1456
	scratch_load_b128 v[10:13], off, off offset:624
	v_add_f64_e32 v[173:174], v[173:174], v[183:184]
	v_add_f64_e32 v[175:176], v[175:176], v[179:180]
	v_fma_f64 v[177:178], v[8:9], v[14:15], v[177:178]
	v_fma_f64 v[183:184], v[6:7], v[14:15], -v[16:17]
	ds_load_b128 v[6:9], v1 offset:1472
	s_wait_loadcnt_dscnt 0x801
	v_mul_f64_e32 v[179:180], v[2:3], v[20:21]
	v_mul_f64_e32 v[20:21], v[4:5], v[20:21]
	scratch_load_b128 v[14:17], off, off offset:640
	;; [unrolled: 18-line block ×12, first 2 shown]
	v_add_f64_e32 v[173:174], v[173:174], v[185:186]
	v_add_f64_e32 v[175:176], v[175:176], v[179:180]
	s_wait_loadcnt_dscnt 0x800
	v_mul_f64_e32 v[179:180], v[6:7], v[24:25]
	v_mul_f64_e32 v[24:25], v[8:9], v[24:25]
	v_fma_f64 v[177:178], v[4:5], v[18:19], v[177:178]
	v_fma_f64 v[185:186], v[2:3], v[18:19], -v[20:21]
	ds_load_b128 v[2:5], v1 offset:1808
	scratch_load_b128 v[18:21], off, off offset:976
	v_add_f64_e32 v[173:174], v[173:174], v[183:184]
	v_add_f64_e32 v[175:176], v[175:176], v[181:182]
	v_fma_f64 v[179:180], v[8:9], v[22:23], v[179:180]
	v_fma_f64 v[22:23], v[6:7], v[22:23], -v[24:25]
	ds_load_b128 v[6:9], v1 offset:1824
	s_wait_loadcnt_dscnt 0x801
	v_mul_f64_e32 v[181:182], v[2:3], v[28:29]
	v_mul_f64_e32 v[28:29], v[4:5], v[28:29]
	v_add_f64_e32 v[24:25], v[173:174], v[185:186]
	v_add_f64_e32 v[173:174], v[175:176], v[177:178]
	s_wait_loadcnt_dscnt 0x700
	v_mul_f64_e32 v[175:176], v[6:7], v[32:33]
	v_mul_f64_e32 v[32:33], v[8:9], v[32:33]
	v_fma_f64 v[177:178], v[4:5], v[26:27], v[181:182]
	v_fma_f64 v[26:27], v[2:3], v[26:27], -v[28:29]
	ds_load_b128 v[2:5], v1 offset:1840
	v_add_f64_e32 v[22:23], v[24:25], v[22:23]
	v_add_f64_e32 v[24:25], v[173:174], v[179:180]
	v_fma_f64 v[173:174], v[8:9], v[30:31], v[175:176]
	v_fma_f64 v[30:31], v[6:7], v[30:31], -v[32:33]
	ds_load_b128 v[6:9], v1 offset:1856
	s_wait_loadcnt_dscnt 0x500
	v_mul_f64_e32 v[175:176], v[6:7], v[171:172]
	v_mul_f64_e32 v[171:172], v[8:9], v[171:172]
	v_add_f64_e32 v[26:27], v[22:23], v[26:27]
	v_add_f64_e32 v[32:33], v[24:25], v[177:178]
	scratch_load_b128 v[22:25], off, off offset:256
	v_mul_f64_e32 v[28:29], v[2:3], v[36:37]
	v_mul_f64_e32 v[36:37], v[4:5], v[36:37]
	v_add_f64_e32 v[26:27], v[26:27], v[30:31]
	v_add_f64_e32 v[30:31], v[32:33], v[173:174]
	s_delay_alu instid0(VALU_DEP_4) | instskip(NEXT) | instid1(VALU_DEP_4)
	v_fma_f64 v[28:29], v[4:5], v[34:35], v[28:29]
	v_fma_f64 v[34:35], v[2:3], v[34:35], -v[36:37]
	ds_load_b128 v[2:5], v1 offset:1872
	s_wait_loadcnt_dscnt 0x500
	v_mul_f64_e32 v[32:33], v[2:3], v[40:41]
	v_mul_f64_e32 v[36:37], v[4:5], v[40:41]
	v_fma_f64 v[40:41], v[8:9], v[169:170], v[175:176]
	v_fma_f64 v[169:170], v[6:7], v[169:170], -v[171:172]
	ds_load_b128 v[6:9], v1 offset:1888
	v_add_f64_e32 v[28:29], v[30:31], v[28:29]
	v_add_f64_e32 v[26:27], v[26:27], v[34:35]
	v_fma_f64 v[32:33], v[4:5], v[38:39], v[32:33]
	v_fma_f64 v[36:37], v[2:3], v[38:39], -v[36:37]
	ds_load_b128 v[2:5], v1 offset:1904
	s_wait_loadcnt_dscnt 0x401
	v_mul_f64_e32 v[30:31], v[6:7], v[167:168]
	v_mul_f64_e32 v[34:35], v[8:9], v[167:168]
	v_add_f64_e32 v[28:29], v[28:29], v[40:41]
	v_add_f64_e32 v[26:27], v[26:27], v[169:170]
	s_wait_loadcnt_dscnt 0x300
	v_mul_f64_e32 v[38:39], v[2:3], v[12:13]
	v_mul_f64_e32 v[12:13], v[4:5], v[12:13]
	v_fma_f64 v[30:31], v[8:9], v[165:166], v[30:31]
	v_fma_f64 v[34:35], v[6:7], v[165:166], -v[34:35]
	ds_load_b128 v[6:9], v1 offset:1920
	v_add_f64_e32 v[28:29], v[28:29], v[32:33]
	v_add_f64_e32 v[26:27], v[26:27], v[36:37]
	v_fma_f64 v[36:37], v[4:5], v[10:11], v[38:39]
	v_fma_f64 v[10:11], v[2:3], v[10:11], -v[12:13]
	ds_load_b128 v[2:5], v1 offset:1936
	s_wait_loadcnt_dscnt 0x201
	v_mul_f64_e32 v[32:33], v[6:7], v[16:17]
	v_mul_f64_e32 v[16:17], v[8:9], v[16:17]
	v_add_f64_e32 v[12:13], v[26:27], v[34:35]
	v_add_f64_e32 v[26:27], v[28:29], v[30:31]
	s_wait_loadcnt_dscnt 0x100
	v_mul_f64_e32 v[28:29], v[2:3], v[20:21]
	v_mul_f64_e32 v[20:21], v[4:5], v[20:21]
	v_fma_f64 v[8:9], v[8:9], v[14:15], v[32:33]
	v_fma_f64 v[6:7], v[6:7], v[14:15], -v[16:17]
	v_add_f64_e32 v[10:11], v[12:13], v[10:11]
	v_add_f64_e32 v[12:13], v[26:27], v[36:37]
	v_fma_f64 v[4:5], v[4:5], v[18:19], v[28:29]
	v_fma_f64 v[2:3], v[2:3], v[18:19], -v[20:21]
	s_delay_alu instid0(VALU_DEP_4) | instskip(NEXT) | instid1(VALU_DEP_4)
	v_add_f64_e32 v[6:7], v[10:11], v[6:7]
	v_add_f64_e32 v[8:9], v[12:13], v[8:9]
	s_delay_alu instid0(VALU_DEP_2) | instskip(NEXT) | instid1(VALU_DEP_2)
	v_add_f64_e32 v[2:3], v[6:7], v[2:3]
	v_add_f64_e32 v[4:5], v[8:9], v[4:5]
	s_wait_loadcnt 0x0
	s_delay_alu instid0(VALU_DEP_2) | instskip(NEXT) | instid1(VALU_DEP_2)
	v_add_f64_e64 v[2:3], v[22:23], -v[2:3]
	v_add_f64_e64 v[4:5], v[24:25], -v[4:5]
	scratch_store_b128 off, v[2:5], off offset:256
	v_cmpx_lt_u32_e32 14, v0
	s_cbranch_execz .LBB124_363
; %bb.362:
	scratch_load_b128 v[5:8], off, s62
	v_dual_mov_b32 v2, v1 :: v_dual_mov_b32 v3, v1
	v_mov_b32_e32 v4, v1
	scratch_store_b128 off, v[1:4], off offset:240
	s_wait_loadcnt 0x0
	ds_store_b128 v164, v[5:8]
.LBB124_363:
	s_wait_alu 0xfffe
	s_or_b32 exec_lo, exec_lo, s0
	s_wait_storecnt_dscnt 0x0
	s_barrier_signal -1
	s_barrier_wait -1
	global_inv scope:SCOPE_SE
	s_clause 0x7
	scratch_load_b128 v[2:5], off, off offset:256
	scratch_load_b128 v[6:9], off, off offset:272
	;; [unrolled: 1-line block ×8, first 2 shown]
	ds_load_b128 v[38:41], v1 offset:1216
	ds_load_b128 v[165:168], v1 offset:1232
	s_clause 0x1
	scratch_load_b128 v[34:37], off, off offset:384
	scratch_load_b128 v[169:172], off, off offset:400
	s_mov_b32 s0, exec_lo
	s_wait_loadcnt_dscnt 0x901
	v_mul_f64_e32 v[173:174], v[40:41], v[4:5]
	v_mul_f64_e32 v[4:5], v[38:39], v[4:5]
	s_wait_loadcnt_dscnt 0x800
	v_mul_f64_e32 v[175:176], v[165:166], v[8:9]
	v_mul_f64_e32 v[8:9], v[167:168], v[8:9]
	s_delay_alu instid0(VALU_DEP_4) | instskip(NEXT) | instid1(VALU_DEP_4)
	v_fma_f64 v[173:174], v[38:39], v[2:3], -v[173:174]
	v_fma_f64 v[177:178], v[40:41], v[2:3], v[4:5]
	ds_load_b128 v[2:5], v1 offset:1248
	scratch_load_b128 v[38:41], off, off offset:416
	v_fma_f64 v[175:176], v[167:168], v[6:7], v[175:176]
	v_fma_f64 v[181:182], v[165:166], v[6:7], -v[8:9]
	ds_load_b128 v[6:9], v1 offset:1264
	scratch_load_b128 v[165:168], off, off offset:432
	s_wait_loadcnt_dscnt 0x901
	v_mul_f64_e32 v[179:180], v[2:3], v[12:13]
	v_mul_f64_e32 v[12:13], v[4:5], v[12:13]
	s_wait_loadcnt_dscnt 0x800
	v_mul_f64_e32 v[183:184], v[6:7], v[16:17]
	v_mul_f64_e32 v[16:17], v[8:9], v[16:17]
	v_add_f64_e32 v[173:174], 0, v[173:174]
	v_add_f64_e32 v[177:178], 0, v[177:178]
	v_fma_f64 v[179:180], v[4:5], v[10:11], v[179:180]
	v_fma_f64 v[185:186], v[2:3], v[10:11], -v[12:13]
	ds_load_b128 v[2:5], v1 offset:1280
	scratch_load_b128 v[10:13], off, off offset:448
	v_add_f64_e32 v[173:174], v[173:174], v[181:182]
	v_add_f64_e32 v[175:176], v[177:178], v[175:176]
	v_fma_f64 v[181:182], v[8:9], v[14:15], v[183:184]
	v_fma_f64 v[183:184], v[6:7], v[14:15], -v[16:17]
	ds_load_b128 v[6:9], v1 offset:1296
	scratch_load_b128 v[14:17], off, off offset:464
	s_wait_loadcnt_dscnt 0x901
	v_mul_f64_e32 v[177:178], v[2:3], v[20:21]
	v_mul_f64_e32 v[20:21], v[4:5], v[20:21]
	v_add_f64_e32 v[173:174], v[173:174], v[185:186]
	v_add_f64_e32 v[175:176], v[175:176], v[179:180]
	s_wait_loadcnt_dscnt 0x800
	v_mul_f64_e32 v[179:180], v[6:7], v[24:25]
	v_mul_f64_e32 v[24:25], v[8:9], v[24:25]
	v_fma_f64 v[177:178], v[4:5], v[18:19], v[177:178]
	v_fma_f64 v[185:186], v[2:3], v[18:19], -v[20:21]
	ds_load_b128 v[2:5], v1 offset:1312
	scratch_load_b128 v[18:21], off, off offset:480
	v_add_f64_e32 v[173:174], v[173:174], v[183:184]
	v_add_f64_e32 v[175:176], v[175:176], v[181:182]
	v_fma_f64 v[179:180], v[8:9], v[22:23], v[179:180]
	v_fma_f64 v[183:184], v[6:7], v[22:23], -v[24:25]
	ds_load_b128 v[6:9], v1 offset:1328
	s_wait_loadcnt_dscnt 0x801
	v_mul_f64_e32 v[181:182], v[2:3], v[28:29]
	v_mul_f64_e32 v[28:29], v[4:5], v[28:29]
	scratch_load_b128 v[22:25], off, off offset:496
	v_add_f64_e32 v[173:174], v[173:174], v[185:186]
	v_add_f64_e32 v[175:176], v[175:176], v[177:178]
	s_wait_loadcnt_dscnt 0x800
	v_mul_f64_e32 v[177:178], v[6:7], v[32:33]
	v_mul_f64_e32 v[32:33], v[8:9], v[32:33]
	v_fma_f64 v[181:182], v[4:5], v[26:27], v[181:182]
	v_fma_f64 v[185:186], v[2:3], v[26:27], -v[28:29]
	ds_load_b128 v[2:5], v1 offset:1344
	scratch_load_b128 v[26:29], off, off offset:512
	v_add_f64_e32 v[173:174], v[173:174], v[183:184]
	v_add_f64_e32 v[175:176], v[175:176], v[179:180]
	v_fma_f64 v[177:178], v[8:9], v[30:31], v[177:178]
	v_fma_f64 v[183:184], v[6:7], v[30:31], -v[32:33]
	ds_load_b128 v[6:9], v1 offset:1360
	s_wait_loadcnt_dscnt 0x801
	v_mul_f64_e32 v[179:180], v[2:3], v[36:37]
	v_mul_f64_e32 v[36:37], v[4:5], v[36:37]
	scratch_load_b128 v[30:33], off, off offset:528
	v_add_f64_e32 v[173:174], v[173:174], v[185:186]
	v_add_f64_e32 v[175:176], v[175:176], v[181:182]
	s_wait_loadcnt_dscnt 0x800
	v_mul_f64_e32 v[181:182], v[6:7], v[171:172]
	v_mul_f64_e32 v[171:172], v[8:9], v[171:172]
	v_fma_f64 v[179:180], v[4:5], v[34:35], v[179:180]
	v_fma_f64 v[185:186], v[2:3], v[34:35], -v[36:37]
	ds_load_b128 v[2:5], v1 offset:1376
	scratch_load_b128 v[34:37], off, off offset:544
	v_add_f64_e32 v[173:174], v[173:174], v[183:184]
	v_add_f64_e32 v[175:176], v[175:176], v[177:178]
	v_fma_f64 v[181:182], v[8:9], v[169:170], v[181:182]
	v_fma_f64 v[183:184], v[6:7], v[169:170], -v[171:172]
	ds_load_b128 v[6:9], v1 offset:1392
	scratch_load_b128 v[169:172], off, off offset:560
	s_wait_loadcnt_dscnt 0x901
	v_mul_f64_e32 v[177:178], v[2:3], v[40:41]
	v_mul_f64_e32 v[40:41], v[4:5], v[40:41]
	v_add_f64_e32 v[173:174], v[173:174], v[185:186]
	v_add_f64_e32 v[175:176], v[175:176], v[179:180]
	s_wait_loadcnt_dscnt 0x800
	v_mul_f64_e32 v[179:180], v[6:7], v[167:168]
	v_mul_f64_e32 v[167:168], v[8:9], v[167:168]
	v_fma_f64 v[177:178], v[4:5], v[38:39], v[177:178]
	v_fma_f64 v[185:186], v[2:3], v[38:39], -v[40:41]
	ds_load_b128 v[2:5], v1 offset:1408
	scratch_load_b128 v[38:41], off, off offset:576
	v_add_f64_e32 v[173:174], v[173:174], v[183:184]
	v_add_f64_e32 v[175:176], v[175:176], v[181:182]
	v_fma_f64 v[179:180], v[8:9], v[165:166], v[179:180]
	v_fma_f64 v[183:184], v[6:7], v[165:166], -v[167:168]
	ds_load_b128 v[6:9], v1 offset:1424
	s_wait_loadcnt_dscnt 0x801
	v_mul_f64_e32 v[181:182], v[2:3], v[12:13]
	v_mul_f64_e32 v[12:13], v[4:5], v[12:13]
	scratch_load_b128 v[165:168], off, off offset:592
	v_add_f64_e32 v[173:174], v[173:174], v[185:186]
	v_add_f64_e32 v[175:176], v[175:176], v[177:178]
	s_wait_loadcnt_dscnt 0x800
	v_mul_f64_e32 v[177:178], v[6:7], v[16:17]
	v_mul_f64_e32 v[16:17], v[8:9], v[16:17]
	v_fma_f64 v[181:182], v[4:5], v[10:11], v[181:182]
	v_fma_f64 v[185:186], v[2:3], v[10:11], -v[12:13]
	ds_load_b128 v[2:5], v1 offset:1440
	scratch_load_b128 v[10:13], off, off offset:608
	v_add_f64_e32 v[173:174], v[173:174], v[183:184]
	v_add_f64_e32 v[175:176], v[175:176], v[179:180]
	v_fma_f64 v[177:178], v[8:9], v[14:15], v[177:178]
	v_fma_f64 v[183:184], v[6:7], v[14:15], -v[16:17]
	ds_load_b128 v[6:9], v1 offset:1456
	s_wait_loadcnt_dscnt 0x801
	v_mul_f64_e32 v[179:180], v[2:3], v[20:21]
	v_mul_f64_e32 v[20:21], v[4:5], v[20:21]
	scratch_load_b128 v[14:17], off, off offset:624
	;; [unrolled: 18-line block ×13, first 2 shown]
	v_add_f64_e32 v[173:174], v[173:174], v[185:186]
	v_add_f64_e32 v[175:176], v[175:176], v[177:178]
	s_wait_loadcnt_dscnt 0x800
	v_mul_f64_e32 v[177:178], v[6:7], v[32:33]
	v_mul_f64_e32 v[32:33], v[8:9], v[32:33]
	v_fma_f64 v[181:182], v[4:5], v[26:27], v[181:182]
	v_fma_f64 v[26:27], v[2:3], v[26:27], -v[28:29]
	ds_load_b128 v[2:5], v1 offset:1824
	v_add_f64_e32 v[28:29], v[173:174], v[183:184]
	v_add_f64_e32 v[173:174], v[175:176], v[179:180]
	v_fma_f64 v[177:178], v[8:9], v[30:31], v[177:178]
	v_fma_f64 v[30:31], v[6:7], v[30:31], -v[32:33]
	ds_load_b128 v[6:9], v1 offset:1840
	s_wait_loadcnt_dscnt 0x701
	v_mul_f64_e32 v[175:176], v[2:3], v[36:37]
	v_mul_f64_e32 v[36:37], v[4:5], v[36:37]
	v_add_f64_e32 v[26:27], v[28:29], v[26:27]
	v_add_f64_e32 v[28:29], v[173:174], v[181:182]
	s_delay_alu instid0(VALU_DEP_4) | instskip(NEXT) | instid1(VALU_DEP_4)
	v_fma_f64 v[173:174], v[4:5], v[34:35], v[175:176]
	v_fma_f64 v[34:35], v[2:3], v[34:35], -v[36:37]
	ds_load_b128 v[2:5], v1 offset:1856
	v_add_f64_e32 v[30:31], v[26:27], v[30:31]
	v_add_f64_e32 v[36:37], v[28:29], v[177:178]
	scratch_load_b128 v[26:29], off, off offset:240
	s_wait_loadcnt_dscnt 0x701
	v_mul_f64_e32 v[32:33], v[6:7], v[171:172]
	v_mul_f64_e32 v[171:172], v[8:9], v[171:172]
	v_add_f64_e32 v[30:31], v[30:31], v[34:35]
	v_add_f64_e32 v[34:35], v[36:37], v[173:174]
	s_delay_alu instid0(VALU_DEP_4) | instskip(NEXT) | instid1(VALU_DEP_4)
	v_fma_f64 v[32:33], v[8:9], v[169:170], v[32:33]
	v_fma_f64 v[169:170], v[6:7], v[169:170], -v[171:172]
	ds_load_b128 v[6:9], v1 offset:1872
	s_wait_loadcnt_dscnt 0x601
	v_mul_f64_e32 v[175:176], v[2:3], v[40:41]
	v_mul_f64_e32 v[40:41], v[4:5], v[40:41]
	s_wait_loadcnt_dscnt 0x500
	v_mul_f64_e32 v[36:37], v[6:7], v[167:168]
	v_mul_f64_e32 v[167:168], v[8:9], v[167:168]
	v_add_f64_e32 v[32:33], v[34:35], v[32:33]
	v_add_f64_e32 v[30:31], v[30:31], v[169:170]
	v_fma_f64 v[171:172], v[4:5], v[38:39], v[175:176]
	v_fma_f64 v[38:39], v[2:3], v[38:39], -v[40:41]
	ds_load_b128 v[2:5], v1 offset:1888
	v_fma_f64 v[36:37], v[8:9], v[165:166], v[36:37]
	v_fma_f64 v[40:41], v[6:7], v[165:166], -v[167:168]
	ds_load_b128 v[6:9], v1 offset:1904
	s_wait_loadcnt_dscnt 0x401
	v_mul_f64_e32 v[34:35], v[2:3], v[12:13]
	v_mul_f64_e32 v[12:13], v[4:5], v[12:13]
	v_add_f64_e32 v[32:33], v[32:33], v[171:172]
	v_add_f64_e32 v[30:31], v[30:31], v[38:39]
	s_wait_loadcnt_dscnt 0x300
	v_mul_f64_e32 v[38:39], v[6:7], v[16:17]
	v_mul_f64_e32 v[16:17], v[8:9], v[16:17]
	v_fma_f64 v[34:35], v[4:5], v[10:11], v[34:35]
	v_fma_f64 v[10:11], v[2:3], v[10:11], -v[12:13]
	ds_load_b128 v[2:5], v1 offset:1920
	v_add_f64_e32 v[12:13], v[30:31], v[40:41]
	v_add_f64_e32 v[30:31], v[32:33], v[36:37]
	v_fma_f64 v[36:37], v[8:9], v[14:15], v[38:39]
	v_fma_f64 v[14:15], v[6:7], v[14:15], -v[16:17]
	ds_load_b128 v[6:9], v1 offset:1936
	s_wait_loadcnt_dscnt 0x201
	v_mul_f64_e32 v[32:33], v[2:3], v[20:21]
	v_mul_f64_e32 v[20:21], v[4:5], v[20:21]
	s_wait_loadcnt_dscnt 0x100
	v_mul_f64_e32 v[16:17], v[6:7], v[24:25]
	v_mul_f64_e32 v[24:25], v[8:9], v[24:25]
	v_add_f64_e32 v[10:11], v[12:13], v[10:11]
	v_add_f64_e32 v[12:13], v[30:31], v[34:35]
	v_fma_f64 v[4:5], v[4:5], v[18:19], v[32:33]
	v_fma_f64 v[1:2], v[2:3], v[18:19], -v[20:21]
	v_fma_f64 v[8:9], v[8:9], v[22:23], v[16:17]
	v_fma_f64 v[6:7], v[6:7], v[22:23], -v[24:25]
	v_add_f64_e32 v[10:11], v[10:11], v[14:15]
	v_add_f64_e32 v[12:13], v[12:13], v[36:37]
	s_delay_alu instid0(VALU_DEP_2) | instskip(NEXT) | instid1(VALU_DEP_2)
	v_add_f64_e32 v[1:2], v[10:11], v[1:2]
	v_add_f64_e32 v[3:4], v[12:13], v[4:5]
	s_delay_alu instid0(VALU_DEP_2) | instskip(NEXT) | instid1(VALU_DEP_2)
	v_add_f64_e32 v[1:2], v[1:2], v[6:7]
	v_add_f64_e32 v[3:4], v[3:4], v[8:9]
	s_wait_loadcnt 0x0
	s_delay_alu instid0(VALU_DEP_2) | instskip(NEXT) | instid1(VALU_DEP_2)
	v_add_f64_e64 v[1:2], v[26:27], -v[1:2]
	v_add_f64_e64 v[3:4], v[28:29], -v[3:4]
	scratch_store_b128 off, v[1:4], off offset:240
	v_cmpx_lt_u32_e32 13, v0
	s_cbranch_execz .LBB124_365
; %bb.364:
	scratch_load_b128 v[1:4], off, s63
	v_mov_b32_e32 v5, 0
	s_delay_alu instid0(VALU_DEP_1)
	v_dual_mov_b32 v6, v5 :: v_dual_mov_b32 v7, v5
	v_mov_b32_e32 v8, v5
	scratch_store_b128 off, v[5:8], off offset:224
	s_wait_loadcnt 0x0
	ds_store_b128 v164, v[1:4]
.LBB124_365:
	s_wait_alu 0xfffe
	s_or_b32 exec_lo, exec_lo, s0
	s_wait_storecnt_dscnt 0x0
	s_barrier_signal -1
	s_barrier_wait -1
	global_inv scope:SCOPE_SE
	s_clause 0x7
	scratch_load_b128 v[2:5], off, off offset:240
	scratch_load_b128 v[6:9], off, off offset:256
	;; [unrolled: 1-line block ×8, first 2 shown]
	v_mov_b32_e32 v1, 0
	s_clause 0x1
	scratch_load_b128 v[34:37], off, off offset:368
	scratch_load_b128 v[169:172], off, off offset:384
	s_mov_b32 s0, exec_lo
	ds_load_b128 v[38:41], v1 offset:1200
	ds_load_b128 v[165:168], v1 offset:1216
	s_wait_loadcnt_dscnt 0x901
	v_mul_f64_e32 v[173:174], v[40:41], v[4:5]
	v_mul_f64_e32 v[4:5], v[38:39], v[4:5]
	s_wait_loadcnt_dscnt 0x800
	v_mul_f64_e32 v[175:176], v[165:166], v[8:9]
	v_mul_f64_e32 v[8:9], v[167:168], v[8:9]
	s_delay_alu instid0(VALU_DEP_4) | instskip(NEXT) | instid1(VALU_DEP_4)
	v_fma_f64 v[173:174], v[38:39], v[2:3], -v[173:174]
	v_fma_f64 v[177:178], v[40:41], v[2:3], v[4:5]
	ds_load_b128 v[2:5], v1 offset:1232
	scratch_load_b128 v[38:41], off, off offset:400
	v_fma_f64 v[175:176], v[167:168], v[6:7], v[175:176]
	v_fma_f64 v[181:182], v[165:166], v[6:7], -v[8:9]
	ds_load_b128 v[6:9], v1 offset:1248
	scratch_load_b128 v[165:168], off, off offset:416
	s_wait_loadcnt_dscnt 0x901
	v_mul_f64_e32 v[179:180], v[2:3], v[12:13]
	v_mul_f64_e32 v[12:13], v[4:5], v[12:13]
	s_wait_loadcnt_dscnt 0x800
	v_mul_f64_e32 v[183:184], v[6:7], v[16:17]
	v_mul_f64_e32 v[16:17], v[8:9], v[16:17]
	v_add_f64_e32 v[173:174], 0, v[173:174]
	v_add_f64_e32 v[177:178], 0, v[177:178]
	v_fma_f64 v[179:180], v[4:5], v[10:11], v[179:180]
	v_fma_f64 v[185:186], v[2:3], v[10:11], -v[12:13]
	ds_load_b128 v[2:5], v1 offset:1264
	scratch_load_b128 v[10:13], off, off offset:432
	v_add_f64_e32 v[173:174], v[173:174], v[181:182]
	v_add_f64_e32 v[175:176], v[177:178], v[175:176]
	v_fma_f64 v[181:182], v[8:9], v[14:15], v[183:184]
	v_fma_f64 v[183:184], v[6:7], v[14:15], -v[16:17]
	ds_load_b128 v[6:9], v1 offset:1280
	scratch_load_b128 v[14:17], off, off offset:448
	s_wait_loadcnt_dscnt 0x901
	v_mul_f64_e32 v[177:178], v[2:3], v[20:21]
	v_mul_f64_e32 v[20:21], v[4:5], v[20:21]
	v_add_f64_e32 v[173:174], v[173:174], v[185:186]
	v_add_f64_e32 v[175:176], v[175:176], v[179:180]
	s_wait_loadcnt_dscnt 0x800
	v_mul_f64_e32 v[179:180], v[6:7], v[24:25]
	v_mul_f64_e32 v[24:25], v[8:9], v[24:25]
	v_fma_f64 v[177:178], v[4:5], v[18:19], v[177:178]
	v_fma_f64 v[185:186], v[2:3], v[18:19], -v[20:21]
	ds_load_b128 v[2:5], v1 offset:1296
	scratch_load_b128 v[18:21], off, off offset:464
	v_add_f64_e32 v[173:174], v[173:174], v[183:184]
	v_add_f64_e32 v[175:176], v[175:176], v[181:182]
	v_fma_f64 v[179:180], v[8:9], v[22:23], v[179:180]
	v_fma_f64 v[183:184], v[6:7], v[22:23], -v[24:25]
	ds_load_b128 v[6:9], v1 offset:1312
	s_wait_loadcnt_dscnt 0x801
	v_mul_f64_e32 v[181:182], v[2:3], v[28:29]
	v_mul_f64_e32 v[28:29], v[4:5], v[28:29]
	scratch_load_b128 v[22:25], off, off offset:480
	v_add_f64_e32 v[173:174], v[173:174], v[185:186]
	v_add_f64_e32 v[175:176], v[175:176], v[177:178]
	s_wait_loadcnt_dscnt 0x800
	v_mul_f64_e32 v[177:178], v[6:7], v[32:33]
	v_mul_f64_e32 v[32:33], v[8:9], v[32:33]
	v_fma_f64 v[181:182], v[4:5], v[26:27], v[181:182]
	v_fma_f64 v[185:186], v[2:3], v[26:27], -v[28:29]
	ds_load_b128 v[2:5], v1 offset:1328
	scratch_load_b128 v[26:29], off, off offset:496
	v_add_f64_e32 v[173:174], v[173:174], v[183:184]
	v_add_f64_e32 v[175:176], v[175:176], v[179:180]
	v_fma_f64 v[177:178], v[8:9], v[30:31], v[177:178]
	v_fma_f64 v[183:184], v[6:7], v[30:31], -v[32:33]
	ds_load_b128 v[6:9], v1 offset:1344
	s_wait_loadcnt_dscnt 0x801
	v_mul_f64_e32 v[179:180], v[2:3], v[36:37]
	v_mul_f64_e32 v[36:37], v[4:5], v[36:37]
	scratch_load_b128 v[30:33], off, off offset:512
	v_add_f64_e32 v[173:174], v[173:174], v[185:186]
	v_add_f64_e32 v[175:176], v[175:176], v[181:182]
	s_wait_loadcnt_dscnt 0x800
	v_mul_f64_e32 v[181:182], v[6:7], v[171:172]
	v_mul_f64_e32 v[171:172], v[8:9], v[171:172]
	v_fma_f64 v[179:180], v[4:5], v[34:35], v[179:180]
	v_fma_f64 v[185:186], v[2:3], v[34:35], -v[36:37]
	ds_load_b128 v[2:5], v1 offset:1360
	scratch_load_b128 v[34:37], off, off offset:528
	v_add_f64_e32 v[173:174], v[173:174], v[183:184]
	v_add_f64_e32 v[175:176], v[175:176], v[177:178]
	v_fma_f64 v[181:182], v[8:9], v[169:170], v[181:182]
	v_fma_f64 v[183:184], v[6:7], v[169:170], -v[171:172]
	ds_load_b128 v[6:9], v1 offset:1376
	scratch_load_b128 v[169:172], off, off offset:544
	s_wait_loadcnt_dscnt 0x901
	v_mul_f64_e32 v[177:178], v[2:3], v[40:41]
	v_mul_f64_e32 v[40:41], v[4:5], v[40:41]
	v_add_f64_e32 v[173:174], v[173:174], v[185:186]
	v_add_f64_e32 v[175:176], v[175:176], v[179:180]
	s_wait_loadcnt_dscnt 0x800
	v_mul_f64_e32 v[179:180], v[6:7], v[167:168]
	v_mul_f64_e32 v[167:168], v[8:9], v[167:168]
	v_fma_f64 v[177:178], v[4:5], v[38:39], v[177:178]
	v_fma_f64 v[185:186], v[2:3], v[38:39], -v[40:41]
	ds_load_b128 v[2:5], v1 offset:1392
	scratch_load_b128 v[38:41], off, off offset:560
	v_add_f64_e32 v[173:174], v[173:174], v[183:184]
	v_add_f64_e32 v[175:176], v[175:176], v[181:182]
	v_fma_f64 v[179:180], v[8:9], v[165:166], v[179:180]
	v_fma_f64 v[183:184], v[6:7], v[165:166], -v[167:168]
	ds_load_b128 v[6:9], v1 offset:1408
	s_wait_loadcnt_dscnt 0x801
	v_mul_f64_e32 v[181:182], v[2:3], v[12:13]
	v_mul_f64_e32 v[12:13], v[4:5], v[12:13]
	scratch_load_b128 v[165:168], off, off offset:576
	v_add_f64_e32 v[173:174], v[173:174], v[185:186]
	v_add_f64_e32 v[175:176], v[175:176], v[177:178]
	s_wait_loadcnt_dscnt 0x800
	v_mul_f64_e32 v[177:178], v[6:7], v[16:17]
	v_mul_f64_e32 v[16:17], v[8:9], v[16:17]
	v_fma_f64 v[181:182], v[4:5], v[10:11], v[181:182]
	v_fma_f64 v[185:186], v[2:3], v[10:11], -v[12:13]
	ds_load_b128 v[2:5], v1 offset:1424
	scratch_load_b128 v[10:13], off, off offset:592
	v_add_f64_e32 v[173:174], v[173:174], v[183:184]
	v_add_f64_e32 v[175:176], v[175:176], v[179:180]
	v_fma_f64 v[177:178], v[8:9], v[14:15], v[177:178]
	v_fma_f64 v[183:184], v[6:7], v[14:15], -v[16:17]
	ds_load_b128 v[6:9], v1 offset:1440
	s_wait_loadcnt_dscnt 0x801
	v_mul_f64_e32 v[179:180], v[2:3], v[20:21]
	v_mul_f64_e32 v[20:21], v[4:5], v[20:21]
	scratch_load_b128 v[14:17], off, off offset:608
	;; [unrolled: 18-line block ×13, first 2 shown]
	v_add_f64_e32 v[173:174], v[173:174], v[185:186]
	v_add_f64_e32 v[175:176], v[175:176], v[177:178]
	s_wait_loadcnt_dscnt 0x800
	v_mul_f64_e32 v[177:178], v[6:7], v[32:33]
	v_mul_f64_e32 v[32:33], v[8:9], v[32:33]
	v_fma_f64 v[181:182], v[4:5], v[26:27], v[181:182]
	v_fma_f64 v[185:186], v[2:3], v[26:27], -v[28:29]
	ds_load_b128 v[2:5], v1 offset:1808
	scratch_load_b128 v[26:29], off, off offset:976
	v_add_f64_e32 v[173:174], v[173:174], v[183:184]
	v_add_f64_e32 v[175:176], v[175:176], v[179:180]
	v_fma_f64 v[177:178], v[8:9], v[30:31], v[177:178]
	v_fma_f64 v[30:31], v[6:7], v[30:31], -v[32:33]
	ds_load_b128 v[6:9], v1 offset:1824
	s_wait_loadcnt_dscnt 0x801
	v_mul_f64_e32 v[179:180], v[2:3], v[36:37]
	v_mul_f64_e32 v[36:37], v[4:5], v[36:37]
	v_add_f64_e32 v[32:33], v[173:174], v[185:186]
	v_add_f64_e32 v[173:174], v[175:176], v[181:182]
	s_wait_loadcnt_dscnt 0x700
	v_mul_f64_e32 v[175:176], v[6:7], v[171:172]
	v_mul_f64_e32 v[171:172], v[8:9], v[171:172]
	v_fma_f64 v[179:180], v[4:5], v[34:35], v[179:180]
	v_fma_f64 v[34:35], v[2:3], v[34:35], -v[36:37]
	ds_load_b128 v[2:5], v1 offset:1840
	v_add_f64_e32 v[30:31], v[32:33], v[30:31]
	v_add_f64_e32 v[32:33], v[173:174], v[177:178]
	v_fma_f64 v[173:174], v[8:9], v[169:170], v[175:176]
	v_fma_f64 v[169:170], v[6:7], v[169:170], -v[171:172]
	ds_load_b128 v[6:9], v1 offset:1856
	s_wait_loadcnt_dscnt 0x500
	v_mul_f64_e32 v[175:176], v[6:7], v[167:168]
	v_mul_f64_e32 v[167:168], v[8:9], v[167:168]
	v_add_f64_e32 v[34:35], v[30:31], v[34:35]
	v_add_f64_e32 v[171:172], v[32:33], v[179:180]
	scratch_load_b128 v[30:33], off, off offset:224
	v_mul_f64_e32 v[36:37], v[2:3], v[40:41]
	v_mul_f64_e32 v[40:41], v[4:5], v[40:41]
	v_add_f64_e32 v[34:35], v[34:35], v[169:170]
	s_delay_alu instid0(VALU_DEP_3) | instskip(NEXT) | instid1(VALU_DEP_3)
	v_fma_f64 v[36:37], v[4:5], v[38:39], v[36:37]
	v_fma_f64 v[38:39], v[2:3], v[38:39], -v[40:41]
	v_add_f64_e32 v[40:41], v[171:172], v[173:174]
	ds_load_b128 v[2:5], v1 offset:1872
	v_fma_f64 v[171:172], v[8:9], v[165:166], v[175:176]
	v_fma_f64 v[165:166], v[6:7], v[165:166], -v[167:168]
	ds_load_b128 v[6:9], v1 offset:1888
	s_wait_loadcnt_dscnt 0x501
	v_mul_f64_e32 v[169:170], v[2:3], v[12:13]
	v_mul_f64_e32 v[12:13], v[4:5], v[12:13]
	v_add_f64_e32 v[34:35], v[34:35], v[38:39]
	v_add_f64_e32 v[36:37], v[40:41], v[36:37]
	s_wait_loadcnt_dscnt 0x400
	v_mul_f64_e32 v[38:39], v[6:7], v[16:17]
	v_mul_f64_e32 v[16:17], v[8:9], v[16:17]
	v_fma_f64 v[40:41], v[4:5], v[10:11], v[169:170]
	v_fma_f64 v[10:11], v[2:3], v[10:11], -v[12:13]
	ds_load_b128 v[2:5], v1 offset:1904
	v_add_f64_e32 v[12:13], v[34:35], v[165:166]
	v_add_f64_e32 v[34:35], v[36:37], v[171:172]
	v_fma_f64 v[38:39], v[8:9], v[14:15], v[38:39]
	v_fma_f64 v[14:15], v[6:7], v[14:15], -v[16:17]
	ds_load_b128 v[6:9], v1 offset:1920
	s_wait_loadcnt_dscnt 0x301
	v_mul_f64_e32 v[36:37], v[2:3], v[20:21]
	v_mul_f64_e32 v[20:21], v[4:5], v[20:21]
	s_wait_loadcnt_dscnt 0x200
	v_mul_f64_e32 v[16:17], v[6:7], v[24:25]
	v_mul_f64_e32 v[24:25], v[8:9], v[24:25]
	v_add_f64_e32 v[10:11], v[12:13], v[10:11]
	v_add_f64_e32 v[12:13], v[34:35], v[40:41]
	v_fma_f64 v[34:35], v[4:5], v[18:19], v[36:37]
	v_fma_f64 v[18:19], v[2:3], v[18:19], -v[20:21]
	ds_load_b128 v[2:5], v1 offset:1936
	v_fma_f64 v[8:9], v[8:9], v[22:23], v[16:17]
	v_fma_f64 v[6:7], v[6:7], v[22:23], -v[24:25]
	s_wait_loadcnt_dscnt 0x100
	v_mul_f64_e32 v[20:21], v[4:5], v[28:29]
	v_add_f64_e32 v[10:11], v[10:11], v[14:15]
	v_add_f64_e32 v[12:13], v[12:13], v[38:39]
	v_mul_f64_e32 v[14:15], v[2:3], v[28:29]
	s_delay_alu instid0(VALU_DEP_4) | instskip(NEXT) | instid1(VALU_DEP_4)
	v_fma_f64 v[2:3], v[2:3], v[26:27], -v[20:21]
	v_add_f64_e32 v[10:11], v[10:11], v[18:19]
	s_delay_alu instid0(VALU_DEP_4) | instskip(NEXT) | instid1(VALU_DEP_4)
	v_add_f64_e32 v[12:13], v[12:13], v[34:35]
	v_fma_f64 v[4:5], v[4:5], v[26:27], v[14:15]
	s_delay_alu instid0(VALU_DEP_3) | instskip(NEXT) | instid1(VALU_DEP_3)
	v_add_f64_e32 v[6:7], v[10:11], v[6:7]
	v_add_f64_e32 v[8:9], v[12:13], v[8:9]
	s_delay_alu instid0(VALU_DEP_2) | instskip(NEXT) | instid1(VALU_DEP_2)
	v_add_f64_e32 v[2:3], v[6:7], v[2:3]
	v_add_f64_e32 v[4:5], v[8:9], v[4:5]
	s_wait_loadcnt 0x0
	s_delay_alu instid0(VALU_DEP_2) | instskip(NEXT) | instid1(VALU_DEP_2)
	v_add_f64_e64 v[2:3], v[30:31], -v[2:3]
	v_add_f64_e64 v[4:5], v[32:33], -v[4:5]
	scratch_store_b128 off, v[2:5], off offset:224
	v_cmpx_lt_u32_e32 12, v0
	s_cbranch_execz .LBB124_367
; %bb.366:
	scratch_load_b128 v[5:8], off, s64
	v_dual_mov_b32 v2, v1 :: v_dual_mov_b32 v3, v1
	v_mov_b32_e32 v4, v1
	scratch_store_b128 off, v[1:4], off offset:208
	s_wait_loadcnt 0x0
	ds_store_b128 v164, v[5:8]
.LBB124_367:
	s_wait_alu 0xfffe
	s_or_b32 exec_lo, exec_lo, s0
	s_wait_storecnt_dscnt 0x0
	s_barrier_signal -1
	s_barrier_wait -1
	global_inv scope:SCOPE_SE
	s_clause 0x7
	scratch_load_b128 v[2:5], off, off offset:224
	scratch_load_b128 v[6:9], off, off offset:240
	;; [unrolled: 1-line block ×8, first 2 shown]
	ds_load_b128 v[38:41], v1 offset:1184
	ds_load_b128 v[165:168], v1 offset:1200
	s_clause 0x1
	scratch_load_b128 v[34:37], off, off offset:352
	scratch_load_b128 v[169:172], off, off offset:368
	s_mov_b32 s0, exec_lo
	s_wait_loadcnt_dscnt 0x901
	v_mul_f64_e32 v[173:174], v[40:41], v[4:5]
	v_mul_f64_e32 v[4:5], v[38:39], v[4:5]
	s_wait_loadcnt_dscnt 0x800
	v_mul_f64_e32 v[175:176], v[165:166], v[8:9]
	v_mul_f64_e32 v[8:9], v[167:168], v[8:9]
	s_delay_alu instid0(VALU_DEP_4) | instskip(NEXT) | instid1(VALU_DEP_4)
	v_fma_f64 v[173:174], v[38:39], v[2:3], -v[173:174]
	v_fma_f64 v[177:178], v[40:41], v[2:3], v[4:5]
	ds_load_b128 v[2:5], v1 offset:1216
	scratch_load_b128 v[38:41], off, off offset:384
	v_fma_f64 v[175:176], v[167:168], v[6:7], v[175:176]
	v_fma_f64 v[181:182], v[165:166], v[6:7], -v[8:9]
	ds_load_b128 v[6:9], v1 offset:1232
	scratch_load_b128 v[165:168], off, off offset:400
	s_wait_loadcnt_dscnt 0x901
	v_mul_f64_e32 v[179:180], v[2:3], v[12:13]
	v_mul_f64_e32 v[12:13], v[4:5], v[12:13]
	s_wait_loadcnt_dscnt 0x800
	v_mul_f64_e32 v[183:184], v[6:7], v[16:17]
	v_mul_f64_e32 v[16:17], v[8:9], v[16:17]
	v_add_f64_e32 v[173:174], 0, v[173:174]
	v_add_f64_e32 v[177:178], 0, v[177:178]
	v_fma_f64 v[179:180], v[4:5], v[10:11], v[179:180]
	v_fma_f64 v[185:186], v[2:3], v[10:11], -v[12:13]
	ds_load_b128 v[2:5], v1 offset:1248
	scratch_load_b128 v[10:13], off, off offset:416
	v_add_f64_e32 v[173:174], v[173:174], v[181:182]
	v_add_f64_e32 v[175:176], v[177:178], v[175:176]
	v_fma_f64 v[181:182], v[8:9], v[14:15], v[183:184]
	v_fma_f64 v[183:184], v[6:7], v[14:15], -v[16:17]
	ds_load_b128 v[6:9], v1 offset:1264
	scratch_load_b128 v[14:17], off, off offset:432
	s_wait_loadcnt_dscnt 0x901
	v_mul_f64_e32 v[177:178], v[2:3], v[20:21]
	v_mul_f64_e32 v[20:21], v[4:5], v[20:21]
	v_add_f64_e32 v[173:174], v[173:174], v[185:186]
	v_add_f64_e32 v[175:176], v[175:176], v[179:180]
	s_wait_loadcnt_dscnt 0x800
	v_mul_f64_e32 v[179:180], v[6:7], v[24:25]
	v_mul_f64_e32 v[24:25], v[8:9], v[24:25]
	v_fma_f64 v[177:178], v[4:5], v[18:19], v[177:178]
	v_fma_f64 v[185:186], v[2:3], v[18:19], -v[20:21]
	ds_load_b128 v[2:5], v1 offset:1280
	scratch_load_b128 v[18:21], off, off offset:448
	v_add_f64_e32 v[173:174], v[173:174], v[183:184]
	v_add_f64_e32 v[175:176], v[175:176], v[181:182]
	v_fma_f64 v[179:180], v[8:9], v[22:23], v[179:180]
	v_fma_f64 v[183:184], v[6:7], v[22:23], -v[24:25]
	ds_load_b128 v[6:9], v1 offset:1296
	s_wait_loadcnt_dscnt 0x801
	v_mul_f64_e32 v[181:182], v[2:3], v[28:29]
	v_mul_f64_e32 v[28:29], v[4:5], v[28:29]
	scratch_load_b128 v[22:25], off, off offset:464
	v_add_f64_e32 v[173:174], v[173:174], v[185:186]
	v_add_f64_e32 v[175:176], v[175:176], v[177:178]
	s_wait_loadcnt_dscnt 0x800
	v_mul_f64_e32 v[177:178], v[6:7], v[32:33]
	v_mul_f64_e32 v[32:33], v[8:9], v[32:33]
	v_fma_f64 v[181:182], v[4:5], v[26:27], v[181:182]
	v_fma_f64 v[185:186], v[2:3], v[26:27], -v[28:29]
	ds_load_b128 v[2:5], v1 offset:1312
	scratch_load_b128 v[26:29], off, off offset:480
	v_add_f64_e32 v[173:174], v[173:174], v[183:184]
	v_add_f64_e32 v[175:176], v[175:176], v[179:180]
	v_fma_f64 v[177:178], v[8:9], v[30:31], v[177:178]
	v_fma_f64 v[183:184], v[6:7], v[30:31], -v[32:33]
	ds_load_b128 v[6:9], v1 offset:1328
	s_wait_loadcnt_dscnt 0x801
	v_mul_f64_e32 v[179:180], v[2:3], v[36:37]
	v_mul_f64_e32 v[36:37], v[4:5], v[36:37]
	scratch_load_b128 v[30:33], off, off offset:496
	v_add_f64_e32 v[173:174], v[173:174], v[185:186]
	v_add_f64_e32 v[175:176], v[175:176], v[181:182]
	s_wait_loadcnt_dscnt 0x800
	v_mul_f64_e32 v[181:182], v[6:7], v[171:172]
	v_mul_f64_e32 v[171:172], v[8:9], v[171:172]
	v_fma_f64 v[179:180], v[4:5], v[34:35], v[179:180]
	v_fma_f64 v[185:186], v[2:3], v[34:35], -v[36:37]
	ds_load_b128 v[2:5], v1 offset:1344
	scratch_load_b128 v[34:37], off, off offset:512
	v_add_f64_e32 v[173:174], v[173:174], v[183:184]
	v_add_f64_e32 v[175:176], v[175:176], v[177:178]
	v_fma_f64 v[181:182], v[8:9], v[169:170], v[181:182]
	v_fma_f64 v[183:184], v[6:7], v[169:170], -v[171:172]
	ds_load_b128 v[6:9], v1 offset:1360
	scratch_load_b128 v[169:172], off, off offset:528
	s_wait_loadcnt_dscnt 0x901
	v_mul_f64_e32 v[177:178], v[2:3], v[40:41]
	v_mul_f64_e32 v[40:41], v[4:5], v[40:41]
	v_add_f64_e32 v[173:174], v[173:174], v[185:186]
	v_add_f64_e32 v[175:176], v[175:176], v[179:180]
	s_wait_loadcnt_dscnt 0x800
	v_mul_f64_e32 v[179:180], v[6:7], v[167:168]
	v_mul_f64_e32 v[167:168], v[8:9], v[167:168]
	v_fma_f64 v[177:178], v[4:5], v[38:39], v[177:178]
	v_fma_f64 v[185:186], v[2:3], v[38:39], -v[40:41]
	ds_load_b128 v[2:5], v1 offset:1376
	scratch_load_b128 v[38:41], off, off offset:544
	v_add_f64_e32 v[173:174], v[173:174], v[183:184]
	v_add_f64_e32 v[175:176], v[175:176], v[181:182]
	v_fma_f64 v[179:180], v[8:9], v[165:166], v[179:180]
	v_fma_f64 v[183:184], v[6:7], v[165:166], -v[167:168]
	ds_load_b128 v[6:9], v1 offset:1392
	s_wait_loadcnt_dscnt 0x801
	v_mul_f64_e32 v[181:182], v[2:3], v[12:13]
	v_mul_f64_e32 v[12:13], v[4:5], v[12:13]
	scratch_load_b128 v[165:168], off, off offset:560
	v_add_f64_e32 v[173:174], v[173:174], v[185:186]
	v_add_f64_e32 v[175:176], v[175:176], v[177:178]
	s_wait_loadcnt_dscnt 0x800
	v_mul_f64_e32 v[177:178], v[6:7], v[16:17]
	v_mul_f64_e32 v[16:17], v[8:9], v[16:17]
	v_fma_f64 v[181:182], v[4:5], v[10:11], v[181:182]
	v_fma_f64 v[185:186], v[2:3], v[10:11], -v[12:13]
	ds_load_b128 v[2:5], v1 offset:1408
	scratch_load_b128 v[10:13], off, off offset:576
	v_add_f64_e32 v[173:174], v[173:174], v[183:184]
	v_add_f64_e32 v[175:176], v[175:176], v[179:180]
	v_fma_f64 v[177:178], v[8:9], v[14:15], v[177:178]
	v_fma_f64 v[183:184], v[6:7], v[14:15], -v[16:17]
	ds_load_b128 v[6:9], v1 offset:1424
	s_wait_loadcnt_dscnt 0x801
	v_mul_f64_e32 v[179:180], v[2:3], v[20:21]
	v_mul_f64_e32 v[20:21], v[4:5], v[20:21]
	scratch_load_b128 v[14:17], off, off offset:592
	v_add_f64_e32 v[173:174], v[173:174], v[185:186]
	v_add_f64_e32 v[175:176], v[175:176], v[181:182]
	s_wait_loadcnt_dscnt 0x800
	v_mul_f64_e32 v[181:182], v[6:7], v[24:25]
	v_mul_f64_e32 v[24:25], v[8:9], v[24:25]
	v_fma_f64 v[179:180], v[4:5], v[18:19], v[179:180]
	v_fma_f64 v[185:186], v[2:3], v[18:19], -v[20:21]
	ds_load_b128 v[2:5], v1 offset:1440
	scratch_load_b128 v[18:21], off, off offset:608
	v_add_f64_e32 v[173:174], v[173:174], v[183:184]
	v_add_f64_e32 v[175:176], v[175:176], v[177:178]
	v_fma_f64 v[181:182], v[8:9], v[22:23], v[181:182]
	v_fma_f64 v[183:184], v[6:7], v[22:23], -v[24:25]
	ds_load_b128 v[6:9], v1 offset:1456
	s_wait_loadcnt_dscnt 0x801
	v_mul_f64_e32 v[177:178], v[2:3], v[28:29]
	v_mul_f64_e32 v[28:29], v[4:5], v[28:29]
	scratch_load_b128 v[22:25], off, off offset:624
	v_add_f64_e32 v[173:174], v[173:174], v[185:186]
	v_add_f64_e32 v[175:176], v[175:176], v[179:180]
	s_wait_loadcnt_dscnt 0x800
	v_mul_f64_e32 v[179:180], v[6:7], v[32:33]
	v_mul_f64_e32 v[32:33], v[8:9], v[32:33]
	v_fma_f64 v[177:178], v[4:5], v[26:27], v[177:178]
	v_fma_f64 v[185:186], v[2:3], v[26:27], -v[28:29]
	ds_load_b128 v[2:5], v1 offset:1472
	scratch_load_b128 v[26:29], off, off offset:640
	v_add_f64_e32 v[173:174], v[173:174], v[183:184]
	v_add_f64_e32 v[175:176], v[175:176], v[181:182]
	v_fma_f64 v[179:180], v[8:9], v[30:31], v[179:180]
	v_fma_f64 v[183:184], v[6:7], v[30:31], -v[32:33]
	ds_load_b128 v[6:9], v1 offset:1488
	s_wait_loadcnt_dscnt 0x801
	v_mul_f64_e32 v[181:182], v[2:3], v[36:37]
	v_mul_f64_e32 v[36:37], v[4:5], v[36:37]
	scratch_load_b128 v[30:33], off, off offset:656
	v_add_f64_e32 v[173:174], v[173:174], v[185:186]
	v_add_f64_e32 v[175:176], v[175:176], v[177:178]
	s_wait_loadcnt_dscnt 0x800
	v_mul_f64_e32 v[177:178], v[6:7], v[171:172]
	v_mul_f64_e32 v[171:172], v[8:9], v[171:172]
	v_fma_f64 v[181:182], v[4:5], v[34:35], v[181:182]
	v_fma_f64 v[185:186], v[2:3], v[34:35], -v[36:37]
	ds_load_b128 v[2:5], v1 offset:1504
	scratch_load_b128 v[34:37], off, off offset:672
	v_add_f64_e32 v[173:174], v[173:174], v[183:184]
	v_add_f64_e32 v[175:176], v[175:176], v[179:180]
	v_fma_f64 v[177:178], v[8:9], v[169:170], v[177:178]
	v_fma_f64 v[183:184], v[6:7], v[169:170], -v[171:172]
	ds_load_b128 v[6:9], v1 offset:1520
	s_wait_loadcnt_dscnt 0x801
	v_mul_f64_e32 v[179:180], v[2:3], v[40:41]
	v_mul_f64_e32 v[40:41], v[4:5], v[40:41]
	scratch_load_b128 v[169:172], off, off offset:688
	v_add_f64_e32 v[173:174], v[173:174], v[185:186]
	v_add_f64_e32 v[175:176], v[175:176], v[181:182]
	s_wait_loadcnt_dscnt 0x800
	v_mul_f64_e32 v[181:182], v[6:7], v[167:168]
	v_mul_f64_e32 v[167:168], v[8:9], v[167:168]
	v_fma_f64 v[179:180], v[4:5], v[38:39], v[179:180]
	v_fma_f64 v[185:186], v[2:3], v[38:39], -v[40:41]
	ds_load_b128 v[2:5], v1 offset:1536
	scratch_load_b128 v[38:41], off, off offset:704
	v_add_f64_e32 v[173:174], v[173:174], v[183:184]
	v_add_f64_e32 v[175:176], v[175:176], v[177:178]
	v_fma_f64 v[181:182], v[8:9], v[165:166], v[181:182]
	v_fma_f64 v[183:184], v[6:7], v[165:166], -v[167:168]
	ds_load_b128 v[6:9], v1 offset:1552
	s_wait_loadcnt_dscnt 0x801
	v_mul_f64_e32 v[177:178], v[2:3], v[12:13]
	v_mul_f64_e32 v[12:13], v[4:5], v[12:13]
	scratch_load_b128 v[165:168], off, off offset:720
	v_add_f64_e32 v[173:174], v[173:174], v[185:186]
	v_add_f64_e32 v[175:176], v[175:176], v[179:180]
	s_wait_loadcnt_dscnt 0x800
	v_mul_f64_e32 v[179:180], v[6:7], v[16:17]
	v_mul_f64_e32 v[16:17], v[8:9], v[16:17]
	v_fma_f64 v[177:178], v[4:5], v[10:11], v[177:178]
	v_fma_f64 v[185:186], v[2:3], v[10:11], -v[12:13]
	ds_load_b128 v[2:5], v1 offset:1568
	scratch_load_b128 v[10:13], off, off offset:736
	v_add_f64_e32 v[173:174], v[173:174], v[183:184]
	v_add_f64_e32 v[175:176], v[175:176], v[181:182]
	v_fma_f64 v[179:180], v[8:9], v[14:15], v[179:180]
	v_fma_f64 v[183:184], v[6:7], v[14:15], -v[16:17]
	ds_load_b128 v[6:9], v1 offset:1584
	s_wait_loadcnt_dscnt 0x801
	v_mul_f64_e32 v[181:182], v[2:3], v[20:21]
	v_mul_f64_e32 v[20:21], v[4:5], v[20:21]
	scratch_load_b128 v[14:17], off, off offset:752
	v_add_f64_e32 v[173:174], v[173:174], v[185:186]
	v_add_f64_e32 v[175:176], v[175:176], v[177:178]
	s_wait_loadcnt_dscnt 0x800
	v_mul_f64_e32 v[177:178], v[6:7], v[24:25]
	v_mul_f64_e32 v[24:25], v[8:9], v[24:25]
	v_fma_f64 v[181:182], v[4:5], v[18:19], v[181:182]
	v_fma_f64 v[185:186], v[2:3], v[18:19], -v[20:21]
	ds_load_b128 v[2:5], v1 offset:1600
	scratch_load_b128 v[18:21], off, off offset:768
	v_add_f64_e32 v[173:174], v[173:174], v[183:184]
	v_add_f64_e32 v[175:176], v[175:176], v[179:180]
	v_fma_f64 v[177:178], v[8:9], v[22:23], v[177:178]
	v_fma_f64 v[183:184], v[6:7], v[22:23], -v[24:25]
	ds_load_b128 v[6:9], v1 offset:1616
	s_wait_loadcnt_dscnt 0x801
	v_mul_f64_e32 v[179:180], v[2:3], v[28:29]
	v_mul_f64_e32 v[28:29], v[4:5], v[28:29]
	scratch_load_b128 v[22:25], off, off offset:784
	v_add_f64_e32 v[173:174], v[173:174], v[185:186]
	v_add_f64_e32 v[175:176], v[175:176], v[181:182]
	s_wait_loadcnt_dscnt 0x800
	v_mul_f64_e32 v[181:182], v[6:7], v[32:33]
	v_mul_f64_e32 v[32:33], v[8:9], v[32:33]
	v_fma_f64 v[179:180], v[4:5], v[26:27], v[179:180]
	v_fma_f64 v[185:186], v[2:3], v[26:27], -v[28:29]
	ds_load_b128 v[2:5], v1 offset:1632
	scratch_load_b128 v[26:29], off, off offset:800
	v_add_f64_e32 v[173:174], v[173:174], v[183:184]
	v_add_f64_e32 v[175:176], v[175:176], v[177:178]
	v_fma_f64 v[181:182], v[8:9], v[30:31], v[181:182]
	v_fma_f64 v[183:184], v[6:7], v[30:31], -v[32:33]
	ds_load_b128 v[6:9], v1 offset:1648
	s_wait_loadcnt_dscnt 0x801
	v_mul_f64_e32 v[177:178], v[2:3], v[36:37]
	v_mul_f64_e32 v[36:37], v[4:5], v[36:37]
	scratch_load_b128 v[30:33], off, off offset:816
	v_add_f64_e32 v[173:174], v[173:174], v[185:186]
	v_add_f64_e32 v[175:176], v[175:176], v[179:180]
	s_wait_loadcnt_dscnt 0x800
	v_mul_f64_e32 v[179:180], v[6:7], v[171:172]
	v_mul_f64_e32 v[171:172], v[8:9], v[171:172]
	v_fma_f64 v[177:178], v[4:5], v[34:35], v[177:178]
	v_fma_f64 v[185:186], v[2:3], v[34:35], -v[36:37]
	ds_load_b128 v[2:5], v1 offset:1664
	scratch_load_b128 v[34:37], off, off offset:832
	v_add_f64_e32 v[173:174], v[173:174], v[183:184]
	v_add_f64_e32 v[175:176], v[175:176], v[181:182]
	v_fma_f64 v[179:180], v[8:9], v[169:170], v[179:180]
	v_fma_f64 v[183:184], v[6:7], v[169:170], -v[171:172]
	ds_load_b128 v[6:9], v1 offset:1680
	s_wait_loadcnt_dscnt 0x801
	v_mul_f64_e32 v[181:182], v[2:3], v[40:41]
	v_mul_f64_e32 v[40:41], v[4:5], v[40:41]
	scratch_load_b128 v[169:172], off, off offset:848
	v_add_f64_e32 v[173:174], v[173:174], v[185:186]
	v_add_f64_e32 v[175:176], v[175:176], v[177:178]
	s_wait_loadcnt_dscnt 0x800
	v_mul_f64_e32 v[177:178], v[6:7], v[167:168]
	v_mul_f64_e32 v[167:168], v[8:9], v[167:168]
	v_fma_f64 v[181:182], v[4:5], v[38:39], v[181:182]
	v_fma_f64 v[185:186], v[2:3], v[38:39], -v[40:41]
	ds_load_b128 v[2:5], v1 offset:1696
	scratch_load_b128 v[38:41], off, off offset:864
	v_add_f64_e32 v[173:174], v[173:174], v[183:184]
	v_add_f64_e32 v[175:176], v[175:176], v[179:180]
	v_fma_f64 v[177:178], v[8:9], v[165:166], v[177:178]
	v_fma_f64 v[183:184], v[6:7], v[165:166], -v[167:168]
	ds_load_b128 v[6:9], v1 offset:1712
	s_wait_loadcnt_dscnt 0x801
	v_mul_f64_e32 v[179:180], v[2:3], v[12:13]
	v_mul_f64_e32 v[12:13], v[4:5], v[12:13]
	scratch_load_b128 v[165:168], off, off offset:880
	v_add_f64_e32 v[173:174], v[173:174], v[185:186]
	v_add_f64_e32 v[175:176], v[175:176], v[181:182]
	s_wait_loadcnt_dscnt 0x800
	v_mul_f64_e32 v[181:182], v[6:7], v[16:17]
	v_mul_f64_e32 v[16:17], v[8:9], v[16:17]
	v_fma_f64 v[179:180], v[4:5], v[10:11], v[179:180]
	v_fma_f64 v[185:186], v[2:3], v[10:11], -v[12:13]
	ds_load_b128 v[2:5], v1 offset:1728
	scratch_load_b128 v[10:13], off, off offset:896
	v_add_f64_e32 v[173:174], v[173:174], v[183:184]
	v_add_f64_e32 v[175:176], v[175:176], v[177:178]
	v_fma_f64 v[181:182], v[8:9], v[14:15], v[181:182]
	v_fma_f64 v[183:184], v[6:7], v[14:15], -v[16:17]
	ds_load_b128 v[6:9], v1 offset:1744
	s_wait_loadcnt_dscnt 0x801
	v_mul_f64_e32 v[177:178], v[2:3], v[20:21]
	v_mul_f64_e32 v[20:21], v[4:5], v[20:21]
	scratch_load_b128 v[14:17], off, off offset:912
	v_add_f64_e32 v[173:174], v[173:174], v[185:186]
	v_add_f64_e32 v[175:176], v[175:176], v[179:180]
	s_wait_loadcnt_dscnt 0x800
	v_mul_f64_e32 v[179:180], v[6:7], v[24:25]
	v_mul_f64_e32 v[24:25], v[8:9], v[24:25]
	v_fma_f64 v[177:178], v[4:5], v[18:19], v[177:178]
	v_fma_f64 v[185:186], v[2:3], v[18:19], -v[20:21]
	ds_load_b128 v[2:5], v1 offset:1760
	scratch_load_b128 v[18:21], off, off offset:928
	v_add_f64_e32 v[173:174], v[173:174], v[183:184]
	v_add_f64_e32 v[175:176], v[175:176], v[181:182]
	v_fma_f64 v[179:180], v[8:9], v[22:23], v[179:180]
	v_fma_f64 v[183:184], v[6:7], v[22:23], -v[24:25]
	ds_load_b128 v[6:9], v1 offset:1776
	s_wait_loadcnt_dscnt 0x801
	v_mul_f64_e32 v[181:182], v[2:3], v[28:29]
	v_mul_f64_e32 v[28:29], v[4:5], v[28:29]
	scratch_load_b128 v[22:25], off, off offset:944
	v_add_f64_e32 v[173:174], v[173:174], v[185:186]
	v_add_f64_e32 v[175:176], v[175:176], v[177:178]
	s_wait_loadcnt_dscnt 0x800
	v_mul_f64_e32 v[177:178], v[6:7], v[32:33]
	v_mul_f64_e32 v[32:33], v[8:9], v[32:33]
	v_fma_f64 v[181:182], v[4:5], v[26:27], v[181:182]
	v_fma_f64 v[185:186], v[2:3], v[26:27], -v[28:29]
	ds_load_b128 v[2:5], v1 offset:1792
	scratch_load_b128 v[26:29], off, off offset:960
	v_add_f64_e32 v[173:174], v[173:174], v[183:184]
	v_add_f64_e32 v[175:176], v[175:176], v[179:180]
	v_fma_f64 v[177:178], v[8:9], v[30:31], v[177:178]
	v_fma_f64 v[183:184], v[6:7], v[30:31], -v[32:33]
	ds_load_b128 v[6:9], v1 offset:1808
	s_wait_loadcnt_dscnt 0x801
	v_mul_f64_e32 v[179:180], v[2:3], v[36:37]
	v_mul_f64_e32 v[36:37], v[4:5], v[36:37]
	scratch_load_b128 v[30:33], off, off offset:976
	v_add_f64_e32 v[173:174], v[173:174], v[185:186]
	v_add_f64_e32 v[175:176], v[175:176], v[181:182]
	s_wait_loadcnt_dscnt 0x800
	v_mul_f64_e32 v[181:182], v[6:7], v[171:172]
	v_mul_f64_e32 v[171:172], v[8:9], v[171:172]
	v_fma_f64 v[179:180], v[4:5], v[34:35], v[179:180]
	v_fma_f64 v[34:35], v[2:3], v[34:35], -v[36:37]
	ds_load_b128 v[2:5], v1 offset:1824
	v_add_f64_e32 v[36:37], v[173:174], v[183:184]
	v_add_f64_e32 v[173:174], v[175:176], v[177:178]
	v_fma_f64 v[177:178], v[8:9], v[169:170], v[181:182]
	v_fma_f64 v[169:170], v[6:7], v[169:170], -v[171:172]
	ds_load_b128 v[6:9], v1 offset:1840
	s_wait_loadcnt_dscnt 0x701
	v_mul_f64_e32 v[175:176], v[2:3], v[40:41]
	v_mul_f64_e32 v[40:41], v[4:5], v[40:41]
	v_add_f64_e32 v[34:35], v[36:37], v[34:35]
	v_add_f64_e32 v[36:37], v[173:174], v[179:180]
	s_delay_alu instid0(VALU_DEP_4) | instskip(NEXT) | instid1(VALU_DEP_4)
	v_fma_f64 v[173:174], v[4:5], v[38:39], v[175:176]
	v_fma_f64 v[38:39], v[2:3], v[38:39], -v[40:41]
	ds_load_b128 v[2:5], v1 offset:1856
	v_add_f64_e32 v[40:41], v[34:35], v[169:170]
	v_add_f64_e32 v[169:170], v[36:37], v[177:178]
	scratch_load_b128 v[34:37], off, off offset:208
	s_wait_loadcnt_dscnt 0x701
	v_mul_f64_e32 v[171:172], v[6:7], v[167:168]
	v_mul_f64_e32 v[167:168], v[8:9], v[167:168]
	v_add_f64_e32 v[38:39], v[40:41], v[38:39]
	v_add_f64_e32 v[40:41], v[169:170], v[173:174]
	s_delay_alu instid0(VALU_DEP_4) | instskip(NEXT) | instid1(VALU_DEP_4)
	v_fma_f64 v[171:172], v[8:9], v[165:166], v[171:172]
	v_fma_f64 v[165:166], v[6:7], v[165:166], -v[167:168]
	ds_load_b128 v[6:9], v1 offset:1872
	s_wait_loadcnt_dscnt 0x601
	v_mul_f64_e32 v[175:176], v[2:3], v[12:13]
	v_mul_f64_e32 v[12:13], v[4:5], v[12:13]
	s_wait_loadcnt_dscnt 0x500
	v_mul_f64_e32 v[167:168], v[6:7], v[16:17]
	v_mul_f64_e32 v[16:17], v[8:9], v[16:17]
	s_delay_alu instid0(VALU_DEP_4) | instskip(NEXT) | instid1(VALU_DEP_4)
	v_fma_f64 v[169:170], v[4:5], v[10:11], v[175:176]
	v_fma_f64 v[10:11], v[2:3], v[10:11], -v[12:13]
	v_add_f64_e32 v[12:13], v[38:39], v[165:166]
	v_add_f64_e32 v[38:39], v[40:41], v[171:172]
	ds_load_b128 v[2:5], v1 offset:1888
	v_fma_f64 v[165:166], v[8:9], v[14:15], v[167:168]
	v_fma_f64 v[14:15], v[6:7], v[14:15], -v[16:17]
	ds_load_b128 v[6:9], v1 offset:1904
	s_wait_loadcnt_dscnt 0x401
	v_mul_f64_e32 v[40:41], v[2:3], v[20:21]
	v_mul_f64_e32 v[20:21], v[4:5], v[20:21]
	v_add_f64_e32 v[10:11], v[12:13], v[10:11]
	v_add_f64_e32 v[12:13], v[38:39], v[169:170]
	s_wait_loadcnt_dscnt 0x300
	v_mul_f64_e32 v[16:17], v[6:7], v[24:25]
	v_mul_f64_e32 v[24:25], v[8:9], v[24:25]
	v_fma_f64 v[38:39], v[4:5], v[18:19], v[40:41]
	v_fma_f64 v[18:19], v[2:3], v[18:19], -v[20:21]
	ds_load_b128 v[2:5], v1 offset:1920
	v_add_f64_e32 v[10:11], v[10:11], v[14:15]
	v_add_f64_e32 v[12:13], v[12:13], v[165:166]
	v_fma_f64 v[16:17], v[8:9], v[22:23], v[16:17]
	v_fma_f64 v[22:23], v[6:7], v[22:23], -v[24:25]
	ds_load_b128 v[6:9], v1 offset:1936
	s_wait_loadcnt_dscnt 0x201
	v_mul_f64_e32 v[14:15], v[2:3], v[28:29]
	v_mul_f64_e32 v[20:21], v[4:5], v[28:29]
	s_wait_loadcnt_dscnt 0x100
	v_mul_f64_e32 v[24:25], v[8:9], v[32:33]
	v_add_f64_e32 v[10:11], v[10:11], v[18:19]
	v_add_f64_e32 v[12:13], v[12:13], v[38:39]
	v_mul_f64_e32 v[18:19], v[6:7], v[32:33]
	v_fma_f64 v[4:5], v[4:5], v[26:27], v[14:15]
	v_fma_f64 v[1:2], v[2:3], v[26:27], -v[20:21]
	v_fma_f64 v[6:7], v[6:7], v[30:31], -v[24:25]
	v_add_f64_e32 v[10:11], v[10:11], v[22:23]
	v_add_f64_e32 v[12:13], v[12:13], v[16:17]
	v_fma_f64 v[8:9], v[8:9], v[30:31], v[18:19]
	s_delay_alu instid0(VALU_DEP_3) | instskip(NEXT) | instid1(VALU_DEP_3)
	v_add_f64_e32 v[1:2], v[10:11], v[1:2]
	v_add_f64_e32 v[3:4], v[12:13], v[4:5]
	s_delay_alu instid0(VALU_DEP_2) | instskip(NEXT) | instid1(VALU_DEP_2)
	v_add_f64_e32 v[1:2], v[1:2], v[6:7]
	v_add_f64_e32 v[3:4], v[3:4], v[8:9]
	s_wait_loadcnt 0x0
	s_delay_alu instid0(VALU_DEP_2) | instskip(NEXT) | instid1(VALU_DEP_2)
	v_add_f64_e64 v[1:2], v[34:35], -v[1:2]
	v_add_f64_e64 v[3:4], v[36:37], -v[3:4]
	scratch_store_b128 off, v[1:4], off offset:208
	v_cmpx_lt_u32_e32 11, v0
	s_cbranch_execz .LBB124_369
; %bb.368:
	scratch_load_b128 v[1:4], off, s65
	v_mov_b32_e32 v5, 0
	s_delay_alu instid0(VALU_DEP_1)
	v_dual_mov_b32 v6, v5 :: v_dual_mov_b32 v7, v5
	v_mov_b32_e32 v8, v5
	scratch_store_b128 off, v[5:8], off offset:192
	s_wait_loadcnt 0x0
	ds_store_b128 v164, v[1:4]
.LBB124_369:
	s_wait_alu 0xfffe
	s_or_b32 exec_lo, exec_lo, s0
	s_wait_storecnt_dscnt 0x0
	s_barrier_signal -1
	s_barrier_wait -1
	global_inv scope:SCOPE_SE
	s_clause 0x7
	scratch_load_b128 v[2:5], off, off offset:208
	scratch_load_b128 v[6:9], off, off offset:224
	;; [unrolled: 1-line block ×8, first 2 shown]
	v_mov_b32_e32 v1, 0
	s_clause 0x1
	scratch_load_b128 v[34:37], off, off offset:336
	scratch_load_b128 v[169:172], off, off offset:352
	s_mov_b32 s0, exec_lo
	ds_load_b128 v[38:41], v1 offset:1168
	ds_load_b128 v[165:168], v1 offset:1184
	s_wait_loadcnt_dscnt 0x901
	v_mul_f64_e32 v[173:174], v[40:41], v[4:5]
	v_mul_f64_e32 v[4:5], v[38:39], v[4:5]
	s_wait_loadcnt_dscnt 0x800
	v_mul_f64_e32 v[175:176], v[165:166], v[8:9]
	v_mul_f64_e32 v[8:9], v[167:168], v[8:9]
	s_delay_alu instid0(VALU_DEP_4) | instskip(NEXT) | instid1(VALU_DEP_4)
	v_fma_f64 v[173:174], v[38:39], v[2:3], -v[173:174]
	v_fma_f64 v[177:178], v[40:41], v[2:3], v[4:5]
	ds_load_b128 v[2:5], v1 offset:1200
	scratch_load_b128 v[38:41], off, off offset:368
	v_fma_f64 v[175:176], v[167:168], v[6:7], v[175:176]
	v_fma_f64 v[181:182], v[165:166], v[6:7], -v[8:9]
	ds_load_b128 v[6:9], v1 offset:1216
	scratch_load_b128 v[165:168], off, off offset:384
	s_wait_loadcnt_dscnt 0x901
	v_mul_f64_e32 v[179:180], v[2:3], v[12:13]
	v_mul_f64_e32 v[12:13], v[4:5], v[12:13]
	s_wait_loadcnt_dscnt 0x800
	v_mul_f64_e32 v[183:184], v[6:7], v[16:17]
	v_mul_f64_e32 v[16:17], v[8:9], v[16:17]
	v_add_f64_e32 v[173:174], 0, v[173:174]
	v_add_f64_e32 v[177:178], 0, v[177:178]
	v_fma_f64 v[179:180], v[4:5], v[10:11], v[179:180]
	v_fma_f64 v[185:186], v[2:3], v[10:11], -v[12:13]
	ds_load_b128 v[2:5], v1 offset:1232
	scratch_load_b128 v[10:13], off, off offset:400
	v_add_f64_e32 v[173:174], v[173:174], v[181:182]
	v_add_f64_e32 v[175:176], v[177:178], v[175:176]
	v_fma_f64 v[181:182], v[8:9], v[14:15], v[183:184]
	v_fma_f64 v[183:184], v[6:7], v[14:15], -v[16:17]
	ds_load_b128 v[6:9], v1 offset:1248
	scratch_load_b128 v[14:17], off, off offset:416
	s_wait_loadcnt_dscnt 0x901
	v_mul_f64_e32 v[177:178], v[2:3], v[20:21]
	v_mul_f64_e32 v[20:21], v[4:5], v[20:21]
	v_add_f64_e32 v[173:174], v[173:174], v[185:186]
	v_add_f64_e32 v[175:176], v[175:176], v[179:180]
	s_wait_loadcnt_dscnt 0x800
	v_mul_f64_e32 v[179:180], v[6:7], v[24:25]
	v_mul_f64_e32 v[24:25], v[8:9], v[24:25]
	v_fma_f64 v[177:178], v[4:5], v[18:19], v[177:178]
	v_fma_f64 v[185:186], v[2:3], v[18:19], -v[20:21]
	ds_load_b128 v[2:5], v1 offset:1264
	scratch_load_b128 v[18:21], off, off offset:432
	v_add_f64_e32 v[173:174], v[173:174], v[183:184]
	v_add_f64_e32 v[175:176], v[175:176], v[181:182]
	v_fma_f64 v[179:180], v[8:9], v[22:23], v[179:180]
	v_fma_f64 v[183:184], v[6:7], v[22:23], -v[24:25]
	ds_load_b128 v[6:9], v1 offset:1280
	s_wait_loadcnt_dscnt 0x801
	v_mul_f64_e32 v[181:182], v[2:3], v[28:29]
	v_mul_f64_e32 v[28:29], v[4:5], v[28:29]
	scratch_load_b128 v[22:25], off, off offset:448
	v_add_f64_e32 v[173:174], v[173:174], v[185:186]
	v_add_f64_e32 v[175:176], v[175:176], v[177:178]
	s_wait_loadcnt_dscnt 0x800
	v_mul_f64_e32 v[177:178], v[6:7], v[32:33]
	v_mul_f64_e32 v[32:33], v[8:9], v[32:33]
	v_fma_f64 v[181:182], v[4:5], v[26:27], v[181:182]
	v_fma_f64 v[185:186], v[2:3], v[26:27], -v[28:29]
	ds_load_b128 v[2:5], v1 offset:1296
	scratch_load_b128 v[26:29], off, off offset:464
	v_add_f64_e32 v[173:174], v[173:174], v[183:184]
	v_add_f64_e32 v[175:176], v[175:176], v[179:180]
	v_fma_f64 v[177:178], v[8:9], v[30:31], v[177:178]
	v_fma_f64 v[183:184], v[6:7], v[30:31], -v[32:33]
	ds_load_b128 v[6:9], v1 offset:1312
	s_wait_loadcnt_dscnt 0x801
	v_mul_f64_e32 v[179:180], v[2:3], v[36:37]
	v_mul_f64_e32 v[36:37], v[4:5], v[36:37]
	scratch_load_b128 v[30:33], off, off offset:480
	v_add_f64_e32 v[173:174], v[173:174], v[185:186]
	v_add_f64_e32 v[175:176], v[175:176], v[181:182]
	s_wait_loadcnt_dscnt 0x800
	v_mul_f64_e32 v[181:182], v[6:7], v[171:172]
	v_mul_f64_e32 v[171:172], v[8:9], v[171:172]
	v_fma_f64 v[179:180], v[4:5], v[34:35], v[179:180]
	v_fma_f64 v[185:186], v[2:3], v[34:35], -v[36:37]
	ds_load_b128 v[2:5], v1 offset:1328
	scratch_load_b128 v[34:37], off, off offset:496
	v_add_f64_e32 v[173:174], v[173:174], v[183:184]
	v_add_f64_e32 v[175:176], v[175:176], v[177:178]
	v_fma_f64 v[181:182], v[8:9], v[169:170], v[181:182]
	v_fma_f64 v[183:184], v[6:7], v[169:170], -v[171:172]
	ds_load_b128 v[6:9], v1 offset:1344
	scratch_load_b128 v[169:172], off, off offset:512
	s_wait_loadcnt_dscnt 0x901
	v_mul_f64_e32 v[177:178], v[2:3], v[40:41]
	v_mul_f64_e32 v[40:41], v[4:5], v[40:41]
	v_add_f64_e32 v[173:174], v[173:174], v[185:186]
	v_add_f64_e32 v[175:176], v[175:176], v[179:180]
	s_wait_loadcnt_dscnt 0x800
	v_mul_f64_e32 v[179:180], v[6:7], v[167:168]
	v_mul_f64_e32 v[167:168], v[8:9], v[167:168]
	v_fma_f64 v[177:178], v[4:5], v[38:39], v[177:178]
	v_fma_f64 v[185:186], v[2:3], v[38:39], -v[40:41]
	ds_load_b128 v[2:5], v1 offset:1360
	scratch_load_b128 v[38:41], off, off offset:528
	v_add_f64_e32 v[173:174], v[173:174], v[183:184]
	v_add_f64_e32 v[175:176], v[175:176], v[181:182]
	v_fma_f64 v[179:180], v[8:9], v[165:166], v[179:180]
	v_fma_f64 v[183:184], v[6:7], v[165:166], -v[167:168]
	ds_load_b128 v[6:9], v1 offset:1376
	s_wait_loadcnt_dscnt 0x801
	v_mul_f64_e32 v[181:182], v[2:3], v[12:13]
	v_mul_f64_e32 v[12:13], v[4:5], v[12:13]
	scratch_load_b128 v[165:168], off, off offset:544
	v_add_f64_e32 v[173:174], v[173:174], v[185:186]
	v_add_f64_e32 v[175:176], v[175:176], v[177:178]
	s_wait_loadcnt_dscnt 0x800
	v_mul_f64_e32 v[177:178], v[6:7], v[16:17]
	v_mul_f64_e32 v[16:17], v[8:9], v[16:17]
	v_fma_f64 v[181:182], v[4:5], v[10:11], v[181:182]
	v_fma_f64 v[185:186], v[2:3], v[10:11], -v[12:13]
	ds_load_b128 v[2:5], v1 offset:1392
	scratch_load_b128 v[10:13], off, off offset:560
	v_add_f64_e32 v[173:174], v[173:174], v[183:184]
	v_add_f64_e32 v[175:176], v[175:176], v[179:180]
	v_fma_f64 v[177:178], v[8:9], v[14:15], v[177:178]
	v_fma_f64 v[183:184], v[6:7], v[14:15], -v[16:17]
	ds_load_b128 v[6:9], v1 offset:1408
	s_wait_loadcnt_dscnt 0x801
	v_mul_f64_e32 v[179:180], v[2:3], v[20:21]
	v_mul_f64_e32 v[20:21], v[4:5], v[20:21]
	scratch_load_b128 v[14:17], off, off offset:576
	;; [unrolled: 18-line block ×14, first 2 shown]
	v_add_f64_e32 v[173:174], v[173:174], v[185:186]
	v_add_f64_e32 v[175:176], v[175:176], v[181:182]
	s_wait_loadcnt_dscnt 0x800
	v_mul_f64_e32 v[181:182], v[6:7], v[171:172]
	v_mul_f64_e32 v[171:172], v[8:9], v[171:172]
	v_fma_f64 v[179:180], v[4:5], v[34:35], v[179:180]
	v_fma_f64 v[185:186], v[2:3], v[34:35], -v[36:37]
	ds_load_b128 v[2:5], v1 offset:1808
	scratch_load_b128 v[34:37], off, off offset:976
	v_add_f64_e32 v[173:174], v[173:174], v[183:184]
	v_add_f64_e32 v[175:176], v[175:176], v[177:178]
	v_fma_f64 v[181:182], v[8:9], v[169:170], v[181:182]
	v_fma_f64 v[169:170], v[6:7], v[169:170], -v[171:172]
	ds_load_b128 v[6:9], v1 offset:1824
	s_wait_loadcnt_dscnt 0x801
	v_mul_f64_e32 v[177:178], v[2:3], v[40:41]
	v_mul_f64_e32 v[40:41], v[4:5], v[40:41]
	v_add_f64_e32 v[171:172], v[173:174], v[185:186]
	v_add_f64_e32 v[173:174], v[175:176], v[179:180]
	s_wait_loadcnt_dscnt 0x700
	v_mul_f64_e32 v[175:176], v[6:7], v[167:168]
	v_mul_f64_e32 v[167:168], v[8:9], v[167:168]
	v_fma_f64 v[177:178], v[4:5], v[38:39], v[177:178]
	v_fma_f64 v[38:39], v[2:3], v[38:39], -v[40:41]
	ds_load_b128 v[2:5], v1 offset:1840
	v_add_f64_e32 v[40:41], v[171:172], v[169:170]
	v_add_f64_e32 v[169:170], v[173:174], v[181:182]
	v_fma_f64 v[173:174], v[8:9], v[165:166], v[175:176]
	v_fma_f64 v[165:166], v[6:7], v[165:166], -v[167:168]
	ds_load_b128 v[6:9], v1 offset:1856
	s_wait_loadcnt_dscnt 0x500
	v_mul_f64_e32 v[175:176], v[6:7], v[16:17]
	v_mul_f64_e32 v[16:17], v[8:9], v[16:17]
	v_add_f64_e32 v[167:168], v[40:41], v[38:39]
	v_add_f64_e32 v[169:170], v[169:170], v[177:178]
	scratch_load_b128 v[38:41], off, off offset:192
	v_mul_f64_e32 v[171:172], v[2:3], v[12:13]
	v_mul_f64_e32 v[12:13], v[4:5], v[12:13]
	s_delay_alu instid0(VALU_DEP_2) | instskip(NEXT) | instid1(VALU_DEP_2)
	v_fma_f64 v[171:172], v[4:5], v[10:11], v[171:172]
	v_fma_f64 v[10:11], v[2:3], v[10:11], -v[12:13]
	v_add_f64_e32 v[12:13], v[167:168], v[165:166]
	v_add_f64_e32 v[165:166], v[169:170], v[173:174]
	ds_load_b128 v[2:5], v1 offset:1872
	v_fma_f64 v[169:170], v[8:9], v[14:15], v[175:176]
	v_fma_f64 v[14:15], v[6:7], v[14:15], -v[16:17]
	ds_load_b128 v[6:9], v1 offset:1888
	s_wait_loadcnt_dscnt 0x501
	v_mul_f64_e32 v[167:168], v[2:3], v[20:21]
	v_mul_f64_e32 v[20:21], v[4:5], v[20:21]
	s_wait_loadcnt_dscnt 0x400
	v_mul_f64_e32 v[16:17], v[6:7], v[24:25]
	v_mul_f64_e32 v[24:25], v[8:9], v[24:25]
	v_add_f64_e32 v[10:11], v[12:13], v[10:11]
	v_add_f64_e32 v[12:13], v[165:166], v[171:172]
	v_fma_f64 v[165:166], v[4:5], v[18:19], v[167:168]
	v_fma_f64 v[18:19], v[2:3], v[18:19], -v[20:21]
	ds_load_b128 v[2:5], v1 offset:1904
	v_fma_f64 v[16:17], v[8:9], v[22:23], v[16:17]
	v_fma_f64 v[22:23], v[6:7], v[22:23], -v[24:25]
	ds_load_b128 v[6:9], v1 offset:1920
	v_add_f64_e32 v[10:11], v[10:11], v[14:15]
	v_add_f64_e32 v[12:13], v[12:13], v[169:170]
	s_wait_loadcnt_dscnt 0x301
	v_mul_f64_e32 v[14:15], v[2:3], v[28:29]
	v_mul_f64_e32 v[20:21], v[4:5], v[28:29]
	s_wait_loadcnt_dscnt 0x200
	v_mul_f64_e32 v[24:25], v[8:9], v[32:33]
	v_add_f64_e32 v[10:11], v[10:11], v[18:19]
	v_add_f64_e32 v[12:13], v[12:13], v[165:166]
	v_mul_f64_e32 v[18:19], v[6:7], v[32:33]
	v_fma_f64 v[14:15], v[4:5], v[26:27], v[14:15]
	v_fma_f64 v[20:21], v[2:3], v[26:27], -v[20:21]
	ds_load_b128 v[2:5], v1 offset:1936
	v_fma_f64 v[6:7], v[6:7], v[30:31], -v[24:25]
	v_add_f64_e32 v[10:11], v[10:11], v[22:23]
	v_add_f64_e32 v[12:13], v[12:13], v[16:17]
	s_wait_loadcnt_dscnt 0x100
	v_mul_f64_e32 v[16:17], v[2:3], v[36:37]
	v_mul_f64_e32 v[22:23], v[4:5], v[36:37]
	v_fma_f64 v[8:9], v[8:9], v[30:31], v[18:19]
	v_add_f64_e32 v[10:11], v[10:11], v[20:21]
	v_add_f64_e32 v[12:13], v[12:13], v[14:15]
	v_fma_f64 v[4:5], v[4:5], v[34:35], v[16:17]
	v_fma_f64 v[2:3], v[2:3], v[34:35], -v[22:23]
	s_delay_alu instid0(VALU_DEP_4) | instskip(NEXT) | instid1(VALU_DEP_4)
	v_add_f64_e32 v[6:7], v[10:11], v[6:7]
	v_add_f64_e32 v[8:9], v[12:13], v[8:9]
	s_delay_alu instid0(VALU_DEP_2) | instskip(NEXT) | instid1(VALU_DEP_2)
	v_add_f64_e32 v[2:3], v[6:7], v[2:3]
	v_add_f64_e32 v[4:5], v[8:9], v[4:5]
	s_wait_loadcnt 0x0
	s_delay_alu instid0(VALU_DEP_2) | instskip(NEXT) | instid1(VALU_DEP_2)
	v_add_f64_e64 v[2:3], v[38:39], -v[2:3]
	v_add_f64_e64 v[4:5], v[40:41], -v[4:5]
	scratch_store_b128 off, v[2:5], off offset:192
	v_cmpx_lt_u32_e32 10, v0
	s_cbranch_execz .LBB124_371
; %bb.370:
	scratch_load_b128 v[5:8], off, s66
	v_dual_mov_b32 v2, v1 :: v_dual_mov_b32 v3, v1
	v_mov_b32_e32 v4, v1
	scratch_store_b128 off, v[1:4], off offset:176
	s_wait_loadcnt 0x0
	ds_store_b128 v164, v[5:8]
.LBB124_371:
	s_wait_alu 0xfffe
	s_or_b32 exec_lo, exec_lo, s0
	s_wait_storecnt_dscnt 0x0
	s_barrier_signal -1
	s_barrier_wait -1
	global_inv scope:SCOPE_SE
	s_clause 0x7
	scratch_load_b128 v[2:5], off, off offset:192
	scratch_load_b128 v[6:9], off, off offset:208
	;; [unrolled: 1-line block ×8, first 2 shown]
	ds_load_b128 v[38:41], v1 offset:1152
	ds_load_b128 v[165:168], v1 offset:1168
	s_clause 0x1
	scratch_load_b128 v[34:37], off, off offset:320
	scratch_load_b128 v[169:172], off, off offset:336
	s_mov_b32 s0, exec_lo
	s_wait_loadcnt_dscnt 0x901
	v_mul_f64_e32 v[173:174], v[40:41], v[4:5]
	v_mul_f64_e32 v[4:5], v[38:39], v[4:5]
	s_wait_loadcnt_dscnt 0x800
	v_mul_f64_e32 v[175:176], v[165:166], v[8:9]
	v_mul_f64_e32 v[8:9], v[167:168], v[8:9]
	s_delay_alu instid0(VALU_DEP_4) | instskip(NEXT) | instid1(VALU_DEP_4)
	v_fma_f64 v[173:174], v[38:39], v[2:3], -v[173:174]
	v_fma_f64 v[177:178], v[40:41], v[2:3], v[4:5]
	ds_load_b128 v[2:5], v1 offset:1184
	scratch_load_b128 v[38:41], off, off offset:352
	v_fma_f64 v[175:176], v[167:168], v[6:7], v[175:176]
	v_fma_f64 v[181:182], v[165:166], v[6:7], -v[8:9]
	ds_load_b128 v[6:9], v1 offset:1200
	scratch_load_b128 v[165:168], off, off offset:368
	s_wait_loadcnt_dscnt 0x901
	v_mul_f64_e32 v[179:180], v[2:3], v[12:13]
	v_mul_f64_e32 v[12:13], v[4:5], v[12:13]
	s_wait_loadcnt_dscnt 0x800
	v_mul_f64_e32 v[183:184], v[6:7], v[16:17]
	v_mul_f64_e32 v[16:17], v[8:9], v[16:17]
	v_add_f64_e32 v[173:174], 0, v[173:174]
	v_add_f64_e32 v[177:178], 0, v[177:178]
	v_fma_f64 v[179:180], v[4:5], v[10:11], v[179:180]
	v_fma_f64 v[185:186], v[2:3], v[10:11], -v[12:13]
	ds_load_b128 v[2:5], v1 offset:1216
	scratch_load_b128 v[10:13], off, off offset:384
	v_add_f64_e32 v[173:174], v[173:174], v[181:182]
	v_add_f64_e32 v[175:176], v[177:178], v[175:176]
	v_fma_f64 v[181:182], v[8:9], v[14:15], v[183:184]
	v_fma_f64 v[183:184], v[6:7], v[14:15], -v[16:17]
	ds_load_b128 v[6:9], v1 offset:1232
	scratch_load_b128 v[14:17], off, off offset:400
	s_wait_loadcnt_dscnt 0x901
	v_mul_f64_e32 v[177:178], v[2:3], v[20:21]
	v_mul_f64_e32 v[20:21], v[4:5], v[20:21]
	v_add_f64_e32 v[173:174], v[173:174], v[185:186]
	v_add_f64_e32 v[175:176], v[175:176], v[179:180]
	s_wait_loadcnt_dscnt 0x800
	v_mul_f64_e32 v[179:180], v[6:7], v[24:25]
	v_mul_f64_e32 v[24:25], v[8:9], v[24:25]
	v_fma_f64 v[177:178], v[4:5], v[18:19], v[177:178]
	v_fma_f64 v[185:186], v[2:3], v[18:19], -v[20:21]
	ds_load_b128 v[2:5], v1 offset:1248
	scratch_load_b128 v[18:21], off, off offset:416
	v_add_f64_e32 v[173:174], v[173:174], v[183:184]
	v_add_f64_e32 v[175:176], v[175:176], v[181:182]
	v_fma_f64 v[179:180], v[8:9], v[22:23], v[179:180]
	v_fma_f64 v[183:184], v[6:7], v[22:23], -v[24:25]
	ds_load_b128 v[6:9], v1 offset:1264
	s_wait_loadcnt_dscnt 0x801
	v_mul_f64_e32 v[181:182], v[2:3], v[28:29]
	v_mul_f64_e32 v[28:29], v[4:5], v[28:29]
	scratch_load_b128 v[22:25], off, off offset:432
	v_add_f64_e32 v[173:174], v[173:174], v[185:186]
	v_add_f64_e32 v[175:176], v[175:176], v[177:178]
	s_wait_loadcnt_dscnt 0x800
	v_mul_f64_e32 v[177:178], v[6:7], v[32:33]
	v_mul_f64_e32 v[32:33], v[8:9], v[32:33]
	v_fma_f64 v[181:182], v[4:5], v[26:27], v[181:182]
	v_fma_f64 v[185:186], v[2:3], v[26:27], -v[28:29]
	ds_load_b128 v[2:5], v1 offset:1280
	scratch_load_b128 v[26:29], off, off offset:448
	v_add_f64_e32 v[173:174], v[173:174], v[183:184]
	v_add_f64_e32 v[175:176], v[175:176], v[179:180]
	v_fma_f64 v[177:178], v[8:9], v[30:31], v[177:178]
	v_fma_f64 v[183:184], v[6:7], v[30:31], -v[32:33]
	ds_load_b128 v[6:9], v1 offset:1296
	s_wait_loadcnt_dscnt 0x801
	v_mul_f64_e32 v[179:180], v[2:3], v[36:37]
	v_mul_f64_e32 v[36:37], v[4:5], v[36:37]
	scratch_load_b128 v[30:33], off, off offset:464
	v_add_f64_e32 v[173:174], v[173:174], v[185:186]
	v_add_f64_e32 v[175:176], v[175:176], v[181:182]
	s_wait_loadcnt_dscnt 0x800
	v_mul_f64_e32 v[181:182], v[6:7], v[171:172]
	v_mul_f64_e32 v[171:172], v[8:9], v[171:172]
	v_fma_f64 v[179:180], v[4:5], v[34:35], v[179:180]
	v_fma_f64 v[185:186], v[2:3], v[34:35], -v[36:37]
	ds_load_b128 v[2:5], v1 offset:1312
	scratch_load_b128 v[34:37], off, off offset:480
	v_add_f64_e32 v[173:174], v[173:174], v[183:184]
	v_add_f64_e32 v[175:176], v[175:176], v[177:178]
	v_fma_f64 v[181:182], v[8:9], v[169:170], v[181:182]
	v_fma_f64 v[183:184], v[6:7], v[169:170], -v[171:172]
	ds_load_b128 v[6:9], v1 offset:1328
	scratch_load_b128 v[169:172], off, off offset:496
	s_wait_loadcnt_dscnt 0x901
	v_mul_f64_e32 v[177:178], v[2:3], v[40:41]
	v_mul_f64_e32 v[40:41], v[4:5], v[40:41]
	v_add_f64_e32 v[173:174], v[173:174], v[185:186]
	v_add_f64_e32 v[175:176], v[175:176], v[179:180]
	s_wait_loadcnt_dscnt 0x800
	v_mul_f64_e32 v[179:180], v[6:7], v[167:168]
	v_mul_f64_e32 v[167:168], v[8:9], v[167:168]
	v_fma_f64 v[177:178], v[4:5], v[38:39], v[177:178]
	v_fma_f64 v[185:186], v[2:3], v[38:39], -v[40:41]
	ds_load_b128 v[2:5], v1 offset:1344
	scratch_load_b128 v[38:41], off, off offset:512
	v_add_f64_e32 v[173:174], v[173:174], v[183:184]
	v_add_f64_e32 v[175:176], v[175:176], v[181:182]
	v_fma_f64 v[179:180], v[8:9], v[165:166], v[179:180]
	v_fma_f64 v[183:184], v[6:7], v[165:166], -v[167:168]
	ds_load_b128 v[6:9], v1 offset:1360
	s_wait_loadcnt_dscnt 0x801
	v_mul_f64_e32 v[181:182], v[2:3], v[12:13]
	v_mul_f64_e32 v[12:13], v[4:5], v[12:13]
	scratch_load_b128 v[165:168], off, off offset:528
	v_add_f64_e32 v[173:174], v[173:174], v[185:186]
	v_add_f64_e32 v[175:176], v[175:176], v[177:178]
	s_wait_loadcnt_dscnt 0x800
	v_mul_f64_e32 v[177:178], v[6:7], v[16:17]
	v_mul_f64_e32 v[16:17], v[8:9], v[16:17]
	v_fma_f64 v[181:182], v[4:5], v[10:11], v[181:182]
	v_fma_f64 v[185:186], v[2:3], v[10:11], -v[12:13]
	ds_load_b128 v[2:5], v1 offset:1376
	scratch_load_b128 v[10:13], off, off offset:544
	v_add_f64_e32 v[173:174], v[173:174], v[183:184]
	v_add_f64_e32 v[175:176], v[175:176], v[179:180]
	v_fma_f64 v[177:178], v[8:9], v[14:15], v[177:178]
	v_fma_f64 v[183:184], v[6:7], v[14:15], -v[16:17]
	ds_load_b128 v[6:9], v1 offset:1392
	s_wait_loadcnt_dscnt 0x801
	v_mul_f64_e32 v[179:180], v[2:3], v[20:21]
	v_mul_f64_e32 v[20:21], v[4:5], v[20:21]
	scratch_load_b128 v[14:17], off, off offset:560
	;; [unrolled: 18-line block ×6, first 2 shown]
	v_add_f64_e32 v[173:174], v[173:174], v[185:186]
	v_add_f64_e32 v[175:176], v[175:176], v[179:180]
	s_wait_loadcnt_dscnt 0x800
	v_mul_f64_e32 v[179:180], v[6:7], v[16:17]
	v_mul_f64_e32 v[16:17], v[8:9], v[16:17]
	v_fma_f64 v[177:178], v[4:5], v[10:11], v[177:178]
	v_fma_f64 v[185:186], v[2:3], v[10:11], -v[12:13]
	scratch_load_b128 v[10:13], off, off offset:704
	ds_load_b128 v[2:5], v1 offset:1536
	v_add_f64_e32 v[173:174], v[173:174], v[183:184]
	v_add_f64_e32 v[175:176], v[175:176], v[181:182]
	v_fma_f64 v[179:180], v[8:9], v[14:15], v[179:180]
	v_fma_f64 v[183:184], v[6:7], v[14:15], -v[16:17]
	ds_load_b128 v[6:9], v1 offset:1552
	s_wait_loadcnt_dscnt 0x801
	v_mul_f64_e32 v[181:182], v[2:3], v[20:21]
	v_mul_f64_e32 v[20:21], v[4:5], v[20:21]
	scratch_load_b128 v[14:17], off, off offset:720
	v_add_f64_e32 v[173:174], v[173:174], v[185:186]
	v_add_f64_e32 v[175:176], v[175:176], v[177:178]
	s_wait_loadcnt_dscnt 0x800
	v_mul_f64_e32 v[177:178], v[6:7], v[24:25]
	v_mul_f64_e32 v[24:25], v[8:9], v[24:25]
	v_fma_f64 v[181:182], v[4:5], v[18:19], v[181:182]
	v_fma_f64 v[185:186], v[2:3], v[18:19], -v[20:21]
	ds_load_b128 v[2:5], v1 offset:1568
	scratch_load_b128 v[18:21], off, off offset:736
	v_add_f64_e32 v[173:174], v[173:174], v[183:184]
	v_add_f64_e32 v[175:176], v[175:176], v[179:180]
	v_fma_f64 v[177:178], v[8:9], v[22:23], v[177:178]
	v_fma_f64 v[183:184], v[6:7], v[22:23], -v[24:25]
	ds_load_b128 v[6:9], v1 offset:1584
	s_wait_loadcnt_dscnt 0x801
	v_mul_f64_e32 v[179:180], v[2:3], v[28:29]
	v_mul_f64_e32 v[28:29], v[4:5], v[28:29]
	scratch_load_b128 v[22:25], off, off offset:752
	v_add_f64_e32 v[173:174], v[173:174], v[185:186]
	v_add_f64_e32 v[175:176], v[175:176], v[181:182]
	s_wait_loadcnt_dscnt 0x800
	v_mul_f64_e32 v[181:182], v[6:7], v[32:33]
	v_mul_f64_e32 v[32:33], v[8:9], v[32:33]
	v_fma_f64 v[179:180], v[4:5], v[26:27], v[179:180]
	v_fma_f64 v[185:186], v[2:3], v[26:27], -v[28:29]
	ds_load_b128 v[2:5], v1 offset:1600
	scratch_load_b128 v[26:29], off, off offset:768
	;; [unrolled: 18-line block ×4, first 2 shown]
	v_add_f64_e32 v[173:174], v[173:174], v[183:184]
	v_add_f64_e32 v[175:176], v[175:176], v[179:180]
	v_fma_f64 v[177:178], v[8:9], v[165:166], v[177:178]
	v_fma_f64 v[183:184], v[6:7], v[165:166], -v[167:168]
	ds_load_b128 v[6:9], v1 offset:1680
	s_wait_loadcnt_dscnt 0x801
	v_mul_f64_e32 v[179:180], v[2:3], v[12:13]
	v_mul_f64_e32 v[12:13], v[4:5], v[12:13]
	scratch_load_b128 v[165:168], off, off offset:848
	v_add_f64_e32 v[173:174], v[173:174], v[185:186]
	v_add_f64_e32 v[175:176], v[175:176], v[181:182]
	s_wait_loadcnt_dscnt 0x800
	v_mul_f64_e32 v[181:182], v[6:7], v[16:17]
	v_mul_f64_e32 v[16:17], v[8:9], v[16:17]
	v_fma_f64 v[179:180], v[4:5], v[10:11], v[179:180]
	v_fma_f64 v[185:186], v[2:3], v[10:11], -v[12:13]
	scratch_load_b128 v[10:13], off, off offset:864
	ds_load_b128 v[2:5], v1 offset:1696
	v_add_f64_e32 v[173:174], v[173:174], v[183:184]
	v_add_f64_e32 v[175:176], v[175:176], v[177:178]
	v_fma_f64 v[181:182], v[8:9], v[14:15], v[181:182]
	v_fma_f64 v[183:184], v[6:7], v[14:15], -v[16:17]
	ds_load_b128 v[6:9], v1 offset:1712
	s_wait_loadcnt_dscnt 0x801
	v_mul_f64_e32 v[177:178], v[2:3], v[20:21]
	v_mul_f64_e32 v[20:21], v[4:5], v[20:21]
	scratch_load_b128 v[14:17], off, off offset:880
	v_add_f64_e32 v[173:174], v[173:174], v[185:186]
	v_add_f64_e32 v[175:176], v[175:176], v[179:180]
	s_wait_loadcnt_dscnt 0x800
	v_mul_f64_e32 v[179:180], v[6:7], v[24:25]
	v_mul_f64_e32 v[24:25], v[8:9], v[24:25]
	v_fma_f64 v[177:178], v[4:5], v[18:19], v[177:178]
	v_fma_f64 v[185:186], v[2:3], v[18:19], -v[20:21]
	ds_load_b128 v[2:5], v1 offset:1728
	scratch_load_b128 v[18:21], off, off offset:896
	v_add_f64_e32 v[173:174], v[173:174], v[183:184]
	v_add_f64_e32 v[175:176], v[175:176], v[181:182]
	v_fma_f64 v[179:180], v[8:9], v[22:23], v[179:180]
	v_fma_f64 v[183:184], v[6:7], v[22:23], -v[24:25]
	ds_load_b128 v[6:9], v1 offset:1744
	s_wait_loadcnt_dscnt 0x801
	v_mul_f64_e32 v[181:182], v[2:3], v[28:29]
	v_mul_f64_e32 v[28:29], v[4:5], v[28:29]
	scratch_load_b128 v[22:25], off, off offset:912
	v_add_f64_e32 v[173:174], v[173:174], v[185:186]
	v_add_f64_e32 v[175:176], v[175:176], v[177:178]
	s_wait_loadcnt_dscnt 0x800
	v_mul_f64_e32 v[177:178], v[6:7], v[32:33]
	v_mul_f64_e32 v[32:33], v[8:9], v[32:33]
	v_fma_f64 v[181:182], v[4:5], v[26:27], v[181:182]
	v_fma_f64 v[185:186], v[2:3], v[26:27], -v[28:29]
	ds_load_b128 v[2:5], v1 offset:1760
	scratch_load_b128 v[26:29], off, off offset:928
	;; [unrolled: 18-line block ×3, first 2 shown]
	v_add_f64_e32 v[173:174], v[173:174], v[183:184]
	v_add_f64_e32 v[175:176], v[175:176], v[177:178]
	v_fma_f64 v[181:182], v[8:9], v[169:170], v[181:182]
	v_fma_f64 v[183:184], v[6:7], v[169:170], -v[171:172]
	ds_load_b128 v[6:9], v1 offset:1808
	s_wait_loadcnt_dscnt 0x801
	v_mul_f64_e32 v[177:178], v[2:3], v[40:41]
	v_mul_f64_e32 v[40:41], v[4:5], v[40:41]
	scratch_load_b128 v[169:172], off, off offset:976
	v_add_f64_e32 v[173:174], v[173:174], v[185:186]
	v_add_f64_e32 v[175:176], v[175:176], v[179:180]
	v_fma_f64 v[177:178], v[4:5], v[38:39], v[177:178]
	v_fma_f64 v[38:39], v[2:3], v[38:39], -v[40:41]
	ds_load_b128 v[2:5], v1 offset:1824
	v_add_f64_e32 v[40:41], v[173:174], v[183:184]
	v_add_f64_e32 v[173:174], v[175:176], v[181:182]
	s_wait_loadcnt_dscnt 0x700
	v_mul_f64_e32 v[175:176], v[2:3], v[12:13]
	v_mul_f64_e32 v[12:13], v[4:5], v[12:13]
	s_delay_alu instid0(VALU_DEP_4) | instskip(NEXT) | instid1(VALU_DEP_4)
	v_add_f64_e32 v[38:39], v[40:41], v[38:39]
	v_add_f64_e32 v[40:41], v[173:174], v[177:178]
	s_delay_alu instid0(VALU_DEP_4) | instskip(NEXT) | instid1(VALU_DEP_4)
	v_fma_f64 v[173:174], v[4:5], v[10:11], v[175:176]
	v_fma_f64 v[175:176], v[2:3], v[10:11], -v[12:13]
	scratch_load_b128 v[10:13], off, off offset:176
	v_mul_f64_e32 v[179:180], v[6:7], v[167:168]
	v_mul_f64_e32 v[167:168], v[8:9], v[167:168]
	ds_load_b128 v[2:5], v1 offset:1856
	v_fma_f64 v[179:180], v[8:9], v[165:166], v[179:180]
	v_fma_f64 v[165:166], v[6:7], v[165:166], -v[167:168]
	ds_load_b128 v[6:9], v1 offset:1840
	s_wait_loadcnt_dscnt 0x700
	v_mul_f64_e32 v[167:168], v[6:7], v[16:17]
	v_mul_f64_e32 v[16:17], v[8:9], v[16:17]
	v_add_f64_e32 v[40:41], v[40:41], v[179:180]
	v_add_f64_e32 v[38:39], v[38:39], v[165:166]
	s_wait_loadcnt 0x6
	v_mul_f64_e32 v[165:166], v[2:3], v[20:21]
	v_mul_f64_e32 v[20:21], v[4:5], v[20:21]
	v_fma_f64 v[167:168], v[8:9], v[14:15], v[167:168]
	v_fma_f64 v[14:15], v[6:7], v[14:15], -v[16:17]
	ds_load_b128 v[6:9], v1 offset:1872
	v_add_f64_e32 v[16:17], v[38:39], v[175:176]
	v_add_f64_e32 v[38:39], v[40:41], v[173:174]
	v_fma_f64 v[165:166], v[4:5], v[18:19], v[165:166]
	v_fma_f64 v[18:19], v[2:3], v[18:19], -v[20:21]
	ds_load_b128 v[2:5], v1 offset:1888
	s_wait_loadcnt_dscnt 0x501
	v_mul_f64_e32 v[40:41], v[6:7], v[24:25]
	v_mul_f64_e32 v[24:25], v[8:9], v[24:25]
	s_wait_loadcnt_dscnt 0x400
	v_mul_f64_e32 v[20:21], v[2:3], v[28:29]
	v_mul_f64_e32 v[28:29], v[4:5], v[28:29]
	v_add_f64_e32 v[14:15], v[16:17], v[14:15]
	v_add_f64_e32 v[16:17], v[38:39], v[167:168]
	v_fma_f64 v[38:39], v[8:9], v[22:23], v[40:41]
	v_fma_f64 v[22:23], v[6:7], v[22:23], -v[24:25]
	ds_load_b128 v[6:9], v1 offset:1904
	v_fma_f64 v[20:21], v[4:5], v[26:27], v[20:21]
	v_fma_f64 v[26:27], v[2:3], v[26:27], -v[28:29]
	ds_load_b128 v[2:5], v1 offset:1920
	s_wait_loadcnt_dscnt 0x301
	v_mul_f64_e32 v[24:25], v[8:9], v[32:33]
	v_add_f64_e32 v[14:15], v[14:15], v[18:19]
	v_add_f64_e32 v[16:17], v[16:17], v[165:166]
	v_mul_f64_e32 v[18:19], v[6:7], v[32:33]
	s_wait_loadcnt_dscnt 0x200
	v_mul_f64_e32 v[28:29], v[4:5], v[36:37]
	v_fma_f64 v[24:25], v[6:7], v[30:31], -v[24:25]
	v_add_f64_e32 v[14:15], v[14:15], v[22:23]
	v_add_f64_e32 v[16:17], v[16:17], v[38:39]
	v_mul_f64_e32 v[22:23], v[2:3], v[36:37]
	v_fma_f64 v[18:19], v[8:9], v[30:31], v[18:19]
	ds_load_b128 v[6:9], v1 offset:1936
	v_fma_f64 v[1:2], v[2:3], v[34:35], -v[28:29]
	v_add_f64_e32 v[14:15], v[14:15], v[26:27]
	v_add_f64_e32 v[16:17], v[16:17], v[20:21]
	s_wait_loadcnt_dscnt 0x100
	v_mul_f64_e32 v[20:21], v[6:7], v[171:172]
	v_mul_f64_e32 v[26:27], v[8:9], v[171:172]
	v_fma_f64 v[4:5], v[4:5], v[34:35], v[22:23]
	v_add_f64_e32 v[14:15], v[14:15], v[24:25]
	v_add_f64_e32 v[16:17], v[16:17], v[18:19]
	v_fma_f64 v[8:9], v[8:9], v[169:170], v[20:21]
	v_fma_f64 v[6:7], v[6:7], v[169:170], -v[26:27]
	s_delay_alu instid0(VALU_DEP_4) | instskip(NEXT) | instid1(VALU_DEP_4)
	v_add_f64_e32 v[1:2], v[14:15], v[1:2]
	v_add_f64_e32 v[3:4], v[16:17], v[4:5]
	s_delay_alu instid0(VALU_DEP_2) | instskip(NEXT) | instid1(VALU_DEP_2)
	v_add_f64_e32 v[1:2], v[1:2], v[6:7]
	v_add_f64_e32 v[3:4], v[3:4], v[8:9]
	s_wait_loadcnt 0x0
	s_delay_alu instid0(VALU_DEP_2) | instskip(NEXT) | instid1(VALU_DEP_2)
	v_add_f64_e64 v[1:2], v[10:11], -v[1:2]
	v_add_f64_e64 v[3:4], v[12:13], -v[3:4]
	scratch_store_b128 off, v[1:4], off offset:176
	v_cmpx_lt_u32_e32 9, v0
	s_cbranch_execz .LBB124_373
; %bb.372:
	scratch_load_b128 v[1:4], off, s67
	v_mov_b32_e32 v5, 0
	s_delay_alu instid0(VALU_DEP_1)
	v_dual_mov_b32 v6, v5 :: v_dual_mov_b32 v7, v5
	v_mov_b32_e32 v8, v5
	scratch_store_b128 off, v[5:8], off offset:160
	s_wait_loadcnt 0x0
	ds_store_b128 v164, v[1:4]
.LBB124_373:
	s_wait_alu 0xfffe
	s_or_b32 exec_lo, exec_lo, s0
	s_wait_storecnt_dscnt 0x0
	s_barrier_signal -1
	s_barrier_wait -1
	global_inv scope:SCOPE_SE
	s_clause 0x7
	scratch_load_b128 v[2:5], off, off offset:176
	scratch_load_b128 v[6:9], off, off offset:192
	;; [unrolled: 1-line block ×8, first 2 shown]
	v_mov_b32_e32 v1, 0
	s_clause 0x1
	scratch_load_b128 v[34:37], off, off offset:304
	scratch_load_b128 v[169:172], off, off offset:320
	s_mov_b32 s0, exec_lo
	ds_load_b128 v[38:41], v1 offset:1136
	ds_load_b128 v[165:168], v1 offset:1152
	s_wait_loadcnt_dscnt 0x901
	v_mul_f64_e32 v[173:174], v[40:41], v[4:5]
	v_mul_f64_e32 v[4:5], v[38:39], v[4:5]
	s_wait_loadcnt_dscnt 0x800
	v_mul_f64_e32 v[175:176], v[165:166], v[8:9]
	v_mul_f64_e32 v[8:9], v[167:168], v[8:9]
	s_delay_alu instid0(VALU_DEP_4) | instskip(NEXT) | instid1(VALU_DEP_4)
	v_fma_f64 v[173:174], v[38:39], v[2:3], -v[173:174]
	v_fma_f64 v[177:178], v[40:41], v[2:3], v[4:5]
	ds_load_b128 v[2:5], v1 offset:1168
	scratch_load_b128 v[38:41], off, off offset:336
	v_fma_f64 v[175:176], v[167:168], v[6:7], v[175:176]
	v_fma_f64 v[181:182], v[165:166], v[6:7], -v[8:9]
	ds_load_b128 v[6:9], v1 offset:1184
	scratch_load_b128 v[165:168], off, off offset:352
	s_wait_loadcnt_dscnt 0x901
	v_mul_f64_e32 v[179:180], v[2:3], v[12:13]
	v_mul_f64_e32 v[12:13], v[4:5], v[12:13]
	s_wait_loadcnt_dscnt 0x800
	v_mul_f64_e32 v[183:184], v[6:7], v[16:17]
	v_mul_f64_e32 v[16:17], v[8:9], v[16:17]
	v_add_f64_e32 v[173:174], 0, v[173:174]
	v_add_f64_e32 v[177:178], 0, v[177:178]
	v_fma_f64 v[179:180], v[4:5], v[10:11], v[179:180]
	v_fma_f64 v[185:186], v[2:3], v[10:11], -v[12:13]
	ds_load_b128 v[2:5], v1 offset:1200
	scratch_load_b128 v[10:13], off, off offset:368
	v_add_f64_e32 v[173:174], v[173:174], v[181:182]
	v_add_f64_e32 v[175:176], v[177:178], v[175:176]
	v_fma_f64 v[181:182], v[8:9], v[14:15], v[183:184]
	v_fma_f64 v[183:184], v[6:7], v[14:15], -v[16:17]
	ds_load_b128 v[6:9], v1 offset:1216
	scratch_load_b128 v[14:17], off, off offset:384
	s_wait_loadcnt_dscnt 0x901
	v_mul_f64_e32 v[177:178], v[2:3], v[20:21]
	v_mul_f64_e32 v[20:21], v[4:5], v[20:21]
	v_add_f64_e32 v[173:174], v[173:174], v[185:186]
	v_add_f64_e32 v[175:176], v[175:176], v[179:180]
	s_wait_loadcnt_dscnt 0x800
	v_mul_f64_e32 v[179:180], v[6:7], v[24:25]
	v_mul_f64_e32 v[24:25], v[8:9], v[24:25]
	v_fma_f64 v[177:178], v[4:5], v[18:19], v[177:178]
	v_fma_f64 v[185:186], v[2:3], v[18:19], -v[20:21]
	ds_load_b128 v[2:5], v1 offset:1232
	scratch_load_b128 v[18:21], off, off offset:400
	v_add_f64_e32 v[173:174], v[173:174], v[183:184]
	v_add_f64_e32 v[175:176], v[175:176], v[181:182]
	v_fma_f64 v[179:180], v[8:9], v[22:23], v[179:180]
	v_fma_f64 v[183:184], v[6:7], v[22:23], -v[24:25]
	ds_load_b128 v[6:9], v1 offset:1248
	s_wait_loadcnt_dscnt 0x801
	v_mul_f64_e32 v[181:182], v[2:3], v[28:29]
	v_mul_f64_e32 v[28:29], v[4:5], v[28:29]
	scratch_load_b128 v[22:25], off, off offset:416
	v_add_f64_e32 v[173:174], v[173:174], v[185:186]
	v_add_f64_e32 v[175:176], v[175:176], v[177:178]
	s_wait_loadcnt_dscnt 0x800
	v_mul_f64_e32 v[177:178], v[6:7], v[32:33]
	v_mul_f64_e32 v[32:33], v[8:9], v[32:33]
	v_fma_f64 v[181:182], v[4:5], v[26:27], v[181:182]
	v_fma_f64 v[185:186], v[2:3], v[26:27], -v[28:29]
	ds_load_b128 v[2:5], v1 offset:1264
	scratch_load_b128 v[26:29], off, off offset:432
	v_add_f64_e32 v[173:174], v[173:174], v[183:184]
	v_add_f64_e32 v[175:176], v[175:176], v[179:180]
	v_fma_f64 v[177:178], v[8:9], v[30:31], v[177:178]
	v_fma_f64 v[183:184], v[6:7], v[30:31], -v[32:33]
	ds_load_b128 v[6:9], v1 offset:1280
	s_wait_loadcnt_dscnt 0x801
	v_mul_f64_e32 v[179:180], v[2:3], v[36:37]
	v_mul_f64_e32 v[36:37], v[4:5], v[36:37]
	scratch_load_b128 v[30:33], off, off offset:448
	v_add_f64_e32 v[173:174], v[173:174], v[185:186]
	v_add_f64_e32 v[175:176], v[175:176], v[181:182]
	s_wait_loadcnt_dscnt 0x800
	v_mul_f64_e32 v[181:182], v[6:7], v[171:172]
	v_mul_f64_e32 v[171:172], v[8:9], v[171:172]
	v_fma_f64 v[179:180], v[4:5], v[34:35], v[179:180]
	v_fma_f64 v[185:186], v[2:3], v[34:35], -v[36:37]
	ds_load_b128 v[2:5], v1 offset:1296
	scratch_load_b128 v[34:37], off, off offset:464
	v_add_f64_e32 v[173:174], v[173:174], v[183:184]
	v_add_f64_e32 v[175:176], v[175:176], v[177:178]
	v_fma_f64 v[181:182], v[8:9], v[169:170], v[181:182]
	v_fma_f64 v[183:184], v[6:7], v[169:170], -v[171:172]
	ds_load_b128 v[6:9], v1 offset:1312
	scratch_load_b128 v[169:172], off, off offset:480
	s_wait_loadcnt_dscnt 0x901
	v_mul_f64_e32 v[177:178], v[2:3], v[40:41]
	v_mul_f64_e32 v[40:41], v[4:5], v[40:41]
	v_add_f64_e32 v[173:174], v[173:174], v[185:186]
	v_add_f64_e32 v[175:176], v[175:176], v[179:180]
	s_wait_loadcnt_dscnt 0x800
	v_mul_f64_e32 v[179:180], v[6:7], v[167:168]
	v_mul_f64_e32 v[167:168], v[8:9], v[167:168]
	v_fma_f64 v[177:178], v[4:5], v[38:39], v[177:178]
	v_fma_f64 v[185:186], v[2:3], v[38:39], -v[40:41]
	ds_load_b128 v[2:5], v1 offset:1328
	scratch_load_b128 v[38:41], off, off offset:496
	v_add_f64_e32 v[173:174], v[173:174], v[183:184]
	v_add_f64_e32 v[175:176], v[175:176], v[181:182]
	v_fma_f64 v[179:180], v[8:9], v[165:166], v[179:180]
	v_fma_f64 v[183:184], v[6:7], v[165:166], -v[167:168]
	ds_load_b128 v[6:9], v1 offset:1344
	s_wait_loadcnt_dscnt 0x801
	v_mul_f64_e32 v[181:182], v[2:3], v[12:13]
	v_mul_f64_e32 v[12:13], v[4:5], v[12:13]
	scratch_load_b128 v[165:168], off, off offset:512
	v_add_f64_e32 v[173:174], v[173:174], v[185:186]
	v_add_f64_e32 v[175:176], v[175:176], v[177:178]
	s_wait_loadcnt_dscnt 0x800
	v_mul_f64_e32 v[177:178], v[6:7], v[16:17]
	v_mul_f64_e32 v[16:17], v[8:9], v[16:17]
	v_fma_f64 v[181:182], v[4:5], v[10:11], v[181:182]
	v_fma_f64 v[185:186], v[2:3], v[10:11], -v[12:13]
	ds_load_b128 v[2:5], v1 offset:1360
	scratch_load_b128 v[10:13], off, off offset:528
	v_add_f64_e32 v[173:174], v[173:174], v[183:184]
	v_add_f64_e32 v[175:176], v[175:176], v[179:180]
	v_fma_f64 v[177:178], v[8:9], v[14:15], v[177:178]
	v_fma_f64 v[183:184], v[6:7], v[14:15], -v[16:17]
	ds_load_b128 v[6:9], v1 offset:1376
	s_wait_loadcnt_dscnt 0x801
	v_mul_f64_e32 v[179:180], v[2:3], v[20:21]
	v_mul_f64_e32 v[20:21], v[4:5], v[20:21]
	scratch_load_b128 v[14:17], off, off offset:544
	;; [unrolled: 18-line block ×15, first 2 shown]
	v_add_f64_e32 v[173:174], v[173:174], v[185:186]
	v_add_f64_e32 v[175:176], v[175:176], v[179:180]
	s_wait_loadcnt_dscnt 0x800
	v_mul_f64_e32 v[179:180], v[6:7], v[167:168]
	v_mul_f64_e32 v[167:168], v[8:9], v[167:168]
	v_fma_f64 v[177:178], v[4:5], v[38:39], v[177:178]
	v_fma_f64 v[185:186], v[2:3], v[38:39], -v[40:41]
	ds_load_b128 v[2:5], v1 offset:1808
	scratch_load_b128 v[38:41], off, off offset:976
	v_add_f64_e32 v[173:174], v[173:174], v[183:184]
	v_add_f64_e32 v[175:176], v[175:176], v[181:182]
	v_fma_f64 v[179:180], v[8:9], v[165:166], v[179:180]
	v_fma_f64 v[165:166], v[6:7], v[165:166], -v[167:168]
	ds_load_b128 v[6:9], v1 offset:1824
	s_wait_loadcnt_dscnt 0x801
	v_mul_f64_e32 v[181:182], v[2:3], v[12:13]
	v_mul_f64_e32 v[12:13], v[4:5], v[12:13]
	v_add_f64_e32 v[167:168], v[173:174], v[185:186]
	v_add_f64_e32 v[173:174], v[175:176], v[177:178]
	s_wait_loadcnt_dscnt 0x700
	v_mul_f64_e32 v[175:176], v[6:7], v[16:17]
	v_mul_f64_e32 v[16:17], v[8:9], v[16:17]
	v_fma_f64 v[177:178], v[4:5], v[10:11], v[181:182]
	v_fma_f64 v[10:11], v[2:3], v[10:11], -v[12:13]
	ds_load_b128 v[2:5], v1 offset:1840
	v_add_f64_e32 v[12:13], v[167:168], v[165:166]
	v_add_f64_e32 v[165:166], v[173:174], v[179:180]
	v_fma_f64 v[173:174], v[8:9], v[14:15], v[175:176]
	v_fma_f64 v[14:15], v[6:7], v[14:15], -v[16:17]
	ds_load_b128 v[6:9], v1 offset:1856
	s_wait_loadcnt_dscnt 0x500
	v_mul_f64_e32 v[175:176], v[6:7], v[24:25]
	v_mul_f64_e32 v[24:25], v[8:9], v[24:25]
	v_add_f64_e32 v[16:17], v[12:13], v[10:11]
	v_add_f64_e32 v[165:166], v[165:166], v[177:178]
	scratch_load_b128 v[10:13], off, off offset:160
	v_mul_f64_e32 v[167:168], v[2:3], v[20:21]
	v_mul_f64_e32 v[20:21], v[4:5], v[20:21]
	v_add_f64_e32 v[14:15], v[16:17], v[14:15]
	v_add_f64_e32 v[16:17], v[165:166], v[173:174]
	v_fma_f64 v[165:166], v[8:9], v[22:23], v[175:176]
	v_fma_f64 v[167:168], v[4:5], v[18:19], v[167:168]
	v_fma_f64 v[18:19], v[2:3], v[18:19], -v[20:21]
	ds_load_b128 v[2:5], v1 offset:1872
	v_fma_f64 v[22:23], v[6:7], v[22:23], -v[24:25]
	ds_load_b128 v[6:9], v1 offset:1888
	s_wait_loadcnt_dscnt 0x501
	v_mul_f64_e32 v[20:21], v[2:3], v[28:29]
	v_mul_f64_e32 v[28:29], v[4:5], v[28:29]
	s_wait_loadcnt_dscnt 0x400
	v_mul_f64_e32 v[24:25], v[8:9], v[32:33]
	v_add_f64_e32 v[16:17], v[16:17], v[167:168]
	v_add_f64_e32 v[14:15], v[14:15], v[18:19]
	v_mul_f64_e32 v[18:19], v[6:7], v[32:33]
	v_fma_f64 v[20:21], v[4:5], v[26:27], v[20:21]
	v_fma_f64 v[26:27], v[2:3], v[26:27], -v[28:29]
	ds_load_b128 v[2:5], v1 offset:1904
	v_fma_f64 v[24:25], v[6:7], v[30:31], -v[24:25]
	v_add_f64_e32 v[16:17], v[16:17], v[165:166]
	v_add_f64_e32 v[14:15], v[14:15], v[22:23]
	v_fma_f64 v[18:19], v[8:9], v[30:31], v[18:19]
	ds_load_b128 v[6:9], v1 offset:1920
	s_wait_loadcnt_dscnt 0x301
	v_mul_f64_e32 v[22:23], v[2:3], v[36:37]
	v_mul_f64_e32 v[28:29], v[4:5], v[36:37]
	v_add_f64_e32 v[16:17], v[16:17], v[20:21]
	v_add_f64_e32 v[14:15], v[14:15], v[26:27]
	s_wait_loadcnt_dscnt 0x200
	v_mul_f64_e32 v[20:21], v[6:7], v[171:172]
	v_mul_f64_e32 v[26:27], v[8:9], v[171:172]
	v_fma_f64 v[22:23], v[4:5], v[34:35], v[22:23]
	v_fma_f64 v[28:29], v[2:3], v[34:35], -v[28:29]
	ds_load_b128 v[2:5], v1 offset:1936
	v_add_f64_e32 v[16:17], v[16:17], v[18:19]
	v_add_f64_e32 v[14:15], v[14:15], v[24:25]
	s_wait_loadcnt_dscnt 0x100
	v_mul_f64_e32 v[18:19], v[2:3], v[40:41]
	v_mul_f64_e32 v[24:25], v[4:5], v[40:41]
	v_fma_f64 v[8:9], v[8:9], v[169:170], v[20:21]
	v_fma_f64 v[6:7], v[6:7], v[169:170], -v[26:27]
	v_add_f64_e32 v[16:17], v[16:17], v[22:23]
	v_add_f64_e32 v[14:15], v[14:15], v[28:29]
	v_fma_f64 v[4:5], v[4:5], v[38:39], v[18:19]
	v_fma_f64 v[2:3], v[2:3], v[38:39], -v[24:25]
	s_delay_alu instid0(VALU_DEP_4) | instskip(NEXT) | instid1(VALU_DEP_4)
	v_add_f64_e32 v[8:9], v[16:17], v[8:9]
	v_add_f64_e32 v[6:7], v[14:15], v[6:7]
	s_delay_alu instid0(VALU_DEP_2) | instskip(NEXT) | instid1(VALU_DEP_2)
	v_add_f64_e32 v[4:5], v[8:9], v[4:5]
	v_add_f64_e32 v[2:3], v[6:7], v[2:3]
	s_wait_loadcnt 0x0
	s_delay_alu instid0(VALU_DEP_2) | instskip(NEXT) | instid1(VALU_DEP_2)
	v_add_f64_e64 v[4:5], v[12:13], -v[4:5]
	v_add_f64_e64 v[2:3], v[10:11], -v[2:3]
	scratch_store_b128 off, v[2:5], off offset:160
	v_cmpx_lt_u32_e32 8, v0
	s_cbranch_execz .LBB124_375
; %bb.374:
	scratch_load_b128 v[5:8], off, s68
	v_dual_mov_b32 v2, v1 :: v_dual_mov_b32 v3, v1
	v_mov_b32_e32 v4, v1
	scratch_store_b128 off, v[1:4], off offset:144
	s_wait_loadcnt 0x0
	ds_store_b128 v164, v[5:8]
.LBB124_375:
	s_wait_alu 0xfffe
	s_or_b32 exec_lo, exec_lo, s0
	s_wait_storecnt_dscnt 0x0
	s_barrier_signal -1
	s_barrier_wait -1
	global_inv scope:SCOPE_SE
	s_clause 0x7
	scratch_load_b128 v[2:5], off, off offset:160
	scratch_load_b128 v[6:9], off, off offset:176
	;; [unrolled: 1-line block ×8, first 2 shown]
	ds_load_b128 v[38:41], v1 offset:1120
	ds_load_b128 v[165:168], v1 offset:1136
	s_clause 0x1
	scratch_load_b128 v[34:37], off, off offset:288
	scratch_load_b128 v[169:172], off, off offset:304
	s_mov_b32 s0, exec_lo
	s_wait_loadcnt_dscnt 0x901
	v_mul_f64_e32 v[173:174], v[40:41], v[4:5]
	v_mul_f64_e32 v[4:5], v[38:39], v[4:5]
	s_wait_loadcnt_dscnt 0x800
	v_mul_f64_e32 v[175:176], v[165:166], v[8:9]
	v_mul_f64_e32 v[8:9], v[167:168], v[8:9]
	s_delay_alu instid0(VALU_DEP_4) | instskip(NEXT) | instid1(VALU_DEP_4)
	v_fma_f64 v[173:174], v[38:39], v[2:3], -v[173:174]
	v_fma_f64 v[177:178], v[40:41], v[2:3], v[4:5]
	ds_load_b128 v[2:5], v1 offset:1152
	scratch_load_b128 v[38:41], off, off offset:320
	v_fma_f64 v[175:176], v[167:168], v[6:7], v[175:176]
	v_fma_f64 v[181:182], v[165:166], v[6:7], -v[8:9]
	ds_load_b128 v[6:9], v1 offset:1168
	scratch_load_b128 v[165:168], off, off offset:336
	s_wait_loadcnt_dscnt 0x901
	v_mul_f64_e32 v[179:180], v[2:3], v[12:13]
	v_mul_f64_e32 v[12:13], v[4:5], v[12:13]
	s_wait_loadcnt_dscnt 0x800
	v_mul_f64_e32 v[183:184], v[6:7], v[16:17]
	v_mul_f64_e32 v[16:17], v[8:9], v[16:17]
	v_add_f64_e32 v[173:174], 0, v[173:174]
	v_add_f64_e32 v[177:178], 0, v[177:178]
	v_fma_f64 v[179:180], v[4:5], v[10:11], v[179:180]
	v_fma_f64 v[185:186], v[2:3], v[10:11], -v[12:13]
	ds_load_b128 v[2:5], v1 offset:1184
	scratch_load_b128 v[10:13], off, off offset:352
	v_add_f64_e32 v[173:174], v[173:174], v[181:182]
	v_add_f64_e32 v[175:176], v[177:178], v[175:176]
	v_fma_f64 v[181:182], v[8:9], v[14:15], v[183:184]
	v_fma_f64 v[183:184], v[6:7], v[14:15], -v[16:17]
	ds_load_b128 v[6:9], v1 offset:1200
	scratch_load_b128 v[14:17], off, off offset:368
	s_wait_loadcnt_dscnt 0x901
	v_mul_f64_e32 v[177:178], v[2:3], v[20:21]
	v_mul_f64_e32 v[20:21], v[4:5], v[20:21]
	v_add_f64_e32 v[173:174], v[173:174], v[185:186]
	v_add_f64_e32 v[175:176], v[175:176], v[179:180]
	s_wait_loadcnt_dscnt 0x800
	v_mul_f64_e32 v[179:180], v[6:7], v[24:25]
	v_mul_f64_e32 v[24:25], v[8:9], v[24:25]
	v_fma_f64 v[177:178], v[4:5], v[18:19], v[177:178]
	v_fma_f64 v[185:186], v[2:3], v[18:19], -v[20:21]
	ds_load_b128 v[2:5], v1 offset:1216
	scratch_load_b128 v[18:21], off, off offset:384
	v_add_f64_e32 v[173:174], v[173:174], v[183:184]
	v_add_f64_e32 v[175:176], v[175:176], v[181:182]
	v_fma_f64 v[179:180], v[8:9], v[22:23], v[179:180]
	v_fma_f64 v[183:184], v[6:7], v[22:23], -v[24:25]
	ds_load_b128 v[6:9], v1 offset:1232
	s_wait_loadcnt_dscnt 0x801
	v_mul_f64_e32 v[181:182], v[2:3], v[28:29]
	v_mul_f64_e32 v[28:29], v[4:5], v[28:29]
	scratch_load_b128 v[22:25], off, off offset:400
	v_add_f64_e32 v[173:174], v[173:174], v[185:186]
	v_add_f64_e32 v[175:176], v[175:176], v[177:178]
	s_wait_loadcnt_dscnt 0x800
	v_mul_f64_e32 v[177:178], v[6:7], v[32:33]
	v_mul_f64_e32 v[32:33], v[8:9], v[32:33]
	v_fma_f64 v[181:182], v[4:5], v[26:27], v[181:182]
	v_fma_f64 v[185:186], v[2:3], v[26:27], -v[28:29]
	ds_load_b128 v[2:5], v1 offset:1248
	scratch_load_b128 v[26:29], off, off offset:416
	v_add_f64_e32 v[173:174], v[173:174], v[183:184]
	v_add_f64_e32 v[175:176], v[175:176], v[179:180]
	v_fma_f64 v[177:178], v[8:9], v[30:31], v[177:178]
	v_fma_f64 v[183:184], v[6:7], v[30:31], -v[32:33]
	ds_load_b128 v[6:9], v1 offset:1264
	s_wait_loadcnt_dscnt 0x801
	v_mul_f64_e32 v[179:180], v[2:3], v[36:37]
	v_mul_f64_e32 v[36:37], v[4:5], v[36:37]
	scratch_load_b128 v[30:33], off, off offset:432
	v_add_f64_e32 v[173:174], v[173:174], v[185:186]
	v_add_f64_e32 v[175:176], v[175:176], v[181:182]
	s_wait_loadcnt_dscnt 0x800
	v_mul_f64_e32 v[181:182], v[6:7], v[171:172]
	v_mul_f64_e32 v[171:172], v[8:9], v[171:172]
	v_fma_f64 v[179:180], v[4:5], v[34:35], v[179:180]
	v_fma_f64 v[185:186], v[2:3], v[34:35], -v[36:37]
	ds_load_b128 v[2:5], v1 offset:1280
	scratch_load_b128 v[34:37], off, off offset:448
	v_add_f64_e32 v[173:174], v[173:174], v[183:184]
	v_add_f64_e32 v[175:176], v[175:176], v[177:178]
	v_fma_f64 v[181:182], v[8:9], v[169:170], v[181:182]
	v_fma_f64 v[183:184], v[6:7], v[169:170], -v[171:172]
	ds_load_b128 v[6:9], v1 offset:1296
	scratch_load_b128 v[169:172], off, off offset:464
	s_wait_loadcnt_dscnt 0x901
	v_mul_f64_e32 v[177:178], v[2:3], v[40:41]
	v_mul_f64_e32 v[40:41], v[4:5], v[40:41]
	v_add_f64_e32 v[173:174], v[173:174], v[185:186]
	v_add_f64_e32 v[175:176], v[175:176], v[179:180]
	s_wait_loadcnt_dscnt 0x800
	v_mul_f64_e32 v[179:180], v[6:7], v[167:168]
	v_mul_f64_e32 v[167:168], v[8:9], v[167:168]
	v_fma_f64 v[177:178], v[4:5], v[38:39], v[177:178]
	v_fma_f64 v[185:186], v[2:3], v[38:39], -v[40:41]
	ds_load_b128 v[2:5], v1 offset:1312
	scratch_load_b128 v[38:41], off, off offset:480
	v_add_f64_e32 v[173:174], v[173:174], v[183:184]
	v_add_f64_e32 v[175:176], v[175:176], v[181:182]
	v_fma_f64 v[179:180], v[8:9], v[165:166], v[179:180]
	v_fma_f64 v[183:184], v[6:7], v[165:166], -v[167:168]
	ds_load_b128 v[6:9], v1 offset:1328
	s_wait_loadcnt_dscnt 0x801
	v_mul_f64_e32 v[181:182], v[2:3], v[12:13]
	v_mul_f64_e32 v[12:13], v[4:5], v[12:13]
	scratch_load_b128 v[165:168], off, off offset:496
	v_add_f64_e32 v[173:174], v[173:174], v[185:186]
	v_add_f64_e32 v[175:176], v[175:176], v[177:178]
	s_wait_loadcnt_dscnt 0x800
	v_mul_f64_e32 v[177:178], v[6:7], v[16:17]
	v_mul_f64_e32 v[16:17], v[8:9], v[16:17]
	v_fma_f64 v[181:182], v[4:5], v[10:11], v[181:182]
	v_fma_f64 v[185:186], v[2:3], v[10:11], -v[12:13]
	ds_load_b128 v[2:5], v1 offset:1344
	scratch_load_b128 v[10:13], off, off offset:512
	v_add_f64_e32 v[173:174], v[173:174], v[183:184]
	v_add_f64_e32 v[175:176], v[175:176], v[179:180]
	v_fma_f64 v[177:178], v[8:9], v[14:15], v[177:178]
	v_fma_f64 v[183:184], v[6:7], v[14:15], -v[16:17]
	ds_load_b128 v[6:9], v1 offset:1360
	s_wait_loadcnt_dscnt 0x801
	v_mul_f64_e32 v[179:180], v[2:3], v[20:21]
	v_mul_f64_e32 v[20:21], v[4:5], v[20:21]
	scratch_load_b128 v[14:17], off, off offset:528
	;; [unrolled: 18-line block ×16, first 2 shown]
	v_add_f64_e32 v[173:174], v[173:174], v[185:186]
	v_add_f64_e32 v[175:176], v[175:176], v[177:178]
	s_wait_loadcnt_dscnt 0x800
	v_mul_f64_e32 v[177:178], v[6:7], v[16:17]
	v_mul_f64_e32 v[16:17], v[8:9], v[16:17]
	v_fma_f64 v[181:182], v[4:5], v[10:11], v[181:182]
	v_fma_f64 v[10:11], v[2:3], v[10:11], -v[12:13]
	ds_load_b128 v[2:5], v1 offset:1824
	v_add_f64_e32 v[12:13], v[173:174], v[183:184]
	v_add_f64_e32 v[173:174], v[175:176], v[179:180]
	v_fma_f64 v[177:178], v[8:9], v[14:15], v[177:178]
	v_fma_f64 v[14:15], v[6:7], v[14:15], -v[16:17]
	ds_load_b128 v[6:9], v1 offset:1840
	s_wait_loadcnt_dscnt 0x701
	v_mul_f64_e32 v[175:176], v[2:3], v[20:21]
	v_mul_f64_e32 v[20:21], v[4:5], v[20:21]
	v_add_f64_e32 v[10:11], v[12:13], v[10:11]
	v_add_f64_e32 v[12:13], v[173:174], v[181:182]
	s_delay_alu instid0(VALU_DEP_4) | instskip(NEXT) | instid1(VALU_DEP_4)
	v_fma_f64 v[173:174], v[4:5], v[18:19], v[175:176]
	v_fma_f64 v[18:19], v[2:3], v[18:19], -v[20:21]
	ds_load_b128 v[2:5], v1 offset:1856
	v_add_f64_e32 v[14:15], v[10:11], v[14:15]
	v_add_f64_e32 v[20:21], v[12:13], v[177:178]
	scratch_load_b128 v[10:13], off, off offset:144
	s_wait_loadcnt_dscnt 0x701
	v_mul_f64_e32 v[16:17], v[6:7], v[24:25]
	v_mul_f64_e32 v[24:25], v[8:9], v[24:25]
	v_add_f64_e32 v[14:15], v[14:15], v[18:19]
	v_add_f64_e32 v[18:19], v[20:21], v[173:174]
	s_delay_alu instid0(VALU_DEP_4) | instskip(NEXT) | instid1(VALU_DEP_4)
	v_fma_f64 v[16:17], v[8:9], v[22:23], v[16:17]
	v_fma_f64 v[22:23], v[6:7], v[22:23], -v[24:25]
	ds_load_b128 v[6:9], v1 offset:1872
	s_wait_loadcnt_dscnt 0x601
	v_mul_f64_e32 v[175:176], v[2:3], v[28:29]
	v_mul_f64_e32 v[28:29], v[4:5], v[28:29]
	s_wait_loadcnt_dscnt 0x500
	v_mul_f64_e32 v[20:21], v[6:7], v[32:33]
	v_mul_f64_e32 v[24:25], v[8:9], v[32:33]
	v_add_f64_e32 v[16:17], v[18:19], v[16:17]
	v_add_f64_e32 v[14:15], v[14:15], v[22:23]
	v_fma_f64 v[32:33], v[4:5], v[26:27], v[175:176]
	v_fma_f64 v[26:27], v[2:3], v[26:27], -v[28:29]
	ds_load_b128 v[2:5], v1 offset:1888
	v_fma_f64 v[20:21], v[8:9], v[30:31], v[20:21]
	v_fma_f64 v[24:25], v[6:7], v[30:31], -v[24:25]
	ds_load_b128 v[6:9], v1 offset:1904
	s_wait_loadcnt_dscnt 0x401
	v_mul_f64_e32 v[18:19], v[2:3], v[36:37]
	v_mul_f64_e32 v[22:23], v[4:5], v[36:37]
	v_add_f64_e32 v[16:17], v[16:17], v[32:33]
	v_add_f64_e32 v[14:15], v[14:15], v[26:27]
	s_wait_loadcnt_dscnt 0x300
	v_mul_f64_e32 v[26:27], v[6:7], v[171:172]
	v_mul_f64_e32 v[28:29], v[8:9], v[171:172]
	v_fma_f64 v[18:19], v[4:5], v[34:35], v[18:19]
	v_fma_f64 v[22:23], v[2:3], v[34:35], -v[22:23]
	ds_load_b128 v[2:5], v1 offset:1920
	v_add_f64_e32 v[16:17], v[16:17], v[20:21]
	v_add_f64_e32 v[14:15], v[14:15], v[24:25]
	v_fma_f64 v[26:27], v[8:9], v[169:170], v[26:27]
	v_fma_f64 v[28:29], v[6:7], v[169:170], -v[28:29]
	ds_load_b128 v[6:9], v1 offset:1936
	s_wait_loadcnt_dscnt 0x201
	v_mul_f64_e32 v[20:21], v[2:3], v[40:41]
	v_mul_f64_e32 v[24:25], v[4:5], v[40:41]
	v_add_f64_e32 v[16:17], v[16:17], v[18:19]
	v_add_f64_e32 v[14:15], v[14:15], v[22:23]
	s_wait_loadcnt_dscnt 0x100
	v_mul_f64_e32 v[18:19], v[6:7], v[167:168]
	v_mul_f64_e32 v[22:23], v[8:9], v[167:168]
	v_fma_f64 v[4:5], v[4:5], v[38:39], v[20:21]
	v_fma_f64 v[1:2], v[2:3], v[38:39], -v[24:25]
	v_add_f64_e32 v[16:17], v[16:17], v[26:27]
	v_add_f64_e32 v[14:15], v[14:15], v[28:29]
	v_fma_f64 v[8:9], v[8:9], v[165:166], v[18:19]
	v_fma_f64 v[6:7], v[6:7], v[165:166], -v[22:23]
	s_delay_alu instid0(VALU_DEP_4) | instskip(NEXT) | instid1(VALU_DEP_4)
	v_add_f64_e32 v[3:4], v[16:17], v[4:5]
	v_add_f64_e32 v[1:2], v[14:15], v[1:2]
	s_delay_alu instid0(VALU_DEP_2) | instskip(NEXT) | instid1(VALU_DEP_2)
	v_add_f64_e32 v[3:4], v[3:4], v[8:9]
	v_add_f64_e32 v[1:2], v[1:2], v[6:7]
	s_wait_loadcnt 0x0
	s_delay_alu instid0(VALU_DEP_2) | instskip(NEXT) | instid1(VALU_DEP_2)
	v_add_f64_e64 v[3:4], v[12:13], -v[3:4]
	v_add_f64_e64 v[1:2], v[10:11], -v[1:2]
	scratch_store_b128 off, v[1:4], off offset:144
	v_cmpx_lt_u32_e32 7, v0
	s_cbranch_execz .LBB124_377
; %bb.376:
	scratch_load_b128 v[1:4], off, s69
	v_mov_b32_e32 v5, 0
	s_delay_alu instid0(VALU_DEP_1)
	v_dual_mov_b32 v6, v5 :: v_dual_mov_b32 v7, v5
	v_mov_b32_e32 v8, v5
	scratch_store_b128 off, v[5:8], off offset:128
	s_wait_loadcnt 0x0
	ds_store_b128 v164, v[1:4]
.LBB124_377:
	s_wait_alu 0xfffe
	s_or_b32 exec_lo, exec_lo, s0
	s_wait_storecnt_dscnt 0x0
	s_barrier_signal -1
	s_barrier_wait -1
	global_inv scope:SCOPE_SE
	s_clause 0x7
	scratch_load_b128 v[2:5], off, off offset:144
	scratch_load_b128 v[6:9], off, off offset:160
	;; [unrolled: 1-line block ×8, first 2 shown]
	v_mov_b32_e32 v1, 0
	s_clause 0x1
	scratch_load_b128 v[34:37], off, off offset:272
	scratch_load_b128 v[169:172], off, off offset:288
	s_mov_b32 s0, exec_lo
	ds_load_b128 v[38:41], v1 offset:1104
	ds_load_b128 v[165:168], v1 offset:1120
	s_wait_loadcnt_dscnt 0x901
	v_mul_f64_e32 v[173:174], v[40:41], v[4:5]
	v_mul_f64_e32 v[4:5], v[38:39], v[4:5]
	s_wait_loadcnt_dscnt 0x800
	v_mul_f64_e32 v[175:176], v[165:166], v[8:9]
	v_mul_f64_e32 v[8:9], v[167:168], v[8:9]
	s_delay_alu instid0(VALU_DEP_4) | instskip(NEXT) | instid1(VALU_DEP_4)
	v_fma_f64 v[173:174], v[38:39], v[2:3], -v[173:174]
	v_fma_f64 v[177:178], v[40:41], v[2:3], v[4:5]
	ds_load_b128 v[2:5], v1 offset:1136
	scratch_load_b128 v[38:41], off, off offset:304
	v_fma_f64 v[175:176], v[167:168], v[6:7], v[175:176]
	v_fma_f64 v[181:182], v[165:166], v[6:7], -v[8:9]
	ds_load_b128 v[6:9], v1 offset:1152
	scratch_load_b128 v[165:168], off, off offset:320
	s_wait_loadcnt_dscnt 0x901
	v_mul_f64_e32 v[179:180], v[2:3], v[12:13]
	v_mul_f64_e32 v[12:13], v[4:5], v[12:13]
	s_wait_loadcnt_dscnt 0x800
	v_mul_f64_e32 v[183:184], v[6:7], v[16:17]
	v_mul_f64_e32 v[16:17], v[8:9], v[16:17]
	v_add_f64_e32 v[173:174], 0, v[173:174]
	v_add_f64_e32 v[177:178], 0, v[177:178]
	v_fma_f64 v[179:180], v[4:5], v[10:11], v[179:180]
	v_fma_f64 v[185:186], v[2:3], v[10:11], -v[12:13]
	ds_load_b128 v[2:5], v1 offset:1168
	scratch_load_b128 v[10:13], off, off offset:336
	v_add_f64_e32 v[173:174], v[173:174], v[181:182]
	v_add_f64_e32 v[175:176], v[177:178], v[175:176]
	v_fma_f64 v[181:182], v[8:9], v[14:15], v[183:184]
	v_fma_f64 v[183:184], v[6:7], v[14:15], -v[16:17]
	ds_load_b128 v[6:9], v1 offset:1184
	scratch_load_b128 v[14:17], off, off offset:352
	s_wait_loadcnt_dscnt 0x901
	v_mul_f64_e32 v[177:178], v[2:3], v[20:21]
	v_mul_f64_e32 v[20:21], v[4:5], v[20:21]
	v_add_f64_e32 v[173:174], v[173:174], v[185:186]
	v_add_f64_e32 v[175:176], v[175:176], v[179:180]
	s_wait_loadcnt_dscnt 0x800
	v_mul_f64_e32 v[179:180], v[6:7], v[24:25]
	v_mul_f64_e32 v[24:25], v[8:9], v[24:25]
	v_fma_f64 v[177:178], v[4:5], v[18:19], v[177:178]
	v_fma_f64 v[185:186], v[2:3], v[18:19], -v[20:21]
	ds_load_b128 v[2:5], v1 offset:1200
	scratch_load_b128 v[18:21], off, off offset:368
	v_add_f64_e32 v[173:174], v[173:174], v[183:184]
	v_add_f64_e32 v[175:176], v[175:176], v[181:182]
	v_fma_f64 v[179:180], v[8:9], v[22:23], v[179:180]
	v_fma_f64 v[183:184], v[6:7], v[22:23], -v[24:25]
	ds_load_b128 v[6:9], v1 offset:1216
	s_wait_loadcnt_dscnt 0x801
	v_mul_f64_e32 v[181:182], v[2:3], v[28:29]
	v_mul_f64_e32 v[28:29], v[4:5], v[28:29]
	scratch_load_b128 v[22:25], off, off offset:384
	v_add_f64_e32 v[173:174], v[173:174], v[185:186]
	v_add_f64_e32 v[175:176], v[175:176], v[177:178]
	s_wait_loadcnt_dscnt 0x800
	v_mul_f64_e32 v[177:178], v[6:7], v[32:33]
	v_mul_f64_e32 v[32:33], v[8:9], v[32:33]
	v_fma_f64 v[181:182], v[4:5], v[26:27], v[181:182]
	v_fma_f64 v[185:186], v[2:3], v[26:27], -v[28:29]
	ds_load_b128 v[2:5], v1 offset:1232
	scratch_load_b128 v[26:29], off, off offset:400
	v_add_f64_e32 v[173:174], v[173:174], v[183:184]
	v_add_f64_e32 v[175:176], v[175:176], v[179:180]
	v_fma_f64 v[177:178], v[8:9], v[30:31], v[177:178]
	v_fma_f64 v[183:184], v[6:7], v[30:31], -v[32:33]
	ds_load_b128 v[6:9], v1 offset:1248
	s_wait_loadcnt_dscnt 0x801
	v_mul_f64_e32 v[179:180], v[2:3], v[36:37]
	v_mul_f64_e32 v[36:37], v[4:5], v[36:37]
	scratch_load_b128 v[30:33], off, off offset:416
	v_add_f64_e32 v[173:174], v[173:174], v[185:186]
	v_add_f64_e32 v[175:176], v[175:176], v[181:182]
	s_wait_loadcnt_dscnt 0x800
	v_mul_f64_e32 v[181:182], v[6:7], v[171:172]
	v_mul_f64_e32 v[171:172], v[8:9], v[171:172]
	v_fma_f64 v[179:180], v[4:5], v[34:35], v[179:180]
	v_fma_f64 v[185:186], v[2:3], v[34:35], -v[36:37]
	ds_load_b128 v[2:5], v1 offset:1264
	scratch_load_b128 v[34:37], off, off offset:432
	v_add_f64_e32 v[173:174], v[173:174], v[183:184]
	v_add_f64_e32 v[175:176], v[175:176], v[177:178]
	v_fma_f64 v[181:182], v[8:9], v[169:170], v[181:182]
	v_fma_f64 v[183:184], v[6:7], v[169:170], -v[171:172]
	ds_load_b128 v[6:9], v1 offset:1280
	scratch_load_b128 v[169:172], off, off offset:448
	s_wait_loadcnt_dscnt 0x901
	v_mul_f64_e32 v[177:178], v[2:3], v[40:41]
	v_mul_f64_e32 v[40:41], v[4:5], v[40:41]
	v_add_f64_e32 v[173:174], v[173:174], v[185:186]
	v_add_f64_e32 v[175:176], v[175:176], v[179:180]
	s_wait_loadcnt_dscnt 0x800
	v_mul_f64_e32 v[179:180], v[6:7], v[167:168]
	v_mul_f64_e32 v[167:168], v[8:9], v[167:168]
	v_fma_f64 v[177:178], v[4:5], v[38:39], v[177:178]
	v_fma_f64 v[185:186], v[2:3], v[38:39], -v[40:41]
	ds_load_b128 v[2:5], v1 offset:1296
	scratch_load_b128 v[38:41], off, off offset:464
	v_add_f64_e32 v[173:174], v[173:174], v[183:184]
	v_add_f64_e32 v[175:176], v[175:176], v[181:182]
	v_fma_f64 v[179:180], v[8:9], v[165:166], v[179:180]
	v_fma_f64 v[183:184], v[6:7], v[165:166], -v[167:168]
	ds_load_b128 v[6:9], v1 offset:1312
	s_wait_loadcnt_dscnt 0x801
	v_mul_f64_e32 v[181:182], v[2:3], v[12:13]
	v_mul_f64_e32 v[12:13], v[4:5], v[12:13]
	scratch_load_b128 v[165:168], off, off offset:480
	v_add_f64_e32 v[173:174], v[173:174], v[185:186]
	v_add_f64_e32 v[175:176], v[175:176], v[177:178]
	s_wait_loadcnt_dscnt 0x800
	v_mul_f64_e32 v[177:178], v[6:7], v[16:17]
	v_mul_f64_e32 v[16:17], v[8:9], v[16:17]
	v_fma_f64 v[181:182], v[4:5], v[10:11], v[181:182]
	v_fma_f64 v[185:186], v[2:3], v[10:11], -v[12:13]
	ds_load_b128 v[2:5], v1 offset:1328
	scratch_load_b128 v[10:13], off, off offset:496
	v_add_f64_e32 v[173:174], v[173:174], v[183:184]
	v_add_f64_e32 v[175:176], v[175:176], v[179:180]
	v_fma_f64 v[177:178], v[8:9], v[14:15], v[177:178]
	v_fma_f64 v[183:184], v[6:7], v[14:15], -v[16:17]
	ds_load_b128 v[6:9], v1 offset:1344
	s_wait_loadcnt_dscnt 0x801
	v_mul_f64_e32 v[179:180], v[2:3], v[20:21]
	v_mul_f64_e32 v[20:21], v[4:5], v[20:21]
	scratch_load_b128 v[14:17], off, off offset:512
	;; [unrolled: 18-line block ×16, first 2 shown]
	v_add_f64_e32 v[173:174], v[173:174], v[185:186]
	v_add_f64_e32 v[175:176], v[175:176], v[177:178]
	s_wait_loadcnt_dscnt 0x800
	v_mul_f64_e32 v[177:178], v[6:7], v[16:17]
	v_mul_f64_e32 v[16:17], v[8:9], v[16:17]
	v_fma_f64 v[181:182], v[4:5], v[10:11], v[181:182]
	v_fma_f64 v[185:186], v[2:3], v[10:11], -v[12:13]
	ds_load_b128 v[2:5], v1 offset:1808
	scratch_load_b128 v[10:13], off, off offset:976
	v_add_f64_e32 v[173:174], v[173:174], v[183:184]
	v_add_f64_e32 v[175:176], v[175:176], v[179:180]
	v_fma_f64 v[177:178], v[8:9], v[14:15], v[177:178]
	v_fma_f64 v[14:15], v[6:7], v[14:15], -v[16:17]
	ds_load_b128 v[6:9], v1 offset:1824
	s_wait_loadcnt_dscnt 0x801
	v_mul_f64_e32 v[179:180], v[2:3], v[20:21]
	v_mul_f64_e32 v[20:21], v[4:5], v[20:21]
	v_add_f64_e32 v[16:17], v[173:174], v[185:186]
	v_add_f64_e32 v[173:174], v[175:176], v[181:182]
	s_wait_loadcnt_dscnt 0x700
	v_mul_f64_e32 v[175:176], v[6:7], v[24:25]
	v_mul_f64_e32 v[24:25], v[8:9], v[24:25]
	v_fma_f64 v[179:180], v[4:5], v[18:19], v[179:180]
	v_fma_f64 v[18:19], v[2:3], v[18:19], -v[20:21]
	ds_load_b128 v[2:5], v1 offset:1840
	v_add_f64_e32 v[14:15], v[16:17], v[14:15]
	v_add_f64_e32 v[16:17], v[173:174], v[177:178]
	v_fma_f64 v[173:174], v[8:9], v[22:23], v[175:176]
	v_fma_f64 v[22:23], v[6:7], v[22:23], -v[24:25]
	ds_load_b128 v[6:9], v1 offset:1856
	s_wait_loadcnt_dscnt 0x500
	v_mul_f64_e32 v[175:176], v[6:7], v[32:33]
	v_mul_f64_e32 v[32:33], v[8:9], v[32:33]
	v_add_f64_e32 v[18:19], v[14:15], v[18:19]
	v_add_f64_e32 v[24:25], v[16:17], v[179:180]
	scratch_load_b128 v[14:17], off, off offset:128
	v_mul_f64_e32 v[20:21], v[2:3], v[28:29]
	v_mul_f64_e32 v[28:29], v[4:5], v[28:29]
	v_add_f64_e32 v[18:19], v[18:19], v[22:23]
	v_add_f64_e32 v[22:23], v[24:25], v[173:174]
	s_delay_alu instid0(VALU_DEP_4) | instskip(NEXT) | instid1(VALU_DEP_4)
	v_fma_f64 v[20:21], v[4:5], v[26:27], v[20:21]
	v_fma_f64 v[26:27], v[2:3], v[26:27], -v[28:29]
	ds_load_b128 v[2:5], v1 offset:1872
	s_wait_loadcnt_dscnt 0x500
	v_mul_f64_e32 v[24:25], v[2:3], v[36:37]
	v_mul_f64_e32 v[28:29], v[4:5], v[36:37]
	v_fma_f64 v[36:37], v[8:9], v[30:31], v[175:176]
	v_fma_f64 v[30:31], v[6:7], v[30:31], -v[32:33]
	ds_load_b128 v[6:9], v1 offset:1888
	v_add_f64_e32 v[20:21], v[22:23], v[20:21]
	v_add_f64_e32 v[18:19], v[18:19], v[26:27]
	v_fma_f64 v[24:25], v[4:5], v[34:35], v[24:25]
	v_fma_f64 v[28:29], v[2:3], v[34:35], -v[28:29]
	ds_load_b128 v[2:5], v1 offset:1904
	s_wait_loadcnt_dscnt 0x401
	v_mul_f64_e32 v[22:23], v[6:7], v[171:172]
	v_mul_f64_e32 v[26:27], v[8:9], v[171:172]
	v_add_f64_e32 v[20:21], v[20:21], v[36:37]
	v_add_f64_e32 v[18:19], v[18:19], v[30:31]
	s_wait_loadcnt_dscnt 0x300
	v_mul_f64_e32 v[30:31], v[2:3], v[40:41]
	v_mul_f64_e32 v[32:33], v[4:5], v[40:41]
	v_fma_f64 v[22:23], v[8:9], v[169:170], v[22:23]
	v_fma_f64 v[26:27], v[6:7], v[169:170], -v[26:27]
	ds_load_b128 v[6:9], v1 offset:1920
	v_add_f64_e32 v[20:21], v[20:21], v[24:25]
	v_add_f64_e32 v[18:19], v[18:19], v[28:29]
	v_fma_f64 v[30:31], v[4:5], v[38:39], v[30:31]
	v_fma_f64 v[32:33], v[2:3], v[38:39], -v[32:33]
	ds_load_b128 v[2:5], v1 offset:1936
	s_wait_loadcnt_dscnt 0x201
	v_mul_f64_e32 v[24:25], v[6:7], v[167:168]
	v_mul_f64_e32 v[28:29], v[8:9], v[167:168]
	v_add_f64_e32 v[20:21], v[20:21], v[22:23]
	v_add_f64_e32 v[18:19], v[18:19], v[26:27]
	s_wait_loadcnt_dscnt 0x100
	v_mul_f64_e32 v[22:23], v[2:3], v[12:13]
	v_mul_f64_e32 v[12:13], v[4:5], v[12:13]
	v_fma_f64 v[8:9], v[8:9], v[165:166], v[24:25]
	v_fma_f64 v[6:7], v[6:7], v[165:166], -v[28:29]
	v_add_f64_e32 v[20:21], v[20:21], v[30:31]
	v_add_f64_e32 v[18:19], v[18:19], v[32:33]
	v_fma_f64 v[4:5], v[4:5], v[10:11], v[22:23]
	v_fma_f64 v[2:3], v[2:3], v[10:11], -v[12:13]
	s_delay_alu instid0(VALU_DEP_4) | instskip(NEXT) | instid1(VALU_DEP_4)
	v_add_f64_e32 v[8:9], v[20:21], v[8:9]
	v_add_f64_e32 v[6:7], v[18:19], v[6:7]
	s_delay_alu instid0(VALU_DEP_2) | instskip(NEXT) | instid1(VALU_DEP_2)
	v_add_f64_e32 v[4:5], v[8:9], v[4:5]
	v_add_f64_e32 v[2:3], v[6:7], v[2:3]
	s_wait_loadcnt 0x0
	s_delay_alu instid0(VALU_DEP_2) | instskip(NEXT) | instid1(VALU_DEP_2)
	v_add_f64_e64 v[4:5], v[16:17], -v[4:5]
	v_add_f64_e64 v[2:3], v[14:15], -v[2:3]
	scratch_store_b128 off, v[2:5], off offset:128
	v_cmpx_lt_u32_e32 6, v0
	s_cbranch_execz .LBB124_379
; %bb.378:
	scratch_load_b128 v[5:8], off, s70
	v_dual_mov_b32 v2, v1 :: v_dual_mov_b32 v3, v1
	v_mov_b32_e32 v4, v1
	scratch_store_b128 off, v[1:4], off offset:112
	s_wait_loadcnt 0x0
	ds_store_b128 v164, v[5:8]
.LBB124_379:
	s_wait_alu 0xfffe
	s_or_b32 exec_lo, exec_lo, s0
	s_wait_storecnt_dscnt 0x0
	s_barrier_signal -1
	s_barrier_wait -1
	global_inv scope:SCOPE_SE
	s_clause 0x7
	scratch_load_b128 v[2:5], off, off offset:128
	scratch_load_b128 v[6:9], off, off offset:144
	;; [unrolled: 1-line block ×8, first 2 shown]
	ds_load_b128 v[38:41], v1 offset:1088
	ds_load_b128 v[165:168], v1 offset:1104
	s_clause 0x1
	scratch_load_b128 v[34:37], off, off offset:256
	scratch_load_b128 v[169:172], off, off offset:272
	s_mov_b32 s0, exec_lo
	s_wait_loadcnt_dscnt 0x901
	v_mul_f64_e32 v[173:174], v[40:41], v[4:5]
	v_mul_f64_e32 v[4:5], v[38:39], v[4:5]
	s_wait_loadcnt_dscnt 0x800
	v_mul_f64_e32 v[175:176], v[165:166], v[8:9]
	v_mul_f64_e32 v[8:9], v[167:168], v[8:9]
	s_delay_alu instid0(VALU_DEP_4) | instskip(NEXT) | instid1(VALU_DEP_4)
	v_fma_f64 v[173:174], v[38:39], v[2:3], -v[173:174]
	v_fma_f64 v[177:178], v[40:41], v[2:3], v[4:5]
	ds_load_b128 v[2:5], v1 offset:1120
	scratch_load_b128 v[38:41], off, off offset:288
	v_fma_f64 v[175:176], v[167:168], v[6:7], v[175:176]
	v_fma_f64 v[181:182], v[165:166], v[6:7], -v[8:9]
	ds_load_b128 v[6:9], v1 offset:1136
	scratch_load_b128 v[165:168], off, off offset:304
	s_wait_loadcnt_dscnt 0x901
	v_mul_f64_e32 v[179:180], v[2:3], v[12:13]
	v_mul_f64_e32 v[12:13], v[4:5], v[12:13]
	s_wait_loadcnt_dscnt 0x800
	v_mul_f64_e32 v[183:184], v[6:7], v[16:17]
	v_mul_f64_e32 v[16:17], v[8:9], v[16:17]
	v_add_f64_e32 v[173:174], 0, v[173:174]
	v_add_f64_e32 v[177:178], 0, v[177:178]
	v_fma_f64 v[179:180], v[4:5], v[10:11], v[179:180]
	v_fma_f64 v[185:186], v[2:3], v[10:11], -v[12:13]
	ds_load_b128 v[2:5], v1 offset:1152
	scratch_load_b128 v[10:13], off, off offset:320
	v_add_f64_e32 v[173:174], v[173:174], v[181:182]
	v_add_f64_e32 v[175:176], v[177:178], v[175:176]
	v_fma_f64 v[181:182], v[8:9], v[14:15], v[183:184]
	v_fma_f64 v[183:184], v[6:7], v[14:15], -v[16:17]
	ds_load_b128 v[6:9], v1 offset:1168
	scratch_load_b128 v[14:17], off, off offset:336
	s_wait_loadcnt_dscnt 0x901
	v_mul_f64_e32 v[177:178], v[2:3], v[20:21]
	v_mul_f64_e32 v[20:21], v[4:5], v[20:21]
	v_add_f64_e32 v[173:174], v[173:174], v[185:186]
	v_add_f64_e32 v[175:176], v[175:176], v[179:180]
	s_wait_loadcnt_dscnt 0x800
	v_mul_f64_e32 v[179:180], v[6:7], v[24:25]
	v_mul_f64_e32 v[24:25], v[8:9], v[24:25]
	v_fma_f64 v[177:178], v[4:5], v[18:19], v[177:178]
	v_fma_f64 v[185:186], v[2:3], v[18:19], -v[20:21]
	ds_load_b128 v[2:5], v1 offset:1184
	scratch_load_b128 v[18:21], off, off offset:352
	v_add_f64_e32 v[173:174], v[173:174], v[183:184]
	v_add_f64_e32 v[175:176], v[175:176], v[181:182]
	v_fma_f64 v[179:180], v[8:9], v[22:23], v[179:180]
	v_fma_f64 v[183:184], v[6:7], v[22:23], -v[24:25]
	ds_load_b128 v[6:9], v1 offset:1200
	s_wait_loadcnt_dscnt 0x801
	v_mul_f64_e32 v[181:182], v[2:3], v[28:29]
	v_mul_f64_e32 v[28:29], v[4:5], v[28:29]
	scratch_load_b128 v[22:25], off, off offset:368
	v_add_f64_e32 v[173:174], v[173:174], v[185:186]
	v_add_f64_e32 v[175:176], v[175:176], v[177:178]
	s_wait_loadcnt_dscnt 0x800
	v_mul_f64_e32 v[177:178], v[6:7], v[32:33]
	v_mul_f64_e32 v[32:33], v[8:9], v[32:33]
	v_fma_f64 v[181:182], v[4:5], v[26:27], v[181:182]
	v_fma_f64 v[185:186], v[2:3], v[26:27], -v[28:29]
	ds_load_b128 v[2:5], v1 offset:1216
	scratch_load_b128 v[26:29], off, off offset:384
	v_add_f64_e32 v[173:174], v[173:174], v[183:184]
	v_add_f64_e32 v[175:176], v[175:176], v[179:180]
	v_fma_f64 v[177:178], v[8:9], v[30:31], v[177:178]
	v_fma_f64 v[183:184], v[6:7], v[30:31], -v[32:33]
	ds_load_b128 v[6:9], v1 offset:1232
	s_wait_loadcnt_dscnt 0x801
	v_mul_f64_e32 v[179:180], v[2:3], v[36:37]
	v_mul_f64_e32 v[36:37], v[4:5], v[36:37]
	scratch_load_b128 v[30:33], off, off offset:400
	v_add_f64_e32 v[173:174], v[173:174], v[185:186]
	v_add_f64_e32 v[175:176], v[175:176], v[181:182]
	s_wait_loadcnt_dscnt 0x800
	v_mul_f64_e32 v[181:182], v[6:7], v[171:172]
	v_mul_f64_e32 v[171:172], v[8:9], v[171:172]
	v_fma_f64 v[179:180], v[4:5], v[34:35], v[179:180]
	v_fma_f64 v[185:186], v[2:3], v[34:35], -v[36:37]
	ds_load_b128 v[2:5], v1 offset:1248
	scratch_load_b128 v[34:37], off, off offset:416
	v_add_f64_e32 v[173:174], v[173:174], v[183:184]
	v_add_f64_e32 v[175:176], v[175:176], v[177:178]
	v_fma_f64 v[181:182], v[8:9], v[169:170], v[181:182]
	v_fma_f64 v[183:184], v[6:7], v[169:170], -v[171:172]
	ds_load_b128 v[6:9], v1 offset:1264
	scratch_load_b128 v[169:172], off, off offset:432
	s_wait_loadcnt_dscnt 0x901
	v_mul_f64_e32 v[177:178], v[2:3], v[40:41]
	v_mul_f64_e32 v[40:41], v[4:5], v[40:41]
	v_add_f64_e32 v[173:174], v[173:174], v[185:186]
	v_add_f64_e32 v[175:176], v[175:176], v[179:180]
	s_wait_loadcnt_dscnt 0x800
	v_mul_f64_e32 v[179:180], v[6:7], v[167:168]
	v_mul_f64_e32 v[167:168], v[8:9], v[167:168]
	v_fma_f64 v[177:178], v[4:5], v[38:39], v[177:178]
	v_fma_f64 v[185:186], v[2:3], v[38:39], -v[40:41]
	ds_load_b128 v[2:5], v1 offset:1280
	scratch_load_b128 v[38:41], off, off offset:448
	v_add_f64_e32 v[173:174], v[173:174], v[183:184]
	v_add_f64_e32 v[175:176], v[175:176], v[181:182]
	v_fma_f64 v[179:180], v[8:9], v[165:166], v[179:180]
	v_fma_f64 v[183:184], v[6:7], v[165:166], -v[167:168]
	ds_load_b128 v[6:9], v1 offset:1296
	s_wait_loadcnt_dscnt 0x801
	v_mul_f64_e32 v[181:182], v[2:3], v[12:13]
	v_mul_f64_e32 v[12:13], v[4:5], v[12:13]
	scratch_load_b128 v[165:168], off, off offset:464
	v_add_f64_e32 v[173:174], v[173:174], v[185:186]
	v_add_f64_e32 v[175:176], v[175:176], v[177:178]
	s_wait_loadcnt_dscnt 0x800
	v_mul_f64_e32 v[177:178], v[6:7], v[16:17]
	v_mul_f64_e32 v[16:17], v[8:9], v[16:17]
	v_fma_f64 v[181:182], v[4:5], v[10:11], v[181:182]
	v_fma_f64 v[185:186], v[2:3], v[10:11], -v[12:13]
	ds_load_b128 v[2:5], v1 offset:1312
	scratch_load_b128 v[10:13], off, off offset:480
	v_add_f64_e32 v[173:174], v[173:174], v[183:184]
	v_add_f64_e32 v[175:176], v[175:176], v[179:180]
	v_fma_f64 v[177:178], v[8:9], v[14:15], v[177:178]
	v_fma_f64 v[183:184], v[6:7], v[14:15], -v[16:17]
	ds_load_b128 v[6:9], v1 offset:1328
	s_wait_loadcnt_dscnt 0x801
	v_mul_f64_e32 v[179:180], v[2:3], v[20:21]
	v_mul_f64_e32 v[20:21], v[4:5], v[20:21]
	scratch_load_b128 v[14:17], off, off offset:496
	;; [unrolled: 18-line block ×17, first 2 shown]
	v_add_f64_e32 v[173:174], v[173:174], v[185:186]
	v_add_f64_e32 v[175:176], v[175:176], v[181:182]
	s_wait_loadcnt_dscnt 0x800
	v_mul_f64_e32 v[181:182], v[6:7], v[24:25]
	v_mul_f64_e32 v[24:25], v[8:9], v[24:25]
	v_fma_f64 v[179:180], v[4:5], v[18:19], v[179:180]
	v_fma_f64 v[18:19], v[2:3], v[18:19], -v[20:21]
	ds_load_b128 v[2:5], v1 offset:1824
	v_add_f64_e32 v[20:21], v[173:174], v[183:184]
	v_add_f64_e32 v[173:174], v[175:176], v[177:178]
	v_fma_f64 v[177:178], v[8:9], v[22:23], v[181:182]
	v_fma_f64 v[22:23], v[6:7], v[22:23], -v[24:25]
	ds_load_b128 v[6:9], v1 offset:1840
	s_wait_loadcnt_dscnt 0x701
	v_mul_f64_e32 v[175:176], v[2:3], v[28:29]
	v_mul_f64_e32 v[28:29], v[4:5], v[28:29]
	v_add_f64_e32 v[18:19], v[20:21], v[18:19]
	v_add_f64_e32 v[20:21], v[173:174], v[179:180]
	s_delay_alu instid0(VALU_DEP_4) | instskip(NEXT) | instid1(VALU_DEP_4)
	v_fma_f64 v[173:174], v[4:5], v[26:27], v[175:176]
	v_fma_f64 v[26:27], v[2:3], v[26:27], -v[28:29]
	ds_load_b128 v[2:5], v1 offset:1856
	v_add_f64_e32 v[22:23], v[18:19], v[22:23]
	v_add_f64_e32 v[28:29], v[20:21], v[177:178]
	scratch_load_b128 v[18:21], off, off offset:112
	s_wait_loadcnt_dscnt 0x701
	v_mul_f64_e32 v[24:25], v[6:7], v[32:33]
	v_mul_f64_e32 v[32:33], v[8:9], v[32:33]
	v_add_f64_e32 v[22:23], v[22:23], v[26:27]
	v_add_f64_e32 v[26:27], v[28:29], v[173:174]
	s_delay_alu instid0(VALU_DEP_4) | instskip(NEXT) | instid1(VALU_DEP_4)
	v_fma_f64 v[24:25], v[8:9], v[30:31], v[24:25]
	v_fma_f64 v[30:31], v[6:7], v[30:31], -v[32:33]
	ds_load_b128 v[6:9], v1 offset:1872
	s_wait_loadcnt_dscnt 0x601
	v_mul_f64_e32 v[175:176], v[2:3], v[36:37]
	v_mul_f64_e32 v[36:37], v[4:5], v[36:37]
	s_wait_loadcnt_dscnt 0x500
	v_mul_f64_e32 v[28:29], v[6:7], v[171:172]
	v_mul_f64_e32 v[32:33], v[8:9], v[171:172]
	v_add_f64_e32 v[24:25], v[26:27], v[24:25]
	v_add_f64_e32 v[22:23], v[22:23], v[30:31]
	v_fma_f64 v[171:172], v[4:5], v[34:35], v[175:176]
	v_fma_f64 v[34:35], v[2:3], v[34:35], -v[36:37]
	ds_load_b128 v[2:5], v1 offset:1888
	v_fma_f64 v[28:29], v[8:9], v[169:170], v[28:29]
	v_fma_f64 v[32:33], v[6:7], v[169:170], -v[32:33]
	ds_load_b128 v[6:9], v1 offset:1904
	s_wait_loadcnt_dscnt 0x401
	v_mul_f64_e32 v[26:27], v[2:3], v[40:41]
	v_mul_f64_e32 v[30:31], v[4:5], v[40:41]
	v_add_f64_e32 v[24:25], v[24:25], v[171:172]
	v_add_f64_e32 v[22:23], v[22:23], v[34:35]
	s_wait_loadcnt_dscnt 0x300
	v_mul_f64_e32 v[34:35], v[6:7], v[167:168]
	v_mul_f64_e32 v[36:37], v[8:9], v[167:168]
	v_fma_f64 v[26:27], v[4:5], v[38:39], v[26:27]
	v_fma_f64 v[30:31], v[2:3], v[38:39], -v[30:31]
	ds_load_b128 v[2:5], v1 offset:1920
	v_add_f64_e32 v[24:25], v[24:25], v[28:29]
	v_add_f64_e32 v[22:23], v[22:23], v[32:33]
	v_fma_f64 v[32:33], v[8:9], v[165:166], v[34:35]
	v_fma_f64 v[34:35], v[6:7], v[165:166], -v[36:37]
	ds_load_b128 v[6:9], v1 offset:1936
	s_wait_loadcnt_dscnt 0x201
	v_mul_f64_e32 v[28:29], v[2:3], v[12:13]
	v_mul_f64_e32 v[12:13], v[4:5], v[12:13]
	v_add_f64_e32 v[24:25], v[24:25], v[26:27]
	v_add_f64_e32 v[22:23], v[22:23], v[30:31]
	s_wait_loadcnt_dscnt 0x100
	v_mul_f64_e32 v[26:27], v[6:7], v[16:17]
	v_mul_f64_e32 v[16:17], v[8:9], v[16:17]
	v_fma_f64 v[4:5], v[4:5], v[10:11], v[28:29]
	v_fma_f64 v[1:2], v[2:3], v[10:11], -v[12:13]
	v_add_f64_e32 v[12:13], v[24:25], v[32:33]
	v_add_f64_e32 v[10:11], v[22:23], v[34:35]
	v_fma_f64 v[8:9], v[8:9], v[14:15], v[26:27]
	v_fma_f64 v[6:7], v[6:7], v[14:15], -v[16:17]
	s_delay_alu instid0(VALU_DEP_4) | instskip(NEXT) | instid1(VALU_DEP_4)
	v_add_f64_e32 v[3:4], v[12:13], v[4:5]
	v_add_f64_e32 v[1:2], v[10:11], v[1:2]
	s_delay_alu instid0(VALU_DEP_2) | instskip(NEXT) | instid1(VALU_DEP_2)
	v_add_f64_e32 v[3:4], v[3:4], v[8:9]
	v_add_f64_e32 v[1:2], v[1:2], v[6:7]
	s_wait_loadcnt 0x0
	s_delay_alu instid0(VALU_DEP_2) | instskip(NEXT) | instid1(VALU_DEP_2)
	v_add_f64_e64 v[3:4], v[20:21], -v[3:4]
	v_add_f64_e64 v[1:2], v[18:19], -v[1:2]
	scratch_store_b128 off, v[1:4], off offset:112
	v_cmpx_lt_u32_e32 5, v0
	s_cbranch_execz .LBB124_381
; %bb.380:
	scratch_load_b128 v[1:4], off, s71
	v_mov_b32_e32 v5, 0
	s_delay_alu instid0(VALU_DEP_1)
	v_dual_mov_b32 v6, v5 :: v_dual_mov_b32 v7, v5
	v_mov_b32_e32 v8, v5
	scratch_store_b128 off, v[5:8], off offset:96
	s_wait_loadcnt 0x0
	ds_store_b128 v164, v[1:4]
.LBB124_381:
	s_wait_alu 0xfffe
	s_or_b32 exec_lo, exec_lo, s0
	s_wait_storecnt_dscnt 0x0
	s_barrier_signal -1
	s_barrier_wait -1
	global_inv scope:SCOPE_SE
	s_clause 0x7
	scratch_load_b128 v[2:5], off, off offset:112
	scratch_load_b128 v[6:9], off, off offset:128
	scratch_load_b128 v[10:13], off, off offset:144
	scratch_load_b128 v[14:17], off, off offset:160
	scratch_load_b128 v[18:21], off, off offset:176
	scratch_load_b128 v[22:25], off, off offset:192
	scratch_load_b128 v[26:29], off, off offset:208
	scratch_load_b128 v[30:33], off, off offset:224
	v_mov_b32_e32 v1, 0
	s_clause 0x1
	scratch_load_b128 v[34:37], off, off offset:240
	scratch_load_b128 v[169:172], off, off offset:256
	s_mov_b32 s0, exec_lo
	ds_load_b128 v[38:41], v1 offset:1072
	ds_load_b128 v[165:168], v1 offset:1088
	s_wait_loadcnt_dscnt 0x901
	v_mul_f64_e32 v[173:174], v[40:41], v[4:5]
	v_mul_f64_e32 v[4:5], v[38:39], v[4:5]
	s_wait_loadcnt_dscnt 0x800
	v_mul_f64_e32 v[175:176], v[165:166], v[8:9]
	v_mul_f64_e32 v[8:9], v[167:168], v[8:9]
	s_delay_alu instid0(VALU_DEP_4) | instskip(NEXT) | instid1(VALU_DEP_4)
	v_fma_f64 v[173:174], v[38:39], v[2:3], -v[173:174]
	v_fma_f64 v[177:178], v[40:41], v[2:3], v[4:5]
	ds_load_b128 v[2:5], v1 offset:1104
	scratch_load_b128 v[38:41], off, off offset:272
	v_fma_f64 v[175:176], v[167:168], v[6:7], v[175:176]
	v_fma_f64 v[181:182], v[165:166], v[6:7], -v[8:9]
	ds_load_b128 v[6:9], v1 offset:1120
	scratch_load_b128 v[165:168], off, off offset:288
	s_wait_loadcnt_dscnt 0x901
	v_mul_f64_e32 v[179:180], v[2:3], v[12:13]
	v_mul_f64_e32 v[12:13], v[4:5], v[12:13]
	s_wait_loadcnt_dscnt 0x800
	v_mul_f64_e32 v[183:184], v[6:7], v[16:17]
	v_mul_f64_e32 v[16:17], v[8:9], v[16:17]
	v_add_f64_e32 v[173:174], 0, v[173:174]
	v_add_f64_e32 v[177:178], 0, v[177:178]
	v_fma_f64 v[179:180], v[4:5], v[10:11], v[179:180]
	v_fma_f64 v[185:186], v[2:3], v[10:11], -v[12:13]
	ds_load_b128 v[2:5], v1 offset:1136
	scratch_load_b128 v[10:13], off, off offset:304
	v_add_f64_e32 v[173:174], v[173:174], v[181:182]
	v_add_f64_e32 v[175:176], v[177:178], v[175:176]
	v_fma_f64 v[181:182], v[8:9], v[14:15], v[183:184]
	v_fma_f64 v[183:184], v[6:7], v[14:15], -v[16:17]
	ds_load_b128 v[6:9], v1 offset:1152
	scratch_load_b128 v[14:17], off, off offset:320
	s_wait_loadcnt_dscnt 0x901
	v_mul_f64_e32 v[177:178], v[2:3], v[20:21]
	v_mul_f64_e32 v[20:21], v[4:5], v[20:21]
	v_add_f64_e32 v[173:174], v[173:174], v[185:186]
	v_add_f64_e32 v[175:176], v[175:176], v[179:180]
	s_wait_loadcnt_dscnt 0x800
	v_mul_f64_e32 v[179:180], v[6:7], v[24:25]
	v_mul_f64_e32 v[24:25], v[8:9], v[24:25]
	v_fma_f64 v[177:178], v[4:5], v[18:19], v[177:178]
	v_fma_f64 v[185:186], v[2:3], v[18:19], -v[20:21]
	ds_load_b128 v[2:5], v1 offset:1168
	scratch_load_b128 v[18:21], off, off offset:336
	v_add_f64_e32 v[173:174], v[173:174], v[183:184]
	v_add_f64_e32 v[175:176], v[175:176], v[181:182]
	v_fma_f64 v[179:180], v[8:9], v[22:23], v[179:180]
	v_fma_f64 v[183:184], v[6:7], v[22:23], -v[24:25]
	ds_load_b128 v[6:9], v1 offset:1184
	s_wait_loadcnt_dscnt 0x801
	v_mul_f64_e32 v[181:182], v[2:3], v[28:29]
	v_mul_f64_e32 v[28:29], v[4:5], v[28:29]
	scratch_load_b128 v[22:25], off, off offset:352
	v_add_f64_e32 v[173:174], v[173:174], v[185:186]
	v_add_f64_e32 v[175:176], v[175:176], v[177:178]
	s_wait_loadcnt_dscnt 0x800
	v_mul_f64_e32 v[177:178], v[6:7], v[32:33]
	v_mul_f64_e32 v[32:33], v[8:9], v[32:33]
	v_fma_f64 v[181:182], v[4:5], v[26:27], v[181:182]
	v_fma_f64 v[185:186], v[2:3], v[26:27], -v[28:29]
	ds_load_b128 v[2:5], v1 offset:1200
	scratch_load_b128 v[26:29], off, off offset:368
	v_add_f64_e32 v[173:174], v[173:174], v[183:184]
	v_add_f64_e32 v[175:176], v[175:176], v[179:180]
	v_fma_f64 v[177:178], v[8:9], v[30:31], v[177:178]
	v_fma_f64 v[183:184], v[6:7], v[30:31], -v[32:33]
	ds_load_b128 v[6:9], v1 offset:1216
	s_wait_loadcnt_dscnt 0x801
	v_mul_f64_e32 v[179:180], v[2:3], v[36:37]
	v_mul_f64_e32 v[36:37], v[4:5], v[36:37]
	scratch_load_b128 v[30:33], off, off offset:384
	v_add_f64_e32 v[173:174], v[173:174], v[185:186]
	v_add_f64_e32 v[175:176], v[175:176], v[181:182]
	s_wait_loadcnt_dscnt 0x800
	v_mul_f64_e32 v[181:182], v[6:7], v[171:172]
	v_mul_f64_e32 v[171:172], v[8:9], v[171:172]
	v_fma_f64 v[179:180], v[4:5], v[34:35], v[179:180]
	v_fma_f64 v[185:186], v[2:3], v[34:35], -v[36:37]
	ds_load_b128 v[2:5], v1 offset:1232
	scratch_load_b128 v[34:37], off, off offset:400
	v_add_f64_e32 v[173:174], v[173:174], v[183:184]
	v_add_f64_e32 v[175:176], v[175:176], v[177:178]
	v_fma_f64 v[181:182], v[8:9], v[169:170], v[181:182]
	v_fma_f64 v[183:184], v[6:7], v[169:170], -v[171:172]
	ds_load_b128 v[6:9], v1 offset:1248
	scratch_load_b128 v[169:172], off, off offset:416
	s_wait_loadcnt_dscnt 0x901
	v_mul_f64_e32 v[177:178], v[2:3], v[40:41]
	v_mul_f64_e32 v[40:41], v[4:5], v[40:41]
	v_add_f64_e32 v[173:174], v[173:174], v[185:186]
	v_add_f64_e32 v[175:176], v[175:176], v[179:180]
	s_wait_loadcnt_dscnt 0x800
	v_mul_f64_e32 v[179:180], v[6:7], v[167:168]
	v_mul_f64_e32 v[167:168], v[8:9], v[167:168]
	v_fma_f64 v[177:178], v[4:5], v[38:39], v[177:178]
	v_fma_f64 v[185:186], v[2:3], v[38:39], -v[40:41]
	ds_load_b128 v[2:5], v1 offset:1264
	scratch_load_b128 v[38:41], off, off offset:432
	v_add_f64_e32 v[173:174], v[173:174], v[183:184]
	v_add_f64_e32 v[175:176], v[175:176], v[181:182]
	v_fma_f64 v[179:180], v[8:9], v[165:166], v[179:180]
	v_fma_f64 v[183:184], v[6:7], v[165:166], -v[167:168]
	ds_load_b128 v[6:9], v1 offset:1280
	s_wait_loadcnt_dscnt 0x801
	v_mul_f64_e32 v[181:182], v[2:3], v[12:13]
	v_mul_f64_e32 v[12:13], v[4:5], v[12:13]
	scratch_load_b128 v[165:168], off, off offset:448
	v_add_f64_e32 v[173:174], v[173:174], v[185:186]
	v_add_f64_e32 v[175:176], v[175:176], v[177:178]
	s_wait_loadcnt_dscnt 0x800
	v_mul_f64_e32 v[177:178], v[6:7], v[16:17]
	v_mul_f64_e32 v[16:17], v[8:9], v[16:17]
	v_fma_f64 v[181:182], v[4:5], v[10:11], v[181:182]
	v_fma_f64 v[185:186], v[2:3], v[10:11], -v[12:13]
	ds_load_b128 v[2:5], v1 offset:1296
	scratch_load_b128 v[10:13], off, off offset:464
	v_add_f64_e32 v[173:174], v[173:174], v[183:184]
	v_add_f64_e32 v[175:176], v[175:176], v[179:180]
	v_fma_f64 v[177:178], v[8:9], v[14:15], v[177:178]
	v_fma_f64 v[183:184], v[6:7], v[14:15], -v[16:17]
	ds_load_b128 v[6:9], v1 offset:1312
	s_wait_loadcnt_dscnt 0x801
	v_mul_f64_e32 v[179:180], v[2:3], v[20:21]
	v_mul_f64_e32 v[20:21], v[4:5], v[20:21]
	scratch_load_b128 v[14:17], off, off offset:480
	v_add_f64_e32 v[173:174], v[173:174], v[185:186]
	v_add_f64_e32 v[175:176], v[175:176], v[181:182]
	s_wait_loadcnt_dscnt 0x800
	v_mul_f64_e32 v[181:182], v[6:7], v[24:25]
	v_mul_f64_e32 v[24:25], v[8:9], v[24:25]
	v_fma_f64 v[179:180], v[4:5], v[18:19], v[179:180]
	v_fma_f64 v[185:186], v[2:3], v[18:19], -v[20:21]
	ds_load_b128 v[2:5], v1 offset:1328
	scratch_load_b128 v[18:21], off, off offset:496
	v_add_f64_e32 v[173:174], v[173:174], v[183:184]
	v_add_f64_e32 v[175:176], v[175:176], v[177:178]
	v_fma_f64 v[181:182], v[8:9], v[22:23], v[181:182]
	v_fma_f64 v[183:184], v[6:7], v[22:23], -v[24:25]
	ds_load_b128 v[6:9], v1 offset:1344
	s_wait_loadcnt_dscnt 0x801
	v_mul_f64_e32 v[177:178], v[2:3], v[28:29]
	v_mul_f64_e32 v[28:29], v[4:5], v[28:29]
	scratch_load_b128 v[22:25], off, off offset:512
	v_add_f64_e32 v[173:174], v[173:174], v[185:186]
	v_add_f64_e32 v[175:176], v[175:176], v[179:180]
	s_wait_loadcnt_dscnt 0x800
	v_mul_f64_e32 v[179:180], v[6:7], v[32:33]
	v_mul_f64_e32 v[32:33], v[8:9], v[32:33]
	v_fma_f64 v[177:178], v[4:5], v[26:27], v[177:178]
	v_fma_f64 v[185:186], v[2:3], v[26:27], -v[28:29]
	ds_load_b128 v[2:5], v1 offset:1360
	scratch_load_b128 v[26:29], off, off offset:528
	v_add_f64_e32 v[173:174], v[173:174], v[183:184]
	v_add_f64_e32 v[175:176], v[175:176], v[181:182]
	v_fma_f64 v[179:180], v[8:9], v[30:31], v[179:180]
	v_fma_f64 v[183:184], v[6:7], v[30:31], -v[32:33]
	ds_load_b128 v[6:9], v1 offset:1376
	s_wait_loadcnt_dscnt 0x801
	v_mul_f64_e32 v[181:182], v[2:3], v[36:37]
	v_mul_f64_e32 v[36:37], v[4:5], v[36:37]
	scratch_load_b128 v[30:33], off, off offset:544
	v_add_f64_e32 v[173:174], v[173:174], v[185:186]
	v_add_f64_e32 v[175:176], v[175:176], v[177:178]
	s_wait_loadcnt_dscnt 0x800
	v_mul_f64_e32 v[177:178], v[6:7], v[171:172]
	v_mul_f64_e32 v[171:172], v[8:9], v[171:172]
	v_fma_f64 v[181:182], v[4:5], v[34:35], v[181:182]
	v_fma_f64 v[185:186], v[2:3], v[34:35], -v[36:37]
	ds_load_b128 v[2:5], v1 offset:1392
	scratch_load_b128 v[34:37], off, off offset:560
	v_add_f64_e32 v[173:174], v[173:174], v[183:184]
	v_add_f64_e32 v[175:176], v[175:176], v[179:180]
	v_fma_f64 v[177:178], v[8:9], v[169:170], v[177:178]
	v_fma_f64 v[183:184], v[6:7], v[169:170], -v[171:172]
	ds_load_b128 v[6:9], v1 offset:1408
	s_wait_loadcnt_dscnt 0x801
	v_mul_f64_e32 v[179:180], v[2:3], v[40:41]
	v_mul_f64_e32 v[40:41], v[4:5], v[40:41]
	scratch_load_b128 v[169:172], off, off offset:576
	v_add_f64_e32 v[173:174], v[173:174], v[185:186]
	v_add_f64_e32 v[175:176], v[175:176], v[181:182]
	s_wait_loadcnt_dscnt 0x800
	v_mul_f64_e32 v[181:182], v[6:7], v[167:168]
	v_mul_f64_e32 v[167:168], v[8:9], v[167:168]
	v_fma_f64 v[179:180], v[4:5], v[38:39], v[179:180]
	v_fma_f64 v[185:186], v[2:3], v[38:39], -v[40:41]
	ds_load_b128 v[2:5], v1 offset:1424
	scratch_load_b128 v[38:41], off, off offset:592
	v_add_f64_e32 v[173:174], v[173:174], v[183:184]
	v_add_f64_e32 v[175:176], v[175:176], v[177:178]
	v_fma_f64 v[181:182], v[8:9], v[165:166], v[181:182]
	v_fma_f64 v[183:184], v[6:7], v[165:166], -v[167:168]
	ds_load_b128 v[6:9], v1 offset:1440
	s_wait_loadcnt_dscnt 0x801
	v_mul_f64_e32 v[177:178], v[2:3], v[12:13]
	v_mul_f64_e32 v[12:13], v[4:5], v[12:13]
	scratch_load_b128 v[165:168], off, off offset:608
	v_add_f64_e32 v[173:174], v[173:174], v[185:186]
	v_add_f64_e32 v[175:176], v[175:176], v[179:180]
	s_wait_loadcnt_dscnt 0x800
	v_mul_f64_e32 v[179:180], v[6:7], v[16:17]
	v_mul_f64_e32 v[16:17], v[8:9], v[16:17]
	v_fma_f64 v[177:178], v[4:5], v[10:11], v[177:178]
	v_fma_f64 v[185:186], v[2:3], v[10:11], -v[12:13]
	ds_load_b128 v[2:5], v1 offset:1456
	scratch_load_b128 v[10:13], off, off offset:624
	v_add_f64_e32 v[173:174], v[173:174], v[183:184]
	v_add_f64_e32 v[175:176], v[175:176], v[181:182]
	v_fma_f64 v[179:180], v[8:9], v[14:15], v[179:180]
	v_fma_f64 v[183:184], v[6:7], v[14:15], -v[16:17]
	ds_load_b128 v[6:9], v1 offset:1472
	s_wait_loadcnt_dscnt 0x801
	v_mul_f64_e32 v[181:182], v[2:3], v[20:21]
	v_mul_f64_e32 v[20:21], v[4:5], v[20:21]
	scratch_load_b128 v[14:17], off, off offset:640
	v_add_f64_e32 v[173:174], v[173:174], v[185:186]
	v_add_f64_e32 v[175:176], v[175:176], v[177:178]
	s_wait_loadcnt_dscnt 0x800
	v_mul_f64_e32 v[177:178], v[6:7], v[24:25]
	v_mul_f64_e32 v[24:25], v[8:9], v[24:25]
	v_fma_f64 v[181:182], v[4:5], v[18:19], v[181:182]
	v_fma_f64 v[185:186], v[2:3], v[18:19], -v[20:21]
	ds_load_b128 v[2:5], v1 offset:1488
	scratch_load_b128 v[18:21], off, off offset:656
	v_add_f64_e32 v[173:174], v[173:174], v[183:184]
	v_add_f64_e32 v[175:176], v[175:176], v[179:180]
	v_fma_f64 v[177:178], v[8:9], v[22:23], v[177:178]
	v_fma_f64 v[183:184], v[6:7], v[22:23], -v[24:25]
	ds_load_b128 v[6:9], v1 offset:1504
	s_wait_loadcnt_dscnt 0x801
	v_mul_f64_e32 v[179:180], v[2:3], v[28:29]
	v_mul_f64_e32 v[28:29], v[4:5], v[28:29]
	scratch_load_b128 v[22:25], off, off offset:672
	v_add_f64_e32 v[173:174], v[173:174], v[185:186]
	v_add_f64_e32 v[175:176], v[175:176], v[181:182]
	s_wait_loadcnt_dscnt 0x800
	v_mul_f64_e32 v[181:182], v[6:7], v[32:33]
	v_mul_f64_e32 v[32:33], v[8:9], v[32:33]
	v_fma_f64 v[179:180], v[4:5], v[26:27], v[179:180]
	v_fma_f64 v[185:186], v[2:3], v[26:27], -v[28:29]
	ds_load_b128 v[2:5], v1 offset:1520
	scratch_load_b128 v[26:29], off, off offset:688
	v_add_f64_e32 v[173:174], v[173:174], v[183:184]
	v_add_f64_e32 v[175:176], v[175:176], v[177:178]
	v_fma_f64 v[181:182], v[8:9], v[30:31], v[181:182]
	v_fma_f64 v[183:184], v[6:7], v[30:31], -v[32:33]
	ds_load_b128 v[6:9], v1 offset:1536
	s_wait_loadcnt_dscnt 0x801
	v_mul_f64_e32 v[177:178], v[2:3], v[36:37]
	v_mul_f64_e32 v[36:37], v[4:5], v[36:37]
	scratch_load_b128 v[30:33], off, off offset:704
	v_add_f64_e32 v[173:174], v[173:174], v[185:186]
	v_add_f64_e32 v[175:176], v[175:176], v[179:180]
	s_wait_loadcnt_dscnt 0x800
	v_mul_f64_e32 v[179:180], v[6:7], v[171:172]
	v_mul_f64_e32 v[171:172], v[8:9], v[171:172]
	v_fma_f64 v[177:178], v[4:5], v[34:35], v[177:178]
	v_fma_f64 v[185:186], v[2:3], v[34:35], -v[36:37]
	ds_load_b128 v[2:5], v1 offset:1552
	scratch_load_b128 v[34:37], off, off offset:720
	v_add_f64_e32 v[173:174], v[173:174], v[183:184]
	v_add_f64_e32 v[175:176], v[175:176], v[181:182]
	v_fma_f64 v[179:180], v[8:9], v[169:170], v[179:180]
	v_fma_f64 v[183:184], v[6:7], v[169:170], -v[171:172]
	ds_load_b128 v[6:9], v1 offset:1568
	s_wait_loadcnt_dscnt 0x801
	v_mul_f64_e32 v[181:182], v[2:3], v[40:41]
	v_mul_f64_e32 v[40:41], v[4:5], v[40:41]
	scratch_load_b128 v[169:172], off, off offset:736
	v_add_f64_e32 v[173:174], v[173:174], v[185:186]
	v_add_f64_e32 v[175:176], v[175:176], v[177:178]
	s_wait_loadcnt_dscnt 0x800
	v_mul_f64_e32 v[177:178], v[6:7], v[167:168]
	v_mul_f64_e32 v[167:168], v[8:9], v[167:168]
	v_fma_f64 v[181:182], v[4:5], v[38:39], v[181:182]
	v_fma_f64 v[185:186], v[2:3], v[38:39], -v[40:41]
	ds_load_b128 v[2:5], v1 offset:1584
	scratch_load_b128 v[38:41], off, off offset:752
	v_add_f64_e32 v[173:174], v[173:174], v[183:184]
	v_add_f64_e32 v[175:176], v[175:176], v[179:180]
	v_fma_f64 v[177:178], v[8:9], v[165:166], v[177:178]
	v_fma_f64 v[183:184], v[6:7], v[165:166], -v[167:168]
	ds_load_b128 v[6:9], v1 offset:1600
	s_wait_loadcnt_dscnt 0x801
	v_mul_f64_e32 v[179:180], v[2:3], v[12:13]
	v_mul_f64_e32 v[12:13], v[4:5], v[12:13]
	scratch_load_b128 v[165:168], off, off offset:768
	v_add_f64_e32 v[173:174], v[173:174], v[185:186]
	v_add_f64_e32 v[175:176], v[175:176], v[181:182]
	s_wait_loadcnt_dscnt 0x800
	v_mul_f64_e32 v[181:182], v[6:7], v[16:17]
	v_mul_f64_e32 v[16:17], v[8:9], v[16:17]
	v_fma_f64 v[179:180], v[4:5], v[10:11], v[179:180]
	v_fma_f64 v[185:186], v[2:3], v[10:11], -v[12:13]
	ds_load_b128 v[2:5], v1 offset:1616
	scratch_load_b128 v[10:13], off, off offset:784
	v_add_f64_e32 v[173:174], v[173:174], v[183:184]
	v_add_f64_e32 v[175:176], v[175:176], v[177:178]
	v_fma_f64 v[181:182], v[8:9], v[14:15], v[181:182]
	v_fma_f64 v[183:184], v[6:7], v[14:15], -v[16:17]
	ds_load_b128 v[6:9], v1 offset:1632
	s_wait_loadcnt_dscnt 0x801
	v_mul_f64_e32 v[177:178], v[2:3], v[20:21]
	v_mul_f64_e32 v[20:21], v[4:5], v[20:21]
	scratch_load_b128 v[14:17], off, off offset:800
	v_add_f64_e32 v[173:174], v[173:174], v[185:186]
	v_add_f64_e32 v[175:176], v[175:176], v[179:180]
	s_wait_loadcnt_dscnt 0x800
	v_mul_f64_e32 v[179:180], v[6:7], v[24:25]
	v_mul_f64_e32 v[24:25], v[8:9], v[24:25]
	v_fma_f64 v[177:178], v[4:5], v[18:19], v[177:178]
	v_fma_f64 v[185:186], v[2:3], v[18:19], -v[20:21]
	ds_load_b128 v[2:5], v1 offset:1648
	scratch_load_b128 v[18:21], off, off offset:816
	v_add_f64_e32 v[173:174], v[173:174], v[183:184]
	v_add_f64_e32 v[175:176], v[175:176], v[181:182]
	v_fma_f64 v[179:180], v[8:9], v[22:23], v[179:180]
	v_fma_f64 v[183:184], v[6:7], v[22:23], -v[24:25]
	ds_load_b128 v[6:9], v1 offset:1664
	s_wait_loadcnt_dscnt 0x801
	v_mul_f64_e32 v[181:182], v[2:3], v[28:29]
	v_mul_f64_e32 v[28:29], v[4:5], v[28:29]
	scratch_load_b128 v[22:25], off, off offset:832
	v_add_f64_e32 v[173:174], v[173:174], v[185:186]
	v_add_f64_e32 v[175:176], v[175:176], v[177:178]
	s_wait_loadcnt_dscnt 0x800
	v_mul_f64_e32 v[177:178], v[6:7], v[32:33]
	v_mul_f64_e32 v[32:33], v[8:9], v[32:33]
	v_fma_f64 v[181:182], v[4:5], v[26:27], v[181:182]
	v_fma_f64 v[185:186], v[2:3], v[26:27], -v[28:29]
	ds_load_b128 v[2:5], v1 offset:1680
	scratch_load_b128 v[26:29], off, off offset:848
	v_add_f64_e32 v[173:174], v[173:174], v[183:184]
	v_add_f64_e32 v[175:176], v[175:176], v[179:180]
	v_fma_f64 v[177:178], v[8:9], v[30:31], v[177:178]
	v_fma_f64 v[183:184], v[6:7], v[30:31], -v[32:33]
	ds_load_b128 v[6:9], v1 offset:1696
	s_wait_loadcnt_dscnt 0x801
	v_mul_f64_e32 v[179:180], v[2:3], v[36:37]
	v_mul_f64_e32 v[36:37], v[4:5], v[36:37]
	scratch_load_b128 v[30:33], off, off offset:864
	v_add_f64_e32 v[173:174], v[173:174], v[185:186]
	v_add_f64_e32 v[175:176], v[175:176], v[181:182]
	s_wait_loadcnt_dscnt 0x800
	v_mul_f64_e32 v[181:182], v[6:7], v[171:172]
	v_mul_f64_e32 v[171:172], v[8:9], v[171:172]
	v_fma_f64 v[179:180], v[4:5], v[34:35], v[179:180]
	v_fma_f64 v[185:186], v[2:3], v[34:35], -v[36:37]
	ds_load_b128 v[2:5], v1 offset:1712
	scratch_load_b128 v[34:37], off, off offset:880
	v_add_f64_e32 v[173:174], v[173:174], v[183:184]
	v_add_f64_e32 v[175:176], v[175:176], v[177:178]
	v_fma_f64 v[181:182], v[8:9], v[169:170], v[181:182]
	v_fma_f64 v[183:184], v[6:7], v[169:170], -v[171:172]
	ds_load_b128 v[6:9], v1 offset:1728
	s_wait_loadcnt_dscnt 0x801
	v_mul_f64_e32 v[177:178], v[2:3], v[40:41]
	v_mul_f64_e32 v[40:41], v[4:5], v[40:41]
	scratch_load_b128 v[169:172], off, off offset:896
	v_add_f64_e32 v[173:174], v[173:174], v[185:186]
	v_add_f64_e32 v[175:176], v[175:176], v[179:180]
	s_wait_loadcnt_dscnt 0x800
	v_mul_f64_e32 v[179:180], v[6:7], v[167:168]
	v_mul_f64_e32 v[167:168], v[8:9], v[167:168]
	v_fma_f64 v[177:178], v[4:5], v[38:39], v[177:178]
	v_fma_f64 v[185:186], v[2:3], v[38:39], -v[40:41]
	ds_load_b128 v[2:5], v1 offset:1744
	scratch_load_b128 v[38:41], off, off offset:912
	v_add_f64_e32 v[173:174], v[173:174], v[183:184]
	v_add_f64_e32 v[175:176], v[175:176], v[181:182]
	v_fma_f64 v[179:180], v[8:9], v[165:166], v[179:180]
	v_fma_f64 v[183:184], v[6:7], v[165:166], -v[167:168]
	ds_load_b128 v[6:9], v1 offset:1760
	s_wait_loadcnt_dscnt 0x801
	v_mul_f64_e32 v[181:182], v[2:3], v[12:13]
	v_mul_f64_e32 v[12:13], v[4:5], v[12:13]
	scratch_load_b128 v[165:168], off, off offset:928
	v_add_f64_e32 v[173:174], v[173:174], v[185:186]
	v_add_f64_e32 v[175:176], v[175:176], v[177:178]
	s_wait_loadcnt_dscnt 0x800
	v_mul_f64_e32 v[177:178], v[6:7], v[16:17]
	v_mul_f64_e32 v[16:17], v[8:9], v[16:17]
	v_fma_f64 v[181:182], v[4:5], v[10:11], v[181:182]
	v_fma_f64 v[185:186], v[2:3], v[10:11], -v[12:13]
	ds_load_b128 v[2:5], v1 offset:1776
	scratch_load_b128 v[10:13], off, off offset:944
	v_add_f64_e32 v[173:174], v[173:174], v[183:184]
	v_add_f64_e32 v[175:176], v[175:176], v[179:180]
	v_fma_f64 v[177:178], v[8:9], v[14:15], v[177:178]
	v_fma_f64 v[183:184], v[6:7], v[14:15], -v[16:17]
	ds_load_b128 v[6:9], v1 offset:1792
	s_wait_loadcnt_dscnt 0x801
	v_mul_f64_e32 v[179:180], v[2:3], v[20:21]
	v_mul_f64_e32 v[20:21], v[4:5], v[20:21]
	scratch_load_b128 v[14:17], off, off offset:960
	v_add_f64_e32 v[173:174], v[173:174], v[185:186]
	v_add_f64_e32 v[175:176], v[175:176], v[181:182]
	s_wait_loadcnt_dscnt 0x800
	v_mul_f64_e32 v[181:182], v[6:7], v[24:25]
	v_mul_f64_e32 v[24:25], v[8:9], v[24:25]
	v_fma_f64 v[179:180], v[4:5], v[18:19], v[179:180]
	v_fma_f64 v[185:186], v[2:3], v[18:19], -v[20:21]
	ds_load_b128 v[2:5], v1 offset:1808
	scratch_load_b128 v[18:21], off, off offset:976
	v_add_f64_e32 v[173:174], v[173:174], v[183:184]
	v_add_f64_e32 v[175:176], v[175:176], v[177:178]
	v_fma_f64 v[181:182], v[8:9], v[22:23], v[181:182]
	v_fma_f64 v[22:23], v[6:7], v[22:23], -v[24:25]
	ds_load_b128 v[6:9], v1 offset:1824
	s_wait_loadcnt_dscnt 0x801
	v_mul_f64_e32 v[177:178], v[2:3], v[28:29]
	v_mul_f64_e32 v[28:29], v[4:5], v[28:29]
	v_add_f64_e32 v[24:25], v[173:174], v[185:186]
	v_add_f64_e32 v[173:174], v[175:176], v[179:180]
	s_wait_loadcnt_dscnt 0x700
	v_mul_f64_e32 v[175:176], v[6:7], v[32:33]
	v_mul_f64_e32 v[32:33], v[8:9], v[32:33]
	v_fma_f64 v[177:178], v[4:5], v[26:27], v[177:178]
	v_fma_f64 v[26:27], v[2:3], v[26:27], -v[28:29]
	ds_load_b128 v[2:5], v1 offset:1840
	v_add_f64_e32 v[22:23], v[24:25], v[22:23]
	v_add_f64_e32 v[24:25], v[173:174], v[181:182]
	v_fma_f64 v[173:174], v[8:9], v[30:31], v[175:176]
	v_fma_f64 v[30:31], v[6:7], v[30:31], -v[32:33]
	ds_load_b128 v[6:9], v1 offset:1856
	s_wait_loadcnt_dscnt 0x500
	v_mul_f64_e32 v[175:176], v[6:7], v[171:172]
	v_mul_f64_e32 v[171:172], v[8:9], v[171:172]
	v_add_f64_e32 v[26:27], v[22:23], v[26:27]
	v_add_f64_e32 v[32:33], v[24:25], v[177:178]
	scratch_load_b128 v[22:25], off, off offset:96
	v_mul_f64_e32 v[28:29], v[2:3], v[36:37]
	v_mul_f64_e32 v[36:37], v[4:5], v[36:37]
	v_add_f64_e32 v[26:27], v[26:27], v[30:31]
	v_add_f64_e32 v[30:31], v[32:33], v[173:174]
	s_delay_alu instid0(VALU_DEP_4) | instskip(NEXT) | instid1(VALU_DEP_4)
	v_fma_f64 v[28:29], v[4:5], v[34:35], v[28:29]
	v_fma_f64 v[34:35], v[2:3], v[34:35], -v[36:37]
	ds_load_b128 v[2:5], v1 offset:1872
	s_wait_loadcnt_dscnt 0x500
	v_mul_f64_e32 v[32:33], v[2:3], v[40:41]
	v_mul_f64_e32 v[36:37], v[4:5], v[40:41]
	v_fma_f64 v[40:41], v[8:9], v[169:170], v[175:176]
	v_fma_f64 v[169:170], v[6:7], v[169:170], -v[171:172]
	ds_load_b128 v[6:9], v1 offset:1888
	v_add_f64_e32 v[28:29], v[30:31], v[28:29]
	v_add_f64_e32 v[26:27], v[26:27], v[34:35]
	v_fma_f64 v[32:33], v[4:5], v[38:39], v[32:33]
	v_fma_f64 v[36:37], v[2:3], v[38:39], -v[36:37]
	ds_load_b128 v[2:5], v1 offset:1904
	s_wait_loadcnt_dscnt 0x401
	v_mul_f64_e32 v[30:31], v[6:7], v[167:168]
	v_mul_f64_e32 v[34:35], v[8:9], v[167:168]
	v_add_f64_e32 v[28:29], v[28:29], v[40:41]
	v_add_f64_e32 v[26:27], v[26:27], v[169:170]
	s_wait_loadcnt_dscnt 0x300
	v_mul_f64_e32 v[38:39], v[2:3], v[12:13]
	v_mul_f64_e32 v[12:13], v[4:5], v[12:13]
	v_fma_f64 v[30:31], v[8:9], v[165:166], v[30:31]
	v_fma_f64 v[34:35], v[6:7], v[165:166], -v[34:35]
	ds_load_b128 v[6:9], v1 offset:1920
	v_add_f64_e32 v[28:29], v[28:29], v[32:33]
	v_add_f64_e32 v[26:27], v[26:27], v[36:37]
	v_fma_f64 v[36:37], v[4:5], v[10:11], v[38:39]
	v_fma_f64 v[10:11], v[2:3], v[10:11], -v[12:13]
	ds_load_b128 v[2:5], v1 offset:1936
	s_wait_loadcnt_dscnt 0x201
	v_mul_f64_e32 v[32:33], v[6:7], v[16:17]
	v_mul_f64_e32 v[16:17], v[8:9], v[16:17]
	v_add_f64_e32 v[12:13], v[26:27], v[34:35]
	v_add_f64_e32 v[26:27], v[28:29], v[30:31]
	s_wait_loadcnt_dscnt 0x100
	v_mul_f64_e32 v[28:29], v[2:3], v[20:21]
	v_mul_f64_e32 v[20:21], v[4:5], v[20:21]
	v_fma_f64 v[8:9], v[8:9], v[14:15], v[32:33]
	v_fma_f64 v[6:7], v[6:7], v[14:15], -v[16:17]
	v_add_f64_e32 v[10:11], v[12:13], v[10:11]
	v_add_f64_e32 v[12:13], v[26:27], v[36:37]
	v_fma_f64 v[4:5], v[4:5], v[18:19], v[28:29]
	v_fma_f64 v[2:3], v[2:3], v[18:19], -v[20:21]
	s_delay_alu instid0(VALU_DEP_4) | instskip(NEXT) | instid1(VALU_DEP_4)
	v_add_f64_e32 v[6:7], v[10:11], v[6:7]
	v_add_f64_e32 v[8:9], v[12:13], v[8:9]
	s_delay_alu instid0(VALU_DEP_2) | instskip(NEXT) | instid1(VALU_DEP_2)
	v_add_f64_e32 v[2:3], v[6:7], v[2:3]
	v_add_f64_e32 v[4:5], v[8:9], v[4:5]
	s_wait_loadcnt 0x0
	s_delay_alu instid0(VALU_DEP_2) | instskip(NEXT) | instid1(VALU_DEP_2)
	v_add_f64_e64 v[2:3], v[22:23], -v[2:3]
	v_add_f64_e64 v[4:5], v[24:25], -v[4:5]
	scratch_store_b128 off, v[2:5], off offset:96
	v_cmpx_lt_u32_e32 4, v0
	s_cbranch_execz .LBB124_383
; %bb.382:
	scratch_load_b128 v[5:8], off, s4
	v_dual_mov_b32 v2, v1 :: v_dual_mov_b32 v3, v1
	v_mov_b32_e32 v4, v1
	scratch_store_b128 off, v[1:4], off offset:80
	s_wait_loadcnt 0x0
	ds_store_b128 v164, v[5:8]
.LBB124_383:
	s_wait_alu 0xfffe
	s_or_b32 exec_lo, exec_lo, s0
	s_wait_storecnt_dscnt 0x0
	s_barrier_signal -1
	s_barrier_wait -1
	global_inv scope:SCOPE_SE
	s_clause 0x7
	scratch_load_b128 v[2:5], off, off offset:96
	scratch_load_b128 v[6:9], off, off offset:112
	;; [unrolled: 1-line block ×8, first 2 shown]
	ds_load_b128 v[38:41], v1 offset:1056
	ds_load_b128 v[165:168], v1 offset:1072
	s_clause 0x1
	scratch_load_b128 v[34:37], off, off offset:224
	scratch_load_b128 v[169:172], off, off offset:240
	s_mov_b32 s0, exec_lo
	s_wait_loadcnt_dscnt 0x901
	v_mul_f64_e32 v[173:174], v[40:41], v[4:5]
	v_mul_f64_e32 v[4:5], v[38:39], v[4:5]
	s_wait_loadcnt_dscnt 0x800
	v_mul_f64_e32 v[175:176], v[165:166], v[8:9]
	v_mul_f64_e32 v[8:9], v[167:168], v[8:9]
	s_delay_alu instid0(VALU_DEP_4) | instskip(NEXT) | instid1(VALU_DEP_4)
	v_fma_f64 v[173:174], v[38:39], v[2:3], -v[173:174]
	v_fma_f64 v[177:178], v[40:41], v[2:3], v[4:5]
	ds_load_b128 v[2:5], v1 offset:1088
	scratch_load_b128 v[38:41], off, off offset:256
	v_fma_f64 v[175:176], v[167:168], v[6:7], v[175:176]
	v_fma_f64 v[181:182], v[165:166], v[6:7], -v[8:9]
	ds_load_b128 v[6:9], v1 offset:1104
	scratch_load_b128 v[165:168], off, off offset:272
	s_wait_loadcnt_dscnt 0x901
	v_mul_f64_e32 v[179:180], v[2:3], v[12:13]
	v_mul_f64_e32 v[12:13], v[4:5], v[12:13]
	s_wait_loadcnt_dscnt 0x800
	v_mul_f64_e32 v[183:184], v[6:7], v[16:17]
	v_mul_f64_e32 v[16:17], v[8:9], v[16:17]
	v_add_f64_e32 v[173:174], 0, v[173:174]
	v_add_f64_e32 v[177:178], 0, v[177:178]
	v_fma_f64 v[179:180], v[4:5], v[10:11], v[179:180]
	v_fma_f64 v[185:186], v[2:3], v[10:11], -v[12:13]
	ds_load_b128 v[2:5], v1 offset:1120
	scratch_load_b128 v[10:13], off, off offset:288
	v_add_f64_e32 v[173:174], v[173:174], v[181:182]
	v_add_f64_e32 v[175:176], v[177:178], v[175:176]
	v_fma_f64 v[181:182], v[8:9], v[14:15], v[183:184]
	v_fma_f64 v[183:184], v[6:7], v[14:15], -v[16:17]
	ds_load_b128 v[6:9], v1 offset:1136
	scratch_load_b128 v[14:17], off, off offset:304
	s_wait_loadcnt_dscnt 0x901
	v_mul_f64_e32 v[177:178], v[2:3], v[20:21]
	v_mul_f64_e32 v[20:21], v[4:5], v[20:21]
	v_add_f64_e32 v[173:174], v[173:174], v[185:186]
	v_add_f64_e32 v[175:176], v[175:176], v[179:180]
	s_wait_loadcnt_dscnt 0x800
	v_mul_f64_e32 v[179:180], v[6:7], v[24:25]
	v_mul_f64_e32 v[24:25], v[8:9], v[24:25]
	v_fma_f64 v[177:178], v[4:5], v[18:19], v[177:178]
	v_fma_f64 v[185:186], v[2:3], v[18:19], -v[20:21]
	ds_load_b128 v[2:5], v1 offset:1152
	scratch_load_b128 v[18:21], off, off offset:320
	v_add_f64_e32 v[173:174], v[173:174], v[183:184]
	v_add_f64_e32 v[175:176], v[175:176], v[181:182]
	v_fma_f64 v[179:180], v[8:9], v[22:23], v[179:180]
	v_fma_f64 v[183:184], v[6:7], v[22:23], -v[24:25]
	ds_load_b128 v[6:9], v1 offset:1168
	s_wait_loadcnt_dscnt 0x801
	v_mul_f64_e32 v[181:182], v[2:3], v[28:29]
	v_mul_f64_e32 v[28:29], v[4:5], v[28:29]
	scratch_load_b128 v[22:25], off, off offset:336
	v_add_f64_e32 v[173:174], v[173:174], v[185:186]
	v_add_f64_e32 v[175:176], v[175:176], v[177:178]
	s_wait_loadcnt_dscnt 0x800
	v_mul_f64_e32 v[177:178], v[6:7], v[32:33]
	v_mul_f64_e32 v[32:33], v[8:9], v[32:33]
	v_fma_f64 v[181:182], v[4:5], v[26:27], v[181:182]
	v_fma_f64 v[185:186], v[2:3], v[26:27], -v[28:29]
	ds_load_b128 v[2:5], v1 offset:1184
	scratch_load_b128 v[26:29], off, off offset:352
	v_add_f64_e32 v[173:174], v[173:174], v[183:184]
	v_add_f64_e32 v[175:176], v[175:176], v[179:180]
	v_fma_f64 v[177:178], v[8:9], v[30:31], v[177:178]
	v_fma_f64 v[183:184], v[6:7], v[30:31], -v[32:33]
	ds_load_b128 v[6:9], v1 offset:1200
	s_wait_loadcnt_dscnt 0x801
	v_mul_f64_e32 v[179:180], v[2:3], v[36:37]
	v_mul_f64_e32 v[36:37], v[4:5], v[36:37]
	scratch_load_b128 v[30:33], off, off offset:368
	v_add_f64_e32 v[173:174], v[173:174], v[185:186]
	v_add_f64_e32 v[175:176], v[175:176], v[181:182]
	s_wait_loadcnt_dscnt 0x800
	v_mul_f64_e32 v[181:182], v[6:7], v[171:172]
	v_mul_f64_e32 v[171:172], v[8:9], v[171:172]
	v_fma_f64 v[179:180], v[4:5], v[34:35], v[179:180]
	v_fma_f64 v[185:186], v[2:3], v[34:35], -v[36:37]
	ds_load_b128 v[2:5], v1 offset:1216
	scratch_load_b128 v[34:37], off, off offset:384
	v_add_f64_e32 v[173:174], v[173:174], v[183:184]
	v_add_f64_e32 v[175:176], v[175:176], v[177:178]
	v_fma_f64 v[181:182], v[8:9], v[169:170], v[181:182]
	v_fma_f64 v[183:184], v[6:7], v[169:170], -v[171:172]
	ds_load_b128 v[6:9], v1 offset:1232
	scratch_load_b128 v[169:172], off, off offset:400
	s_wait_loadcnt_dscnt 0x901
	v_mul_f64_e32 v[177:178], v[2:3], v[40:41]
	v_mul_f64_e32 v[40:41], v[4:5], v[40:41]
	v_add_f64_e32 v[173:174], v[173:174], v[185:186]
	v_add_f64_e32 v[175:176], v[175:176], v[179:180]
	s_wait_loadcnt_dscnt 0x800
	v_mul_f64_e32 v[179:180], v[6:7], v[167:168]
	v_mul_f64_e32 v[167:168], v[8:9], v[167:168]
	v_fma_f64 v[177:178], v[4:5], v[38:39], v[177:178]
	v_fma_f64 v[185:186], v[2:3], v[38:39], -v[40:41]
	ds_load_b128 v[2:5], v1 offset:1248
	scratch_load_b128 v[38:41], off, off offset:416
	v_add_f64_e32 v[173:174], v[173:174], v[183:184]
	v_add_f64_e32 v[175:176], v[175:176], v[181:182]
	v_fma_f64 v[179:180], v[8:9], v[165:166], v[179:180]
	v_fma_f64 v[183:184], v[6:7], v[165:166], -v[167:168]
	ds_load_b128 v[6:9], v1 offset:1264
	s_wait_loadcnt_dscnt 0x801
	v_mul_f64_e32 v[181:182], v[2:3], v[12:13]
	v_mul_f64_e32 v[12:13], v[4:5], v[12:13]
	scratch_load_b128 v[165:168], off, off offset:432
	v_add_f64_e32 v[173:174], v[173:174], v[185:186]
	v_add_f64_e32 v[175:176], v[175:176], v[177:178]
	s_wait_loadcnt_dscnt 0x800
	v_mul_f64_e32 v[177:178], v[6:7], v[16:17]
	v_mul_f64_e32 v[16:17], v[8:9], v[16:17]
	v_fma_f64 v[181:182], v[4:5], v[10:11], v[181:182]
	v_fma_f64 v[185:186], v[2:3], v[10:11], -v[12:13]
	ds_load_b128 v[2:5], v1 offset:1280
	scratch_load_b128 v[10:13], off, off offset:448
	v_add_f64_e32 v[173:174], v[173:174], v[183:184]
	v_add_f64_e32 v[175:176], v[175:176], v[179:180]
	v_fma_f64 v[177:178], v[8:9], v[14:15], v[177:178]
	v_fma_f64 v[183:184], v[6:7], v[14:15], -v[16:17]
	ds_load_b128 v[6:9], v1 offset:1296
	s_wait_loadcnt_dscnt 0x801
	v_mul_f64_e32 v[179:180], v[2:3], v[20:21]
	v_mul_f64_e32 v[20:21], v[4:5], v[20:21]
	scratch_load_b128 v[14:17], off, off offset:464
	;; [unrolled: 18-line block ×18, first 2 shown]
	v_add_f64_e32 v[173:174], v[173:174], v[185:186]
	v_add_f64_e32 v[175:176], v[175:176], v[179:180]
	s_wait_loadcnt_dscnt 0x800
	v_mul_f64_e32 v[179:180], v[6:7], v[32:33]
	v_mul_f64_e32 v[32:33], v[8:9], v[32:33]
	v_fma_f64 v[177:178], v[4:5], v[26:27], v[177:178]
	v_fma_f64 v[26:27], v[2:3], v[26:27], -v[28:29]
	ds_load_b128 v[2:5], v1 offset:1824
	v_add_f64_e32 v[28:29], v[173:174], v[183:184]
	v_add_f64_e32 v[173:174], v[175:176], v[181:182]
	v_fma_f64 v[179:180], v[8:9], v[30:31], v[179:180]
	v_fma_f64 v[30:31], v[6:7], v[30:31], -v[32:33]
	ds_load_b128 v[6:9], v1 offset:1840
	s_wait_loadcnt_dscnt 0x701
	v_mul_f64_e32 v[175:176], v[2:3], v[36:37]
	v_mul_f64_e32 v[36:37], v[4:5], v[36:37]
	v_add_f64_e32 v[26:27], v[28:29], v[26:27]
	v_add_f64_e32 v[28:29], v[173:174], v[177:178]
	s_delay_alu instid0(VALU_DEP_4) | instskip(NEXT) | instid1(VALU_DEP_4)
	v_fma_f64 v[173:174], v[4:5], v[34:35], v[175:176]
	v_fma_f64 v[34:35], v[2:3], v[34:35], -v[36:37]
	ds_load_b128 v[2:5], v1 offset:1856
	v_add_f64_e32 v[30:31], v[26:27], v[30:31]
	v_add_f64_e32 v[36:37], v[28:29], v[179:180]
	scratch_load_b128 v[26:29], off, off offset:80
	s_wait_loadcnt_dscnt 0x701
	v_mul_f64_e32 v[32:33], v[6:7], v[171:172]
	v_mul_f64_e32 v[171:172], v[8:9], v[171:172]
	v_add_f64_e32 v[30:31], v[30:31], v[34:35]
	v_add_f64_e32 v[34:35], v[36:37], v[173:174]
	s_delay_alu instid0(VALU_DEP_4) | instskip(NEXT) | instid1(VALU_DEP_4)
	v_fma_f64 v[32:33], v[8:9], v[169:170], v[32:33]
	v_fma_f64 v[169:170], v[6:7], v[169:170], -v[171:172]
	ds_load_b128 v[6:9], v1 offset:1872
	s_wait_loadcnt_dscnt 0x601
	v_mul_f64_e32 v[175:176], v[2:3], v[40:41]
	v_mul_f64_e32 v[40:41], v[4:5], v[40:41]
	s_wait_loadcnt_dscnt 0x500
	v_mul_f64_e32 v[36:37], v[6:7], v[167:168]
	v_mul_f64_e32 v[167:168], v[8:9], v[167:168]
	v_add_f64_e32 v[32:33], v[34:35], v[32:33]
	v_add_f64_e32 v[30:31], v[30:31], v[169:170]
	v_fma_f64 v[171:172], v[4:5], v[38:39], v[175:176]
	v_fma_f64 v[38:39], v[2:3], v[38:39], -v[40:41]
	ds_load_b128 v[2:5], v1 offset:1888
	v_fma_f64 v[36:37], v[8:9], v[165:166], v[36:37]
	v_fma_f64 v[40:41], v[6:7], v[165:166], -v[167:168]
	ds_load_b128 v[6:9], v1 offset:1904
	s_wait_loadcnt_dscnt 0x401
	v_mul_f64_e32 v[34:35], v[2:3], v[12:13]
	v_mul_f64_e32 v[12:13], v[4:5], v[12:13]
	v_add_f64_e32 v[32:33], v[32:33], v[171:172]
	v_add_f64_e32 v[30:31], v[30:31], v[38:39]
	s_wait_loadcnt_dscnt 0x300
	v_mul_f64_e32 v[38:39], v[6:7], v[16:17]
	v_mul_f64_e32 v[16:17], v[8:9], v[16:17]
	v_fma_f64 v[34:35], v[4:5], v[10:11], v[34:35]
	v_fma_f64 v[10:11], v[2:3], v[10:11], -v[12:13]
	ds_load_b128 v[2:5], v1 offset:1920
	v_add_f64_e32 v[12:13], v[30:31], v[40:41]
	v_add_f64_e32 v[30:31], v[32:33], v[36:37]
	v_fma_f64 v[36:37], v[8:9], v[14:15], v[38:39]
	v_fma_f64 v[14:15], v[6:7], v[14:15], -v[16:17]
	ds_load_b128 v[6:9], v1 offset:1936
	s_wait_loadcnt_dscnt 0x201
	v_mul_f64_e32 v[32:33], v[2:3], v[20:21]
	v_mul_f64_e32 v[20:21], v[4:5], v[20:21]
	s_wait_loadcnt_dscnt 0x100
	v_mul_f64_e32 v[16:17], v[6:7], v[24:25]
	v_mul_f64_e32 v[24:25], v[8:9], v[24:25]
	v_add_f64_e32 v[10:11], v[12:13], v[10:11]
	v_add_f64_e32 v[12:13], v[30:31], v[34:35]
	v_fma_f64 v[4:5], v[4:5], v[18:19], v[32:33]
	v_fma_f64 v[1:2], v[2:3], v[18:19], -v[20:21]
	v_fma_f64 v[8:9], v[8:9], v[22:23], v[16:17]
	v_fma_f64 v[6:7], v[6:7], v[22:23], -v[24:25]
	v_add_f64_e32 v[10:11], v[10:11], v[14:15]
	v_add_f64_e32 v[12:13], v[12:13], v[36:37]
	s_delay_alu instid0(VALU_DEP_2) | instskip(NEXT) | instid1(VALU_DEP_2)
	v_add_f64_e32 v[1:2], v[10:11], v[1:2]
	v_add_f64_e32 v[3:4], v[12:13], v[4:5]
	s_delay_alu instid0(VALU_DEP_2) | instskip(NEXT) | instid1(VALU_DEP_2)
	v_add_f64_e32 v[1:2], v[1:2], v[6:7]
	v_add_f64_e32 v[3:4], v[3:4], v[8:9]
	s_wait_loadcnt 0x0
	s_delay_alu instid0(VALU_DEP_2) | instskip(NEXT) | instid1(VALU_DEP_2)
	v_add_f64_e64 v[1:2], v[26:27], -v[1:2]
	v_add_f64_e64 v[3:4], v[28:29], -v[3:4]
	scratch_store_b128 off, v[1:4], off offset:80
	v_cmpx_lt_u32_e32 3, v0
	s_cbranch_execz .LBB124_385
; %bb.384:
	scratch_load_b128 v[1:4], off, s12
	v_mov_b32_e32 v5, 0
	s_delay_alu instid0(VALU_DEP_1)
	v_dual_mov_b32 v6, v5 :: v_dual_mov_b32 v7, v5
	v_mov_b32_e32 v8, v5
	scratch_store_b128 off, v[5:8], off offset:64
	s_wait_loadcnt 0x0
	ds_store_b128 v164, v[1:4]
.LBB124_385:
	s_wait_alu 0xfffe
	s_or_b32 exec_lo, exec_lo, s0
	s_wait_storecnt_dscnt 0x0
	s_barrier_signal -1
	s_barrier_wait -1
	global_inv scope:SCOPE_SE
	s_clause 0x7
	scratch_load_b128 v[2:5], off, off offset:80
	scratch_load_b128 v[6:9], off, off offset:96
	;; [unrolled: 1-line block ×8, first 2 shown]
	v_mov_b32_e32 v1, 0
	s_clause 0x1
	scratch_load_b128 v[34:37], off, off offset:208
	scratch_load_b128 v[169:172], off, off offset:224
	s_mov_b32 s0, exec_lo
	ds_load_b128 v[38:41], v1 offset:1040
	ds_load_b128 v[165:168], v1 offset:1056
	s_wait_loadcnt_dscnt 0x901
	v_mul_f64_e32 v[173:174], v[40:41], v[4:5]
	v_mul_f64_e32 v[4:5], v[38:39], v[4:5]
	s_wait_loadcnt_dscnt 0x800
	v_mul_f64_e32 v[175:176], v[165:166], v[8:9]
	v_mul_f64_e32 v[8:9], v[167:168], v[8:9]
	s_delay_alu instid0(VALU_DEP_4) | instskip(NEXT) | instid1(VALU_DEP_4)
	v_fma_f64 v[173:174], v[38:39], v[2:3], -v[173:174]
	v_fma_f64 v[177:178], v[40:41], v[2:3], v[4:5]
	ds_load_b128 v[2:5], v1 offset:1072
	scratch_load_b128 v[38:41], off, off offset:240
	v_fma_f64 v[175:176], v[167:168], v[6:7], v[175:176]
	v_fma_f64 v[181:182], v[165:166], v[6:7], -v[8:9]
	ds_load_b128 v[6:9], v1 offset:1088
	scratch_load_b128 v[165:168], off, off offset:256
	s_wait_loadcnt_dscnt 0x901
	v_mul_f64_e32 v[179:180], v[2:3], v[12:13]
	v_mul_f64_e32 v[12:13], v[4:5], v[12:13]
	s_wait_loadcnt_dscnt 0x800
	v_mul_f64_e32 v[183:184], v[6:7], v[16:17]
	v_mul_f64_e32 v[16:17], v[8:9], v[16:17]
	v_add_f64_e32 v[173:174], 0, v[173:174]
	v_add_f64_e32 v[177:178], 0, v[177:178]
	v_fma_f64 v[179:180], v[4:5], v[10:11], v[179:180]
	v_fma_f64 v[185:186], v[2:3], v[10:11], -v[12:13]
	ds_load_b128 v[2:5], v1 offset:1104
	scratch_load_b128 v[10:13], off, off offset:272
	v_add_f64_e32 v[173:174], v[173:174], v[181:182]
	v_add_f64_e32 v[175:176], v[177:178], v[175:176]
	v_fma_f64 v[181:182], v[8:9], v[14:15], v[183:184]
	v_fma_f64 v[183:184], v[6:7], v[14:15], -v[16:17]
	ds_load_b128 v[6:9], v1 offset:1120
	scratch_load_b128 v[14:17], off, off offset:288
	s_wait_loadcnt_dscnt 0x901
	v_mul_f64_e32 v[177:178], v[2:3], v[20:21]
	v_mul_f64_e32 v[20:21], v[4:5], v[20:21]
	v_add_f64_e32 v[173:174], v[173:174], v[185:186]
	v_add_f64_e32 v[175:176], v[175:176], v[179:180]
	s_wait_loadcnt_dscnt 0x800
	v_mul_f64_e32 v[179:180], v[6:7], v[24:25]
	v_mul_f64_e32 v[24:25], v[8:9], v[24:25]
	v_fma_f64 v[177:178], v[4:5], v[18:19], v[177:178]
	v_fma_f64 v[185:186], v[2:3], v[18:19], -v[20:21]
	ds_load_b128 v[2:5], v1 offset:1136
	scratch_load_b128 v[18:21], off, off offset:304
	v_add_f64_e32 v[173:174], v[173:174], v[183:184]
	v_add_f64_e32 v[175:176], v[175:176], v[181:182]
	v_fma_f64 v[179:180], v[8:9], v[22:23], v[179:180]
	v_fma_f64 v[183:184], v[6:7], v[22:23], -v[24:25]
	ds_load_b128 v[6:9], v1 offset:1152
	s_wait_loadcnt_dscnt 0x801
	v_mul_f64_e32 v[181:182], v[2:3], v[28:29]
	v_mul_f64_e32 v[28:29], v[4:5], v[28:29]
	scratch_load_b128 v[22:25], off, off offset:320
	v_add_f64_e32 v[173:174], v[173:174], v[185:186]
	v_add_f64_e32 v[175:176], v[175:176], v[177:178]
	s_wait_loadcnt_dscnt 0x800
	v_mul_f64_e32 v[177:178], v[6:7], v[32:33]
	v_mul_f64_e32 v[32:33], v[8:9], v[32:33]
	v_fma_f64 v[181:182], v[4:5], v[26:27], v[181:182]
	v_fma_f64 v[185:186], v[2:3], v[26:27], -v[28:29]
	ds_load_b128 v[2:5], v1 offset:1168
	scratch_load_b128 v[26:29], off, off offset:336
	v_add_f64_e32 v[173:174], v[173:174], v[183:184]
	v_add_f64_e32 v[175:176], v[175:176], v[179:180]
	v_fma_f64 v[177:178], v[8:9], v[30:31], v[177:178]
	v_fma_f64 v[183:184], v[6:7], v[30:31], -v[32:33]
	ds_load_b128 v[6:9], v1 offset:1184
	s_wait_loadcnt_dscnt 0x801
	v_mul_f64_e32 v[179:180], v[2:3], v[36:37]
	v_mul_f64_e32 v[36:37], v[4:5], v[36:37]
	scratch_load_b128 v[30:33], off, off offset:352
	v_add_f64_e32 v[173:174], v[173:174], v[185:186]
	v_add_f64_e32 v[175:176], v[175:176], v[181:182]
	s_wait_loadcnt_dscnt 0x800
	v_mul_f64_e32 v[181:182], v[6:7], v[171:172]
	v_mul_f64_e32 v[171:172], v[8:9], v[171:172]
	v_fma_f64 v[179:180], v[4:5], v[34:35], v[179:180]
	v_fma_f64 v[185:186], v[2:3], v[34:35], -v[36:37]
	ds_load_b128 v[2:5], v1 offset:1200
	scratch_load_b128 v[34:37], off, off offset:368
	v_add_f64_e32 v[173:174], v[173:174], v[183:184]
	v_add_f64_e32 v[175:176], v[175:176], v[177:178]
	v_fma_f64 v[181:182], v[8:9], v[169:170], v[181:182]
	v_fma_f64 v[183:184], v[6:7], v[169:170], -v[171:172]
	ds_load_b128 v[6:9], v1 offset:1216
	scratch_load_b128 v[169:172], off, off offset:384
	s_wait_loadcnt_dscnt 0x901
	v_mul_f64_e32 v[177:178], v[2:3], v[40:41]
	v_mul_f64_e32 v[40:41], v[4:5], v[40:41]
	v_add_f64_e32 v[173:174], v[173:174], v[185:186]
	v_add_f64_e32 v[175:176], v[175:176], v[179:180]
	s_wait_loadcnt_dscnt 0x800
	v_mul_f64_e32 v[179:180], v[6:7], v[167:168]
	v_mul_f64_e32 v[167:168], v[8:9], v[167:168]
	v_fma_f64 v[177:178], v[4:5], v[38:39], v[177:178]
	v_fma_f64 v[185:186], v[2:3], v[38:39], -v[40:41]
	ds_load_b128 v[2:5], v1 offset:1232
	scratch_load_b128 v[38:41], off, off offset:400
	v_add_f64_e32 v[173:174], v[173:174], v[183:184]
	v_add_f64_e32 v[175:176], v[175:176], v[181:182]
	v_fma_f64 v[179:180], v[8:9], v[165:166], v[179:180]
	v_fma_f64 v[183:184], v[6:7], v[165:166], -v[167:168]
	ds_load_b128 v[6:9], v1 offset:1248
	s_wait_loadcnt_dscnt 0x801
	v_mul_f64_e32 v[181:182], v[2:3], v[12:13]
	v_mul_f64_e32 v[12:13], v[4:5], v[12:13]
	scratch_load_b128 v[165:168], off, off offset:416
	v_add_f64_e32 v[173:174], v[173:174], v[185:186]
	v_add_f64_e32 v[175:176], v[175:176], v[177:178]
	s_wait_loadcnt_dscnt 0x800
	v_mul_f64_e32 v[177:178], v[6:7], v[16:17]
	v_mul_f64_e32 v[16:17], v[8:9], v[16:17]
	v_fma_f64 v[181:182], v[4:5], v[10:11], v[181:182]
	v_fma_f64 v[185:186], v[2:3], v[10:11], -v[12:13]
	ds_load_b128 v[2:5], v1 offset:1264
	scratch_load_b128 v[10:13], off, off offset:432
	v_add_f64_e32 v[173:174], v[173:174], v[183:184]
	v_add_f64_e32 v[175:176], v[175:176], v[179:180]
	v_fma_f64 v[177:178], v[8:9], v[14:15], v[177:178]
	v_fma_f64 v[183:184], v[6:7], v[14:15], -v[16:17]
	ds_load_b128 v[6:9], v1 offset:1280
	s_wait_loadcnt_dscnt 0x801
	v_mul_f64_e32 v[179:180], v[2:3], v[20:21]
	v_mul_f64_e32 v[20:21], v[4:5], v[20:21]
	scratch_load_b128 v[14:17], off, off offset:448
	;; [unrolled: 18-line block ×18, first 2 shown]
	v_add_f64_e32 v[173:174], v[173:174], v[185:186]
	v_add_f64_e32 v[175:176], v[175:176], v[179:180]
	s_wait_loadcnt_dscnt 0x800
	v_mul_f64_e32 v[179:180], v[6:7], v[32:33]
	v_mul_f64_e32 v[32:33], v[8:9], v[32:33]
	v_fma_f64 v[177:178], v[4:5], v[26:27], v[177:178]
	v_fma_f64 v[185:186], v[2:3], v[26:27], -v[28:29]
	ds_load_b128 v[2:5], v1 offset:1808
	scratch_load_b128 v[26:29], off, off offset:976
	v_add_f64_e32 v[173:174], v[173:174], v[183:184]
	v_add_f64_e32 v[175:176], v[175:176], v[181:182]
	v_fma_f64 v[179:180], v[8:9], v[30:31], v[179:180]
	v_fma_f64 v[30:31], v[6:7], v[30:31], -v[32:33]
	ds_load_b128 v[6:9], v1 offset:1824
	s_wait_loadcnt_dscnt 0x801
	v_mul_f64_e32 v[181:182], v[2:3], v[36:37]
	v_mul_f64_e32 v[36:37], v[4:5], v[36:37]
	v_add_f64_e32 v[32:33], v[173:174], v[185:186]
	v_add_f64_e32 v[173:174], v[175:176], v[177:178]
	s_wait_loadcnt_dscnt 0x700
	v_mul_f64_e32 v[175:176], v[6:7], v[171:172]
	v_mul_f64_e32 v[171:172], v[8:9], v[171:172]
	v_fma_f64 v[177:178], v[4:5], v[34:35], v[181:182]
	v_fma_f64 v[34:35], v[2:3], v[34:35], -v[36:37]
	ds_load_b128 v[2:5], v1 offset:1840
	v_add_f64_e32 v[30:31], v[32:33], v[30:31]
	v_add_f64_e32 v[32:33], v[173:174], v[179:180]
	v_fma_f64 v[173:174], v[8:9], v[169:170], v[175:176]
	v_fma_f64 v[169:170], v[6:7], v[169:170], -v[171:172]
	ds_load_b128 v[6:9], v1 offset:1856
	s_wait_loadcnt_dscnt 0x500
	v_mul_f64_e32 v[175:176], v[6:7], v[167:168]
	v_mul_f64_e32 v[167:168], v[8:9], v[167:168]
	v_add_f64_e32 v[34:35], v[30:31], v[34:35]
	v_add_f64_e32 v[171:172], v[32:33], v[177:178]
	scratch_load_b128 v[30:33], off, off offset:64
	v_mul_f64_e32 v[36:37], v[2:3], v[40:41]
	v_mul_f64_e32 v[40:41], v[4:5], v[40:41]
	v_add_f64_e32 v[34:35], v[34:35], v[169:170]
	s_delay_alu instid0(VALU_DEP_3) | instskip(NEXT) | instid1(VALU_DEP_3)
	v_fma_f64 v[36:37], v[4:5], v[38:39], v[36:37]
	v_fma_f64 v[38:39], v[2:3], v[38:39], -v[40:41]
	v_add_f64_e32 v[40:41], v[171:172], v[173:174]
	ds_load_b128 v[2:5], v1 offset:1872
	v_fma_f64 v[171:172], v[8:9], v[165:166], v[175:176]
	v_fma_f64 v[165:166], v[6:7], v[165:166], -v[167:168]
	ds_load_b128 v[6:9], v1 offset:1888
	s_wait_loadcnt_dscnt 0x501
	v_mul_f64_e32 v[169:170], v[2:3], v[12:13]
	v_mul_f64_e32 v[12:13], v[4:5], v[12:13]
	v_add_f64_e32 v[34:35], v[34:35], v[38:39]
	v_add_f64_e32 v[36:37], v[40:41], v[36:37]
	s_wait_loadcnt_dscnt 0x400
	v_mul_f64_e32 v[38:39], v[6:7], v[16:17]
	v_mul_f64_e32 v[16:17], v[8:9], v[16:17]
	v_fma_f64 v[40:41], v[4:5], v[10:11], v[169:170]
	v_fma_f64 v[10:11], v[2:3], v[10:11], -v[12:13]
	ds_load_b128 v[2:5], v1 offset:1904
	v_add_f64_e32 v[12:13], v[34:35], v[165:166]
	v_add_f64_e32 v[34:35], v[36:37], v[171:172]
	v_fma_f64 v[38:39], v[8:9], v[14:15], v[38:39]
	v_fma_f64 v[14:15], v[6:7], v[14:15], -v[16:17]
	ds_load_b128 v[6:9], v1 offset:1920
	s_wait_loadcnt_dscnt 0x301
	v_mul_f64_e32 v[36:37], v[2:3], v[20:21]
	v_mul_f64_e32 v[20:21], v[4:5], v[20:21]
	s_wait_loadcnt_dscnt 0x200
	v_mul_f64_e32 v[16:17], v[6:7], v[24:25]
	v_mul_f64_e32 v[24:25], v[8:9], v[24:25]
	v_add_f64_e32 v[10:11], v[12:13], v[10:11]
	v_add_f64_e32 v[12:13], v[34:35], v[40:41]
	v_fma_f64 v[34:35], v[4:5], v[18:19], v[36:37]
	v_fma_f64 v[18:19], v[2:3], v[18:19], -v[20:21]
	ds_load_b128 v[2:5], v1 offset:1936
	v_fma_f64 v[8:9], v[8:9], v[22:23], v[16:17]
	v_fma_f64 v[6:7], v[6:7], v[22:23], -v[24:25]
	s_wait_loadcnt_dscnt 0x100
	v_mul_f64_e32 v[20:21], v[4:5], v[28:29]
	v_add_f64_e32 v[10:11], v[10:11], v[14:15]
	v_add_f64_e32 v[12:13], v[12:13], v[38:39]
	v_mul_f64_e32 v[14:15], v[2:3], v[28:29]
	s_delay_alu instid0(VALU_DEP_4) | instskip(NEXT) | instid1(VALU_DEP_4)
	v_fma_f64 v[2:3], v[2:3], v[26:27], -v[20:21]
	v_add_f64_e32 v[10:11], v[10:11], v[18:19]
	s_delay_alu instid0(VALU_DEP_4) | instskip(NEXT) | instid1(VALU_DEP_4)
	v_add_f64_e32 v[12:13], v[12:13], v[34:35]
	v_fma_f64 v[4:5], v[4:5], v[26:27], v[14:15]
	s_delay_alu instid0(VALU_DEP_3) | instskip(NEXT) | instid1(VALU_DEP_3)
	v_add_f64_e32 v[6:7], v[10:11], v[6:7]
	v_add_f64_e32 v[8:9], v[12:13], v[8:9]
	s_delay_alu instid0(VALU_DEP_2) | instskip(NEXT) | instid1(VALU_DEP_2)
	v_add_f64_e32 v[2:3], v[6:7], v[2:3]
	v_add_f64_e32 v[4:5], v[8:9], v[4:5]
	s_wait_loadcnt 0x0
	s_delay_alu instid0(VALU_DEP_2) | instskip(NEXT) | instid1(VALU_DEP_2)
	v_add_f64_e64 v[2:3], v[30:31], -v[2:3]
	v_add_f64_e64 v[4:5], v[32:33], -v[4:5]
	scratch_store_b128 off, v[2:5], off offset:64
	v_cmpx_lt_u32_e32 2, v0
	s_cbranch_execz .LBB124_387
; %bb.386:
	scratch_load_b128 v[5:8], off, s15
	v_dual_mov_b32 v2, v1 :: v_dual_mov_b32 v3, v1
	v_mov_b32_e32 v4, v1
	scratch_store_b128 off, v[1:4], off offset:48
	s_wait_loadcnt 0x0
	ds_store_b128 v164, v[5:8]
.LBB124_387:
	s_wait_alu 0xfffe
	s_or_b32 exec_lo, exec_lo, s0
	s_wait_storecnt_dscnt 0x0
	s_barrier_signal -1
	s_barrier_wait -1
	global_inv scope:SCOPE_SE
	s_clause 0x7
	scratch_load_b128 v[2:5], off, off offset:64
	scratch_load_b128 v[6:9], off, off offset:80
	;; [unrolled: 1-line block ×8, first 2 shown]
	ds_load_b128 v[38:41], v1 offset:1024
	ds_load_b128 v[165:168], v1 offset:1040
	s_clause 0x1
	scratch_load_b128 v[34:37], off, off offset:192
	scratch_load_b128 v[169:172], off, off offset:208
	s_mov_b32 s0, exec_lo
	s_wait_loadcnt_dscnt 0x901
	v_mul_f64_e32 v[173:174], v[40:41], v[4:5]
	v_mul_f64_e32 v[4:5], v[38:39], v[4:5]
	s_wait_loadcnt_dscnt 0x800
	v_mul_f64_e32 v[175:176], v[165:166], v[8:9]
	v_mul_f64_e32 v[8:9], v[167:168], v[8:9]
	s_delay_alu instid0(VALU_DEP_4) | instskip(NEXT) | instid1(VALU_DEP_4)
	v_fma_f64 v[173:174], v[38:39], v[2:3], -v[173:174]
	v_fma_f64 v[177:178], v[40:41], v[2:3], v[4:5]
	ds_load_b128 v[2:5], v1 offset:1056
	scratch_load_b128 v[38:41], off, off offset:224
	v_fma_f64 v[175:176], v[167:168], v[6:7], v[175:176]
	v_fma_f64 v[181:182], v[165:166], v[6:7], -v[8:9]
	ds_load_b128 v[6:9], v1 offset:1072
	scratch_load_b128 v[165:168], off, off offset:240
	s_wait_loadcnt_dscnt 0x901
	v_mul_f64_e32 v[179:180], v[2:3], v[12:13]
	v_mul_f64_e32 v[12:13], v[4:5], v[12:13]
	s_wait_loadcnt_dscnt 0x800
	v_mul_f64_e32 v[183:184], v[6:7], v[16:17]
	v_mul_f64_e32 v[16:17], v[8:9], v[16:17]
	v_add_f64_e32 v[173:174], 0, v[173:174]
	v_add_f64_e32 v[177:178], 0, v[177:178]
	v_fma_f64 v[179:180], v[4:5], v[10:11], v[179:180]
	v_fma_f64 v[185:186], v[2:3], v[10:11], -v[12:13]
	ds_load_b128 v[2:5], v1 offset:1088
	scratch_load_b128 v[10:13], off, off offset:256
	v_add_f64_e32 v[173:174], v[173:174], v[181:182]
	v_add_f64_e32 v[175:176], v[177:178], v[175:176]
	v_fma_f64 v[181:182], v[8:9], v[14:15], v[183:184]
	v_fma_f64 v[183:184], v[6:7], v[14:15], -v[16:17]
	ds_load_b128 v[6:9], v1 offset:1104
	scratch_load_b128 v[14:17], off, off offset:272
	s_wait_loadcnt_dscnt 0x901
	v_mul_f64_e32 v[177:178], v[2:3], v[20:21]
	v_mul_f64_e32 v[20:21], v[4:5], v[20:21]
	v_add_f64_e32 v[173:174], v[173:174], v[185:186]
	v_add_f64_e32 v[175:176], v[175:176], v[179:180]
	s_wait_loadcnt_dscnt 0x800
	v_mul_f64_e32 v[179:180], v[6:7], v[24:25]
	v_mul_f64_e32 v[24:25], v[8:9], v[24:25]
	v_fma_f64 v[177:178], v[4:5], v[18:19], v[177:178]
	v_fma_f64 v[185:186], v[2:3], v[18:19], -v[20:21]
	ds_load_b128 v[2:5], v1 offset:1120
	scratch_load_b128 v[18:21], off, off offset:288
	v_add_f64_e32 v[173:174], v[173:174], v[183:184]
	v_add_f64_e32 v[175:176], v[175:176], v[181:182]
	v_fma_f64 v[179:180], v[8:9], v[22:23], v[179:180]
	v_fma_f64 v[183:184], v[6:7], v[22:23], -v[24:25]
	ds_load_b128 v[6:9], v1 offset:1136
	s_wait_loadcnt_dscnt 0x801
	v_mul_f64_e32 v[181:182], v[2:3], v[28:29]
	v_mul_f64_e32 v[28:29], v[4:5], v[28:29]
	scratch_load_b128 v[22:25], off, off offset:304
	v_add_f64_e32 v[173:174], v[173:174], v[185:186]
	v_add_f64_e32 v[175:176], v[175:176], v[177:178]
	s_wait_loadcnt_dscnt 0x800
	v_mul_f64_e32 v[177:178], v[6:7], v[32:33]
	v_mul_f64_e32 v[32:33], v[8:9], v[32:33]
	v_fma_f64 v[181:182], v[4:5], v[26:27], v[181:182]
	v_fma_f64 v[185:186], v[2:3], v[26:27], -v[28:29]
	ds_load_b128 v[2:5], v1 offset:1152
	scratch_load_b128 v[26:29], off, off offset:320
	v_add_f64_e32 v[173:174], v[173:174], v[183:184]
	v_add_f64_e32 v[175:176], v[175:176], v[179:180]
	v_fma_f64 v[177:178], v[8:9], v[30:31], v[177:178]
	v_fma_f64 v[183:184], v[6:7], v[30:31], -v[32:33]
	ds_load_b128 v[6:9], v1 offset:1168
	s_wait_loadcnt_dscnt 0x801
	v_mul_f64_e32 v[179:180], v[2:3], v[36:37]
	v_mul_f64_e32 v[36:37], v[4:5], v[36:37]
	scratch_load_b128 v[30:33], off, off offset:336
	v_add_f64_e32 v[173:174], v[173:174], v[185:186]
	v_add_f64_e32 v[175:176], v[175:176], v[181:182]
	s_wait_loadcnt_dscnt 0x800
	v_mul_f64_e32 v[181:182], v[6:7], v[171:172]
	v_mul_f64_e32 v[171:172], v[8:9], v[171:172]
	v_fma_f64 v[179:180], v[4:5], v[34:35], v[179:180]
	v_fma_f64 v[185:186], v[2:3], v[34:35], -v[36:37]
	ds_load_b128 v[2:5], v1 offset:1184
	scratch_load_b128 v[34:37], off, off offset:352
	v_add_f64_e32 v[173:174], v[173:174], v[183:184]
	v_add_f64_e32 v[175:176], v[175:176], v[177:178]
	v_fma_f64 v[181:182], v[8:9], v[169:170], v[181:182]
	v_fma_f64 v[183:184], v[6:7], v[169:170], -v[171:172]
	ds_load_b128 v[6:9], v1 offset:1200
	scratch_load_b128 v[169:172], off, off offset:368
	s_wait_loadcnt_dscnt 0x901
	v_mul_f64_e32 v[177:178], v[2:3], v[40:41]
	v_mul_f64_e32 v[40:41], v[4:5], v[40:41]
	v_add_f64_e32 v[173:174], v[173:174], v[185:186]
	v_add_f64_e32 v[175:176], v[175:176], v[179:180]
	s_wait_loadcnt_dscnt 0x800
	v_mul_f64_e32 v[179:180], v[6:7], v[167:168]
	v_mul_f64_e32 v[167:168], v[8:9], v[167:168]
	v_fma_f64 v[177:178], v[4:5], v[38:39], v[177:178]
	v_fma_f64 v[185:186], v[2:3], v[38:39], -v[40:41]
	ds_load_b128 v[2:5], v1 offset:1216
	scratch_load_b128 v[38:41], off, off offset:384
	v_add_f64_e32 v[173:174], v[173:174], v[183:184]
	v_add_f64_e32 v[175:176], v[175:176], v[181:182]
	v_fma_f64 v[179:180], v[8:9], v[165:166], v[179:180]
	v_fma_f64 v[183:184], v[6:7], v[165:166], -v[167:168]
	ds_load_b128 v[6:9], v1 offset:1232
	s_wait_loadcnt_dscnt 0x801
	v_mul_f64_e32 v[181:182], v[2:3], v[12:13]
	v_mul_f64_e32 v[12:13], v[4:5], v[12:13]
	scratch_load_b128 v[165:168], off, off offset:400
	v_add_f64_e32 v[173:174], v[173:174], v[185:186]
	v_add_f64_e32 v[175:176], v[175:176], v[177:178]
	s_wait_loadcnt_dscnt 0x800
	v_mul_f64_e32 v[177:178], v[6:7], v[16:17]
	v_mul_f64_e32 v[16:17], v[8:9], v[16:17]
	v_fma_f64 v[181:182], v[4:5], v[10:11], v[181:182]
	v_fma_f64 v[185:186], v[2:3], v[10:11], -v[12:13]
	ds_load_b128 v[2:5], v1 offset:1248
	scratch_load_b128 v[10:13], off, off offset:416
	v_add_f64_e32 v[173:174], v[173:174], v[183:184]
	v_add_f64_e32 v[175:176], v[175:176], v[179:180]
	v_fma_f64 v[177:178], v[8:9], v[14:15], v[177:178]
	v_fma_f64 v[183:184], v[6:7], v[14:15], -v[16:17]
	ds_load_b128 v[6:9], v1 offset:1264
	s_wait_loadcnt_dscnt 0x801
	v_mul_f64_e32 v[179:180], v[2:3], v[20:21]
	v_mul_f64_e32 v[20:21], v[4:5], v[20:21]
	scratch_load_b128 v[14:17], off, off offset:432
	;; [unrolled: 18-line block ×19, first 2 shown]
	v_add_f64_e32 v[173:174], v[173:174], v[185:186]
	v_add_f64_e32 v[175:176], v[175:176], v[177:178]
	s_wait_loadcnt_dscnt 0x800
	v_mul_f64_e32 v[177:178], v[6:7], v[171:172]
	v_mul_f64_e32 v[171:172], v[8:9], v[171:172]
	v_fma_f64 v[181:182], v[4:5], v[34:35], v[181:182]
	v_fma_f64 v[34:35], v[2:3], v[34:35], -v[36:37]
	ds_load_b128 v[2:5], v1 offset:1824
	v_add_f64_e32 v[36:37], v[173:174], v[183:184]
	v_add_f64_e32 v[173:174], v[175:176], v[179:180]
	v_fma_f64 v[177:178], v[8:9], v[169:170], v[177:178]
	v_fma_f64 v[169:170], v[6:7], v[169:170], -v[171:172]
	ds_load_b128 v[6:9], v1 offset:1840
	s_wait_loadcnt_dscnt 0x701
	v_mul_f64_e32 v[175:176], v[2:3], v[40:41]
	v_mul_f64_e32 v[40:41], v[4:5], v[40:41]
	v_add_f64_e32 v[34:35], v[36:37], v[34:35]
	v_add_f64_e32 v[36:37], v[173:174], v[181:182]
	s_delay_alu instid0(VALU_DEP_4) | instskip(NEXT) | instid1(VALU_DEP_4)
	v_fma_f64 v[173:174], v[4:5], v[38:39], v[175:176]
	v_fma_f64 v[38:39], v[2:3], v[38:39], -v[40:41]
	ds_load_b128 v[2:5], v1 offset:1856
	v_add_f64_e32 v[40:41], v[34:35], v[169:170]
	v_add_f64_e32 v[169:170], v[36:37], v[177:178]
	scratch_load_b128 v[34:37], off, off offset:48
	s_wait_loadcnt_dscnt 0x701
	v_mul_f64_e32 v[171:172], v[6:7], v[167:168]
	v_mul_f64_e32 v[167:168], v[8:9], v[167:168]
	v_add_f64_e32 v[38:39], v[40:41], v[38:39]
	v_add_f64_e32 v[40:41], v[169:170], v[173:174]
	s_delay_alu instid0(VALU_DEP_4) | instskip(NEXT) | instid1(VALU_DEP_4)
	v_fma_f64 v[171:172], v[8:9], v[165:166], v[171:172]
	v_fma_f64 v[165:166], v[6:7], v[165:166], -v[167:168]
	ds_load_b128 v[6:9], v1 offset:1872
	s_wait_loadcnt_dscnt 0x601
	v_mul_f64_e32 v[175:176], v[2:3], v[12:13]
	v_mul_f64_e32 v[12:13], v[4:5], v[12:13]
	s_wait_loadcnt_dscnt 0x500
	v_mul_f64_e32 v[167:168], v[6:7], v[16:17]
	v_mul_f64_e32 v[16:17], v[8:9], v[16:17]
	s_delay_alu instid0(VALU_DEP_4) | instskip(NEXT) | instid1(VALU_DEP_4)
	v_fma_f64 v[169:170], v[4:5], v[10:11], v[175:176]
	v_fma_f64 v[10:11], v[2:3], v[10:11], -v[12:13]
	v_add_f64_e32 v[12:13], v[38:39], v[165:166]
	v_add_f64_e32 v[38:39], v[40:41], v[171:172]
	ds_load_b128 v[2:5], v1 offset:1888
	v_fma_f64 v[165:166], v[8:9], v[14:15], v[167:168]
	v_fma_f64 v[14:15], v[6:7], v[14:15], -v[16:17]
	ds_load_b128 v[6:9], v1 offset:1904
	s_wait_loadcnt_dscnt 0x401
	v_mul_f64_e32 v[40:41], v[2:3], v[20:21]
	v_mul_f64_e32 v[20:21], v[4:5], v[20:21]
	v_add_f64_e32 v[10:11], v[12:13], v[10:11]
	v_add_f64_e32 v[12:13], v[38:39], v[169:170]
	s_wait_loadcnt_dscnt 0x300
	v_mul_f64_e32 v[16:17], v[6:7], v[24:25]
	v_mul_f64_e32 v[24:25], v[8:9], v[24:25]
	v_fma_f64 v[38:39], v[4:5], v[18:19], v[40:41]
	v_fma_f64 v[18:19], v[2:3], v[18:19], -v[20:21]
	ds_load_b128 v[2:5], v1 offset:1920
	v_add_f64_e32 v[10:11], v[10:11], v[14:15]
	v_add_f64_e32 v[12:13], v[12:13], v[165:166]
	v_fma_f64 v[16:17], v[8:9], v[22:23], v[16:17]
	v_fma_f64 v[22:23], v[6:7], v[22:23], -v[24:25]
	ds_load_b128 v[6:9], v1 offset:1936
	s_wait_loadcnt_dscnt 0x201
	v_mul_f64_e32 v[14:15], v[2:3], v[28:29]
	v_mul_f64_e32 v[20:21], v[4:5], v[28:29]
	s_wait_loadcnt_dscnt 0x100
	v_mul_f64_e32 v[24:25], v[8:9], v[32:33]
	v_add_f64_e32 v[10:11], v[10:11], v[18:19]
	v_add_f64_e32 v[12:13], v[12:13], v[38:39]
	v_mul_f64_e32 v[18:19], v[6:7], v[32:33]
	v_fma_f64 v[4:5], v[4:5], v[26:27], v[14:15]
	v_fma_f64 v[1:2], v[2:3], v[26:27], -v[20:21]
	v_fma_f64 v[6:7], v[6:7], v[30:31], -v[24:25]
	v_add_f64_e32 v[10:11], v[10:11], v[22:23]
	v_add_f64_e32 v[12:13], v[12:13], v[16:17]
	v_fma_f64 v[8:9], v[8:9], v[30:31], v[18:19]
	s_delay_alu instid0(VALU_DEP_3) | instskip(NEXT) | instid1(VALU_DEP_3)
	v_add_f64_e32 v[1:2], v[10:11], v[1:2]
	v_add_f64_e32 v[3:4], v[12:13], v[4:5]
	s_delay_alu instid0(VALU_DEP_2) | instskip(NEXT) | instid1(VALU_DEP_2)
	v_add_f64_e32 v[1:2], v[1:2], v[6:7]
	v_add_f64_e32 v[3:4], v[3:4], v[8:9]
	s_wait_loadcnt 0x0
	s_delay_alu instid0(VALU_DEP_2) | instskip(NEXT) | instid1(VALU_DEP_2)
	v_add_f64_e64 v[1:2], v[34:35], -v[1:2]
	v_add_f64_e64 v[3:4], v[36:37], -v[3:4]
	scratch_store_b128 off, v[1:4], off offset:48
	v_cmpx_lt_u32_e32 1, v0
	s_cbranch_execz .LBB124_389
; %bb.388:
	scratch_load_b128 v[1:4], off, s17
	v_mov_b32_e32 v5, 0
	s_delay_alu instid0(VALU_DEP_1)
	v_dual_mov_b32 v6, v5 :: v_dual_mov_b32 v7, v5
	v_mov_b32_e32 v8, v5
	scratch_store_b128 off, v[5:8], off offset:32
	s_wait_loadcnt 0x0
	ds_store_b128 v164, v[1:4]
.LBB124_389:
	s_wait_alu 0xfffe
	s_or_b32 exec_lo, exec_lo, s0
	s_wait_storecnt_dscnt 0x0
	s_barrier_signal -1
	s_barrier_wait -1
	global_inv scope:SCOPE_SE
	s_clause 0x7
	scratch_load_b128 v[2:5], off, off offset:48
	scratch_load_b128 v[6:9], off, off offset:64
	;; [unrolled: 1-line block ×8, first 2 shown]
	v_mov_b32_e32 v1, 0
	s_clause 0x1
	scratch_load_b128 v[34:37], off, off offset:176
	scratch_load_b128 v[169:172], off, off offset:192
	s_mov_b32 s0, exec_lo
	ds_load_b128 v[38:41], v1 offset:1008
	ds_load_b128 v[165:168], v1 offset:1024
	s_wait_loadcnt_dscnt 0x901
	v_mul_f64_e32 v[173:174], v[40:41], v[4:5]
	v_mul_f64_e32 v[4:5], v[38:39], v[4:5]
	s_wait_loadcnt_dscnt 0x800
	v_mul_f64_e32 v[175:176], v[165:166], v[8:9]
	v_mul_f64_e32 v[8:9], v[167:168], v[8:9]
	s_delay_alu instid0(VALU_DEP_4) | instskip(NEXT) | instid1(VALU_DEP_4)
	v_fma_f64 v[173:174], v[38:39], v[2:3], -v[173:174]
	v_fma_f64 v[177:178], v[40:41], v[2:3], v[4:5]
	ds_load_b128 v[2:5], v1 offset:1040
	scratch_load_b128 v[38:41], off, off offset:208
	v_fma_f64 v[175:176], v[167:168], v[6:7], v[175:176]
	v_fma_f64 v[181:182], v[165:166], v[6:7], -v[8:9]
	ds_load_b128 v[6:9], v1 offset:1056
	scratch_load_b128 v[165:168], off, off offset:224
	s_wait_loadcnt_dscnt 0x901
	v_mul_f64_e32 v[179:180], v[2:3], v[12:13]
	v_mul_f64_e32 v[12:13], v[4:5], v[12:13]
	s_wait_loadcnt_dscnt 0x800
	v_mul_f64_e32 v[183:184], v[6:7], v[16:17]
	v_mul_f64_e32 v[16:17], v[8:9], v[16:17]
	v_add_f64_e32 v[173:174], 0, v[173:174]
	v_add_f64_e32 v[177:178], 0, v[177:178]
	v_fma_f64 v[179:180], v[4:5], v[10:11], v[179:180]
	v_fma_f64 v[185:186], v[2:3], v[10:11], -v[12:13]
	ds_load_b128 v[2:5], v1 offset:1072
	scratch_load_b128 v[10:13], off, off offset:240
	v_add_f64_e32 v[173:174], v[173:174], v[181:182]
	v_add_f64_e32 v[175:176], v[177:178], v[175:176]
	v_fma_f64 v[181:182], v[8:9], v[14:15], v[183:184]
	v_fma_f64 v[183:184], v[6:7], v[14:15], -v[16:17]
	ds_load_b128 v[6:9], v1 offset:1088
	scratch_load_b128 v[14:17], off, off offset:256
	s_wait_loadcnt_dscnt 0x901
	v_mul_f64_e32 v[177:178], v[2:3], v[20:21]
	v_mul_f64_e32 v[20:21], v[4:5], v[20:21]
	v_add_f64_e32 v[173:174], v[173:174], v[185:186]
	v_add_f64_e32 v[175:176], v[175:176], v[179:180]
	s_wait_loadcnt_dscnt 0x800
	v_mul_f64_e32 v[179:180], v[6:7], v[24:25]
	v_mul_f64_e32 v[24:25], v[8:9], v[24:25]
	v_fma_f64 v[177:178], v[4:5], v[18:19], v[177:178]
	v_fma_f64 v[185:186], v[2:3], v[18:19], -v[20:21]
	ds_load_b128 v[2:5], v1 offset:1104
	scratch_load_b128 v[18:21], off, off offset:272
	v_add_f64_e32 v[173:174], v[173:174], v[183:184]
	v_add_f64_e32 v[175:176], v[175:176], v[181:182]
	v_fma_f64 v[179:180], v[8:9], v[22:23], v[179:180]
	v_fma_f64 v[183:184], v[6:7], v[22:23], -v[24:25]
	ds_load_b128 v[6:9], v1 offset:1120
	s_wait_loadcnt_dscnt 0x801
	v_mul_f64_e32 v[181:182], v[2:3], v[28:29]
	v_mul_f64_e32 v[28:29], v[4:5], v[28:29]
	scratch_load_b128 v[22:25], off, off offset:288
	v_add_f64_e32 v[173:174], v[173:174], v[185:186]
	v_add_f64_e32 v[175:176], v[175:176], v[177:178]
	s_wait_loadcnt_dscnt 0x800
	v_mul_f64_e32 v[177:178], v[6:7], v[32:33]
	v_mul_f64_e32 v[32:33], v[8:9], v[32:33]
	v_fma_f64 v[181:182], v[4:5], v[26:27], v[181:182]
	v_fma_f64 v[185:186], v[2:3], v[26:27], -v[28:29]
	ds_load_b128 v[2:5], v1 offset:1136
	scratch_load_b128 v[26:29], off, off offset:304
	v_add_f64_e32 v[173:174], v[173:174], v[183:184]
	v_add_f64_e32 v[175:176], v[175:176], v[179:180]
	v_fma_f64 v[177:178], v[8:9], v[30:31], v[177:178]
	v_fma_f64 v[183:184], v[6:7], v[30:31], -v[32:33]
	ds_load_b128 v[6:9], v1 offset:1152
	s_wait_loadcnt_dscnt 0x801
	v_mul_f64_e32 v[179:180], v[2:3], v[36:37]
	v_mul_f64_e32 v[36:37], v[4:5], v[36:37]
	scratch_load_b128 v[30:33], off, off offset:320
	v_add_f64_e32 v[173:174], v[173:174], v[185:186]
	v_add_f64_e32 v[175:176], v[175:176], v[181:182]
	s_wait_loadcnt_dscnt 0x800
	v_mul_f64_e32 v[181:182], v[6:7], v[171:172]
	v_mul_f64_e32 v[171:172], v[8:9], v[171:172]
	v_fma_f64 v[179:180], v[4:5], v[34:35], v[179:180]
	v_fma_f64 v[185:186], v[2:3], v[34:35], -v[36:37]
	ds_load_b128 v[2:5], v1 offset:1168
	scratch_load_b128 v[34:37], off, off offset:336
	v_add_f64_e32 v[173:174], v[173:174], v[183:184]
	v_add_f64_e32 v[175:176], v[175:176], v[177:178]
	v_fma_f64 v[181:182], v[8:9], v[169:170], v[181:182]
	v_fma_f64 v[183:184], v[6:7], v[169:170], -v[171:172]
	ds_load_b128 v[6:9], v1 offset:1184
	scratch_load_b128 v[169:172], off, off offset:352
	s_wait_loadcnt_dscnt 0x901
	v_mul_f64_e32 v[177:178], v[2:3], v[40:41]
	v_mul_f64_e32 v[40:41], v[4:5], v[40:41]
	v_add_f64_e32 v[173:174], v[173:174], v[185:186]
	v_add_f64_e32 v[175:176], v[175:176], v[179:180]
	s_wait_loadcnt_dscnt 0x800
	v_mul_f64_e32 v[179:180], v[6:7], v[167:168]
	v_mul_f64_e32 v[167:168], v[8:9], v[167:168]
	v_fma_f64 v[177:178], v[4:5], v[38:39], v[177:178]
	v_fma_f64 v[185:186], v[2:3], v[38:39], -v[40:41]
	ds_load_b128 v[2:5], v1 offset:1200
	scratch_load_b128 v[38:41], off, off offset:368
	v_add_f64_e32 v[173:174], v[173:174], v[183:184]
	v_add_f64_e32 v[175:176], v[175:176], v[181:182]
	v_fma_f64 v[179:180], v[8:9], v[165:166], v[179:180]
	v_fma_f64 v[183:184], v[6:7], v[165:166], -v[167:168]
	ds_load_b128 v[6:9], v1 offset:1216
	s_wait_loadcnt_dscnt 0x801
	v_mul_f64_e32 v[181:182], v[2:3], v[12:13]
	v_mul_f64_e32 v[12:13], v[4:5], v[12:13]
	scratch_load_b128 v[165:168], off, off offset:384
	v_add_f64_e32 v[173:174], v[173:174], v[185:186]
	v_add_f64_e32 v[175:176], v[175:176], v[177:178]
	s_wait_loadcnt_dscnt 0x800
	v_mul_f64_e32 v[177:178], v[6:7], v[16:17]
	v_mul_f64_e32 v[16:17], v[8:9], v[16:17]
	v_fma_f64 v[181:182], v[4:5], v[10:11], v[181:182]
	v_fma_f64 v[185:186], v[2:3], v[10:11], -v[12:13]
	ds_load_b128 v[2:5], v1 offset:1232
	scratch_load_b128 v[10:13], off, off offset:400
	v_add_f64_e32 v[173:174], v[173:174], v[183:184]
	v_add_f64_e32 v[175:176], v[175:176], v[179:180]
	v_fma_f64 v[177:178], v[8:9], v[14:15], v[177:178]
	v_fma_f64 v[183:184], v[6:7], v[14:15], -v[16:17]
	ds_load_b128 v[6:9], v1 offset:1248
	s_wait_loadcnt_dscnt 0x801
	v_mul_f64_e32 v[179:180], v[2:3], v[20:21]
	v_mul_f64_e32 v[20:21], v[4:5], v[20:21]
	scratch_load_b128 v[14:17], off, off offset:416
	;; [unrolled: 18-line block ×19, first 2 shown]
	v_add_f64_e32 v[173:174], v[173:174], v[185:186]
	v_add_f64_e32 v[175:176], v[175:176], v[177:178]
	s_wait_loadcnt_dscnt 0x800
	v_mul_f64_e32 v[177:178], v[6:7], v[171:172]
	v_mul_f64_e32 v[171:172], v[8:9], v[171:172]
	v_fma_f64 v[181:182], v[4:5], v[34:35], v[181:182]
	v_fma_f64 v[185:186], v[2:3], v[34:35], -v[36:37]
	ds_load_b128 v[2:5], v1 offset:1808
	scratch_load_b128 v[34:37], off, off offset:976
	v_add_f64_e32 v[173:174], v[173:174], v[183:184]
	v_add_f64_e32 v[175:176], v[175:176], v[179:180]
	v_fma_f64 v[177:178], v[8:9], v[169:170], v[177:178]
	v_fma_f64 v[169:170], v[6:7], v[169:170], -v[171:172]
	ds_load_b128 v[6:9], v1 offset:1824
	s_wait_loadcnt_dscnt 0x801
	v_mul_f64_e32 v[179:180], v[2:3], v[40:41]
	v_mul_f64_e32 v[40:41], v[4:5], v[40:41]
	v_add_f64_e32 v[171:172], v[173:174], v[185:186]
	v_add_f64_e32 v[173:174], v[175:176], v[181:182]
	s_wait_loadcnt_dscnt 0x700
	v_mul_f64_e32 v[175:176], v[6:7], v[167:168]
	v_mul_f64_e32 v[167:168], v[8:9], v[167:168]
	v_fma_f64 v[179:180], v[4:5], v[38:39], v[179:180]
	v_fma_f64 v[38:39], v[2:3], v[38:39], -v[40:41]
	ds_load_b128 v[2:5], v1 offset:1840
	v_add_f64_e32 v[40:41], v[171:172], v[169:170]
	v_add_f64_e32 v[169:170], v[173:174], v[177:178]
	v_fma_f64 v[173:174], v[8:9], v[165:166], v[175:176]
	v_fma_f64 v[165:166], v[6:7], v[165:166], -v[167:168]
	ds_load_b128 v[6:9], v1 offset:1856
	s_wait_loadcnt_dscnt 0x500
	v_mul_f64_e32 v[175:176], v[6:7], v[16:17]
	v_mul_f64_e32 v[16:17], v[8:9], v[16:17]
	v_add_f64_e32 v[167:168], v[40:41], v[38:39]
	v_add_f64_e32 v[169:170], v[169:170], v[179:180]
	scratch_load_b128 v[38:41], off, off offset:32
	v_mul_f64_e32 v[171:172], v[2:3], v[12:13]
	v_mul_f64_e32 v[12:13], v[4:5], v[12:13]
	s_delay_alu instid0(VALU_DEP_2) | instskip(NEXT) | instid1(VALU_DEP_2)
	v_fma_f64 v[171:172], v[4:5], v[10:11], v[171:172]
	v_fma_f64 v[10:11], v[2:3], v[10:11], -v[12:13]
	v_add_f64_e32 v[12:13], v[167:168], v[165:166]
	v_add_f64_e32 v[165:166], v[169:170], v[173:174]
	ds_load_b128 v[2:5], v1 offset:1872
	v_fma_f64 v[169:170], v[8:9], v[14:15], v[175:176]
	v_fma_f64 v[14:15], v[6:7], v[14:15], -v[16:17]
	ds_load_b128 v[6:9], v1 offset:1888
	s_wait_loadcnt_dscnt 0x501
	v_mul_f64_e32 v[167:168], v[2:3], v[20:21]
	v_mul_f64_e32 v[20:21], v[4:5], v[20:21]
	s_wait_loadcnt_dscnt 0x400
	v_mul_f64_e32 v[16:17], v[6:7], v[24:25]
	v_mul_f64_e32 v[24:25], v[8:9], v[24:25]
	v_add_f64_e32 v[10:11], v[12:13], v[10:11]
	v_add_f64_e32 v[12:13], v[165:166], v[171:172]
	v_fma_f64 v[165:166], v[4:5], v[18:19], v[167:168]
	v_fma_f64 v[18:19], v[2:3], v[18:19], -v[20:21]
	ds_load_b128 v[2:5], v1 offset:1904
	v_fma_f64 v[16:17], v[8:9], v[22:23], v[16:17]
	v_fma_f64 v[22:23], v[6:7], v[22:23], -v[24:25]
	ds_load_b128 v[6:9], v1 offset:1920
	v_add_f64_e32 v[10:11], v[10:11], v[14:15]
	v_add_f64_e32 v[12:13], v[12:13], v[169:170]
	s_wait_loadcnt_dscnt 0x301
	v_mul_f64_e32 v[14:15], v[2:3], v[28:29]
	v_mul_f64_e32 v[20:21], v[4:5], v[28:29]
	s_wait_loadcnt_dscnt 0x200
	v_mul_f64_e32 v[24:25], v[8:9], v[32:33]
	v_add_f64_e32 v[10:11], v[10:11], v[18:19]
	v_add_f64_e32 v[12:13], v[12:13], v[165:166]
	v_mul_f64_e32 v[18:19], v[6:7], v[32:33]
	v_fma_f64 v[14:15], v[4:5], v[26:27], v[14:15]
	v_fma_f64 v[20:21], v[2:3], v[26:27], -v[20:21]
	ds_load_b128 v[2:5], v1 offset:1936
	v_fma_f64 v[6:7], v[6:7], v[30:31], -v[24:25]
	v_add_f64_e32 v[10:11], v[10:11], v[22:23]
	v_add_f64_e32 v[12:13], v[12:13], v[16:17]
	s_wait_loadcnt_dscnt 0x100
	v_mul_f64_e32 v[16:17], v[2:3], v[36:37]
	v_mul_f64_e32 v[22:23], v[4:5], v[36:37]
	v_fma_f64 v[8:9], v[8:9], v[30:31], v[18:19]
	v_add_f64_e32 v[10:11], v[10:11], v[20:21]
	v_add_f64_e32 v[12:13], v[12:13], v[14:15]
	v_fma_f64 v[4:5], v[4:5], v[34:35], v[16:17]
	v_fma_f64 v[2:3], v[2:3], v[34:35], -v[22:23]
	s_delay_alu instid0(VALU_DEP_4) | instskip(NEXT) | instid1(VALU_DEP_4)
	v_add_f64_e32 v[6:7], v[10:11], v[6:7]
	v_add_f64_e32 v[8:9], v[12:13], v[8:9]
	s_delay_alu instid0(VALU_DEP_2) | instskip(NEXT) | instid1(VALU_DEP_2)
	v_add_f64_e32 v[2:3], v[6:7], v[2:3]
	v_add_f64_e32 v[4:5], v[8:9], v[4:5]
	s_wait_loadcnt 0x0
	s_delay_alu instid0(VALU_DEP_2) | instskip(NEXT) | instid1(VALU_DEP_2)
	v_add_f64_e64 v[2:3], v[38:39], -v[2:3]
	v_add_f64_e64 v[4:5], v[40:41], -v[4:5]
	scratch_store_b128 off, v[2:5], off offset:32
	v_cmpx_ne_u32_e32 0, v0
	s_cbranch_execz .LBB124_391
; %bb.390:
	scratch_load_b128 v[5:8], off, off offset:16
	v_dual_mov_b32 v2, v1 :: v_dual_mov_b32 v3, v1
	v_mov_b32_e32 v4, v1
	scratch_store_b128 off, v[1:4], off offset:16
	s_wait_loadcnt 0x0
	ds_store_b128 v164, v[5:8]
.LBB124_391:
	s_wait_alu 0xfffe
	s_or_b32 exec_lo, exec_lo, s0
	s_wait_storecnt_dscnt 0x0
	s_barrier_signal -1
	s_barrier_wait -1
	global_inv scope:SCOPE_SE
	s_clause 0x7
	scratch_load_b128 v[2:5], off, off offset:32
	scratch_load_b128 v[6:9], off, off offset:48
	;; [unrolled: 1-line block ×8, first 2 shown]
	ds_load_b128 v[38:41], v1 offset:992
	ds_load_b128 v[164:167], v1 offset:1008
	s_clause 0x1
	scratch_load_b128 v[34:37], off, off offset:160
	scratch_load_b128 v[168:171], off, off offset:176
	s_and_b32 vcc_lo, exec_lo, s14
	s_wait_loadcnt_dscnt 0x901
	v_mul_f64_e32 v[172:173], v[40:41], v[4:5]
	v_mul_f64_e32 v[4:5], v[38:39], v[4:5]
	s_wait_loadcnt_dscnt 0x800
	v_mul_f64_e32 v[174:175], v[164:165], v[8:9]
	v_mul_f64_e32 v[8:9], v[166:167], v[8:9]
	s_delay_alu instid0(VALU_DEP_4) | instskip(NEXT) | instid1(VALU_DEP_4)
	v_fma_f64 v[172:173], v[38:39], v[2:3], -v[172:173]
	v_fma_f64 v[176:177], v[40:41], v[2:3], v[4:5]
	ds_load_b128 v[2:5], v1 offset:1024
	scratch_load_b128 v[38:41], off, off offset:192
	v_fma_f64 v[174:175], v[166:167], v[6:7], v[174:175]
	v_fma_f64 v[180:181], v[164:165], v[6:7], -v[8:9]
	ds_load_b128 v[6:9], v1 offset:1040
	scratch_load_b128 v[164:167], off, off offset:208
	s_wait_loadcnt_dscnt 0x901
	v_mul_f64_e32 v[178:179], v[2:3], v[12:13]
	v_mul_f64_e32 v[12:13], v[4:5], v[12:13]
	s_wait_loadcnt_dscnt 0x800
	v_mul_f64_e32 v[182:183], v[6:7], v[16:17]
	v_mul_f64_e32 v[16:17], v[8:9], v[16:17]
	v_add_f64_e32 v[172:173], 0, v[172:173]
	v_add_f64_e32 v[176:177], 0, v[176:177]
	v_fma_f64 v[178:179], v[4:5], v[10:11], v[178:179]
	v_fma_f64 v[184:185], v[2:3], v[10:11], -v[12:13]
	ds_load_b128 v[2:5], v1 offset:1056
	scratch_load_b128 v[10:13], off, off offset:224
	v_add_f64_e32 v[172:173], v[172:173], v[180:181]
	v_add_f64_e32 v[174:175], v[176:177], v[174:175]
	v_fma_f64 v[180:181], v[8:9], v[14:15], v[182:183]
	v_fma_f64 v[182:183], v[6:7], v[14:15], -v[16:17]
	ds_load_b128 v[6:9], v1 offset:1072
	scratch_load_b128 v[14:17], off, off offset:240
	s_wait_loadcnt_dscnt 0x901
	v_mul_f64_e32 v[176:177], v[2:3], v[20:21]
	v_mul_f64_e32 v[20:21], v[4:5], v[20:21]
	v_add_f64_e32 v[172:173], v[172:173], v[184:185]
	v_add_f64_e32 v[174:175], v[174:175], v[178:179]
	s_wait_loadcnt_dscnt 0x800
	v_mul_f64_e32 v[178:179], v[6:7], v[24:25]
	v_mul_f64_e32 v[24:25], v[8:9], v[24:25]
	v_fma_f64 v[176:177], v[4:5], v[18:19], v[176:177]
	v_fma_f64 v[184:185], v[2:3], v[18:19], -v[20:21]
	ds_load_b128 v[2:5], v1 offset:1088
	scratch_load_b128 v[18:21], off, off offset:256
	v_add_f64_e32 v[172:173], v[172:173], v[182:183]
	v_add_f64_e32 v[174:175], v[174:175], v[180:181]
	v_fma_f64 v[178:179], v[8:9], v[22:23], v[178:179]
	v_fma_f64 v[182:183], v[6:7], v[22:23], -v[24:25]
	ds_load_b128 v[6:9], v1 offset:1104
	s_wait_loadcnt_dscnt 0x801
	v_mul_f64_e32 v[180:181], v[2:3], v[28:29]
	v_mul_f64_e32 v[28:29], v[4:5], v[28:29]
	scratch_load_b128 v[22:25], off, off offset:272
	v_add_f64_e32 v[172:173], v[172:173], v[184:185]
	v_add_f64_e32 v[174:175], v[174:175], v[176:177]
	s_wait_loadcnt_dscnt 0x800
	v_mul_f64_e32 v[176:177], v[6:7], v[32:33]
	v_mul_f64_e32 v[32:33], v[8:9], v[32:33]
	v_fma_f64 v[180:181], v[4:5], v[26:27], v[180:181]
	v_fma_f64 v[184:185], v[2:3], v[26:27], -v[28:29]
	ds_load_b128 v[2:5], v1 offset:1120
	scratch_load_b128 v[26:29], off, off offset:288
	v_add_f64_e32 v[172:173], v[172:173], v[182:183]
	v_add_f64_e32 v[174:175], v[174:175], v[178:179]
	v_fma_f64 v[176:177], v[8:9], v[30:31], v[176:177]
	v_fma_f64 v[182:183], v[6:7], v[30:31], -v[32:33]
	ds_load_b128 v[6:9], v1 offset:1136
	s_wait_loadcnt_dscnt 0x801
	v_mul_f64_e32 v[178:179], v[2:3], v[36:37]
	v_mul_f64_e32 v[36:37], v[4:5], v[36:37]
	scratch_load_b128 v[30:33], off, off offset:304
	v_add_f64_e32 v[172:173], v[172:173], v[184:185]
	v_add_f64_e32 v[174:175], v[174:175], v[180:181]
	s_wait_loadcnt_dscnt 0x800
	v_mul_f64_e32 v[180:181], v[6:7], v[170:171]
	v_mul_f64_e32 v[170:171], v[8:9], v[170:171]
	v_fma_f64 v[178:179], v[4:5], v[34:35], v[178:179]
	v_fma_f64 v[184:185], v[2:3], v[34:35], -v[36:37]
	ds_load_b128 v[2:5], v1 offset:1152
	scratch_load_b128 v[34:37], off, off offset:320
	v_add_f64_e32 v[172:173], v[172:173], v[182:183]
	v_add_f64_e32 v[174:175], v[174:175], v[176:177]
	v_fma_f64 v[180:181], v[8:9], v[168:169], v[180:181]
	v_fma_f64 v[182:183], v[6:7], v[168:169], -v[170:171]
	ds_load_b128 v[6:9], v1 offset:1168
	scratch_load_b128 v[168:171], off, off offset:336
	s_wait_loadcnt_dscnt 0x901
	v_mul_f64_e32 v[176:177], v[2:3], v[40:41]
	v_mul_f64_e32 v[40:41], v[4:5], v[40:41]
	v_add_f64_e32 v[172:173], v[172:173], v[184:185]
	v_add_f64_e32 v[174:175], v[174:175], v[178:179]
	s_wait_loadcnt_dscnt 0x800
	v_mul_f64_e32 v[178:179], v[6:7], v[166:167]
	v_mul_f64_e32 v[166:167], v[8:9], v[166:167]
	v_fma_f64 v[176:177], v[4:5], v[38:39], v[176:177]
	v_fma_f64 v[184:185], v[2:3], v[38:39], -v[40:41]
	ds_load_b128 v[2:5], v1 offset:1184
	scratch_load_b128 v[38:41], off, off offset:352
	v_add_f64_e32 v[172:173], v[172:173], v[182:183]
	v_add_f64_e32 v[174:175], v[174:175], v[180:181]
	v_fma_f64 v[178:179], v[8:9], v[164:165], v[178:179]
	v_fma_f64 v[182:183], v[6:7], v[164:165], -v[166:167]
	ds_load_b128 v[6:9], v1 offset:1200
	s_wait_loadcnt_dscnt 0x801
	v_mul_f64_e32 v[180:181], v[2:3], v[12:13]
	v_mul_f64_e32 v[12:13], v[4:5], v[12:13]
	scratch_load_b128 v[164:167], off, off offset:368
	v_add_f64_e32 v[172:173], v[172:173], v[184:185]
	v_add_f64_e32 v[174:175], v[174:175], v[176:177]
	s_wait_loadcnt_dscnt 0x800
	v_mul_f64_e32 v[176:177], v[6:7], v[16:17]
	v_mul_f64_e32 v[16:17], v[8:9], v[16:17]
	v_fma_f64 v[180:181], v[4:5], v[10:11], v[180:181]
	v_fma_f64 v[184:185], v[2:3], v[10:11], -v[12:13]
	ds_load_b128 v[2:5], v1 offset:1216
	scratch_load_b128 v[10:13], off, off offset:384
	v_add_f64_e32 v[172:173], v[172:173], v[182:183]
	v_add_f64_e32 v[174:175], v[174:175], v[178:179]
	v_fma_f64 v[176:177], v[8:9], v[14:15], v[176:177]
	v_fma_f64 v[182:183], v[6:7], v[14:15], -v[16:17]
	ds_load_b128 v[6:9], v1 offset:1232
	s_wait_loadcnt_dscnt 0x801
	v_mul_f64_e32 v[178:179], v[2:3], v[20:21]
	v_mul_f64_e32 v[20:21], v[4:5], v[20:21]
	scratch_load_b128 v[14:17], off, off offset:400
	;; [unrolled: 18-line block ×11, first 2 shown]
	v_add_f64_e32 v[172:173], v[172:173], v[184:185]
	v_add_f64_e32 v[174:175], v[174:175], v[180:181]
	s_wait_loadcnt_dscnt 0x800
	v_mul_f64_e32 v[180:181], v[6:7], v[16:17]
	v_mul_f64_e32 v[16:17], v[8:9], v[16:17]
	v_fma_f64 v[178:179], v[4:5], v[10:11], v[178:179]
	v_fma_f64 v[184:185], v[2:3], v[10:11], -v[12:13]
	scratch_load_b128 v[10:13], off, off offset:704
	ds_load_b128 v[2:5], v1 offset:1536
	v_add_f64_e32 v[172:173], v[172:173], v[182:183]
	v_add_f64_e32 v[174:175], v[174:175], v[176:177]
	v_fma_f64 v[180:181], v[8:9], v[14:15], v[180:181]
	v_fma_f64 v[182:183], v[6:7], v[14:15], -v[16:17]
	ds_load_b128 v[6:9], v1 offset:1552
	s_wait_loadcnt_dscnt 0x801
	v_mul_f64_e32 v[176:177], v[2:3], v[20:21]
	v_mul_f64_e32 v[20:21], v[4:5], v[20:21]
	scratch_load_b128 v[14:17], off, off offset:720
	v_add_f64_e32 v[172:173], v[172:173], v[184:185]
	v_add_f64_e32 v[174:175], v[174:175], v[178:179]
	s_wait_loadcnt_dscnt 0x800
	v_mul_f64_e32 v[178:179], v[6:7], v[24:25]
	v_mul_f64_e32 v[24:25], v[8:9], v[24:25]
	v_fma_f64 v[176:177], v[4:5], v[18:19], v[176:177]
	v_fma_f64 v[184:185], v[2:3], v[18:19], -v[20:21]
	ds_load_b128 v[2:5], v1 offset:1568
	scratch_load_b128 v[18:21], off, off offset:736
	v_add_f64_e32 v[172:173], v[172:173], v[182:183]
	v_add_f64_e32 v[174:175], v[174:175], v[180:181]
	v_fma_f64 v[178:179], v[8:9], v[22:23], v[178:179]
	v_fma_f64 v[182:183], v[6:7], v[22:23], -v[24:25]
	ds_load_b128 v[6:9], v1 offset:1584
	s_wait_loadcnt_dscnt 0x801
	v_mul_f64_e32 v[180:181], v[2:3], v[28:29]
	v_mul_f64_e32 v[28:29], v[4:5], v[28:29]
	scratch_load_b128 v[22:25], off, off offset:752
	v_add_f64_e32 v[172:173], v[172:173], v[184:185]
	v_add_f64_e32 v[174:175], v[174:175], v[176:177]
	s_wait_loadcnt_dscnt 0x800
	v_mul_f64_e32 v[176:177], v[6:7], v[32:33]
	v_mul_f64_e32 v[32:33], v[8:9], v[32:33]
	v_fma_f64 v[180:181], v[4:5], v[26:27], v[180:181]
	v_fma_f64 v[184:185], v[2:3], v[26:27], -v[28:29]
	ds_load_b128 v[2:5], v1 offset:1600
	scratch_load_b128 v[26:29], off, off offset:768
	;; [unrolled: 18-line block ×4, first 2 shown]
	v_add_f64_e32 v[172:173], v[172:173], v[182:183]
	v_add_f64_e32 v[174:175], v[174:175], v[180:181]
	v_fma_f64 v[178:179], v[8:9], v[164:165], v[178:179]
	v_fma_f64 v[182:183], v[6:7], v[164:165], -v[166:167]
	ds_load_b128 v[6:9], v1 offset:1680
	s_wait_loadcnt_dscnt 0x801
	v_mul_f64_e32 v[180:181], v[2:3], v[12:13]
	v_mul_f64_e32 v[12:13], v[4:5], v[12:13]
	scratch_load_b128 v[164:167], off, off offset:848
	v_add_f64_e32 v[172:173], v[172:173], v[184:185]
	v_add_f64_e32 v[174:175], v[174:175], v[176:177]
	s_wait_loadcnt_dscnt 0x800
	v_mul_f64_e32 v[176:177], v[6:7], v[16:17]
	v_mul_f64_e32 v[16:17], v[8:9], v[16:17]
	v_fma_f64 v[180:181], v[4:5], v[10:11], v[180:181]
	v_fma_f64 v[184:185], v[2:3], v[10:11], -v[12:13]
	scratch_load_b128 v[10:13], off, off offset:864
	ds_load_b128 v[2:5], v1 offset:1696
	v_add_f64_e32 v[172:173], v[172:173], v[182:183]
	v_add_f64_e32 v[174:175], v[174:175], v[178:179]
	v_fma_f64 v[176:177], v[8:9], v[14:15], v[176:177]
	v_fma_f64 v[182:183], v[6:7], v[14:15], -v[16:17]
	ds_load_b128 v[6:9], v1 offset:1712
	s_wait_loadcnt_dscnt 0x801
	v_mul_f64_e32 v[178:179], v[2:3], v[20:21]
	v_mul_f64_e32 v[20:21], v[4:5], v[20:21]
	scratch_load_b128 v[14:17], off, off offset:880
	v_add_f64_e32 v[172:173], v[172:173], v[184:185]
	v_add_f64_e32 v[174:175], v[174:175], v[180:181]
	s_wait_loadcnt_dscnt 0x800
	v_mul_f64_e32 v[180:181], v[6:7], v[24:25]
	v_mul_f64_e32 v[24:25], v[8:9], v[24:25]
	v_fma_f64 v[178:179], v[4:5], v[18:19], v[178:179]
	v_fma_f64 v[184:185], v[2:3], v[18:19], -v[20:21]
	ds_load_b128 v[2:5], v1 offset:1728
	scratch_load_b128 v[18:21], off, off offset:896
	v_add_f64_e32 v[172:173], v[172:173], v[182:183]
	v_add_f64_e32 v[174:175], v[174:175], v[176:177]
	v_fma_f64 v[180:181], v[8:9], v[22:23], v[180:181]
	v_fma_f64 v[182:183], v[6:7], v[22:23], -v[24:25]
	ds_load_b128 v[6:9], v1 offset:1744
	s_wait_loadcnt_dscnt 0x801
	v_mul_f64_e32 v[176:177], v[2:3], v[28:29]
	v_mul_f64_e32 v[28:29], v[4:5], v[28:29]
	scratch_load_b128 v[22:25], off, off offset:912
	v_add_f64_e32 v[172:173], v[172:173], v[184:185]
	v_add_f64_e32 v[174:175], v[174:175], v[178:179]
	s_wait_loadcnt_dscnt 0x800
	v_mul_f64_e32 v[178:179], v[6:7], v[32:33]
	v_mul_f64_e32 v[32:33], v[8:9], v[32:33]
	v_fma_f64 v[176:177], v[4:5], v[26:27], v[176:177]
	v_fma_f64 v[184:185], v[2:3], v[26:27], -v[28:29]
	ds_load_b128 v[2:5], v1 offset:1760
	scratch_load_b128 v[26:29], off, off offset:928
	;; [unrolled: 18-line block ×3, first 2 shown]
	v_add_f64_e32 v[172:173], v[172:173], v[182:183]
	v_add_f64_e32 v[174:175], v[174:175], v[178:179]
	v_fma_f64 v[176:177], v[8:9], v[168:169], v[176:177]
	v_fma_f64 v[182:183], v[6:7], v[168:169], -v[170:171]
	ds_load_b128 v[6:9], v1 offset:1808
	s_wait_loadcnt_dscnt 0x801
	v_mul_f64_e32 v[178:179], v[2:3], v[40:41]
	v_mul_f64_e32 v[40:41], v[4:5], v[40:41]
	scratch_load_b128 v[168:171], off, off offset:976
	v_add_f64_e32 v[172:173], v[172:173], v[184:185]
	v_add_f64_e32 v[174:175], v[174:175], v[180:181]
	v_fma_f64 v[178:179], v[4:5], v[38:39], v[178:179]
	v_fma_f64 v[38:39], v[2:3], v[38:39], -v[40:41]
	ds_load_b128 v[2:5], v1 offset:1824
	v_add_f64_e32 v[40:41], v[172:173], v[182:183]
	v_add_f64_e32 v[172:173], v[174:175], v[176:177]
	s_wait_loadcnt_dscnt 0x700
	v_mul_f64_e32 v[174:175], v[2:3], v[12:13]
	v_mul_f64_e32 v[12:13], v[4:5], v[12:13]
	s_delay_alu instid0(VALU_DEP_4) | instskip(NEXT) | instid1(VALU_DEP_4)
	v_add_f64_e32 v[38:39], v[40:41], v[38:39]
	v_add_f64_e32 v[40:41], v[172:173], v[178:179]
	s_delay_alu instid0(VALU_DEP_4) | instskip(NEXT) | instid1(VALU_DEP_4)
	v_fma_f64 v[172:173], v[4:5], v[10:11], v[174:175]
	v_fma_f64 v[174:175], v[2:3], v[10:11], -v[12:13]
	scratch_load_b128 v[10:13], off, off offset:16
	v_mul_f64_e32 v[180:181], v[6:7], v[166:167]
	v_mul_f64_e32 v[166:167], v[8:9], v[166:167]
	ds_load_b128 v[2:5], v1 offset:1856
	v_fma_f64 v[176:177], v[8:9], v[164:165], v[180:181]
	v_fma_f64 v[164:165], v[6:7], v[164:165], -v[166:167]
	ds_load_b128 v[6:9], v1 offset:1840
	s_wait_loadcnt_dscnt 0x700
	v_mul_f64_e32 v[166:167], v[6:7], v[16:17]
	v_mul_f64_e32 v[16:17], v[8:9], v[16:17]
	v_add_f64_e32 v[40:41], v[40:41], v[176:177]
	v_add_f64_e32 v[38:39], v[38:39], v[164:165]
	s_wait_loadcnt 0x6
	v_mul_f64_e32 v[164:165], v[2:3], v[20:21]
	v_mul_f64_e32 v[20:21], v[4:5], v[20:21]
	v_fma_f64 v[166:167], v[8:9], v[14:15], v[166:167]
	v_fma_f64 v[14:15], v[6:7], v[14:15], -v[16:17]
	ds_load_b128 v[6:9], v1 offset:1872
	v_add_f64_e32 v[16:17], v[38:39], v[174:175]
	v_add_f64_e32 v[38:39], v[40:41], v[172:173]
	v_fma_f64 v[164:165], v[4:5], v[18:19], v[164:165]
	v_fma_f64 v[18:19], v[2:3], v[18:19], -v[20:21]
	ds_load_b128 v[2:5], v1 offset:1888
	s_wait_loadcnt_dscnt 0x501
	v_mul_f64_e32 v[40:41], v[6:7], v[24:25]
	v_mul_f64_e32 v[24:25], v[8:9], v[24:25]
	s_wait_loadcnt_dscnt 0x400
	v_mul_f64_e32 v[20:21], v[2:3], v[28:29]
	v_mul_f64_e32 v[28:29], v[4:5], v[28:29]
	v_add_f64_e32 v[14:15], v[16:17], v[14:15]
	v_add_f64_e32 v[16:17], v[38:39], v[166:167]
	v_fma_f64 v[38:39], v[8:9], v[22:23], v[40:41]
	v_fma_f64 v[22:23], v[6:7], v[22:23], -v[24:25]
	ds_load_b128 v[6:9], v1 offset:1904
	v_fma_f64 v[20:21], v[4:5], v[26:27], v[20:21]
	v_fma_f64 v[26:27], v[2:3], v[26:27], -v[28:29]
	ds_load_b128 v[2:5], v1 offset:1920
	s_wait_loadcnt_dscnt 0x301
	v_mul_f64_e32 v[24:25], v[8:9], v[32:33]
	v_add_f64_e32 v[14:15], v[14:15], v[18:19]
	v_add_f64_e32 v[16:17], v[16:17], v[164:165]
	v_mul_f64_e32 v[18:19], v[6:7], v[32:33]
	s_wait_loadcnt_dscnt 0x200
	v_mul_f64_e32 v[28:29], v[4:5], v[36:37]
	v_fma_f64 v[24:25], v[6:7], v[30:31], -v[24:25]
	v_add_f64_e32 v[14:15], v[14:15], v[22:23]
	v_add_f64_e32 v[16:17], v[16:17], v[38:39]
	v_mul_f64_e32 v[22:23], v[2:3], v[36:37]
	v_fma_f64 v[18:19], v[8:9], v[30:31], v[18:19]
	ds_load_b128 v[6:9], v1 offset:1936
	v_fma_f64 v[2:3], v[2:3], v[34:35], -v[28:29]
	s_wait_loadcnt_dscnt 0x100
	v_mul_f64_e32 v[0:1], v[6:7], v[170:171]
	v_add_f64_e32 v[14:15], v[14:15], v[26:27]
	v_add_f64_e32 v[16:17], v[16:17], v[20:21]
	v_mul_f64_e32 v[20:21], v[8:9], v[170:171]
	v_fma_f64 v[4:5], v[4:5], v[34:35], v[22:23]
	v_fma_f64 v[0:1], v[8:9], v[168:169], v[0:1]
	v_add_f64_e32 v[14:15], v[14:15], v[24:25]
	v_add_f64_e32 v[16:17], v[16:17], v[18:19]
	v_fma_f64 v[6:7], v[6:7], v[168:169], -v[20:21]
	s_delay_alu instid0(VALU_DEP_3) | instskip(NEXT) | instid1(VALU_DEP_3)
	v_add_f64_e32 v[2:3], v[14:15], v[2:3]
	v_add_f64_e32 v[4:5], v[16:17], v[4:5]
	s_delay_alu instid0(VALU_DEP_2) | instskip(NEXT) | instid1(VALU_DEP_2)
	v_add_f64_e32 v[2:3], v[2:3], v[6:7]
	v_add_f64_e32 v[4:5], v[4:5], v[0:1]
	s_wait_loadcnt 0x0
	s_delay_alu instid0(VALU_DEP_2) | instskip(NEXT) | instid1(VALU_DEP_2)
	v_add_f64_e64 v[0:1], v[10:11], -v[2:3]
	v_add_f64_e64 v[2:3], v[12:13], -v[4:5]
	scratch_store_b128 off, v[0:3], off offset:16
	s_wait_alu 0xfffe
	s_cbranch_vccz .LBB124_512
; %bb.392:
	v_mov_b32_e32 v0, 0
	global_load_b32 v1, v0, s[8:9] offset:236
	s_wait_loadcnt 0x0
	v_cmp_ne_u32_e32 vcc_lo, 60, v1
	s_cbranch_vccz .LBB124_394
; %bb.393:
	v_lshlrev_b32_e32 v1, 4, v1
	s_delay_alu instid0(VALU_DEP_1)
	v_add_nc_u32_e32 v9, 16, v1
	s_clause 0x1
	scratch_load_b128 v[1:4], v9, off offset:-16
	scratch_load_b128 v[5:8], off, s13
	s_wait_loadcnt 0x1
	scratch_store_b128 off, v[1:4], s13
	s_wait_loadcnt 0x0
	scratch_store_b128 v9, v[5:8], off offset:-16
.LBB124_394:
	global_load_b32 v0, v0, s[8:9] offset:232
	s_wait_loadcnt 0x0
	v_cmp_eq_u32_e32 vcc_lo, 59, v0
	s_cbranch_vccnz .LBB124_396
; %bb.395:
	v_lshlrev_b32_e32 v0, 4, v0
	s_delay_alu instid0(VALU_DEP_1)
	v_add_nc_u32_e32 v8, 16, v0
	s_clause 0x1
	scratch_load_b128 v[0:3], v8, off offset:-16
	scratch_load_b128 v[4:7], off, s16
	s_wait_loadcnt 0x1
	scratch_store_b128 off, v[0:3], s16
	s_wait_loadcnt 0x0
	scratch_store_b128 v8, v[4:7], off offset:-16
.LBB124_396:
	v_mov_b32_e32 v0, 0
	global_load_b32 v1, v0, s[8:9] offset:228
	s_wait_loadcnt 0x0
	v_cmp_eq_u32_e32 vcc_lo, 58, v1
	s_cbranch_vccnz .LBB124_398
; %bb.397:
	v_lshlrev_b32_e32 v1, 4, v1
	s_delay_alu instid0(VALU_DEP_1)
	v_add_nc_u32_e32 v9, 16, v1
	s_clause 0x1
	scratch_load_b128 v[1:4], v9, off offset:-16
	scratch_load_b128 v[5:8], off, s18
	s_wait_loadcnt 0x1
	scratch_store_b128 off, v[1:4], s18
	s_wait_loadcnt 0x0
	scratch_store_b128 v9, v[5:8], off offset:-16
.LBB124_398:
	global_load_b32 v0, v0, s[8:9] offset:224
	s_wait_loadcnt 0x0
	v_cmp_eq_u32_e32 vcc_lo, 57, v0
	s_cbranch_vccnz .LBB124_400
; %bb.399:
	v_lshlrev_b32_e32 v0, 4, v0
	s_delay_alu instid0(VALU_DEP_1)
	v_add_nc_u32_e32 v8, 16, v0
	s_clause 0x1
	scratch_load_b128 v[0:3], v8, off offset:-16
	scratch_load_b128 v[4:7], off, s19
	s_wait_loadcnt 0x1
	scratch_store_b128 off, v[0:3], s19
	s_wait_loadcnt 0x0
	scratch_store_b128 v8, v[4:7], off offset:-16
.LBB124_400:
	v_mov_b32_e32 v0, 0
	global_load_b32 v1, v0, s[8:9] offset:220
	s_wait_loadcnt 0x0
	v_cmp_eq_u32_e32 vcc_lo, 56, v1
	s_cbranch_vccnz .LBB124_402
; %bb.401:
	v_lshlrev_b32_e32 v1, 4, v1
	s_delay_alu instid0(VALU_DEP_1)
	v_add_nc_u32_e32 v9, 16, v1
	s_clause 0x1
	scratch_load_b128 v[1:4], v9, off offset:-16
	scratch_load_b128 v[5:8], off, s20
	s_wait_loadcnt 0x1
	scratch_store_b128 off, v[1:4], s20
	s_wait_loadcnt 0x0
	scratch_store_b128 v9, v[5:8], off offset:-16
.LBB124_402:
	global_load_b32 v0, v0, s[8:9] offset:216
	s_wait_loadcnt 0x0
	v_cmp_eq_u32_e32 vcc_lo, 55, v0
	s_cbranch_vccnz .LBB124_404
; %bb.403:
	v_lshlrev_b32_e32 v0, 4, v0
	s_delay_alu instid0(VALU_DEP_1)
	v_add_nc_u32_e32 v8, 16, v0
	s_clause 0x1
	scratch_load_b128 v[0:3], v8, off offset:-16
	scratch_load_b128 v[4:7], off, s21
	s_wait_loadcnt 0x1
	scratch_store_b128 off, v[0:3], s21
	s_wait_loadcnt 0x0
	scratch_store_b128 v8, v[4:7], off offset:-16
.LBB124_404:
	v_mov_b32_e32 v0, 0
	global_load_b32 v1, v0, s[8:9] offset:212
	s_wait_loadcnt 0x0
	v_cmp_eq_u32_e32 vcc_lo, 54, v1
	s_cbranch_vccnz .LBB124_406
; %bb.405:
	v_lshlrev_b32_e32 v1, 4, v1
	s_delay_alu instid0(VALU_DEP_1)
	v_add_nc_u32_e32 v9, 16, v1
	s_clause 0x1
	scratch_load_b128 v[1:4], v9, off offset:-16
	scratch_load_b128 v[5:8], off, s22
	s_wait_loadcnt 0x1
	scratch_store_b128 off, v[1:4], s22
	s_wait_loadcnt 0x0
	scratch_store_b128 v9, v[5:8], off offset:-16
.LBB124_406:
	global_load_b32 v0, v0, s[8:9] offset:208
	s_wait_loadcnt 0x0
	v_cmp_eq_u32_e32 vcc_lo, 53, v0
	s_cbranch_vccnz .LBB124_408
; %bb.407:
	v_lshlrev_b32_e32 v0, 4, v0
	s_delay_alu instid0(VALU_DEP_1)
	v_add_nc_u32_e32 v8, 16, v0
	s_clause 0x1
	scratch_load_b128 v[0:3], v8, off offset:-16
	scratch_load_b128 v[4:7], off, s23
	s_wait_loadcnt 0x1
	scratch_store_b128 off, v[0:3], s23
	s_wait_loadcnt 0x0
	scratch_store_b128 v8, v[4:7], off offset:-16
.LBB124_408:
	v_mov_b32_e32 v0, 0
	global_load_b32 v1, v0, s[8:9] offset:204
	s_wait_loadcnt 0x0
	v_cmp_eq_u32_e32 vcc_lo, 52, v1
	s_cbranch_vccnz .LBB124_410
; %bb.409:
	v_lshlrev_b32_e32 v1, 4, v1
	s_delay_alu instid0(VALU_DEP_1)
	v_add_nc_u32_e32 v9, 16, v1
	s_clause 0x1
	scratch_load_b128 v[1:4], v9, off offset:-16
	scratch_load_b128 v[5:8], off, s24
	s_wait_loadcnt 0x1
	scratch_store_b128 off, v[1:4], s24
	s_wait_loadcnt 0x0
	scratch_store_b128 v9, v[5:8], off offset:-16
.LBB124_410:
	global_load_b32 v0, v0, s[8:9] offset:200
	s_wait_loadcnt 0x0
	v_cmp_eq_u32_e32 vcc_lo, 51, v0
	s_cbranch_vccnz .LBB124_412
; %bb.411:
	v_lshlrev_b32_e32 v0, 4, v0
	s_delay_alu instid0(VALU_DEP_1)
	v_add_nc_u32_e32 v8, 16, v0
	s_clause 0x1
	scratch_load_b128 v[0:3], v8, off offset:-16
	scratch_load_b128 v[4:7], off, s25
	s_wait_loadcnt 0x1
	scratch_store_b128 off, v[0:3], s25
	s_wait_loadcnt 0x0
	scratch_store_b128 v8, v[4:7], off offset:-16
.LBB124_412:
	v_mov_b32_e32 v0, 0
	global_load_b32 v1, v0, s[8:9] offset:196
	s_wait_loadcnt 0x0
	v_cmp_eq_u32_e32 vcc_lo, 50, v1
	s_cbranch_vccnz .LBB124_414
; %bb.413:
	v_lshlrev_b32_e32 v1, 4, v1
	s_delay_alu instid0(VALU_DEP_1)
	v_add_nc_u32_e32 v9, 16, v1
	s_clause 0x1
	scratch_load_b128 v[1:4], v9, off offset:-16
	scratch_load_b128 v[5:8], off, s26
	s_wait_loadcnt 0x1
	scratch_store_b128 off, v[1:4], s26
	s_wait_loadcnt 0x0
	scratch_store_b128 v9, v[5:8], off offset:-16
.LBB124_414:
	global_load_b32 v0, v0, s[8:9] offset:192
	s_wait_loadcnt 0x0
	v_cmp_eq_u32_e32 vcc_lo, 49, v0
	s_cbranch_vccnz .LBB124_416
; %bb.415:
	v_lshlrev_b32_e32 v0, 4, v0
	s_delay_alu instid0(VALU_DEP_1)
	v_add_nc_u32_e32 v8, 16, v0
	s_clause 0x1
	scratch_load_b128 v[0:3], v8, off offset:-16
	scratch_load_b128 v[4:7], off, s27
	s_wait_loadcnt 0x1
	scratch_store_b128 off, v[0:3], s27
	s_wait_loadcnt 0x0
	scratch_store_b128 v8, v[4:7], off offset:-16
.LBB124_416:
	v_mov_b32_e32 v0, 0
	global_load_b32 v1, v0, s[8:9] offset:188
	s_wait_loadcnt 0x0
	v_cmp_eq_u32_e32 vcc_lo, 48, v1
	s_cbranch_vccnz .LBB124_418
; %bb.417:
	v_lshlrev_b32_e32 v1, 4, v1
	s_delay_alu instid0(VALU_DEP_1)
	v_add_nc_u32_e32 v9, 16, v1
	s_clause 0x1
	scratch_load_b128 v[1:4], v9, off offset:-16
	scratch_load_b128 v[5:8], off, s28
	s_wait_loadcnt 0x1
	scratch_store_b128 off, v[1:4], s28
	s_wait_loadcnt 0x0
	scratch_store_b128 v9, v[5:8], off offset:-16
.LBB124_418:
	global_load_b32 v0, v0, s[8:9] offset:184
	s_wait_loadcnt 0x0
	v_cmp_eq_u32_e32 vcc_lo, 47, v0
	s_cbranch_vccnz .LBB124_420
; %bb.419:
	v_lshlrev_b32_e32 v0, 4, v0
	s_delay_alu instid0(VALU_DEP_1)
	v_add_nc_u32_e32 v8, 16, v0
	s_clause 0x1
	scratch_load_b128 v[0:3], v8, off offset:-16
	scratch_load_b128 v[4:7], off, s29
	s_wait_loadcnt 0x1
	scratch_store_b128 off, v[0:3], s29
	s_wait_loadcnt 0x0
	scratch_store_b128 v8, v[4:7], off offset:-16
.LBB124_420:
	v_mov_b32_e32 v0, 0
	global_load_b32 v1, v0, s[8:9] offset:180
	s_wait_loadcnt 0x0
	v_cmp_eq_u32_e32 vcc_lo, 46, v1
	s_cbranch_vccnz .LBB124_422
; %bb.421:
	v_lshlrev_b32_e32 v1, 4, v1
	s_delay_alu instid0(VALU_DEP_1)
	v_add_nc_u32_e32 v9, 16, v1
	s_clause 0x1
	scratch_load_b128 v[1:4], v9, off offset:-16
	scratch_load_b128 v[5:8], off, s30
	s_wait_loadcnt 0x1
	scratch_store_b128 off, v[1:4], s30
	s_wait_loadcnt 0x0
	scratch_store_b128 v9, v[5:8], off offset:-16
.LBB124_422:
	global_load_b32 v0, v0, s[8:9] offset:176
	s_wait_loadcnt 0x0
	v_cmp_eq_u32_e32 vcc_lo, 45, v0
	s_cbranch_vccnz .LBB124_424
; %bb.423:
	v_lshlrev_b32_e32 v0, 4, v0
	s_delay_alu instid0(VALU_DEP_1)
	v_add_nc_u32_e32 v8, 16, v0
	s_clause 0x1
	scratch_load_b128 v[0:3], v8, off offset:-16
	scratch_load_b128 v[4:7], off, s31
	s_wait_loadcnt 0x1
	scratch_store_b128 off, v[0:3], s31
	s_wait_loadcnt 0x0
	scratch_store_b128 v8, v[4:7], off offset:-16
.LBB124_424:
	v_mov_b32_e32 v0, 0
	global_load_b32 v1, v0, s[8:9] offset:172
	s_wait_loadcnt 0x0
	v_cmp_eq_u32_e32 vcc_lo, 44, v1
	s_cbranch_vccnz .LBB124_426
; %bb.425:
	v_lshlrev_b32_e32 v1, 4, v1
	s_delay_alu instid0(VALU_DEP_1)
	v_add_nc_u32_e32 v9, 16, v1
	s_clause 0x1
	scratch_load_b128 v[1:4], v9, off offset:-16
	scratch_load_b128 v[5:8], off, s33
	s_wait_loadcnt 0x1
	scratch_store_b128 off, v[1:4], s33
	s_wait_loadcnt 0x0
	scratch_store_b128 v9, v[5:8], off offset:-16
.LBB124_426:
	global_load_b32 v0, v0, s[8:9] offset:168
	s_wait_loadcnt 0x0
	v_cmp_eq_u32_e32 vcc_lo, 43, v0
	s_cbranch_vccnz .LBB124_428
; %bb.427:
	v_lshlrev_b32_e32 v0, 4, v0
	s_delay_alu instid0(VALU_DEP_1)
	v_add_nc_u32_e32 v8, 16, v0
	s_clause 0x1
	scratch_load_b128 v[0:3], v8, off offset:-16
	scratch_load_b128 v[4:7], off, s34
	s_wait_loadcnt 0x1
	scratch_store_b128 off, v[0:3], s34
	s_wait_loadcnt 0x0
	scratch_store_b128 v8, v[4:7], off offset:-16
.LBB124_428:
	v_mov_b32_e32 v0, 0
	global_load_b32 v1, v0, s[8:9] offset:164
	s_wait_loadcnt 0x0
	v_cmp_eq_u32_e32 vcc_lo, 42, v1
	s_cbranch_vccnz .LBB124_430
; %bb.429:
	v_lshlrev_b32_e32 v1, 4, v1
	s_delay_alu instid0(VALU_DEP_1)
	v_add_nc_u32_e32 v9, 16, v1
	s_clause 0x1
	scratch_load_b128 v[1:4], v9, off offset:-16
	scratch_load_b128 v[5:8], off, s35
	s_wait_loadcnt 0x1
	scratch_store_b128 off, v[1:4], s35
	s_wait_loadcnt 0x0
	scratch_store_b128 v9, v[5:8], off offset:-16
.LBB124_430:
	global_load_b32 v0, v0, s[8:9] offset:160
	s_wait_loadcnt 0x0
	v_cmp_eq_u32_e32 vcc_lo, 41, v0
	s_cbranch_vccnz .LBB124_432
; %bb.431:
	v_lshlrev_b32_e32 v0, 4, v0
	s_delay_alu instid0(VALU_DEP_1)
	v_add_nc_u32_e32 v8, 16, v0
	s_clause 0x1
	scratch_load_b128 v[0:3], v8, off offset:-16
	scratch_load_b128 v[4:7], off, s36
	s_wait_loadcnt 0x1
	scratch_store_b128 off, v[0:3], s36
	s_wait_loadcnt 0x0
	scratch_store_b128 v8, v[4:7], off offset:-16
.LBB124_432:
	v_mov_b32_e32 v0, 0
	global_load_b32 v1, v0, s[8:9] offset:156
	s_wait_loadcnt 0x0
	v_cmp_eq_u32_e32 vcc_lo, 40, v1
	s_cbranch_vccnz .LBB124_434
; %bb.433:
	v_lshlrev_b32_e32 v1, 4, v1
	s_delay_alu instid0(VALU_DEP_1)
	v_add_nc_u32_e32 v9, 16, v1
	s_clause 0x1
	scratch_load_b128 v[1:4], v9, off offset:-16
	scratch_load_b128 v[5:8], off, s37
	s_wait_loadcnt 0x1
	scratch_store_b128 off, v[1:4], s37
	s_wait_loadcnt 0x0
	scratch_store_b128 v9, v[5:8], off offset:-16
.LBB124_434:
	global_load_b32 v0, v0, s[8:9] offset:152
	s_wait_loadcnt 0x0
	v_cmp_eq_u32_e32 vcc_lo, 39, v0
	s_cbranch_vccnz .LBB124_436
; %bb.435:
	v_lshlrev_b32_e32 v0, 4, v0
	s_delay_alu instid0(VALU_DEP_1)
	v_add_nc_u32_e32 v8, 16, v0
	s_clause 0x1
	scratch_load_b128 v[0:3], v8, off offset:-16
	scratch_load_b128 v[4:7], off, s38
	s_wait_loadcnt 0x1
	scratch_store_b128 off, v[0:3], s38
	s_wait_loadcnt 0x0
	scratch_store_b128 v8, v[4:7], off offset:-16
.LBB124_436:
	v_mov_b32_e32 v0, 0
	global_load_b32 v1, v0, s[8:9] offset:148
	s_wait_loadcnt 0x0
	v_cmp_eq_u32_e32 vcc_lo, 38, v1
	s_cbranch_vccnz .LBB124_438
; %bb.437:
	v_lshlrev_b32_e32 v1, 4, v1
	s_delay_alu instid0(VALU_DEP_1)
	v_add_nc_u32_e32 v9, 16, v1
	s_clause 0x1
	scratch_load_b128 v[1:4], v9, off offset:-16
	scratch_load_b128 v[5:8], off, s39
	s_wait_loadcnt 0x1
	scratch_store_b128 off, v[1:4], s39
	s_wait_loadcnt 0x0
	scratch_store_b128 v9, v[5:8], off offset:-16
.LBB124_438:
	global_load_b32 v0, v0, s[8:9] offset:144
	s_wait_loadcnt 0x0
	v_cmp_eq_u32_e32 vcc_lo, 37, v0
	s_cbranch_vccnz .LBB124_440
; %bb.439:
	v_lshlrev_b32_e32 v0, 4, v0
	s_delay_alu instid0(VALU_DEP_1)
	v_add_nc_u32_e32 v8, 16, v0
	s_clause 0x1
	scratch_load_b128 v[0:3], v8, off offset:-16
	scratch_load_b128 v[4:7], off, s40
	s_wait_loadcnt 0x1
	scratch_store_b128 off, v[0:3], s40
	s_wait_loadcnt 0x0
	scratch_store_b128 v8, v[4:7], off offset:-16
.LBB124_440:
	v_mov_b32_e32 v0, 0
	global_load_b32 v1, v0, s[8:9] offset:140
	s_wait_loadcnt 0x0
	v_cmp_eq_u32_e32 vcc_lo, 36, v1
	s_cbranch_vccnz .LBB124_442
; %bb.441:
	v_lshlrev_b32_e32 v1, 4, v1
	s_delay_alu instid0(VALU_DEP_1)
	v_add_nc_u32_e32 v9, 16, v1
	s_clause 0x1
	scratch_load_b128 v[1:4], v9, off offset:-16
	scratch_load_b128 v[5:8], off, s41
	s_wait_loadcnt 0x1
	scratch_store_b128 off, v[1:4], s41
	s_wait_loadcnt 0x0
	scratch_store_b128 v9, v[5:8], off offset:-16
.LBB124_442:
	global_load_b32 v0, v0, s[8:9] offset:136
	s_wait_loadcnt 0x0
	v_cmp_eq_u32_e32 vcc_lo, 35, v0
	s_cbranch_vccnz .LBB124_444
; %bb.443:
	v_lshlrev_b32_e32 v0, 4, v0
	s_delay_alu instid0(VALU_DEP_1)
	v_add_nc_u32_e32 v8, 16, v0
	s_clause 0x1
	scratch_load_b128 v[0:3], v8, off offset:-16
	scratch_load_b128 v[4:7], off, s42
	s_wait_loadcnt 0x1
	scratch_store_b128 off, v[0:3], s42
	s_wait_loadcnt 0x0
	scratch_store_b128 v8, v[4:7], off offset:-16
.LBB124_444:
	v_mov_b32_e32 v0, 0
	global_load_b32 v1, v0, s[8:9] offset:132
	s_wait_loadcnt 0x0
	v_cmp_eq_u32_e32 vcc_lo, 34, v1
	s_cbranch_vccnz .LBB124_446
; %bb.445:
	v_lshlrev_b32_e32 v1, 4, v1
	s_delay_alu instid0(VALU_DEP_1)
	v_add_nc_u32_e32 v9, 16, v1
	s_clause 0x1
	scratch_load_b128 v[1:4], v9, off offset:-16
	scratch_load_b128 v[5:8], off, s43
	s_wait_loadcnt 0x1
	scratch_store_b128 off, v[1:4], s43
	s_wait_loadcnt 0x0
	scratch_store_b128 v9, v[5:8], off offset:-16
.LBB124_446:
	global_load_b32 v0, v0, s[8:9] offset:128
	s_wait_loadcnt 0x0
	v_cmp_eq_u32_e32 vcc_lo, 33, v0
	s_cbranch_vccnz .LBB124_448
; %bb.447:
	v_lshlrev_b32_e32 v0, 4, v0
	s_delay_alu instid0(VALU_DEP_1)
	v_add_nc_u32_e32 v8, 16, v0
	s_clause 0x1
	scratch_load_b128 v[0:3], v8, off offset:-16
	scratch_load_b128 v[4:7], off, s44
	s_wait_loadcnt 0x1
	scratch_store_b128 off, v[0:3], s44
	s_wait_loadcnt 0x0
	scratch_store_b128 v8, v[4:7], off offset:-16
.LBB124_448:
	v_mov_b32_e32 v0, 0
	global_load_b32 v1, v0, s[8:9] offset:124
	s_wait_loadcnt 0x0
	v_cmp_eq_u32_e32 vcc_lo, 32, v1
	s_cbranch_vccnz .LBB124_450
; %bb.449:
	v_lshlrev_b32_e32 v1, 4, v1
	s_delay_alu instid0(VALU_DEP_1)
	v_add_nc_u32_e32 v9, 16, v1
	s_clause 0x1
	scratch_load_b128 v[1:4], v9, off offset:-16
	scratch_load_b128 v[5:8], off, s45
	s_wait_loadcnt 0x1
	scratch_store_b128 off, v[1:4], s45
	s_wait_loadcnt 0x0
	scratch_store_b128 v9, v[5:8], off offset:-16
.LBB124_450:
	global_load_b32 v0, v0, s[8:9] offset:120
	s_wait_loadcnt 0x0
	v_cmp_eq_u32_e32 vcc_lo, 31, v0
	s_cbranch_vccnz .LBB124_452
; %bb.451:
	v_lshlrev_b32_e32 v0, 4, v0
	s_delay_alu instid0(VALU_DEP_1)
	v_add_nc_u32_e32 v8, 16, v0
	s_clause 0x1
	scratch_load_b128 v[0:3], v8, off offset:-16
	scratch_load_b128 v[4:7], off, s46
	s_wait_loadcnt 0x1
	scratch_store_b128 off, v[0:3], s46
	s_wait_loadcnt 0x0
	scratch_store_b128 v8, v[4:7], off offset:-16
.LBB124_452:
	v_mov_b32_e32 v0, 0
	global_load_b32 v1, v0, s[8:9] offset:116
	s_wait_loadcnt 0x0
	v_cmp_eq_u32_e32 vcc_lo, 30, v1
	s_cbranch_vccnz .LBB124_454
; %bb.453:
	v_lshlrev_b32_e32 v1, 4, v1
	s_delay_alu instid0(VALU_DEP_1)
	v_add_nc_u32_e32 v9, 16, v1
	s_clause 0x1
	scratch_load_b128 v[1:4], v9, off offset:-16
	scratch_load_b128 v[5:8], off, s47
	s_wait_loadcnt 0x1
	scratch_store_b128 off, v[1:4], s47
	s_wait_loadcnt 0x0
	scratch_store_b128 v9, v[5:8], off offset:-16
.LBB124_454:
	global_load_b32 v0, v0, s[8:9] offset:112
	s_wait_loadcnt 0x0
	v_cmp_eq_u32_e32 vcc_lo, 29, v0
	s_cbranch_vccnz .LBB124_456
; %bb.455:
	v_lshlrev_b32_e32 v0, 4, v0
	s_delay_alu instid0(VALU_DEP_1)
	v_add_nc_u32_e32 v8, 16, v0
	s_clause 0x1
	scratch_load_b128 v[0:3], v8, off offset:-16
	scratch_load_b128 v[4:7], off, s48
	s_wait_loadcnt 0x1
	scratch_store_b128 off, v[0:3], s48
	s_wait_loadcnt 0x0
	scratch_store_b128 v8, v[4:7], off offset:-16
.LBB124_456:
	v_mov_b32_e32 v0, 0
	global_load_b32 v1, v0, s[8:9] offset:108
	s_wait_loadcnt 0x0
	v_cmp_eq_u32_e32 vcc_lo, 28, v1
	s_cbranch_vccnz .LBB124_458
; %bb.457:
	v_lshlrev_b32_e32 v1, 4, v1
	s_delay_alu instid0(VALU_DEP_1)
	v_add_nc_u32_e32 v9, 16, v1
	s_clause 0x1
	scratch_load_b128 v[1:4], v9, off offset:-16
	scratch_load_b128 v[5:8], off, s49
	s_wait_loadcnt 0x1
	scratch_store_b128 off, v[1:4], s49
	s_wait_loadcnt 0x0
	scratch_store_b128 v9, v[5:8], off offset:-16
.LBB124_458:
	global_load_b32 v0, v0, s[8:9] offset:104
	s_wait_loadcnt 0x0
	v_cmp_eq_u32_e32 vcc_lo, 27, v0
	s_cbranch_vccnz .LBB124_460
; %bb.459:
	v_lshlrev_b32_e32 v0, 4, v0
	s_delay_alu instid0(VALU_DEP_1)
	v_add_nc_u32_e32 v8, 16, v0
	s_clause 0x1
	scratch_load_b128 v[0:3], v8, off offset:-16
	scratch_load_b128 v[4:7], off, s50
	s_wait_loadcnt 0x1
	scratch_store_b128 off, v[0:3], s50
	s_wait_loadcnt 0x0
	scratch_store_b128 v8, v[4:7], off offset:-16
.LBB124_460:
	v_mov_b32_e32 v0, 0
	global_load_b32 v1, v0, s[8:9] offset:100
	s_wait_loadcnt 0x0
	v_cmp_eq_u32_e32 vcc_lo, 26, v1
	s_cbranch_vccnz .LBB124_462
; %bb.461:
	v_lshlrev_b32_e32 v1, 4, v1
	s_delay_alu instid0(VALU_DEP_1)
	v_add_nc_u32_e32 v9, 16, v1
	s_clause 0x1
	scratch_load_b128 v[1:4], v9, off offset:-16
	scratch_load_b128 v[5:8], off, s51
	s_wait_loadcnt 0x1
	scratch_store_b128 off, v[1:4], s51
	s_wait_loadcnt 0x0
	scratch_store_b128 v9, v[5:8], off offset:-16
.LBB124_462:
	global_load_b32 v0, v0, s[8:9] offset:96
	s_wait_loadcnt 0x0
	v_cmp_eq_u32_e32 vcc_lo, 25, v0
	s_cbranch_vccnz .LBB124_464
; %bb.463:
	v_lshlrev_b32_e32 v0, 4, v0
	s_delay_alu instid0(VALU_DEP_1)
	v_add_nc_u32_e32 v8, 16, v0
	s_clause 0x1
	scratch_load_b128 v[0:3], v8, off offset:-16
	scratch_load_b128 v[4:7], off, s52
	s_wait_loadcnt 0x1
	scratch_store_b128 off, v[0:3], s52
	s_wait_loadcnt 0x0
	scratch_store_b128 v8, v[4:7], off offset:-16
.LBB124_464:
	v_mov_b32_e32 v0, 0
	global_load_b32 v1, v0, s[8:9] offset:92
	s_wait_loadcnt 0x0
	v_cmp_eq_u32_e32 vcc_lo, 24, v1
	s_cbranch_vccnz .LBB124_466
; %bb.465:
	v_lshlrev_b32_e32 v1, 4, v1
	s_delay_alu instid0(VALU_DEP_1)
	v_add_nc_u32_e32 v9, 16, v1
	s_clause 0x1
	scratch_load_b128 v[1:4], v9, off offset:-16
	scratch_load_b128 v[5:8], off, s53
	s_wait_loadcnt 0x1
	scratch_store_b128 off, v[1:4], s53
	s_wait_loadcnt 0x0
	scratch_store_b128 v9, v[5:8], off offset:-16
.LBB124_466:
	global_load_b32 v0, v0, s[8:9] offset:88
	s_wait_loadcnt 0x0
	v_cmp_eq_u32_e32 vcc_lo, 23, v0
	s_cbranch_vccnz .LBB124_468
; %bb.467:
	v_lshlrev_b32_e32 v0, 4, v0
	s_delay_alu instid0(VALU_DEP_1)
	v_add_nc_u32_e32 v8, 16, v0
	s_clause 0x1
	scratch_load_b128 v[0:3], v8, off offset:-16
	scratch_load_b128 v[4:7], off, s54
	s_wait_loadcnt 0x1
	scratch_store_b128 off, v[0:3], s54
	s_wait_loadcnt 0x0
	scratch_store_b128 v8, v[4:7], off offset:-16
.LBB124_468:
	v_mov_b32_e32 v0, 0
	global_load_b32 v1, v0, s[8:9] offset:84
	s_wait_loadcnt 0x0
	v_cmp_eq_u32_e32 vcc_lo, 22, v1
	s_cbranch_vccnz .LBB124_470
; %bb.469:
	v_lshlrev_b32_e32 v1, 4, v1
	s_delay_alu instid0(VALU_DEP_1)
	v_add_nc_u32_e32 v9, 16, v1
	s_clause 0x1
	scratch_load_b128 v[1:4], v9, off offset:-16
	scratch_load_b128 v[5:8], off, s55
	s_wait_loadcnt 0x1
	scratch_store_b128 off, v[1:4], s55
	s_wait_loadcnt 0x0
	scratch_store_b128 v9, v[5:8], off offset:-16
.LBB124_470:
	global_load_b32 v0, v0, s[8:9] offset:80
	s_wait_loadcnt 0x0
	v_cmp_eq_u32_e32 vcc_lo, 21, v0
	s_cbranch_vccnz .LBB124_472
; %bb.471:
	v_lshlrev_b32_e32 v0, 4, v0
	s_delay_alu instid0(VALU_DEP_1)
	v_add_nc_u32_e32 v8, 16, v0
	s_clause 0x1
	scratch_load_b128 v[0:3], v8, off offset:-16
	scratch_load_b128 v[4:7], off, s56
	s_wait_loadcnt 0x1
	scratch_store_b128 off, v[0:3], s56
	s_wait_loadcnt 0x0
	scratch_store_b128 v8, v[4:7], off offset:-16
.LBB124_472:
	v_mov_b32_e32 v0, 0
	global_load_b32 v1, v0, s[8:9] offset:76
	s_wait_loadcnt 0x0
	v_cmp_eq_u32_e32 vcc_lo, 20, v1
	s_cbranch_vccnz .LBB124_474
; %bb.473:
	v_lshlrev_b32_e32 v1, 4, v1
	s_delay_alu instid0(VALU_DEP_1)
	v_add_nc_u32_e32 v9, 16, v1
	s_clause 0x1
	scratch_load_b128 v[1:4], v9, off offset:-16
	scratch_load_b128 v[5:8], off, s57
	s_wait_loadcnt 0x1
	scratch_store_b128 off, v[1:4], s57
	s_wait_loadcnt 0x0
	scratch_store_b128 v9, v[5:8], off offset:-16
.LBB124_474:
	global_load_b32 v0, v0, s[8:9] offset:72
	s_wait_loadcnt 0x0
	v_cmp_eq_u32_e32 vcc_lo, 19, v0
	s_cbranch_vccnz .LBB124_476
; %bb.475:
	v_lshlrev_b32_e32 v0, 4, v0
	s_delay_alu instid0(VALU_DEP_1)
	v_add_nc_u32_e32 v8, 16, v0
	s_clause 0x1
	scratch_load_b128 v[0:3], v8, off offset:-16
	scratch_load_b128 v[4:7], off, s58
	s_wait_loadcnt 0x1
	scratch_store_b128 off, v[0:3], s58
	s_wait_loadcnt 0x0
	scratch_store_b128 v8, v[4:7], off offset:-16
.LBB124_476:
	v_mov_b32_e32 v0, 0
	global_load_b32 v1, v0, s[8:9] offset:68
	s_wait_loadcnt 0x0
	v_cmp_eq_u32_e32 vcc_lo, 18, v1
	s_cbranch_vccnz .LBB124_478
; %bb.477:
	v_lshlrev_b32_e32 v1, 4, v1
	s_delay_alu instid0(VALU_DEP_1)
	v_add_nc_u32_e32 v9, 16, v1
	s_clause 0x1
	scratch_load_b128 v[1:4], v9, off offset:-16
	scratch_load_b128 v[5:8], off, s59
	s_wait_loadcnt 0x1
	scratch_store_b128 off, v[1:4], s59
	s_wait_loadcnt 0x0
	scratch_store_b128 v9, v[5:8], off offset:-16
.LBB124_478:
	global_load_b32 v0, v0, s[8:9] offset:64
	s_wait_loadcnt 0x0
	v_cmp_eq_u32_e32 vcc_lo, 17, v0
	s_cbranch_vccnz .LBB124_480
; %bb.479:
	v_lshlrev_b32_e32 v0, 4, v0
	s_delay_alu instid0(VALU_DEP_1)
	v_add_nc_u32_e32 v8, 16, v0
	s_clause 0x1
	scratch_load_b128 v[0:3], v8, off offset:-16
	scratch_load_b128 v[4:7], off, s60
	s_wait_loadcnt 0x1
	scratch_store_b128 off, v[0:3], s60
	s_wait_loadcnt 0x0
	scratch_store_b128 v8, v[4:7], off offset:-16
.LBB124_480:
	v_mov_b32_e32 v0, 0
	global_load_b32 v1, v0, s[8:9] offset:60
	s_wait_loadcnt 0x0
	v_cmp_eq_u32_e32 vcc_lo, 16, v1
	s_cbranch_vccnz .LBB124_482
; %bb.481:
	v_lshlrev_b32_e32 v1, 4, v1
	s_delay_alu instid0(VALU_DEP_1)
	v_add_nc_u32_e32 v9, 16, v1
	s_clause 0x1
	scratch_load_b128 v[1:4], v9, off offset:-16
	scratch_load_b128 v[5:8], off, s61
	s_wait_loadcnt 0x1
	scratch_store_b128 off, v[1:4], s61
	s_wait_loadcnt 0x0
	scratch_store_b128 v9, v[5:8], off offset:-16
.LBB124_482:
	global_load_b32 v0, v0, s[8:9] offset:56
	s_wait_loadcnt 0x0
	v_cmp_eq_u32_e32 vcc_lo, 15, v0
	s_cbranch_vccnz .LBB124_484
; %bb.483:
	v_lshlrev_b32_e32 v0, 4, v0
	s_delay_alu instid0(VALU_DEP_1)
	v_add_nc_u32_e32 v8, 16, v0
	s_clause 0x1
	scratch_load_b128 v[0:3], v8, off offset:-16
	scratch_load_b128 v[4:7], off, s62
	s_wait_loadcnt 0x1
	scratch_store_b128 off, v[0:3], s62
	s_wait_loadcnt 0x0
	scratch_store_b128 v8, v[4:7], off offset:-16
.LBB124_484:
	v_mov_b32_e32 v0, 0
	global_load_b32 v1, v0, s[8:9] offset:52
	s_wait_loadcnt 0x0
	v_cmp_eq_u32_e32 vcc_lo, 14, v1
	s_cbranch_vccnz .LBB124_486
; %bb.485:
	v_lshlrev_b32_e32 v1, 4, v1
	s_delay_alu instid0(VALU_DEP_1)
	v_add_nc_u32_e32 v9, 16, v1
	s_clause 0x1
	scratch_load_b128 v[1:4], v9, off offset:-16
	scratch_load_b128 v[5:8], off, s63
	s_wait_loadcnt 0x1
	scratch_store_b128 off, v[1:4], s63
	s_wait_loadcnt 0x0
	scratch_store_b128 v9, v[5:8], off offset:-16
.LBB124_486:
	global_load_b32 v0, v0, s[8:9] offset:48
	s_wait_loadcnt 0x0
	v_cmp_eq_u32_e32 vcc_lo, 13, v0
	s_cbranch_vccnz .LBB124_488
; %bb.487:
	v_lshlrev_b32_e32 v0, 4, v0
	s_delay_alu instid0(VALU_DEP_1)
	v_add_nc_u32_e32 v8, 16, v0
	s_clause 0x1
	scratch_load_b128 v[0:3], v8, off offset:-16
	scratch_load_b128 v[4:7], off, s64
	s_wait_loadcnt 0x1
	scratch_store_b128 off, v[0:3], s64
	s_wait_loadcnt 0x0
	scratch_store_b128 v8, v[4:7], off offset:-16
.LBB124_488:
	v_mov_b32_e32 v0, 0
	global_load_b32 v1, v0, s[8:9] offset:44
	s_wait_loadcnt 0x0
	v_cmp_eq_u32_e32 vcc_lo, 12, v1
	s_cbranch_vccnz .LBB124_490
; %bb.489:
	v_lshlrev_b32_e32 v1, 4, v1
	s_delay_alu instid0(VALU_DEP_1)
	v_add_nc_u32_e32 v9, 16, v1
	s_clause 0x1
	scratch_load_b128 v[1:4], v9, off offset:-16
	scratch_load_b128 v[5:8], off, s65
	s_wait_loadcnt 0x1
	scratch_store_b128 off, v[1:4], s65
	s_wait_loadcnt 0x0
	scratch_store_b128 v9, v[5:8], off offset:-16
.LBB124_490:
	global_load_b32 v0, v0, s[8:9] offset:40
	s_wait_loadcnt 0x0
	v_cmp_eq_u32_e32 vcc_lo, 11, v0
	s_cbranch_vccnz .LBB124_492
; %bb.491:
	v_lshlrev_b32_e32 v0, 4, v0
	s_delay_alu instid0(VALU_DEP_1)
	v_add_nc_u32_e32 v8, 16, v0
	s_clause 0x1
	scratch_load_b128 v[0:3], v8, off offset:-16
	scratch_load_b128 v[4:7], off, s66
	s_wait_loadcnt 0x1
	scratch_store_b128 off, v[0:3], s66
	s_wait_loadcnt 0x0
	scratch_store_b128 v8, v[4:7], off offset:-16
.LBB124_492:
	v_mov_b32_e32 v0, 0
	global_load_b32 v1, v0, s[8:9] offset:36
	s_wait_loadcnt 0x0
	v_cmp_eq_u32_e32 vcc_lo, 10, v1
	s_cbranch_vccnz .LBB124_494
; %bb.493:
	v_lshlrev_b32_e32 v1, 4, v1
	s_delay_alu instid0(VALU_DEP_1)
	v_add_nc_u32_e32 v9, 16, v1
	s_clause 0x1
	scratch_load_b128 v[1:4], v9, off offset:-16
	scratch_load_b128 v[5:8], off, s67
	s_wait_loadcnt 0x1
	scratch_store_b128 off, v[1:4], s67
	s_wait_loadcnt 0x0
	scratch_store_b128 v9, v[5:8], off offset:-16
.LBB124_494:
	global_load_b32 v0, v0, s[8:9] offset:32
	s_wait_loadcnt 0x0
	v_cmp_eq_u32_e32 vcc_lo, 9, v0
	s_cbranch_vccnz .LBB124_496
; %bb.495:
	v_lshlrev_b32_e32 v0, 4, v0
	s_delay_alu instid0(VALU_DEP_1)
	v_add_nc_u32_e32 v8, 16, v0
	s_clause 0x1
	scratch_load_b128 v[0:3], v8, off offset:-16
	scratch_load_b128 v[4:7], off, s68
	s_wait_loadcnt 0x1
	scratch_store_b128 off, v[0:3], s68
	s_wait_loadcnt 0x0
	scratch_store_b128 v8, v[4:7], off offset:-16
.LBB124_496:
	v_mov_b32_e32 v0, 0
	global_load_b32 v1, v0, s[8:9] offset:28
	s_wait_loadcnt 0x0
	v_cmp_eq_u32_e32 vcc_lo, 8, v1
	s_cbranch_vccnz .LBB124_498
; %bb.497:
	v_lshlrev_b32_e32 v1, 4, v1
	s_delay_alu instid0(VALU_DEP_1)
	v_add_nc_u32_e32 v9, 16, v1
	s_clause 0x1
	scratch_load_b128 v[1:4], v9, off offset:-16
	scratch_load_b128 v[5:8], off, s69
	s_wait_loadcnt 0x1
	scratch_store_b128 off, v[1:4], s69
	s_wait_loadcnt 0x0
	scratch_store_b128 v9, v[5:8], off offset:-16
.LBB124_498:
	global_load_b32 v0, v0, s[8:9] offset:24
	s_wait_loadcnt 0x0
	v_cmp_eq_u32_e32 vcc_lo, 7, v0
	s_cbranch_vccnz .LBB124_500
; %bb.499:
	v_lshlrev_b32_e32 v0, 4, v0
	s_delay_alu instid0(VALU_DEP_1)
	v_add_nc_u32_e32 v8, 16, v0
	s_clause 0x1
	scratch_load_b128 v[0:3], v8, off offset:-16
	scratch_load_b128 v[4:7], off, s70
	s_wait_loadcnt 0x1
	scratch_store_b128 off, v[0:3], s70
	s_wait_loadcnt 0x0
	scratch_store_b128 v8, v[4:7], off offset:-16
.LBB124_500:
	v_mov_b32_e32 v0, 0
	global_load_b32 v1, v0, s[8:9] offset:20
	s_wait_loadcnt 0x0
	v_cmp_eq_u32_e32 vcc_lo, 6, v1
	s_cbranch_vccnz .LBB124_502
; %bb.501:
	v_lshlrev_b32_e32 v1, 4, v1
	s_delay_alu instid0(VALU_DEP_1)
	v_add_nc_u32_e32 v9, 16, v1
	s_clause 0x1
	scratch_load_b128 v[1:4], v9, off offset:-16
	scratch_load_b128 v[5:8], off, s71
	s_wait_loadcnt 0x1
	scratch_store_b128 off, v[1:4], s71
	s_wait_loadcnt 0x0
	scratch_store_b128 v9, v[5:8], off offset:-16
.LBB124_502:
	global_load_b32 v0, v0, s[8:9] offset:16
	s_wait_loadcnt 0x0
	v_cmp_eq_u32_e32 vcc_lo, 5, v0
	s_cbranch_vccnz .LBB124_504
; %bb.503:
	v_lshlrev_b32_e32 v0, 4, v0
	s_delay_alu instid0(VALU_DEP_1)
	v_add_nc_u32_e32 v8, 16, v0
	s_clause 0x1
	scratch_load_b128 v[0:3], v8, off offset:-16
	scratch_load_b128 v[4:7], off, s4
	s_wait_loadcnt 0x1
	scratch_store_b128 off, v[0:3], s4
	s_wait_loadcnt 0x0
	scratch_store_b128 v8, v[4:7], off offset:-16
.LBB124_504:
	v_mov_b32_e32 v0, 0
	global_load_b32 v1, v0, s[8:9] offset:12
	s_wait_loadcnt 0x0
	v_cmp_eq_u32_e32 vcc_lo, 4, v1
	s_cbranch_vccnz .LBB124_506
; %bb.505:
	v_lshlrev_b32_e32 v1, 4, v1
	s_delay_alu instid0(VALU_DEP_1)
	v_add_nc_u32_e32 v9, 16, v1
	s_clause 0x1
	scratch_load_b128 v[1:4], v9, off offset:-16
	scratch_load_b128 v[5:8], off, s12
	s_wait_loadcnt 0x1
	scratch_store_b128 off, v[1:4], s12
	s_wait_loadcnt 0x0
	scratch_store_b128 v9, v[5:8], off offset:-16
.LBB124_506:
	global_load_b32 v0, v0, s[8:9] offset:8
	s_wait_loadcnt 0x0
	v_cmp_eq_u32_e32 vcc_lo, 3, v0
	s_cbranch_vccnz .LBB124_508
; %bb.507:
	v_lshlrev_b32_e32 v0, 4, v0
	s_delay_alu instid0(VALU_DEP_1)
	v_add_nc_u32_e32 v8, 16, v0
	s_clause 0x1
	scratch_load_b128 v[0:3], v8, off offset:-16
	scratch_load_b128 v[4:7], off, s15
	s_wait_loadcnt 0x1
	scratch_store_b128 off, v[0:3], s15
	s_wait_loadcnt 0x0
	scratch_store_b128 v8, v[4:7], off offset:-16
.LBB124_508:
	v_mov_b32_e32 v0, 0
	global_load_b32 v1, v0, s[8:9] offset:4
	s_wait_loadcnt 0x0
	v_cmp_eq_u32_e32 vcc_lo, 2, v1
	s_cbranch_vccnz .LBB124_510
; %bb.509:
	v_lshlrev_b32_e32 v1, 4, v1
	s_delay_alu instid0(VALU_DEP_1)
	v_add_nc_u32_e32 v9, 16, v1
	s_clause 0x1
	scratch_load_b128 v[1:4], v9, off offset:-16
	scratch_load_b128 v[5:8], off, s17
	s_wait_loadcnt 0x1
	scratch_store_b128 off, v[1:4], s17
	s_wait_loadcnt 0x0
	scratch_store_b128 v9, v[5:8], off offset:-16
.LBB124_510:
	global_load_b32 v0, v0, s[8:9]
	s_wait_loadcnt 0x0
	v_cmp_eq_u32_e32 vcc_lo, 1, v0
	s_cbranch_vccnz .LBB124_512
; %bb.511:
	v_lshlrev_b32_e32 v0, 4, v0
	s_delay_alu instid0(VALU_DEP_1)
	v_add_nc_u32_e32 v8, 16, v0
	scratch_load_b128 v[0:3], v8, off offset:-16
	scratch_load_b128 v[4:7], off, off offset:16
	s_wait_loadcnt 0x1
	scratch_store_b128 off, v[0:3], off offset:16
	s_wait_loadcnt 0x0
	scratch_store_b128 v8, v[4:7], off offset:-16
.LBB124_512:
	scratch_load_b128 v[0:3], off, off offset:16
	s_wait_loadcnt 0x0
	flat_store_b128 v[42:43], v[0:3]
	scratch_load_b128 v[0:3], off, s17
	s_wait_loadcnt 0x0
	flat_store_b128 v[44:45], v[0:3]
	scratch_load_b128 v[0:3], off, s15
	;; [unrolled: 3-line block ×60, first 2 shown]
	s_wait_loadcnt 0x0
	flat_store_b128 v[162:163], v[0:3]
	s_nop 0
	s_sendmsg sendmsg(MSG_DEALLOC_VGPRS)
	s_endpgm
	.section	.rodata,"a",@progbits
	.p2align	6, 0x0
	.amdhsa_kernel _ZN9rocsolver6v33100L18getri_kernel_smallILi61E19rocblas_complex_numIdEPKPS3_EEvT1_iilPiilS8_bb
		.amdhsa_group_segment_fixed_size 1960
		.amdhsa_private_segment_fixed_size 1008
		.amdhsa_kernarg_size 60
		.amdhsa_user_sgpr_count 2
		.amdhsa_user_sgpr_dispatch_ptr 0
		.amdhsa_user_sgpr_queue_ptr 0
		.amdhsa_user_sgpr_kernarg_segment_ptr 1
		.amdhsa_user_sgpr_dispatch_id 0
		.amdhsa_user_sgpr_private_segment_size 0
		.amdhsa_wavefront_size32 1
		.amdhsa_uses_dynamic_stack 0
		.amdhsa_enable_private_segment 1
		.amdhsa_system_sgpr_workgroup_id_x 1
		.amdhsa_system_sgpr_workgroup_id_y 0
		.amdhsa_system_sgpr_workgroup_id_z 0
		.amdhsa_system_sgpr_workgroup_info 0
		.amdhsa_system_vgpr_workitem_id 0
		.amdhsa_next_free_vgpr 191
		.amdhsa_next_free_sgpr 99
		.amdhsa_reserve_vcc 1
		.amdhsa_float_round_mode_32 0
		.amdhsa_float_round_mode_16_64 0
		.amdhsa_float_denorm_mode_32 3
		.amdhsa_float_denorm_mode_16_64 3
		.amdhsa_fp16_overflow 0
		.amdhsa_workgroup_processor_mode 1
		.amdhsa_memory_ordered 1
		.amdhsa_forward_progress 1
		.amdhsa_inst_pref_size 255
		.amdhsa_round_robin_scheduling 0
		.amdhsa_exception_fp_ieee_invalid_op 0
		.amdhsa_exception_fp_denorm_src 0
		.amdhsa_exception_fp_ieee_div_zero 0
		.amdhsa_exception_fp_ieee_overflow 0
		.amdhsa_exception_fp_ieee_underflow 0
		.amdhsa_exception_fp_ieee_inexact 0
		.amdhsa_exception_int_div_zero 0
	.end_amdhsa_kernel
	.section	.text._ZN9rocsolver6v33100L18getri_kernel_smallILi61E19rocblas_complex_numIdEPKPS3_EEvT1_iilPiilS8_bb,"axG",@progbits,_ZN9rocsolver6v33100L18getri_kernel_smallILi61E19rocblas_complex_numIdEPKPS3_EEvT1_iilPiilS8_bb,comdat
.Lfunc_end124:
	.size	_ZN9rocsolver6v33100L18getri_kernel_smallILi61E19rocblas_complex_numIdEPKPS3_EEvT1_iilPiilS8_bb, .Lfunc_end124-_ZN9rocsolver6v33100L18getri_kernel_smallILi61E19rocblas_complex_numIdEPKPS3_EEvT1_iilPiilS8_bb
                                        ; -- End function
	.set _ZN9rocsolver6v33100L18getri_kernel_smallILi61E19rocblas_complex_numIdEPKPS3_EEvT1_iilPiilS8_bb.num_vgpr, 191
	.set _ZN9rocsolver6v33100L18getri_kernel_smallILi61E19rocblas_complex_numIdEPKPS3_EEvT1_iilPiilS8_bb.num_agpr, 0
	.set _ZN9rocsolver6v33100L18getri_kernel_smallILi61E19rocblas_complex_numIdEPKPS3_EEvT1_iilPiilS8_bb.numbered_sgpr, 99
	.set _ZN9rocsolver6v33100L18getri_kernel_smallILi61E19rocblas_complex_numIdEPKPS3_EEvT1_iilPiilS8_bb.num_named_barrier, 0
	.set _ZN9rocsolver6v33100L18getri_kernel_smallILi61E19rocblas_complex_numIdEPKPS3_EEvT1_iilPiilS8_bb.private_seg_size, 1008
	.set _ZN9rocsolver6v33100L18getri_kernel_smallILi61E19rocblas_complex_numIdEPKPS3_EEvT1_iilPiilS8_bb.uses_vcc, 1
	.set _ZN9rocsolver6v33100L18getri_kernel_smallILi61E19rocblas_complex_numIdEPKPS3_EEvT1_iilPiilS8_bb.uses_flat_scratch, 1
	.set _ZN9rocsolver6v33100L18getri_kernel_smallILi61E19rocblas_complex_numIdEPKPS3_EEvT1_iilPiilS8_bb.has_dyn_sized_stack, 0
	.set _ZN9rocsolver6v33100L18getri_kernel_smallILi61E19rocblas_complex_numIdEPKPS3_EEvT1_iilPiilS8_bb.has_recursion, 0
	.set _ZN9rocsolver6v33100L18getri_kernel_smallILi61E19rocblas_complex_numIdEPKPS3_EEvT1_iilPiilS8_bb.has_indirect_call, 0
	.section	.AMDGPU.csdata,"",@progbits
; Kernel info:
; codeLenInByte = 144080
; TotalNumSgprs: 101
; NumVgprs: 191
; ScratchSize: 1008
; MemoryBound: 0
; FloatMode: 240
; IeeeMode: 1
; LDSByteSize: 1960 bytes/workgroup (compile time only)
; SGPRBlocks: 0
; VGPRBlocks: 23
; NumSGPRsForWavesPerEU: 101
; NumVGPRsForWavesPerEU: 191
; Occupancy: 8
; WaveLimiterHint : 1
; COMPUTE_PGM_RSRC2:SCRATCH_EN: 1
; COMPUTE_PGM_RSRC2:USER_SGPR: 2
; COMPUTE_PGM_RSRC2:TRAP_HANDLER: 0
; COMPUTE_PGM_RSRC2:TGID_X_EN: 1
; COMPUTE_PGM_RSRC2:TGID_Y_EN: 0
; COMPUTE_PGM_RSRC2:TGID_Z_EN: 0
; COMPUTE_PGM_RSRC2:TIDIG_COMP_CNT: 0
	.section	.text._ZN9rocsolver6v33100L18getri_kernel_smallILi62E19rocblas_complex_numIdEPKPS3_EEvT1_iilPiilS8_bb,"axG",@progbits,_ZN9rocsolver6v33100L18getri_kernel_smallILi62E19rocblas_complex_numIdEPKPS3_EEvT1_iilPiilS8_bb,comdat
	.globl	_ZN9rocsolver6v33100L18getri_kernel_smallILi62E19rocblas_complex_numIdEPKPS3_EEvT1_iilPiilS8_bb ; -- Begin function _ZN9rocsolver6v33100L18getri_kernel_smallILi62E19rocblas_complex_numIdEPKPS3_EEvT1_iilPiilS8_bb
	.p2align	8
	.type	_ZN9rocsolver6v33100L18getri_kernel_smallILi62E19rocblas_complex_numIdEPKPS3_EEvT1_iilPiilS8_bb,@function
_ZN9rocsolver6v33100L18getri_kernel_smallILi62E19rocblas_complex_numIdEPKPS3_EEvT1_iilPiilS8_bb: ; @_ZN9rocsolver6v33100L18getri_kernel_smallILi62E19rocblas_complex_numIdEPKPS3_EEvT1_iilPiilS8_bb
; %bb.0:
	s_mov_b32 s2, exec_lo
	v_cmpx_gt_u32_e32 62, v0
	s_cbranch_execz .LBB125_274
; %bb.1:
	s_clause 0x1
	s_load_b32 s15, s[0:1], 0x38
	s_load_b64 s[2:3], s[0:1], 0x0
	s_mov_b32 s10, ttmp9
	s_load_b128 s[4:7], s[0:1], 0x28
	s_wait_kmcnt 0x0
	s_bitcmp1_b32 s15, 8
	s_cselect_b32 s14, -1, 0
	s_ashr_i32 s11, ttmp9, 31
	s_delay_alu instid0(SALU_CYCLE_1) | instskip(NEXT) | instid1(SALU_CYCLE_1)
	s_lshl_b64 s[8:9], s[10:11], 3
	s_add_nc_u64 s[2:3], s[2:3], s[8:9]
                                        ; implicit-def: $sgpr8_sgpr9
	s_load_b64 s[12:13], s[2:3], 0x0
	s_bfe_u32 s2, s15, 0x10008
	s_delay_alu instid0(SALU_CYCLE_1)
	s_cmp_eq_u32 s2, 0
	s_cbranch_scc1 .LBB125_3
; %bb.2:
	s_load_b96 s[16:18], s[0:1], 0x18
	s_mul_u64 s[2:3], s[4:5], s[10:11]
	s_delay_alu instid0(SALU_CYCLE_1)
	s_lshl_b64 s[2:3], s[2:3], 2
	s_wait_kmcnt 0x0
	s_ashr_i32 s5, s18, 31
	s_mov_b32 s4, s18
	s_add_nc_u64 s[2:3], s[16:17], s[2:3]
	s_lshl_b64 s[4:5], s[4:5], 2
	s_delay_alu instid0(SALU_CYCLE_1)
	s_add_nc_u64 s[8:9], s[2:3], s[4:5]
.LBB125_3:
	s_clause 0x1
	s_load_b64 s[2:3], s[0:1], 0x8
	s_load_b32 s73, s[0:1], 0x38
	v_lshlrev_b32_e32 v13, 4, v0
	s_movk_i32 s16, 0xb0
	s_movk_i32 s18, 0xc0
	;; [unrolled: 1-line block ×17, first 2 shown]
	s_wait_kmcnt 0x0
	s_ashr_i32 s1, s2, 31
	s_mov_b32 s0, s2
	s_ashr_i32 s5, s3, 31
	s_lshl_b64 s[0:1], s[0:1], 4
	s_mov_b32 s4, s3
	s_add_nc_u64 s[0:1], s[12:13], s[0:1]
	s_lshl_b64 s[4:5], s[4:5], 4
	v_add_co_u32 v42, s2, s0, v13
	s_delay_alu instid0(VALU_DEP_1) | instskip(SKIP_1) | instid1(VALU_DEP_3)
	v_add_co_ci_u32_e64 v43, null, s1, 0, s2
	v_add3_u32 v5, s3, s3, v0
	v_add_co_u32 v44, vcc_lo, v42, s4
	flat_load_b128 v[1:4], v[42:43]
	v_add_co_ci_u32_e64 v45, null, s5, v43, vcc_lo
	v_ashrrev_i32_e32 v6, 31, v5
	s_movk_i32 s2, 0x70
	s_movk_i32 s5, 0x90
	s_movk_i32 s13, 0xa0
	s_movk_i32 s35, 0x1c0
	v_lshlrev_b64_e32 v[6:7], 4, v[5:6]
	v_add_nc_u32_e32 v5, s3, v5
	s_movk_i32 s36, 0x1d0
	s_movk_i32 s37, 0x1e0
	s_movk_i32 s38, 0x1f0
	s_movk_i32 s39, 0x200
	v_add_co_u32 v46, vcc_lo, s0, v6
	s_wait_alu 0xfffd
	v_add_co_ci_u32_e64 v47, null, s1, v7, vcc_lo
	v_ashrrev_i32_e32 v6, 31, v5
	s_movk_i32 s40, 0x210
	s_movk_i32 s41, 0x220
	s_movk_i32 s42, 0x230
	s_movk_i32 s74, 0x240
	v_lshlrev_b64_e32 v[6:7], 4, v[5:6]
	v_add_nc_u32_e32 v5, s3, v5
	s_movk_i32 s75, 0x250
	s_movk_i32 s76, 0x260
	s_movk_i32 s77, 0x270
	s_movk_i32 s78, 0x280
	v_add_co_u32 v48, vcc_lo, s0, v6
	s_wait_alu 0xfffd
	;; [unrolled: 14-line block ×4, first 2 shown]
	v_add_co_ci_u32_e64 v53, null, s1, v7, vcc_lo
	v_ashrrev_i32_e32 v6, 31, v5
	s_movk_i32 s95, 0x390
	s_movk_i32 s96, 0x3a0
	;; [unrolled: 1-line block ×4, first 2 shown]
	v_lshlrev_b64_e32 v[6:7], 4, v[5:6]
	v_add_nc_u32_e32 v5, s3, v5
	s_movk_i32 s99, 0x3d0
	s_wait_alu 0xfffe
	s_add_co_i32 s70, s2, 16
	s_add_co_i32 s68, s5, 16
	s_add_co_i32 s67, s13, 16
	v_add_co_u32 v54, vcc_lo, s0, v6
	s_wait_alu 0xfffd
	v_add_co_ci_u32_e64 v55, null, s1, v7, vcc_lo
	v_ashrrev_i32_e32 v6, 31, v5
	s_add_co_i32 s66, s16, 16
	s_add_co_i32 s65, s18, 16
	s_add_co_i32 s64, s19, 16
	s_add_co_i32 s63, s20, 16
	v_lshlrev_b64_e32 v[6:7], 4, v[5:6]
	v_add_nc_u32_e32 v5, s3, v5
	s_add_co_i32 s62, s21, 16
	s_add_co_i32 s61, s22, 16
	s_add_co_i32 s60, s23, 16
	s_add_co_i32 s59, s24, 16
	v_add_co_u32 v56, vcc_lo, s0, v6
	s_wait_alu 0xfffd
	v_add_co_ci_u32_e64 v57, null, s1, v7, vcc_lo
	v_ashrrev_i32_e32 v6, 31, v5
	s_add_co_i32 s58, s25, 16
	s_add_co_i32 s57, s26, 16
	s_add_co_i32 s56, s27, 16
	s_add_co_i32 s55, s28, 16
	v_lshlrev_b64_e32 v[6:7], 4, v[5:6]
	v_add_nc_u32_e32 v5, s3, v5
	s_add_co_i32 s54, s29, 16
	;; [unrolled: 14-line block ×6, first 2 shown]
	s_add_co_i32 s20, s94, 16
	s_add_co_i32 s19, s95, 16
	;; [unrolled: 1-line block ×3, first 2 shown]
	v_add_co_u32 v66, vcc_lo, s0, v6
	s_wait_alu 0xfffd
	v_add_co_ci_u32_e64 v67, null, s1, v7, vcc_lo
	v_ashrrev_i32_e32 v6, 31, v5
	s_add_co_i32 s16, s97, 16
	s_add_co_i32 s13, s98, 16
	;; [unrolled: 1-line block ×3, first 2 shown]
	s_mov_b32 s17, 32
	v_lshlrev_b64_e32 v[6:7], 4, v[5:6]
	v_add_nc_u32_e32 v5, s3, v5
	s_mov_b32 s15, 48
	s_mov_b32 s12, 64
	s_movk_i32 s4, 0x50
	s_delay_alu instid0(VALU_DEP_2) | instskip(SKIP_3) | instid1(VALU_DEP_1)
	v_add_co_u32 v68, vcc_lo, s0, v6
	s_wait_alu 0xfffd
	v_add_co_ci_u32_e64 v69, null, s1, v7, vcc_lo
	v_ashrrev_i32_e32 v6, 31, v5
	v_lshlrev_b64_e32 v[6:7], 4, v[5:6]
	v_add_nc_u32_e32 v5, s3, v5
	s_delay_alu instid0(VALU_DEP_2) | instskip(SKIP_1) | instid1(VALU_DEP_3)
	v_add_co_u32 v70, vcc_lo, s0, v6
	s_wait_alu 0xfffd
	v_add_co_ci_u32_e64 v71, null, s1, v7, vcc_lo
	s_delay_alu instid0(VALU_DEP_3) | instskip(NEXT) | instid1(VALU_DEP_1)
	v_ashrrev_i32_e32 v6, 31, v5
	v_lshlrev_b64_e32 v[6:7], 4, v[5:6]
	v_add_nc_u32_e32 v5, s3, v5
	s_delay_alu instid0(VALU_DEP_2) | instskip(SKIP_1) | instid1(VALU_DEP_3)
	v_add_co_u32 v72, vcc_lo, s0, v6
	s_wait_alu 0xfffd
	v_add_co_ci_u32_e64 v73, null, s1, v7, vcc_lo
	s_delay_alu instid0(VALU_DEP_3) | instskip(NEXT) | instid1(VALU_DEP_1)
	;; [unrolled: 8-line block ×8, first 2 shown]
	v_ashrrev_i32_e32 v6, 31, v5
	v_lshlrev_b64_e32 v[6:7], 4, v[5:6]
	v_add_nc_u32_e32 v5, s3, v5
	s_delay_alu instid0(VALU_DEP_2) | instskip(SKIP_1) | instid1(VALU_DEP_3)
	v_add_co_u32 v86, vcc_lo, s0, v6
	s_wait_alu 0xfffd
	v_add_co_ci_u32_e64 v87, null, s1, v7, vcc_lo
	s_delay_alu instid0(VALU_DEP_3)
	v_ashrrev_i32_e32 v6, 31, v5
	s_wait_loadcnt_dscnt 0x0
	scratch_store_b128 off, v[1:4], off offset:16
	flat_load_b128 v[1:4], v[44:45]
	v_lshlrev_b64_e32 v[6:7], 4, v[5:6]
	v_add_nc_u32_e32 v5, s3, v5
	s_delay_alu instid0(VALU_DEP_2) | instskip(SKIP_1) | instid1(VALU_DEP_3)
	v_add_co_u32 v88, vcc_lo, s0, v6
	s_wait_alu 0xfffd
	v_add_co_ci_u32_e64 v89, null, s1, v7, vcc_lo
	s_delay_alu instid0(VALU_DEP_3) | instskip(NEXT) | instid1(VALU_DEP_1)
	v_ashrrev_i32_e32 v6, 31, v5
	v_lshlrev_b64_e32 v[6:7], 4, v[5:6]
	v_add_nc_u32_e32 v5, s3, v5
	s_delay_alu instid0(VALU_DEP_2) | instskip(SKIP_1) | instid1(VALU_DEP_3)
	v_add_co_u32 v90, vcc_lo, s0, v6
	s_wait_alu 0xfffd
	v_add_co_ci_u32_e64 v91, null, s1, v7, vcc_lo
	s_delay_alu instid0(VALU_DEP_3) | instskip(NEXT) | instid1(VALU_DEP_1)
	v_ashrrev_i32_e32 v6, 31, v5
	;; [unrolled: 8-line block ×21, first 2 shown]
	v_lshlrev_b64_e32 v[6:7], 4, v[5:6]
	v_add_nc_u32_e32 v5, s3, v5
	s_wait_loadcnt_dscnt 0x0
	scratch_store_b128 off, v[1:4], off offset:32
	flat_load_b128 v[1:4], v[46:47]
	v_add_co_u32 v130, vcc_lo, s0, v6
	s_wait_alu 0xfffd
	v_add_co_ci_u32_e64 v131, null, s1, v7, vcc_lo
	v_ashrrev_i32_e32 v6, 31, v5
	s_delay_alu instid0(VALU_DEP_1) | instskip(SKIP_1) | instid1(VALU_DEP_2)
	v_lshlrev_b64_e32 v[6:7], 4, v[5:6]
	v_add_nc_u32_e32 v5, s3, v5
	v_add_co_u32 v132, vcc_lo, s0, v6
	s_wait_alu 0xfffd
	s_delay_alu instid0(VALU_DEP_3) | instskip(NEXT) | instid1(VALU_DEP_3)
	v_add_co_ci_u32_e64 v133, null, s1, v7, vcc_lo
	v_ashrrev_i32_e32 v6, 31, v5
	s_delay_alu instid0(VALU_DEP_1) | instskip(SKIP_1) | instid1(VALU_DEP_2)
	v_lshlrev_b64_e32 v[6:7], 4, v[5:6]
	v_add_nc_u32_e32 v5, s3, v5
	v_add_co_u32 v134, vcc_lo, s0, v6
	s_wait_alu 0xfffd
	s_delay_alu instid0(VALU_DEP_3) | instskip(NEXT) | instid1(VALU_DEP_3)
	;; [unrolled: 8-line block ×15, first 2 shown]
	v_add_co_ci_u32_e64 v161, null, s1, v7, vcc_lo
	v_ashrrev_i32_e32 v6, 31, v5
	s_delay_alu instid0(VALU_DEP_1) | instskip(SKIP_4) | instid1(VALU_DEP_2)
	v_lshlrev_b64_e32 v[6:7], 4, v[5:6]
	v_add_nc_u32_e32 v5, s3, v5
	s_movk_i32 s3, 0x80
	s_wait_alu 0xfffe
	s_add_co_i32 s69, s3, 16
	v_add_co_u32 v162, vcc_lo, s0, v6
	s_wait_alu 0xfffd
	v_add_co_ci_u32_e64 v163, null, s1, v7, vcc_lo
	v_ashrrev_i32_e32 v6, 31, v5
	s_delay_alu instid0(VALU_DEP_1) | instskip(NEXT) | instid1(VALU_DEP_1)
	v_lshlrev_b64_e32 v[5:6], 4, v[5:6]
	v_add_co_u32 v164, vcc_lo, s0, v5
	s_wait_alu 0xfffd
	s_delay_alu instid0(VALU_DEP_2)
	v_add_co_ci_u32_e64 v165, null, s1, v6, vcc_lo
	s_movk_i32 s0, 0x50
	s_movk_i32 s1, 0x60
	s_wait_alu 0xfffe
	s_add_co_i32 s72, s0, 16
	s_add_co_i32 s71, s1, 16
	s_bitcmp0_b32 s73, 0
	s_mov_b32 s1, -1
	s_wait_loadcnt_dscnt 0x0
	scratch_store_b128 off, v[1:4], off offset:48
	flat_load_b128 v[1:4], v[48:49]
	s_wait_loadcnt_dscnt 0x0
	scratch_store_b128 off, v[1:4], off offset:64
	flat_load_b128 v[1:4], v[50:51]
	;; [unrolled: 3-line block ×59, first 2 shown]
	s_wait_loadcnt_dscnt 0x0
	scratch_store_b128 off, v[1:4], off offset:992
	s_cbranch_scc1 .LBB125_272
; %bb.4:
	v_cmp_eq_u32_e64 s0, 0, v0
	s_and_saveexec_b32 s1, s0
; %bb.5:
	v_mov_b32_e32 v1, 0
	ds_store_b32 v1, v1 offset:1984
; %bb.6:
	s_wait_alu 0xfffe
	s_or_b32 exec_lo, exec_lo, s1
	s_wait_storecnt_dscnt 0x0
	s_barrier_signal -1
	s_barrier_wait -1
	global_inv scope:SCOPE_SE
	scratch_load_b128 v[1:4], v13, off offset:16
	s_wait_loadcnt 0x0
	v_cmp_eq_f64_e32 vcc_lo, 0, v[1:2]
	v_cmp_eq_f64_e64 s1, 0, v[3:4]
	s_and_b32 s1, vcc_lo, s1
	s_wait_alu 0xfffe
	s_and_saveexec_b32 s2, s1
	s_cbranch_execz .LBB125_10
; %bb.7:
	v_mov_b32_e32 v1, 0
	s_mov_b32 s3, 0
	ds_load_b32 v2, v1 offset:1984
	s_wait_dscnt 0x0
	v_readfirstlane_b32 s1, v2
	v_add_nc_u32_e32 v2, 1, v0
	s_cmp_eq_u32 s1, 0
	s_delay_alu instid0(VALU_DEP_1) | instskip(SKIP_1) | instid1(SALU_CYCLE_1)
	v_cmp_gt_i32_e32 vcc_lo, s1, v2
	s_cselect_b32 s73, -1, 0
	s_or_b32 s73, s73, vcc_lo
	s_delay_alu instid0(SALU_CYCLE_1)
	s_and_b32 exec_lo, exec_lo, s73
	s_cbranch_execz .LBB125_10
; %bb.8:
	v_mov_b32_e32 v3, s1
.LBB125_9:                              ; =>This Inner Loop Header: Depth=1
	ds_cmpstore_rtn_b32 v3, v1, v2, v3 offset:1984
	s_wait_dscnt 0x0
	v_cmp_ne_u32_e32 vcc_lo, 0, v3
	v_cmp_le_i32_e64 s1, v3, v2
	s_and_b32 s1, vcc_lo, s1
	s_wait_alu 0xfffe
	s_and_b32 s1, exec_lo, s1
	s_wait_alu 0xfffe
	s_or_b32 s3, s1, s3
	s_wait_alu 0xfffe
	s_and_not1_b32 exec_lo, exec_lo, s3
	s_cbranch_execnz .LBB125_9
.LBB125_10:
	s_wait_alu 0xfffe
	s_or_b32 exec_lo, exec_lo, s2
	v_mov_b32_e32 v1, 0
	s_barrier_signal -1
	s_barrier_wait -1
	global_inv scope:SCOPE_SE
	ds_load_b32 v2, v1 offset:1984
	s_and_saveexec_b32 s1, s0
	s_cbranch_execz .LBB125_12
; %bb.11:
	s_lshl_b64 s[2:3], s[10:11], 2
	s_wait_alu 0xfffe
	s_add_nc_u64 s[2:3], s[6:7], s[2:3]
	s_wait_dscnt 0x0
	global_store_b32 v1, v2, s[2:3]
.LBB125_12:
	s_wait_alu 0xfffe
	s_or_b32 exec_lo, exec_lo, s1
	s_wait_dscnt 0x0
	v_cmp_ne_u32_e32 vcc_lo, 0, v2
	s_mov_b32 s1, 0
	s_cbranch_vccnz .LBB125_272
; %bb.13:
	v_add_nc_u32_e32 v14, 16, v13
                                        ; implicit-def: $vgpr1_vgpr2
                                        ; implicit-def: $vgpr9_vgpr10
	scratch_load_b128 v[5:8], v14, off
	s_wait_loadcnt 0x0
	v_cmp_ngt_f64_e64 s1, |v[5:6]|, |v[7:8]|
	s_wait_alu 0xfffe
	s_and_saveexec_b32 s2, s1
	s_wait_alu 0xfffe
	s_xor_b32 s1, exec_lo, s2
	s_cbranch_execz .LBB125_15
; %bb.14:
	v_div_scale_f64 v[1:2], null, v[7:8], v[7:8], v[5:6]
	v_div_scale_f64 v[11:12], vcc_lo, v[5:6], v[7:8], v[5:6]
	s_delay_alu instid0(VALU_DEP_2) | instskip(NEXT) | instid1(TRANS32_DEP_1)
	v_rcp_f64_e32 v[3:4], v[1:2]
	v_fma_f64 v[9:10], -v[1:2], v[3:4], 1.0
	s_delay_alu instid0(VALU_DEP_1) | instskip(NEXT) | instid1(VALU_DEP_1)
	v_fma_f64 v[3:4], v[3:4], v[9:10], v[3:4]
	v_fma_f64 v[9:10], -v[1:2], v[3:4], 1.0
	s_delay_alu instid0(VALU_DEP_1) | instskip(NEXT) | instid1(VALU_DEP_1)
	v_fma_f64 v[3:4], v[3:4], v[9:10], v[3:4]
	v_mul_f64_e32 v[9:10], v[11:12], v[3:4]
	s_delay_alu instid0(VALU_DEP_1) | instskip(SKIP_1) | instid1(VALU_DEP_1)
	v_fma_f64 v[1:2], -v[1:2], v[9:10], v[11:12]
	s_wait_alu 0xfffd
	v_div_fmas_f64 v[1:2], v[1:2], v[3:4], v[9:10]
	s_delay_alu instid0(VALU_DEP_1) | instskip(NEXT) | instid1(VALU_DEP_1)
	v_div_fixup_f64 v[1:2], v[1:2], v[7:8], v[5:6]
	v_fma_f64 v[3:4], v[5:6], v[1:2], v[7:8]
	s_delay_alu instid0(VALU_DEP_1) | instskip(SKIP_1) | instid1(VALU_DEP_2)
	v_div_scale_f64 v[5:6], null, v[3:4], v[3:4], 1.0
	v_div_scale_f64 v[11:12], vcc_lo, 1.0, v[3:4], 1.0
	v_rcp_f64_e32 v[7:8], v[5:6]
	s_delay_alu instid0(TRANS32_DEP_1) | instskip(NEXT) | instid1(VALU_DEP_1)
	v_fma_f64 v[9:10], -v[5:6], v[7:8], 1.0
	v_fma_f64 v[7:8], v[7:8], v[9:10], v[7:8]
	s_delay_alu instid0(VALU_DEP_1) | instskip(NEXT) | instid1(VALU_DEP_1)
	v_fma_f64 v[9:10], -v[5:6], v[7:8], 1.0
	v_fma_f64 v[7:8], v[7:8], v[9:10], v[7:8]
	s_delay_alu instid0(VALU_DEP_1) | instskip(NEXT) | instid1(VALU_DEP_1)
	v_mul_f64_e32 v[9:10], v[11:12], v[7:8]
	v_fma_f64 v[5:6], -v[5:6], v[9:10], v[11:12]
	s_wait_alu 0xfffd
	s_delay_alu instid0(VALU_DEP_1) | instskip(NEXT) | instid1(VALU_DEP_1)
	v_div_fmas_f64 v[5:6], v[5:6], v[7:8], v[9:10]
	v_div_fixup_f64 v[3:4], v[5:6], v[3:4], 1.0
                                        ; implicit-def: $vgpr5_vgpr6
	s_delay_alu instid0(VALU_DEP_1) | instskip(SKIP_1) | instid1(VALU_DEP_2)
	v_mul_f64_e32 v[1:2], v[1:2], v[3:4]
	v_xor_b32_e32 v4, 0x80000000, v4
	v_xor_b32_e32 v10, 0x80000000, v2
	s_delay_alu instid0(VALU_DEP_3)
	v_mov_b32_e32 v9, v1
.LBB125_15:
	s_wait_alu 0xfffe
	s_and_not1_saveexec_b32 s1, s1
	s_cbranch_execz .LBB125_17
; %bb.16:
	v_div_scale_f64 v[1:2], null, v[5:6], v[5:6], v[7:8]
	v_div_scale_f64 v[11:12], vcc_lo, v[7:8], v[5:6], v[7:8]
	s_delay_alu instid0(VALU_DEP_2) | instskip(NEXT) | instid1(TRANS32_DEP_1)
	v_rcp_f64_e32 v[3:4], v[1:2]
	v_fma_f64 v[9:10], -v[1:2], v[3:4], 1.0
	s_delay_alu instid0(VALU_DEP_1) | instskip(NEXT) | instid1(VALU_DEP_1)
	v_fma_f64 v[3:4], v[3:4], v[9:10], v[3:4]
	v_fma_f64 v[9:10], -v[1:2], v[3:4], 1.0
	s_delay_alu instid0(VALU_DEP_1) | instskip(NEXT) | instid1(VALU_DEP_1)
	v_fma_f64 v[3:4], v[3:4], v[9:10], v[3:4]
	v_mul_f64_e32 v[9:10], v[11:12], v[3:4]
	s_delay_alu instid0(VALU_DEP_1) | instskip(SKIP_1) | instid1(VALU_DEP_1)
	v_fma_f64 v[1:2], -v[1:2], v[9:10], v[11:12]
	s_wait_alu 0xfffd
	v_div_fmas_f64 v[1:2], v[1:2], v[3:4], v[9:10]
	s_delay_alu instid0(VALU_DEP_1) | instskip(NEXT) | instid1(VALU_DEP_1)
	v_div_fixup_f64 v[3:4], v[1:2], v[5:6], v[7:8]
	v_fma_f64 v[1:2], v[7:8], v[3:4], v[5:6]
	s_delay_alu instid0(VALU_DEP_1) | instskip(NEXT) | instid1(VALU_DEP_1)
	v_div_scale_f64 v[5:6], null, v[1:2], v[1:2], 1.0
	v_rcp_f64_e32 v[7:8], v[5:6]
	s_delay_alu instid0(TRANS32_DEP_1) | instskip(NEXT) | instid1(VALU_DEP_1)
	v_fma_f64 v[9:10], -v[5:6], v[7:8], 1.0
	v_fma_f64 v[7:8], v[7:8], v[9:10], v[7:8]
	s_delay_alu instid0(VALU_DEP_1) | instskip(NEXT) | instid1(VALU_DEP_1)
	v_fma_f64 v[9:10], -v[5:6], v[7:8], 1.0
	v_fma_f64 v[7:8], v[7:8], v[9:10], v[7:8]
	v_div_scale_f64 v[9:10], vcc_lo, 1.0, v[1:2], 1.0
	s_delay_alu instid0(VALU_DEP_1) | instskip(NEXT) | instid1(VALU_DEP_1)
	v_mul_f64_e32 v[11:12], v[9:10], v[7:8]
	v_fma_f64 v[5:6], -v[5:6], v[11:12], v[9:10]
	s_wait_alu 0xfffd
	s_delay_alu instid0(VALU_DEP_1) | instskip(NEXT) | instid1(VALU_DEP_1)
	v_div_fmas_f64 v[5:6], v[5:6], v[7:8], v[11:12]
	v_div_fixup_f64 v[1:2], v[5:6], v[1:2], 1.0
	s_delay_alu instid0(VALU_DEP_1)
	v_mul_f64_e64 v[3:4], v[3:4], -v[1:2]
	v_xor_b32_e32 v10, 0x80000000, v2
	v_mov_b32_e32 v9, v1
.LBB125_17:
	s_wait_alu 0xfffe
	s_or_b32 exec_lo, exec_lo, s1
	scratch_store_b128 v14, v[1:4], off
	scratch_load_b128 v[15:18], off, s17
	v_xor_b32_e32 v12, 0x80000000, v4
	v_mov_b32_e32 v11, v3
	v_add_nc_u32_e32 v5, 0x3e0, v13
	ds_store_b128 v13, v[9:12]
	s_wait_loadcnt 0x0
	ds_store_b128 v13, v[15:18] offset:992
	s_wait_storecnt_dscnt 0x0
	s_barrier_signal -1
	s_barrier_wait -1
	global_inv scope:SCOPE_SE
	s_and_saveexec_b32 s1, s0
	s_cbranch_execz .LBB125_19
; %bb.18:
	scratch_load_b128 v[1:4], v14, off
	ds_load_b128 v[6:9], v5
	v_mov_b32_e32 v10, 0
	ds_load_b128 v[15:18], v10 offset:16
	s_wait_loadcnt_dscnt 0x1
	v_mul_f64_e32 v[10:11], v[6:7], v[3:4]
	v_mul_f64_e32 v[3:4], v[8:9], v[3:4]
	s_delay_alu instid0(VALU_DEP_2) | instskip(NEXT) | instid1(VALU_DEP_2)
	v_fma_f64 v[8:9], v[8:9], v[1:2], v[10:11]
	v_fma_f64 v[1:2], v[6:7], v[1:2], -v[3:4]
	s_delay_alu instid0(VALU_DEP_2) | instskip(NEXT) | instid1(VALU_DEP_2)
	v_add_f64_e32 v[3:4], 0, v[8:9]
	v_add_f64_e32 v[1:2], 0, v[1:2]
	s_wait_dscnt 0x0
	s_delay_alu instid0(VALU_DEP_2) | instskip(NEXT) | instid1(VALU_DEP_2)
	v_mul_f64_e32 v[6:7], v[3:4], v[17:18]
	v_mul_f64_e32 v[8:9], v[1:2], v[17:18]
	s_delay_alu instid0(VALU_DEP_2) | instskip(NEXT) | instid1(VALU_DEP_2)
	v_fma_f64 v[1:2], v[1:2], v[15:16], -v[6:7]
	v_fma_f64 v[3:4], v[3:4], v[15:16], v[8:9]
	scratch_store_b128 off, v[1:4], off offset:32
.LBB125_19:
	s_wait_alu 0xfffe
	s_or_b32 exec_lo, exec_lo, s1
	s_wait_loadcnt 0x0
	s_wait_storecnt 0x0
	s_barrier_signal -1
	s_barrier_wait -1
	global_inv scope:SCOPE_SE
	scratch_load_b128 v[1:4], off, s15
	v_cmp_gt_u32_e32 vcc_lo, 2, v0
	s_wait_loadcnt 0x0
	ds_store_b128 v5, v[1:4]
	s_wait_dscnt 0x0
	s_barrier_signal -1
	s_barrier_wait -1
	global_inv scope:SCOPE_SE
	s_and_saveexec_b32 s1, vcc_lo
	s_cbranch_execz .LBB125_23
; %bb.20:
	scratch_load_b128 v[1:4], v14, off
	ds_load_b128 v[6:9], v5
	s_wait_loadcnt_dscnt 0x0
	v_mul_f64_e32 v[10:11], v[8:9], v[3:4]
	v_mul_f64_e32 v[3:4], v[6:7], v[3:4]
	s_delay_alu instid0(VALU_DEP_2) | instskip(NEXT) | instid1(VALU_DEP_2)
	v_fma_f64 v[6:7], v[6:7], v[1:2], -v[10:11]
	v_fma_f64 v[3:4], v[8:9], v[1:2], v[3:4]
	s_delay_alu instid0(VALU_DEP_2) | instskip(NEXT) | instid1(VALU_DEP_2)
	v_add_f64_e32 v[1:2], 0, v[6:7]
	v_add_f64_e32 v[3:4], 0, v[3:4]
	s_and_saveexec_b32 s2, s0
	s_cbranch_execz .LBB125_22
; %bb.21:
	scratch_load_b128 v[6:9], off, off offset:32
	v_mov_b32_e32 v10, 0
	ds_load_b128 v[15:18], v10 offset:1008
	s_wait_loadcnt_dscnt 0x0
	v_mul_f64_e32 v[10:11], v[15:16], v[8:9]
	v_mul_f64_e32 v[8:9], v[17:18], v[8:9]
	s_delay_alu instid0(VALU_DEP_2) | instskip(NEXT) | instid1(VALU_DEP_2)
	v_fma_f64 v[10:11], v[17:18], v[6:7], v[10:11]
	v_fma_f64 v[6:7], v[15:16], v[6:7], -v[8:9]
	s_delay_alu instid0(VALU_DEP_2) | instskip(NEXT) | instid1(VALU_DEP_2)
	v_add_f64_e32 v[3:4], v[3:4], v[10:11]
	v_add_f64_e32 v[1:2], v[1:2], v[6:7]
.LBB125_22:
	s_wait_alu 0xfffe
	s_or_b32 exec_lo, exec_lo, s2
	v_mov_b32_e32 v6, 0
	ds_load_b128 v[6:9], v6 offset:32
	s_wait_dscnt 0x0
	v_mul_f64_e32 v[10:11], v[3:4], v[8:9]
	v_mul_f64_e32 v[8:9], v[1:2], v[8:9]
	s_delay_alu instid0(VALU_DEP_2) | instskip(NEXT) | instid1(VALU_DEP_2)
	v_fma_f64 v[1:2], v[1:2], v[6:7], -v[10:11]
	v_fma_f64 v[3:4], v[3:4], v[6:7], v[8:9]
	scratch_store_b128 off, v[1:4], off offset:48
.LBB125_23:
	s_wait_alu 0xfffe
	s_or_b32 exec_lo, exec_lo, s1
	s_wait_loadcnt 0x0
	s_wait_storecnt 0x0
	s_barrier_signal -1
	s_barrier_wait -1
	global_inv scope:SCOPE_SE
	scratch_load_b128 v[1:4], off, s12
	v_add_nc_u32_e32 v6, -1, v0
	s_mov_b32 s2, exec_lo
	s_wait_loadcnt 0x0
	ds_store_b128 v5, v[1:4]
	s_wait_dscnt 0x0
	s_barrier_signal -1
	s_barrier_wait -1
	global_inv scope:SCOPE_SE
	v_cmpx_gt_u32_e32 3, v0
	s_cbranch_execz .LBB125_27
; %bb.24:
	v_dual_mov_b32 v1, 0 :: v_dual_add_nc_u32 v8, 0x3e0, v13
	v_mov_b32_e32 v3, 0
	v_dual_mov_b32 v2, 0 :: v_dual_add_nc_u32 v7, -1, v0
	v_mov_b32_e32 v4, 0
	v_or_b32_e32 v9, 8, v14
	s_mov_b32 s3, 0
.LBB125_25:                             ; =>This Inner Loop Header: Depth=1
	scratch_load_b128 v[15:18], v9, off offset:-8
	ds_load_b128 v[19:22], v8
	v_add_nc_u32_e32 v7, 1, v7
	v_add_nc_u32_e32 v8, 16, v8
	;; [unrolled: 1-line block ×3, first 2 shown]
	s_delay_alu instid0(VALU_DEP_3)
	v_cmp_lt_u32_e64 s1, 1, v7
	s_wait_alu 0xfffe
	s_or_b32 s3, s1, s3
	s_wait_loadcnt_dscnt 0x0
	v_mul_f64_e32 v[10:11], v[21:22], v[17:18]
	v_mul_f64_e32 v[17:18], v[19:20], v[17:18]
	s_delay_alu instid0(VALU_DEP_2) | instskip(NEXT) | instid1(VALU_DEP_2)
	v_fma_f64 v[10:11], v[19:20], v[15:16], -v[10:11]
	v_fma_f64 v[15:16], v[21:22], v[15:16], v[17:18]
	s_delay_alu instid0(VALU_DEP_2) | instskip(NEXT) | instid1(VALU_DEP_2)
	v_add_f64_e32 v[3:4], v[3:4], v[10:11]
	v_add_f64_e32 v[1:2], v[1:2], v[15:16]
	s_wait_alu 0xfffe
	s_and_not1_b32 exec_lo, exec_lo, s3
	s_cbranch_execnz .LBB125_25
; %bb.26:
	s_or_b32 exec_lo, exec_lo, s3
	v_mov_b32_e32 v7, 0
	ds_load_b128 v[7:10], v7 offset:48
	s_wait_dscnt 0x0
	v_mul_f64_e32 v[11:12], v[1:2], v[9:10]
	v_mul_f64_e32 v[15:16], v[3:4], v[9:10]
	s_delay_alu instid0(VALU_DEP_2) | instskip(NEXT) | instid1(VALU_DEP_2)
	v_fma_f64 v[9:10], v[3:4], v[7:8], -v[11:12]
	v_fma_f64 v[11:12], v[1:2], v[7:8], v[15:16]
	scratch_store_b128 off, v[9:12], off offset:64
.LBB125_27:
	s_wait_alu 0xfffe
	s_or_b32 exec_lo, exec_lo, s2
	s_wait_loadcnt 0x0
	s_wait_storecnt 0x0
	s_barrier_signal -1
	s_barrier_wait -1
	global_inv scope:SCOPE_SE
	scratch_load_b128 v[1:4], off, s4
	v_cmp_gt_u32_e64 s1, 4, v0
	s_wait_loadcnt 0x0
	ds_store_b128 v5, v[1:4]
	s_wait_dscnt 0x0
	s_barrier_signal -1
	s_barrier_wait -1
	global_inv scope:SCOPE_SE
	s_and_saveexec_b32 s3, s1
	s_cbranch_execz .LBB125_31
; %bb.28:
	v_dual_mov_b32 v1, 0 :: v_dual_add_nc_u32 v8, 0x3e0, v13
	v_mov_b32_e32 v3, 0
	v_dual_mov_b32 v2, 0 :: v_dual_add_nc_u32 v7, -1, v0
	v_mov_b32_e32 v4, 0
	v_or_b32_e32 v9, 8, v14
	s_mov_b32 s73, 0
.LBB125_29:                             ; =>This Inner Loop Header: Depth=1
	scratch_load_b128 v[15:18], v9, off offset:-8
	ds_load_b128 v[19:22], v8
	v_add_nc_u32_e32 v7, 1, v7
	v_add_nc_u32_e32 v8, 16, v8
	;; [unrolled: 1-line block ×3, first 2 shown]
	s_delay_alu instid0(VALU_DEP_3) | instskip(SKIP_4) | instid1(VALU_DEP_2)
	v_cmp_lt_u32_e64 s2, 2, v7
	s_or_b32 s73, s2, s73
	s_wait_loadcnt_dscnt 0x0
	v_mul_f64_e32 v[10:11], v[21:22], v[17:18]
	v_mul_f64_e32 v[17:18], v[19:20], v[17:18]
	v_fma_f64 v[10:11], v[19:20], v[15:16], -v[10:11]
	s_delay_alu instid0(VALU_DEP_2) | instskip(NEXT) | instid1(VALU_DEP_2)
	v_fma_f64 v[15:16], v[21:22], v[15:16], v[17:18]
	v_add_f64_e32 v[3:4], v[3:4], v[10:11]
	s_delay_alu instid0(VALU_DEP_2)
	v_add_f64_e32 v[1:2], v[1:2], v[15:16]
	s_and_not1_b32 exec_lo, exec_lo, s73
	s_cbranch_execnz .LBB125_29
; %bb.30:
	s_or_b32 exec_lo, exec_lo, s73
	v_mov_b32_e32 v7, 0
	ds_load_b128 v[7:10], v7 offset:64
	s_wait_dscnt 0x0
	v_mul_f64_e32 v[11:12], v[1:2], v[9:10]
	v_mul_f64_e32 v[15:16], v[3:4], v[9:10]
	s_delay_alu instid0(VALU_DEP_2) | instskip(NEXT) | instid1(VALU_DEP_2)
	v_fma_f64 v[9:10], v[3:4], v[7:8], -v[11:12]
	v_fma_f64 v[11:12], v[1:2], v[7:8], v[15:16]
	scratch_store_b128 off, v[9:12], off offset:80
.LBB125_31:
	s_wait_alu 0xfffe
	s_or_b32 exec_lo, exec_lo, s3
	s_wait_loadcnt 0x0
	s_wait_storecnt 0x0
	s_barrier_signal -1
	s_barrier_wait -1
	global_inv scope:SCOPE_SE
	scratch_load_b128 v[1:4], off, s72
	s_mov_b32 s3, exec_lo
	s_wait_loadcnt 0x0
	ds_store_b128 v5, v[1:4]
	s_wait_dscnt 0x0
	s_barrier_signal -1
	s_barrier_wait -1
	global_inv scope:SCOPE_SE
	v_cmpx_gt_u32_e32 5, v0
	s_cbranch_execz .LBB125_35
; %bb.32:
	v_dual_mov_b32 v1, 0 :: v_dual_add_nc_u32 v8, 0x3e0, v13
	v_mov_b32_e32 v3, 0
	v_dual_mov_b32 v2, 0 :: v_dual_add_nc_u32 v7, -1, v0
	v_mov_b32_e32 v4, 0
	v_or_b32_e32 v9, 8, v14
	s_mov_b32 s73, 0
.LBB125_33:                             ; =>This Inner Loop Header: Depth=1
	scratch_load_b128 v[15:18], v9, off offset:-8
	ds_load_b128 v[19:22], v8
	v_add_nc_u32_e32 v7, 1, v7
	v_add_nc_u32_e32 v8, 16, v8
	;; [unrolled: 1-line block ×3, first 2 shown]
	s_delay_alu instid0(VALU_DEP_3) | instskip(SKIP_4) | instid1(VALU_DEP_2)
	v_cmp_lt_u32_e64 s2, 3, v7
	s_or_b32 s73, s2, s73
	s_wait_loadcnt_dscnt 0x0
	v_mul_f64_e32 v[10:11], v[21:22], v[17:18]
	v_mul_f64_e32 v[17:18], v[19:20], v[17:18]
	v_fma_f64 v[10:11], v[19:20], v[15:16], -v[10:11]
	s_delay_alu instid0(VALU_DEP_2) | instskip(NEXT) | instid1(VALU_DEP_2)
	v_fma_f64 v[15:16], v[21:22], v[15:16], v[17:18]
	v_add_f64_e32 v[3:4], v[3:4], v[10:11]
	s_delay_alu instid0(VALU_DEP_2)
	v_add_f64_e32 v[1:2], v[1:2], v[15:16]
	s_and_not1_b32 exec_lo, exec_lo, s73
	s_cbranch_execnz .LBB125_33
; %bb.34:
	s_or_b32 exec_lo, exec_lo, s73
	v_mov_b32_e32 v7, 0
	ds_load_b128 v[7:10], v7 offset:80
	s_wait_dscnt 0x0
	v_mul_f64_e32 v[11:12], v[1:2], v[9:10]
	v_mul_f64_e32 v[15:16], v[3:4], v[9:10]
	s_delay_alu instid0(VALU_DEP_2) | instskip(NEXT) | instid1(VALU_DEP_2)
	v_fma_f64 v[9:10], v[3:4], v[7:8], -v[11:12]
	v_fma_f64 v[11:12], v[1:2], v[7:8], v[15:16]
	scratch_store_b128 off, v[9:12], off offset:96
.LBB125_35:
	s_wait_alu 0xfffe
	s_or_b32 exec_lo, exec_lo, s3
	s_wait_loadcnt 0x0
	s_wait_storecnt 0x0
	s_barrier_signal -1
	s_barrier_wait -1
	global_inv scope:SCOPE_SE
	scratch_load_b128 v[1:4], off, s71
	v_cmp_gt_u32_e64 s2, 6, v0
	s_wait_loadcnt 0x0
	ds_store_b128 v5, v[1:4]
	s_wait_dscnt 0x0
	s_barrier_signal -1
	s_barrier_wait -1
	global_inv scope:SCOPE_SE
	s_and_saveexec_b32 s73, s2
	s_cbranch_execz .LBB125_39
; %bb.36:
	v_dual_mov_b32 v1, 0 :: v_dual_add_nc_u32 v8, 0x3e0, v13
	v_mov_b32_e32 v3, 0
	v_dual_mov_b32 v2, 0 :: v_dual_add_nc_u32 v7, -1, v0
	v_mov_b32_e32 v4, 0
	v_or_b32_e32 v9, 8, v14
	s_mov_b32 s74, 0
.LBB125_37:                             ; =>This Inner Loop Header: Depth=1
	scratch_load_b128 v[15:18], v9, off offset:-8
	ds_load_b128 v[19:22], v8
	v_add_nc_u32_e32 v7, 1, v7
	v_add_nc_u32_e32 v8, 16, v8
	;; [unrolled: 1-line block ×3, first 2 shown]
	s_delay_alu instid0(VALU_DEP_3) | instskip(SKIP_4) | instid1(VALU_DEP_2)
	v_cmp_lt_u32_e64 s3, 4, v7
	s_or_b32 s74, s3, s74
	s_wait_loadcnt_dscnt 0x0
	v_mul_f64_e32 v[10:11], v[21:22], v[17:18]
	v_mul_f64_e32 v[17:18], v[19:20], v[17:18]
	v_fma_f64 v[10:11], v[19:20], v[15:16], -v[10:11]
	s_delay_alu instid0(VALU_DEP_2) | instskip(NEXT) | instid1(VALU_DEP_2)
	v_fma_f64 v[15:16], v[21:22], v[15:16], v[17:18]
	v_add_f64_e32 v[3:4], v[3:4], v[10:11]
	s_delay_alu instid0(VALU_DEP_2)
	v_add_f64_e32 v[1:2], v[1:2], v[15:16]
	s_and_not1_b32 exec_lo, exec_lo, s74
	s_cbranch_execnz .LBB125_37
; %bb.38:
	s_or_b32 exec_lo, exec_lo, s74
	v_mov_b32_e32 v7, 0
	ds_load_b128 v[7:10], v7 offset:96
	s_wait_dscnt 0x0
	v_mul_f64_e32 v[11:12], v[1:2], v[9:10]
	v_mul_f64_e32 v[15:16], v[3:4], v[9:10]
	s_delay_alu instid0(VALU_DEP_2) | instskip(NEXT) | instid1(VALU_DEP_2)
	v_fma_f64 v[9:10], v[3:4], v[7:8], -v[11:12]
	v_fma_f64 v[11:12], v[1:2], v[7:8], v[15:16]
	scratch_store_b128 off, v[9:12], off offset:112
.LBB125_39:
	s_or_b32 exec_lo, exec_lo, s73
	s_wait_loadcnt 0x0
	s_wait_storecnt 0x0
	s_barrier_signal -1
	s_barrier_wait -1
	global_inv scope:SCOPE_SE
	scratch_load_b128 v[1:4], off, s70
	s_mov_b32 s73, exec_lo
	s_wait_loadcnt 0x0
	ds_store_b128 v5, v[1:4]
	s_wait_dscnt 0x0
	s_barrier_signal -1
	s_barrier_wait -1
	global_inv scope:SCOPE_SE
	v_cmpx_gt_u32_e32 7, v0
	s_cbranch_execz .LBB125_43
; %bb.40:
	v_dual_mov_b32 v1, 0 :: v_dual_add_nc_u32 v8, 0x3e0, v13
	v_mov_b32_e32 v3, 0
	v_dual_mov_b32 v2, 0 :: v_dual_add_nc_u32 v7, -1, v0
	v_mov_b32_e32 v4, 0
	v_or_b32_e32 v9, 8, v14
	s_mov_b32 s74, 0
.LBB125_41:                             ; =>This Inner Loop Header: Depth=1
	scratch_load_b128 v[15:18], v9, off offset:-8
	ds_load_b128 v[19:22], v8
	v_add_nc_u32_e32 v7, 1, v7
	v_add_nc_u32_e32 v8, 16, v8
	;; [unrolled: 1-line block ×3, first 2 shown]
	s_delay_alu instid0(VALU_DEP_3) | instskip(SKIP_4) | instid1(VALU_DEP_2)
	v_cmp_lt_u32_e64 s3, 5, v7
	s_or_b32 s74, s3, s74
	s_wait_loadcnt_dscnt 0x0
	v_mul_f64_e32 v[10:11], v[21:22], v[17:18]
	v_mul_f64_e32 v[17:18], v[19:20], v[17:18]
	v_fma_f64 v[10:11], v[19:20], v[15:16], -v[10:11]
	s_delay_alu instid0(VALU_DEP_2) | instskip(NEXT) | instid1(VALU_DEP_2)
	v_fma_f64 v[15:16], v[21:22], v[15:16], v[17:18]
	v_add_f64_e32 v[3:4], v[3:4], v[10:11]
	s_delay_alu instid0(VALU_DEP_2)
	v_add_f64_e32 v[1:2], v[1:2], v[15:16]
	s_and_not1_b32 exec_lo, exec_lo, s74
	s_cbranch_execnz .LBB125_41
; %bb.42:
	s_or_b32 exec_lo, exec_lo, s74
	v_mov_b32_e32 v7, 0
	ds_load_b128 v[7:10], v7 offset:112
	s_wait_dscnt 0x0
	v_mul_f64_e32 v[11:12], v[1:2], v[9:10]
	v_mul_f64_e32 v[15:16], v[3:4], v[9:10]
	s_delay_alu instid0(VALU_DEP_2) | instskip(NEXT) | instid1(VALU_DEP_2)
	v_fma_f64 v[9:10], v[3:4], v[7:8], -v[11:12]
	v_fma_f64 v[11:12], v[1:2], v[7:8], v[15:16]
	scratch_store_b128 off, v[9:12], off offset:128
.LBB125_43:
	s_or_b32 exec_lo, exec_lo, s73
	s_wait_loadcnt 0x0
	s_wait_storecnt 0x0
	s_barrier_signal -1
	s_barrier_wait -1
	global_inv scope:SCOPE_SE
	scratch_load_b128 v[1:4], off, s69
	s_mov_b32 s73, exec_lo
	s_wait_loadcnt 0x0
	ds_store_b128 v5, v[1:4]
	s_wait_dscnt 0x0
	s_barrier_signal -1
	s_barrier_wait -1
	global_inv scope:SCOPE_SE
	v_cmpx_gt_u32_e32 8, v0
	s_cbranch_execz .LBB125_59
; %bb.44:
	scratch_load_b128 v[1:4], v14, off
	ds_load_b128 v[7:10], v5
	s_mov_b32 s74, exec_lo
	s_wait_loadcnt_dscnt 0x0
	v_mul_f64_e32 v[11:12], v[9:10], v[3:4]
	v_mul_f64_e32 v[3:4], v[7:8], v[3:4]
	s_delay_alu instid0(VALU_DEP_2) | instskip(NEXT) | instid1(VALU_DEP_2)
	v_fma_f64 v[7:8], v[7:8], v[1:2], -v[11:12]
	v_fma_f64 v[1:2], v[9:10], v[1:2], v[3:4]
	s_delay_alu instid0(VALU_DEP_2) | instskip(NEXT) | instid1(VALU_DEP_2)
	v_add_f64_e32 v[3:4], 0, v[7:8]
	v_add_f64_e32 v[1:2], 0, v[1:2]
	v_cmpx_ne_u32_e32 7, v0
	s_cbranch_execz .LBB125_58
; %bb.45:
	scratch_load_b128 v[7:10], v14, off offset:16
	ds_load_b128 v[15:18], v5 offset:16
	s_wait_loadcnt_dscnt 0x0
	v_mul_f64_e32 v[11:12], v[17:18], v[9:10]
	v_mul_f64_e32 v[9:10], v[15:16], v[9:10]
	s_delay_alu instid0(VALU_DEP_2) | instskip(NEXT) | instid1(VALU_DEP_2)
	v_fma_f64 v[11:12], v[15:16], v[7:8], -v[11:12]
	v_fma_f64 v[7:8], v[17:18], v[7:8], v[9:10]
	s_delay_alu instid0(VALU_DEP_2) | instskip(NEXT) | instid1(VALU_DEP_2)
	v_add_f64_e32 v[3:4], v[3:4], v[11:12]
	v_add_f64_e32 v[1:2], v[1:2], v[7:8]
	s_and_saveexec_b32 s3, s2
	s_cbranch_execz .LBB125_57
; %bb.46:
	scratch_load_b128 v[7:10], v14, off offset:32
	ds_load_b128 v[15:18], v5 offset:32
	s_mov_b32 s75, exec_lo
	s_wait_loadcnt_dscnt 0x0
	v_mul_f64_e32 v[11:12], v[17:18], v[9:10]
	v_mul_f64_e32 v[9:10], v[15:16], v[9:10]
	s_delay_alu instid0(VALU_DEP_2) | instskip(NEXT) | instid1(VALU_DEP_2)
	v_fma_f64 v[11:12], v[15:16], v[7:8], -v[11:12]
	v_fma_f64 v[7:8], v[17:18], v[7:8], v[9:10]
	s_delay_alu instid0(VALU_DEP_2) | instskip(NEXT) | instid1(VALU_DEP_2)
	v_add_f64_e32 v[3:4], v[3:4], v[11:12]
	v_add_f64_e32 v[1:2], v[1:2], v[7:8]
	v_cmpx_ne_u32_e32 5, v0
	s_cbranch_execz .LBB125_56
; %bb.47:
	scratch_load_b128 v[7:10], v14, off offset:48
	ds_load_b128 v[15:18], v5 offset:48
	s_wait_loadcnt_dscnt 0x0
	v_mul_f64_e32 v[11:12], v[17:18], v[9:10]
	v_mul_f64_e32 v[9:10], v[15:16], v[9:10]
	s_delay_alu instid0(VALU_DEP_2) | instskip(NEXT) | instid1(VALU_DEP_2)
	v_fma_f64 v[11:12], v[15:16], v[7:8], -v[11:12]
	v_fma_f64 v[7:8], v[17:18], v[7:8], v[9:10]
	s_delay_alu instid0(VALU_DEP_2) | instskip(NEXT) | instid1(VALU_DEP_2)
	v_add_f64_e32 v[3:4], v[3:4], v[11:12]
	v_add_f64_e32 v[1:2], v[1:2], v[7:8]
	s_and_saveexec_b32 s2, s1
	s_cbranch_execz .LBB125_55
; %bb.48:
	scratch_load_b128 v[7:10], v14, off offset:64
	ds_load_b128 v[15:18], v5 offset:64
	s_mov_b32 s76, exec_lo
	s_wait_loadcnt_dscnt 0x0
	v_mul_f64_e32 v[11:12], v[17:18], v[9:10]
	v_mul_f64_e32 v[9:10], v[15:16], v[9:10]
	s_delay_alu instid0(VALU_DEP_2) | instskip(NEXT) | instid1(VALU_DEP_2)
	v_fma_f64 v[11:12], v[15:16], v[7:8], -v[11:12]
	v_fma_f64 v[7:8], v[17:18], v[7:8], v[9:10]
	s_delay_alu instid0(VALU_DEP_2) | instskip(NEXT) | instid1(VALU_DEP_2)
	v_add_f64_e32 v[3:4], v[3:4], v[11:12]
	v_add_f64_e32 v[1:2], v[1:2], v[7:8]
	v_cmpx_ne_u32_e32 3, v0
	s_cbranch_execz .LBB125_54
; %bb.49:
	scratch_load_b128 v[7:10], v14, off offset:80
	ds_load_b128 v[15:18], v5 offset:80
	s_wait_loadcnt_dscnt 0x0
	v_mul_f64_e32 v[11:12], v[17:18], v[9:10]
	v_mul_f64_e32 v[9:10], v[15:16], v[9:10]
	s_delay_alu instid0(VALU_DEP_2) | instskip(NEXT) | instid1(VALU_DEP_2)
	v_fma_f64 v[11:12], v[15:16], v[7:8], -v[11:12]
	v_fma_f64 v[7:8], v[17:18], v[7:8], v[9:10]
	s_delay_alu instid0(VALU_DEP_2) | instskip(NEXT) | instid1(VALU_DEP_2)
	v_add_f64_e32 v[3:4], v[3:4], v[11:12]
	v_add_f64_e32 v[1:2], v[1:2], v[7:8]
	s_and_saveexec_b32 s1, vcc_lo
	s_cbranch_execz .LBB125_53
; %bb.50:
	scratch_load_b128 v[7:10], v14, off offset:96
	ds_load_b128 v[15:18], v5 offset:96
	s_wait_loadcnt_dscnt 0x0
	v_mul_f64_e32 v[11:12], v[17:18], v[9:10]
	v_mul_f64_e32 v[9:10], v[15:16], v[9:10]
	s_delay_alu instid0(VALU_DEP_2) | instskip(NEXT) | instid1(VALU_DEP_2)
	v_fma_f64 v[11:12], v[15:16], v[7:8], -v[11:12]
	v_fma_f64 v[7:8], v[17:18], v[7:8], v[9:10]
	s_delay_alu instid0(VALU_DEP_2) | instskip(NEXT) | instid1(VALU_DEP_2)
	v_add_f64_e32 v[3:4], v[3:4], v[11:12]
	v_add_f64_e32 v[1:2], v[1:2], v[7:8]
	s_and_saveexec_b32 s77, s0
	s_cbranch_execz .LBB125_52
; %bb.51:
	scratch_load_b128 v[7:10], v14, off offset:112
	ds_load_b128 v[15:18], v5 offset:112
	s_wait_loadcnt_dscnt 0x0
	v_mul_f64_e32 v[11:12], v[17:18], v[9:10]
	v_mul_f64_e32 v[9:10], v[15:16], v[9:10]
	s_delay_alu instid0(VALU_DEP_2) | instskip(NEXT) | instid1(VALU_DEP_2)
	v_fma_f64 v[11:12], v[15:16], v[7:8], -v[11:12]
	v_fma_f64 v[7:8], v[17:18], v[7:8], v[9:10]
	s_delay_alu instid0(VALU_DEP_2) | instskip(NEXT) | instid1(VALU_DEP_2)
	v_add_f64_e32 v[3:4], v[3:4], v[11:12]
	v_add_f64_e32 v[1:2], v[1:2], v[7:8]
.LBB125_52:
	s_or_b32 exec_lo, exec_lo, s77
.LBB125_53:
	s_wait_alu 0xfffe
	s_or_b32 exec_lo, exec_lo, s1
.LBB125_54:
	s_delay_alu instid0(SALU_CYCLE_1)
	s_or_b32 exec_lo, exec_lo, s76
.LBB125_55:
	s_wait_alu 0xfffe
	s_or_b32 exec_lo, exec_lo, s2
.LBB125_56:
	s_delay_alu instid0(SALU_CYCLE_1)
	s_or_b32 exec_lo, exec_lo, s75
.LBB125_57:
	s_wait_alu 0xfffe
	s_or_b32 exec_lo, exec_lo, s3
.LBB125_58:
	s_delay_alu instid0(SALU_CYCLE_1)
	s_or_b32 exec_lo, exec_lo, s74
	v_mov_b32_e32 v7, 0
	ds_load_b128 v[7:10], v7 offset:128
	s_wait_dscnt 0x0
	v_mul_f64_e32 v[11:12], v[1:2], v[9:10]
	v_mul_f64_e32 v[15:16], v[3:4], v[9:10]
	s_delay_alu instid0(VALU_DEP_2) | instskip(NEXT) | instid1(VALU_DEP_2)
	v_fma_f64 v[9:10], v[3:4], v[7:8], -v[11:12]
	v_fma_f64 v[11:12], v[1:2], v[7:8], v[15:16]
	scratch_store_b128 off, v[9:12], off offset:144
.LBB125_59:
	s_or_b32 exec_lo, exec_lo, s73
	s_wait_loadcnt 0x0
	s_wait_storecnt 0x0
	s_barrier_signal -1
	s_barrier_wait -1
	global_inv scope:SCOPE_SE
	scratch_load_b128 v[1:4], off, s68
	s_mov_b32 s0, exec_lo
	s_wait_loadcnt 0x0
	ds_store_b128 v5, v[1:4]
	s_wait_dscnt 0x0
	s_barrier_signal -1
	s_barrier_wait -1
	global_inv scope:SCOPE_SE
	v_cmpx_gt_u32_e32 9, v0
	s_cbranch_execz .LBB125_63
; %bb.60:
	v_dual_mov_b32 v1, 0 :: v_dual_add_nc_u32 v8, 0x3e0, v13
	v_mov_b32_e32 v3, 0
	v_dual_mov_b32 v2, 0 :: v_dual_add_nc_u32 v7, -1, v0
	v_mov_b32_e32 v4, 0
	v_or_b32_e32 v9, 8, v14
	s_mov_b32 s1, 0
.LBB125_61:                             ; =>This Inner Loop Header: Depth=1
	scratch_load_b128 v[15:18], v9, off offset:-8
	ds_load_b128 v[19:22], v8
	v_add_nc_u32_e32 v7, 1, v7
	v_add_nc_u32_e32 v8, 16, v8
	v_add_nc_u32_e32 v9, 16, v9
	s_delay_alu instid0(VALU_DEP_3)
	v_cmp_lt_u32_e32 vcc_lo, 7, v7
	s_wait_alu 0xfffe
	s_or_b32 s1, vcc_lo, s1
	s_wait_loadcnt_dscnt 0x0
	v_mul_f64_e32 v[10:11], v[21:22], v[17:18]
	v_mul_f64_e32 v[17:18], v[19:20], v[17:18]
	s_delay_alu instid0(VALU_DEP_2) | instskip(NEXT) | instid1(VALU_DEP_2)
	v_fma_f64 v[10:11], v[19:20], v[15:16], -v[10:11]
	v_fma_f64 v[15:16], v[21:22], v[15:16], v[17:18]
	s_delay_alu instid0(VALU_DEP_2) | instskip(NEXT) | instid1(VALU_DEP_2)
	v_add_f64_e32 v[3:4], v[3:4], v[10:11]
	v_add_f64_e32 v[1:2], v[1:2], v[15:16]
	s_wait_alu 0xfffe
	s_and_not1_b32 exec_lo, exec_lo, s1
	s_cbranch_execnz .LBB125_61
; %bb.62:
	s_or_b32 exec_lo, exec_lo, s1
	v_mov_b32_e32 v7, 0
	ds_load_b128 v[7:10], v7 offset:144
	s_wait_dscnt 0x0
	v_mul_f64_e32 v[11:12], v[1:2], v[9:10]
	v_mul_f64_e32 v[15:16], v[3:4], v[9:10]
	s_delay_alu instid0(VALU_DEP_2) | instskip(NEXT) | instid1(VALU_DEP_2)
	v_fma_f64 v[9:10], v[3:4], v[7:8], -v[11:12]
	v_fma_f64 v[11:12], v[1:2], v[7:8], v[15:16]
	scratch_store_b128 off, v[9:12], off offset:160
.LBB125_63:
	s_wait_alu 0xfffe
	s_or_b32 exec_lo, exec_lo, s0
	s_wait_loadcnt 0x0
	s_wait_storecnt 0x0
	s_barrier_signal -1
	s_barrier_wait -1
	global_inv scope:SCOPE_SE
	scratch_load_b128 v[1:4], off, s67
	s_mov_b32 s0, exec_lo
	s_wait_loadcnt 0x0
	ds_store_b128 v5, v[1:4]
	s_wait_dscnt 0x0
	s_barrier_signal -1
	s_barrier_wait -1
	global_inv scope:SCOPE_SE
	v_cmpx_gt_u32_e32 10, v0
	s_cbranch_execz .LBB125_67
; %bb.64:
	v_dual_mov_b32 v1, 0 :: v_dual_add_nc_u32 v8, 0x3e0, v13
	v_mov_b32_e32 v3, 0
	v_dual_mov_b32 v2, 0 :: v_dual_add_nc_u32 v7, -1, v0
	v_mov_b32_e32 v4, 0
	v_or_b32_e32 v9, 8, v14
	s_mov_b32 s1, 0
.LBB125_65:                             ; =>This Inner Loop Header: Depth=1
	scratch_load_b128 v[15:18], v9, off offset:-8
	ds_load_b128 v[19:22], v8
	v_add_nc_u32_e32 v7, 1, v7
	v_add_nc_u32_e32 v8, 16, v8
	v_add_nc_u32_e32 v9, 16, v9
	s_delay_alu instid0(VALU_DEP_3)
	v_cmp_lt_u32_e32 vcc_lo, 8, v7
	s_wait_alu 0xfffe
	s_or_b32 s1, vcc_lo, s1
	s_wait_loadcnt_dscnt 0x0
	v_mul_f64_e32 v[10:11], v[21:22], v[17:18]
	v_mul_f64_e32 v[17:18], v[19:20], v[17:18]
	s_delay_alu instid0(VALU_DEP_2) | instskip(NEXT) | instid1(VALU_DEP_2)
	v_fma_f64 v[10:11], v[19:20], v[15:16], -v[10:11]
	v_fma_f64 v[15:16], v[21:22], v[15:16], v[17:18]
	s_delay_alu instid0(VALU_DEP_2) | instskip(NEXT) | instid1(VALU_DEP_2)
	v_add_f64_e32 v[3:4], v[3:4], v[10:11]
	v_add_f64_e32 v[1:2], v[1:2], v[15:16]
	s_wait_alu 0xfffe
	s_and_not1_b32 exec_lo, exec_lo, s1
	s_cbranch_execnz .LBB125_65
; %bb.66:
	s_or_b32 exec_lo, exec_lo, s1
	v_mov_b32_e32 v7, 0
	ds_load_b128 v[7:10], v7 offset:160
	s_wait_dscnt 0x0
	v_mul_f64_e32 v[11:12], v[1:2], v[9:10]
	v_mul_f64_e32 v[15:16], v[3:4], v[9:10]
	s_delay_alu instid0(VALU_DEP_2) | instskip(NEXT) | instid1(VALU_DEP_2)
	v_fma_f64 v[9:10], v[3:4], v[7:8], -v[11:12]
	v_fma_f64 v[11:12], v[1:2], v[7:8], v[15:16]
	scratch_store_b128 off, v[9:12], off offset:176
.LBB125_67:
	s_wait_alu 0xfffe
	;; [unrolled: 58-line block ×10, first 2 shown]
	s_or_b32 exec_lo, exec_lo, s0
	s_wait_loadcnt 0x0
	s_wait_storecnt 0x0
	s_barrier_signal -1
	s_barrier_wait -1
	global_inv scope:SCOPE_SE
	scratch_load_b128 v[1:4], off, s58
	s_mov_b32 s0, exec_lo
	s_wait_loadcnt 0x0
	ds_store_b128 v5, v[1:4]
	s_wait_dscnt 0x0
	s_barrier_signal -1
	s_barrier_wait -1
	global_inv scope:SCOPE_SE
	v_cmpx_gt_u32_e32 19, v0
	s_cbranch_execz .LBB125_103
; %bb.100:
	v_dual_mov_b32 v1, 0 :: v_dual_add_nc_u32 v8, 0x3e0, v13
	v_mov_b32_e32 v3, 0
	v_dual_mov_b32 v2, 0 :: v_dual_add_nc_u32 v7, -1, v0
	v_mov_b32_e32 v4, 0
	v_or_b32_e32 v9, 8, v14
	s_mov_b32 s1, 0
.LBB125_101:                            ; =>This Inner Loop Header: Depth=1
	scratch_load_b128 v[15:18], v9, off offset:-8
	ds_load_b128 v[19:22], v8
	v_add_nc_u32_e32 v7, 1, v7
	v_add_nc_u32_e32 v8, 16, v8
	v_add_nc_u32_e32 v9, 16, v9
	s_delay_alu instid0(VALU_DEP_3)
	v_cmp_lt_u32_e32 vcc_lo, 17, v7
	s_wait_alu 0xfffe
	s_or_b32 s1, vcc_lo, s1
	s_wait_loadcnt_dscnt 0x0
	v_mul_f64_e32 v[10:11], v[21:22], v[17:18]
	v_mul_f64_e32 v[17:18], v[19:20], v[17:18]
	s_delay_alu instid0(VALU_DEP_2) | instskip(NEXT) | instid1(VALU_DEP_2)
	v_fma_f64 v[10:11], v[19:20], v[15:16], -v[10:11]
	v_fma_f64 v[15:16], v[21:22], v[15:16], v[17:18]
	s_delay_alu instid0(VALU_DEP_2) | instskip(NEXT) | instid1(VALU_DEP_2)
	v_add_f64_e32 v[3:4], v[3:4], v[10:11]
	v_add_f64_e32 v[1:2], v[1:2], v[15:16]
	s_wait_alu 0xfffe
	s_and_not1_b32 exec_lo, exec_lo, s1
	s_cbranch_execnz .LBB125_101
; %bb.102:
	s_or_b32 exec_lo, exec_lo, s1
	v_mov_b32_e32 v7, 0
	ds_load_b128 v[7:10], v7 offset:304
	s_wait_dscnt 0x0
	v_mul_f64_e32 v[11:12], v[1:2], v[9:10]
	v_mul_f64_e32 v[15:16], v[3:4], v[9:10]
	s_delay_alu instid0(VALU_DEP_2) | instskip(NEXT) | instid1(VALU_DEP_2)
	v_fma_f64 v[9:10], v[3:4], v[7:8], -v[11:12]
	v_fma_f64 v[11:12], v[1:2], v[7:8], v[15:16]
	scratch_store_b128 off, v[9:12], off offset:320
.LBB125_103:
	s_wait_alu 0xfffe
	s_or_b32 exec_lo, exec_lo, s0
	s_wait_loadcnt 0x0
	s_wait_storecnt 0x0
	s_barrier_signal -1
	s_barrier_wait -1
	global_inv scope:SCOPE_SE
	scratch_load_b128 v[1:4], off, s57
	s_mov_b32 s0, exec_lo
	s_wait_loadcnt 0x0
	ds_store_b128 v5, v[1:4]
	s_wait_dscnt 0x0
	s_barrier_signal -1
	s_barrier_wait -1
	global_inv scope:SCOPE_SE
	v_cmpx_gt_u32_e32 20, v0
	s_cbranch_execz .LBB125_107
; %bb.104:
	v_dual_mov_b32 v1, 0 :: v_dual_add_nc_u32 v8, 0x3e0, v13
	v_mov_b32_e32 v3, 0
	v_dual_mov_b32 v2, 0 :: v_dual_add_nc_u32 v7, -1, v0
	v_mov_b32_e32 v4, 0
	v_or_b32_e32 v9, 8, v14
	s_mov_b32 s1, 0
.LBB125_105:                            ; =>This Inner Loop Header: Depth=1
	scratch_load_b128 v[15:18], v9, off offset:-8
	ds_load_b128 v[19:22], v8
	v_add_nc_u32_e32 v7, 1, v7
	v_add_nc_u32_e32 v8, 16, v8
	v_add_nc_u32_e32 v9, 16, v9
	s_delay_alu instid0(VALU_DEP_3)
	v_cmp_lt_u32_e32 vcc_lo, 18, v7
	s_wait_alu 0xfffe
	s_or_b32 s1, vcc_lo, s1
	s_wait_loadcnt_dscnt 0x0
	v_mul_f64_e32 v[10:11], v[21:22], v[17:18]
	v_mul_f64_e32 v[17:18], v[19:20], v[17:18]
	s_delay_alu instid0(VALU_DEP_2) | instskip(NEXT) | instid1(VALU_DEP_2)
	v_fma_f64 v[10:11], v[19:20], v[15:16], -v[10:11]
	v_fma_f64 v[15:16], v[21:22], v[15:16], v[17:18]
	s_delay_alu instid0(VALU_DEP_2) | instskip(NEXT) | instid1(VALU_DEP_2)
	v_add_f64_e32 v[3:4], v[3:4], v[10:11]
	v_add_f64_e32 v[1:2], v[1:2], v[15:16]
	s_wait_alu 0xfffe
	s_and_not1_b32 exec_lo, exec_lo, s1
	s_cbranch_execnz .LBB125_105
; %bb.106:
	s_or_b32 exec_lo, exec_lo, s1
	v_mov_b32_e32 v7, 0
	ds_load_b128 v[7:10], v7 offset:320
	s_wait_dscnt 0x0
	v_mul_f64_e32 v[11:12], v[1:2], v[9:10]
	v_mul_f64_e32 v[15:16], v[3:4], v[9:10]
	s_delay_alu instid0(VALU_DEP_2) | instskip(NEXT) | instid1(VALU_DEP_2)
	v_fma_f64 v[9:10], v[3:4], v[7:8], -v[11:12]
	v_fma_f64 v[11:12], v[1:2], v[7:8], v[15:16]
	scratch_store_b128 off, v[9:12], off offset:336
.LBB125_107:
	s_wait_alu 0xfffe
	;; [unrolled: 58-line block ×42, first 2 shown]
	s_or_b32 exec_lo, exec_lo, s0
	s_wait_loadcnt 0x0
	s_wait_storecnt 0x0
	s_barrier_signal -1
	s_barrier_wait -1
	global_inv scope:SCOPE_SE
	scratch_load_b128 v[1:4], off, s5
	s_mov_b32 s0, exec_lo
	s_wait_loadcnt 0x0
	ds_store_b128 v5, v[1:4]
	s_wait_dscnt 0x0
	s_barrier_signal -1
	s_barrier_wait -1
	global_inv scope:SCOPE_SE
	v_cmpx_ne_u32_e32 61, v0
	s_cbranch_execz .LBB125_271
; %bb.268:
	v_mov_b32_e32 v1, 0
	v_dual_mov_b32 v2, 0 :: v_dual_mov_b32 v3, 0
	v_mov_b32_e32 v4, 0
	v_or_b32_e32 v7, 8, v14
	s_mov_b32 s1, 0
.LBB125_269:                            ; =>This Inner Loop Header: Depth=1
	scratch_load_b128 v[8:11], v7, off offset:-8
	ds_load_b128 v[12:15], v5
	v_add_nc_u32_e32 v6, 1, v6
	v_add_nc_u32_e32 v5, 16, v5
	;; [unrolled: 1-line block ×3, first 2 shown]
	s_delay_alu instid0(VALU_DEP_3)
	v_cmp_lt_u32_e32 vcc_lo, 59, v6
	s_wait_alu 0xfffe
	s_or_b32 s1, vcc_lo, s1
	s_wait_loadcnt_dscnt 0x0
	v_mul_f64_e32 v[16:17], v[14:15], v[10:11]
	v_mul_f64_e32 v[10:11], v[12:13], v[10:11]
	s_delay_alu instid0(VALU_DEP_2) | instskip(NEXT) | instid1(VALU_DEP_2)
	v_fma_f64 v[12:13], v[12:13], v[8:9], -v[16:17]
	v_fma_f64 v[8:9], v[14:15], v[8:9], v[10:11]
	s_delay_alu instid0(VALU_DEP_2) | instskip(NEXT) | instid1(VALU_DEP_2)
	v_add_f64_e32 v[3:4], v[3:4], v[12:13]
	v_add_f64_e32 v[1:2], v[1:2], v[8:9]
	s_wait_alu 0xfffe
	s_and_not1_b32 exec_lo, exec_lo, s1
	s_cbranch_execnz .LBB125_269
; %bb.270:
	s_or_b32 exec_lo, exec_lo, s1
	v_mov_b32_e32 v5, 0
	ds_load_b128 v[5:8], v5 offset:976
	s_wait_dscnt 0x0
	v_mul_f64_e32 v[9:10], v[1:2], v[7:8]
	v_mul_f64_e32 v[7:8], v[3:4], v[7:8]
	s_delay_alu instid0(VALU_DEP_2) | instskip(NEXT) | instid1(VALU_DEP_2)
	v_fma_f64 v[3:4], v[3:4], v[5:6], -v[9:10]
	v_fma_f64 v[5:6], v[1:2], v[5:6], v[7:8]
	scratch_store_b128 off, v[3:6], off offset:992
.LBB125_271:
	s_wait_alu 0xfffe
	s_or_b32 exec_lo, exec_lo, s0
	s_mov_b32 s1, -1
	s_wait_loadcnt 0x0
	s_wait_storecnt 0x0
	s_barrier_signal -1
	s_barrier_wait -1
	global_inv scope:SCOPE_SE
.LBB125_272:
	s_wait_alu 0xfffe
	s_and_b32 vcc_lo, exec_lo, s1
	s_wait_alu 0xfffe
	s_cbranch_vccz .LBB125_274
; %bb.273:
	v_mov_b32_e32 v1, 0
	s_lshl_b64 s[0:1], s[10:11], 2
	s_wait_alu 0xfffe
	s_add_nc_u64 s[0:1], s[6:7], s[0:1]
	global_load_b32 v1, v1, s[0:1]
	s_wait_loadcnt 0x0
	v_cmp_ne_u32_e32 vcc_lo, 0, v1
	s_cbranch_vccz .LBB125_275
.LBB125_274:
	s_nop 0
	s_sendmsg sendmsg(MSG_DEALLOC_VGPRS)
	s_endpgm
.LBB125_275:
	v_lshl_add_u32 v166, v0, 4, 0x3e0
	s_mov_b32 s0, exec_lo
	v_cmpx_eq_u32_e32 61, v0
	s_cbranch_execz .LBB125_277
; %bb.276:
	scratch_load_b128 v[1:4], off, s13
	v_mov_b32_e32 v5, 0
	s_delay_alu instid0(VALU_DEP_1)
	v_dual_mov_b32 v6, v5 :: v_dual_mov_b32 v7, v5
	v_mov_b32_e32 v8, v5
	scratch_store_b128 off, v[5:8], off offset:976
	s_wait_loadcnt 0x0
	ds_store_b128 v166, v[1:4]
.LBB125_277:
	s_wait_alu 0xfffe
	s_or_b32 exec_lo, exec_lo, s0
	s_wait_storecnt_dscnt 0x0
	s_barrier_signal -1
	s_barrier_wait -1
	global_inv scope:SCOPE_SE
	s_clause 0x1
	scratch_load_b128 v[2:5], off, off offset:992
	scratch_load_b128 v[6:9], off, off offset:976
	v_mov_b32_e32 v1, 0
	s_mov_b32 s0, exec_lo
	ds_load_b128 v[10:13], v1 offset:1968
	s_wait_loadcnt_dscnt 0x100
	v_mul_f64_e32 v[14:15], v[12:13], v[4:5]
	v_mul_f64_e32 v[4:5], v[10:11], v[4:5]
	s_delay_alu instid0(VALU_DEP_2) | instskip(NEXT) | instid1(VALU_DEP_2)
	v_fma_f64 v[10:11], v[10:11], v[2:3], -v[14:15]
	v_fma_f64 v[2:3], v[12:13], v[2:3], v[4:5]
	s_delay_alu instid0(VALU_DEP_2) | instskip(NEXT) | instid1(VALU_DEP_2)
	v_add_f64_e32 v[4:5], 0, v[10:11]
	v_add_f64_e32 v[10:11], 0, v[2:3]
	s_wait_loadcnt 0x0
	s_delay_alu instid0(VALU_DEP_2) | instskip(NEXT) | instid1(VALU_DEP_2)
	v_add_f64_e64 v[2:3], v[6:7], -v[4:5]
	v_add_f64_e64 v[4:5], v[8:9], -v[10:11]
	scratch_store_b128 off, v[2:5], off offset:976
	v_cmpx_lt_u32_e32 59, v0
	s_cbranch_execz .LBB125_279
; %bb.278:
	scratch_load_b128 v[5:8], off, s16
	v_dual_mov_b32 v2, v1 :: v_dual_mov_b32 v3, v1
	v_mov_b32_e32 v4, v1
	scratch_store_b128 off, v[1:4], off offset:960
	s_wait_loadcnt 0x0
	ds_store_b128 v166, v[5:8]
.LBB125_279:
	s_wait_alu 0xfffe
	s_or_b32 exec_lo, exec_lo, s0
	s_wait_storecnt_dscnt 0x0
	s_barrier_signal -1
	s_barrier_wait -1
	global_inv scope:SCOPE_SE
	s_clause 0x2
	scratch_load_b128 v[2:5], off, off offset:976
	scratch_load_b128 v[6:9], off, off offset:992
	;; [unrolled: 1-line block ×3, first 2 shown]
	ds_load_b128 v[14:17], v1 offset:1952
	ds_load_b128 v[18:21], v1 offset:1968
	s_mov_b32 s0, exec_lo
	s_wait_loadcnt_dscnt 0x201
	v_mul_f64_e32 v[22:23], v[16:17], v[4:5]
	v_mul_f64_e32 v[4:5], v[14:15], v[4:5]
	s_wait_loadcnt_dscnt 0x100
	v_mul_f64_e32 v[24:25], v[18:19], v[8:9]
	v_mul_f64_e32 v[8:9], v[20:21], v[8:9]
	s_delay_alu instid0(VALU_DEP_4) | instskip(NEXT) | instid1(VALU_DEP_4)
	v_fma_f64 v[14:15], v[14:15], v[2:3], -v[22:23]
	v_fma_f64 v[1:2], v[16:17], v[2:3], v[4:5]
	s_delay_alu instid0(VALU_DEP_4) | instskip(NEXT) | instid1(VALU_DEP_4)
	v_fma_f64 v[3:4], v[20:21], v[6:7], v[24:25]
	v_fma_f64 v[5:6], v[18:19], v[6:7], -v[8:9]
	s_delay_alu instid0(VALU_DEP_4) | instskip(NEXT) | instid1(VALU_DEP_4)
	v_add_f64_e32 v[7:8], 0, v[14:15]
	v_add_f64_e32 v[1:2], 0, v[1:2]
	s_delay_alu instid0(VALU_DEP_2) | instskip(NEXT) | instid1(VALU_DEP_2)
	v_add_f64_e32 v[5:6], v[7:8], v[5:6]
	v_add_f64_e32 v[3:4], v[1:2], v[3:4]
	s_wait_loadcnt 0x0
	s_delay_alu instid0(VALU_DEP_2) | instskip(NEXT) | instid1(VALU_DEP_2)
	v_add_f64_e64 v[1:2], v[10:11], -v[5:6]
	v_add_f64_e64 v[3:4], v[12:13], -v[3:4]
	scratch_store_b128 off, v[1:4], off offset:960
	v_cmpx_lt_u32_e32 58, v0
	s_cbranch_execz .LBB125_281
; %bb.280:
	scratch_load_b128 v[1:4], off, s18
	v_mov_b32_e32 v5, 0
	s_delay_alu instid0(VALU_DEP_1)
	v_dual_mov_b32 v6, v5 :: v_dual_mov_b32 v7, v5
	v_mov_b32_e32 v8, v5
	scratch_store_b128 off, v[5:8], off offset:944
	s_wait_loadcnt 0x0
	ds_store_b128 v166, v[1:4]
.LBB125_281:
	s_wait_alu 0xfffe
	s_or_b32 exec_lo, exec_lo, s0
	s_wait_storecnt_dscnt 0x0
	s_barrier_signal -1
	s_barrier_wait -1
	global_inv scope:SCOPE_SE
	s_clause 0x3
	scratch_load_b128 v[2:5], off, off offset:960
	scratch_load_b128 v[6:9], off, off offset:976
	;; [unrolled: 1-line block ×4, first 2 shown]
	v_mov_b32_e32 v1, 0
	ds_load_b128 v[18:21], v1 offset:1936
	ds_load_b128 v[22:25], v1 offset:1952
	s_mov_b32 s0, exec_lo
	s_wait_loadcnt_dscnt 0x301
	v_mul_f64_e32 v[26:27], v[20:21], v[4:5]
	v_mul_f64_e32 v[4:5], v[18:19], v[4:5]
	s_wait_loadcnt_dscnt 0x200
	v_mul_f64_e32 v[28:29], v[22:23], v[8:9]
	v_mul_f64_e32 v[8:9], v[24:25], v[8:9]
	s_delay_alu instid0(VALU_DEP_4) | instskip(NEXT) | instid1(VALU_DEP_4)
	v_fma_f64 v[18:19], v[18:19], v[2:3], -v[26:27]
	v_fma_f64 v[20:21], v[20:21], v[2:3], v[4:5]
	ds_load_b128 v[2:5], v1 offset:1968
	v_fma_f64 v[24:25], v[24:25], v[6:7], v[28:29]
	v_fma_f64 v[6:7], v[22:23], v[6:7], -v[8:9]
	s_wait_loadcnt_dscnt 0x100
	v_mul_f64_e32 v[26:27], v[2:3], v[12:13]
	v_mul_f64_e32 v[12:13], v[4:5], v[12:13]
	v_add_f64_e32 v[8:9], 0, v[18:19]
	v_add_f64_e32 v[18:19], 0, v[20:21]
	s_delay_alu instid0(VALU_DEP_4) | instskip(NEXT) | instid1(VALU_DEP_4)
	v_fma_f64 v[4:5], v[4:5], v[10:11], v[26:27]
	v_fma_f64 v[2:3], v[2:3], v[10:11], -v[12:13]
	s_delay_alu instid0(VALU_DEP_4) | instskip(NEXT) | instid1(VALU_DEP_4)
	v_add_f64_e32 v[6:7], v[8:9], v[6:7]
	v_add_f64_e32 v[8:9], v[18:19], v[24:25]
	s_delay_alu instid0(VALU_DEP_2) | instskip(NEXT) | instid1(VALU_DEP_2)
	v_add_f64_e32 v[2:3], v[6:7], v[2:3]
	v_add_f64_e32 v[4:5], v[8:9], v[4:5]
	s_wait_loadcnt 0x0
	s_delay_alu instid0(VALU_DEP_2) | instskip(NEXT) | instid1(VALU_DEP_2)
	v_add_f64_e64 v[2:3], v[14:15], -v[2:3]
	v_add_f64_e64 v[4:5], v[16:17], -v[4:5]
	scratch_store_b128 off, v[2:5], off offset:944
	v_cmpx_lt_u32_e32 57, v0
	s_cbranch_execz .LBB125_283
; %bb.282:
	scratch_load_b128 v[5:8], off, s19
	v_dual_mov_b32 v2, v1 :: v_dual_mov_b32 v3, v1
	v_mov_b32_e32 v4, v1
	scratch_store_b128 off, v[1:4], off offset:928
	s_wait_loadcnt 0x0
	ds_store_b128 v166, v[5:8]
.LBB125_283:
	s_wait_alu 0xfffe
	s_or_b32 exec_lo, exec_lo, s0
	s_wait_storecnt_dscnt 0x0
	s_barrier_signal -1
	s_barrier_wait -1
	global_inv scope:SCOPE_SE
	s_clause 0x4
	scratch_load_b128 v[2:5], off, off offset:944
	scratch_load_b128 v[6:9], off, off offset:960
	;; [unrolled: 1-line block ×5, first 2 shown]
	ds_load_b128 v[22:25], v1 offset:1920
	ds_load_b128 v[26:29], v1 offset:1936
	s_mov_b32 s0, exec_lo
	s_wait_loadcnt_dscnt 0x401
	v_mul_f64_e32 v[30:31], v[24:25], v[4:5]
	v_mul_f64_e32 v[4:5], v[22:23], v[4:5]
	s_wait_loadcnt_dscnt 0x300
	v_mul_f64_e32 v[32:33], v[26:27], v[8:9]
	v_mul_f64_e32 v[8:9], v[28:29], v[8:9]
	s_delay_alu instid0(VALU_DEP_4) | instskip(NEXT) | instid1(VALU_DEP_4)
	v_fma_f64 v[30:31], v[22:23], v[2:3], -v[30:31]
	v_fma_f64 v[34:35], v[24:25], v[2:3], v[4:5]
	ds_load_b128 v[2:5], v1 offset:1952
	ds_load_b128 v[22:25], v1 offset:1968
	v_fma_f64 v[28:29], v[28:29], v[6:7], v[32:33]
	v_fma_f64 v[6:7], v[26:27], v[6:7], -v[8:9]
	s_wait_loadcnt_dscnt 0x201
	v_mul_f64_e32 v[36:37], v[2:3], v[12:13]
	v_mul_f64_e32 v[12:13], v[4:5], v[12:13]
	v_add_f64_e32 v[8:9], 0, v[30:31]
	v_add_f64_e32 v[26:27], 0, v[34:35]
	s_wait_loadcnt_dscnt 0x100
	v_mul_f64_e32 v[30:31], v[22:23], v[16:17]
	v_mul_f64_e32 v[16:17], v[24:25], v[16:17]
	v_fma_f64 v[4:5], v[4:5], v[10:11], v[36:37]
	v_fma_f64 v[1:2], v[2:3], v[10:11], -v[12:13]
	v_add_f64_e32 v[6:7], v[8:9], v[6:7]
	v_add_f64_e32 v[8:9], v[26:27], v[28:29]
	v_fma_f64 v[10:11], v[24:25], v[14:15], v[30:31]
	v_fma_f64 v[12:13], v[22:23], v[14:15], -v[16:17]
	s_delay_alu instid0(VALU_DEP_4) | instskip(NEXT) | instid1(VALU_DEP_4)
	v_add_f64_e32 v[1:2], v[6:7], v[1:2]
	v_add_f64_e32 v[3:4], v[8:9], v[4:5]
	s_delay_alu instid0(VALU_DEP_2) | instskip(NEXT) | instid1(VALU_DEP_2)
	v_add_f64_e32 v[1:2], v[1:2], v[12:13]
	v_add_f64_e32 v[3:4], v[3:4], v[10:11]
	s_wait_loadcnt 0x0
	s_delay_alu instid0(VALU_DEP_2) | instskip(NEXT) | instid1(VALU_DEP_2)
	v_add_f64_e64 v[1:2], v[18:19], -v[1:2]
	v_add_f64_e64 v[3:4], v[20:21], -v[3:4]
	scratch_store_b128 off, v[1:4], off offset:928
	v_cmpx_lt_u32_e32 56, v0
	s_cbranch_execz .LBB125_285
; %bb.284:
	scratch_load_b128 v[1:4], off, s20
	v_mov_b32_e32 v5, 0
	s_delay_alu instid0(VALU_DEP_1)
	v_dual_mov_b32 v6, v5 :: v_dual_mov_b32 v7, v5
	v_mov_b32_e32 v8, v5
	scratch_store_b128 off, v[5:8], off offset:912
	s_wait_loadcnt 0x0
	ds_store_b128 v166, v[1:4]
.LBB125_285:
	s_wait_alu 0xfffe
	s_or_b32 exec_lo, exec_lo, s0
	s_wait_storecnt_dscnt 0x0
	s_barrier_signal -1
	s_barrier_wait -1
	global_inv scope:SCOPE_SE
	s_clause 0x5
	scratch_load_b128 v[2:5], off, off offset:928
	scratch_load_b128 v[6:9], off, off offset:944
	;; [unrolled: 1-line block ×6, first 2 shown]
	v_mov_b32_e32 v1, 0
	ds_load_b128 v[26:29], v1 offset:1904
	ds_load_b128 v[30:33], v1 offset:1920
	s_mov_b32 s0, exec_lo
	s_wait_loadcnt_dscnt 0x501
	v_mul_f64_e32 v[34:35], v[28:29], v[4:5]
	v_mul_f64_e32 v[4:5], v[26:27], v[4:5]
	s_wait_loadcnt_dscnt 0x400
	v_mul_f64_e32 v[36:37], v[30:31], v[8:9]
	v_mul_f64_e32 v[8:9], v[32:33], v[8:9]
	s_delay_alu instid0(VALU_DEP_4) | instskip(NEXT) | instid1(VALU_DEP_4)
	v_fma_f64 v[34:35], v[26:27], v[2:3], -v[34:35]
	v_fma_f64 v[38:39], v[28:29], v[2:3], v[4:5]
	ds_load_b128 v[2:5], v1 offset:1936
	ds_load_b128 v[26:29], v1 offset:1952
	v_fma_f64 v[32:33], v[32:33], v[6:7], v[36:37]
	v_fma_f64 v[6:7], v[30:31], v[6:7], -v[8:9]
	s_wait_loadcnt_dscnt 0x301
	v_mul_f64_e32 v[40:41], v[2:3], v[12:13]
	v_mul_f64_e32 v[12:13], v[4:5], v[12:13]
	v_add_f64_e32 v[8:9], 0, v[34:35]
	v_add_f64_e32 v[30:31], 0, v[38:39]
	s_wait_loadcnt_dscnt 0x200
	v_mul_f64_e32 v[34:35], v[26:27], v[16:17]
	v_mul_f64_e32 v[16:17], v[28:29], v[16:17]
	v_fma_f64 v[36:37], v[4:5], v[10:11], v[40:41]
	v_fma_f64 v[10:11], v[2:3], v[10:11], -v[12:13]
	ds_load_b128 v[2:5], v1 offset:1968
	v_add_f64_e32 v[6:7], v[8:9], v[6:7]
	v_add_f64_e32 v[8:9], v[30:31], v[32:33]
	v_fma_f64 v[28:29], v[28:29], v[14:15], v[34:35]
	v_fma_f64 v[14:15], v[26:27], v[14:15], -v[16:17]
	s_wait_loadcnt_dscnt 0x100
	v_mul_f64_e32 v[12:13], v[2:3], v[20:21]
	v_mul_f64_e32 v[20:21], v[4:5], v[20:21]
	v_add_f64_e32 v[6:7], v[6:7], v[10:11]
	v_add_f64_e32 v[8:9], v[8:9], v[36:37]
	s_delay_alu instid0(VALU_DEP_4) | instskip(NEXT) | instid1(VALU_DEP_4)
	v_fma_f64 v[4:5], v[4:5], v[18:19], v[12:13]
	v_fma_f64 v[2:3], v[2:3], v[18:19], -v[20:21]
	s_delay_alu instid0(VALU_DEP_4) | instskip(NEXT) | instid1(VALU_DEP_4)
	v_add_f64_e32 v[6:7], v[6:7], v[14:15]
	v_add_f64_e32 v[8:9], v[8:9], v[28:29]
	s_delay_alu instid0(VALU_DEP_2) | instskip(NEXT) | instid1(VALU_DEP_2)
	v_add_f64_e32 v[2:3], v[6:7], v[2:3]
	v_add_f64_e32 v[4:5], v[8:9], v[4:5]
	s_wait_loadcnt 0x0
	s_delay_alu instid0(VALU_DEP_2) | instskip(NEXT) | instid1(VALU_DEP_2)
	v_add_f64_e64 v[2:3], v[22:23], -v[2:3]
	v_add_f64_e64 v[4:5], v[24:25], -v[4:5]
	scratch_store_b128 off, v[2:5], off offset:912
	v_cmpx_lt_u32_e32 55, v0
	s_cbranch_execz .LBB125_287
; %bb.286:
	scratch_load_b128 v[5:8], off, s21
	v_dual_mov_b32 v2, v1 :: v_dual_mov_b32 v3, v1
	v_mov_b32_e32 v4, v1
	scratch_store_b128 off, v[1:4], off offset:896
	s_wait_loadcnt 0x0
	ds_store_b128 v166, v[5:8]
.LBB125_287:
	s_wait_alu 0xfffe
	s_or_b32 exec_lo, exec_lo, s0
	s_wait_storecnt_dscnt 0x0
	s_barrier_signal -1
	s_barrier_wait -1
	global_inv scope:SCOPE_SE
	s_clause 0x5
	scratch_load_b128 v[2:5], off, off offset:912
	scratch_load_b128 v[6:9], off, off offset:928
	scratch_load_b128 v[10:13], off, off offset:944
	scratch_load_b128 v[14:17], off, off offset:960
	scratch_load_b128 v[18:21], off, off offset:976
	scratch_load_b128 v[22:25], off, off offset:992
	ds_load_b128 v[26:29], v1 offset:1888
	ds_load_b128 v[34:37], v1 offset:1904
	scratch_load_b128 v[30:33], off, off offset:896
	s_mov_b32 s0, exec_lo
	s_wait_loadcnt_dscnt 0x601
	v_mul_f64_e32 v[38:39], v[28:29], v[4:5]
	v_mul_f64_e32 v[4:5], v[26:27], v[4:5]
	s_wait_loadcnt_dscnt 0x500
	v_mul_f64_e32 v[40:41], v[34:35], v[8:9]
	v_mul_f64_e32 v[8:9], v[36:37], v[8:9]
	s_delay_alu instid0(VALU_DEP_4) | instskip(NEXT) | instid1(VALU_DEP_4)
	v_fma_f64 v[38:39], v[26:27], v[2:3], -v[38:39]
	v_fma_f64 v[167:168], v[28:29], v[2:3], v[4:5]
	ds_load_b128 v[2:5], v1 offset:1920
	ds_load_b128 v[26:29], v1 offset:1936
	v_fma_f64 v[36:37], v[36:37], v[6:7], v[40:41]
	v_fma_f64 v[6:7], v[34:35], v[6:7], -v[8:9]
	s_wait_loadcnt_dscnt 0x401
	v_mul_f64_e32 v[169:170], v[2:3], v[12:13]
	v_mul_f64_e32 v[12:13], v[4:5], v[12:13]
	v_add_f64_e32 v[8:9], 0, v[38:39]
	v_add_f64_e32 v[34:35], 0, v[167:168]
	s_wait_loadcnt_dscnt 0x300
	v_mul_f64_e32 v[38:39], v[26:27], v[16:17]
	v_mul_f64_e32 v[16:17], v[28:29], v[16:17]
	v_fma_f64 v[40:41], v[4:5], v[10:11], v[169:170]
	v_fma_f64 v[10:11], v[2:3], v[10:11], -v[12:13]
	v_add_f64_e32 v[12:13], v[8:9], v[6:7]
	v_add_f64_e32 v[34:35], v[34:35], v[36:37]
	ds_load_b128 v[2:5], v1 offset:1952
	ds_load_b128 v[6:9], v1 offset:1968
	v_fma_f64 v[28:29], v[28:29], v[14:15], v[38:39]
	v_fma_f64 v[14:15], v[26:27], v[14:15], -v[16:17]
	s_wait_loadcnt_dscnt 0x201
	v_mul_f64_e32 v[36:37], v[2:3], v[20:21]
	v_mul_f64_e32 v[20:21], v[4:5], v[20:21]
	s_wait_loadcnt_dscnt 0x100
	v_mul_f64_e32 v[16:17], v[6:7], v[24:25]
	v_mul_f64_e32 v[24:25], v[8:9], v[24:25]
	v_add_f64_e32 v[10:11], v[12:13], v[10:11]
	v_add_f64_e32 v[12:13], v[34:35], v[40:41]
	v_fma_f64 v[4:5], v[4:5], v[18:19], v[36:37]
	v_fma_f64 v[1:2], v[2:3], v[18:19], -v[20:21]
	v_fma_f64 v[8:9], v[8:9], v[22:23], v[16:17]
	v_fma_f64 v[6:7], v[6:7], v[22:23], -v[24:25]
	v_add_f64_e32 v[10:11], v[10:11], v[14:15]
	v_add_f64_e32 v[12:13], v[12:13], v[28:29]
	s_delay_alu instid0(VALU_DEP_2) | instskip(NEXT) | instid1(VALU_DEP_2)
	v_add_f64_e32 v[1:2], v[10:11], v[1:2]
	v_add_f64_e32 v[3:4], v[12:13], v[4:5]
	s_delay_alu instid0(VALU_DEP_2) | instskip(NEXT) | instid1(VALU_DEP_2)
	v_add_f64_e32 v[1:2], v[1:2], v[6:7]
	v_add_f64_e32 v[3:4], v[3:4], v[8:9]
	s_wait_loadcnt 0x0
	s_delay_alu instid0(VALU_DEP_2) | instskip(NEXT) | instid1(VALU_DEP_2)
	v_add_f64_e64 v[1:2], v[30:31], -v[1:2]
	v_add_f64_e64 v[3:4], v[32:33], -v[3:4]
	scratch_store_b128 off, v[1:4], off offset:896
	v_cmpx_lt_u32_e32 54, v0
	s_cbranch_execz .LBB125_289
; %bb.288:
	scratch_load_b128 v[1:4], off, s22
	v_mov_b32_e32 v5, 0
	s_delay_alu instid0(VALU_DEP_1)
	v_dual_mov_b32 v6, v5 :: v_dual_mov_b32 v7, v5
	v_mov_b32_e32 v8, v5
	scratch_store_b128 off, v[5:8], off offset:880
	s_wait_loadcnt 0x0
	ds_store_b128 v166, v[1:4]
.LBB125_289:
	s_wait_alu 0xfffe
	s_or_b32 exec_lo, exec_lo, s0
	s_wait_storecnt_dscnt 0x0
	s_barrier_signal -1
	s_barrier_wait -1
	global_inv scope:SCOPE_SE
	s_clause 0x6
	scratch_load_b128 v[2:5], off, off offset:896
	scratch_load_b128 v[6:9], off, off offset:912
	scratch_load_b128 v[10:13], off, off offset:928
	scratch_load_b128 v[14:17], off, off offset:944
	scratch_load_b128 v[18:21], off, off offset:960
	scratch_load_b128 v[22:25], off, off offset:976
	scratch_load_b128 v[26:29], off, off offset:992
	v_mov_b32_e32 v1, 0
	scratch_load_b128 v[34:37], off, off offset:880
	s_mov_b32 s0, exec_lo
	ds_load_b128 v[30:33], v1 offset:1872
	ds_load_b128 v[38:41], v1 offset:1888
	s_wait_loadcnt_dscnt 0x701
	v_mul_f64_e32 v[167:168], v[32:33], v[4:5]
	v_mul_f64_e32 v[4:5], v[30:31], v[4:5]
	s_wait_loadcnt_dscnt 0x600
	v_mul_f64_e32 v[169:170], v[38:39], v[8:9]
	v_mul_f64_e32 v[8:9], v[40:41], v[8:9]
	s_delay_alu instid0(VALU_DEP_4) | instskip(NEXT) | instid1(VALU_DEP_4)
	v_fma_f64 v[167:168], v[30:31], v[2:3], -v[167:168]
	v_fma_f64 v[171:172], v[32:33], v[2:3], v[4:5]
	ds_load_b128 v[2:5], v1 offset:1904
	ds_load_b128 v[30:33], v1 offset:1920
	v_fma_f64 v[40:41], v[40:41], v[6:7], v[169:170]
	v_fma_f64 v[6:7], v[38:39], v[6:7], -v[8:9]
	s_wait_loadcnt_dscnt 0x501
	v_mul_f64_e32 v[173:174], v[2:3], v[12:13]
	v_mul_f64_e32 v[12:13], v[4:5], v[12:13]
	v_add_f64_e32 v[8:9], 0, v[167:168]
	v_add_f64_e32 v[38:39], 0, v[171:172]
	s_wait_loadcnt_dscnt 0x400
	v_mul_f64_e32 v[167:168], v[30:31], v[16:17]
	v_mul_f64_e32 v[16:17], v[32:33], v[16:17]
	v_fma_f64 v[169:170], v[4:5], v[10:11], v[173:174]
	v_fma_f64 v[10:11], v[2:3], v[10:11], -v[12:13]
	v_add_f64_e32 v[12:13], v[8:9], v[6:7]
	v_add_f64_e32 v[38:39], v[38:39], v[40:41]
	ds_load_b128 v[2:5], v1 offset:1936
	ds_load_b128 v[6:9], v1 offset:1952
	v_fma_f64 v[32:33], v[32:33], v[14:15], v[167:168]
	v_fma_f64 v[14:15], v[30:31], v[14:15], -v[16:17]
	s_wait_loadcnt_dscnt 0x301
	v_mul_f64_e32 v[40:41], v[2:3], v[20:21]
	v_mul_f64_e32 v[20:21], v[4:5], v[20:21]
	s_wait_loadcnt_dscnt 0x200
	v_mul_f64_e32 v[16:17], v[6:7], v[24:25]
	v_mul_f64_e32 v[24:25], v[8:9], v[24:25]
	v_add_f64_e32 v[10:11], v[12:13], v[10:11]
	v_add_f64_e32 v[12:13], v[38:39], v[169:170]
	v_fma_f64 v[30:31], v[4:5], v[18:19], v[40:41]
	v_fma_f64 v[18:19], v[2:3], v[18:19], -v[20:21]
	ds_load_b128 v[2:5], v1 offset:1968
	v_fma_f64 v[8:9], v[8:9], v[22:23], v[16:17]
	v_fma_f64 v[6:7], v[6:7], v[22:23], -v[24:25]
	v_add_f64_e32 v[10:11], v[10:11], v[14:15]
	v_add_f64_e32 v[12:13], v[12:13], v[32:33]
	s_wait_loadcnt_dscnt 0x100
	v_mul_f64_e32 v[14:15], v[2:3], v[28:29]
	v_mul_f64_e32 v[20:21], v[4:5], v[28:29]
	s_delay_alu instid0(VALU_DEP_4) | instskip(NEXT) | instid1(VALU_DEP_4)
	v_add_f64_e32 v[10:11], v[10:11], v[18:19]
	v_add_f64_e32 v[12:13], v[12:13], v[30:31]
	s_delay_alu instid0(VALU_DEP_4) | instskip(NEXT) | instid1(VALU_DEP_4)
	v_fma_f64 v[4:5], v[4:5], v[26:27], v[14:15]
	v_fma_f64 v[2:3], v[2:3], v[26:27], -v[20:21]
	s_delay_alu instid0(VALU_DEP_4) | instskip(NEXT) | instid1(VALU_DEP_4)
	v_add_f64_e32 v[6:7], v[10:11], v[6:7]
	v_add_f64_e32 v[8:9], v[12:13], v[8:9]
	s_delay_alu instid0(VALU_DEP_2) | instskip(NEXT) | instid1(VALU_DEP_2)
	v_add_f64_e32 v[2:3], v[6:7], v[2:3]
	v_add_f64_e32 v[4:5], v[8:9], v[4:5]
	s_wait_loadcnt 0x0
	s_delay_alu instid0(VALU_DEP_2) | instskip(NEXT) | instid1(VALU_DEP_2)
	v_add_f64_e64 v[2:3], v[34:35], -v[2:3]
	v_add_f64_e64 v[4:5], v[36:37], -v[4:5]
	scratch_store_b128 off, v[2:5], off offset:880
	v_cmpx_lt_u32_e32 53, v0
	s_cbranch_execz .LBB125_291
; %bb.290:
	scratch_load_b128 v[5:8], off, s23
	v_dual_mov_b32 v2, v1 :: v_dual_mov_b32 v3, v1
	v_mov_b32_e32 v4, v1
	scratch_store_b128 off, v[1:4], off offset:864
	s_wait_loadcnt 0x0
	ds_store_b128 v166, v[5:8]
.LBB125_291:
	s_wait_alu 0xfffe
	s_or_b32 exec_lo, exec_lo, s0
	s_wait_storecnt_dscnt 0x0
	s_barrier_signal -1
	s_barrier_wait -1
	global_inv scope:SCOPE_SE
	s_clause 0x7
	scratch_load_b128 v[2:5], off, off offset:880
	scratch_load_b128 v[6:9], off, off offset:896
	;; [unrolled: 1-line block ×8, first 2 shown]
	ds_load_b128 v[34:37], v1 offset:1856
	ds_load_b128 v[38:41], v1 offset:1872
	scratch_load_b128 v[167:170], off, off offset:864
	s_mov_b32 s0, exec_lo
	s_wait_loadcnt_dscnt 0x801
	v_mul_f64_e32 v[171:172], v[36:37], v[4:5]
	v_mul_f64_e32 v[4:5], v[34:35], v[4:5]
	s_wait_loadcnt_dscnt 0x700
	v_mul_f64_e32 v[173:174], v[38:39], v[8:9]
	v_mul_f64_e32 v[8:9], v[40:41], v[8:9]
	s_delay_alu instid0(VALU_DEP_4) | instskip(NEXT) | instid1(VALU_DEP_4)
	v_fma_f64 v[171:172], v[34:35], v[2:3], -v[171:172]
	v_fma_f64 v[175:176], v[36:37], v[2:3], v[4:5]
	ds_load_b128 v[2:5], v1 offset:1888
	ds_load_b128 v[34:37], v1 offset:1904
	v_fma_f64 v[40:41], v[40:41], v[6:7], v[173:174]
	v_fma_f64 v[6:7], v[38:39], v[6:7], -v[8:9]
	s_wait_loadcnt_dscnt 0x601
	v_mul_f64_e32 v[177:178], v[2:3], v[12:13]
	v_mul_f64_e32 v[12:13], v[4:5], v[12:13]
	v_add_f64_e32 v[8:9], 0, v[171:172]
	v_add_f64_e32 v[38:39], 0, v[175:176]
	s_wait_loadcnt_dscnt 0x500
	v_mul_f64_e32 v[171:172], v[34:35], v[16:17]
	v_mul_f64_e32 v[16:17], v[36:37], v[16:17]
	v_fma_f64 v[173:174], v[4:5], v[10:11], v[177:178]
	v_fma_f64 v[10:11], v[2:3], v[10:11], -v[12:13]
	v_add_f64_e32 v[12:13], v[8:9], v[6:7]
	v_add_f64_e32 v[38:39], v[38:39], v[40:41]
	ds_load_b128 v[2:5], v1 offset:1920
	ds_load_b128 v[6:9], v1 offset:1936
	v_fma_f64 v[36:37], v[36:37], v[14:15], v[171:172]
	v_fma_f64 v[14:15], v[34:35], v[14:15], -v[16:17]
	s_wait_loadcnt_dscnt 0x401
	v_mul_f64_e32 v[40:41], v[2:3], v[20:21]
	v_mul_f64_e32 v[20:21], v[4:5], v[20:21]
	s_wait_loadcnt_dscnt 0x300
	v_mul_f64_e32 v[16:17], v[6:7], v[24:25]
	v_mul_f64_e32 v[24:25], v[8:9], v[24:25]
	v_add_f64_e32 v[10:11], v[12:13], v[10:11]
	v_add_f64_e32 v[12:13], v[38:39], v[173:174]
	v_fma_f64 v[34:35], v[4:5], v[18:19], v[40:41]
	v_fma_f64 v[18:19], v[2:3], v[18:19], -v[20:21]
	v_fma_f64 v[8:9], v[8:9], v[22:23], v[16:17]
	v_fma_f64 v[6:7], v[6:7], v[22:23], -v[24:25]
	v_add_f64_e32 v[14:15], v[10:11], v[14:15]
	v_add_f64_e32 v[20:21], v[12:13], v[36:37]
	ds_load_b128 v[2:5], v1 offset:1952
	ds_load_b128 v[10:13], v1 offset:1968
	s_wait_loadcnt_dscnt 0x201
	v_mul_f64_e32 v[36:37], v[2:3], v[28:29]
	v_mul_f64_e32 v[28:29], v[4:5], v[28:29]
	v_add_f64_e32 v[14:15], v[14:15], v[18:19]
	v_add_f64_e32 v[16:17], v[20:21], v[34:35]
	s_wait_loadcnt_dscnt 0x100
	v_mul_f64_e32 v[18:19], v[10:11], v[32:33]
	v_mul_f64_e32 v[20:21], v[12:13], v[32:33]
	v_fma_f64 v[4:5], v[4:5], v[26:27], v[36:37]
	v_fma_f64 v[1:2], v[2:3], v[26:27], -v[28:29]
	v_add_f64_e32 v[6:7], v[14:15], v[6:7]
	v_add_f64_e32 v[8:9], v[16:17], v[8:9]
	v_fma_f64 v[12:13], v[12:13], v[30:31], v[18:19]
	v_fma_f64 v[10:11], v[10:11], v[30:31], -v[20:21]
	s_delay_alu instid0(VALU_DEP_4) | instskip(NEXT) | instid1(VALU_DEP_4)
	v_add_f64_e32 v[1:2], v[6:7], v[1:2]
	v_add_f64_e32 v[3:4], v[8:9], v[4:5]
	s_delay_alu instid0(VALU_DEP_2) | instskip(NEXT) | instid1(VALU_DEP_2)
	v_add_f64_e32 v[1:2], v[1:2], v[10:11]
	v_add_f64_e32 v[3:4], v[3:4], v[12:13]
	s_wait_loadcnt 0x0
	s_delay_alu instid0(VALU_DEP_2) | instskip(NEXT) | instid1(VALU_DEP_2)
	v_add_f64_e64 v[1:2], v[167:168], -v[1:2]
	v_add_f64_e64 v[3:4], v[169:170], -v[3:4]
	scratch_store_b128 off, v[1:4], off offset:864
	v_cmpx_lt_u32_e32 52, v0
	s_cbranch_execz .LBB125_293
; %bb.292:
	scratch_load_b128 v[1:4], off, s24
	v_mov_b32_e32 v5, 0
	s_delay_alu instid0(VALU_DEP_1)
	v_dual_mov_b32 v6, v5 :: v_dual_mov_b32 v7, v5
	v_mov_b32_e32 v8, v5
	scratch_store_b128 off, v[5:8], off offset:848
	s_wait_loadcnt 0x0
	ds_store_b128 v166, v[1:4]
.LBB125_293:
	s_wait_alu 0xfffe
	s_or_b32 exec_lo, exec_lo, s0
	s_wait_storecnt_dscnt 0x0
	s_barrier_signal -1
	s_barrier_wait -1
	global_inv scope:SCOPE_SE
	s_clause 0x7
	scratch_load_b128 v[2:5], off, off offset:864
	scratch_load_b128 v[6:9], off, off offset:880
	scratch_load_b128 v[10:13], off, off offset:896
	scratch_load_b128 v[14:17], off, off offset:912
	scratch_load_b128 v[18:21], off, off offset:928
	scratch_load_b128 v[22:25], off, off offset:944
	scratch_load_b128 v[26:29], off, off offset:960
	scratch_load_b128 v[30:33], off, off offset:976
	v_mov_b32_e32 v1, 0
	s_mov_b32 s0, exec_lo
	ds_load_b128 v[34:37], v1 offset:1840
	s_clause 0x1
	scratch_load_b128 v[38:41], off, off offset:992
	scratch_load_b128 v[167:170], off, off offset:848
	ds_load_b128 v[171:174], v1 offset:1856
	s_wait_loadcnt_dscnt 0x901
	v_mul_f64_e32 v[175:176], v[36:37], v[4:5]
	v_mul_f64_e32 v[4:5], v[34:35], v[4:5]
	s_wait_loadcnt_dscnt 0x800
	v_mul_f64_e32 v[177:178], v[171:172], v[8:9]
	v_mul_f64_e32 v[8:9], v[173:174], v[8:9]
	s_delay_alu instid0(VALU_DEP_4) | instskip(NEXT) | instid1(VALU_DEP_4)
	v_fma_f64 v[175:176], v[34:35], v[2:3], -v[175:176]
	v_fma_f64 v[179:180], v[36:37], v[2:3], v[4:5]
	ds_load_b128 v[2:5], v1 offset:1872
	ds_load_b128 v[34:37], v1 offset:1888
	v_fma_f64 v[173:174], v[173:174], v[6:7], v[177:178]
	v_fma_f64 v[6:7], v[171:172], v[6:7], -v[8:9]
	s_wait_loadcnt_dscnt 0x701
	v_mul_f64_e32 v[181:182], v[2:3], v[12:13]
	v_mul_f64_e32 v[12:13], v[4:5], v[12:13]
	v_add_f64_e32 v[8:9], 0, v[175:176]
	v_add_f64_e32 v[171:172], 0, v[179:180]
	s_wait_loadcnt_dscnt 0x600
	v_mul_f64_e32 v[175:176], v[34:35], v[16:17]
	v_mul_f64_e32 v[16:17], v[36:37], v[16:17]
	v_fma_f64 v[177:178], v[4:5], v[10:11], v[181:182]
	v_fma_f64 v[10:11], v[2:3], v[10:11], -v[12:13]
	v_add_f64_e32 v[12:13], v[8:9], v[6:7]
	v_add_f64_e32 v[171:172], v[171:172], v[173:174]
	ds_load_b128 v[2:5], v1 offset:1904
	ds_load_b128 v[6:9], v1 offset:1920
	v_fma_f64 v[36:37], v[36:37], v[14:15], v[175:176]
	v_fma_f64 v[14:15], v[34:35], v[14:15], -v[16:17]
	s_wait_loadcnt_dscnt 0x501
	v_mul_f64_e32 v[173:174], v[2:3], v[20:21]
	v_mul_f64_e32 v[20:21], v[4:5], v[20:21]
	s_wait_loadcnt_dscnt 0x400
	v_mul_f64_e32 v[16:17], v[6:7], v[24:25]
	v_mul_f64_e32 v[24:25], v[8:9], v[24:25]
	v_add_f64_e32 v[10:11], v[12:13], v[10:11]
	v_add_f64_e32 v[12:13], v[171:172], v[177:178]
	v_fma_f64 v[34:35], v[4:5], v[18:19], v[173:174]
	v_fma_f64 v[18:19], v[2:3], v[18:19], -v[20:21]
	v_fma_f64 v[8:9], v[8:9], v[22:23], v[16:17]
	v_fma_f64 v[6:7], v[6:7], v[22:23], -v[24:25]
	v_add_f64_e32 v[14:15], v[10:11], v[14:15]
	v_add_f64_e32 v[20:21], v[12:13], v[36:37]
	ds_load_b128 v[2:5], v1 offset:1936
	ds_load_b128 v[10:13], v1 offset:1952
	s_wait_loadcnt_dscnt 0x301
	v_mul_f64_e32 v[36:37], v[2:3], v[28:29]
	v_mul_f64_e32 v[28:29], v[4:5], v[28:29]
	v_add_f64_e32 v[14:15], v[14:15], v[18:19]
	v_add_f64_e32 v[16:17], v[20:21], v[34:35]
	s_wait_loadcnt_dscnt 0x200
	v_mul_f64_e32 v[18:19], v[10:11], v[32:33]
	v_mul_f64_e32 v[20:21], v[12:13], v[32:33]
	v_fma_f64 v[22:23], v[4:5], v[26:27], v[36:37]
	v_fma_f64 v[24:25], v[2:3], v[26:27], -v[28:29]
	ds_load_b128 v[2:5], v1 offset:1968
	v_add_f64_e32 v[6:7], v[14:15], v[6:7]
	v_add_f64_e32 v[8:9], v[16:17], v[8:9]
	v_fma_f64 v[12:13], v[12:13], v[30:31], v[18:19]
	v_fma_f64 v[10:11], v[10:11], v[30:31], -v[20:21]
	s_wait_loadcnt_dscnt 0x100
	v_mul_f64_e32 v[14:15], v[2:3], v[40:41]
	v_mul_f64_e32 v[16:17], v[4:5], v[40:41]
	v_add_f64_e32 v[6:7], v[6:7], v[24:25]
	v_add_f64_e32 v[8:9], v[8:9], v[22:23]
	s_delay_alu instid0(VALU_DEP_4) | instskip(NEXT) | instid1(VALU_DEP_4)
	v_fma_f64 v[4:5], v[4:5], v[38:39], v[14:15]
	v_fma_f64 v[2:3], v[2:3], v[38:39], -v[16:17]
	s_delay_alu instid0(VALU_DEP_4) | instskip(NEXT) | instid1(VALU_DEP_4)
	v_add_f64_e32 v[6:7], v[6:7], v[10:11]
	v_add_f64_e32 v[8:9], v[8:9], v[12:13]
	s_delay_alu instid0(VALU_DEP_2) | instskip(NEXT) | instid1(VALU_DEP_2)
	v_add_f64_e32 v[2:3], v[6:7], v[2:3]
	v_add_f64_e32 v[4:5], v[8:9], v[4:5]
	s_wait_loadcnt 0x0
	s_delay_alu instid0(VALU_DEP_2) | instskip(NEXT) | instid1(VALU_DEP_2)
	v_add_f64_e64 v[2:3], v[167:168], -v[2:3]
	v_add_f64_e64 v[4:5], v[169:170], -v[4:5]
	scratch_store_b128 off, v[2:5], off offset:848
	v_cmpx_lt_u32_e32 51, v0
	s_cbranch_execz .LBB125_295
; %bb.294:
	scratch_load_b128 v[5:8], off, s25
	v_dual_mov_b32 v2, v1 :: v_dual_mov_b32 v3, v1
	v_mov_b32_e32 v4, v1
	scratch_store_b128 off, v[1:4], off offset:832
	s_wait_loadcnt 0x0
	ds_store_b128 v166, v[5:8]
.LBB125_295:
	s_wait_alu 0xfffe
	s_or_b32 exec_lo, exec_lo, s0
	s_wait_storecnt_dscnt 0x0
	s_barrier_signal -1
	s_barrier_wait -1
	global_inv scope:SCOPE_SE
	s_clause 0x8
	scratch_load_b128 v[2:5], off, off offset:848
	scratch_load_b128 v[6:9], off, off offset:864
	;; [unrolled: 1-line block ×9, first 2 shown]
	ds_load_b128 v[38:41], v1 offset:1824
	ds_load_b128 v[167:170], v1 offset:1840
	s_clause 0x1
	scratch_load_b128 v[171:174], off, off offset:832
	scratch_load_b128 v[175:178], off, off offset:992
	s_mov_b32 s0, exec_lo
	s_wait_loadcnt_dscnt 0xa01
	v_mul_f64_e32 v[179:180], v[40:41], v[4:5]
	v_mul_f64_e32 v[4:5], v[38:39], v[4:5]
	s_wait_loadcnt_dscnt 0x900
	v_mul_f64_e32 v[181:182], v[167:168], v[8:9]
	v_mul_f64_e32 v[8:9], v[169:170], v[8:9]
	s_delay_alu instid0(VALU_DEP_4) | instskip(NEXT) | instid1(VALU_DEP_4)
	v_fma_f64 v[179:180], v[38:39], v[2:3], -v[179:180]
	v_fma_f64 v[183:184], v[40:41], v[2:3], v[4:5]
	ds_load_b128 v[2:5], v1 offset:1856
	ds_load_b128 v[38:41], v1 offset:1872
	v_fma_f64 v[169:170], v[169:170], v[6:7], v[181:182]
	v_fma_f64 v[6:7], v[167:168], v[6:7], -v[8:9]
	s_wait_loadcnt_dscnt 0x801
	v_mul_f64_e32 v[185:186], v[2:3], v[12:13]
	v_mul_f64_e32 v[12:13], v[4:5], v[12:13]
	v_add_f64_e32 v[8:9], 0, v[179:180]
	v_add_f64_e32 v[167:168], 0, v[183:184]
	s_wait_loadcnt_dscnt 0x700
	v_mul_f64_e32 v[179:180], v[38:39], v[16:17]
	v_mul_f64_e32 v[16:17], v[40:41], v[16:17]
	v_fma_f64 v[181:182], v[4:5], v[10:11], v[185:186]
	v_fma_f64 v[10:11], v[2:3], v[10:11], -v[12:13]
	v_add_f64_e32 v[12:13], v[8:9], v[6:7]
	v_add_f64_e32 v[167:168], v[167:168], v[169:170]
	ds_load_b128 v[2:5], v1 offset:1888
	ds_load_b128 v[6:9], v1 offset:1904
	v_fma_f64 v[40:41], v[40:41], v[14:15], v[179:180]
	v_fma_f64 v[14:15], v[38:39], v[14:15], -v[16:17]
	s_wait_loadcnt_dscnt 0x601
	v_mul_f64_e32 v[169:170], v[2:3], v[20:21]
	v_mul_f64_e32 v[20:21], v[4:5], v[20:21]
	s_wait_loadcnt_dscnt 0x500
	v_mul_f64_e32 v[16:17], v[6:7], v[24:25]
	v_mul_f64_e32 v[24:25], v[8:9], v[24:25]
	v_add_f64_e32 v[10:11], v[12:13], v[10:11]
	v_add_f64_e32 v[12:13], v[167:168], v[181:182]
	v_fma_f64 v[38:39], v[4:5], v[18:19], v[169:170]
	v_fma_f64 v[18:19], v[2:3], v[18:19], -v[20:21]
	v_fma_f64 v[8:9], v[8:9], v[22:23], v[16:17]
	v_fma_f64 v[6:7], v[6:7], v[22:23], -v[24:25]
	v_add_f64_e32 v[14:15], v[10:11], v[14:15]
	v_add_f64_e32 v[20:21], v[12:13], v[40:41]
	ds_load_b128 v[2:5], v1 offset:1920
	ds_load_b128 v[10:13], v1 offset:1936
	s_wait_loadcnt_dscnt 0x401
	v_mul_f64_e32 v[40:41], v[2:3], v[28:29]
	v_mul_f64_e32 v[28:29], v[4:5], v[28:29]
	v_add_f64_e32 v[14:15], v[14:15], v[18:19]
	v_add_f64_e32 v[16:17], v[20:21], v[38:39]
	s_wait_loadcnt_dscnt 0x300
	v_mul_f64_e32 v[18:19], v[10:11], v[32:33]
	v_mul_f64_e32 v[20:21], v[12:13], v[32:33]
	v_fma_f64 v[22:23], v[4:5], v[26:27], v[40:41]
	v_fma_f64 v[24:25], v[2:3], v[26:27], -v[28:29]
	v_add_f64_e32 v[14:15], v[14:15], v[6:7]
	v_add_f64_e32 v[16:17], v[16:17], v[8:9]
	ds_load_b128 v[2:5], v1 offset:1952
	ds_load_b128 v[6:9], v1 offset:1968
	v_fma_f64 v[12:13], v[12:13], v[30:31], v[18:19]
	v_fma_f64 v[10:11], v[10:11], v[30:31], -v[20:21]
	s_wait_loadcnt_dscnt 0x201
	v_mul_f64_e32 v[26:27], v[2:3], v[36:37]
	v_mul_f64_e32 v[28:29], v[4:5], v[36:37]
	s_wait_loadcnt_dscnt 0x0
	v_mul_f64_e32 v[18:19], v[6:7], v[177:178]
	v_mul_f64_e32 v[20:21], v[8:9], v[177:178]
	v_add_f64_e32 v[14:15], v[14:15], v[24:25]
	v_add_f64_e32 v[16:17], v[16:17], v[22:23]
	v_fma_f64 v[4:5], v[4:5], v[34:35], v[26:27]
	v_fma_f64 v[1:2], v[2:3], v[34:35], -v[28:29]
	v_fma_f64 v[8:9], v[8:9], v[175:176], v[18:19]
	v_fma_f64 v[6:7], v[6:7], v[175:176], -v[20:21]
	v_add_f64_e32 v[10:11], v[14:15], v[10:11]
	v_add_f64_e32 v[12:13], v[16:17], v[12:13]
	s_delay_alu instid0(VALU_DEP_2) | instskip(NEXT) | instid1(VALU_DEP_2)
	v_add_f64_e32 v[1:2], v[10:11], v[1:2]
	v_add_f64_e32 v[3:4], v[12:13], v[4:5]
	s_delay_alu instid0(VALU_DEP_2) | instskip(NEXT) | instid1(VALU_DEP_2)
	v_add_f64_e32 v[1:2], v[1:2], v[6:7]
	v_add_f64_e32 v[3:4], v[3:4], v[8:9]
	s_delay_alu instid0(VALU_DEP_2) | instskip(NEXT) | instid1(VALU_DEP_2)
	v_add_f64_e64 v[1:2], v[171:172], -v[1:2]
	v_add_f64_e64 v[3:4], v[173:174], -v[3:4]
	scratch_store_b128 off, v[1:4], off offset:832
	v_cmpx_lt_u32_e32 50, v0
	s_cbranch_execz .LBB125_297
; %bb.296:
	scratch_load_b128 v[1:4], off, s26
	v_mov_b32_e32 v5, 0
	s_delay_alu instid0(VALU_DEP_1)
	v_dual_mov_b32 v6, v5 :: v_dual_mov_b32 v7, v5
	v_mov_b32_e32 v8, v5
	scratch_store_b128 off, v[5:8], off offset:816
	s_wait_loadcnt 0x0
	ds_store_b128 v166, v[1:4]
.LBB125_297:
	s_wait_alu 0xfffe
	s_or_b32 exec_lo, exec_lo, s0
	s_wait_storecnt_dscnt 0x0
	s_barrier_signal -1
	s_barrier_wait -1
	global_inv scope:SCOPE_SE
	s_clause 0x7
	scratch_load_b128 v[2:5], off, off offset:832
	scratch_load_b128 v[6:9], off, off offset:848
	;; [unrolled: 1-line block ×8, first 2 shown]
	v_mov_b32_e32 v1, 0
	s_clause 0x1
	scratch_load_b128 v[38:41], off, off offset:960
	scratch_load_b128 v[171:174], off, off offset:976
	s_mov_b32 s0, exec_lo
	ds_load_b128 v[34:37], v1 offset:1808
	ds_load_b128 v[167:170], v1 offset:1824
	s_wait_loadcnt_dscnt 0x901
	v_mul_f64_e32 v[175:176], v[36:37], v[4:5]
	v_mul_f64_e32 v[4:5], v[34:35], v[4:5]
	s_wait_loadcnt_dscnt 0x800
	v_mul_f64_e32 v[177:178], v[167:168], v[8:9]
	v_mul_f64_e32 v[8:9], v[169:170], v[8:9]
	s_delay_alu instid0(VALU_DEP_4) | instskip(NEXT) | instid1(VALU_DEP_4)
	v_fma_f64 v[175:176], v[34:35], v[2:3], -v[175:176]
	v_fma_f64 v[179:180], v[36:37], v[2:3], v[4:5]
	ds_load_b128 v[2:5], v1 offset:1840
	scratch_load_b128 v[34:37], off, off offset:992
	v_fma_f64 v[169:170], v[169:170], v[6:7], v[177:178]
	v_fma_f64 v[167:168], v[167:168], v[6:7], -v[8:9]
	ds_load_b128 v[6:9], v1 offset:1856
	s_wait_loadcnt_dscnt 0x801
	v_mul_f64_e32 v[181:182], v[2:3], v[12:13]
	v_mul_f64_e32 v[12:13], v[4:5], v[12:13]
	v_add_f64_e32 v[175:176], 0, v[175:176]
	v_add_f64_e32 v[177:178], 0, v[179:180]
	s_wait_loadcnt_dscnt 0x700
	v_mul_f64_e32 v[179:180], v[6:7], v[16:17]
	v_mul_f64_e32 v[16:17], v[8:9], v[16:17]
	v_fma_f64 v[181:182], v[4:5], v[10:11], v[181:182]
	v_fma_f64 v[10:11], v[2:3], v[10:11], -v[12:13]
	ds_load_b128 v[2:5], v1 offset:1872
	v_add_f64_e32 v[12:13], v[175:176], v[167:168]
	v_add_f64_e32 v[167:168], v[177:178], v[169:170]
	v_fma_f64 v[175:176], v[8:9], v[14:15], v[179:180]
	v_fma_f64 v[14:15], v[6:7], v[14:15], -v[16:17]
	ds_load_b128 v[6:9], v1 offset:1888
	s_wait_loadcnt_dscnt 0x601
	v_mul_f64_e32 v[169:170], v[2:3], v[20:21]
	v_mul_f64_e32 v[20:21], v[4:5], v[20:21]
	s_wait_loadcnt_dscnt 0x500
	v_mul_f64_e32 v[177:178], v[6:7], v[24:25]
	v_mul_f64_e32 v[24:25], v[8:9], v[24:25]
	v_add_f64_e32 v[16:17], v[12:13], v[10:11]
	v_add_f64_e32 v[167:168], v[167:168], v[181:182]
	scratch_load_b128 v[10:13], off, off offset:816
	v_fma_f64 v[169:170], v[4:5], v[18:19], v[169:170]
	v_fma_f64 v[18:19], v[2:3], v[18:19], -v[20:21]
	ds_load_b128 v[2:5], v1 offset:1904
	v_add_f64_e32 v[14:15], v[16:17], v[14:15]
	v_add_f64_e32 v[16:17], v[167:168], v[175:176]
	v_fma_f64 v[167:168], v[8:9], v[22:23], v[177:178]
	v_fma_f64 v[22:23], v[6:7], v[22:23], -v[24:25]
	ds_load_b128 v[6:9], v1 offset:1920
	s_wait_loadcnt_dscnt 0x501
	v_mul_f64_e32 v[20:21], v[2:3], v[28:29]
	v_mul_f64_e32 v[28:29], v[4:5], v[28:29]
	s_wait_loadcnt_dscnt 0x400
	v_mul_f64_e32 v[24:25], v[8:9], v[32:33]
	v_add_f64_e32 v[14:15], v[14:15], v[18:19]
	v_add_f64_e32 v[16:17], v[16:17], v[169:170]
	v_mul_f64_e32 v[18:19], v[6:7], v[32:33]
	v_fma_f64 v[20:21], v[4:5], v[26:27], v[20:21]
	v_fma_f64 v[26:27], v[2:3], v[26:27], -v[28:29]
	ds_load_b128 v[2:5], v1 offset:1936
	v_fma_f64 v[24:25], v[6:7], v[30:31], -v[24:25]
	v_add_f64_e32 v[14:15], v[14:15], v[22:23]
	v_add_f64_e32 v[16:17], v[16:17], v[167:168]
	v_fma_f64 v[18:19], v[8:9], v[30:31], v[18:19]
	ds_load_b128 v[6:9], v1 offset:1952
	s_wait_loadcnt_dscnt 0x301
	v_mul_f64_e32 v[22:23], v[2:3], v[40:41]
	v_mul_f64_e32 v[28:29], v[4:5], v[40:41]
	v_add_f64_e32 v[14:15], v[14:15], v[26:27]
	v_add_f64_e32 v[16:17], v[16:17], v[20:21]
	s_wait_loadcnt_dscnt 0x200
	v_mul_f64_e32 v[20:21], v[6:7], v[173:174]
	v_mul_f64_e32 v[26:27], v[8:9], v[173:174]
	v_fma_f64 v[22:23], v[4:5], v[38:39], v[22:23]
	v_fma_f64 v[28:29], v[2:3], v[38:39], -v[28:29]
	ds_load_b128 v[2:5], v1 offset:1968
	v_add_f64_e32 v[14:15], v[14:15], v[24:25]
	v_add_f64_e32 v[16:17], v[16:17], v[18:19]
	v_fma_f64 v[8:9], v[8:9], v[171:172], v[20:21]
	v_fma_f64 v[6:7], v[6:7], v[171:172], -v[26:27]
	s_wait_loadcnt_dscnt 0x100
	v_mul_f64_e32 v[18:19], v[2:3], v[36:37]
	v_mul_f64_e32 v[24:25], v[4:5], v[36:37]
	v_add_f64_e32 v[14:15], v[14:15], v[28:29]
	v_add_f64_e32 v[16:17], v[16:17], v[22:23]
	s_delay_alu instid0(VALU_DEP_4) | instskip(NEXT) | instid1(VALU_DEP_4)
	v_fma_f64 v[4:5], v[4:5], v[34:35], v[18:19]
	v_fma_f64 v[2:3], v[2:3], v[34:35], -v[24:25]
	s_delay_alu instid0(VALU_DEP_4) | instskip(NEXT) | instid1(VALU_DEP_4)
	v_add_f64_e32 v[6:7], v[14:15], v[6:7]
	v_add_f64_e32 v[8:9], v[16:17], v[8:9]
	s_delay_alu instid0(VALU_DEP_2) | instskip(NEXT) | instid1(VALU_DEP_2)
	v_add_f64_e32 v[2:3], v[6:7], v[2:3]
	v_add_f64_e32 v[4:5], v[8:9], v[4:5]
	s_wait_loadcnt 0x0
	s_delay_alu instid0(VALU_DEP_2) | instskip(NEXT) | instid1(VALU_DEP_2)
	v_add_f64_e64 v[2:3], v[10:11], -v[2:3]
	v_add_f64_e64 v[4:5], v[12:13], -v[4:5]
	scratch_store_b128 off, v[2:5], off offset:816
	v_cmpx_lt_u32_e32 49, v0
	s_cbranch_execz .LBB125_299
; %bb.298:
	scratch_load_b128 v[5:8], off, s27
	v_dual_mov_b32 v2, v1 :: v_dual_mov_b32 v3, v1
	v_mov_b32_e32 v4, v1
	scratch_store_b128 off, v[1:4], off offset:800
	s_wait_loadcnt 0x0
	ds_store_b128 v166, v[5:8]
.LBB125_299:
	s_wait_alu 0xfffe
	s_or_b32 exec_lo, exec_lo, s0
	s_wait_storecnt_dscnt 0x0
	s_barrier_signal -1
	s_barrier_wait -1
	global_inv scope:SCOPE_SE
	s_clause 0x7
	scratch_load_b128 v[2:5], off, off offset:816
	scratch_load_b128 v[6:9], off, off offset:832
	;; [unrolled: 1-line block ×8, first 2 shown]
	ds_load_b128 v[34:37], v1 offset:1792
	ds_load_b128 v[167:170], v1 offset:1808
	s_clause 0x1
	scratch_load_b128 v[38:41], off, off offset:944
	scratch_load_b128 v[171:174], off, off offset:960
	s_mov_b32 s0, exec_lo
	s_wait_loadcnt_dscnt 0x901
	v_mul_f64_e32 v[175:176], v[36:37], v[4:5]
	v_mul_f64_e32 v[4:5], v[34:35], v[4:5]
	s_wait_loadcnt_dscnt 0x800
	v_mul_f64_e32 v[177:178], v[167:168], v[8:9]
	v_mul_f64_e32 v[8:9], v[169:170], v[8:9]
	s_delay_alu instid0(VALU_DEP_4) | instskip(NEXT) | instid1(VALU_DEP_4)
	v_fma_f64 v[175:176], v[34:35], v[2:3], -v[175:176]
	v_fma_f64 v[179:180], v[36:37], v[2:3], v[4:5]
	ds_load_b128 v[2:5], v1 offset:1824
	scratch_load_b128 v[34:37], off, off offset:976
	v_fma_f64 v[177:178], v[169:170], v[6:7], v[177:178]
	v_fma_f64 v[183:184], v[167:168], v[6:7], -v[8:9]
	ds_load_b128 v[6:9], v1 offset:1840
	scratch_load_b128 v[167:170], off, off offset:992
	s_wait_loadcnt_dscnt 0x901
	v_mul_f64_e32 v[181:182], v[2:3], v[12:13]
	v_mul_f64_e32 v[12:13], v[4:5], v[12:13]
	s_wait_loadcnt_dscnt 0x800
	v_mul_f64_e32 v[185:186], v[6:7], v[16:17]
	v_mul_f64_e32 v[16:17], v[8:9], v[16:17]
	v_add_f64_e32 v[175:176], 0, v[175:176]
	v_add_f64_e32 v[179:180], 0, v[179:180]
	v_fma_f64 v[181:182], v[4:5], v[10:11], v[181:182]
	v_fma_f64 v[10:11], v[2:3], v[10:11], -v[12:13]
	ds_load_b128 v[2:5], v1 offset:1856
	v_add_f64_e32 v[12:13], v[175:176], v[183:184]
	v_add_f64_e32 v[175:176], v[179:180], v[177:178]
	v_fma_f64 v[179:180], v[8:9], v[14:15], v[185:186]
	v_fma_f64 v[14:15], v[6:7], v[14:15], -v[16:17]
	ds_load_b128 v[6:9], v1 offset:1872
	s_wait_loadcnt_dscnt 0x701
	v_mul_f64_e32 v[177:178], v[2:3], v[20:21]
	v_mul_f64_e32 v[20:21], v[4:5], v[20:21]
	s_wait_loadcnt_dscnt 0x600
	v_mul_f64_e32 v[16:17], v[6:7], v[24:25]
	v_mul_f64_e32 v[24:25], v[8:9], v[24:25]
	v_add_f64_e32 v[10:11], v[12:13], v[10:11]
	v_add_f64_e32 v[12:13], v[175:176], v[181:182]
	v_fma_f64 v[175:176], v[4:5], v[18:19], v[177:178]
	v_fma_f64 v[18:19], v[2:3], v[18:19], -v[20:21]
	ds_load_b128 v[2:5], v1 offset:1888
	v_fma_f64 v[16:17], v[8:9], v[22:23], v[16:17]
	v_fma_f64 v[22:23], v[6:7], v[22:23], -v[24:25]
	ds_load_b128 v[6:9], v1 offset:1904
	s_wait_loadcnt_dscnt 0x501
	v_mul_f64_e32 v[177:178], v[2:3], v[28:29]
	v_mul_f64_e32 v[28:29], v[4:5], v[28:29]
	v_add_f64_e32 v[14:15], v[10:11], v[14:15]
	v_add_f64_e32 v[20:21], v[12:13], v[179:180]
	scratch_load_b128 v[10:13], off, off offset:800
	s_wait_loadcnt_dscnt 0x500
	v_mul_f64_e32 v[24:25], v[8:9], v[32:33]
	v_add_f64_e32 v[14:15], v[14:15], v[18:19]
	v_add_f64_e32 v[18:19], v[20:21], v[175:176]
	v_mul_f64_e32 v[20:21], v[6:7], v[32:33]
	v_fma_f64 v[32:33], v[4:5], v[26:27], v[177:178]
	v_fma_f64 v[26:27], v[2:3], v[26:27], -v[28:29]
	ds_load_b128 v[2:5], v1 offset:1920
	v_fma_f64 v[24:25], v[6:7], v[30:31], -v[24:25]
	v_add_f64_e32 v[14:15], v[14:15], v[22:23]
	v_add_f64_e32 v[16:17], v[18:19], v[16:17]
	v_fma_f64 v[20:21], v[8:9], v[30:31], v[20:21]
	ds_load_b128 v[6:9], v1 offset:1936
	s_wait_loadcnt_dscnt 0x401
	v_mul_f64_e32 v[18:19], v[2:3], v[40:41]
	v_mul_f64_e32 v[22:23], v[4:5], v[40:41]
	s_wait_loadcnt_dscnt 0x300
	v_mul_f64_e32 v[28:29], v[8:9], v[173:174]
	v_add_f64_e32 v[14:15], v[14:15], v[26:27]
	v_add_f64_e32 v[16:17], v[16:17], v[32:33]
	v_mul_f64_e32 v[26:27], v[6:7], v[173:174]
	v_fma_f64 v[18:19], v[4:5], v[38:39], v[18:19]
	v_fma_f64 v[22:23], v[2:3], v[38:39], -v[22:23]
	ds_load_b128 v[2:5], v1 offset:1952
	v_fma_f64 v[28:29], v[6:7], v[171:172], -v[28:29]
	v_add_f64_e32 v[14:15], v[14:15], v[24:25]
	v_add_f64_e32 v[16:17], v[16:17], v[20:21]
	v_fma_f64 v[26:27], v[8:9], v[171:172], v[26:27]
	ds_load_b128 v[6:9], v1 offset:1968
	s_wait_loadcnt_dscnt 0x201
	v_mul_f64_e32 v[20:21], v[2:3], v[36:37]
	v_mul_f64_e32 v[24:25], v[4:5], v[36:37]
	v_add_f64_e32 v[14:15], v[14:15], v[22:23]
	v_add_f64_e32 v[16:17], v[16:17], v[18:19]
	s_wait_loadcnt_dscnt 0x100
	v_mul_f64_e32 v[18:19], v[6:7], v[169:170]
	v_mul_f64_e32 v[22:23], v[8:9], v[169:170]
	v_fma_f64 v[4:5], v[4:5], v[34:35], v[20:21]
	v_fma_f64 v[1:2], v[2:3], v[34:35], -v[24:25]
	v_add_f64_e32 v[14:15], v[14:15], v[28:29]
	v_add_f64_e32 v[16:17], v[16:17], v[26:27]
	v_fma_f64 v[8:9], v[8:9], v[167:168], v[18:19]
	v_fma_f64 v[6:7], v[6:7], v[167:168], -v[22:23]
	s_delay_alu instid0(VALU_DEP_4) | instskip(NEXT) | instid1(VALU_DEP_4)
	v_add_f64_e32 v[1:2], v[14:15], v[1:2]
	v_add_f64_e32 v[3:4], v[16:17], v[4:5]
	s_delay_alu instid0(VALU_DEP_2) | instskip(NEXT) | instid1(VALU_DEP_2)
	v_add_f64_e32 v[1:2], v[1:2], v[6:7]
	v_add_f64_e32 v[3:4], v[3:4], v[8:9]
	s_wait_loadcnt 0x0
	s_delay_alu instid0(VALU_DEP_2) | instskip(NEXT) | instid1(VALU_DEP_2)
	v_add_f64_e64 v[1:2], v[10:11], -v[1:2]
	v_add_f64_e64 v[3:4], v[12:13], -v[3:4]
	scratch_store_b128 off, v[1:4], off offset:800
	v_cmpx_lt_u32_e32 48, v0
	s_cbranch_execz .LBB125_301
; %bb.300:
	scratch_load_b128 v[1:4], off, s28
	v_mov_b32_e32 v5, 0
	s_delay_alu instid0(VALU_DEP_1)
	v_dual_mov_b32 v6, v5 :: v_dual_mov_b32 v7, v5
	v_mov_b32_e32 v8, v5
	scratch_store_b128 off, v[5:8], off offset:784
	s_wait_loadcnt 0x0
	ds_store_b128 v166, v[1:4]
.LBB125_301:
	s_wait_alu 0xfffe
	s_or_b32 exec_lo, exec_lo, s0
	s_wait_storecnt_dscnt 0x0
	s_barrier_signal -1
	s_barrier_wait -1
	global_inv scope:SCOPE_SE
	s_clause 0x7
	scratch_load_b128 v[2:5], off, off offset:800
	scratch_load_b128 v[6:9], off, off offset:816
	scratch_load_b128 v[10:13], off, off offset:832
	scratch_load_b128 v[14:17], off, off offset:848
	scratch_load_b128 v[18:21], off, off offset:864
	scratch_load_b128 v[22:25], off, off offset:880
	scratch_load_b128 v[26:29], off, off offset:896
	scratch_load_b128 v[30:33], off, off offset:912
	v_mov_b32_e32 v1, 0
	s_clause 0x1
	scratch_load_b128 v[38:41], off, off offset:928
	scratch_load_b128 v[171:174], off, off offset:944
	s_mov_b32 s0, exec_lo
	ds_load_b128 v[34:37], v1 offset:1776
	ds_load_b128 v[167:170], v1 offset:1792
	s_wait_loadcnt_dscnt 0x901
	v_mul_f64_e32 v[175:176], v[36:37], v[4:5]
	v_mul_f64_e32 v[4:5], v[34:35], v[4:5]
	s_wait_loadcnt_dscnt 0x800
	v_mul_f64_e32 v[177:178], v[167:168], v[8:9]
	v_mul_f64_e32 v[8:9], v[169:170], v[8:9]
	s_delay_alu instid0(VALU_DEP_4) | instskip(NEXT) | instid1(VALU_DEP_4)
	v_fma_f64 v[175:176], v[34:35], v[2:3], -v[175:176]
	v_fma_f64 v[179:180], v[36:37], v[2:3], v[4:5]
	ds_load_b128 v[2:5], v1 offset:1808
	scratch_load_b128 v[34:37], off, off offset:960
	v_fma_f64 v[177:178], v[169:170], v[6:7], v[177:178]
	v_fma_f64 v[183:184], v[167:168], v[6:7], -v[8:9]
	ds_load_b128 v[6:9], v1 offset:1824
	scratch_load_b128 v[167:170], off, off offset:976
	s_wait_loadcnt_dscnt 0x901
	v_mul_f64_e32 v[181:182], v[2:3], v[12:13]
	v_mul_f64_e32 v[12:13], v[4:5], v[12:13]
	s_wait_loadcnt_dscnt 0x800
	v_mul_f64_e32 v[185:186], v[6:7], v[16:17]
	v_mul_f64_e32 v[16:17], v[8:9], v[16:17]
	v_add_f64_e32 v[175:176], 0, v[175:176]
	v_add_f64_e32 v[179:180], 0, v[179:180]
	v_fma_f64 v[181:182], v[4:5], v[10:11], v[181:182]
	v_fma_f64 v[187:188], v[2:3], v[10:11], -v[12:13]
	ds_load_b128 v[2:5], v1 offset:1840
	scratch_load_b128 v[10:13], off, off offset:992
	v_add_f64_e32 v[175:176], v[175:176], v[183:184]
	v_add_f64_e32 v[177:178], v[179:180], v[177:178]
	v_fma_f64 v[183:184], v[8:9], v[14:15], v[185:186]
	v_fma_f64 v[14:15], v[6:7], v[14:15], -v[16:17]
	ds_load_b128 v[6:9], v1 offset:1856
	s_wait_loadcnt_dscnt 0x801
	v_mul_f64_e32 v[179:180], v[2:3], v[20:21]
	v_mul_f64_e32 v[20:21], v[4:5], v[20:21]
	v_add_f64_e32 v[16:17], v[175:176], v[187:188]
	v_add_f64_e32 v[175:176], v[177:178], v[181:182]
	s_wait_loadcnt_dscnt 0x700
	v_mul_f64_e32 v[177:178], v[6:7], v[24:25]
	v_mul_f64_e32 v[24:25], v[8:9], v[24:25]
	v_fma_f64 v[179:180], v[4:5], v[18:19], v[179:180]
	v_fma_f64 v[18:19], v[2:3], v[18:19], -v[20:21]
	ds_load_b128 v[2:5], v1 offset:1872
	v_add_f64_e32 v[14:15], v[16:17], v[14:15]
	v_add_f64_e32 v[16:17], v[175:176], v[183:184]
	v_fma_f64 v[175:176], v[8:9], v[22:23], v[177:178]
	v_fma_f64 v[22:23], v[6:7], v[22:23], -v[24:25]
	ds_load_b128 v[6:9], v1 offset:1888
	s_wait_loadcnt_dscnt 0x601
	v_mul_f64_e32 v[20:21], v[2:3], v[28:29]
	v_mul_f64_e32 v[28:29], v[4:5], v[28:29]
	s_wait_loadcnt_dscnt 0x500
	v_mul_f64_e32 v[177:178], v[6:7], v[32:33]
	v_mul_f64_e32 v[32:33], v[8:9], v[32:33]
	v_add_f64_e32 v[18:19], v[14:15], v[18:19]
	v_add_f64_e32 v[24:25], v[16:17], v[179:180]
	scratch_load_b128 v[14:17], off, off offset:784
	v_fma_f64 v[20:21], v[4:5], v[26:27], v[20:21]
	v_fma_f64 v[26:27], v[2:3], v[26:27], -v[28:29]
	ds_load_b128 v[2:5], v1 offset:1904
	s_wait_loadcnt_dscnt 0x500
	v_mul_f64_e32 v[28:29], v[4:5], v[40:41]
	v_add_f64_e32 v[18:19], v[18:19], v[22:23]
	v_add_f64_e32 v[22:23], v[24:25], v[175:176]
	v_mul_f64_e32 v[24:25], v[2:3], v[40:41]
	v_fma_f64 v[40:41], v[8:9], v[30:31], v[177:178]
	v_fma_f64 v[30:31], v[6:7], v[30:31], -v[32:33]
	ds_load_b128 v[6:9], v1 offset:1920
	v_fma_f64 v[28:29], v[2:3], v[38:39], -v[28:29]
	v_add_f64_e32 v[18:19], v[18:19], v[26:27]
	v_add_f64_e32 v[20:21], v[22:23], v[20:21]
	v_fma_f64 v[24:25], v[4:5], v[38:39], v[24:25]
	ds_load_b128 v[2:5], v1 offset:1936
	s_wait_loadcnt_dscnt 0x401
	v_mul_f64_e32 v[22:23], v[6:7], v[173:174]
	v_mul_f64_e32 v[26:27], v[8:9], v[173:174]
	v_add_f64_e32 v[18:19], v[18:19], v[30:31]
	v_add_f64_e32 v[20:21], v[20:21], v[40:41]
	s_delay_alu instid0(VALU_DEP_4) | instskip(NEXT) | instid1(VALU_DEP_4)
	v_fma_f64 v[22:23], v[8:9], v[171:172], v[22:23]
	v_fma_f64 v[26:27], v[6:7], v[171:172], -v[26:27]
	ds_load_b128 v[6:9], v1 offset:1952
	s_wait_loadcnt_dscnt 0x301
	v_mul_f64_e32 v[30:31], v[2:3], v[36:37]
	v_mul_f64_e32 v[32:33], v[4:5], v[36:37]
	v_add_f64_e32 v[18:19], v[18:19], v[28:29]
	v_add_f64_e32 v[20:21], v[20:21], v[24:25]
	s_delay_alu instid0(VALU_DEP_4) | instskip(NEXT) | instid1(VALU_DEP_4)
	v_fma_f64 v[30:31], v[4:5], v[34:35], v[30:31]
	v_fma_f64 v[32:33], v[2:3], v[34:35], -v[32:33]
	ds_load_b128 v[2:5], v1 offset:1968
	s_wait_loadcnt_dscnt 0x201
	v_mul_f64_e32 v[24:25], v[6:7], v[169:170]
	v_mul_f64_e32 v[28:29], v[8:9], v[169:170]
	v_add_f64_e32 v[18:19], v[18:19], v[26:27]
	v_add_f64_e32 v[20:21], v[20:21], v[22:23]
	s_wait_loadcnt_dscnt 0x100
	v_mul_f64_e32 v[22:23], v[2:3], v[12:13]
	v_mul_f64_e32 v[12:13], v[4:5], v[12:13]
	v_fma_f64 v[8:9], v[8:9], v[167:168], v[24:25]
	v_fma_f64 v[6:7], v[6:7], v[167:168], -v[28:29]
	v_add_f64_e32 v[18:19], v[18:19], v[32:33]
	v_add_f64_e32 v[20:21], v[20:21], v[30:31]
	v_fma_f64 v[4:5], v[4:5], v[10:11], v[22:23]
	v_fma_f64 v[2:3], v[2:3], v[10:11], -v[12:13]
	s_delay_alu instid0(VALU_DEP_4) | instskip(NEXT) | instid1(VALU_DEP_4)
	v_add_f64_e32 v[6:7], v[18:19], v[6:7]
	v_add_f64_e32 v[8:9], v[20:21], v[8:9]
	s_delay_alu instid0(VALU_DEP_2) | instskip(NEXT) | instid1(VALU_DEP_2)
	v_add_f64_e32 v[2:3], v[6:7], v[2:3]
	v_add_f64_e32 v[4:5], v[8:9], v[4:5]
	s_wait_loadcnt 0x0
	s_delay_alu instid0(VALU_DEP_2) | instskip(NEXT) | instid1(VALU_DEP_2)
	v_add_f64_e64 v[2:3], v[14:15], -v[2:3]
	v_add_f64_e64 v[4:5], v[16:17], -v[4:5]
	scratch_store_b128 off, v[2:5], off offset:784
	v_cmpx_lt_u32_e32 47, v0
	s_cbranch_execz .LBB125_303
; %bb.302:
	scratch_load_b128 v[5:8], off, s29
	v_dual_mov_b32 v2, v1 :: v_dual_mov_b32 v3, v1
	v_mov_b32_e32 v4, v1
	scratch_store_b128 off, v[1:4], off offset:768
	s_wait_loadcnt 0x0
	ds_store_b128 v166, v[5:8]
.LBB125_303:
	s_wait_alu 0xfffe
	s_or_b32 exec_lo, exec_lo, s0
	s_wait_storecnt_dscnt 0x0
	s_barrier_signal -1
	s_barrier_wait -1
	global_inv scope:SCOPE_SE
	s_clause 0x7
	scratch_load_b128 v[2:5], off, off offset:784
	scratch_load_b128 v[6:9], off, off offset:800
	;; [unrolled: 1-line block ×8, first 2 shown]
	ds_load_b128 v[34:37], v1 offset:1760
	ds_load_b128 v[167:170], v1 offset:1776
	s_clause 0x1
	scratch_load_b128 v[38:41], off, off offset:912
	scratch_load_b128 v[171:174], off, off offset:928
	s_mov_b32 s0, exec_lo
	s_wait_loadcnt_dscnt 0x901
	v_mul_f64_e32 v[175:176], v[36:37], v[4:5]
	v_mul_f64_e32 v[4:5], v[34:35], v[4:5]
	s_wait_loadcnt_dscnt 0x800
	v_mul_f64_e32 v[177:178], v[167:168], v[8:9]
	v_mul_f64_e32 v[8:9], v[169:170], v[8:9]
	s_delay_alu instid0(VALU_DEP_4) | instskip(NEXT) | instid1(VALU_DEP_4)
	v_fma_f64 v[175:176], v[34:35], v[2:3], -v[175:176]
	v_fma_f64 v[179:180], v[36:37], v[2:3], v[4:5]
	ds_load_b128 v[2:5], v1 offset:1792
	scratch_load_b128 v[34:37], off, off offset:944
	v_fma_f64 v[177:178], v[169:170], v[6:7], v[177:178]
	v_fma_f64 v[183:184], v[167:168], v[6:7], -v[8:9]
	ds_load_b128 v[6:9], v1 offset:1808
	scratch_load_b128 v[167:170], off, off offset:960
	s_wait_loadcnt_dscnt 0x901
	v_mul_f64_e32 v[181:182], v[2:3], v[12:13]
	v_mul_f64_e32 v[12:13], v[4:5], v[12:13]
	s_wait_loadcnt_dscnt 0x800
	v_mul_f64_e32 v[185:186], v[6:7], v[16:17]
	v_mul_f64_e32 v[16:17], v[8:9], v[16:17]
	v_add_f64_e32 v[175:176], 0, v[175:176]
	v_add_f64_e32 v[179:180], 0, v[179:180]
	v_fma_f64 v[181:182], v[4:5], v[10:11], v[181:182]
	v_fma_f64 v[187:188], v[2:3], v[10:11], -v[12:13]
	ds_load_b128 v[2:5], v1 offset:1824
	scratch_load_b128 v[10:13], off, off offset:976
	v_add_f64_e32 v[175:176], v[175:176], v[183:184]
	v_add_f64_e32 v[177:178], v[179:180], v[177:178]
	v_fma_f64 v[183:184], v[8:9], v[14:15], v[185:186]
	v_fma_f64 v[185:186], v[6:7], v[14:15], -v[16:17]
	ds_load_b128 v[6:9], v1 offset:1840
	scratch_load_b128 v[14:17], off, off offset:992
	s_wait_loadcnt_dscnt 0x901
	v_mul_f64_e32 v[179:180], v[2:3], v[20:21]
	v_mul_f64_e32 v[20:21], v[4:5], v[20:21]
	v_add_f64_e32 v[175:176], v[175:176], v[187:188]
	v_add_f64_e32 v[177:178], v[177:178], v[181:182]
	s_wait_loadcnt_dscnt 0x800
	v_mul_f64_e32 v[181:182], v[6:7], v[24:25]
	v_mul_f64_e32 v[24:25], v[8:9], v[24:25]
	v_fma_f64 v[179:180], v[4:5], v[18:19], v[179:180]
	v_fma_f64 v[18:19], v[2:3], v[18:19], -v[20:21]
	ds_load_b128 v[2:5], v1 offset:1856
	v_add_f64_e32 v[20:21], v[175:176], v[185:186]
	v_add_f64_e32 v[175:176], v[177:178], v[183:184]
	v_fma_f64 v[181:182], v[8:9], v[22:23], v[181:182]
	v_fma_f64 v[22:23], v[6:7], v[22:23], -v[24:25]
	ds_load_b128 v[6:9], v1 offset:1872
	s_wait_loadcnt_dscnt 0x701
	v_mul_f64_e32 v[177:178], v[2:3], v[28:29]
	v_mul_f64_e32 v[28:29], v[4:5], v[28:29]
	s_wait_loadcnt_dscnt 0x600
	v_mul_f64_e32 v[24:25], v[6:7], v[32:33]
	v_mul_f64_e32 v[32:33], v[8:9], v[32:33]
	v_add_f64_e32 v[18:19], v[20:21], v[18:19]
	v_add_f64_e32 v[20:21], v[175:176], v[179:180]
	v_fma_f64 v[175:176], v[4:5], v[26:27], v[177:178]
	v_fma_f64 v[26:27], v[2:3], v[26:27], -v[28:29]
	ds_load_b128 v[2:5], v1 offset:1888
	v_fma_f64 v[24:25], v[8:9], v[30:31], v[24:25]
	v_fma_f64 v[30:31], v[6:7], v[30:31], -v[32:33]
	ds_load_b128 v[6:9], v1 offset:1904
	v_add_f64_e32 v[22:23], v[18:19], v[22:23]
	v_add_f64_e32 v[28:29], v[20:21], v[181:182]
	scratch_load_b128 v[18:21], off, off offset:768
	s_wait_loadcnt_dscnt 0x601
	v_mul_f64_e32 v[177:178], v[2:3], v[40:41]
	v_mul_f64_e32 v[40:41], v[4:5], v[40:41]
	s_wait_loadcnt_dscnt 0x500
	v_mul_f64_e32 v[32:33], v[8:9], v[173:174]
	v_add_f64_e32 v[22:23], v[22:23], v[26:27]
	v_add_f64_e32 v[26:27], v[28:29], v[175:176]
	v_mul_f64_e32 v[28:29], v[6:7], v[173:174]
	v_fma_f64 v[173:174], v[4:5], v[38:39], v[177:178]
	v_fma_f64 v[38:39], v[2:3], v[38:39], -v[40:41]
	ds_load_b128 v[2:5], v1 offset:1920
	v_fma_f64 v[32:33], v[6:7], v[171:172], -v[32:33]
	v_add_f64_e32 v[22:23], v[22:23], v[30:31]
	v_add_f64_e32 v[24:25], v[26:27], v[24:25]
	v_fma_f64 v[28:29], v[8:9], v[171:172], v[28:29]
	ds_load_b128 v[6:9], v1 offset:1936
	s_wait_loadcnt_dscnt 0x401
	v_mul_f64_e32 v[26:27], v[2:3], v[36:37]
	v_mul_f64_e32 v[30:31], v[4:5], v[36:37]
	s_wait_loadcnt_dscnt 0x300
	v_mul_f64_e32 v[36:37], v[6:7], v[169:170]
	v_add_f64_e32 v[22:23], v[22:23], v[38:39]
	v_add_f64_e32 v[24:25], v[24:25], v[173:174]
	v_mul_f64_e32 v[38:39], v[8:9], v[169:170]
	v_fma_f64 v[26:27], v[4:5], v[34:35], v[26:27]
	v_fma_f64 v[30:31], v[2:3], v[34:35], -v[30:31]
	ds_load_b128 v[2:5], v1 offset:1952
	v_add_f64_e32 v[22:23], v[22:23], v[32:33]
	v_add_f64_e32 v[24:25], v[24:25], v[28:29]
	v_fma_f64 v[32:33], v[8:9], v[167:168], v[36:37]
	v_fma_f64 v[34:35], v[6:7], v[167:168], -v[38:39]
	ds_load_b128 v[6:9], v1 offset:1968
	s_wait_loadcnt_dscnt 0x201
	v_mul_f64_e32 v[28:29], v[2:3], v[12:13]
	v_mul_f64_e32 v[12:13], v[4:5], v[12:13]
	v_add_f64_e32 v[22:23], v[22:23], v[30:31]
	v_add_f64_e32 v[24:25], v[24:25], v[26:27]
	s_wait_loadcnt_dscnt 0x100
	v_mul_f64_e32 v[26:27], v[6:7], v[16:17]
	v_mul_f64_e32 v[16:17], v[8:9], v[16:17]
	v_fma_f64 v[4:5], v[4:5], v[10:11], v[28:29]
	v_fma_f64 v[1:2], v[2:3], v[10:11], -v[12:13]
	v_add_f64_e32 v[10:11], v[22:23], v[34:35]
	v_add_f64_e32 v[12:13], v[24:25], v[32:33]
	v_fma_f64 v[8:9], v[8:9], v[14:15], v[26:27]
	v_fma_f64 v[6:7], v[6:7], v[14:15], -v[16:17]
	s_delay_alu instid0(VALU_DEP_4) | instskip(NEXT) | instid1(VALU_DEP_4)
	v_add_f64_e32 v[1:2], v[10:11], v[1:2]
	v_add_f64_e32 v[3:4], v[12:13], v[4:5]
	s_delay_alu instid0(VALU_DEP_2) | instskip(NEXT) | instid1(VALU_DEP_2)
	v_add_f64_e32 v[1:2], v[1:2], v[6:7]
	v_add_f64_e32 v[3:4], v[3:4], v[8:9]
	s_wait_loadcnt 0x0
	s_delay_alu instid0(VALU_DEP_2) | instskip(NEXT) | instid1(VALU_DEP_2)
	v_add_f64_e64 v[1:2], v[18:19], -v[1:2]
	v_add_f64_e64 v[3:4], v[20:21], -v[3:4]
	scratch_store_b128 off, v[1:4], off offset:768
	v_cmpx_lt_u32_e32 46, v0
	s_cbranch_execz .LBB125_305
; %bb.304:
	scratch_load_b128 v[1:4], off, s30
	v_mov_b32_e32 v5, 0
	s_delay_alu instid0(VALU_DEP_1)
	v_dual_mov_b32 v6, v5 :: v_dual_mov_b32 v7, v5
	v_mov_b32_e32 v8, v5
	scratch_store_b128 off, v[5:8], off offset:752
	s_wait_loadcnt 0x0
	ds_store_b128 v166, v[1:4]
.LBB125_305:
	s_wait_alu 0xfffe
	s_or_b32 exec_lo, exec_lo, s0
	s_wait_storecnt_dscnt 0x0
	s_barrier_signal -1
	s_barrier_wait -1
	global_inv scope:SCOPE_SE
	s_clause 0x7
	scratch_load_b128 v[2:5], off, off offset:768
	scratch_load_b128 v[6:9], off, off offset:784
	;; [unrolled: 1-line block ×8, first 2 shown]
	v_mov_b32_e32 v1, 0
	s_clause 0x1
	scratch_load_b128 v[38:41], off, off offset:896
	scratch_load_b128 v[171:174], off, off offset:912
	s_mov_b32 s0, exec_lo
	ds_load_b128 v[34:37], v1 offset:1744
	ds_load_b128 v[167:170], v1 offset:1760
	s_wait_loadcnt_dscnt 0x901
	v_mul_f64_e32 v[175:176], v[36:37], v[4:5]
	v_mul_f64_e32 v[4:5], v[34:35], v[4:5]
	s_wait_loadcnt_dscnt 0x800
	v_mul_f64_e32 v[177:178], v[167:168], v[8:9]
	v_mul_f64_e32 v[8:9], v[169:170], v[8:9]
	s_delay_alu instid0(VALU_DEP_4) | instskip(NEXT) | instid1(VALU_DEP_4)
	v_fma_f64 v[175:176], v[34:35], v[2:3], -v[175:176]
	v_fma_f64 v[179:180], v[36:37], v[2:3], v[4:5]
	ds_load_b128 v[2:5], v1 offset:1776
	scratch_load_b128 v[34:37], off, off offset:928
	v_fma_f64 v[177:178], v[169:170], v[6:7], v[177:178]
	v_fma_f64 v[183:184], v[167:168], v[6:7], -v[8:9]
	ds_load_b128 v[6:9], v1 offset:1792
	scratch_load_b128 v[167:170], off, off offset:944
	s_wait_loadcnt_dscnt 0x901
	v_mul_f64_e32 v[181:182], v[2:3], v[12:13]
	v_mul_f64_e32 v[12:13], v[4:5], v[12:13]
	s_wait_loadcnt_dscnt 0x800
	v_mul_f64_e32 v[185:186], v[6:7], v[16:17]
	v_mul_f64_e32 v[16:17], v[8:9], v[16:17]
	v_add_f64_e32 v[175:176], 0, v[175:176]
	v_add_f64_e32 v[179:180], 0, v[179:180]
	v_fma_f64 v[181:182], v[4:5], v[10:11], v[181:182]
	v_fma_f64 v[187:188], v[2:3], v[10:11], -v[12:13]
	ds_load_b128 v[2:5], v1 offset:1808
	scratch_load_b128 v[10:13], off, off offset:960
	v_add_f64_e32 v[175:176], v[175:176], v[183:184]
	v_add_f64_e32 v[177:178], v[179:180], v[177:178]
	v_fma_f64 v[183:184], v[8:9], v[14:15], v[185:186]
	v_fma_f64 v[185:186], v[6:7], v[14:15], -v[16:17]
	ds_load_b128 v[6:9], v1 offset:1824
	scratch_load_b128 v[14:17], off, off offset:976
	s_wait_loadcnt_dscnt 0x901
	v_mul_f64_e32 v[179:180], v[2:3], v[20:21]
	v_mul_f64_e32 v[20:21], v[4:5], v[20:21]
	v_add_f64_e32 v[175:176], v[175:176], v[187:188]
	v_add_f64_e32 v[177:178], v[177:178], v[181:182]
	s_wait_loadcnt_dscnt 0x800
	v_mul_f64_e32 v[181:182], v[6:7], v[24:25]
	v_mul_f64_e32 v[24:25], v[8:9], v[24:25]
	v_fma_f64 v[179:180], v[4:5], v[18:19], v[179:180]
	v_fma_f64 v[187:188], v[2:3], v[18:19], -v[20:21]
	ds_load_b128 v[2:5], v1 offset:1840
	scratch_load_b128 v[18:21], off, off offset:992
	v_add_f64_e32 v[175:176], v[175:176], v[185:186]
	v_add_f64_e32 v[177:178], v[177:178], v[183:184]
	v_fma_f64 v[181:182], v[8:9], v[22:23], v[181:182]
	v_fma_f64 v[22:23], v[6:7], v[22:23], -v[24:25]
	ds_load_b128 v[6:9], v1 offset:1856
	s_wait_loadcnt_dscnt 0x801
	v_mul_f64_e32 v[183:184], v[2:3], v[28:29]
	v_mul_f64_e32 v[28:29], v[4:5], v[28:29]
	v_add_f64_e32 v[24:25], v[175:176], v[187:188]
	v_add_f64_e32 v[175:176], v[177:178], v[179:180]
	s_wait_loadcnt_dscnt 0x700
	v_mul_f64_e32 v[177:178], v[6:7], v[32:33]
	v_mul_f64_e32 v[32:33], v[8:9], v[32:33]
	v_fma_f64 v[179:180], v[4:5], v[26:27], v[183:184]
	v_fma_f64 v[26:27], v[2:3], v[26:27], -v[28:29]
	ds_load_b128 v[2:5], v1 offset:1872
	v_add_f64_e32 v[22:23], v[24:25], v[22:23]
	v_add_f64_e32 v[24:25], v[175:176], v[181:182]
	v_fma_f64 v[175:176], v[8:9], v[30:31], v[177:178]
	v_fma_f64 v[30:31], v[6:7], v[30:31], -v[32:33]
	ds_load_b128 v[6:9], v1 offset:1888
	s_wait_loadcnt_dscnt 0x500
	v_mul_f64_e32 v[177:178], v[6:7], v[173:174]
	v_mul_f64_e32 v[173:174], v[8:9], v[173:174]
	v_add_f64_e32 v[26:27], v[22:23], v[26:27]
	v_add_f64_e32 v[32:33], v[24:25], v[179:180]
	scratch_load_b128 v[22:25], off, off offset:752
	v_mul_f64_e32 v[28:29], v[2:3], v[40:41]
	v_mul_f64_e32 v[40:41], v[4:5], v[40:41]
	v_add_f64_e32 v[26:27], v[26:27], v[30:31]
	v_add_f64_e32 v[30:31], v[32:33], v[175:176]
	s_delay_alu instid0(VALU_DEP_4) | instskip(NEXT) | instid1(VALU_DEP_4)
	v_fma_f64 v[28:29], v[4:5], v[38:39], v[28:29]
	v_fma_f64 v[38:39], v[2:3], v[38:39], -v[40:41]
	ds_load_b128 v[2:5], v1 offset:1904
	v_fma_f64 v[40:41], v[8:9], v[171:172], v[177:178]
	v_fma_f64 v[171:172], v[6:7], v[171:172], -v[173:174]
	ds_load_b128 v[6:9], v1 offset:1920
	s_wait_loadcnt_dscnt 0x501
	v_mul_f64_e32 v[32:33], v[2:3], v[36:37]
	v_mul_f64_e32 v[36:37], v[4:5], v[36:37]
	v_add_f64_e32 v[28:29], v[30:31], v[28:29]
	v_add_f64_e32 v[26:27], v[26:27], v[38:39]
	s_wait_loadcnt_dscnt 0x400
	v_mul_f64_e32 v[30:31], v[6:7], v[169:170]
	v_mul_f64_e32 v[38:39], v[8:9], v[169:170]
	v_fma_f64 v[32:33], v[4:5], v[34:35], v[32:33]
	v_fma_f64 v[34:35], v[2:3], v[34:35], -v[36:37]
	ds_load_b128 v[2:5], v1 offset:1936
	v_add_f64_e32 v[28:29], v[28:29], v[40:41]
	v_add_f64_e32 v[26:27], v[26:27], v[171:172]
	v_fma_f64 v[30:31], v[8:9], v[167:168], v[30:31]
	v_fma_f64 v[38:39], v[6:7], v[167:168], -v[38:39]
	ds_load_b128 v[6:9], v1 offset:1952
	s_wait_loadcnt_dscnt 0x301
	v_mul_f64_e32 v[36:37], v[2:3], v[12:13]
	v_mul_f64_e32 v[12:13], v[4:5], v[12:13]
	v_add_f64_e32 v[28:29], v[28:29], v[32:33]
	v_add_f64_e32 v[26:27], v[26:27], v[34:35]
	s_wait_loadcnt_dscnt 0x200
	v_mul_f64_e32 v[32:33], v[6:7], v[16:17]
	v_mul_f64_e32 v[16:17], v[8:9], v[16:17]
	v_fma_f64 v[34:35], v[4:5], v[10:11], v[36:37]
	v_fma_f64 v[10:11], v[2:3], v[10:11], -v[12:13]
	ds_load_b128 v[2:5], v1 offset:1968
	v_add_f64_e32 v[12:13], v[26:27], v[38:39]
	v_add_f64_e32 v[26:27], v[28:29], v[30:31]
	s_wait_loadcnt_dscnt 0x100
	v_mul_f64_e32 v[28:29], v[2:3], v[20:21]
	v_mul_f64_e32 v[20:21], v[4:5], v[20:21]
	v_fma_f64 v[8:9], v[8:9], v[14:15], v[32:33]
	v_fma_f64 v[6:7], v[6:7], v[14:15], -v[16:17]
	v_add_f64_e32 v[10:11], v[12:13], v[10:11]
	v_add_f64_e32 v[12:13], v[26:27], v[34:35]
	v_fma_f64 v[4:5], v[4:5], v[18:19], v[28:29]
	v_fma_f64 v[2:3], v[2:3], v[18:19], -v[20:21]
	s_delay_alu instid0(VALU_DEP_4) | instskip(NEXT) | instid1(VALU_DEP_4)
	v_add_f64_e32 v[6:7], v[10:11], v[6:7]
	v_add_f64_e32 v[8:9], v[12:13], v[8:9]
	s_delay_alu instid0(VALU_DEP_2) | instskip(NEXT) | instid1(VALU_DEP_2)
	v_add_f64_e32 v[2:3], v[6:7], v[2:3]
	v_add_f64_e32 v[4:5], v[8:9], v[4:5]
	s_wait_loadcnt 0x0
	s_delay_alu instid0(VALU_DEP_2) | instskip(NEXT) | instid1(VALU_DEP_2)
	v_add_f64_e64 v[2:3], v[22:23], -v[2:3]
	v_add_f64_e64 v[4:5], v[24:25], -v[4:5]
	scratch_store_b128 off, v[2:5], off offset:752
	v_cmpx_lt_u32_e32 45, v0
	s_cbranch_execz .LBB125_307
; %bb.306:
	scratch_load_b128 v[5:8], off, s31
	v_dual_mov_b32 v2, v1 :: v_dual_mov_b32 v3, v1
	v_mov_b32_e32 v4, v1
	scratch_store_b128 off, v[1:4], off offset:736
	s_wait_loadcnt 0x0
	ds_store_b128 v166, v[5:8]
.LBB125_307:
	s_wait_alu 0xfffe
	s_or_b32 exec_lo, exec_lo, s0
	s_wait_storecnt_dscnt 0x0
	s_barrier_signal -1
	s_barrier_wait -1
	global_inv scope:SCOPE_SE
	s_clause 0x7
	scratch_load_b128 v[2:5], off, off offset:752
	scratch_load_b128 v[6:9], off, off offset:768
	;; [unrolled: 1-line block ×8, first 2 shown]
	ds_load_b128 v[34:37], v1 offset:1728
	ds_load_b128 v[167:170], v1 offset:1744
	s_clause 0x1
	scratch_load_b128 v[38:41], off, off offset:880
	scratch_load_b128 v[171:174], off, off offset:896
	s_mov_b32 s0, exec_lo
	s_wait_loadcnt_dscnt 0x901
	v_mul_f64_e32 v[175:176], v[36:37], v[4:5]
	v_mul_f64_e32 v[4:5], v[34:35], v[4:5]
	s_wait_loadcnt_dscnt 0x800
	v_mul_f64_e32 v[177:178], v[167:168], v[8:9]
	v_mul_f64_e32 v[8:9], v[169:170], v[8:9]
	s_delay_alu instid0(VALU_DEP_4) | instskip(NEXT) | instid1(VALU_DEP_4)
	v_fma_f64 v[175:176], v[34:35], v[2:3], -v[175:176]
	v_fma_f64 v[179:180], v[36:37], v[2:3], v[4:5]
	ds_load_b128 v[2:5], v1 offset:1760
	scratch_load_b128 v[34:37], off, off offset:912
	v_fma_f64 v[177:178], v[169:170], v[6:7], v[177:178]
	v_fma_f64 v[183:184], v[167:168], v[6:7], -v[8:9]
	ds_load_b128 v[6:9], v1 offset:1776
	scratch_load_b128 v[167:170], off, off offset:928
	s_wait_loadcnt_dscnt 0x901
	v_mul_f64_e32 v[181:182], v[2:3], v[12:13]
	v_mul_f64_e32 v[12:13], v[4:5], v[12:13]
	s_wait_loadcnt_dscnt 0x800
	v_mul_f64_e32 v[185:186], v[6:7], v[16:17]
	v_mul_f64_e32 v[16:17], v[8:9], v[16:17]
	v_add_f64_e32 v[175:176], 0, v[175:176]
	v_add_f64_e32 v[179:180], 0, v[179:180]
	v_fma_f64 v[181:182], v[4:5], v[10:11], v[181:182]
	v_fma_f64 v[187:188], v[2:3], v[10:11], -v[12:13]
	ds_load_b128 v[2:5], v1 offset:1792
	scratch_load_b128 v[10:13], off, off offset:944
	v_add_f64_e32 v[175:176], v[175:176], v[183:184]
	v_add_f64_e32 v[177:178], v[179:180], v[177:178]
	v_fma_f64 v[183:184], v[8:9], v[14:15], v[185:186]
	v_fma_f64 v[185:186], v[6:7], v[14:15], -v[16:17]
	ds_load_b128 v[6:9], v1 offset:1808
	scratch_load_b128 v[14:17], off, off offset:960
	s_wait_loadcnt_dscnt 0x901
	v_mul_f64_e32 v[179:180], v[2:3], v[20:21]
	v_mul_f64_e32 v[20:21], v[4:5], v[20:21]
	v_add_f64_e32 v[175:176], v[175:176], v[187:188]
	v_add_f64_e32 v[177:178], v[177:178], v[181:182]
	s_wait_loadcnt_dscnt 0x800
	v_mul_f64_e32 v[181:182], v[6:7], v[24:25]
	v_mul_f64_e32 v[24:25], v[8:9], v[24:25]
	v_fma_f64 v[179:180], v[4:5], v[18:19], v[179:180]
	v_fma_f64 v[187:188], v[2:3], v[18:19], -v[20:21]
	ds_load_b128 v[2:5], v1 offset:1824
	scratch_load_b128 v[18:21], off, off offset:976
	v_add_f64_e32 v[175:176], v[175:176], v[185:186]
	v_add_f64_e32 v[177:178], v[177:178], v[183:184]
	v_fma_f64 v[181:182], v[8:9], v[22:23], v[181:182]
	v_fma_f64 v[185:186], v[6:7], v[22:23], -v[24:25]
	ds_load_b128 v[6:9], v1 offset:1840
	s_wait_loadcnt_dscnt 0x801
	v_mul_f64_e32 v[183:184], v[2:3], v[28:29]
	v_mul_f64_e32 v[28:29], v[4:5], v[28:29]
	scratch_load_b128 v[22:25], off, off offset:992
	v_add_f64_e32 v[175:176], v[175:176], v[187:188]
	v_add_f64_e32 v[177:178], v[177:178], v[179:180]
	s_wait_loadcnt_dscnt 0x800
	v_mul_f64_e32 v[179:180], v[6:7], v[32:33]
	v_mul_f64_e32 v[32:33], v[8:9], v[32:33]
	v_fma_f64 v[183:184], v[4:5], v[26:27], v[183:184]
	v_fma_f64 v[26:27], v[2:3], v[26:27], -v[28:29]
	ds_load_b128 v[2:5], v1 offset:1856
	v_add_f64_e32 v[28:29], v[175:176], v[185:186]
	v_add_f64_e32 v[175:176], v[177:178], v[181:182]
	v_fma_f64 v[179:180], v[8:9], v[30:31], v[179:180]
	v_fma_f64 v[30:31], v[6:7], v[30:31], -v[32:33]
	ds_load_b128 v[6:9], v1 offset:1872
	s_wait_loadcnt_dscnt 0x701
	v_mul_f64_e32 v[177:178], v[2:3], v[40:41]
	v_mul_f64_e32 v[40:41], v[4:5], v[40:41]
	v_add_f64_e32 v[26:27], v[28:29], v[26:27]
	v_add_f64_e32 v[28:29], v[175:176], v[183:184]
	s_delay_alu instid0(VALU_DEP_4) | instskip(NEXT) | instid1(VALU_DEP_4)
	v_fma_f64 v[175:176], v[4:5], v[38:39], v[177:178]
	v_fma_f64 v[38:39], v[2:3], v[38:39], -v[40:41]
	ds_load_b128 v[2:5], v1 offset:1888
	v_add_f64_e32 v[30:31], v[26:27], v[30:31]
	v_add_f64_e32 v[40:41], v[28:29], v[179:180]
	scratch_load_b128 v[26:29], off, off offset:736
	s_wait_loadcnt_dscnt 0x701
	v_mul_f64_e32 v[32:33], v[6:7], v[173:174]
	v_mul_f64_e32 v[173:174], v[8:9], v[173:174]
	v_add_f64_e32 v[30:31], v[30:31], v[38:39]
	v_add_f64_e32 v[38:39], v[40:41], v[175:176]
	s_delay_alu instid0(VALU_DEP_4) | instskip(NEXT) | instid1(VALU_DEP_4)
	v_fma_f64 v[32:33], v[8:9], v[171:172], v[32:33]
	v_fma_f64 v[171:172], v[6:7], v[171:172], -v[173:174]
	ds_load_b128 v[6:9], v1 offset:1904
	s_wait_loadcnt_dscnt 0x601
	v_mul_f64_e32 v[177:178], v[2:3], v[36:37]
	v_mul_f64_e32 v[36:37], v[4:5], v[36:37]
	s_wait_loadcnt_dscnt 0x500
	v_mul_f64_e32 v[40:41], v[6:7], v[169:170]
	v_mul_f64_e32 v[169:170], v[8:9], v[169:170]
	v_add_f64_e32 v[32:33], v[38:39], v[32:33]
	v_add_f64_e32 v[30:31], v[30:31], v[171:172]
	v_fma_f64 v[173:174], v[4:5], v[34:35], v[177:178]
	v_fma_f64 v[34:35], v[2:3], v[34:35], -v[36:37]
	ds_load_b128 v[2:5], v1 offset:1920
	v_fma_f64 v[38:39], v[8:9], v[167:168], v[40:41]
	v_fma_f64 v[40:41], v[6:7], v[167:168], -v[169:170]
	ds_load_b128 v[6:9], v1 offset:1936
	s_wait_loadcnt_dscnt 0x401
	v_mul_f64_e32 v[36:37], v[2:3], v[12:13]
	v_mul_f64_e32 v[12:13], v[4:5], v[12:13]
	v_add_f64_e32 v[32:33], v[32:33], v[173:174]
	v_add_f64_e32 v[30:31], v[30:31], v[34:35]
	s_wait_loadcnt_dscnt 0x300
	v_mul_f64_e32 v[34:35], v[6:7], v[16:17]
	v_mul_f64_e32 v[16:17], v[8:9], v[16:17]
	v_fma_f64 v[36:37], v[4:5], v[10:11], v[36:37]
	v_fma_f64 v[10:11], v[2:3], v[10:11], -v[12:13]
	ds_load_b128 v[2:5], v1 offset:1952
	v_add_f64_e32 v[12:13], v[30:31], v[40:41]
	v_add_f64_e32 v[30:31], v[32:33], v[38:39]
	v_fma_f64 v[34:35], v[8:9], v[14:15], v[34:35]
	v_fma_f64 v[14:15], v[6:7], v[14:15], -v[16:17]
	ds_load_b128 v[6:9], v1 offset:1968
	s_wait_loadcnt_dscnt 0x201
	v_mul_f64_e32 v[32:33], v[2:3], v[20:21]
	v_mul_f64_e32 v[20:21], v[4:5], v[20:21]
	s_wait_loadcnt_dscnt 0x100
	v_mul_f64_e32 v[16:17], v[6:7], v[24:25]
	v_mul_f64_e32 v[24:25], v[8:9], v[24:25]
	v_add_f64_e32 v[10:11], v[12:13], v[10:11]
	v_add_f64_e32 v[12:13], v[30:31], v[36:37]
	v_fma_f64 v[4:5], v[4:5], v[18:19], v[32:33]
	v_fma_f64 v[1:2], v[2:3], v[18:19], -v[20:21]
	v_fma_f64 v[8:9], v[8:9], v[22:23], v[16:17]
	v_fma_f64 v[6:7], v[6:7], v[22:23], -v[24:25]
	v_add_f64_e32 v[10:11], v[10:11], v[14:15]
	v_add_f64_e32 v[12:13], v[12:13], v[34:35]
	s_delay_alu instid0(VALU_DEP_2) | instskip(NEXT) | instid1(VALU_DEP_2)
	v_add_f64_e32 v[1:2], v[10:11], v[1:2]
	v_add_f64_e32 v[3:4], v[12:13], v[4:5]
	s_delay_alu instid0(VALU_DEP_2) | instskip(NEXT) | instid1(VALU_DEP_2)
	v_add_f64_e32 v[1:2], v[1:2], v[6:7]
	v_add_f64_e32 v[3:4], v[3:4], v[8:9]
	s_wait_loadcnt 0x0
	s_delay_alu instid0(VALU_DEP_2) | instskip(NEXT) | instid1(VALU_DEP_2)
	v_add_f64_e64 v[1:2], v[26:27], -v[1:2]
	v_add_f64_e64 v[3:4], v[28:29], -v[3:4]
	scratch_store_b128 off, v[1:4], off offset:736
	v_cmpx_lt_u32_e32 44, v0
	s_cbranch_execz .LBB125_309
; %bb.308:
	scratch_load_b128 v[1:4], off, s33
	v_mov_b32_e32 v5, 0
	s_delay_alu instid0(VALU_DEP_1)
	v_dual_mov_b32 v6, v5 :: v_dual_mov_b32 v7, v5
	v_mov_b32_e32 v8, v5
	scratch_store_b128 off, v[5:8], off offset:720
	s_wait_loadcnt 0x0
	ds_store_b128 v166, v[1:4]
.LBB125_309:
	s_wait_alu 0xfffe
	s_or_b32 exec_lo, exec_lo, s0
	s_wait_storecnt_dscnt 0x0
	s_barrier_signal -1
	s_barrier_wait -1
	global_inv scope:SCOPE_SE
	s_clause 0x7
	scratch_load_b128 v[2:5], off, off offset:736
	scratch_load_b128 v[6:9], off, off offset:752
	;; [unrolled: 1-line block ×8, first 2 shown]
	v_mov_b32_e32 v1, 0
	s_clause 0x1
	scratch_load_b128 v[38:41], off, off offset:864
	scratch_load_b128 v[171:174], off, off offset:880
	s_mov_b32 s0, exec_lo
	ds_load_b128 v[34:37], v1 offset:1712
	ds_load_b128 v[167:170], v1 offset:1728
	s_wait_loadcnt_dscnt 0x901
	v_mul_f64_e32 v[175:176], v[36:37], v[4:5]
	v_mul_f64_e32 v[4:5], v[34:35], v[4:5]
	s_wait_loadcnt_dscnt 0x800
	v_mul_f64_e32 v[177:178], v[167:168], v[8:9]
	v_mul_f64_e32 v[8:9], v[169:170], v[8:9]
	s_delay_alu instid0(VALU_DEP_4) | instskip(NEXT) | instid1(VALU_DEP_4)
	v_fma_f64 v[175:176], v[34:35], v[2:3], -v[175:176]
	v_fma_f64 v[179:180], v[36:37], v[2:3], v[4:5]
	ds_load_b128 v[2:5], v1 offset:1744
	scratch_load_b128 v[34:37], off, off offset:896
	v_fma_f64 v[177:178], v[169:170], v[6:7], v[177:178]
	v_fma_f64 v[183:184], v[167:168], v[6:7], -v[8:9]
	ds_load_b128 v[6:9], v1 offset:1760
	scratch_load_b128 v[167:170], off, off offset:912
	s_wait_loadcnt_dscnt 0x901
	v_mul_f64_e32 v[181:182], v[2:3], v[12:13]
	v_mul_f64_e32 v[12:13], v[4:5], v[12:13]
	s_wait_loadcnt_dscnt 0x800
	v_mul_f64_e32 v[185:186], v[6:7], v[16:17]
	v_mul_f64_e32 v[16:17], v[8:9], v[16:17]
	v_add_f64_e32 v[175:176], 0, v[175:176]
	v_add_f64_e32 v[179:180], 0, v[179:180]
	v_fma_f64 v[181:182], v[4:5], v[10:11], v[181:182]
	v_fma_f64 v[187:188], v[2:3], v[10:11], -v[12:13]
	ds_load_b128 v[2:5], v1 offset:1776
	scratch_load_b128 v[10:13], off, off offset:928
	v_add_f64_e32 v[175:176], v[175:176], v[183:184]
	v_add_f64_e32 v[177:178], v[179:180], v[177:178]
	v_fma_f64 v[183:184], v[8:9], v[14:15], v[185:186]
	v_fma_f64 v[185:186], v[6:7], v[14:15], -v[16:17]
	ds_load_b128 v[6:9], v1 offset:1792
	scratch_load_b128 v[14:17], off, off offset:944
	s_wait_loadcnt_dscnt 0x901
	v_mul_f64_e32 v[179:180], v[2:3], v[20:21]
	v_mul_f64_e32 v[20:21], v[4:5], v[20:21]
	v_add_f64_e32 v[175:176], v[175:176], v[187:188]
	v_add_f64_e32 v[177:178], v[177:178], v[181:182]
	s_wait_loadcnt_dscnt 0x800
	v_mul_f64_e32 v[181:182], v[6:7], v[24:25]
	v_mul_f64_e32 v[24:25], v[8:9], v[24:25]
	v_fma_f64 v[179:180], v[4:5], v[18:19], v[179:180]
	v_fma_f64 v[187:188], v[2:3], v[18:19], -v[20:21]
	ds_load_b128 v[2:5], v1 offset:1808
	scratch_load_b128 v[18:21], off, off offset:960
	v_add_f64_e32 v[175:176], v[175:176], v[185:186]
	v_add_f64_e32 v[177:178], v[177:178], v[183:184]
	v_fma_f64 v[181:182], v[8:9], v[22:23], v[181:182]
	v_fma_f64 v[185:186], v[6:7], v[22:23], -v[24:25]
	ds_load_b128 v[6:9], v1 offset:1824
	s_wait_loadcnt_dscnt 0x801
	v_mul_f64_e32 v[183:184], v[2:3], v[28:29]
	v_mul_f64_e32 v[28:29], v[4:5], v[28:29]
	scratch_load_b128 v[22:25], off, off offset:976
	v_add_f64_e32 v[175:176], v[175:176], v[187:188]
	v_add_f64_e32 v[177:178], v[177:178], v[179:180]
	s_wait_loadcnt_dscnt 0x800
	v_mul_f64_e32 v[179:180], v[6:7], v[32:33]
	v_mul_f64_e32 v[32:33], v[8:9], v[32:33]
	v_fma_f64 v[183:184], v[4:5], v[26:27], v[183:184]
	v_fma_f64 v[187:188], v[2:3], v[26:27], -v[28:29]
	ds_load_b128 v[2:5], v1 offset:1840
	scratch_load_b128 v[26:29], off, off offset:992
	v_add_f64_e32 v[175:176], v[175:176], v[185:186]
	v_add_f64_e32 v[177:178], v[177:178], v[181:182]
	v_fma_f64 v[179:180], v[8:9], v[30:31], v[179:180]
	v_fma_f64 v[30:31], v[6:7], v[30:31], -v[32:33]
	ds_load_b128 v[6:9], v1 offset:1856
	s_wait_loadcnt_dscnt 0x801
	v_mul_f64_e32 v[181:182], v[2:3], v[40:41]
	v_mul_f64_e32 v[40:41], v[4:5], v[40:41]
	v_add_f64_e32 v[32:33], v[175:176], v[187:188]
	v_add_f64_e32 v[175:176], v[177:178], v[183:184]
	s_wait_loadcnt_dscnt 0x700
	v_mul_f64_e32 v[177:178], v[6:7], v[173:174]
	v_mul_f64_e32 v[173:174], v[8:9], v[173:174]
	v_fma_f64 v[181:182], v[4:5], v[38:39], v[181:182]
	v_fma_f64 v[38:39], v[2:3], v[38:39], -v[40:41]
	ds_load_b128 v[2:5], v1 offset:1872
	v_add_f64_e32 v[30:31], v[32:33], v[30:31]
	v_add_f64_e32 v[32:33], v[175:176], v[179:180]
	v_fma_f64 v[175:176], v[8:9], v[171:172], v[177:178]
	v_fma_f64 v[171:172], v[6:7], v[171:172], -v[173:174]
	ds_load_b128 v[6:9], v1 offset:1888
	s_wait_loadcnt_dscnt 0x500
	v_mul_f64_e32 v[177:178], v[6:7], v[169:170]
	v_mul_f64_e32 v[169:170], v[8:9], v[169:170]
	v_add_f64_e32 v[38:39], v[30:31], v[38:39]
	v_add_f64_e32 v[173:174], v[32:33], v[181:182]
	scratch_load_b128 v[30:33], off, off offset:720
	v_mul_f64_e32 v[40:41], v[2:3], v[36:37]
	v_mul_f64_e32 v[36:37], v[4:5], v[36:37]
	s_delay_alu instid0(VALU_DEP_2) | instskip(NEXT) | instid1(VALU_DEP_2)
	v_fma_f64 v[40:41], v[4:5], v[34:35], v[40:41]
	v_fma_f64 v[34:35], v[2:3], v[34:35], -v[36:37]
	v_add_f64_e32 v[36:37], v[38:39], v[171:172]
	v_add_f64_e32 v[38:39], v[173:174], v[175:176]
	ds_load_b128 v[2:5], v1 offset:1904
	v_fma_f64 v[173:174], v[8:9], v[167:168], v[177:178]
	v_fma_f64 v[167:168], v[6:7], v[167:168], -v[169:170]
	ds_load_b128 v[6:9], v1 offset:1920
	s_wait_loadcnt_dscnt 0x501
	v_mul_f64_e32 v[171:172], v[2:3], v[12:13]
	v_mul_f64_e32 v[12:13], v[4:5], v[12:13]
	v_add_f64_e32 v[34:35], v[36:37], v[34:35]
	v_add_f64_e32 v[36:37], v[38:39], v[40:41]
	s_wait_loadcnt_dscnt 0x400
	v_mul_f64_e32 v[38:39], v[6:7], v[16:17]
	v_mul_f64_e32 v[16:17], v[8:9], v[16:17]
	v_fma_f64 v[40:41], v[4:5], v[10:11], v[171:172]
	v_fma_f64 v[10:11], v[2:3], v[10:11], -v[12:13]
	ds_load_b128 v[2:5], v1 offset:1936
	v_add_f64_e32 v[12:13], v[34:35], v[167:168]
	v_add_f64_e32 v[34:35], v[36:37], v[173:174]
	v_fma_f64 v[38:39], v[8:9], v[14:15], v[38:39]
	v_fma_f64 v[14:15], v[6:7], v[14:15], -v[16:17]
	ds_load_b128 v[6:9], v1 offset:1952
	s_wait_loadcnt_dscnt 0x301
	v_mul_f64_e32 v[36:37], v[2:3], v[20:21]
	v_mul_f64_e32 v[20:21], v[4:5], v[20:21]
	s_wait_loadcnt_dscnt 0x200
	v_mul_f64_e32 v[16:17], v[6:7], v[24:25]
	v_mul_f64_e32 v[24:25], v[8:9], v[24:25]
	v_add_f64_e32 v[10:11], v[12:13], v[10:11]
	v_add_f64_e32 v[12:13], v[34:35], v[40:41]
	v_fma_f64 v[34:35], v[4:5], v[18:19], v[36:37]
	v_fma_f64 v[18:19], v[2:3], v[18:19], -v[20:21]
	ds_load_b128 v[2:5], v1 offset:1968
	v_fma_f64 v[8:9], v[8:9], v[22:23], v[16:17]
	v_fma_f64 v[6:7], v[6:7], v[22:23], -v[24:25]
	s_wait_loadcnt_dscnt 0x100
	v_mul_f64_e32 v[20:21], v[4:5], v[28:29]
	v_add_f64_e32 v[10:11], v[10:11], v[14:15]
	v_add_f64_e32 v[12:13], v[12:13], v[38:39]
	v_mul_f64_e32 v[14:15], v[2:3], v[28:29]
	s_delay_alu instid0(VALU_DEP_4) | instskip(NEXT) | instid1(VALU_DEP_4)
	v_fma_f64 v[2:3], v[2:3], v[26:27], -v[20:21]
	v_add_f64_e32 v[10:11], v[10:11], v[18:19]
	s_delay_alu instid0(VALU_DEP_4) | instskip(NEXT) | instid1(VALU_DEP_4)
	v_add_f64_e32 v[12:13], v[12:13], v[34:35]
	v_fma_f64 v[4:5], v[4:5], v[26:27], v[14:15]
	s_delay_alu instid0(VALU_DEP_3) | instskip(NEXT) | instid1(VALU_DEP_3)
	v_add_f64_e32 v[6:7], v[10:11], v[6:7]
	v_add_f64_e32 v[8:9], v[12:13], v[8:9]
	s_delay_alu instid0(VALU_DEP_2) | instskip(NEXT) | instid1(VALU_DEP_2)
	v_add_f64_e32 v[2:3], v[6:7], v[2:3]
	v_add_f64_e32 v[4:5], v[8:9], v[4:5]
	s_wait_loadcnt 0x0
	s_delay_alu instid0(VALU_DEP_2) | instskip(NEXT) | instid1(VALU_DEP_2)
	v_add_f64_e64 v[2:3], v[30:31], -v[2:3]
	v_add_f64_e64 v[4:5], v[32:33], -v[4:5]
	scratch_store_b128 off, v[2:5], off offset:720
	v_cmpx_lt_u32_e32 43, v0
	s_cbranch_execz .LBB125_311
; %bb.310:
	scratch_load_b128 v[5:8], off, s34
	v_dual_mov_b32 v2, v1 :: v_dual_mov_b32 v3, v1
	v_mov_b32_e32 v4, v1
	scratch_store_b128 off, v[1:4], off offset:704
	s_wait_loadcnt 0x0
	ds_store_b128 v166, v[5:8]
.LBB125_311:
	s_wait_alu 0xfffe
	s_or_b32 exec_lo, exec_lo, s0
	s_wait_storecnt_dscnt 0x0
	s_barrier_signal -1
	s_barrier_wait -1
	global_inv scope:SCOPE_SE
	s_clause 0x7
	scratch_load_b128 v[2:5], off, off offset:720
	scratch_load_b128 v[6:9], off, off offset:736
	;; [unrolled: 1-line block ×8, first 2 shown]
	ds_load_b128 v[34:37], v1 offset:1696
	ds_load_b128 v[167:170], v1 offset:1712
	s_clause 0x1
	scratch_load_b128 v[38:41], off, off offset:848
	scratch_load_b128 v[171:174], off, off offset:864
	s_mov_b32 s0, exec_lo
	s_wait_loadcnt_dscnt 0x901
	v_mul_f64_e32 v[175:176], v[36:37], v[4:5]
	v_mul_f64_e32 v[4:5], v[34:35], v[4:5]
	s_wait_loadcnt_dscnt 0x800
	v_mul_f64_e32 v[177:178], v[167:168], v[8:9]
	v_mul_f64_e32 v[8:9], v[169:170], v[8:9]
	s_delay_alu instid0(VALU_DEP_4) | instskip(NEXT) | instid1(VALU_DEP_4)
	v_fma_f64 v[175:176], v[34:35], v[2:3], -v[175:176]
	v_fma_f64 v[179:180], v[36:37], v[2:3], v[4:5]
	scratch_load_b128 v[34:37], off, off offset:880
	ds_load_b128 v[2:5], v1 offset:1728
	v_fma_f64 v[177:178], v[169:170], v[6:7], v[177:178]
	v_fma_f64 v[183:184], v[167:168], v[6:7], -v[8:9]
	ds_load_b128 v[6:9], v1 offset:1744
	scratch_load_b128 v[167:170], off, off offset:896
	s_wait_loadcnt_dscnt 0x901
	v_mul_f64_e32 v[181:182], v[2:3], v[12:13]
	v_mul_f64_e32 v[12:13], v[4:5], v[12:13]
	s_wait_loadcnt_dscnt 0x800
	v_mul_f64_e32 v[185:186], v[6:7], v[16:17]
	v_mul_f64_e32 v[16:17], v[8:9], v[16:17]
	v_add_f64_e32 v[175:176], 0, v[175:176]
	v_add_f64_e32 v[179:180], 0, v[179:180]
	v_fma_f64 v[181:182], v[4:5], v[10:11], v[181:182]
	v_fma_f64 v[187:188], v[2:3], v[10:11], -v[12:13]
	ds_load_b128 v[2:5], v1 offset:1760
	scratch_load_b128 v[10:13], off, off offset:912
	v_add_f64_e32 v[175:176], v[175:176], v[183:184]
	v_add_f64_e32 v[177:178], v[179:180], v[177:178]
	v_fma_f64 v[183:184], v[8:9], v[14:15], v[185:186]
	v_fma_f64 v[185:186], v[6:7], v[14:15], -v[16:17]
	ds_load_b128 v[6:9], v1 offset:1776
	scratch_load_b128 v[14:17], off, off offset:928
	s_wait_loadcnt_dscnt 0x901
	v_mul_f64_e32 v[179:180], v[2:3], v[20:21]
	v_mul_f64_e32 v[20:21], v[4:5], v[20:21]
	v_add_f64_e32 v[175:176], v[175:176], v[187:188]
	v_add_f64_e32 v[177:178], v[177:178], v[181:182]
	s_wait_loadcnt_dscnt 0x800
	v_mul_f64_e32 v[181:182], v[6:7], v[24:25]
	v_mul_f64_e32 v[24:25], v[8:9], v[24:25]
	v_fma_f64 v[179:180], v[4:5], v[18:19], v[179:180]
	v_fma_f64 v[187:188], v[2:3], v[18:19], -v[20:21]
	ds_load_b128 v[2:5], v1 offset:1792
	scratch_load_b128 v[18:21], off, off offset:944
	v_add_f64_e32 v[175:176], v[175:176], v[185:186]
	v_add_f64_e32 v[177:178], v[177:178], v[183:184]
	v_fma_f64 v[181:182], v[8:9], v[22:23], v[181:182]
	v_fma_f64 v[185:186], v[6:7], v[22:23], -v[24:25]
	ds_load_b128 v[6:9], v1 offset:1808
	s_wait_loadcnt_dscnt 0x801
	v_mul_f64_e32 v[183:184], v[2:3], v[28:29]
	v_mul_f64_e32 v[28:29], v[4:5], v[28:29]
	scratch_load_b128 v[22:25], off, off offset:960
	v_add_f64_e32 v[175:176], v[175:176], v[187:188]
	v_add_f64_e32 v[177:178], v[177:178], v[179:180]
	s_wait_loadcnt_dscnt 0x800
	v_mul_f64_e32 v[179:180], v[6:7], v[32:33]
	v_mul_f64_e32 v[32:33], v[8:9], v[32:33]
	v_fma_f64 v[183:184], v[4:5], v[26:27], v[183:184]
	v_fma_f64 v[187:188], v[2:3], v[26:27], -v[28:29]
	ds_load_b128 v[2:5], v1 offset:1824
	scratch_load_b128 v[26:29], off, off offset:976
	v_add_f64_e32 v[175:176], v[175:176], v[185:186]
	v_add_f64_e32 v[177:178], v[177:178], v[181:182]
	v_fma_f64 v[179:180], v[8:9], v[30:31], v[179:180]
	v_fma_f64 v[185:186], v[6:7], v[30:31], -v[32:33]
	ds_load_b128 v[6:9], v1 offset:1840
	s_wait_loadcnt_dscnt 0x801
	v_mul_f64_e32 v[181:182], v[2:3], v[40:41]
	v_mul_f64_e32 v[40:41], v[4:5], v[40:41]
	scratch_load_b128 v[30:33], off, off offset:992
	v_add_f64_e32 v[175:176], v[175:176], v[187:188]
	v_add_f64_e32 v[177:178], v[177:178], v[183:184]
	v_fma_f64 v[181:182], v[4:5], v[38:39], v[181:182]
	v_fma_f64 v[38:39], v[2:3], v[38:39], -v[40:41]
	ds_load_b128 v[2:5], v1 offset:1856
	v_add_f64_e32 v[40:41], v[175:176], v[185:186]
	v_add_f64_e32 v[175:176], v[177:178], v[179:180]
	s_wait_loadcnt_dscnt 0x700
	v_mul_f64_e32 v[177:178], v[2:3], v[36:37]
	v_mul_f64_e32 v[36:37], v[4:5], v[36:37]
	s_delay_alu instid0(VALU_DEP_4) | instskip(NEXT) | instid1(VALU_DEP_4)
	v_add_f64_e32 v[38:39], v[40:41], v[38:39]
	v_add_f64_e32 v[40:41], v[175:176], v[181:182]
	s_delay_alu instid0(VALU_DEP_4) | instskip(NEXT) | instid1(VALU_DEP_4)
	v_fma_f64 v[175:176], v[4:5], v[34:35], v[177:178]
	v_fma_f64 v[177:178], v[2:3], v[34:35], -v[36:37]
	scratch_load_b128 v[34:37], off, off offset:704
	v_mul_f64_e32 v[183:184], v[6:7], v[173:174]
	v_mul_f64_e32 v[173:174], v[8:9], v[173:174]
	ds_load_b128 v[2:5], v1 offset:1888
	v_fma_f64 v[179:180], v[8:9], v[171:172], v[183:184]
	v_fma_f64 v[171:172], v[6:7], v[171:172], -v[173:174]
	ds_load_b128 v[6:9], v1 offset:1872
	s_wait_loadcnt_dscnt 0x700
	v_mul_f64_e32 v[173:174], v[6:7], v[169:170]
	v_mul_f64_e32 v[169:170], v[8:9], v[169:170]
	v_add_f64_e32 v[40:41], v[40:41], v[179:180]
	v_add_f64_e32 v[38:39], v[38:39], v[171:172]
	s_wait_loadcnt 0x6
	v_mul_f64_e32 v[171:172], v[2:3], v[12:13]
	v_mul_f64_e32 v[12:13], v[4:5], v[12:13]
	v_fma_f64 v[173:174], v[8:9], v[167:168], v[173:174]
	v_fma_f64 v[167:168], v[6:7], v[167:168], -v[169:170]
	ds_load_b128 v[6:9], v1 offset:1904
	v_add_f64_e32 v[40:41], v[40:41], v[175:176]
	v_add_f64_e32 v[38:39], v[38:39], v[177:178]
	v_fma_f64 v[171:172], v[4:5], v[10:11], v[171:172]
	v_fma_f64 v[10:11], v[2:3], v[10:11], -v[12:13]
	ds_load_b128 v[2:5], v1 offset:1920
	s_wait_loadcnt_dscnt 0x501
	v_mul_f64_e32 v[169:170], v[6:7], v[16:17]
	v_mul_f64_e32 v[16:17], v[8:9], v[16:17]
	v_add_f64_e32 v[12:13], v[38:39], v[167:168]
	v_add_f64_e32 v[38:39], v[40:41], v[173:174]
	s_wait_loadcnt_dscnt 0x400
	v_mul_f64_e32 v[40:41], v[2:3], v[20:21]
	v_mul_f64_e32 v[20:21], v[4:5], v[20:21]
	v_fma_f64 v[167:168], v[8:9], v[14:15], v[169:170]
	v_fma_f64 v[14:15], v[6:7], v[14:15], -v[16:17]
	ds_load_b128 v[6:9], v1 offset:1936
	v_add_f64_e32 v[10:11], v[12:13], v[10:11]
	v_add_f64_e32 v[12:13], v[38:39], v[171:172]
	v_fma_f64 v[38:39], v[4:5], v[18:19], v[40:41]
	v_fma_f64 v[18:19], v[2:3], v[18:19], -v[20:21]
	ds_load_b128 v[2:5], v1 offset:1952
	s_wait_loadcnt_dscnt 0x301
	v_mul_f64_e32 v[16:17], v[6:7], v[24:25]
	v_mul_f64_e32 v[24:25], v[8:9], v[24:25]
	s_wait_loadcnt_dscnt 0x200
	v_mul_f64_e32 v[20:21], v[4:5], v[28:29]
	v_add_f64_e32 v[10:11], v[10:11], v[14:15]
	v_add_f64_e32 v[12:13], v[12:13], v[167:168]
	v_mul_f64_e32 v[14:15], v[2:3], v[28:29]
	v_fma_f64 v[16:17], v[8:9], v[22:23], v[16:17]
	v_fma_f64 v[22:23], v[6:7], v[22:23], -v[24:25]
	ds_load_b128 v[6:9], v1 offset:1968
	v_fma_f64 v[1:2], v[2:3], v[26:27], -v[20:21]
	s_wait_loadcnt_dscnt 0x100
	v_mul_f64_e32 v[24:25], v[8:9], v[32:33]
	v_add_f64_e32 v[10:11], v[10:11], v[18:19]
	v_add_f64_e32 v[12:13], v[12:13], v[38:39]
	v_mul_f64_e32 v[18:19], v[6:7], v[32:33]
	v_fma_f64 v[4:5], v[4:5], v[26:27], v[14:15]
	v_fma_f64 v[6:7], v[6:7], v[30:31], -v[24:25]
	v_add_f64_e32 v[10:11], v[10:11], v[22:23]
	v_add_f64_e32 v[12:13], v[12:13], v[16:17]
	v_fma_f64 v[8:9], v[8:9], v[30:31], v[18:19]
	s_delay_alu instid0(VALU_DEP_3) | instskip(NEXT) | instid1(VALU_DEP_3)
	v_add_f64_e32 v[1:2], v[10:11], v[1:2]
	v_add_f64_e32 v[3:4], v[12:13], v[4:5]
	s_delay_alu instid0(VALU_DEP_2) | instskip(NEXT) | instid1(VALU_DEP_2)
	v_add_f64_e32 v[1:2], v[1:2], v[6:7]
	v_add_f64_e32 v[3:4], v[3:4], v[8:9]
	s_wait_loadcnt 0x0
	s_delay_alu instid0(VALU_DEP_2) | instskip(NEXT) | instid1(VALU_DEP_2)
	v_add_f64_e64 v[1:2], v[34:35], -v[1:2]
	v_add_f64_e64 v[3:4], v[36:37], -v[3:4]
	scratch_store_b128 off, v[1:4], off offset:704
	v_cmpx_lt_u32_e32 42, v0
	s_cbranch_execz .LBB125_313
; %bb.312:
	scratch_load_b128 v[1:4], off, s35
	v_mov_b32_e32 v5, 0
	s_delay_alu instid0(VALU_DEP_1)
	v_dual_mov_b32 v6, v5 :: v_dual_mov_b32 v7, v5
	v_mov_b32_e32 v8, v5
	scratch_store_b128 off, v[5:8], off offset:688
	s_wait_loadcnt 0x0
	ds_store_b128 v166, v[1:4]
.LBB125_313:
	s_wait_alu 0xfffe
	s_or_b32 exec_lo, exec_lo, s0
	s_wait_storecnt_dscnt 0x0
	s_barrier_signal -1
	s_barrier_wait -1
	global_inv scope:SCOPE_SE
	s_clause 0x7
	scratch_load_b128 v[2:5], off, off offset:704
	scratch_load_b128 v[6:9], off, off offset:720
	;; [unrolled: 1-line block ×8, first 2 shown]
	v_mov_b32_e32 v1, 0
	s_clause 0x1
	scratch_load_b128 v[38:41], off, off offset:832
	scratch_load_b128 v[171:174], off, off offset:848
	s_mov_b32 s0, exec_lo
	ds_load_b128 v[34:37], v1 offset:1680
	ds_load_b128 v[167:170], v1 offset:1696
	s_wait_loadcnt_dscnt 0x901
	v_mul_f64_e32 v[175:176], v[36:37], v[4:5]
	v_mul_f64_e32 v[4:5], v[34:35], v[4:5]
	s_wait_loadcnt_dscnt 0x800
	v_mul_f64_e32 v[177:178], v[167:168], v[8:9]
	v_mul_f64_e32 v[8:9], v[169:170], v[8:9]
	s_delay_alu instid0(VALU_DEP_4) | instskip(NEXT) | instid1(VALU_DEP_4)
	v_fma_f64 v[175:176], v[34:35], v[2:3], -v[175:176]
	v_fma_f64 v[179:180], v[36:37], v[2:3], v[4:5]
	ds_load_b128 v[2:5], v1 offset:1712
	scratch_load_b128 v[34:37], off, off offset:864
	v_fma_f64 v[177:178], v[169:170], v[6:7], v[177:178]
	v_fma_f64 v[183:184], v[167:168], v[6:7], -v[8:9]
	ds_load_b128 v[6:9], v1 offset:1728
	scratch_load_b128 v[167:170], off, off offset:880
	s_wait_loadcnt_dscnt 0x901
	v_mul_f64_e32 v[181:182], v[2:3], v[12:13]
	v_mul_f64_e32 v[12:13], v[4:5], v[12:13]
	s_wait_loadcnt_dscnt 0x800
	v_mul_f64_e32 v[185:186], v[6:7], v[16:17]
	v_mul_f64_e32 v[16:17], v[8:9], v[16:17]
	v_add_f64_e32 v[175:176], 0, v[175:176]
	v_add_f64_e32 v[179:180], 0, v[179:180]
	v_fma_f64 v[181:182], v[4:5], v[10:11], v[181:182]
	v_fma_f64 v[187:188], v[2:3], v[10:11], -v[12:13]
	ds_load_b128 v[2:5], v1 offset:1744
	scratch_load_b128 v[10:13], off, off offset:896
	v_add_f64_e32 v[175:176], v[175:176], v[183:184]
	v_add_f64_e32 v[177:178], v[179:180], v[177:178]
	v_fma_f64 v[183:184], v[8:9], v[14:15], v[185:186]
	v_fma_f64 v[185:186], v[6:7], v[14:15], -v[16:17]
	ds_load_b128 v[6:9], v1 offset:1760
	scratch_load_b128 v[14:17], off, off offset:912
	s_wait_loadcnt_dscnt 0x901
	v_mul_f64_e32 v[179:180], v[2:3], v[20:21]
	v_mul_f64_e32 v[20:21], v[4:5], v[20:21]
	v_add_f64_e32 v[175:176], v[175:176], v[187:188]
	v_add_f64_e32 v[177:178], v[177:178], v[181:182]
	s_wait_loadcnt_dscnt 0x800
	v_mul_f64_e32 v[181:182], v[6:7], v[24:25]
	v_mul_f64_e32 v[24:25], v[8:9], v[24:25]
	v_fma_f64 v[179:180], v[4:5], v[18:19], v[179:180]
	v_fma_f64 v[187:188], v[2:3], v[18:19], -v[20:21]
	ds_load_b128 v[2:5], v1 offset:1776
	scratch_load_b128 v[18:21], off, off offset:928
	v_add_f64_e32 v[175:176], v[175:176], v[185:186]
	v_add_f64_e32 v[177:178], v[177:178], v[183:184]
	v_fma_f64 v[181:182], v[8:9], v[22:23], v[181:182]
	v_fma_f64 v[185:186], v[6:7], v[22:23], -v[24:25]
	ds_load_b128 v[6:9], v1 offset:1792
	s_wait_loadcnt_dscnt 0x801
	v_mul_f64_e32 v[183:184], v[2:3], v[28:29]
	v_mul_f64_e32 v[28:29], v[4:5], v[28:29]
	scratch_load_b128 v[22:25], off, off offset:944
	v_add_f64_e32 v[175:176], v[175:176], v[187:188]
	v_add_f64_e32 v[177:178], v[177:178], v[179:180]
	s_wait_loadcnt_dscnt 0x800
	v_mul_f64_e32 v[179:180], v[6:7], v[32:33]
	v_mul_f64_e32 v[32:33], v[8:9], v[32:33]
	v_fma_f64 v[183:184], v[4:5], v[26:27], v[183:184]
	v_fma_f64 v[187:188], v[2:3], v[26:27], -v[28:29]
	ds_load_b128 v[2:5], v1 offset:1808
	scratch_load_b128 v[26:29], off, off offset:960
	v_add_f64_e32 v[175:176], v[175:176], v[185:186]
	v_add_f64_e32 v[177:178], v[177:178], v[181:182]
	v_fma_f64 v[179:180], v[8:9], v[30:31], v[179:180]
	v_fma_f64 v[185:186], v[6:7], v[30:31], -v[32:33]
	ds_load_b128 v[6:9], v1 offset:1824
	s_wait_loadcnt_dscnt 0x801
	v_mul_f64_e32 v[181:182], v[2:3], v[40:41]
	v_mul_f64_e32 v[40:41], v[4:5], v[40:41]
	scratch_load_b128 v[30:33], off, off offset:976
	v_add_f64_e32 v[175:176], v[175:176], v[187:188]
	v_add_f64_e32 v[177:178], v[177:178], v[183:184]
	s_wait_loadcnt_dscnt 0x800
	v_mul_f64_e32 v[183:184], v[6:7], v[173:174]
	v_mul_f64_e32 v[173:174], v[8:9], v[173:174]
	v_fma_f64 v[181:182], v[4:5], v[38:39], v[181:182]
	v_fma_f64 v[187:188], v[2:3], v[38:39], -v[40:41]
	ds_load_b128 v[2:5], v1 offset:1840
	scratch_load_b128 v[38:41], off, off offset:992
	v_add_f64_e32 v[175:176], v[175:176], v[185:186]
	v_add_f64_e32 v[177:178], v[177:178], v[179:180]
	v_fma_f64 v[183:184], v[8:9], v[171:172], v[183:184]
	v_fma_f64 v[171:172], v[6:7], v[171:172], -v[173:174]
	ds_load_b128 v[6:9], v1 offset:1856
	s_wait_loadcnt_dscnt 0x801
	v_mul_f64_e32 v[179:180], v[2:3], v[36:37]
	v_mul_f64_e32 v[36:37], v[4:5], v[36:37]
	v_add_f64_e32 v[173:174], v[175:176], v[187:188]
	v_add_f64_e32 v[175:176], v[177:178], v[181:182]
	s_wait_loadcnt_dscnt 0x700
	v_mul_f64_e32 v[177:178], v[6:7], v[169:170]
	v_mul_f64_e32 v[169:170], v[8:9], v[169:170]
	v_fma_f64 v[179:180], v[4:5], v[34:35], v[179:180]
	v_fma_f64 v[34:35], v[2:3], v[34:35], -v[36:37]
	ds_load_b128 v[2:5], v1 offset:1872
	v_add_f64_e32 v[36:37], v[173:174], v[171:172]
	v_add_f64_e32 v[171:172], v[175:176], v[183:184]
	v_fma_f64 v[175:176], v[8:9], v[167:168], v[177:178]
	v_fma_f64 v[167:168], v[6:7], v[167:168], -v[169:170]
	ds_load_b128 v[6:9], v1 offset:1888
	s_wait_loadcnt_dscnt 0x500
	v_mul_f64_e32 v[177:178], v[6:7], v[16:17]
	v_mul_f64_e32 v[16:17], v[8:9], v[16:17]
	v_add_f64_e32 v[169:170], v[36:37], v[34:35]
	v_add_f64_e32 v[171:172], v[171:172], v[179:180]
	scratch_load_b128 v[34:37], off, off offset:688
	v_mul_f64_e32 v[173:174], v[2:3], v[12:13]
	v_mul_f64_e32 v[12:13], v[4:5], v[12:13]
	s_delay_alu instid0(VALU_DEP_2) | instskip(NEXT) | instid1(VALU_DEP_2)
	v_fma_f64 v[173:174], v[4:5], v[10:11], v[173:174]
	v_fma_f64 v[10:11], v[2:3], v[10:11], -v[12:13]
	v_add_f64_e32 v[12:13], v[169:170], v[167:168]
	v_add_f64_e32 v[167:168], v[171:172], v[175:176]
	ds_load_b128 v[2:5], v1 offset:1904
	v_fma_f64 v[171:172], v[8:9], v[14:15], v[177:178]
	v_fma_f64 v[14:15], v[6:7], v[14:15], -v[16:17]
	ds_load_b128 v[6:9], v1 offset:1920
	s_wait_loadcnt_dscnt 0x501
	v_mul_f64_e32 v[169:170], v[2:3], v[20:21]
	v_mul_f64_e32 v[20:21], v[4:5], v[20:21]
	s_wait_loadcnt_dscnt 0x400
	v_mul_f64_e32 v[16:17], v[6:7], v[24:25]
	v_mul_f64_e32 v[24:25], v[8:9], v[24:25]
	v_add_f64_e32 v[10:11], v[12:13], v[10:11]
	v_add_f64_e32 v[12:13], v[167:168], v[173:174]
	v_fma_f64 v[167:168], v[4:5], v[18:19], v[169:170]
	v_fma_f64 v[18:19], v[2:3], v[18:19], -v[20:21]
	ds_load_b128 v[2:5], v1 offset:1936
	v_fma_f64 v[16:17], v[8:9], v[22:23], v[16:17]
	v_fma_f64 v[22:23], v[6:7], v[22:23], -v[24:25]
	ds_load_b128 v[6:9], v1 offset:1952
	v_add_f64_e32 v[10:11], v[10:11], v[14:15]
	v_add_f64_e32 v[12:13], v[12:13], v[171:172]
	s_wait_loadcnt_dscnt 0x301
	v_mul_f64_e32 v[14:15], v[2:3], v[28:29]
	v_mul_f64_e32 v[20:21], v[4:5], v[28:29]
	s_wait_loadcnt_dscnt 0x200
	v_mul_f64_e32 v[24:25], v[8:9], v[32:33]
	v_add_f64_e32 v[10:11], v[10:11], v[18:19]
	v_add_f64_e32 v[12:13], v[12:13], v[167:168]
	v_mul_f64_e32 v[18:19], v[6:7], v[32:33]
	v_fma_f64 v[14:15], v[4:5], v[26:27], v[14:15]
	v_fma_f64 v[20:21], v[2:3], v[26:27], -v[20:21]
	ds_load_b128 v[2:5], v1 offset:1968
	v_fma_f64 v[6:7], v[6:7], v[30:31], -v[24:25]
	v_add_f64_e32 v[10:11], v[10:11], v[22:23]
	v_add_f64_e32 v[12:13], v[12:13], v[16:17]
	s_wait_loadcnt_dscnt 0x100
	v_mul_f64_e32 v[16:17], v[2:3], v[40:41]
	v_mul_f64_e32 v[22:23], v[4:5], v[40:41]
	v_fma_f64 v[8:9], v[8:9], v[30:31], v[18:19]
	v_add_f64_e32 v[10:11], v[10:11], v[20:21]
	v_add_f64_e32 v[12:13], v[12:13], v[14:15]
	v_fma_f64 v[4:5], v[4:5], v[38:39], v[16:17]
	v_fma_f64 v[2:3], v[2:3], v[38:39], -v[22:23]
	s_delay_alu instid0(VALU_DEP_4) | instskip(NEXT) | instid1(VALU_DEP_4)
	v_add_f64_e32 v[6:7], v[10:11], v[6:7]
	v_add_f64_e32 v[8:9], v[12:13], v[8:9]
	s_delay_alu instid0(VALU_DEP_2) | instskip(NEXT) | instid1(VALU_DEP_2)
	v_add_f64_e32 v[2:3], v[6:7], v[2:3]
	v_add_f64_e32 v[4:5], v[8:9], v[4:5]
	s_wait_loadcnt 0x0
	s_delay_alu instid0(VALU_DEP_2) | instskip(NEXT) | instid1(VALU_DEP_2)
	v_add_f64_e64 v[2:3], v[34:35], -v[2:3]
	v_add_f64_e64 v[4:5], v[36:37], -v[4:5]
	scratch_store_b128 off, v[2:5], off offset:688
	v_cmpx_lt_u32_e32 41, v0
	s_cbranch_execz .LBB125_315
; %bb.314:
	scratch_load_b128 v[5:8], off, s36
	v_dual_mov_b32 v2, v1 :: v_dual_mov_b32 v3, v1
	v_mov_b32_e32 v4, v1
	scratch_store_b128 off, v[1:4], off offset:672
	s_wait_loadcnt 0x0
	ds_store_b128 v166, v[5:8]
.LBB125_315:
	s_wait_alu 0xfffe
	s_or_b32 exec_lo, exec_lo, s0
	s_wait_storecnt_dscnt 0x0
	s_barrier_signal -1
	s_barrier_wait -1
	global_inv scope:SCOPE_SE
	s_clause 0x7
	scratch_load_b128 v[2:5], off, off offset:688
	scratch_load_b128 v[6:9], off, off offset:704
	;; [unrolled: 1-line block ×8, first 2 shown]
	ds_load_b128 v[34:37], v1 offset:1664
	ds_load_b128 v[167:170], v1 offset:1680
	s_clause 0x1
	scratch_load_b128 v[38:41], off, off offset:816
	scratch_load_b128 v[171:174], off, off offset:832
	s_mov_b32 s0, exec_lo
	s_wait_loadcnt_dscnt 0x901
	v_mul_f64_e32 v[175:176], v[36:37], v[4:5]
	v_mul_f64_e32 v[4:5], v[34:35], v[4:5]
	s_wait_loadcnt_dscnt 0x800
	v_mul_f64_e32 v[177:178], v[167:168], v[8:9]
	v_mul_f64_e32 v[8:9], v[169:170], v[8:9]
	s_delay_alu instid0(VALU_DEP_4) | instskip(NEXT) | instid1(VALU_DEP_4)
	v_fma_f64 v[175:176], v[34:35], v[2:3], -v[175:176]
	v_fma_f64 v[179:180], v[36:37], v[2:3], v[4:5]
	ds_load_b128 v[2:5], v1 offset:1696
	scratch_load_b128 v[34:37], off, off offset:848
	v_fma_f64 v[177:178], v[169:170], v[6:7], v[177:178]
	v_fma_f64 v[183:184], v[167:168], v[6:7], -v[8:9]
	ds_load_b128 v[6:9], v1 offset:1712
	scratch_load_b128 v[167:170], off, off offset:864
	s_wait_loadcnt_dscnt 0x901
	v_mul_f64_e32 v[181:182], v[2:3], v[12:13]
	v_mul_f64_e32 v[12:13], v[4:5], v[12:13]
	s_wait_loadcnt_dscnt 0x800
	v_mul_f64_e32 v[185:186], v[6:7], v[16:17]
	v_mul_f64_e32 v[16:17], v[8:9], v[16:17]
	v_add_f64_e32 v[175:176], 0, v[175:176]
	v_add_f64_e32 v[179:180], 0, v[179:180]
	v_fma_f64 v[181:182], v[4:5], v[10:11], v[181:182]
	v_fma_f64 v[187:188], v[2:3], v[10:11], -v[12:13]
	scratch_load_b128 v[10:13], off, off offset:880
	ds_load_b128 v[2:5], v1 offset:1728
	v_add_f64_e32 v[175:176], v[175:176], v[183:184]
	v_add_f64_e32 v[177:178], v[179:180], v[177:178]
	v_fma_f64 v[183:184], v[8:9], v[14:15], v[185:186]
	v_fma_f64 v[185:186], v[6:7], v[14:15], -v[16:17]
	ds_load_b128 v[6:9], v1 offset:1744
	scratch_load_b128 v[14:17], off, off offset:896
	s_wait_loadcnt_dscnt 0x901
	v_mul_f64_e32 v[179:180], v[2:3], v[20:21]
	v_mul_f64_e32 v[20:21], v[4:5], v[20:21]
	v_add_f64_e32 v[175:176], v[175:176], v[187:188]
	v_add_f64_e32 v[177:178], v[177:178], v[181:182]
	s_wait_loadcnt_dscnt 0x800
	v_mul_f64_e32 v[181:182], v[6:7], v[24:25]
	v_mul_f64_e32 v[24:25], v[8:9], v[24:25]
	v_fma_f64 v[179:180], v[4:5], v[18:19], v[179:180]
	v_fma_f64 v[187:188], v[2:3], v[18:19], -v[20:21]
	ds_load_b128 v[2:5], v1 offset:1760
	scratch_load_b128 v[18:21], off, off offset:912
	v_add_f64_e32 v[175:176], v[175:176], v[185:186]
	v_add_f64_e32 v[177:178], v[177:178], v[183:184]
	v_fma_f64 v[181:182], v[8:9], v[22:23], v[181:182]
	v_fma_f64 v[185:186], v[6:7], v[22:23], -v[24:25]
	ds_load_b128 v[6:9], v1 offset:1776
	s_wait_loadcnt_dscnt 0x801
	v_mul_f64_e32 v[183:184], v[2:3], v[28:29]
	v_mul_f64_e32 v[28:29], v[4:5], v[28:29]
	scratch_load_b128 v[22:25], off, off offset:928
	v_add_f64_e32 v[175:176], v[175:176], v[187:188]
	v_add_f64_e32 v[177:178], v[177:178], v[179:180]
	s_wait_loadcnt_dscnt 0x800
	v_mul_f64_e32 v[179:180], v[6:7], v[32:33]
	v_mul_f64_e32 v[32:33], v[8:9], v[32:33]
	v_fma_f64 v[183:184], v[4:5], v[26:27], v[183:184]
	v_fma_f64 v[187:188], v[2:3], v[26:27], -v[28:29]
	ds_load_b128 v[2:5], v1 offset:1792
	scratch_load_b128 v[26:29], off, off offset:944
	v_add_f64_e32 v[175:176], v[175:176], v[185:186]
	v_add_f64_e32 v[177:178], v[177:178], v[181:182]
	v_fma_f64 v[179:180], v[8:9], v[30:31], v[179:180]
	v_fma_f64 v[185:186], v[6:7], v[30:31], -v[32:33]
	ds_load_b128 v[6:9], v1 offset:1808
	s_wait_loadcnt_dscnt 0x801
	v_mul_f64_e32 v[181:182], v[2:3], v[40:41]
	v_mul_f64_e32 v[40:41], v[4:5], v[40:41]
	scratch_load_b128 v[30:33], off, off offset:960
	v_add_f64_e32 v[175:176], v[175:176], v[187:188]
	v_add_f64_e32 v[177:178], v[177:178], v[183:184]
	s_wait_loadcnt_dscnt 0x800
	v_mul_f64_e32 v[183:184], v[6:7], v[173:174]
	v_mul_f64_e32 v[173:174], v[8:9], v[173:174]
	v_fma_f64 v[181:182], v[4:5], v[38:39], v[181:182]
	v_fma_f64 v[187:188], v[2:3], v[38:39], -v[40:41]
	ds_load_b128 v[2:5], v1 offset:1824
	scratch_load_b128 v[38:41], off, off offset:976
	v_add_f64_e32 v[175:176], v[175:176], v[185:186]
	v_add_f64_e32 v[177:178], v[177:178], v[179:180]
	v_fma_f64 v[183:184], v[8:9], v[171:172], v[183:184]
	v_fma_f64 v[185:186], v[6:7], v[171:172], -v[173:174]
	ds_load_b128 v[6:9], v1 offset:1840
	scratch_load_b128 v[171:174], off, off offset:992
	s_wait_loadcnt_dscnt 0x901
	v_mul_f64_e32 v[179:180], v[2:3], v[36:37]
	v_mul_f64_e32 v[36:37], v[4:5], v[36:37]
	v_add_f64_e32 v[175:176], v[175:176], v[187:188]
	v_add_f64_e32 v[177:178], v[177:178], v[181:182]
	s_delay_alu instid0(VALU_DEP_4) | instskip(NEXT) | instid1(VALU_DEP_4)
	v_fma_f64 v[179:180], v[4:5], v[34:35], v[179:180]
	v_fma_f64 v[34:35], v[2:3], v[34:35], -v[36:37]
	ds_load_b128 v[2:5], v1 offset:1856
	v_add_f64_e32 v[36:37], v[175:176], v[185:186]
	v_add_f64_e32 v[175:176], v[177:178], v[183:184]
	s_wait_loadcnt_dscnt 0x700
	v_mul_f64_e32 v[177:178], v[2:3], v[12:13]
	v_mul_f64_e32 v[12:13], v[4:5], v[12:13]
	s_delay_alu instid0(VALU_DEP_4) | instskip(NEXT) | instid1(VALU_DEP_4)
	v_add_f64_e32 v[34:35], v[36:37], v[34:35]
	v_add_f64_e32 v[36:37], v[175:176], v[179:180]
	s_delay_alu instid0(VALU_DEP_4) | instskip(NEXT) | instid1(VALU_DEP_4)
	v_fma_f64 v[175:176], v[4:5], v[10:11], v[177:178]
	v_fma_f64 v[177:178], v[2:3], v[10:11], -v[12:13]
	scratch_load_b128 v[10:13], off, off offset:672
	v_mul_f64_e32 v[181:182], v[6:7], v[169:170]
	v_mul_f64_e32 v[169:170], v[8:9], v[169:170]
	ds_load_b128 v[2:5], v1 offset:1888
	v_fma_f64 v[181:182], v[8:9], v[167:168], v[181:182]
	v_fma_f64 v[167:168], v[6:7], v[167:168], -v[169:170]
	ds_load_b128 v[6:9], v1 offset:1872
	s_wait_loadcnt_dscnt 0x700
	v_mul_f64_e32 v[169:170], v[6:7], v[16:17]
	v_mul_f64_e32 v[16:17], v[8:9], v[16:17]
	v_add_f64_e32 v[36:37], v[36:37], v[181:182]
	v_add_f64_e32 v[34:35], v[34:35], v[167:168]
	s_wait_loadcnt 0x6
	v_mul_f64_e32 v[167:168], v[2:3], v[20:21]
	v_mul_f64_e32 v[20:21], v[4:5], v[20:21]
	v_fma_f64 v[169:170], v[8:9], v[14:15], v[169:170]
	v_fma_f64 v[14:15], v[6:7], v[14:15], -v[16:17]
	ds_load_b128 v[6:9], v1 offset:1904
	v_add_f64_e32 v[16:17], v[34:35], v[177:178]
	v_add_f64_e32 v[34:35], v[36:37], v[175:176]
	v_fma_f64 v[167:168], v[4:5], v[18:19], v[167:168]
	v_fma_f64 v[18:19], v[2:3], v[18:19], -v[20:21]
	ds_load_b128 v[2:5], v1 offset:1920
	s_wait_loadcnt_dscnt 0x501
	v_mul_f64_e32 v[36:37], v[6:7], v[24:25]
	v_mul_f64_e32 v[24:25], v[8:9], v[24:25]
	s_wait_loadcnt_dscnt 0x400
	v_mul_f64_e32 v[20:21], v[2:3], v[28:29]
	v_mul_f64_e32 v[28:29], v[4:5], v[28:29]
	v_add_f64_e32 v[14:15], v[16:17], v[14:15]
	v_add_f64_e32 v[16:17], v[34:35], v[169:170]
	v_fma_f64 v[34:35], v[8:9], v[22:23], v[36:37]
	v_fma_f64 v[22:23], v[6:7], v[22:23], -v[24:25]
	ds_load_b128 v[6:9], v1 offset:1936
	v_fma_f64 v[20:21], v[4:5], v[26:27], v[20:21]
	v_fma_f64 v[26:27], v[2:3], v[26:27], -v[28:29]
	ds_load_b128 v[2:5], v1 offset:1952
	s_wait_loadcnt_dscnt 0x301
	v_mul_f64_e32 v[24:25], v[8:9], v[32:33]
	v_add_f64_e32 v[14:15], v[14:15], v[18:19]
	v_add_f64_e32 v[16:17], v[16:17], v[167:168]
	v_mul_f64_e32 v[18:19], v[6:7], v[32:33]
	s_wait_loadcnt_dscnt 0x200
	v_mul_f64_e32 v[28:29], v[4:5], v[40:41]
	v_fma_f64 v[24:25], v[6:7], v[30:31], -v[24:25]
	v_add_f64_e32 v[14:15], v[14:15], v[22:23]
	v_add_f64_e32 v[16:17], v[16:17], v[34:35]
	v_mul_f64_e32 v[22:23], v[2:3], v[40:41]
	v_fma_f64 v[18:19], v[8:9], v[30:31], v[18:19]
	ds_load_b128 v[6:9], v1 offset:1968
	v_fma_f64 v[1:2], v[2:3], v[38:39], -v[28:29]
	v_add_f64_e32 v[14:15], v[14:15], v[26:27]
	v_add_f64_e32 v[16:17], v[16:17], v[20:21]
	s_wait_loadcnt_dscnt 0x100
	v_mul_f64_e32 v[20:21], v[6:7], v[173:174]
	v_mul_f64_e32 v[26:27], v[8:9], v[173:174]
	v_fma_f64 v[4:5], v[4:5], v[38:39], v[22:23]
	v_add_f64_e32 v[14:15], v[14:15], v[24:25]
	v_add_f64_e32 v[16:17], v[16:17], v[18:19]
	v_fma_f64 v[8:9], v[8:9], v[171:172], v[20:21]
	v_fma_f64 v[6:7], v[6:7], v[171:172], -v[26:27]
	s_delay_alu instid0(VALU_DEP_4) | instskip(NEXT) | instid1(VALU_DEP_4)
	v_add_f64_e32 v[1:2], v[14:15], v[1:2]
	v_add_f64_e32 v[3:4], v[16:17], v[4:5]
	s_delay_alu instid0(VALU_DEP_2) | instskip(NEXT) | instid1(VALU_DEP_2)
	v_add_f64_e32 v[1:2], v[1:2], v[6:7]
	v_add_f64_e32 v[3:4], v[3:4], v[8:9]
	s_wait_loadcnt 0x0
	s_delay_alu instid0(VALU_DEP_2) | instskip(NEXT) | instid1(VALU_DEP_2)
	v_add_f64_e64 v[1:2], v[10:11], -v[1:2]
	v_add_f64_e64 v[3:4], v[12:13], -v[3:4]
	scratch_store_b128 off, v[1:4], off offset:672
	v_cmpx_lt_u32_e32 40, v0
	s_cbranch_execz .LBB125_317
; %bb.316:
	scratch_load_b128 v[1:4], off, s37
	v_mov_b32_e32 v5, 0
	s_delay_alu instid0(VALU_DEP_1)
	v_dual_mov_b32 v6, v5 :: v_dual_mov_b32 v7, v5
	v_mov_b32_e32 v8, v5
	scratch_store_b128 off, v[5:8], off offset:656
	s_wait_loadcnt 0x0
	ds_store_b128 v166, v[1:4]
.LBB125_317:
	s_wait_alu 0xfffe
	s_or_b32 exec_lo, exec_lo, s0
	s_wait_storecnt_dscnt 0x0
	s_barrier_signal -1
	s_barrier_wait -1
	global_inv scope:SCOPE_SE
	s_clause 0x7
	scratch_load_b128 v[2:5], off, off offset:672
	scratch_load_b128 v[6:9], off, off offset:688
	;; [unrolled: 1-line block ×8, first 2 shown]
	v_mov_b32_e32 v1, 0
	s_clause 0x1
	scratch_load_b128 v[38:41], off, off offset:800
	scratch_load_b128 v[171:174], off, off offset:816
	s_mov_b32 s0, exec_lo
	ds_load_b128 v[34:37], v1 offset:1648
	ds_load_b128 v[167:170], v1 offset:1664
	s_wait_loadcnt_dscnt 0x901
	v_mul_f64_e32 v[175:176], v[36:37], v[4:5]
	v_mul_f64_e32 v[4:5], v[34:35], v[4:5]
	s_wait_loadcnt_dscnt 0x800
	v_mul_f64_e32 v[177:178], v[167:168], v[8:9]
	v_mul_f64_e32 v[8:9], v[169:170], v[8:9]
	s_delay_alu instid0(VALU_DEP_4) | instskip(NEXT) | instid1(VALU_DEP_4)
	v_fma_f64 v[175:176], v[34:35], v[2:3], -v[175:176]
	v_fma_f64 v[179:180], v[36:37], v[2:3], v[4:5]
	ds_load_b128 v[2:5], v1 offset:1680
	scratch_load_b128 v[34:37], off, off offset:832
	v_fma_f64 v[177:178], v[169:170], v[6:7], v[177:178]
	v_fma_f64 v[183:184], v[167:168], v[6:7], -v[8:9]
	ds_load_b128 v[6:9], v1 offset:1696
	scratch_load_b128 v[167:170], off, off offset:848
	s_wait_loadcnt_dscnt 0x901
	v_mul_f64_e32 v[181:182], v[2:3], v[12:13]
	v_mul_f64_e32 v[12:13], v[4:5], v[12:13]
	s_wait_loadcnt_dscnt 0x800
	v_mul_f64_e32 v[185:186], v[6:7], v[16:17]
	v_mul_f64_e32 v[16:17], v[8:9], v[16:17]
	v_add_f64_e32 v[175:176], 0, v[175:176]
	v_add_f64_e32 v[179:180], 0, v[179:180]
	v_fma_f64 v[181:182], v[4:5], v[10:11], v[181:182]
	v_fma_f64 v[187:188], v[2:3], v[10:11], -v[12:13]
	ds_load_b128 v[2:5], v1 offset:1712
	scratch_load_b128 v[10:13], off, off offset:864
	v_add_f64_e32 v[175:176], v[175:176], v[183:184]
	v_add_f64_e32 v[177:178], v[179:180], v[177:178]
	v_fma_f64 v[183:184], v[8:9], v[14:15], v[185:186]
	v_fma_f64 v[185:186], v[6:7], v[14:15], -v[16:17]
	ds_load_b128 v[6:9], v1 offset:1728
	scratch_load_b128 v[14:17], off, off offset:880
	s_wait_loadcnt_dscnt 0x901
	v_mul_f64_e32 v[179:180], v[2:3], v[20:21]
	v_mul_f64_e32 v[20:21], v[4:5], v[20:21]
	v_add_f64_e32 v[175:176], v[175:176], v[187:188]
	v_add_f64_e32 v[177:178], v[177:178], v[181:182]
	s_wait_loadcnt_dscnt 0x800
	v_mul_f64_e32 v[181:182], v[6:7], v[24:25]
	v_mul_f64_e32 v[24:25], v[8:9], v[24:25]
	v_fma_f64 v[179:180], v[4:5], v[18:19], v[179:180]
	v_fma_f64 v[187:188], v[2:3], v[18:19], -v[20:21]
	ds_load_b128 v[2:5], v1 offset:1744
	scratch_load_b128 v[18:21], off, off offset:896
	v_add_f64_e32 v[175:176], v[175:176], v[185:186]
	v_add_f64_e32 v[177:178], v[177:178], v[183:184]
	v_fma_f64 v[181:182], v[8:9], v[22:23], v[181:182]
	v_fma_f64 v[185:186], v[6:7], v[22:23], -v[24:25]
	ds_load_b128 v[6:9], v1 offset:1760
	s_wait_loadcnt_dscnt 0x801
	v_mul_f64_e32 v[183:184], v[2:3], v[28:29]
	v_mul_f64_e32 v[28:29], v[4:5], v[28:29]
	scratch_load_b128 v[22:25], off, off offset:912
	v_add_f64_e32 v[175:176], v[175:176], v[187:188]
	v_add_f64_e32 v[177:178], v[177:178], v[179:180]
	s_wait_loadcnt_dscnt 0x800
	v_mul_f64_e32 v[179:180], v[6:7], v[32:33]
	v_mul_f64_e32 v[32:33], v[8:9], v[32:33]
	v_fma_f64 v[183:184], v[4:5], v[26:27], v[183:184]
	v_fma_f64 v[187:188], v[2:3], v[26:27], -v[28:29]
	ds_load_b128 v[2:5], v1 offset:1776
	scratch_load_b128 v[26:29], off, off offset:928
	v_add_f64_e32 v[175:176], v[175:176], v[185:186]
	v_add_f64_e32 v[177:178], v[177:178], v[181:182]
	v_fma_f64 v[179:180], v[8:9], v[30:31], v[179:180]
	v_fma_f64 v[185:186], v[6:7], v[30:31], -v[32:33]
	ds_load_b128 v[6:9], v1 offset:1792
	s_wait_loadcnt_dscnt 0x801
	v_mul_f64_e32 v[181:182], v[2:3], v[40:41]
	v_mul_f64_e32 v[40:41], v[4:5], v[40:41]
	scratch_load_b128 v[30:33], off, off offset:944
	v_add_f64_e32 v[175:176], v[175:176], v[187:188]
	v_add_f64_e32 v[177:178], v[177:178], v[183:184]
	s_wait_loadcnt_dscnt 0x800
	v_mul_f64_e32 v[183:184], v[6:7], v[173:174]
	v_mul_f64_e32 v[173:174], v[8:9], v[173:174]
	v_fma_f64 v[181:182], v[4:5], v[38:39], v[181:182]
	v_fma_f64 v[187:188], v[2:3], v[38:39], -v[40:41]
	ds_load_b128 v[2:5], v1 offset:1808
	scratch_load_b128 v[38:41], off, off offset:960
	v_add_f64_e32 v[175:176], v[175:176], v[185:186]
	v_add_f64_e32 v[177:178], v[177:178], v[179:180]
	v_fma_f64 v[183:184], v[8:9], v[171:172], v[183:184]
	v_fma_f64 v[185:186], v[6:7], v[171:172], -v[173:174]
	ds_load_b128 v[6:9], v1 offset:1824
	scratch_load_b128 v[171:174], off, off offset:976
	s_wait_loadcnt_dscnt 0x901
	v_mul_f64_e32 v[179:180], v[2:3], v[36:37]
	v_mul_f64_e32 v[36:37], v[4:5], v[36:37]
	v_add_f64_e32 v[175:176], v[175:176], v[187:188]
	v_add_f64_e32 v[177:178], v[177:178], v[181:182]
	s_wait_loadcnt_dscnt 0x800
	v_mul_f64_e32 v[181:182], v[6:7], v[169:170]
	v_mul_f64_e32 v[169:170], v[8:9], v[169:170]
	v_fma_f64 v[179:180], v[4:5], v[34:35], v[179:180]
	v_fma_f64 v[187:188], v[2:3], v[34:35], -v[36:37]
	ds_load_b128 v[2:5], v1 offset:1840
	scratch_load_b128 v[34:37], off, off offset:992
	v_add_f64_e32 v[175:176], v[175:176], v[185:186]
	v_add_f64_e32 v[177:178], v[177:178], v[183:184]
	v_fma_f64 v[181:182], v[8:9], v[167:168], v[181:182]
	v_fma_f64 v[167:168], v[6:7], v[167:168], -v[169:170]
	ds_load_b128 v[6:9], v1 offset:1856
	s_wait_loadcnt_dscnt 0x801
	v_mul_f64_e32 v[183:184], v[2:3], v[12:13]
	v_mul_f64_e32 v[12:13], v[4:5], v[12:13]
	v_add_f64_e32 v[169:170], v[175:176], v[187:188]
	v_add_f64_e32 v[175:176], v[177:178], v[179:180]
	s_wait_loadcnt_dscnt 0x700
	v_mul_f64_e32 v[177:178], v[6:7], v[16:17]
	v_mul_f64_e32 v[16:17], v[8:9], v[16:17]
	v_fma_f64 v[179:180], v[4:5], v[10:11], v[183:184]
	v_fma_f64 v[10:11], v[2:3], v[10:11], -v[12:13]
	ds_load_b128 v[2:5], v1 offset:1872
	v_add_f64_e32 v[12:13], v[169:170], v[167:168]
	v_add_f64_e32 v[167:168], v[175:176], v[181:182]
	v_fma_f64 v[175:176], v[8:9], v[14:15], v[177:178]
	v_fma_f64 v[14:15], v[6:7], v[14:15], -v[16:17]
	ds_load_b128 v[6:9], v1 offset:1888
	s_wait_loadcnt_dscnt 0x500
	v_mul_f64_e32 v[177:178], v[6:7], v[24:25]
	v_mul_f64_e32 v[24:25], v[8:9], v[24:25]
	v_add_f64_e32 v[16:17], v[12:13], v[10:11]
	v_add_f64_e32 v[167:168], v[167:168], v[179:180]
	scratch_load_b128 v[10:13], off, off offset:656
	v_mul_f64_e32 v[169:170], v[2:3], v[20:21]
	v_mul_f64_e32 v[20:21], v[4:5], v[20:21]
	v_add_f64_e32 v[14:15], v[16:17], v[14:15]
	v_add_f64_e32 v[16:17], v[167:168], v[175:176]
	v_fma_f64 v[167:168], v[8:9], v[22:23], v[177:178]
	v_fma_f64 v[169:170], v[4:5], v[18:19], v[169:170]
	v_fma_f64 v[18:19], v[2:3], v[18:19], -v[20:21]
	ds_load_b128 v[2:5], v1 offset:1904
	v_fma_f64 v[22:23], v[6:7], v[22:23], -v[24:25]
	ds_load_b128 v[6:9], v1 offset:1920
	s_wait_loadcnt_dscnt 0x501
	v_mul_f64_e32 v[20:21], v[2:3], v[28:29]
	v_mul_f64_e32 v[28:29], v[4:5], v[28:29]
	s_wait_loadcnt_dscnt 0x400
	v_mul_f64_e32 v[24:25], v[8:9], v[32:33]
	v_add_f64_e32 v[16:17], v[16:17], v[169:170]
	v_add_f64_e32 v[14:15], v[14:15], v[18:19]
	v_mul_f64_e32 v[18:19], v[6:7], v[32:33]
	v_fma_f64 v[20:21], v[4:5], v[26:27], v[20:21]
	v_fma_f64 v[26:27], v[2:3], v[26:27], -v[28:29]
	ds_load_b128 v[2:5], v1 offset:1936
	v_fma_f64 v[24:25], v[6:7], v[30:31], -v[24:25]
	v_add_f64_e32 v[16:17], v[16:17], v[167:168]
	v_add_f64_e32 v[14:15], v[14:15], v[22:23]
	v_fma_f64 v[18:19], v[8:9], v[30:31], v[18:19]
	ds_load_b128 v[6:9], v1 offset:1952
	s_wait_loadcnt_dscnt 0x301
	v_mul_f64_e32 v[22:23], v[2:3], v[40:41]
	v_mul_f64_e32 v[28:29], v[4:5], v[40:41]
	v_add_f64_e32 v[16:17], v[16:17], v[20:21]
	v_add_f64_e32 v[14:15], v[14:15], v[26:27]
	s_wait_loadcnt_dscnt 0x200
	v_mul_f64_e32 v[20:21], v[6:7], v[173:174]
	v_mul_f64_e32 v[26:27], v[8:9], v[173:174]
	v_fma_f64 v[22:23], v[4:5], v[38:39], v[22:23]
	v_fma_f64 v[28:29], v[2:3], v[38:39], -v[28:29]
	ds_load_b128 v[2:5], v1 offset:1968
	v_add_f64_e32 v[16:17], v[16:17], v[18:19]
	v_add_f64_e32 v[14:15], v[14:15], v[24:25]
	s_wait_loadcnt_dscnt 0x100
	v_mul_f64_e32 v[18:19], v[2:3], v[36:37]
	v_mul_f64_e32 v[24:25], v[4:5], v[36:37]
	v_fma_f64 v[8:9], v[8:9], v[171:172], v[20:21]
	v_fma_f64 v[6:7], v[6:7], v[171:172], -v[26:27]
	v_add_f64_e32 v[16:17], v[16:17], v[22:23]
	v_add_f64_e32 v[14:15], v[14:15], v[28:29]
	v_fma_f64 v[4:5], v[4:5], v[34:35], v[18:19]
	v_fma_f64 v[2:3], v[2:3], v[34:35], -v[24:25]
	s_delay_alu instid0(VALU_DEP_4) | instskip(NEXT) | instid1(VALU_DEP_4)
	v_add_f64_e32 v[8:9], v[16:17], v[8:9]
	v_add_f64_e32 v[6:7], v[14:15], v[6:7]
	s_delay_alu instid0(VALU_DEP_2) | instskip(NEXT) | instid1(VALU_DEP_2)
	v_add_f64_e32 v[4:5], v[8:9], v[4:5]
	v_add_f64_e32 v[2:3], v[6:7], v[2:3]
	s_wait_loadcnt 0x0
	s_delay_alu instid0(VALU_DEP_2) | instskip(NEXT) | instid1(VALU_DEP_2)
	v_add_f64_e64 v[4:5], v[12:13], -v[4:5]
	v_add_f64_e64 v[2:3], v[10:11], -v[2:3]
	scratch_store_b128 off, v[2:5], off offset:656
	v_cmpx_lt_u32_e32 39, v0
	s_cbranch_execz .LBB125_319
; %bb.318:
	scratch_load_b128 v[5:8], off, s38
	v_dual_mov_b32 v2, v1 :: v_dual_mov_b32 v3, v1
	v_mov_b32_e32 v4, v1
	scratch_store_b128 off, v[1:4], off offset:640
	s_wait_loadcnt 0x0
	ds_store_b128 v166, v[5:8]
.LBB125_319:
	s_wait_alu 0xfffe
	s_or_b32 exec_lo, exec_lo, s0
	s_wait_storecnt_dscnt 0x0
	s_barrier_signal -1
	s_barrier_wait -1
	global_inv scope:SCOPE_SE
	s_clause 0x7
	scratch_load_b128 v[2:5], off, off offset:656
	scratch_load_b128 v[6:9], off, off offset:672
	;; [unrolled: 1-line block ×8, first 2 shown]
	ds_load_b128 v[34:37], v1 offset:1632
	ds_load_b128 v[167:170], v1 offset:1648
	s_clause 0x1
	scratch_load_b128 v[38:41], off, off offset:784
	scratch_load_b128 v[171:174], off, off offset:800
	s_mov_b32 s0, exec_lo
	s_wait_loadcnt_dscnt 0x901
	v_mul_f64_e32 v[175:176], v[36:37], v[4:5]
	v_mul_f64_e32 v[4:5], v[34:35], v[4:5]
	s_wait_loadcnt_dscnt 0x800
	v_mul_f64_e32 v[177:178], v[167:168], v[8:9]
	v_mul_f64_e32 v[8:9], v[169:170], v[8:9]
	s_delay_alu instid0(VALU_DEP_4) | instskip(NEXT) | instid1(VALU_DEP_4)
	v_fma_f64 v[175:176], v[34:35], v[2:3], -v[175:176]
	v_fma_f64 v[179:180], v[36:37], v[2:3], v[4:5]
	ds_load_b128 v[2:5], v1 offset:1664
	scratch_load_b128 v[34:37], off, off offset:816
	v_fma_f64 v[177:178], v[169:170], v[6:7], v[177:178]
	v_fma_f64 v[183:184], v[167:168], v[6:7], -v[8:9]
	ds_load_b128 v[6:9], v1 offset:1680
	scratch_load_b128 v[167:170], off, off offset:832
	s_wait_loadcnt_dscnt 0x901
	v_mul_f64_e32 v[181:182], v[2:3], v[12:13]
	v_mul_f64_e32 v[12:13], v[4:5], v[12:13]
	s_wait_loadcnt_dscnt 0x800
	v_mul_f64_e32 v[185:186], v[6:7], v[16:17]
	v_mul_f64_e32 v[16:17], v[8:9], v[16:17]
	v_add_f64_e32 v[175:176], 0, v[175:176]
	v_add_f64_e32 v[179:180], 0, v[179:180]
	v_fma_f64 v[181:182], v[4:5], v[10:11], v[181:182]
	v_fma_f64 v[187:188], v[2:3], v[10:11], -v[12:13]
	ds_load_b128 v[2:5], v1 offset:1696
	scratch_load_b128 v[10:13], off, off offset:848
	v_add_f64_e32 v[175:176], v[175:176], v[183:184]
	v_add_f64_e32 v[177:178], v[179:180], v[177:178]
	v_fma_f64 v[183:184], v[8:9], v[14:15], v[185:186]
	v_fma_f64 v[185:186], v[6:7], v[14:15], -v[16:17]
	ds_load_b128 v[6:9], v1 offset:1712
	scratch_load_b128 v[14:17], off, off offset:864
	s_wait_loadcnt_dscnt 0x901
	v_mul_f64_e32 v[179:180], v[2:3], v[20:21]
	v_mul_f64_e32 v[20:21], v[4:5], v[20:21]
	v_add_f64_e32 v[175:176], v[175:176], v[187:188]
	v_add_f64_e32 v[177:178], v[177:178], v[181:182]
	s_wait_loadcnt_dscnt 0x800
	v_mul_f64_e32 v[181:182], v[6:7], v[24:25]
	v_mul_f64_e32 v[24:25], v[8:9], v[24:25]
	v_fma_f64 v[179:180], v[4:5], v[18:19], v[179:180]
	v_fma_f64 v[187:188], v[2:3], v[18:19], -v[20:21]
	ds_load_b128 v[2:5], v1 offset:1728
	scratch_load_b128 v[18:21], off, off offset:880
	v_add_f64_e32 v[175:176], v[175:176], v[185:186]
	v_add_f64_e32 v[177:178], v[177:178], v[183:184]
	v_fma_f64 v[181:182], v[8:9], v[22:23], v[181:182]
	v_fma_f64 v[185:186], v[6:7], v[22:23], -v[24:25]
	ds_load_b128 v[6:9], v1 offset:1744
	s_wait_loadcnt_dscnt 0x801
	v_mul_f64_e32 v[183:184], v[2:3], v[28:29]
	v_mul_f64_e32 v[28:29], v[4:5], v[28:29]
	scratch_load_b128 v[22:25], off, off offset:896
	v_add_f64_e32 v[175:176], v[175:176], v[187:188]
	v_add_f64_e32 v[177:178], v[177:178], v[179:180]
	s_wait_loadcnt_dscnt 0x800
	v_mul_f64_e32 v[179:180], v[6:7], v[32:33]
	v_mul_f64_e32 v[32:33], v[8:9], v[32:33]
	v_fma_f64 v[183:184], v[4:5], v[26:27], v[183:184]
	v_fma_f64 v[187:188], v[2:3], v[26:27], -v[28:29]
	ds_load_b128 v[2:5], v1 offset:1760
	scratch_load_b128 v[26:29], off, off offset:912
	v_add_f64_e32 v[175:176], v[175:176], v[185:186]
	v_add_f64_e32 v[177:178], v[177:178], v[181:182]
	v_fma_f64 v[179:180], v[8:9], v[30:31], v[179:180]
	v_fma_f64 v[185:186], v[6:7], v[30:31], -v[32:33]
	ds_load_b128 v[6:9], v1 offset:1776
	s_wait_loadcnt_dscnt 0x801
	v_mul_f64_e32 v[181:182], v[2:3], v[40:41]
	v_mul_f64_e32 v[40:41], v[4:5], v[40:41]
	scratch_load_b128 v[30:33], off, off offset:928
	v_add_f64_e32 v[175:176], v[175:176], v[187:188]
	v_add_f64_e32 v[177:178], v[177:178], v[183:184]
	s_wait_loadcnt_dscnt 0x800
	v_mul_f64_e32 v[183:184], v[6:7], v[173:174]
	v_mul_f64_e32 v[173:174], v[8:9], v[173:174]
	v_fma_f64 v[181:182], v[4:5], v[38:39], v[181:182]
	v_fma_f64 v[187:188], v[2:3], v[38:39], -v[40:41]
	ds_load_b128 v[2:5], v1 offset:1792
	scratch_load_b128 v[38:41], off, off offset:944
	v_add_f64_e32 v[175:176], v[175:176], v[185:186]
	v_add_f64_e32 v[177:178], v[177:178], v[179:180]
	v_fma_f64 v[183:184], v[8:9], v[171:172], v[183:184]
	v_fma_f64 v[185:186], v[6:7], v[171:172], -v[173:174]
	ds_load_b128 v[6:9], v1 offset:1808
	scratch_load_b128 v[171:174], off, off offset:960
	s_wait_loadcnt_dscnt 0x901
	v_mul_f64_e32 v[179:180], v[2:3], v[36:37]
	v_mul_f64_e32 v[36:37], v[4:5], v[36:37]
	v_add_f64_e32 v[175:176], v[175:176], v[187:188]
	v_add_f64_e32 v[177:178], v[177:178], v[181:182]
	s_wait_loadcnt_dscnt 0x800
	v_mul_f64_e32 v[181:182], v[6:7], v[169:170]
	v_mul_f64_e32 v[169:170], v[8:9], v[169:170]
	v_fma_f64 v[179:180], v[4:5], v[34:35], v[179:180]
	v_fma_f64 v[187:188], v[2:3], v[34:35], -v[36:37]
	ds_load_b128 v[2:5], v1 offset:1824
	scratch_load_b128 v[34:37], off, off offset:976
	v_add_f64_e32 v[175:176], v[175:176], v[185:186]
	v_add_f64_e32 v[177:178], v[177:178], v[183:184]
	v_fma_f64 v[181:182], v[8:9], v[167:168], v[181:182]
	v_fma_f64 v[185:186], v[6:7], v[167:168], -v[169:170]
	ds_load_b128 v[6:9], v1 offset:1840
	s_wait_loadcnt_dscnt 0x801
	v_mul_f64_e32 v[183:184], v[2:3], v[12:13]
	v_mul_f64_e32 v[12:13], v[4:5], v[12:13]
	scratch_load_b128 v[167:170], off, off offset:992
	v_add_f64_e32 v[175:176], v[175:176], v[187:188]
	v_add_f64_e32 v[177:178], v[177:178], v[179:180]
	s_wait_loadcnt_dscnt 0x800
	v_mul_f64_e32 v[179:180], v[6:7], v[16:17]
	v_mul_f64_e32 v[16:17], v[8:9], v[16:17]
	v_fma_f64 v[183:184], v[4:5], v[10:11], v[183:184]
	v_fma_f64 v[10:11], v[2:3], v[10:11], -v[12:13]
	ds_load_b128 v[2:5], v1 offset:1856
	v_add_f64_e32 v[12:13], v[175:176], v[185:186]
	v_add_f64_e32 v[175:176], v[177:178], v[181:182]
	v_fma_f64 v[179:180], v[8:9], v[14:15], v[179:180]
	v_fma_f64 v[14:15], v[6:7], v[14:15], -v[16:17]
	ds_load_b128 v[6:9], v1 offset:1872
	s_wait_loadcnt_dscnt 0x701
	v_mul_f64_e32 v[177:178], v[2:3], v[20:21]
	v_mul_f64_e32 v[20:21], v[4:5], v[20:21]
	v_add_f64_e32 v[10:11], v[12:13], v[10:11]
	v_add_f64_e32 v[12:13], v[175:176], v[183:184]
	s_delay_alu instid0(VALU_DEP_4) | instskip(NEXT) | instid1(VALU_DEP_4)
	v_fma_f64 v[175:176], v[4:5], v[18:19], v[177:178]
	v_fma_f64 v[18:19], v[2:3], v[18:19], -v[20:21]
	ds_load_b128 v[2:5], v1 offset:1888
	v_add_f64_e32 v[14:15], v[10:11], v[14:15]
	v_add_f64_e32 v[20:21], v[12:13], v[179:180]
	scratch_load_b128 v[10:13], off, off offset:640
	s_wait_loadcnt_dscnt 0x701
	v_mul_f64_e32 v[16:17], v[6:7], v[24:25]
	v_mul_f64_e32 v[24:25], v[8:9], v[24:25]
	v_add_f64_e32 v[14:15], v[14:15], v[18:19]
	v_add_f64_e32 v[18:19], v[20:21], v[175:176]
	s_delay_alu instid0(VALU_DEP_4) | instskip(NEXT) | instid1(VALU_DEP_4)
	v_fma_f64 v[16:17], v[8:9], v[22:23], v[16:17]
	v_fma_f64 v[22:23], v[6:7], v[22:23], -v[24:25]
	ds_load_b128 v[6:9], v1 offset:1904
	s_wait_loadcnt_dscnt 0x601
	v_mul_f64_e32 v[177:178], v[2:3], v[28:29]
	v_mul_f64_e32 v[28:29], v[4:5], v[28:29]
	s_wait_loadcnt_dscnt 0x500
	v_mul_f64_e32 v[20:21], v[6:7], v[32:33]
	v_mul_f64_e32 v[24:25], v[8:9], v[32:33]
	v_add_f64_e32 v[16:17], v[18:19], v[16:17]
	v_add_f64_e32 v[14:15], v[14:15], v[22:23]
	v_fma_f64 v[32:33], v[4:5], v[26:27], v[177:178]
	v_fma_f64 v[26:27], v[2:3], v[26:27], -v[28:29]
	ds_load_b128 v[2:5], v1 offset:1920
	v_fma_f64 v[20:21], v[8:9], v[30:31], v[20:21]
	v_fma_f64 v[24:25], v[6:7], v[30:31], -v[24:25]
	ds_load_b128 v[6:9], v1 offset:1936
	s_wait_loadcnt_dscnt 0x401
	v_mul_f64_e32 v[18:19], v[2:3], v[40:41]
	v_mul_f64_e32 v[22:23], v[4:5], v[40:41]
	v_add_f64_e32 v[16:17], v[16:17], v[32:33]
	v_add_f64_e32 v[14:15], v[14:15], v[26:27]
	s_wait_loadcnt_dscnt 0x300
	v_mul_f64_e32 v[26:27], v[6:7], v[173:174]
	v_mul_f64_e32 v[28:29], v[8:9], v[173:174]
	v_fma_f64 v[18:19], v[4:5], v[38:39], v[18:19]
	v_fma_f64 v[22:23], v[2:3], v[38:39], -v[22:23]
	ds_load_b128 v[2:5], v1 offset:1952
	v_add_f64_e32 v[16:17], v[16:17], v[20:21]
	v_add_f64_e32 v[14:15], v[14:15], v[24:25]
	v_fma_f64 v[26:27], v[8:9], v[171:172], v[26:27]
	v_fma_f64 v[28:29], v[6:7], v[171:172], -v[28:29]
	ds_load_b128 v[6:9], v1 offset:1968
	s_wait_loadcnt_dscnt 0x201
	v_mul_f64_e32 v[20:21], v[2:3], v[36:37]
	v_mul_f64_e32 v[24:25], v[4:5], v[36:37]
	v_add_f64_e32 v[16:17], v[16:17], v[18:19]
	v_add_f64_e32 v[14:15], v[14:15], v[22:23]
	s_wait_loadcnt_dscnt 0x100
	v_mul_f64_e32 v[18:19], v[6:7], v[169:170]
	v_mul_f64_e32 v[22:23], v[8:9], v[169:170]
	v_fma_f64 v[4:5], v[4:5], v[34:35], v[20:21]
	v_fma_f64 v[1:2], v[2:3], v[34:35], -v[24:25]
	v_add_f64_e32 v[16:17], v[16:17], v[26:27]
	v_add_f64_e32 v[14:15], v[14:15], v[28:29]
	v_fma_f64 v[8:9], v[8:9], v[167:168], v[18:19]
	v_fma_f64 v[6:7], v[6:7], v[167:168], -v[22:23]
	s_delay_alu instid0(VALU_DEP_4) | instskip(NEXT) | instid1(VALU_DEP_4)
	v_add_f64_e32 v[3:4], v[16:17], v[4:5]
	v_add_f64_e32 v[1:2], v[14:15], v[1:2]
	s_delay_alu instid0(VALU_DEP_2) | instskip(NEXT) | instid1(VALU_DEP_2)
	v_add_f64_e32 v[3:4], v[3:4], v[8:9]
	v_add_f64_e32 v[1:2], v[1:2], v[6:7]
	s_wait_loadcnt 0x0
	s_delay_alu instid0(VALU_DEP_2) | instskip(NEXT) | instid1(VALU_DEP_2)
	v_add_f64_e64 v[3:4], v[12:13], -v[3:4]
	v_add_f64_e64 v[1:2], v[10:11], -v[1:2]
	scratch_store_b128 off, v[1:4], off offset:640
	v_cmpx_lt_u32_e32 38, v0
	s_cbranch_execz .LBB125_321
; %bb.320:
	scratch_load_b128 v[1:4], off, s39
	v_mov_b32_e32 v5, 0
	s_delay_alu instid0(VALU_DEP_1)
	v_dual_mov_b32 v6, v5 :: v_dual_mov_b32 v7, v5
	v_mov_b32_e32 v8, v5
	scratch_store_b128 off, v[5:8], off offset:624
	s_wait_loadcnt 0x0
	ds_store_b128 v166, v[1:4]
.LBB125_321:
	s_wait_alu 0xfffe
	s_or_b32 exec_lo, exec_lo, s0
	s_wait_storecnt_dscnt 0x0
	s_barrier_signal -1
	s_barrier_wait -1
	global_inv scope:SCOPE_SE
	s_clause 0x7
	scratch_load_b128 v[2:5], off, off offset:640
	scratch_load_b128 v[6:9], off, off offset:656
	;; [unrolled: 1-line block ×8, first 2 shown]
	v_mov_b32_e32 v1, 0
	s_clause 0x1
	scratch_load_b128 v[38:41], off, off offset:768
	scratch_load_b128 v[171:174], off, off offset:784
	s_mov_b32 s0, exec_lo
	ds_load_b128 v[34:37], v1 offset:1616
	ds_load_b128 v[167:170], v1 offset:1632
	s_wait_loadcnt_dscnt 0x901
	v_mul_f64_e32 v[175:176], v[36:37], v[4:5]
	v_mul_f64_e32 v[4:5], v[34:35], v[4:5]
	s_wait_loadcnt_dscnt 0x800
	v_mul_f64_e32 v[177:178], v[167:168], v[8:9]
	v_mul_f64_e32 v[8:9], v[169:170], v[8:9]
	s_delay_alu instid0(VALU_DEP_4) | instskip(NEXT) | instid1(VALU_DEP_4)
	v_fma_f64 v[175:176], v[34:35], v[2:3], -v[175:176]
	v_fma_f64 v[179:180], v[36:37], v[2:3], v[4:5]
	ds_load_b128 v[2:5], v1 offset:1648
	scratch_load_b128 v[34:37], off, off offset:800
	v_fma_f64 v[177:178], v[169:170], v[6:7], v[177:178]
	v_fma_f64 v[183:184], v[167:168], v[6:7], -v[8:9]
	ds_load_b128 v[6:9], v1 offset:1664
	scratch_load_b128 v[167:170], off, off offset:816
	s_wait_loadcnt_dscnt 0x901
	v_mul_f64_e32 v[181:182], v[2:3], v[12:13]
	v_mul_f64_e32 v[12:13], v[4:5], v[12:13]
	s_wait_loadcnt_dscnt 0x800
	v_mul_f64_e32 v[185:186], v[6:7], v[16:17]
	v_mul_f64_e32 v[16:17], v[8:9], v[16:17]
	v_add_f64_e32 v[175:176], 0, v[175:176]
	v_add_f64_e32 v[179:180], 0, v[179:180]
	v_fma_f64 v[181:182], v[4:5], v[10:11], v[181:182]
	v_fma_f64 v[187:188], v[2:3], v[10:11], -v[12:13]
	ds_load_b128 v[2:5], v1 offset:1680
	scratch_load_b128 v[10:13], off, off offset:832
	v_add_f64_e32 v[175:176], v[175:176], v[183:184]
	v_add_f64_e32 v[177:178], v[179:180], v[177:178]
	v_fma_f64 v[183:184], v[8:9], v[14:15], v[185:186]
	v_fma_f64 v[185:186], v[6:7], v[14:15], -v[16:17]
	ds_load_b128 v[6:9], v1 offset:1696
	scratch_load_b128 v[14:17], off, off offset:848
	s_wait_loadcnt_dscnt 0x901
	v_mul_f64_e32 v[179:180], v[2:3], v[20:21]
	v_mul_f64_e32 v[20:21], v[4:5], v[20:21]
	v_add_f64_e32 v[175:176], v[175:176], v[187:188]
	v_add_f64_e32 v[177:178], v[177:178], v[181:182]
	s_wait_loadcnt_dscnt 0x800
	v_mul_f64_e32 v[181:182], v[6:7], v[24:25]
	v_mul_f64_e32 v[24:25], v[8:9], v[24:25]
	v_fma_f64 v[179:180], v[4:5], v[18:19], v[179:180]
	v_fma_f64 v[187:188], v[2:3], v[18:19], -v[20:21]
	ds_load_b128 v[2:5], v1 offset:1712
	scratch_load_b128 v[18:21], off, off offset:864
	v_add_f64_e32 v[175:176], v[175:176], v[185:186]
	v_add_f64_e32 v[177:178], v[177:178], v[183:184]
	v_fma_f64 v[181:182], v[8:9], v[22:23], v[181:182]
	v_fma_f64 v[185:186], v[6:7], v[22:23], -v[24:25]
	ds_load_b128 v[6:9], v1 offset:1728
	s_wait_loadcnt_dscnt 0x801
	v_mul_f64_e32 v[183:184], v[2:3], v[28:29]
	v_mul_f64_e32 v[28:29], v[4:5], v[28:29]
	scratch_load_b128 v[22:25], off, off offset:880
	v_add_f64_e32 v[175:176], v[175:176], v[187:188]
	v_add_f64_e32 v[177:178], v[177:178], v[179:180]
	s_wait_loadcnt_dscnt 0x800
	v_mul_f64_e32 v[179:180], v[6:7], v[32:33]
	v_mul_f64_e32 v[32:33], v[8:9], v[32:33]
	v_fma_f64 v[183:184], v[4:5], v[26:27], v[183:184]
	v_fma_f64 v[187:188], v[2:3], v[26:27], -v[28:29]
	ds_load_b128 v[2:5], v1 offset:1744
	scratch_load_b128 v[26:29], off, off offset:896
	v_add_f64_e32 v[175:176], v[175:176], v[185:186]
	v_add_f64_e32 v[177:178], v[177:178], v[181:182]
	v_fma_f64 v[179:180], v[8:9], v[30:31], v[179:180]
	v_fma_f64 v[185:186], v[6:7], v[30:31], -v[32:33]
	ds_load_b128 v[6:9], v1 offset:1760
	s_wait_loadcnt_dscnt 0x801
	v_mul_f64_e32 v[181:182], v[2:3], v[40:41]
	v_mul_f64_e32 v[40:41], v[4:5], v[40:41]
	scratch_load_b128 v[30:33], off, off offset:912
	v_add_f64_e32 v[175:176], v[175:176], v[187:188]
	v_add_f64_e32 v[177:178], v[177:178], v[183:184]
	s_wait_loadcnt_dscnt 0x800
	v_mul_f64_e32 v[183:184], v[6:7], v[173:174]
	v_mul_f64_e32 v[173:174], v[8:9], v[173:174]
	v_fma_f64 v[181:182], v[4:5], v[38:39], v[181:182]
	v_fma_f64 v[187:188], v[2:3], v[38:39], -v[40:41]
	ds_load_b128 v[2:5], v1 offset:1776
	scratch_load_b128 v[38:41], off, off offset:928
	v_add_f64_e32 v[175:176], v[175:176], v[185:186]
	v_add_f64_e32 v[177:178], v[177:178], v[179:180]
	v_fma_f64 v[183:184], v[8:9], v[171:172], v[183:184]
	v_fma_f64 v[185:186], v[6:7], v[171:172], -v[173:174]
	ds_load_b128 v[6:9], v1 offset:1792
	scratch_load_b128 v[171:174], off, off offset:944
	s_wait_loadcnt_dscnt 0x901
	v_mul_f64_e32 v[179:180], v[2:3], v[36:37]
	v_mul_f64_e32 v[36:37], v[4:5], v[36:37]
	v_add_f64_e32 v[175:176], v[175:176], v[187:188]
	v_add_f64_e32 v[177:178], v[177:178], v[181:182]
	s_wait_loadcnt_dscnt 0x800
	v_mul_f64_e32 v[181:182], v[6:7], v[169:170]
	v_mul_f64_e32 v[169:170], v[8:9], v[169:170]
	v_fma_f64 v[179:180], v[4:5], v[34:35], v[179:180]
	v_fma_f64 v[187:188], v[2:3], v[34:35], -v[36:37]
	ds_load_b128 v[2:5], v1 offset:1808
	scratch_load_b128 v[34:37], off, off offset:960
	v_add_f64_e32 v[175:176], v[175:176], v[185:186]
	v_add_f64_e32 v[177:178], v[177:178], v[183:184]
	v_fma_f64 v[181:182], v[8:9], v[167:168], v[181:182]
	v_fma_f64 v[185:186], v[6:7], v[167:168], -v[169:170]
	ds_load_b128 v[6:9], v1 offset:1824
	s_wait_loadcnt_dscnt 0x801
	v_mul_f64_e32 v[183:184], v[2:3], v[12:13]
	v_mul_f64_e32 v[12:13], v[4:5], v[12:13]
	scratch_load_b128 v[167:170], off, off offset:976
	v_add_f64_e32 v[175:176], v[175:176], v[187:188]
	v_add_f64_e32 v[177:178], v[177:178], v[179:180]
	s_wait_loadcnt_dscnt 0x800
	v_mul_f64_e32 v[179:180], v[6:7], v[16:17]
	v_mul_f64_e32 v[16:17], v[8:9], v[16:17]
	v_fma_f64 v[183:184], v[4:5], v[10:11], v[183:184]
	v_fma_f64 v[187:188], v[2:3], v[10:11], -v[12:13]
	ds_load_b128 v[2:5], v1 offset:1840
	scratch_load_b128 v[10:13], off, off offset:992
	v_add_f64_e32 v[175:176], v[175:176], v[185:186]
	v_add_f64_e32 v[177:178], v[177:178], v[181:182]
	v_fma_f64 v[179:180], v[8:9], v[14:15], v[179:180]
	v_fma_f64 v[14:15], v[6:7], v[14:15], -v[16:17]
	ds_load_b128 v[6:9], v1 offset:1856
	s_wait_loadcnt_dscnt 0x801
	v_mul_f64_e32 v[181:182], v[2:3], v[20:21]
	v_mul_f64_e32 v[20:21], v[4:5], v[20:21]
	v_add_f64_e32 v[16:17], v[175:176], v[187:188]
	v_add_f64_e32 v[175:176], v[177:178], v[183:184]
	s_wait_loadcnt_dscnt 0x700
	v_mul_f64_e32 v[177:178], v[6:7], v[24:25]
	v_mul_f64_e32 v[24:25], v[8:9], v[24:25]
	v_fma_f64 v[181:182], v[4:5], v[18:19], v[181:182]
	v_fma_f64 v[18:19], v[2:3], v[18:19], -v[20:21]
	ds_load_b128 v[2:5], v1 offset:1872
	v_add_f64_e32 v[14:15], v[16:17], v[14:15]
	v_add_f64_e32 v[16:17], v[175:176], v[179:180]
	v_fma_f64 v[175:176], v[8:9], v[22:23], v[177:178]
	v_fma_f64 v[22:23], v[6:7], v[22:23], -v[24:25]
	ds_load_b128 v[6:9], v1 offset:1888
	s_wait_loadcnt_dscnt 0x500
	v_mul_f64_e32 v[177:178], v[6:7], v[32:33]
	v_mul_f64_e32 v[32:33], v[8:9], v[32:33]
	v_add_f64_e32 v[18:19], v[14:15], v[18:19]
	v_add_f64_e32 v[24:25], v[16:17], v[181:182]
	scratch_load_b128 v[14:17], off, off offset:624
	v_mul_f64_e32 v[20:21], v[2:3], v[28:29]
	v_mul_f64_e32 v[28:29], v[4:5], v[28:29]
	v_add_f64_e32 v[18:19], v[18:19], v[22:23]
	v_add_f64_e32 v[22:23], v[24:25], v[175:176]
	s_delay_alu instid0(VALU_DEP_4) | instskip(NEXT) | instid1(VALU_DEP_4)
	v_fma_f64 v[20:21], v[4:5], v[26:27], v[20:21]
	v_fma_f64 v[26:27], v[2:3], v[26:27], -v[28:29]
	ds_load_b128 v[2:5], v1 offset:1904
	s_wait_loadcnt_dscnt 0x500
	v_mul_f64_e32 v[24:25], v[2:3], v[40:41]
	v_mul_f64_e32 v[28:29], v[4:5], v[40:41]
	v_fma_f64 v[40:41], v[8:9], v[30:31], v[177:178]
	v_fma_f64 v[30:31], v[6:7], v[30:31], -v[32:33]
	ds_load_b128 v[6:9], v1 offset:1920
	v_add_f64_e32 v[20:21], v[22:23], v[20:21]
	v_add_f64_e32 v[18:19], v[18:19], v[26:27]
	v_fma_f64 v[24:25], v[4:5], v[38:39], v[24:25]
	v_fma_f64 v[28:29], v[2:3], v[38:39], -v[28:29]
	ds_load_b128 v[2:5], v1 offset:1936
	s_wait_loadcnt_dscnt 0x401
	v_mul_f64_e32 v[22:23], v[6:7], v[173:174]
	v_mul_f64_e32 v[26:27], v[8:9], v[173:174]
	v_add_f64_e32 v[20:21], v[20:21], v[40:41]
	v_add_f64_e32 v[18:19], v[18:19], v[30:31]
	s_wait_loadcnt_dscnt 0x300
	v_mul_f64_e32 v[30:31], v[2:3], v[36:37]
	v_mul_f64_e32 v[32:33], v[4:5], v[36:37]
	v_fma_f64 v[22:23], v[8:9], v[171:172], v[22:23]
	v_fma_f64 v[26:27], v[6:7], v[171:172], -v[26:27]
	ds_load_b128 v[6:9], v1 offset:1952
	v_add_f64_e32 v[20:21], v[20:21], v[24:25]
	v_add_f64_e32 v[18:19], v[18:19], v[28:29]
	v_fma_f64 v[30:31], v[4:5], v[34:35], v[30:31]
	v_fma_f64 v[32:33], v[2:3], v[34:35], -v[32:33]
	ds_load_b128 v[2:5], v1 offset:1968
	s_wait_loadcnt_dscnt 0x201
	v_mul_f64_e32 v[24:25], v[6:7], v[169:170]
	v_mul_f64_e32 v[28:29], v[8:9], v[169:170]
	v_add_f64_e32 v[20:21], v[20:21], v[22:23]
	v_add_f64_e32 v[18:19], v[18:19], v[26:27]
	s_wait_loadcnt_dscnt 0x100
	v_mul_f64_e32 v[22:23], v[2:3], v[12:13]
	v_mul_f64_e32 v[12:13], v[4:5], v[12:13]
	v_fma_f64 v[8:9], v[8:9], v[167:168], v[24:25]
	v_fma_f64 v[6:7], v[6:7], v[167:168], -v[28:29]
	v_add_f64_e32 v[20:21], v[20:21], v[30:31]
	v_add_f64_e32 v[18:19], v[18:19], v[32:33]
	v_fma_f64 v[4:5], v[4:5], v[10:11], v[22:23]
	v_fma_f64 v[2:3], v[2:3], v[10:11], -v[12:13]
	s_delay_alu instid0(VALU_DEP_4) | instskip(NEXT) | instid1(VALU_DEP_4)
	v_add_f64_e32 v[8:9], v[20:21], v[8:9]
	v_add_f64_e32 v[6:7], v[18:19], v[6:7]
	s_delay_alu instid0(VALU_DEP_2) | instskip(NEXT) | instid1(VALU_DEP_2)
	v_add_f64_e32 v[4:5], v[8:9], v[4:5]
	v_add_f64_e32 v[2:3], v[6:7], v[2:3]
	s_wait_loadcnt 0x0
	s_delay_alu instid0(VALU_DEP_2) | instskip(NEXT) | instid1(VALU_DEP_2)
	v_add_f64_e64 v[4:5], v[16:17], -v[4:5]
	v_add_f64_e64 v[2:3], v[14:15], -v[2:3]
	scratch_store_b128 off, v[2:5], off offset:624
	v_cmpx_lt_u32_e32 37, v0
	s_cbranch_execz .LBB125_323
; %bb.322:
	scratch_load_b128 v[5:8], off, s40
	v_dual_mov_b32 v2, v1 :: v_dual_mov_b32 v3, v1
	v_mov_b32_e32 v4, v1
	scratch_store_b128 off, v[1:4], off offset:608
	s_wait_loadcnt 0x0
	ds_store_b128 v166, v[5:8]
.LBB125_323:
	s_wait_alu 0xfffe
	s_or_b32 exec_lo, exec_lo, s0
	s_wait_storecnt_dscnt 0x0
	s_barrier_signal -1
	s_barrier_wait -1
	global_inv scope:SCOPE_SE
	s_clause 0x7
	scratch_load_b128 v[2:5], off, off offset:624
	scratch_load_b128 v[6:9], off, off offset:640
	;; [unrolled: 1-line block ×8, first 2 shown]
	ds_load_b128 v[34:37], v1 offset:1600
	ds_load_b128 v[167:170], v1 offset:1616
	s_clause 0x1
	scratch_load_b128 v[38:41], off, off offset:752
	scratch_load_b128 v[171:174], off, off offset:768
	s_mov_b32 s0, exec_lo
	s_wait_loadcnt_dscnt 0x901
	v_mul_f64_e32 v[175:176], v[36:37], v[4:5]
	v_mul_f64_e32 v[4:5], v[34:35], v[4:5]
	s_wait_loadcnt_dscnt 0x800
	v_mul_f64_e32 v[177:178], v[167:168], v[8:9]
	v_mul_f64_e32 v[8:9], v[169:170], v[8:9]
	s_delay_alu instid0(VALU_DEP_4) | instskip(NEXT) | instid1(VALU_DEP_4)
	v_fma_f64 v[175:176], v[34:35], v[2:3], -v[175:176]
	v_fma_f64 v[179:180], v[36:37], v[2:3], v[4:5]
	ds_load_b128 v[2:5], v1 offset:1632
	scratch_load_b128 v[34:37], off, off offset:784
	v_fma_f64 v[177:178], v[169:170], v[6:7], v[177:178]
	v_fma_f64 v[183:184], v[167:168], v[6:7], -v[8:9]
	ds_load_b128 v[6:9], v1 offset:1648
	scratch_load_b128 v[167:170], off, off offset:800
	s_wait_loadcnt_dscnt 0x901
	v_mul_f64_e32 v[181:182], v[2:3], v[12:13]
	v_mul_f64_e32 v[12:13], v[4:5], v[12:13]
	s_wait_loadcnt_dscnt 0x800
	v_mul_f64_e32 v[185:186], v[6:7], v[16:17]
	v_mul_f64_e32 v[16:17], v[8:9], v[16:17]
	v_add_f64_e32 v[175:176], 0, v[175:176]
	v_add_f64_e32 v[179:180], 0, v[179:180]
	v_fma_f64 v[181:182], v[4:5], v[10:11], v[181:182]
	v_fma_f64 v[187:188], v[2:3], v[10:11], -v[12:13]
	ds_load_b128 v[2:5], v1 offset:1664
	scratch_load_b128 v[10:13], off, off offset:816
	v_add_f64_e32 v[175:176], v[175:176], v[183:184]
	v_add_f64_e32 v[177:178], v[179:180], v[177:178]
	v_fma_f64 v[183:184], v[8:9], v[14:15], v[185:186]
	v_fma_f64 v[185:186], v[6:7], v[14:15], -v[16:17]
	ds_load_b128 v[6:9], v1 offset:1680
	scratch_load_b128 v[14:17], off, off offset:832
	s_wait_loadcnt_dscnt 0x901
	v_mul_f64_e32 v[179:180], v[2:3], v[20:21]
	v_mul_f64_e32 v[20:21], v[4:5], v[20:21]
	v_add_f64_e32 v[175:176], v[175:176], v[187:188]
	v_add_f64_e32 v[177:178], v[177:178], v[181:182]
	s_wait_loadcnt_dscnt 0x800
	v_mul_f64_e32 v[181:182], v[6:7], v[24:25]
	v_mul_f64_e32 v[24:25], v[8:9], v[24:25]
	v_fma_f64 v[179:180], v[4:5], v[18:19], v[179:180]
	v_fma_f64 v[187:188], v[2:3], v[18:19], -v[20:21]
	ds_load_b128 v[2:5], v1 offset:1696
	scratch_load_b128 v[18:21], off, off offset:848
	v_add_f64_e32 v[175:176], v[175:176], v[185:186]
	v_add_f64_e32 v[177:178], v[177:178], v[183:184]
	v_fma_f64 v[181:182], v[8:9], v[22:23], v[181:182]
	v_fma_f64 v[185:186], v[6:7], v[22:23], -v[24:25]
	ds_load_b128 v[6:9], v1 offset:1712
	s_wait_loadcnt_dscnt 0x801
	v_mul_f64_e32 v[183:184], v[2:3], v[28:29]
	v_mul_f64_e32 v[28:29], v[4:5], v[28:29]
	scratch_load_b128 v[22:25], off, off offset:864
	v_add_f64_e32 v[175:176], v[175:176], v[187:188]
	v_add_f64_e32 v[177:178], v[177:178], v[179:180]
	s_wait_loadcnt_dscnt 0x800
	v_mul_f64_e32 v[179:180], v[6:7], v[32:33]
	v_mul_f64_e32 v[32:33], v[8:9], v[32:33]
	v_fma_f64 v[183:184], v[4:5], v[26:27], v[183:184]
	v_fma_f64 v[187:188], v[2:3], v[26:27], -v[28:29]
	ds_load_b128 v[2:5], v1 offset:1728
	scratch_load_b128 v[26:29], off, off offset:880
	v_add_f64_e32 v[175:176], v[175:176], v[185:186]
	v_add_f64_e32 v[177:178], v[177:178], v[181:182]
	v_fma_f64 v[179:180], v[8:9], v[30:31], v[179:180]
	v_fma_f64 v[185:186], v[6:7], v[30:31], -v[32:33]
	ds_load_b128 v[6:9], v1 offset:1744
	s_wait_loadcnt_dscnt 0x801
	v_mul_f64_e32 v[181:182], v[2:3], v[40:41]
	v_mul_f64_e32 v[40:41], v[4:5], v[40:41]
	scratch_load_b128 v[30:33], off, off offset:896
	v_add_f64_e32 v[175:176], v[175:176], v[187:188]
	v_add_f64_e32 v[177:178], v[177:178], v[183:184]
	s_wait_loadcnt_dscnt 0x800
	v_mul_f64_e32 v[183:184], v[6:7], v[173:174]
	v_mul_f64_e32 v[173:174], v[8:9], v[173:174]
	v_fma_f64 v[181:182], v[4:5], v[38:39], v[181:182]
	v_fma_f64 v[187:188], v[2:3], v[38:39], -v[40:41]
	ds_load_b128 v[2:5], v1 offset:1760
	scratch_load_b128 v[38:41], off, off offset:912
	v_add_f64_e32 v[175:176], v[175:176], v[185:186]
	v_add_f64_e32 v[177:178], v[177:178], v[179:180]
	v_fma_f64 v[183:184], v[8:9], v[171:172], v[183:184]
	v_fma_f64 v[185:186], v[6:7], v[171:172], -v[173:174]
	ds_load_b128 v[6:9], v1 offset:1776
	scratch_load_b128 v[171:174], off, off offset:928
	s_wait_loadcnt_dscnt 0x901
	v_mul_f64_e32 v[179:180], v[2:3], v[36:37]
	v_mul_f64_e32 v[36:37], v[4:5], v[36:37]
	v_add_f64_e32 v[175:176], v[175:176], v[187:188]
	v_add_f64_e32 v[177:178], v[177:178], v[181:182]
	s_wait_loadcnt_dscnt 0x800
	v_mul_f64_e32 v[181:182], v[6:7], v[169:170]
	v_mul_f64_e32 v[169:170], v[8:9], v[169:170]
	v_fma_f64 v[179:180], v[4:5], v[34:35], v[179:180]
	v_fma_f64 v[187:188], v[2:3], v[34:35], -v[36:37]
	ds_load_b128 v[2:5], v1 offset:1792
	scratch_load_b128 v[34:37], off, off offset:944
	v_add_f64_e32 v[175:176], v[175:176], v[185:186]
	v_add_f64_e32 v[177:178], v[177:178], v[183:184]
	v_fma_f64 v[181:182], v[8:9], v[167:168], v[181:182]
	v_fma_f64 v[185:186], v[6:7], v[167:168], -v[169:170]
	ds_load_b128 v[6:9], v1 offset:1808
	s_wait_loadcnt_dscnt 0x801
	v_mul_f64_e32 v[183:184], v[2:3], v[12:13]
	v_mul_f64_e32 v[12:13], v[4:5], v[12:13]
	scratch_load_b128 v[167:170], off, off offset:960
	v_add_f64_e32 v[175:176], v[175:176], v[187:188]
	v_add_f64_e32 v[177:178], v[177:178], v[179:180]
	s_wait_loadcnt_dscnt 0x800
	v_mul_f64_e32 v[179:180], v[6:7], v[16:17]
	v_mul_f64_e32 v[16:17], v[8:9], v[16:17]
	v_fma_f64 v[183:184], v[4:5], v[10:11], v[183:184]
	v_fma_f64 v[187:188], v[2:3], v[10:11], -v[12:13]
	ds_load_b128 v[2:5], v1 offset:1824
	scratch_load_b128 v[10:13], off, off offset:976
	v_add_f64_e32 v[175:176], v[175:176], v[185:186]
	v_add_f64_e32 v[177:178], v[177:178], v[181:182]
	v_fma_f64 v[179:180], v[8:9], v[14:15], v[179:180]
	v_fma_f64 v[185:186], v[6:7], v[14:15], -v[16:17]
	ds_load_b128 v[6:9], v1 offset:1840
	s_wait_loadcnt_dscnt 0x801
	v_mul_f64_e32 v[181:182], v[2:3], v[20:21]
	v_mul_f64_e32 v[20:21], v[4:5], v[20:21]
	scratch_load_b128 v[14:17], off, off offset:992
	v_add_f64_e32 v[175:176], v[175:176], v[187:188]
	v_add_f64_e32 v[177:178], v[177:178], v[183:184]
	s_wait_loadcnt_dscnt 0x800
	v_mul_f64_e32 v[183:184], v[6:7], v[24:25]
	v_mul_f64_e32 v[24:25], v[8:9], v[24:25]
	v_fma_f64 v[181:182], v[4:5], v[18:19], v[181:182]
	v_fma_f64 v[18:19], v[2:3], v[18:19], -v[20:21]
	ds_load_b128 v[2:5], v1 offset:1856
	v_add_f64_e32 v[20:21], v[175:176], v[185:186]
	v_add_f64_e32 v[175:176], v[177:178], v[179:180]
	v_fma_f64 v[179:180], v[8:9], v[22:23], v[183:184]
	v_fma_f64 v[22:23], v[6:7], v[22:23], -v[24:25]
	ds_load_b128 v[6:9], v1 offset:1872
	s_wait_loadcnt_dscnt 0x701
	v_mul_f64_e32 v[177:178], v[2:3], v[28:29]
	v_mul_f64_e32 v[28:29], v[4:5], v[28:29]
	v_add_f64_e32 v[18:19], v[20:21], v[18:19]
	v_add_f64_e32 v[20:21], v[175:176], v[181:182]
	s_delay_alu instid0(VALU_DEP_4) | instskip(NEXT) | instid1(VALU_DEP_4)
	v_fma_f64 v[175:176], v[4:5], v[26:27], v[177:178]
	v_fma_f64 v[26:27], v[2:3], v[26:27], -v[28:29]
	ds_load_b128 v[2:5], v1 offset:1888
	v_add_f64_e32 v[22:23], v[18:19], v[22:23]
	v_add_f64_e32 v[28:29], v[20:21], v[179:180]
	scratch_load_b128 v[18:21], off, off offset:608
	s_wait_loadcnt_dscnt 0x701
	v_mul_f64_e32 v[24:25], v[6:7], v[32:33]
	v_mul_f64_e32 v[32:33], v[8:9], v[32:33]
	v_add_f64_e32 v[22:23], v[22:23], v[26:27]
	v_add_f64_e32 v[26:27], v[28:29], v[175:176]
	s_delay_alu instid0(VALU_DEP_4) | instskip(NEXT) | instid1(VALU_DEP_4)
	v_fma_f64 v[24:25], v[8:9], v[30:31], v[24:25]
	v_fma_f64 v[30:31], v[6:7], v[30:31], -v[32:33]
	ds_load_b128 v[6:9], v1 offset:1904
	s_wait_loadcnt_dscnt 0x601
	v_mul_f64_e32 v[177:178], v[2:3], v[40:41]
	v_mul_f64_e32 v[40:41], v[4:5], v[40:41]
	s_wait_loadcnt_dscnt 0x500
	v_mul_f64_e32 v[28:29], v[6:7], v[173:174]
	v_mul_f64_e32 v[32:33], v[8:9], v[173:174]
	v_add_f64_e32 v[24:25], v[26:27], v[24:25]
	v_add_f64_e32 v[22:23], v[22:23], v[30:31]
	v_fma_f64 v[173:174], v[4:5], v[38:39], v[177:178]
	v_fma_f64 v[38:39], v[2:3], v[38:39], -v[40:41]
	ds_load_b128 v[2:5], v1 offset:1920
	v_fma_f64 v[28:29], v[8:9], v[171:172], v[28:29]
	v_fma_f64 v[32:33], v[6:7], v[171:172], -v[32:33]
	ds_load_b128 v[6:9], v1 offset:1936
	s_wait_loadcnt_dscnt 0x401
	v_mul_f64_e32 v[26:27], v[2:3], v[36:37]
	v_mul_f64_e32 v[30:31], v[4:5], v[36:37]
	v_add_f64_e32 v[24:25], v[24:25], v[173:174]
	v_add_f64_e32 v[22:23], v[22:23], v[38:39]
	s_wait_loadcnt_dscnt 0x300
	v_mul_f64_e32 v[36:37], v[6:7], v[169:170]
	v_mul_f64_e32 v[38:39], v[8:9], v[169:170]
	v_fma_f64 v[26:27], v[4:5], v[34:35], v[26:27]
	v_fma_f64 v[30:31], v[2:3], v[34:35], -v[30:31]
	ds_load_b128 v[2:5], v1 offset:1952
	v_add_f64_e32 v[24:25], v[24:25], v[28:29]
	v_add_f64_e32 v[22:23], v[22:23], v[32:33]
	v_fma_f64 v[32:33], v[8:9], v[167:168], v[36:37]
	v_fma_f64 v[34:35], v[6:7], v[167:168], -v[38:39]
	ds_load_b128 v[6:9], v1 offset:1968
	s_wait_loadcnt_dscnt 0x201
	v_mul_f64_e32 v[28:29], v[2:3], v[12:13]
	v_mul_f64_e32 v[12:13], v[4:5], v[12:13]
	v_add_f64_e32 v[24:25], v[24:25], v[26:27]
	v_add_f64_e32 v[22:23], v[22:23], v[30:31]
	s_wait_loadcnt_dscnt 0x100
	v_mul_f64_e32 v[26:27], v[6:7], v[16:17]
	v_mul_f64_e32 v[16:17], v[8:9], v[16:17]
	v_fma_f64 v[4:5], v[4:5], v[10:11], v[28:29]
	v_fma_f64 v[1:2], v[2:3], v[10:11], -v[12:13]
	v_add_f64_e32 v[12:13], v[24:25], v[32:33]
	v_add_f64_e32 v[10:11], v[22:23], v[34:35]
	v_fma_f64 v[8:9], v[8:9], v[14:15], v[26:27]
	v_fma_f64 v[6:7], v[6:7], v[14:15], -v[16:17]
	s_delay_alu instid0(VALU_DEP_4) | instskip(NEXT) | instid1(VALU_DEP_4)
	v_add_f64_e32 v[3:4], v[12:13], v[4:5]
	v_add_f64_e32 v[1:2], v[10:11], v[1:2]
	s_delay_alu instid0(VALU_DEP_2) | instskip(NEXT) | instid1(VALU_DEP_2)
	v_add_f64_e32 v[3:4], v[3:4], v[8:9]
	v_add_f64_e32 v[1:2], v[1:2], v[6:7]
	s_wait_loadcnt 0x0
	s_delay_alu instid0(VALU_DEP_2) | instskip(NEXT) | instid1(VALU_DEP_2)
	v_add_f64_e64 v[3:4], v[20:21], -v[3:4]
	v_add_f64_e64 v[1:2], v[18:19], -v[1:2]
	scratch_store_b128 off, v[1:4], off offset:608
	v_cmpx_lt_u32_e32 36, v0
	s_cbranch_execz .LBB125_325
; %bb.324:
	scratch_load_b128 v[1:4], off, s41
	v_mov_b32_e32 v5, 0
	s_delay_alu instid0(VALU_DEP_1)
	v_dual_mov_b32 v6, v5 :: v_dual_mov_b32 v7, v5
	v_mov_b32_e32 v8, v5
	scratch_store_b128 off, v[5:8], off offset:592
	s_wait_loadcnt 0x0
	ds_store_b128 v166, v[1:4]
.LBB125_325:
	s_wait_alu 0xfffe
	s_or_b32 exec_lo, exec_lo, s0
	s_wait_storecnt_dscnt 0x0
	s_barrier_signal -1
	s_barrier_wait -1
	global_inv scope:SCOPE_SE
	s_clause 0x7
	scratch_load_b128 v[2:5], off, off offset:608
	scratch_load_b128 v[6:9], off, off offset:624
	;; [unrolled: 1-line block ×8, first 2 shown]
	v_mov_b32_e32 v1, 0
	s_clause 0x1
	scratch_load_b128 v[38:41], off, off offset:736
	scratch_load_b128 v[171:174], off, off offset:752
	s_mov_b32 s0, exec_lo
	ds_load_b128 v[34:37], v1 offset:1584
	ds_load_b128 v[167:170], v1 offset:1600
	s_wait_loadcnt_dscnt 0x901
	v_mul_f64_e32 v[175:176], v[36:37], v[4:5]
	v_mul_f64_e32 v[4:5], v[34:35], v[4:5]
	s_wait_loadcnt_dscnt 0x800
	v_mul_f64_e32 v[177:178], v[167:168], v[8:9]
	v_mul_f64_e32 v[8:9], v[169:170], v[8:9]
	s_delay_alu instid0(VALU_DEP_4) | instskip(NEXT) | instid1(VALU_DEP_4)
	v_fma_f64 v[175:176], v[34:35], v[2:3], -v[175:176]
	v_fma_f64 v[179:180], v[36:37], v[2:3], v[4:5]
	ds_load_b128 v[2:5], v1 offset:1616
	scratch_load_b128 v[34:37], off, off offset:768
	v_fma_f64 v[177:178], v[169:170], v[6:7], v[177:178]
	v_fma_f64 v[183:184], v[167:168], v[6:7], -v[8:9]
	ds_load_b128 v[6:9], v1 offset:1632
	scratch_load_b128 v[167:170], off, off offset:784
	s_wait_loadcnt_dscnt 0x901
	v_mul_f64_e32 v[181:182], v[2:3], v[12:13]
	v_mul_f64_e32 v[12:13], v[4:5], v[12:13]
	s_wait_loadcnt_dscnt 0x800
	v_mul_f64_e32 v[185:186], v[6:7], v[16:17]
	v_mul_f64_e32 v[16:17], v[8:9], v[16:17]
	v_add_f64_e32 v[175:176], 0, v[175:176]
	v_add_f64_e32 v[179:180], 0, v[179:180]
	v_fma_f64 v[181:182], v[4:5], v[10:11], v[181:182]
	v_fma_f64 v[187:188], v[2:3], v[10:11], -v[12:13]
	ds_load_b128 v[2:5], v1 offset:1648
	scratch_load_b128 v[10:13], off, off offset:800
	v_add_f64_e32 v[175:176], v[175:176], v[183:184]
	v_add_f64_e32 v[177:178], v[179:180], v[177:178]
	v_fma_f64 v[183:184], v[8:9], v[14:15], v[185:186]
	v_fma_f64 v[185:186], v[6:7], v[14:15], -v[16:17]
	ds_load_b128 v[6:9], v1 offset:1664
	scratch_load_b128 v[14:17], off, off offset:816
	s_wait_loadcnt_dscnt 0x901
	v_mul_f64_e32 v[179:180], v[2:3], v[20:21]
	v_mul_f64_e32 v[20:21], v[4:5], v[20:21]
	v_add_f64_e32 v[175:176], v[175:176], v[187:188]
	v_add_f64_e32 v[177:178], v[177:178], v[181:182]
	s_wait_loadcnt_dscnt 0x800
	v_mul_f64_e32 v[181:182], v[6:7], v[24:25]
	v_mul_f64_e32 v[24:25], v[8:9], v[24:25]
	v_fma_f64 v[179:180], v[4:5], v[18:19], v[179:180]
	v_fma_f64 v[187:188], v[2:3], v[18:19], -v[20:21]
	ds_load_b128 v[2:5], v1 offset:1680
	scratch_load_b128 v[18:21], off, off offset:832
	v_add_f64_e32 v[175:176], v[175:176], v[185:186]
	v_add_f64_e32 v[177:178], v[177:178], v[183:184]
	v_fma_f64 v[181:182], v[8:9], v[22:23], v[181:182]
	v_fma_f64 v[185:186], v[6:7], v[22:23], -v[24:25]
	ds_load_b128 v[6:9], v1 offset:1696
	s_wait_loadcnt_dscnt 0x801
	v_mul_f64_e32 v[183:184], v[2:3], v[28:29]
	v_mul_f64_e32 v[28:29], v[4:5], v[28:29]
	scratch_load_b128 v[22:25], off, off offset:848
	v_add_f64_e32 v[175:176], v[175:176], v[187:188]
	v_add_f64_e32 v[177:178], v[177:178], v[179:180]
	s_wait_loadcnt_dscnt 0x800
	v_mul_f64_e32 v[179:180], v[6:7], v[32:33]
	v_mul_f64_e32 v[32:33], v[8:9], v[32:33]
	v_fma_f64 v[183:184], v[4:5], v[26:27], v[183:184]
	v_fma_f64 v[187:188], v[2:3], v[26:27], -v[28:29]
	ds_load_b128 v[2:5], v1 offset:1712
	scratch_load_b128 v[26:29], off, off offset:864
	v_add_f64_e32 v[175:176], v[175:176], v[185:186]
	v_add_f64_e32 v[177:178], v[177:178], v[181:182]
	v_fma_f64 v[179:180], v[8:9], v[30:31], v[179:180]
	v_fma_f64 v[185:186], v[6:7], v[30:31], -v[32:33]
	ds_load_b128 v[6:9], v1 offset:1728
	s_wait_loadcnt_dscnt 0x801
	v_mul_f64_e32 v[181:182], v[2:3], v[40:41]
	v_mul_f64_e32 v[40:41], v[4:5], v[40:41]
	scratch_load_b128 v[30:33], off, off offset:880
	v_add_f64_e32 v[175:176], v[175:176], v[187:188]
	v_add_f64_e32 v[177:178], v[177:178], v[183:184]
	s_wait_loadcnt_dscnt 0x800
	v_mul_f64_e32 v[183:184], v[6:7], v[173:174]
	v_mul_f64_e32 v[173:174], v[8:9], v[173:174]
	v_fma_f64 v[181:182], v[4:5], v[38:39], v[181:182]
	v_fma_f64 v[187:188], v[2:3], v[38:39], -v[40:41]
	ds_load_b128 v[2:5], v1 offset:1744
	scratch_load_b128 v[38:41], off, off offset:896
	v_add_f64_e32 v[175:176], v[175:176], v[185:186]
	v_add_f64_e32 v[177:178], v[177:178], v[179:180]
	v_fma_f64 v[183:184], v[8:9], v[171:172], v[183:184]
	v_fma_f64 v[185:186], v[6:7], v[171:172], -v[173:174]
	ds_load_b128 v[6:9], v1 offset:1760
	scratch_load_b128 v[171:174], off, off offset:912
	s_wait_loadcnt_dscnt 0x901
	v_mul_f64_e32 v[179:180], v[2:3], v[36:37]
	v_mul_f64_e32 v[36:37], v[4:5], v[36:37]
	v_add_f64_e32 v[175:176], v[175:176], v[187:188]
	v_add_f64_e32 v[177:178], v[177:178], v[181:182]
	s_wait_loadcnt_dscnt 0x800
	v_mul_f64_e32 v[181:182], v[6:7], v[169:170]
	v_mul_f64_e32 v[169:170], v[8:9], v[169:170]
	v_fma_f64 v[179:180], v[4:5], v[34:35], v[179:180]
	v_fma_f64 v[187:188], v[2:3], v[34:35], -v[36:37]
	ds_load_b128 v[2:5], v1 offset:1776
	scratch_load_b128 v[34:37], off, off offset:928
	v_add_f64_e32 v[175:176], v[175:176], v[185:186]
	v_add_f64_e32 v[177:178], v[177:178], v[183:184]
	v_fma_f64 v[181:182], v[8:9], v[167:168], v[181:182]
	v_fma_f64 v[185:186], v[6:7], v[167:168], -v[169:170]
	ds_load_b128 v[6:9], v1 offset:1792
	s_wait_loadcnt_dscnt 0x801
	v_mul_f64_e32 v[183:184], v[2:3], v[12:13]
	v_mul_f64_e32 v[12:13], v[4:5], v[12:13]
	scratch_load_b128 v[167:170], off, off offset:944
	v_add_f64_e32 v[175:176], v[175:176], v[187:188]
	v_add_f64_e32 v[177:178], v[177:178], v[179:180]
	s_wait_loadcnt_dscnt 0x800
	v_mul_f64_e32 v[179:180], v[6:7], v[16:17]
	v_mul_f64_e32 v[16:17], v[8:9], v[16:17]
	v_fma_f64 v[183:184], v[4:5], v[10:11], v[183:184]
	v_fma_f64 v[187:188], v[2:3], v[10:11], -v[12:13]
	ds_load_b128 v[2:5], v1 offset:1808
	scratch_load_b128 v[10:13], off, off offset:960
	v_add_f64_e32 v[175:176], v[175:176], v[185:186]
	v_add_f64_e32 v[177:178], v[177:178], v[181:182]
	v_fma_f64 v[179:180], v[8:9], v[14:15], v[179:180]
	v_fma_f64 v[185:186], v[6:7], v[14:15], -v[16:17]
	ds_load_b128 v[6:9], v1 offset:1824
	s_wait_loadcnt_dscnt 0x801
	v_mul_f64_e32 v[181:182], v[2:3], v[20:21]
	v_mul_f64_e32 v[20:21], v[4:5], v[20:21]
	scratch_load_b128 v[14:17], off, off offset:976
	v_add_f64_e32 v[175:176], v[175:176], v[187:188]
	v_add_f64_e32 v[177:178], v[177:178], v[183:184]
	s_wait_loadcnt_dscnt 0x800
	v_mul_f64_e32 v[183:184], v[6:7], v[24:25]
	v_mul_f64_e32 v[24:25], v[8:9], v[24:25]
	v_fma_f64 v[181:182], v[4:5], v[18:19], v[181:182]
	v_fma_f64 v[187:188], v[2:3], v[18:19], -v[20:21]
	ds_load_b128 v[2:5], v1 offset:1840
	scratch_load_b128 v[18:21], off, off offset:992
	v_add_f64_e32 v[175:176], v[175:176], v[185:186]
	v_add_f64_e32 v[177:178], v[177:178], v[179:180]
	v_fma_f64 v[183:184], v[8:9], v[22:23], v[183:184]
	v_fma_f64 v[22:23], v[6:7], v[22:23], -v[24:25]
	ds_load_b128 v[6:9], v1 offset:1856
	s_wait_loadcnt_dscnt 0x801
	v_mul_f64_e32 v[179:180], v[2:3], v[28:29]
	v_mul_f64_e32 v[28:29], v[4:5], v[28:29]
	v_add_f64_e32 v[24:25], v[175:176], v[187:188]
	v_add_f64_e32 v[175:176], v[177:178], v[181:182]
	s_wait_loadcnt_dscnt 0x700
	v_mul_f64_e32 v[177:178], v[6:7], v[32:33]
	v_mul_f64_e32 v[32:33], v[8:9], v[32:33]
	v_fma_f64 v[179:180], v[4:5], v[26:27], v[179:180]
	v_fma_f64 v[26:27], v[2:3], v[26:27], -v[28:29]
	ds_load_b128 v[2:5], v1 offset:1872
	v_add_f64_e32 v[22:23], v[24:25], v[22:23]
	v_add_f64_e32 v[24:25], v[175:176], v[183:184]
	v_fma_f64 v[175:176], v[8:9], v[30:31], v[177:178]
	v_fma_f64 v[30:31], v[6:7], v[30:31], -v[32:33]
	ds_load_b128 v[6:9], v1 offset:1888
	s_wait_loadcnt_dscnt 0x500
	v_mul_f64_e32 v[177:178], v[6:7], v[173:174]
	v_mul_f64_e32 v[173:174], v[8:9], v[173:174]
	v_add_f64_e32 v[26:27], v[22:23], v[26:27]
	v_add_f64_e32 v[32:33], v[24:25], v[179:180]
	scratch_load_b128 v[22:25], off, off offset:592
	v_mul_f64_e32 v[28:29], v[2:3], v[40:41]
	v_mul_f64_e32 v[40:41], v[4:5], v[40:41]
	v_add_f64_e32 v[26:27], v[26:27], v[30:31]
	v_add_f64_e32 v[30:31], v[32:33], v[175:176]
	s_delay_alu instid0(VALU_DEP_4) | instskip(NEXT) | instid1(VALU_DEP_4)
	v_fma_f64 v[28:29], v[4:5], v[38:39], v[28:29]
	v_fma_f64 v[38:39], v[2:3], v[38:39], -v[40:41]
	ds_load_b128 v[2:5], v1 offset:1904
	v_fma_f64 v[40:41], v[8:9], v[171:172], v[177:178]
	v_fma_f64 v[171:172], v[6:7], v[171:172], -v[173:174]
	ds_load_b128 v[6:9], v1 offset:1920
	s_wait_loadcnt_dscnt 0x501
	v_mul_f64_e32 v[32:33], v[2:3], v[36:37]
	v_mul_f64_e32 v[36:37], v[4:5], v[36:37]
	v_add_f64_e32 v[28:29], v[30:31], v[28:29]
	v_add_f64_e32 v[26:27], v[26:27], v[38:39]
	s_wait_loadcnt_dscnt 0x400
	v_mul_f64_e32 v[30:31], v[6:7], v[169:170]
	v_mul_f64_e32 v[38:39], v[8:9], v[169:170]
	v_fma_f64 v[32:33], v[4:5], v[34:35], v[32:33]
	v_fma_f64 v[34:35], v[2:3], v[34:35], -v[36:37]
	ds_load_b128 v[2:5], v1 offset:1936
	v_add_f64_e32 v[28:29], v[28:29], v[40:41]
	v_add_f64_e32 v[26:27], v[26:27], v[171:172]
	v_fma_f64 v[30:31], v[8:9], v[167:168], v[30:31]
	v_fma_f64 v[38:39], v[6:7], v[167:168], -v[38:39]
	ds_load_b128 v[6:9], v1 offset:1952
	s_wait_loadcnt_dscnt 0x301
	v_mul_f64_e32 v[36:37], v[2:3], v[12:13]
	v_mul_f64_e32 v[12:13], v[4:5], v[12:13]
	v_add_f64_e32 v[28:29], v[28:29], v[32:33]
	v_add_f64_e32 v[26:27], v[26:27], v[34:35]
	s_wait_loadcnt_dscnt 0x200
	v_mul_f64_e32 v[32:33], v[6:7], v[16:17]
	v_mul_f64_e32 v[16:17], v[8:9], v[16:17]
	v_fma_f64 v[34:35], v[4:5], v[10:11], v[36:37]
	v_fma_f64 v[10:11], v[2:3], v[10:11], -v[12:13]
	ds_load_b128 v[2:5], v1 offset:1968
	v_add_f64_e32 v[12:13], v[26:27], v[38:39]
	v_add_f64_e32 v[26:27], v[28:29], v[30:31]
	s_wait_loadcnt_dscnt 0x100
	v_mul_f64_e32 v[28:29], v[2:3], v[20:21]
	v_mul_f64_e32 v[20:21], v[4:5], v[20:21]
	v_fma_f64 v[8:9], v[8:9], v[14:15], v[32:33]
	v_fma_f64 v[6:7], v[6:7], v[14:15], -v[16:17]
	v_add_f64_e32 v[10:11], v[12:13], v[10:11]
	v_add_f64_e32 v[12:13], v[26:27], v[34:35]
	v_fma_f64 v[4:5], v[4:5], v[18:19], v[28:29]
	v_fma_f64 v[2:3], v[2:3], v[18:19], -v[20:21]
	s_delay_alu instid0(VALU_DEP_4) | instskip(NEXT) | instid1(VALU_DEP_4)
	v_add_f64_e32 v[6:7], v[10:11], v[6:7]
	v_add_f64_e32 v[8:9], v[12:13], v[8:9]
	s_delay_alu instid0(VALU_DEP_2) | instskip(NEXT) | instid1(VALU_DEP_2)
	v_add_f64_e32 v[2:3], v[6:7], v[2:3]
	v_add_f64_e32 v[4:5], v[8:9], v[4:5]
	s_wait_loadcnt 0x0
	s_delay_alu instid0(VALU_DEP_2) | instskip(NEXT) | instid1(VALU_DEP_2)
	v_add_f64_e64 v[2:3], v[22:23], -v[2:3]
	v_add_f64_e64 v[4:5], v[24:25], -v[4:5]
	scratch_store_b128 off, v[2:5], off offset:592
	v_cmpx_lt_u32_e32 35, v0
	s_cbranch_execz .LBB125_327
; %bb.326:
	scratch_load_b128 v[5:8], off, s42
	v_dual_mov_b32 v2, v1 :: v_dual_mov_b32 v3, v1
	v_mov_b32_e32 v4, v1
	scratch_store_b128 off, v[1:4], off offset:576
	s_wait_loadcnt 0x0
	ds_store_b128 v166, v[5:8]
.LBB125_327:
	s_wait_alu 0xfffe
	s_or_b32 exec_lo, exec_lo, s0
	s_wait_storecnt_dscnt 0x0
	s_barrier_signal -1
	s_barrier_wait -1
	global_inv scope:SCOPE_SE
	s_clause 0x7
	scratch_load_b128 v[2:5], off, off offset:592
	scratch_load_b128 v[6:9], off, off offset:608
	;; [unrolled: 1-line block ×8, first 2 shown]
	ds_load_b128 v[34:37], v1 offset:1568
	ds_load_b128 v[167:170], v1 offset:1584
	s_clause 0x1
	scratch_load_b128 v[38:41], off, off offset:720
	scratch_load_b128 v[171:174], off, off offset:736
	s_mov_b32 s0, exec_lo
	s_wait_loadcnt_dscnt 0x901
	v_mul_f64_e32 v[175:176], v[36:37], v[4:5]
	v_mul_f64_e32 v[4:5], v[34:35], v[4:5]
	s_wait_loadcnt_dscnt 0x800
	v_mul_f64_e32 v[177:178], v[167:168], v[8:9]
	v_mul_f64_e32 v[8:9], v[169:170], v[8:9]
	s_delay_alu instid0(VALU_DEP_4) | instskip(NEXT) | instid1(VALU_DEP_4)
	v_fma_f64 v[175:176], v[34:35], v[2:3], -v[175:176]
	v_fma_f64 v[179:180], v[36:37], v[2:3], v[4:5]
	ds_load_b128 v[2:5], v1 offset:1600
	scratch_load_b128 v[34:37], off, off offset:752
	v_fma_f64 v[177:178], v[169:170], v[6:7], v[177:178]
	v_fma_f64 v[183:184], v[167:168], v[6:7], -v[8:9]
	ds_load_b128 v[6:9], v1 offset:1616
	scratch_load_b128 v[167:170], off, off offset:768
	s_wait_loadcnt_dscnt 0x901
	v_mul_f64_e32 v[181:182], v[2:3], v[12:13]
	v_mul_f64_e32 v[12:13], v[4:5], v[12:13]
	s_wait_loadcnt_dscnt 0x800
	v_mul_f64_e32 v[185:186], v[6:7], v[16:17]
	v_mul_f64_e32 v[16:17], v[8:9], v[16:17]
	v_add_f64_e32 v[175:176], 0, v[175:176]
	v_add_f64_e32 v[179:180], 0, v[179:180]
	v_fma_f64 v[181:182], v[4:5], v[10:11], v[181:182]
	v_fma_f64 v[187:188], v[2:3], v[10:11], -v[12:13]
	ds_load_b128 v[2:5], v1 offset:1632
	scratch_load_b128 v[10:13], off, off offset:784
	v_add_f64_e32 v[175:176], v[175:176], v[183:184]
	v_add_f64_e32 v[177:178], v[179:180], v[177:178]
	v_fma_f64 v[183:184], v[8:9], v[14:15], v[185:186]
	v_fma_f64 v[185:186], v[6:7], v[14:15], -v[16:17]
	ds_load_b128 v[6:9], v1 offset:1648
	scratch_load_b128 v[14:17], off, off offset:800
	s_wait_loadcnt_dscnt 0x901
	v_mul_f64_e32 v[179:180], v[2:3], v[20:21]
	v_mul_f64_e32 v[20:21], v[4:5], v[20:21]
	v_add_f64_e32 v[175:176], v[175:176], v[187:188]
	v_add_f64_e32 v[177:178], v[177:178], v[181:182]
	s_wait_loadcnt_dscnt 0x800
	v_mul_f64_e32 v[181:182], v[6:7], v[24:25]
	v_mul_f64_e32 v[24:25], v[8:9], v[24:25]
	v_fma_f64 v[179:180], v[4:5], v[18:19], v[179:180]
	v_fma_f64 v[187:188], v[2:3], v[18:19], -v[20:21]
	ds_load_b128 v[2:5], v1 offset:1664
	scratch_load_b128 v[18:21], off, off offset:816
	v_add_f64_e32 v[175:176], v[175:176], v[185:186]
	v_add_f64_e32 v[177:178], v[177:178], v[183:184]
	v_fma_f64 v[181:182], v[8:9], v[22:23], v[181:182]
	v_fma_f64 v[185:186], v[6:7], v[22:23], -v[24:25]
	ds_load_b128 v[6:9], v1 offset:1680
	s_wait_loadcnt_dscnt 0x801
	v_mul_f64_e32 v[183:184], v[2:3], v[28:29]
	v_mul_f64_e32 v[28:29], v[4:5], v[28:29]
	scratch_load_b128 v[22:25], off, off offset:832
	v_add_f64_e32 v[175:176], v[175:176], v[187:188]
	v_add_f64_e32 v[177:178], v[177:178], v[179:180]
	s_wait_loadcnt_dscnt 0x800
	v_mul_f64_e32 v[179:180], v[6:7], v[32:33]
	v_mul_f64_e32 v[32:33], v[8:9], v[32:33]
	v_fma_f64 v[183:184], v[4:5], v[26:27], v[183:184]
	v_fma_f64 v[187:188], v[2:3], v[26:27], -v[28:29]
	ds_load_b128 v[2:5], v1 offset:1696
	scratch_load_b128 v[26:29], off, off offset:848
	v_add_f64_e32 v[175:176], v[175:176], v[185:186]
	v_add_f64_e32 v[177:178], v[177:178], v[181:182]
	v_fma_f64 v[179:180], v[8:9], v[30:31], v[179:180]
	v_fma_f64 v[185:186], v[6:7], v[30:31], -v[32:33]
	ds_load_b128 v[6:9], v1 offset:1712
	s_wait_loadcnt_dscnt 0x801
	v_mul_f64_e32 v[181:182], v[2:3], v[40:41]
	v_mul_f64_e32 v[40:41], v[4:5], v[40:41]
	scratch_load_b128 v[30:33], off, off offset:864
	v_add_f64_e32 v[175:176], v[175:176], v[187:188]
	v_add_f64_e32 v[177:178], v[177:178], v[183:184]
	s_wait_loadcnt_dscnt 0x800
	v_mul_f64_e32 v[183:184], v[6:7], v[173:174]
	v_mul_f64_e32 v[173:174], v[8:9], v[173:174]
	v_fma_f64 v[181:182], v[4:5], v[38:39], v[181:182]
	v_fma_f64 v[187:188], v[2:3], v[38:39], -v[40:41]
	ds_load_b128 v[2:5], v1 offset:1728
	scratch_load_b128 v[38:41], off, off offset:880
	v_add_f64_e32 v[175:176], v[175:176], v[185:186]
	v_add_f64_e32 v[177:178], v[177:178], v[179:180]
	v_fma_f64 v[183:184], v[8:9], v[171:172], v[183:184]
	v_fma_f64 v[185:186], v[6:7], v[171:172], -v[173:174]
	ds_load_b128 v[6:9], v1 offset:1744
	scratch_load_b128 v[171:174], off, off offset:896
	s_wait_loadcnt_dscnt 0x901
	v_mul_f64_e32 v[179:180], v[2:3], v[36:37]
	v_mul_f64_e32 v[36:37], v[4:5], v[36:37]
	v_add_f64_e32 v[175:176], v[175:176], v[187:188]
	v_add_f64_e32 v[177:178], v[177:178], v[181:182]
	s_wait_loadcnt_dscnt 0x800
	v_mul_f64_e32 v[181:182], v[6:7], v[169:170]
	v_mul_f64_e32 v[169:170], v[8:9], v[169:170]
	v_fma_f64 v[179:180], v[4:5], v[34:35], v[179:180]
	v_fma_f64 v[187:188], v[2:3], v[34:35], -v[36:37]
	ds_load_b128 v[2:5], v1 offset:1760
	scratch_load_b128 v[34:37], off, off offset:912
	v_add_f64_e32 v[175:176], v[175:176], v[185:186]
	v_add_f64_e32 v[177:178], v[177:178], v[183:184]
	v_fma_f64 v[181:182], v[8:9], v[167:168], v[181:182]
	v_fma_f64 v[185:186], v[6:7], v[167:168], -v[169:170]
	ds_load_b128 v[6:9], v1 offset:1776
	s_wait_loadcnt_dscnt 0x801
	v_mul_f64_e32 v[183:184], v[2:3], v[12:13]
	v_mul_f64_e32 v[12:13], v[4:5], v[12:13]
	scratch_load_b128 v[167:170], off, off offset:928
	v_add_f64_e32 v[175:176], v[175:176], v[187:188]
	v_add_f64_e32 v[177:178], v[177:178], v[179:180]
	s_wait_loadcnt_dscnt 0x800
	v_mul_f64_e32 v[179:180], v[6:7], v[16:17]
	v_mul_f64_e32 v[16:17], v[8:9], v[16:17]
	v_fma_f64 v[183:184], v[4:5], v[10:11], v[183:184]
	v_fma_f64 v[187:188], v[2:3], v[10:11], -v[12:13]
	ds_load_b128 v[2:5], v1 offset:1792
	scratch_load_b128 v[10:13], off, off offset:944
	v_add_f64_e32 v[175:176], v[175:176], v[185:186]
	v_add_f64_e32 v[177:178], v[177:178], v[181:182]
	v_fma_f64 v[179:180], v[8:9], v[14:15], v[179:180]
	v_fma_f64 v[185:186], v[6:7], v[14:15], -v[16:17]
	ds_load_b128 v[6:9], v1 offset:1808
	s_wait_loadcnt_dscnt 0x801
	v_mul_f64_e32 v[181:182], v[2:3], v[20:21]
	v_mul_f64_e32 v[20:21], v[4:5], v[20:21]
	scratch_load_b128 v[14:17], off, off offset:960
	;; [unrolled: 18-line block ×3, first 2 shown]
	v_add_f64_e32 v[175:176], v[175:176], v[187:188]
	v_add_f64_e32 v[177:178], v[177:178], v[181:182]
	s_wait_loadcnt_dscnt 0x800
	v_mul_f64_e32 v[181:182], v[6:7], v[32:33]
	v_mul_f64_e32 v[32:33], v[8:9], v[32:33]
	v_fma_f64 v[179:180], v[4:5], v[26:27], v[179:180]
	v_fma_f64 v[26:27], v[2:3], v[26:27], -v[28:29]
	ds_load_b128 v[2:5], v1 offset:1856
	v_add_f64_e32 v[28:29], v[175:176], v[185:186]
	v_add_f64_e32 v[175:176], v[177:178], v[183:184]
	v_fma_f64 v[181:182], v[8:9], v[30:31], v[181:182]
	v_fma_f64 v[30:31], v[6:7], v[30:31], -v[32:33]
	ds_load_b128 v[6:9], v1 offset:1872
	s_wait_loadcnt_dscnt 0x701
	v_mul_f64_e32 v[177:178], v[2:3], v[40:41]
	v_mul_f64_e32 v[40:41], v[4:5], v[40:41]
	v_add_f64_e32 v[26:27], v[28:29], v[26:27]
	v_add_f64_e32 v[28:29], v[175:176], v[179:180]
	s_delay_alu instid0(VALU_DEP_4) | instskip(NEXT) | instid1(VALU_DEP_4)
	v_fma_f64 v[175:176], v[4:5], v[38:39], v[177:178]
	v_fma_f64 v[38:39], v[2:3], v[38:39], -v[40:41]
	ds_load_b128 v[2:5], v1 offset:1888
	v_add_f64_e32 v[30:31], v[26:27], v[30:31]
	v_add_f64_e32 v[40:41], v[28:29], v[181:182]
	scratch_load_b128 v[26:29], off, off offset:576
	s_wait_loadcnt_dscnt 0x701
	v_mul_f64_e32 v[32:33], v[6:7], v[173:174]
	v_mul_f64_e32 v[173:174], v[8:9], v[173:174]
	v_add_f64_e32 v[30:31], v[30:31], v[38:39]
	v_add_f64_e32 v[38:39], v[40:41], v[175:176]
	s_delay_alu instid0(VALU_DEP_4) | instskip(NEXT) | instid1(VALU_DEP_4)
	v_fma_f64 v[32:33], v[8:9], v[171:172], v[32:33]
	v_fma_f64 v[171:172], v[6:7], v[171:172], -v[173:174]
	ds_load_b128 v[6:9], v1 offset:1904
	s_wait_loadcnt_dscnt 0x601
	v_mul_f64_e32 v[177:178], v[2:3], v[36:37]
	v_mul_f64_e32 v[36:37], v[4:5], v[36:37]
	s_wait_loadcnt_dscnt 0x500
	v_mul_f64_e32 v[40:41], v[6:7], v[169:170]
	v_mul_f64_e32 v[169:170], v[8:9], v[169:170]
	v_add_f64_e32 v[32:33], v[38:39], v[32:33]
	v_add_f64_e32 v[30:31], v[30:31], v[171:172]
	v_fma_f64 v[173:174], v[4:5], v[34:35], v[177:178]
	v_fma_f64 v[34:35], v[2:3], v[34:35], -v[36:37]
	ds_load_b128 v[2:5], v1 offset:1920
	v_fma_f64 v[38:39], v[8:9], v[167:168], v[40:41]
	v_fma_f64 v[40:41], v[6:7], v[167:168], -v[169:170]
	ds_load_b128 v[6:9], v1 offset:1936
	s_wait_loadcnt_dscnt 0x401
	v_mul_f64_e32 v[36:37], v[2:3], v[12:13]
	v_mul_f64_e32 v[12:13], v[4:5], v[12:13]
	v_add_f64_e32 v[32:33], v[32:33], v[173:174]
	v_add_f64_e32 v[30:31], v[30:31], v[34:35]
	s_wait_loadcnt_dscnt 0x300
	v_mul_f64_e32 v[34:35], v[6:7], v[16:17]
	v_mul_f64_e32 v[16:17], v[8:9], v[16:17]
	v_fma_f64 v[36:37], v[4:5], v[10:11], v[36:37]
	v_fma_f64 v[10:11], v[2:3], v[10:11], -v[12:13]
	ds_load_b128 v[2:5], v1 offset:1952
	v_add_f64_e32 v[12:13], v[30:31], v[40:41]
	v_add_f64_e32 v[30:31], v[32:33], v[38:39]
	v_fma_f64 v[34:35], v[8:9], v[14:15], v[34:35]
	v_fma_f64 v[14:15], v[6:7], v[14:15], -v[16:17]
	ds_load_b128 v[6:9], v1 offset:1968
	s_wait_loadcnt_dscnt 0x201
	v_mul_f64_e32 v[32:33], v[2:3], v[20:21]
	v_mul_f64_e32 v[20:21], v[4:5], v[20:21]
	s_wait_loadcnt_dscnt 0x100
	v_mul_f64_e32 v[16:17], v[6:7], v[24:25]
	v_mul_f64_e32 v[24:25], v[8:9], v[24:25]
	v_add_f64_e32 v[10:11], v[12:13], v[10:11]
	v_add_f64_e32 v[12:13], v[30:31], v[36:37]
	v_fma_f64 v[4:5], v[4:5], v[18:19], v[32:33]
	v_fma_f64 v[1:2], v[2:3], v[18:19], -v[20:21]
	v_fma_f64 v[8:9], v[8:9], v[22:23], v[16:17]
	v_fma_f64 v[6:7], v[6:7], v[22:23], -v[24:25]
	v_add_f64_e32 v[10:11], v[10:11], v[14:15]
	v_add_f64_e32 v[12:13], v[12:13], v[34:35]
	s_delay_alu instid0(VALU_DEP_2) | instskip(NEXT) | instid1(VALU_DEP_2)
	v_add_f64_e32 v[1:2], v[10:11], v[1:2]
	v_add_f64_e32 v[3:4], v[12:13], v[4:5]
	s_delay_alu instid0(VALU_DEP_2) | instskip(NEXT) | instid1(VALU_DEP_2)
	v_add_f64_e32 v[1:2], v[1:2], v[6:7]
	v_add_f64_e32 v[3:4], v[3:4], v[8:9]
	s_wait_loadcnt 0x0
	s_delay_alu instid0(VALU_DEP_2) | instskip(NEXT) | instid1(VALU_DEP_2)
	v_add_f64_e64 v[1:2], v[26:27], -v[1:2]
	v_add_f64_e64 v[3:4], v[28:29], -v[3:4]
	scratch_store_b128 off, v[1:4], off offset:576
	v_cmpx_lt_u32_e32 34, v0
	s_cbranch_execz .LBB125_329
; %bb.328:
	scratch_load_b128 v[1:4], off, s43
	v_mov_b32_e32 v5, 0
	s_delay_alu instid0(VALU_DEP_1)
	v_dual_mov_b32 v6, v5 :: v_dual_mov_b32 v7, v5
	v_mov_b32_e32 v8, v5
	scratch_store_b128 off, v[5:8], off offset:560
	s_wait_loadcnt 0x0
	ds_store_b128 v166, v[1:4]
.LBB125_329:
	s_wait_alu 0xfffe
	s_or_b32 exec_lo, exec_lo, s0
	s_wait_storecnt_dscnt 0x0
	s_barrier_signal -1
	s_barrier_wait -1
	global_inv scope:SCOPE_SE
	s_clause 0x7
	scratch_load_b128 v[2:5], off, off offset:576
	scratch_load_b128 v[6:9], off, off offset:592
	;; [unrolled: 1-line block ×8, first 2 shown]
	v_mov_b32_e32 v1, 0
	s_clause 0x1
	scratch_load_b128 v[38:41], off, off offset:704
	scratch_load_b128 v[171:174], off, off offset:720
	s_mov_b32 s0, exec_lo
	ds_load_b128 v[34:37], v1 offset:1552
	ds_load_b128 v[167:170], v1 offset:1568
	s_wait_loadcnt_dscnt 0x901
	v_mul_f64_e32 v[175:176], v[36:37], v[4:5]
	v_mul_f64_e32 v[4:5], v[34:35], v[4:5]
	s_wait_loadcnt_dscnt 0x800
	v_mul_f64_e32 v[177:178], v[167:168], v[8:9]
	v_mul_f64_e32 v[8:9], v[169:170], v[8:9]
	s_delay_alu instid0(VALU_DEP_4) | instskip(NEXT) | instid1(VALU_DEP_4)
	v_fma_f64 v[175:176], v[34:35], v[2:3], -v[175:176]
	v_fma_f64 v[179:180], v[36:37], v[2:3], v[4:5]
	ds_load_b128 v[2:5], v1 offset:1584
	scratch_load_b128 v[34:37], off, off offset:736
	v_fma_f64 v[177:178], v[169:170], v[6:7], v[177:178]
	v_fma_f64 v[183:184], v[167:168], v[6:7], -v[8:9]
	ds_load_b128 v[6:9], v1 offset:1600
	scratch_load_b128 v[167:170], off, off offset:752
	s_wait_loadcnt_dscnt 0x901
	v_mul_f64_e32 v[181:182], v[2:3], v[12:13]
	v_mul_f64_e32 v[12:13], v[4:5], v[12:13]
	s_wait_loadcnt_dscnt 0x800
	v_mul_f64_e32 v[185:186], v[6:7], v[16:17]
	v_mul_f64_e32 v[16:17], v[8:9], v[16:17]
	v_add_f64_e32 v[175:176], 0, v[175:176]
	v_add_f64_e32 v[179:180], 0, v[179:180]
	v_fma_f64 v[181:182], v[4:5], v[10:11], v[181:182]
	v_fma_f64 v[187:188], v[2:3], v[10:11], -v[12:13]
	ds_load_b128 v[2:5], v1 offset:1616
	scratch_load_b128 v[10:13], off, off offset:768
	v_add_f64_e32 v[175:176], v[175:176], v[183:184]
	v_add_f64_e32 v[177:178], v[179:180], v[177:178]
	v_fma_f64 v[183:184], v[8:9], v[14:15], v[185:186]
	v_fma_f64 v[185:186], v[6:7], v[14:15], -v[16:17]
	ds_load_b128 v[6:9], v1 offset:1632
	scratch_load_b128 v[14:17], off, off offset:784
	s_wait_loadcnt_dscnt 0x901
	v_mul_f64_e32 v[179:180], v[2:3], v[20:21]
	v_mul_f64_e32 v[20:21], v[4:5], v[20:21]
	v_add_f64_e32 v[175:176], v[175:176], v[187:188]
	v_add_f64_e32 v[177:178], v[177:178], v[181:182]
	s_wait_loadcnt_dscnt 0x800
	v_mul_f64_e32 v[181:182], v[6:7], v[24:25]
	v_mul_f64_e32 v[24:25], v[8:9], v[24:25]
	v_fma_f64 v[179:180], v[4:5], v[18:19], v[179:180]
	v_fma_f64 v[187:188], v[2:3], v[18:19], -v[20:21]
	ds_load_b128 v[2:5], v1 offset:1648
	scratch_load_b128 v[18:21], off, off offset:800
	v_add_f64_e32 v[175:176], v[175:176], v[185:186]
	v_add_f64_e32 v[177:178], v[177:178], v[183:184]
	v_fma_f64 v[181:182], v[8:9], v[22:23], v[181:182]
	v_fma_f64 v[185:186], v[6:7], v[22:23], -v[24:25]
	ds_load_b128 v[6:9], v1 offset:1664
	s_wait_loadcnt_dscnt 0x801
	v_mul_f64_e32 v[183:184], v[2:3], v[28:29]
	v_mul_f64_e32 v[28:29], v[4:5], v[28:29]
	scratch_load_b128 v[22:25], off, off offset:816
	v_add_f64_e32 v[175:176], v[175:176], v[187:188]
	v_add_f64_e32 v[177:178], v[177:178], v[179:180]
	s_wait_loadcnt_dscnt 0x800
	v_mul_f64_e32 v[179:180], v[6:7], v[32:33]
	v_mul_f64_e32 v[32:33], v[8:9], v[32:33]
	v_fma_f64 v[183:184], v[4:5], v[26:27], v[183:184]
	v_fma_f64 v[187:188], v[2:3], v[26:27], -v[28:29]
	ds_load_b128 v[2:5], v1 offset:1680
	scratch_load_b128 v[26:29], off, off offset:832
	v_add_f64_e32 v[175:176], v[175:176], v[185:186]
	v_add_f64_e32 v[177:178], v[177:178], v[181:182]
	v_fma_f64 v[179:180], v[8:9], v[30:31], v[179:180]
	v_fma_f64 v[185:186], v[6:7], v[30:31], -v[32:33]
	ds_load_b128 v[6:9], v1 offset:1696
	s_wait_loadcnt_dscnt 0x801
	v_mul_f64_e32 v[181:182], v[2:3], v[40:41]
	v_mul_f64_e32 v[40:41], v[4:5], v[40:41]
	scratch_load_b128 v[30:33], off, off offset:848
	v_add_f64_e32 v[175:176], v[175:176], v[187:188]
	v_add_f64_e32 v[177:178], v[177:178], v[183:184]
	s_wait_loadcnt_dscnt 0x800
	v_mul_f64_e32 v[183:184], v[6:7], v[173:174]
	v_mul_f64_e32 v[173:174], v[8:9], v[173:174]
	v_fma_f64 v[181:182], v[4:5], v[38:39], v[181:182]
	v_fma_f64 v[187:188], v[2:3], v[38:39], -v[40:41]
	ds_load_b128 v[2:5], v1 offset:1712
	scratch_load_b128 v[38:41], off, off offset:864
	v_add_f64_e32 v[175:176], v[175:176], v[185:186]
	v_add_f64_e32 v[177:178], v[177:178], v[179:180]
	v_fma_f64 v[183:184], v[8:9], v[171:172], v[183:184]
	v_fma_f64 v[185:186], v[6:7], v[171:172], -v[173:174]
	ds_load_b128 v[6:9], v1 offset:1728
	scratch_load_b128 v[171:174], off, off offset:880
	s_wait_loadcnt_dscnt 0x901
	v_mul_f64_e32 v[179:180], v[2:3], v[36:37]
	v_mul_f64_e32 v[36:37], v[4:5], v[36:37]
	v_add_f64_e32 v[175:176], v[175:176], v[187:188]
	v_add_f64_e32 v[177:178], v[177:178], v[181:182]
	s_wait_loadcnt_dscnt 0x800
	v_mul_f64_e32 v[181:182], v[6:7], v[169:170]
	v_mul_f64_e32 v[169:170], v[8:9], v[169:170]
	v_fma_f64 v[179:180], v[4:5], v[34:35], v[179:180]
	v_fma_f64 v[187:188], v[2:3], v[34:35], -v[36:37]
	ds_load_b128 v[2:5], v1 offset:1744
	scratch_load_b128 v[34:37], off, off offset:896
	v_add_f64_e32 v[175:176], v[175:176], v[185:186]
	v_add_f64_e32 v[177:178], v[177:178], v[183:184]
	v_fma_f64 v[181:182], v[8:9], v[167:168], v[181:182]
	v_fma_f64 v[185:186], v[6:7], v[167:168], -v[169:170]
	ds_load_b128 v[6:9], v1 offset:1760
	s_wait_loadcnt_dscnt 0x801
	v_mul_f64_e32 v[183:184], v[2:3], v[12:13]
	v_mul_f64_e32 v[12:13], v[4:5], v[12:13]
	scratch_load_b128 v[167:170], off, off offset:912
	v_add_f64_e32 v[175:176], v[175:176], v[187:188]
	v_add_f64_e32 v[177:178], v[177:178], v[179:180]
	s_wait_loadcnt_dscnt 0x800
	v_mul_f64_e32 v[179:180], v[6:7], v[16:17]
	v_mul_f64_e32 v[16:17], v[8:9], v[16:17]
	v_fma_f64 v[183:184], v[4:5], v[10:11], v[183:184]
	v_fma_f64 v[187:188], v[2:3], v[10:11], -v[12:13]
	ds_load_b128 v[2:5], v1 offset:1776
	scratch_load_b128 v[10:13], off, off offset:928
	v_add_f64_e32 v[175:176], v[175:176], v[185:186]
	v_add_f64_e32 v[177:178], v[177:178], v[181:182]
	v_fma_f64 v[179:180], v[8:9], v[14:15], v[179:180]
	v_fma_f64 v[185:186], v[6:7], v[14:15], -v[16:17]
	ds_load_b128 v[6:9], v1 offset:1792
	s_wait_loadcnt_dscnt 0x801
	v_mul_f64_e32 v[181:182], v[2:3], v[20:21]
	v_mul_f64_e32 v[20:21], v[4:5], v[20:21]
	scratch_load_b128 v[14:17], off, off offset:944
	;; [unrolled: 18-line block ×3, first 2 shown]
	v_add_f64_e32 v[175:176], v[175:176], v[187:188]
	v_add_f64_e32 v[177:178], v[177:178], v[181:182]
	s_wait_loadcnt_dscnt 0x800
	v_mul_f64_e32 v[181:182], v[6:7], v[32:33]
	v_mul_f64_e32 v[32:33], v[8:9], v[32:33]
	v_fma_f64 v[179:180], v[4:5], v[26:27], v[179:180]
	v_fma_f64 v[187:188], v[2:3], v[26:27], -v[28:29]
	ds_load_b128 v[2:5], v1 offset:1840
	scratch_load_b128 v[26:29], off, off offset:992
	v_add_f64_e32 v[175:176], v[175:176], v[185:186]
	v_add_f64_e32 v[177:178], v[177:178], v[183:184]
	v_fma_f64 v[181:182], v[8:9], v[30:31], v[181:182]
	v_fma_f64 v[30:31], v[6:7], v[30:31], -v[32:33]
	ds_load_b128 v[6:9], v1 offset:1856
	s_wait_loadcnt_dscnt 0x801
	v_mul_f64_e32 v[183:184], v[2:3], v[40:41]
	v_mul_f64_e32 v[40:41], v[4:5], v[40:41]
	v_add_f64_e32 v[32:33], v[175:176], v[187:188]
	v_add_f64_e32 v[175:176], v[177:178], v[179:180]
	s_wait_loadcnt_dscnt 0x700
	v_mul_f64_e32 v[177:178], v[6:7], v[173:174]
	v_mul_f64_e32 v[173:174], v[8:9], v[173:174]
	v_fma_f64 v[179:180], v[4:5], v[38:39], v[183:184]
	v_fma_f64 v[38:39], v[2:3], v[38:39], -v[40:41]
	ds_load_b128 v[2:5], v1 offset:1872
	v_add_f64_e32 v[30:31], v[32:33], v[30:31]
	v_add_f64_e32 v[32:33], v[175:176], v[181:182]
	v_fma_f64 v[175:176], v[8:9], v[171:172], v[177:178]
	v_fma_f64 v[171:172], v[6:7], v[171:172], -v[173:174]
	ds_load_b128 v[6:9], v1 offset:1888
	s_wait_loadcnt_dscnt 0x500
	v_mul_f64_e32 v[177:178], v[6:7], v[169:170]
	v_mul_f64_e32 v[169:170], v[8:9], v[169:170]
	v_add_f64_e32 v[38:39], v[30:31], v[38:39]
	v_add_f64_e32 v[173:174], v[32:33], v[179:180]
	scratch_load_b128 v[30:33], off, off offset:560
	v_mul_f64_e32 v[40:41], v[2:3], v[36:37]
	v_mul_f64_e32 v[36:37], v[4:5], v[36:37]
	s_delay_alu instid0(VALU_DEP_2) | instskip(NEXT) | instid1(VALU_DEP_2)
	v_fma_f64 v[40:41], v[4:5], v[34:35], v[40:41]
	v_fma_f64 v[34:35], v[2:3], v[34:35], -v[36:37]
	v_add_f64_e32 v[36:37], v[38:39], v[171:172]
	v_add_f64_e32 v[38:39], v[173:174], v[175:176]
	ds_load_b128 v[2:5], v1 offset:1904
	v_fma_f64 v[173:174], v[8:9], v[167:168], v[177:178]
	v_fma_f64 v[167:168], v[6:7], v[167:168], -v[169:170]
	ds_load_b128 v[6:9], v1 offset:1920
	s_wait_loadcnt_dscnt 0x501
	v_mul_f64_e32 v[171:172], v[2:3], v[12:13]
	v_mul_f64_e32 v[12:13], v[4:5], v[12:13]
	v_add_f64_e32 v[34:35], v[36:37], v[34:35]
	v_add_f64_e32 v[36:37], v[38:39], v[40:41]
	s_wait_loadcnt_dscnt 0x400
	v_mul_f64_e32 v[38:39], v[6:7], v[16:17]
	v_mul_f64_e32 v[16:17], v[8:9], v[16:17]
	v_fma_f64 v[40:41], v[4:5], v[10:11], v[171:172]
	v_fma_f64 v[10:11], v[2:3], v[10:11], -v[12:13]
	ds_load_b128 v[2:5], v1 offset:1936
	v_add_f64_e32 v[12:13], v[34:35], v[167:168]
	v_add_f64_e32 v[34:35], v[36:37], v[173:174]
	v_fma_f64 v[38:39], v[8:9], v[14:15], v[38:39]
	v_fma_f64 v[14:15], v[6:7], v[14:15], -v[16:17]
	ds_load_b128 v[6:9], v1 offset:1952
	s_wait_loadcnt_dscnt 0x301
	v_mul_f64_e32 v[36:37], v[2:3], v[20:21]
	v_mul_f64_e32 v[20:21], v[4:5], v[20:21]
	s_wait_loadcnt_dscnt 0x200
	v_mul_f64_e32 v[16:17], v[6:7], v[24:25]
	v_mul_f64_e32 v[24:25], v[8:9], v[24:25]
	v_add_f64_e32 v[10:11], v[12:13], v[10:11]
	v_add_f64_e32 v[12:13], v[34:35], v[40:41]
	v_fma_f64 v[34:35], v[4:5], v[18:19], v[36:37]
	v_fma_f64 v[18:19], v[2:3], v[18:19], -v[20:21]
	ds_load_b128 v[2:5], v1 offset:1968
	v_fma_f64 v[8:9], v[8:9], v[22:23], v[16:17]
	v_fma_f64 v[6:7], v[6:7], v[22:23], -v[24:25]
	s_wait_loadcnt_dscnt 0x100
	v_mul_f64_e32 v[20:21], v[4:5], v[28:29]
	v_add_f64_e32 v[10:11], v[10:11], v[14:15]
	v_add_f64_e32 v[12:13], v[12:13], v[38:39]
	v_mul_f64_e32 v[14:15], v[2:3], v[28:29]
	s_delay_alu instid0(VALU_DEP_4) | instskip(NEXT) | instid1(VALU_DEP_4)
	v_fma_f64 v[2:3], v[2:3], v[26:27], -v[20:21]
	v_add_f64_e32 v[10:11], v[10:11], v[18:19]
	s_delay_alu instid0(VALU_DEP_4) | instskip(NEXT) | instid1(VALU_DEP_4)
	v_add_f64_e32 v[12:13], v[12:13], v[34:35]
	v_fma_f64 v[4:5], v[4:5], v[26:27], v[14:15]
	s_delay_alu instid0(VALU_DEP_3) | instskip(NEXT) | instid1(VALU_DEP_3)
	v_add_f64_e32 v[6:7], v[10:11], v[6:7]
	v_add_f64_e32 v[8:9], v[12:13], v[8:9]
	s_delay_alu instid0(VALU_DEP_2) | instskip(NEXT) | instid1(VALU_DEP_2)
	v_add_f64_e32 v[2:3], v[6:7], v[2:3]
	v_add_f64_e32 v[4:5], v[8:9], v[4:5]
	s_wait_loadcnt 0x0
	s_delay_alu instid0(VALU_DEP_2) | instskip(NEXT) | instid1(VALU_DEP_2)
	v_add_f64_e64 v[2:3], v[30:31], -v[2:3]
	v_add_f64_e64 v[4:5], v[32:33], -v[4:5]
	scratch_store_b128 off, v[2:5], off offset:560
	v_cmpx_lt_u32_e32 33, v0
	s_cbranch_execz .LBB125_331
; %bb.330:
	scratch_load_b128 v[5:8], off, s44
	v_dual_mov_b32 v2, v1 :: v_dual_mov_b32 v3, v1
	v_mov_b32_e32 v4, v1
	scratch_store_b128 off, v[1:4], off offset:544
	s_wait_loadcnt 0x0
	ds_store_b128 v166, v[5:8]
.LBB125_331:
	s_wait_alu 0xfffe
	s_or_b32 exec_lo, exec_lo, s0
	s_wait_storecnt_dscnt 0x0
	s_barrier_signal -1
	s_barrier_wait -1
	global_inv scope:SCOPE_SE
	s_clause 0x7
	scratch_load_b128 v[2:5], off, off offset:560
	scratch_load_b128 v[6:9], off, off offset:576
	;; [unrolled: 1-line block ×8, first 2 shown]
	ds_load_b128 v[34:37], v1 offset:1536
	ds_load_b128 v[167:170], v1 offset:1552
	s_clause 0x1
	scratch_load_b128 v[38:41], off, off offset:688
	scratch_load_b128 v[171:174], off, off offset:704
	s_mov_b32 s0, exec_lo
	s_wait_loadcnt_dscnt 0x901
	v_mul_f64_e32 v[175:176], v[36:37], v[4:5]
	v_mul_f64_e32 v[4:5], v[34:35], v[4:5]
	s_wait_loadcnt_dscnt 0x800
	v_mul_f64_e32 v[177:178], v[167:168], v[8:9]
	v_mul_f64_e32 v[8:9], v[169:170], v[8:9]
	s_delay_alu instid0(VALU_DEP_4) | instskip(NEXT) | instid1(VALU_DEP_4)
	v_fma_f64 v[175:176], v[34:35], v[2:3], -v[175:176]
	v_fma_f64 v[179:180], v[36:37], v[2:3], v[4:5]
	scratch_load_b128 v[34:37], off, off offset:720
	ds_load_b128 v[2:5], v1 offset:1568
	v_fma_f64 v[177:178], v[169:170], v[6:7], v[177:178]
	v_fma_f64 v[183:184], v[167:168], v[6:7], -v[8:9]
	ds_load_b128 v[6:9], v1 offset:1584
	scratch_load_b128 v[167:170], off, off offset:736
	s_wait_loadcnt_dscnt 0x901
	v_mul_f64_e32 v[181:182], v[2:3], v[12:13]
	v_mul_f64_e32 v[12:13], v[4:5], v[12:13]
	s_wait_loadcnt_dscnt 0x800
	v_mul_f64_e32 v[185:186], v[6:7], v[16:17]
	v_mul_f64_e32 v[16:17], v[8:9], v[16:17]
	v_add_f64_e32 v[175:176], 0, v[175:176]
	v_add_f64_e32 v[179:180], 0, v[179:180]
	v_fma_f64 v[181:182], v[4:5], v[10:11], v[181:182]
	v_fma_f64 v[187:188], v[2:3], v[10:11], -v[12:13]
	ds_load_b128 v[2:5], v1 offset:1600
	scratch_load_b128 v[10:13], off, off offset:752
	v_add_f64_e32 v[175:176], v[175:176], v[183:184]
	v_add_f64_e32 v[177:178], v[179:180], v[177:178]
	v_fma_f64 v[183:184], v[8:9], v[14:15], v[185:186]
	v_fma_f64 v[185:186], v[6:7], v[14:15], -v[16:17]
	ds_load_b128 v[6:9], v1 offset:1616
	scratch_load_b128 v[14:17], off, off offset:768
	s_wait_loadcnt_dscnt 0x901
	v_mul_f64_e32 v[179:180], v[2:3], v[20:21]
	v_mul_f64_e32 v[20:21], v[4:5], v[20:21]
	v_add_f64_e32 v[175:176], v[175:176], v[187:188]
	v_add_f64_e32 v[177:178], v[177:178], v[181:182]
	s_wait_loadcnt_dscnt 0x800
	v_mul_f64_e32 v[181:182], v[6:7], v[24:25]
	v_mul_f64_e32 v[24:25], v[8:9], v[24:25]
	v_fma_f64 v[179:180], v[4:5], v[18:19], v[179:180]
	v_fma_f64 v[187:188], v[2:3], v[18:19], -v[20:21]
	ds_load_b128 v[2:5], v1 offset:1632
	scratch_load_b128 v[18:21], off, off offset:784
	v_add_f64_e32 v[175:176], v[175:176], v[185:186]
	v_add_f64_e32 v[177:178], v[177:178], v[183:184]
	v_fma_f64 v[181:182], v[8:9], v[22:23], v[181:182]
	v_fma_f64 v[185:186], v[6:7], v[22:23], -v[24:25]
	ds_load_b128 v[6:9], v1 offset:1648
	s_wait_loadcnt_dscnt 0x801
	v_mul_f64_e32 v[183:184], v[2:3], v[28:29]
	v_mul_f64_e32 v[28:29], v[4:5], v[28:29]
	scratch_load_b128 v[22:25], off, off offset:800
	v_add_f64_e32 v[175:176], v[175:176], v[187:188]
	v_add_f64_e32 v[177:178], v[177:178], v[179:180]
	s_wait_loadcnt_dscnt 0x800
	v_mul_f64_e32 v[179:180], v[6:7], v[32:33]
	v_mul_f64_e32 v[32:33], v[8:9], v[32:33]
	v_fma_f64 v[183:184], v[4:5], v[26:27], v[183:184]
	v_fma_f64 v[187:188], v[2:3], v[26:27], -v[28:29]
	ds_load_b128 v[2:5], v1 offset:1664
	scratch_load_b128 v[26:29], off, off offset:816
	v_add_f64_e32 v[175:176], v[175:176], v[185:186]
	v_add_f64_e32 v[177:178], v[177:178], v[181:182]
	v_fma_f64 v[179:180], v[8:9], v[30:31], v[179:180]
	v_fma_f64 v[185:186], v[6:7], v[30:31], -v[32:33]
	ds_load_b128 v[6:9], v1 offset:1680
	s_wait_loadcnt_dscnt 0x801
	v_mul_f64_e32 v[181:182], v[2:3], v[40:41]
	v_mul_f64_e32 v[40:41], v[4:5], v[40:41]
	scratch_load_b128 v[30:33], off, off offset:832
	v_add_f64_e32 v[175:176], v[175:176], v[187:188]
	v_add_f64_e32 v[177:178], v[177:178], v[183:184]
	s_wait_loadcnt_dscnt 0x800
	v_mul_f64_e32 v[183:184], v[6:7], v[173:174]
	v_mul_f64_e32 v[173:174], v[8:9], v[173:174]
	v_fma_f64 v[181:182], v[4:5], v[38:39], v[181:182]
	v_fma_f64 v[187:188], v[2:3], v[38:39], -v[40:41]
	ds_load_b128 v[2:5], v1 offset:1696
	scratch_load_b128 v[38:41], off, off offset:848
	v_add_f64_e32 v[175:176], v[175:176], v[185:186]
	v_add_f64_e32 v[177:178], v[177:178], v[179:180]
	v_fma_f64 v[183:184], v[8:9], v[171:172], v[183:184]
	v_fma_f64 v[185:186], v[6:7], v[171:172], -v[173:174]
	ds_load_b128 v[6:9], v1 offset:1712
	scratch_load_b128 v[171:174], off, off offset:864
	s_wait_loadcnt_dscnt 0x901
	v_mul_f64_e32 v[179:180], v[2:3], v[36:37]
	v_mul_f64_e32 v[36:37], v[4:5], v[36:37]
	v_add_f64_e32 v[175:176], v[175:176], v[187:188]
	v_add_f64_e32 v[177:178], v[177:178], v[181:182]
	s_wait_loadcnt_dscnt 0x800
	v_mul_f64_e32 v[181:182], v[6:7], v[169:170]
	v_mul_f64_e32 v[169:170], v[8:9], v[169:170]
	v_fma_f64 v[179:180], v[4:5], v[34:35], v[179:180]
	v_fma_f64 v[187:188], v[2:3], v[34:35], -v[36:37]
	scratch_load_b128 v[34:37], off, off offset:880
	ds_load_b128 v[2:5], v1 offset:1728
	v_add_f64_e32 v[175:176], v[175:176], v[185:186]
	v_add_f64_e32 v[177:178], v[177:178], v[183:184]
	v_fma_f64 v[181:182], v[8:9], v[167:168], v[181:182]
	v_fma_f64 v[185:186], v[6:7], v[167:168], -v[169:170]
	ds_load_b128 v[6:9], v1 offset:1744
	s_wait_loadcnt_dscnt 0x801
	v_mul_f64_e32 v[183:184], v[2:3], v[12:13]
	v_mul_f64_e32 v[12:13], v[4:5], v[12:13]
	scratch_load_b128 v[167:170], off, off offset:896
	v_add_f64_e32 v[175:176], v[175:176], v[187:188]
	v_add_f64_e32 v[177:178], v[177:178], v[179:180]
	s_wait_loadcnt_dscnt 0x800
	v_mul_f64_e32 v[179:180], v[6:7], v[16:17]
	v_mul_f64_e32 v[16:17], v[8:9], v[16:17]
	v_fma_f64 v[183:184], v[4:5], v[10:11], v[183:184]
	v_fma_f64 v[187:188], v[2:3], v[10:11], -v[12:13]
	ds_load_b128 v[2:5], v1 offset:1760
	scratch_load_b128 v[10:13], off, off offset:912
	v_add_f64_e32 v[175:176], v[175:176], v[185:186]
	v_add_f64_e32 v[177:178], v[177:178], v[181:182]
	v_fma_f64 v[179:180], v[8:9], v[14:15], v[179:180]
	v_fma_f64 v[185:186], v[6:7], v[14:15], -v[16:17]
	ds_load_b128 v[6:9], v1 offset:1776
	s_wait_loadcnt_dscnt 0x801
	v_mul_f64_e32 v[181:182], v[2:3], v[20:21]
	v_mul_f64_e32 v[20:21], v[4:5], v[20:21]
	scratch_load_b128 v[14:17], off, off offset:928
	v_add_f64_e32 v[175:176], v[175:176], v[187:188]
	v_add_f64_e32 v[177:178], v[177:178], v[183:184]
	s_wait_loadcnt_dscnt 0x800
	v_mul_f64_e32 v[183:184], v[6:7], v[24:25]
	v_mul_f64_e32 v[24:25], v[8:9], v[24:25]
	v_fma_f64 v[181:182], v[4:5], v[18:19], v[181:182]
	v_fma_f64 v[187:188], v[2:3], v[18:19], -v[20:21]
	ds_load_b128 v[2:5], v1 offset:1792
	scratch_load_b128 v[18:21], off, off offset:944
	;; [unrolled: 18-line block ×3, first 2 shown]
	v_add_f64_e32 v[175:176], v[175:176], v[185:186]
	v_add_f64_e32 v[177:178], v[177:178], v[183:184]
	v_fma_f64 v[181:182], v[8:9], v[30:31], v[181:182]
	v_fma_f64 v[185:186], v[6:7], v[30:31], -v[32:33]
	ds_load_b128 v[6:9], v1 offset:1840
	s_wait_loadcnt_dscnt 0x801
	v_mul_f64_e32 v[183:184], v[2:3], v[40:41]
	v_mul_f64_e32 v[40:41], v[4:5], v[40:41]
	scratch_load_b128 v[30:33], off, off offset:992
	v_add_f64_e32 v[175:176], v[175:176], v[187:188]
	v_add_f64_e32 v[177:178], v[177:178], v[179:180]
	v_fma_f64 v[183:184], v[4:5], v[38:39], v[183:184]
	v_fma_f64 v[38:39], v[2:3], v[38:39], -v[40:41]
	ds_load_b128 v[2:5], v1 offset:1856
	v_add_f64_e32 v[40:41], v[175:176], v[185:186]
	v_add_f64_e32 v[175:176], v[177:178], v[181:182]
	s_wait_loadcnt_dscnt 0x700
	v_mul_f64_e32 v[177:178], v[2:3], v[36:37]
	v_mul_f64_e32 v[36:37], v[4:5], v[36:37]
	s_delay_alu instid0(VALU_DEP_4) | instskip(NEXT) | instid1(VALU_DEP_4)
	v_add_f64_e32 v[38:39], v[40:41], v[38:39]
	v_add_f64_e32 v[40:41], v[175:176], v[183:184]
	s_delay_alu instid0(VALU_DEP_4) | instskip(NEXT) | instid1(VALU_DEP_4)
	v_fma_f64 v[175:176], v[4:5], v[34:35], v[177:178]
	v_fma_f64 v[177:178], v[2:3], v[34:35], -v[36:37]
	scratch_load_b128 v[34:37], off, off offset:544
	v_mul_f64_e32 v[179:180], v[6:7], v[173:174]
	v_mul_f64_e32 v[173:174], v[8:9], v[173:174]
	ds_load_b128 v[2:5], v1 offset:1888
	v_fma_f64 v[179:180], v[8:9], v[171:172], v[179:180]
	v_fma_f64 v[171:172], v[6:7], v[171:172], -v[173:174]
	ds_load_b128 v[6:9], v1 offset:1872
	s_wait_loadcnt_dscnt 0x700
	v_mul_f64_e32 v[173:174], v[6:7], v[169:170]
	v_mul_f64_e32 v[169:170], v[8:9], v[169:170]
	v_add_f64_e32 v[40:41], v[40:41], v[179:180]
	v_add_f64_e32 v[38:39], v[38:39], v[171:172]
	s_wait_loadcnt 0x6
	v_mul_f64_e32 v[171:172], v[2:3], v[12:13]
	v_mul_f64_e32 v[12:13], v[4:5], v[12:13]
	v_fma_f64 v[173:174], v[8:9], v[167:168], v[173:174]
	v_fma_f64 v[167:168], v[6:7], v[167:168], -v[169:170]
	ds_load_b128 v[6:9], v1 offset:1904
	v_add_f64_e32 v[40:41], v[40:41], v[175:176]
	v_add_f64_e32 v[38:39], v[38:39], v[177:178]
	v_fma_f64 v[171:172], v[4:5], v[10:11], v[171:172]
	v_fma_f64 v[10:11], v[2:3], v[10:11], -v[12:13]
	ds_load_b128 v[2:5], v1 offset:1920
	s_wait_loadcnt_dscnt 0x501
	v_mul_f64_e32 v[169:170], v[6:7], v[16:17]
	v_mul_f64_e32 v[16:17], v[8:9], v[16:17]
	v_add_f64_e32 v[12:13], v[38:39], v[167:168]
	v_add_f64_e32 v[38:39], v[40:41], v[173:174]
	s_wait_loadcnt_dscnt 0x400
	v_mul_f64_e32 v[40:41], v[2:3], v[20:21]
	v_mul_f64_e32 v[20:21], v[4:5], v[20:21]
	v_fma_f64 v[167:168], v[8:9], v[14:15], v[169:170]
	v_fma_f64 v[14:15], v[6:7], v[14:15], -v[16:17]
	ds_load_b128 v[6:9], v1 offset:1936
	v_add_f64_e32 v[10:11], v[12:13], v[10:11]
	v_add_f64_e32 v[12:13], v[38:39], v[171:172]
	v_fma_f64 v[38:39], v[4:5], v[18:19], v[40:41]
	v_fma_f64 v[18:19], v[2:3], v[18:19], -v[20:21]
	ds_load_b128 v[2:5], v1 offset:1952
	s_wait_loadcnt_dscnt 0x301
	v_mul_f64_e32 v[16:17], v[6:7], v[24:25]
	v_mul_f64_e32 v[24:25], v[8:9], v[24:25]
	s_wait_loadcnt_dscnt 0x200
	v_mul_f64_e32 v[20:21], v[4:5], v[28:29]
	v_add_f64_e32 v[10:11], v[10:11], v[14:15]
	v_add_f64_e32 v[12:13], v[12:13], v[167:168]
	v_mul_f64_e32 v[14:15], v[2:3], v[28:29]
	v_fma_f64 v[16:17], v[8:9], v[22:23], v[16:17]
	v_fma_f64 v[22:23], v[6:7], v[22:23], -v[24:25]
	ds_load_b128 v[6:9], v1 offset:1968
	v_fma_f64 v[1:2], v[2:3], v[26:27], -v[20:21]
	s_wait_loadcnt_dscnt 0x100
	v_mul_f64_e32 v[24:25], v[8:9], v[32:33]
	v_add_f64_e32 v[10:11], v[10:11], v[18:19]
	v_add_f64_e32 v[12:13], v[12:13], v[38:39]
	v_mul_f64_e32 v[18:19], v[6:7], v[32:33]
	v_fma_f64 v[4:5], v[4:5], v[26:27], v[14:15]
	v_fma_f64 v[6:7], v[6:7], v[30:31], -v[24:25]
	v_add_f64_e32 v[10:11], v[10:11], v[22:23]
	v_add_f64_e32 v[12:13], v[12:13], v[16:17]
	v_fma_f64 v[8:9], v[8:9], v[30:31], v[18:19]
	s_delay_alu instid0(VALU_DEP_3) | instskip(NEXT) | instid1(VALU_DEP_3)
	v_add_f64_e32 v[1:2], v[10:11], v[1:2]
	v_add_f64_e32 v[3:4], v[12:13], v[4:5]
	s_delay_alu instid0(VALU_DEP_2) | instskip(NEXT) | instid1(VALU_DEP_2)
	v_add_f64_e32 v[1:2], v[1:2], v[6:7]
	v_add_f64_e32 v[3:4], v[3:4], v[8:9]
	s_wait_loadcnt 0x0
	s_delay_alu instid0(VALU_DEP_2) | instskip(NEXT) | instid1(VALU_DEP_2)
	v_add_f64_e64 v[1:2], v[34:35], -v[1:2]
	v_add_f64_e64 v[3:4], v[36:37], -v[3:4]
	scratch_store_b128 off, v[1:4], off offset:544
	v_cmpx_lt_u32_e32 32, v0
	s_cbranch_execz .LBB125_333
; %bb.332:
	scratch_load_b128 v[1:4], off, s45
	v_mov_b32_e32 v5, 0
	s_delay_alu instid0(VALU_DEP_1)
	v_dual_mov_b32 v6, v5 :: v_dual_mov_b32 v7, v5
	v_mov_b32_e32 v8, v5
	scratch_store_b128 off, v[5:8], off offset:528
	s_wait_loadcnt 0x0
	ds_store_b128 v166, v[1:4]
.LBB125_333:
	s_wait_alu 0xfffe
	s_or_b32 exec_lo, exec_lo, s0
	s_wait_storecnt_dscnt 0x0
	s_barrier_signal -1
	s_barrier_wait -1
	global_inv scope:SCOPE_SE
	s_clause 0x7
	scratch_load_b128 v[2:5], off, off offset:544
	scratch_load_b128 v[6:9], off, off offset:560
	;; [unrolled: 1-line block ×8, first 2 shown]
	v_mov_b32_e32 v1, 0
	s_clause 0x1
	scratch_load_b128 v[38:41], off, off offset:672
	scratch_load_b128 v[171:174], off, off offset:688
	s_mov_b32 s0, exec_lo
	ds_load_b128 v[34:37], v1 offset:1520
	ds_load_b128 v[167:170], v1 offset:1536
	s_wait_loadcnt_dscnt 0x901
	v_mul_f64_e32 v[175:176], v[36:37], v[4:5]
	v_mul_f64_e32 v[4:5], v[34:35], v[4:5]
	s_wait_loadcnt_dscnt 0x800
	v_mul_f64_e32 v[177:178], v[167:168], v[8:9]
	v_mul_f64_e32 v[8:9], v[169:170], v[8:9]
	s_delay_alu instid0(VALU_DEP_4) | instskip(NEXT) | instid1(VALU_DEP_4)
	v_fma_f64 v[175:176], v[34:35], v[2:3], -v[175:176]
	v_fma_f64 v[179:180], v[36:37], v[2:3], v[4:5]
	ds_load_b128 v[2:5], v1 offset:1552
	scratch_load_b128 v[34:37], off, off offset:704
	v_fma_f64 v[177:178], v[169:170], v[6:7], v[177:178]
	v_fma_f64 v[183:184], v[167:168], v[6:7], -v[8:9]
	ds_load_b128 v[6:9], v1 offset:1568
	scratch_load_b128 v[167:170], off, off offset:720
	s_wait_loadcnt_dscnt 0x901
	v_mul_f64_e32 v[181:182], v[2:3], v[12:13]
	v_mul_f64_e32 v[12:13], v[4:5], v[12:13]
	s_wait_loadcnt_dscnt 0x800
	v_mul_f64_e32 v[185:186], v[6:7], v[16:17]
	v_mul_f64_e32 v[16:17], v[8:9], v[16:17]
	v_add_f64_e32 v[175:176], 0, v[175:176]
	v_add_f64_e32 v[179:180], 0, v[179:180]
	v_fma_f64 v[181:182], v[4:5], v[10:11], v[181:182]
	v_fma_f64 v[187:188], v[2:3], v[10:11], -v[12:13]
	ds_load_b128 v[2:5], v1 offset:1584
	scratch_load_b128 v[10:13], off, off offset:736
	v_add_f64_e32 v[175:176], v[175:176], v[183:184]
	v_add_f64_e32 v[177:178], v[179:180], v[177:178]
	v_fma_f64 v[183:184], v[8:9], v[14:15], v[185:186]
	v_fma_f64 v[185:186], v[6:7], v[14:15], -v[16:17]
	ds_load_b128 v[6:9], v1 offset:1600
	scratch_load_b128 v[14:17], off, off offset:752
	s_wait_loadcnt_dscnt 0x901
	v_mul_f64_e32 v[179:180], v[2:3], v[20:21]
	v_mul_f64_e32 v[20:21], v[4:5], v[20:21]
	v_add_f64_e32 v[175:176], v[175:176], v[187:188]
	v_add_f64_e32 v[177:178], v[177:178], v[181:182]
	s_wait_loadcnt_dscnt 0x800
	v_mul_f64_e32 v[181:182], v[6:7], v[24:25]
	v_mul_f64_e32 v[24:25], v[8:9], v[24:25]
	v_fma_f64 v[179:180], v[4:5], v[18:19], v[179:180]
	v_fma_f64 v[187:188], v[2:3], v[18:19], -v[20:21]
	ds_load_b128 v[2:5], v1 offset:1616
	scratch_load_b128 v[18:21], off, off offset:768
	v_add_f64_e32 v[175:176], v[175:176], v[185:186]
	v_add_f64_e32 v[177:178], v[177:178], v[183:184]
	v_fma_f64 v[181:182], v[8:9], v[22:23], v[181:182]
	v_fma_f64 v[185:186], v[6:7], v[22:23], -v[24:25]
	ds_load_b128 v[6:9], v1 offset:1632
	s_wait_loadcnt_dscnt 0x801
	v_mul_f64_e32 v[183:184], v[2:3], v[28:29]
	v_mul_f64_e32 v[28:29], v[4:5], v[28:29]
	scratch_load_b128 v[22:25], off, off offset:784
	v_add_f64_e32 v[175:176], v[175:176], v[187:188]
	v_add_f64_e32 v[177:178], v[177:178], v[179:180]
	s_wait_loadcnt_dscnt 0x800
	v_mul_f64_e32 v[179:180], v[6:7], v[32:33]
	v_mul_f64_e32 v[32:33], v[8:9], v[32:33]
	v_fma_f64 v[183:184], v[4:5], v[26:27], v[183:184]
	v_fma_f64 v[187:188], v[2:3], v[26:27], -v[28:29]
	ds_load_b128 v[2:5], v1 offset:1648
	scratch_load_b128 v[26:29], off, off offset:800
	v_add_f64_e32 v[175:176], v[175:176], v[185:186]
	v_add_f64_e32 v[177:178], v[177:178], v[181:182]
	v_fma_f64 v[179:180], v[8:9], v[30:31], v[179:180]
	v_fma_f64 v[185:186], v[6:7], v[30:31], -v[32:33]
	ds_load_b128 v[6:9], v1 offset:1664
	s_wait_loadcnt_dscnt 0x801
	v_mul_f64_e32 v[181:182], v[2:3], v[40:41]
	v_mul_f64_e32 v[40:41], v[4:5], v[40:41]
	scratch_load_b128 v[30:33], off, off offset:816
	v_add_f64_e32 v[175:176], v[175:176], v[187:188]
	v_add_f64_e32 v[177:178], v[177:178], v[183:184]
	s_wait_loadcnt_dscnt 0x800
	v_mul_f64_e32 v[183:184], v[6:7], v[173:174]
	v_mul_f64_e32 v[173:174], v[8:9], v[173:174]
	v_fma_f64 v[181:182], v[4:5], v[38:39], v[181:182]
	v_fma_f64 v[187:188], v[2:3], v[38:39], -v[40:41]
	ds_load_b128 v[2:5], v1 offset:1680
	scratch_load_b128 v[38:41], off, off offset:832
	v_add_f64_e32 v[175:176], v[175:176], v[185:186]
	v_add_f64_e32 v[177:178], v[177:178], v[179:180]
	v_fma_f64 v[183:184], v[8:9], v[171:172], v[183:184]
	v_fma_f64 v[185:186], v[6:7], v[171:172], -v[173:174]
	ds_load_b128 v[6:9], v1 offset:1696
	scratch_load_b128 v[171:174], off, off offset:848
	s_wait_loadcnt_dscnt 0x901
	v_mul_f64_e32 v[179:180], v[2:3], v[36:37]
	v_mul_f64_e32 v[36:37], v[4:5], v[36:37]
	v_add_f64_e32 v[175:176], v[175:176], v[187:188]
	v_add_f64_e32 v[177:178], v[177:178], v[181:182]
	s_wait_loadcnt_dscnt 0x800
	v_mul_f64_e32 v[181:182], v[6:7], v[169:170]
	v_mul_f64_e32 v[169:170], v[8:9], v[169:170]
	v_fma_f64 v[179:180], v[4:5], v[34:35], v[179:180]
	v_fma_f64 v[187:188], v[2:3], v[34:35], -v[36:37]
	ds_load_b128 v[2:5], v1 offset:1712
	scratch_load_b128 v[34:37], off, off offset:864
	v_add_f64_e32 v[175:176], v[175:176], v[185:186]
	v_add_f64_e32 v[177:178], v[177:178], v[183:184]
	v_fma_f64 v[181:182], v[8:9], v[167:168], v[181:182]
	v_fma_f64 v[185:186], v[6:7], v[167:168], -v[169:170]
	ds_load_b128 v[6:9], v1 offset:1728
	s_wait_loadcnt_dscnt 0x801
	v_mul_f64_e32 v[183:184], v[2:3], v[12:13]
	v_mul_f64_e32 v[12:13], v[4:5], v[12:13]
	scratch_load_b128 v[167:170], off, off offset:880
	v_add_f64_e32 v[175:176], v[175:176], v[187:188]
	v_add_f64_e32 v[177:178], v[177:178], v[179:180]
	s_wait_loadcnt_dscnt 0x800
	v_mul_f64_e32 v[179:180], v[6:7], v[16:17]
	v_mul_f64_e32 v[16:17], v[8:9], v[16:17]
	v_fma_f64 v[183:184], v[4:5], v[10:11], v[183:184]
	v_fma_f64 v[187:188], v[2:3], v[10:11], -v[12:13]
	ds_load_b128 v[2:5], v1 offset:1744
	scratch_load_b128 v[10:13], off, off offset:896
	v_add_f64_e32 v[175:176], v[175:176], v[185:186]
	v_add_f64_e32 v[177:178], v[177:178], v[181:182]
	v_fma_f64 v[179:180], v[8:9], v[14:15], v[179:180]
	v_fma_f64 v[185:186], v[6:7], v[14:15], -v[16:17]
	ds_load_b128 v[6:9], v1 offset:1760
	s_wait_loadcnt_dscnt 0x801
	v_mul_f64_e32 v[181:182], v[2:3], v[20:21]
	v_mul_f64_e32 v[20:21], v[4:5], v[20:21]
	scratch_load_b128 v[14:17], off, off offset:912
	;; [unrolled: 18-line block ×4, first 2 shown]
	v_add_f64_e32 v[175:176], v[175:176], v[187:188]
	v_add_f64_e32 v[177:178], v[177:178], v[179:180]
	s_wait_loadcnt_dscnt 0x800
	v_mul_f64_e32 v[179:180], v[6:7], v[173:174]
	v_mul_f64_e32 v[173:174], v[8:9], v[173:174]
	v_fma_f64 v[183:184], v[4:5], v[38:39], v[183:184]
	v_fma_f64 v[187:188], v[2:3], v[38:39], -v[40:41]
	ds_load_b128 v[2:5], v1 offset:1840
	scratch_load_b128 v[38:41], off, off offset:992
	v_add_f64_e32 v[175:176], v[175:176], v[185:186]
	v_add_f64_e32 v[177:178], v[177:178], v[181:182]
	v_fma_f64 v[179:180], v[8:9], v[171:172], v[179:180]
	v_fma_f64 v[171:172], v[6:7], v[171:172], -v[173:174]
	ds_load_b128 v[6:9], v1 offset:1856
	s_wait_loadcnt_dscnt 0x801
	v_mul_f64_e32 v[181:182], v[2:3], v[36:37]
	v_mul_f64_e32 v[36:37], v[4:5], v[36:37]
	v_add_f64_e32 v[173:174], v[175:176], v[187:188]
	v_add_f64_e32 v[175:176], v[177:178], v[183:184]
	s_wait_loadcnt_dscnt 0x700
	v_mul_f64_e32 v[177:178], v[6:7], v[169:170]
	v_mul_f64_e32 v[169:170], v[8:9], v[169:170]
	v_fma_f64 v[181:182], v[4:5], v[34:35], v[181:182]
	v_fma_f64 v[34:35], v[2:3], v[34:35], -v[36:37]
	ds_load_b128 v[2:5], v1 offset:1872
	v_add_f64_e32 v[36:37], v[173:174], v[171:172]
	v_add_f64_e32 v[171:172], v[175:176], v[179:180]
	v_fma_f64 v[175:176], v[8:9], v[167:168], v[177:178]
	v_fma_f64 v[167:168], v[6:7], v[167:168], -v[169:170]
	ds_load_b128 v[6:9], v1 offset:1888
	s_wait_loadcnt_dscnt 0x500
	v_mul_f64_e32 v[177:178], v[6:7], v[16:17]
	v_mul_f64_e32 v[16:17], v[8:9], v[16:17]
	v_add_f64_e32 v[169:170], v[36:37], v[34:35]
	v_add_f64_e32 v[171:172], v[171:172], v[181:182]
	scratch_load_b128 v[34:37], off, off offset:528
	v_mul_f64_e32 v[173:174], v[2:3], v[12:13]
	v_mul_f64_e32 v[12:13], v[4:5], v[12:13]
	s_delay_alu instid0(VALU_DEP_2) | instskip(NEXT) | instid1(VALU_DEP_2)
	v_fma_f64 v[173:174], v[4:5], v[10:11], v[173:174]
	v_fma_f64 v[10:11], v[2:3], v[10:11], -v[12:13]
	v_add_f64_e32 v[12:13], v[169:170], v[167:168]
	v_add_f64_e32 v[167:168], v[171:172], v[175:176]
	ds_load_b128 v[2:5], v1 offset:1904
	v_fma_f64 v[171:172], v[8:9], v[14:15], v[177:178]
	v_fma_f64 v[14:15], v[6:7], v[14:15], -v[16:17]
	ds_load_b128 v[6:9], v1 offset:1920
	s_wait_loadcnt_dscnt 0x501
	v_mul_f64_e32 v[169:170], v[2:3], v[20:21]
	v_mul_f64_e32 v[20:21], v[4:5], v[20:21]
	s_wait_loadcnt_dscnt 0x400
	v_mul_f64_e32 v[16:17], v[6:7], v[24:25]
	v_mul_f64_e32 v[24:25], v[8:9], v[24:25]
	v_add_f64_e32 v[10:11], v[12:13], v[10:11]
	v_add_f64_e32 v[12:13], v[167:168], v[173:174]
	v_fma_f64 v[167:168], v[4:5], v[18:19], v[169:170]
	v_fma_f64 v[18:19], v[2:3], v[18:19], -v[20:21]
	ds_load_b128 v[2:5], v1 offset:1936
	v_fma_f64 v[16:17], v[8:9], v[22:23], v[16:17]
	v_fma_f64 v[22:23], v[6:7], v[22:23], -v[24:25]
	ds_load_b128 v[6:9], v1 offset:1952
	v_add_f64_e32 v[10:11], v[10:11], v[14:15]
	v_add_f64_e32 v[12:13], v[12:13], v[171:172]
	s_wait_loadcnt_dscnt 0x301
	v_mul_f64_e32 v[14:15], v[2:3], v[28:29]
	v_mul_f64_e32 v[20:21], v[4:5], v[28:29]
	s_wait_loadcnt_dscnt 0x200
	v_mul_f64_e32 v[24:25], v[8:9], v[32:33]
	v_add_f64_e32 v[10:11], v[10:11], v[18:19]
	v_add_f64_e32 v[12:13], v[12:13], v[167:168]
	v_mul_f64_e32 v[18:19], v[6:7], v[32:33]
	v_fma_f64 v[14:15], v[4:5], v[26:27], v[14:15]
	v_fma_f64 v[20:21], v[2:3], v[26:27], -v[20:21]
	ds_load_b128 v[2:5], v1 offset:1968
	v_fma_f64 v[6:7], v[6:7], v[30:31], -v[24:25]
	v_add_f64_e32 v[10:11], v[10:11], v[22:23]
	v_add_f64_e32 v[12:13], v[12:13], v[16:17]
	s_wait_loadcnt_dscnt 0x100
	v_mul_f64_e32 v[16:17], v[2:3], v[40:41]
	v_mul_f64_e32 v[22:23], v[4:5], v[40:41]
	v_fma_f64 v[8:9], v[8:9], v[30:31], v[18:19]
	v_add_f64_e32 v[10:11], v[10:11], v[20:21]
	v_add_f64_e32 v[12:13], v[12:13], v[14:15]
	v_fma_f64 v[4:5], v[4:5], v[38:39], v[16:17]
	v_fma_f64 v[2:3], v[2:3], v[38:39], -v[22:23]
	s_delay_alu instid0(VALU_DEP_4) | instskip(NEXT) | instid1(VALU_DEP_4)
	v_add_f64_e32 v[6:7], v[10:11], v[6:7]
	v_add_f64_e32 v[8:9], v[12:13], v[8:9]
	s_delay_alu instid0(VALU_DEP_2) | instskip(NEXT) | instid1(VALU_DEP_2)
	v_add_f64_e32 v[2:3], v[6:7], v[2:3]
	v_add_f64_e32 v[4:5], v[8:9], v[4:5]
	s_wait_loadcnt 0x0
	s_delay_alu instid0(VALU_DEP_2) | instskip(NEXT) | instid1(VALU_DEP_2)
	v_add_f64_e64 v[2:3], v[34:35], -v[2:3]
	v_add_f64_e64 v[4:5], v[36:37], -v[4:5]
	scratch_store_b128 off, v[2:5], off offset:528
	v_cmpx_lt_u32_e32 31, v0
	s_cbranch_execz .LBB125_335
; %bb.334:
	scratch_load_b128 v[5:8], off, s46
	v_dual_mov_b32 v2, v1 :: v_dual_mov_b32 v3, v1
	v_mov_b32_e32 v4, v1
	scratch_store_b128 off, v[1:4], off offset:512
	s_wait_loadcnt 0x0
	ds_store_b128 v166, v[5:8]
.LBB125_335:
	s_wait_alu 0xfffe
	s_or_b32 exec_lo, exec_lo, s0
	s_wait_storecnt_dscnt 0x0
	s_barrier_signal -1
	s_barrier_wait -1
	global_inv scope:SCOPE_SE
	s_clause 0x7
	scratch_load_b128 v[2:5], off, off offset:528
	scratch_load_b128 v[6:9], off, off offset:544
	;; [unrolled: 1-line block ×8, first 2 shown]
	ds_load_b128 v[34:37], v1 offset:1504
	ds_load_b128 v[167:170], v1 offset:1520
	s_clause 0x1
	scratch_load_b128 v[38:41], off, off offset:656
	scratch_load_b128 v[171:174], off, off offset:672
	s_mov_b32 s0, exec_lo
	s_wait_loadcnt_dscnt 0x901
	v_mul_f64_e32 v[175:176], v[36:37], v[4:5]
	v_mul_f64_e32 v[4:5], v[34:35], v[4:5]
	s_wait_loadcnt_dscnt 0x800
	v_mul_f64_e32 v[177:178], v[167:168], v[8:9]
	v_mul_f64_e32 v[8:9], v[169:170], v[8:9]
	s_delay_alu instid0(VALU_DEP_4) | instskip(NEXT) | instid1(VALU_DEP_4)
	v_fma_f64 v[175:176], v[34:35], v[2:3], -v[175:176]
	v_fma_f64 v[179:180], v[36:37], v[2:3], v[4:5]
	ds_load_b128 v[2:5], v1 offset:1536
	scratch_load_b128 v[34:37], off, off offset:688
	v_fma_f64 v[177:178], v[169:170], v[6:7], v[177:178]
	v_fma_f64 v[183:184], v[167:168], v[6:7], -v[8:9]
	ds_load_b128 v[6:9], v1 offset:1552
	scratch_load_b128 v[167:170], off, off offset:704
	s_wait_loadcnt_dscnt 0x901
	v_mul_f64_e32 v[181:182], v[2:3], v[12:13]
	v_mul_f64_e32 v[12:13], v[4:5], v[12:13]
	s_wait_loadcnt_dscnt 0x800
	v_mul_f64_e32 v[185:186], v[6:7], v[16:17]
	v_mul_f64_e32 v[16:17], v[8:9], v[16:17]
	v_add_f64_e32 v[175:176], 0, v[175:176]
	v_add_f64_e32 v[179:180], 0, v[179:180]
	v_fma_f64 v[181:182], v[4:5], v[10:11], v[181:182]
	v_fma_f64 v[187:188], v[2:3], v[10:11], -v[12:13]
	scratch_load_b128 v[10:13], off, off offset:720
	ds_load_b128 v[2:5], v1 offset:1568
	v_add_f64_e32 v[175:176], v[175:176], v[183:184]
	v_add_f64_e32 v[177:178], v[179:180], v[177:178]
	v_fma_f64 v[183:184], v[8:9], v[14:15], v[185:186]
	v_fma_f64 v[185:186], v[6:7], v[14:15], -v[16:17]
	ds_load_b128 v[6:9], v1 offset:1584
	scratch_load_b128 v[14:17], off, off offset:736
	s_wait_loadcnt_dscnt 0x901
	v_mul_f64_e32 v[179:180], v[2:3], v[20:21]
	v_mul_f64_e32 v[20:21], v[4:5], v[20:21]
	v_add_f64_e32 v[175:176], v[175:176], v[187:188]
	v_add_f64_e32 v[177:178], v[177:178], v[181:182]
	s_wait_loadcnt_dscnt 0x800
	v_mul_f64_e32 v[181:182], v[6:7], v[24:25]
	v_mul_f64_e32 v[24:25], v[8:9], v[24:25]
	v_fma_f64 v[179:180], v[4:5], v[18:19], v[179:180]
	v_fma_f64 v[187:188], v[2:3], v[18:19], -v[20:21]
	ds_load_b128 v[2:5], v1 offset:1600
	scratch_load_b128 v[18:21], off, off offset:752
	v_add_f64_e32 v[175:176], v[175:176], v[185:186]
	v_add_f64_e32 v[177:178], v[177:178], v[183:184]
	v_fma_f64 v[181:182], v[8:9], v[22:23], v[181:182]
	v_fma_f64 v[185:186], v[6:7], v[22:23], -v[24:25]
	ds_load_b128 v[6:9], v1 offset:1616
	s_wait_loadcnt_dscnt 0x801
	v_mul_f64_e32 v[183:184], v[2:3], v[28:29]
	v_mul_f64_e32 v[28:29], v[4:5], v[28:29]
	scratch_load_b128 v[22:25], off, off offset:768
	v_add_f64_e32 v[175:176], v[175:176], v[187:188]
	v_add_f64_e32 v[177:178], v[177:178], v[179:180]
	s_wait_loadcnt_dscnt 0x800
	v_mul_f64_e32 v[179:180], v[6:7], v[32:33]
	v_mul_f64_e32 v[32:33], v[8:9], v[32:33]
	v_fma_f64 v[183:184], v[4:5], v[26:27], v[183:184]
	v_fma_f64 v[187:188], v[2:3], v[26:27], -v[28:29]
	ds_load_b128 v[2:5], v1 offset:1632
	scratch_load_b128 v[26:29], off, off offset:784
	v_add_f64_e32 v[175:176], v[175:176], v[185:186]
	v_add_f64_e32 v[177:178], v[177:178], v[181:182]
	v_fma_f64 v[179:180], v[8:9], v[30:31], v[179:180]
	v_fma_f64 v[185:186], v[6:7], v[30:31], -v[32:33]
	ds_load_b128 v[6:9], v1 offset:1648
	s_wait_loadcnt_dscnt 0x801
	v_mul_f64_e32 v[181:182], v[2:3], v[40:41]
	v_mul_f64_e32 v[40:41], v[4:5], v[40:41]
	scratch_load_b128 v[30:33], off, off offset:800
	v_add_f64_e32 v[175:176], v[175:176], v[187:188]
	v_add_f64_e32 v[177:178], v[177:178], v[183:184]
	s_wait_loadcnt_dscnt 0x800
	v_mul_f64_e32 v[183:184], v[6:7], v[173:174]
	v_mul_f64_e32 v[173:174], v[8:9], v[173:174]
	v_fma_f64 v[181:182], v[4:5], v[38:39], v[181:182]
	v_fma_f64 v[187:188], v[2:3], v[38:39], -v[40:41]
	ds_load_b128 v[2:5], v1 offset:1664
	scratch_load_b128 v[38:41], off, off offset:816
	v_add_f64_e32 v[175:176], v[175:176], v[185:186]
	v_add_f64_e32 v[177:178], v[177:178], v[179:180]
	v_fma_f64 v[183:184], v[8:9], v[171:172], v[183:184]
	v_fma_f64 v[185:186], v[6:7], v[171:172], -v[173:174]
	ds_load_b128 v[6:9], v1 offset:1680
	scratch_load_b128 v[171:174], off, off offset:832
	s_wait_loadcnt_dscnt 0x901
	v_mul_f64_e32 v[179:180], v[2:3], v[36:37]
	v_mul_f64_e32 v[36:37], v[4:5], v[36:37]
	v_add_f64_e32 v[175:176], v[175:176], v[187:188]
	v_add_f64_e32 v[177:178], v[177:178], v[181:182]
	s_wait_loadcnt_dscnt 0x800
	v_mul_f64_e32 v[181:182], v[6:7], v[169:170]
	v_mul_f64_e32 v[169:170], v[8:9], v[169:170]
	v_fma_f64 v[179:180], v[4:5], v[34:35], v[179:180]
	v_fma_f64 v[187:188], v[2:3], v[34:35], -v[36:37]
	ds_load_b128 v[2:5], v1 offset:1696
	scratch_load_b128 v[34:37], off, off offset:848
	v_add_f64_e32 v[175:176], v[175:176], v[185:186]
	v_add_f64_e32 v[177:178], v[177:178], v[183:184]
	v_fma_f64 v[181:182], v[8:9], v[167:168], v[181:182]
	v_fma_f64 v[185:186], v[6:7], v[167:168], -v[169:170]
	ds_load_b128 v[6:9], v1 offset:1712
	s_wait_loadcnt_dscnt 0x801
	v_mul_f64_e32 v[183:184], v[2:3], v[12:13]
	v_mul_f64_e32 v[12:13], v[4:5], v[12:13]
	scratch_load_b128 v[167:170], off, off offset:864
	v_add_f64_e32 v[175:176], v[175:176], v[187:188]
	v_add_f64_e32 v[177:178], v[177:178], v[179:180]
	s_wait_loadcnt_dscnt 0x800
	v_mul_f64_e32 v[179:180], v[6:7], v[16:17]
	v_mul_f64_e32 v[16:17], v[8:9], v[16:17]
	v_fma_f64 v[183:184], v[4:5], v[10:11], v[183:184]
	v_fma_f64 v[187:188], v[2:3], v[10:11], -v[12:13]
	scratch_load_b128 v[10:13], off, off offset:880
	ds_load_b128 v[2:5], v1 offset:1728
	v_add_f64_e32 v[175:176], v[175:176], v[185:186]
	v_add_f64_e32 v[177:178], v[177:178], v[181:182]
	v_fma_f64 v[179:180], v[8:9], v[14:15], v[179:180]
	v_fma_f64 v[185:186], v[6:7], v[14:15], -v[16:17]
	ds_load_b128 v[6:9], v1 offset:1744
	s_wait_loadcnt_dscnt 0x801
	v_mul_f64_e32 v[181:182], v[2:3], v[20:21]
	v_mul_f64_e32 v[20:21], v[4:5], v[20:21]
	scratch_load_b128 v[14:17], off, off offset:896
	v_add_f64_e32 v[175:176], v[175:176], v[187:188]
	v_add_f64_e32 v[177:178], v[177:178], v[183:184]
	s_wait_loadcnt_dscnt 0x800
	v_mul_f64_e32 v[183:184], v[6:7], v[24:25]
	v_mul_f64_e32 v[24:25], v[8:9], v[24:25]
	v_fma_f64 v[181:182], v[4:5], v[18:19], v[181:182]
	v_fma_f64 v[187:188], v[2:3], v[18:19], -v[20:21]
	ds_load_b128 v[2:5], v1 offset:1760
	scratch_load_b128 v[18:21], off, off offset:912
	v_add_f64_e32 v[175:176], v[175:176], v[185:186]
	v_add_f64_e32 v[177:178], v[177:178], v[179:180]
	v_fma_f64 v[183:184], v[8:9], v[22:23], v[183:184]
	v_fma_f64 v[185:186], v[6:7], v[22:23], -v[24:25]
	ds_load_b128 v[6:9], v1 offset:1776
	s_wait_loadcnt_dscnt 0x801
	v_mul_f64_e32 v[179:180], v[2:3], v[28:29]
	v_mul_f64_e32 v[28:29], v[4:5], v[28:29]
	scratch_load_b128 v[22:25], off, off offset:928
	v_add_f64_e32 v[175:176], v[175:176], v[187:188]
	v_add_f64_e32 v[177:178], v[177:178], v[181:182]
	s_wait_loadcnt_dscnt 0x800
	v_mul_f64_e32 v[181:182], v[6:7], v[32:33]
	v_mul_f64_e32 v[32:33], v[8:9], v[32:33]
	v_fma_f64 v[179:180], v[4:5], v[26:27], v[179:180]
	v_fma_f64 v[187:188], v[2:3], v[26:27], -v[28:29]
	ds_load_b128 v[2:5], v1 offset:1792
	scratch_load_b128 v[26:29], off, off offset:944
	;; [unrolled: 18-line block ×3, first 2 shown]
	v_add_f64_e32 v[175:176], v[175:176], v[185:186]
	v_add_f64_e32 v[177:178], v[177:178], v[181:182]
	v_fma_f64 v[179:180], v[8:9], v[171:172], v[179:180]
	v_fma_f64 v[185:186], v[6:7], v[171:172], -v[173:174]
	ds_load_b128 v[6:9], v1 offset:1840
	s_wait_loadcnt_dscnt 0x801
	v_mul_f64_e32 v[181:182], v[2:3], v[36:37]
	v_mul_f64_e32 v[36:37], v[4:5], v[36:37]
	scratch_load_b128 v[171:174], off, off offset:992
	v_add_f64_e32 v[175:176], v[175:176], v[187:188]
	v_add_f64_e32 v[177:178], v[177:178], v[183:184]
	v_fma_f64 v[181:182], v[4:5], v[34:35], v[181:182]
	v_fma_f64 v[34:35], v[2:3], v[34:35], -v[36:37]
	ds_load_b128 v[2:5], v1 offset:1856
	v_add_f64_e32 v[36:37], v[175:176], v[185:186]
	v_add_f64_e32 v[175:176], v[177:178], v[179:180]
	s_wait_loadcnt_dscnt 0x700
	v_mul_f64_e32 v[177:178], v[2:3], v[12:13]
	v_mul_f64_e32 v[12:13], v[4:5], v[12:13]
	s_delay_alu instid0(VALU_DEP_4) | instskip(NEXT) | instid1(VALU_DEP_4)
	v_add_f64_e32 v[34:35], v[36:37], v[34:35]
	v_add_f64_e32 v[36:37], v[175:176], v[181:182]
	s_delay_alu instid0(VALU_DEP_4) | instskip(NEXT) | instid1(VALU_DEP_4)
	v_fma_f64 v[175:176], v[4:5], v[10:11], v[177:178]
	v_fma_f64 v[177:178], v[2:3], v[10:11], -v[12:13]
	scratch_load_b128 v[10:13], off, off offset:512
	v_mul_f64_e32 v[183:184], v[6:7], v[169:170]
	v_mul_f64_e32 v[169:170], v[8:9], v[169:170]
	ds_load_b128 v[2:5], v1 offset:1888
	v_fma_f64 v[179:180], v[8:9], v[167:168], v[183:184]
	v_fma_f64 v[167:168], v[6:7], v[167:168], -v[169:170]
	ds_load_b128 v[6:9], v1 offset:1872
	s_wait_loadcnt_dscnt 0x700
	v_mul_f64_e32 v[169:170], v[6:7], v[16:17]
	v_mul_f64_e32 v[16:17], v[8:9], v[16:17]
	v_add_f64_e32 v[36:37], v[36:37], v[179:180]
	v_add_f64_e32 v[34:35], v[34:35], v[167:168]
	s_wait_loadcnt 0x6
	v_mul_f64_e32 v[167:168], v[2:3], v[20:21]
	v_mul_f64_e32 v[20:21], v[4:5], v[20:21]
	v_fma_f64 v[169:170], v[8:9], v[14:15], v[169:170]
	v_fma_f64 v[14:15], v[6:7], v[14:15], -v[16:17]
	ds_load_b128 v[6:9], v1 offset:1904
	v_add_f64_e32 v[16:17], v[34:35], v[177:178]
	v_add_f64_e32 v[34:35], v[36:37], v[175:176]
	v_fma_f64 v[167:168], v[4:5], v[18:19], v[167:168]
	v_fma_f64 v[18:19], v[2:3], v[18:19], -v[20:21]
	ds_load_b128 v[2:5], v1 offset:1920
	s_wait_loadcnt_dscnt 0x501
	v_mul_f64_e32 v[36:37], v[6:7], v[24:25]
	v_mul_f64_e32 v[24:25], v[8:9], v[24:25]
	s_wait_loadcnt_dscnt 0x400
	v_mul_f64_e32 v[20:21], v[2:3], v[28:29]
	v_mul_f64_e32 v[28:29], v[4:5], v[28:29]
	v_add_f64_e32 v[14:15], v[16:17], v[14:15]
	v_add_f64_e32 v[16:17], v[34:35], v[169:170]
	v_fma_f64 v[34:35], v[8:9], v[22:23], v[36:37]
	v_fma_f64 v[22:23], v[6:7], v[22:23], -v[24:25]
	ds_load_b128 v[6:9], v1 offset:1936
	v_fma_f64 v[20:21], v[4:5], v[26:27], v[20:21]
	v_fma_f64 v[26:27], v[2:3], v[26:27], -v[28:29]
	ds_load_b128 v[2:5], v1 offset:1952
	s_wait_loadcnt_dscnt 0x301
	v_mul_f64_e32 v[24:25], v[8:9], v[32:33]
	v_add_f64_e32 v[14:15], v[14:15], v[18:19]
	v_add_f64_e32 v[16:17], v[16:17], v[167:168]
	v_mul_f64_e32 v[18:19], v[6:7], v[32:33]
	s_wait_loadcnt_dscnt 0x200
	v_mul_f64_e32 v[28:29], v[4:5], v[40:41]
	v_fma_f64 v[24:25], v[6:7], v[30:31], -v[24:25]
	v_add_f64_e32 v[14:15], v[14:15], v[22:23]
	v_add_f64_e32 v[16:17], v[16:17], v[34:35]
	v_mul_f64_e32 v[22:23], v[2:3], v[40:41]
	v_fma_f64 v[18:19], v[8:9], v[30:31], v[18:19]
	ds_load_b128 v[6:9], v1 offset:1968
	v_fma_f64 v[1:2], v[2:3], v[38:39], -v[28:29]
	v_add_f64_e32 v[14:15], v[14:15], v[26:27]
	v_add_f64_e32 v[16:17], v[16:17], v[20:21]
	s_wait_loadcnt_dscnt 0x100
	v_mul_f64_e32 v[20:21], v[6:7], v[173:174]
	v_mul_f64_e32 v[26:27], v[8:9], v[173:174]
	v_fma_f64 v[4:5], v[4:5], v[38:39], v[22:23]
	v_add_f64_e32 v[14:15], v[14:15], v[24:25]
	v_add_f64_e32 v[16:17], v[16:17], v[18:19]
	v_fma_f64 v[8:9], v[8:9], v[171:172], v[20:21]
	v_fma_f64 v[6:7], v[6:7], v[171:172], -v[26:27]
	s_delay_alu instid0(VALU_DEP_4) | instskip(NEXT) | instid1(VALU_DEP_4)
	v_add_f64_e32 v[1:2], v[14:15], v[1:2]
	v_add_f64_e32 v[3:4], v[16:17], v[4:5]
	s_delay_alu instid0(VALU_DEP_2) | instskip(NEXT) | instid1(VALU_DEP_2)
	v_add_f64_e32 v[1:2], v[1:2], v[6:7]
	v_add_f64_e32 v[3:4], v[3:4], v[8:9]
	s_wait_loadcnt 0x0
	s_delay_alu instid0(VALU_DEP_2) | instskip(NEXT) | instid1(VALU_DEP_2)
	v_add_f64_e64 v[1:2], v[10:11], -v[1:2]
	v_add_f64_e64 v[3:4], v[12:13], -v[3:4]
	scratch_store_b128 off, v[1:4], off offset:512
	v_cmpx_lt_u32_e32 30, v0
	s_cbranch_execz .LBB125_337
; %bb.336:
	scratch_load_b128 v[1:4], off, s47
	v_mov_b32_e32 v5, 0
	s_delay_alu instid0(VALU_DEP_1)
	v_dual_mov_b32 v6, v5 :: v_dual_mov_b32 v7, v5
	v_mov_b32_e32 v8, v5
	scratch_store_b128 off, v[5:8], off offset:496
	s_wait_loadcnt 0x0
	ds_store_b128 v166, v[1:4]
.LBB125_337:
	s_wait_alu 0xfffe
	s_or_b32 exec_lo, exec_lo, s0
	s_wait_storecnt_dscnt 0x0
	s_barrier_signal -1
	s_barrier_wait -1
	global_inv scope:SCOPE_SE
	s_clause 0x7
	scratch_load_b128 v[2:5], off, off offset:512
	scratch_load_b128 v[6:9], off, off offset:528
	;; [unrolled: 1-line block ×8, first 2 shown]
	v_mov_b32_e32 v1, 0
	s_clause 0x1
	scratch_load_b128 v[38:41], off, off offset:640
	scratch_load_b128 v[171:174], off, off offset:656
	s_mov_b32 s0, exec_lo
	ds_load_b128 v[34:37], v1 offset:1488
	ds_load_b128 v[167:170], v1 offset:1504
	s_wait_loadcnt_dscnt 0x901
	v_mul_f64_e32 v[175:176], v[36:37], v[4:5]
	v_mul_f64_e32 v[4:5], v[34:35], v[4:5]
	s_wait_loadcnt_dscnt 0x800
	v_mul_f64_e32 v[177:178], v[167:168], v[8:9]
	v_mul_f64_e32 v[8:9], v[169:170], v[8:9]
	s_delay_alu instid0(VALU_DEP_4) | instskip(NEXT) | instid1(VALU_DEP_4)
	v_fma_f64 v[175:176], v[34:35], v[2:3], -v[175:176]
	v_fma_f64 v[179:180], v[36:37], v[2:3], v[4:5]
	ds_load_b128 v[2:5], v1 offset:1520
	scratch_load_b128 v[34:37], off, off offset:672
	v_fma_f64 v[177:178], v[169:170], v[6:7], v[177:178]
	v_fma_f64 v[183:184], v[167:168], v[6:7], -v[8:9]
	ds_load_b128 v[6:9], v1 offset:1536
	scratch_load_b128 v[167:170], off, off offset:688
	s_wait_loadcnt_dscnt 0x901
	v_mul_f64_e32 v[181:182], v[2:3], v[12:13]
	v_mul_f64_e32 v[12:13], v[4:5], v[12:13]
	s_wait_loadcnt_dscnt 0x800
	v_mul_f64_e32 v[185:186], v[6:7], v[16:17]
	v_mul_f64_e32 v[16:17], v[8:9], v[16:17]
	v_add_f64_e32 v[175:176], 0, v[175:176]
	v_add_f64_e32 v[179:180], 0, v[179:180]
	v_fma_f64 v[181:182], v[4:5], v[10:11], v[181:182]
	v_fma_f64 v[187:188], v[2:3], v[10:11], -v[12:13]
	ds_load_b128 v[2:5], v1 offset:1552
	scratch_load_b128 v[10:13], off, off offset:704
	v_add_f64_e32 v[175:176], v[175:176], v[183:184]
	v_add_f64_e32 v[177:178], v[179:180], v[177:178]
	v_fma_f64 v[183:184], v[8:9], v[14:15], v[185:186]
	v_fma_f64 v[185:186], v[6:7], v[14:15], -v[16:17]
	ds_load_b128 v[6:9], v1 offset:1568
	scratch_load_b128 v[14:17], off, off offset:720
	s_wait_loadcnt_dscnt 0x901
	v_mul_f64_e32 v[179:180], v[2:3], v[20:21]
	v_mul_f64_e32 v[20:21], v[4:5], v[20:21]
	v_add_f64_e32 v[175:176], v[175:176], v[187:188]
	v_add_f64_e32 v[177:178], v[177:178], v[181:182]
	s_wait_loadcnt_dscnt 0x800
	v_mul_f64_e32 v[181:182], v[6:7], v[24:25]
	v_mul_f64_e32 v[24:25], v[8:9], v[24:25]
	v_fma_f64 v[179:180], v[4:5], v[18:19], v[179:180]
	v_fma_f64 v[187:188], v[2:3], v[18:19], -v[20:21]
	ds_load_b128 v[2:5], v1 offset:1584
	scratch_load_b128 v[18:21], off, off offset:736
	v_add_f64_e32 v[175:176], v[175:176], v[185:186]
	v_add_f64_e32 v[177:178], v[177:178], v[183:184]
	v_fma_f64 v[181:182], v[8:9], v[22:23], v[181:182]
	v_fma_f64 v[185:186], v[6:7], v[22:23], -v[24:25]
	ds_load_b128 v[6:9], v1 offset:1600
	s_wait_loadcnt_dscnt 0x801
	v_mul_f64_e32 v[183:184], v[2:3], v[28:29]
	v_mul_f64_e32 v[28:29], v[4:5], v[28:29]
	scratch_load_b128 v[22:25], off, off offset:752
	v_add_f64_e32 v[175:176], v[175:176], v[187:188]
	v_add_f64_e32 v[177:178], v[177:178], v[179:180]
	s_wait_loadcnt_dscnt 0x800
	v_mul_f64_e32 v[179:180], v[6:7], v[32:33]
	v_mul_f64_e32 v[32:33], v[8:9], v[32:33]
	v_fma_f64 v[183:184], v[4:5], v[26:27], v[183:184]
	v_fma_f64 v[187:188], v[2:3], v[26:27], -v[28:29]
	ds_load_b128 v[2:5], v1 offset:1616
	scratch_load_b128 v[26:29], off, off offset:768
	v_add_f64_e32 v[175:176], v[175:176], v[185:186]
	v_add_f64_e32 v[177:178], v[177:178], v[181:182]
	v_fma_f64 v[179:180], v[8:9], v[30:31], v[179:180]
	v_fma_f64 v[185:186], v[6:7], v[30:31], -v[32:33]
	ds_load_b128 v[6:9], v1 offset:1632
	s_wait_loadcnt_dscnt 0x801
	v_mul_f64_e32 v[181:182], v[2:3], v[40:41]
	v_mul_f64_e32 v[40:41], v[4:5], v[40:41]
	scratch_load_b128 v[30:33], off, off offset:784
	v_add_f64_e32 v[175:176], v[175:176], v[187:188]
	v_add_f64_e32 v[177:178], v[177:178], v[183:184]
	s_wait_loadcnt_dscnt 0x800
	v_mul_f64_e32 v[183:184], v[6:7], v[173:174]
	v_mul_f64_e32 v[173:174], v[8:9], v[173:174]
	v_fma_f64 v[181:182], v[4:5], v[38:39], v[181:182]
	v_fma_f64 v[187:188], v[2:3], v[38:39], -v[40:41]
	ds_load_b128 v[2:5], v1 offset:1648
	scratch_load_b128 v[38:41], off, off offset:800
	v_add_f64_e32 v[175:176], v[175:176], v[185:186]
	v_add_f64_e32 v[177:178], v[177:178], v[179:180]
	v_fma_f64 v[183:184], v[8:9], v[171:172], v[183:184]
	v_fma_f64 v[185:186], v[6:7], v[171:172], -v[173:174]
	ds_load_b128 v[6:9], v1 offset:1664
	scratch_load_b128 v[171:174], off, off offset:816
	s_wait_loadcnt_dscnt 0x901
	v_mul_f64_e32 v[179:180], v[2:3], v[36:37]
	v_mul_f64_e32 v[36:37], v[4:5], v[36:37]
	v_add_f64_e32 v[175:176], v[175:176], v[187:188]
	v_add_f64_e32 v[177:178], v[177:178], v[181:182]
	s_wait_loadcnt_dscnt 0x800
	v_mul_f64_e32 v[181:182], v[6:7], v[169:170]
	v_mul_f64_e32 v[169:170], v[8:9], v[169:170]
	v_fma_f64 v[179:180], v[4:5], v[34:35], v[179:180]
	v_fma_f64 v[187:188], v[2:3], v[34:35], -v[36:37]
	ds_load_b128 v[2:5], v1 offset:1680
	scratch_load_b128 v[34:37], off, off offset:832
	v_add_f64_e32 v[175:176], v[175:176], v[185:186]
	v_add_f64_e32 v[177:178], v[177:178], v[183:184]
	v_fma_f64 v[181:182], v[8:9], v[167:168], v[181:182]
	v_fma_f64 v[185:186], v[6:7], v[167:168], -v[169:170]
	ds_load_b128 v[6:9], v1 offset:1696
	s_wait_loadcnt_dscnt 0x801
	v_mul_f64_e32 v[183:184], v[2:3], v[12:13]
	v_mul_f64_e32 v[12:13], v[4:5], v[12:13]
	scratch_load_b128 v[167:170], off, off offset:848
	v_add_f64_e32 v[175:176], v[175:176], v[187:188]
	v_add_f64_e32 v[177:178], v[177:178], v[179:180]
	s_wait_loadcnt_dscnt 0x800
	v_mul_f64_e32 v[179:180], v[6:7], v[16:17]
	v_mul_f64_e32 v[16:17], v[8:9], v[16:17]
	v_fma_f64 v[183:184], v[4:5], v[10:11], v[183:184]
	v_fma_f64 v[187:188], v[2:3], v[10:11], -v[12:13]
	ds_load_b128 v[2:5], v1 offset:1712
	scratch_load_b128 v[10:13], off, off offset:864
	v_add_f64_e32 v[175:176], v[175:176], v[185:186]
	v_add_f64_e32 v[177:178], v[177:178], v[181:182]
	v_fma_f64 v[179:180], v[8:9], v[14:15], v[179:180]
	v_fma_f64 v[185:186], v[6:7], v[14:15], -v[16:17]
	ds_load_b128 v[6:9], v1 offset:1728
	s_wait_loadcnt_dscnt 0x801
	v_mul_f64_e32 v[181:182], v[2:3], v[20:21]
	v_mul_f64_e32 v[20:21], v[4:5], v[20:21]
	scratch_load_b128 v[14:17], off, off offset:880
	v_add_f64_e32 v[175:176], v[175:176], v[187:188]
	v_add_f64_e32 v[177:178], v[177:178], v[183:184]
	s_wait_loadcnt_dscnt 0x800
	v_mul_f64_e32 v[183:184], v[6:7], v[24:25]
	v_mul_f64_e32 v[24:25], v[8:9], v[24:25]
	v_fma_f64 v[181:182], v[4:5], v[18:19], v[181:182]
	v_fma_f64 v[187:188], v[2:3], v[18:19], -v[20:21]
	ds_load_b128 v[2:5], v1 offset:1744
	scratch_load_b128 v[18:21], off, off offset:896
	v_add_f64_e32 v[175:176], v[175:176], v[185:186]
	v_add_f64_e32 v[177:178], v[177:178], v[179:180]
	v_fma_f64 v[183:184], v[8:9], v[22:23], v[183:184]
	v_fma_f64 v[185:186], v[6:7], v[22:23], -v[24:25]
	ds_load_b128 v[6:9], v1 offset:1760
	s_wait_loadcnt_dscnt 0x801
	v_mul_f64_e32 v[179:180], v[2:3], v[28:29]
	v_mul_f64_e32 v[28:29], v[4:5], v[28:29]
	scratch_load_b128 v[22:25], off, off offset:912
	v_add_f64_e32 v[175:176], v[175:176], v[187:188]
	v_add_f64_e32 v[177:178], v[177:178], v[181:182]
	s_wait_loadcnt_dscnt 0x800
	v_mul_f64_e32 v[181:182], v[6:7], v[32:33]
	v_mul_f64_e32 v[32:33], v[8:9], v[32:33]
	v_fma_f64 v[179:180], v[4:5], v[26:27], v[179:180]
	v_fma_f64 v[187:188], v[2:3], v[26:27], -v[28:29]
	ds_load_b128 v[2:5], v1 offset:1776
	scratch_load_b128 v[26:29], off, off offset:928
	v_add_f64_e32 v[175:176], v[175:176], v[185:186]
	v_add_f64_e32 v[177:178], v[177:178], v[183:184]
	v_fma_f64 v[181:182], v[8:9], v[30:31], v[181:182]
	v_fma_f64 v[185:186], v[6:7], v[30:31], -v[32:33]
	ds_load_b128 v[6:9], v1 offset:1792
	s_wait_loadcnt_dscnt 0x801
	v_mul_f64_e32 v[183:184], v[2:3], v[40:41]
	v_mul_f64_e32 v[40:41], v[4:5], v[40:41]
	scratch_load_b128 v[30:33], off, off offset:944
	v_add_f64_e32 v[175:176], v[175:176], v[187:188]
	v_add_f64_e32 v[177:178], v[177:178], v[179:180]
	s_wait_loadcnt_dscnt 0x800
	v_mul_f64_e32 v[179:180], v[6:7], v[173:174]
	v_mul_f64_e32 v[173:174], v[8:9], v[173:174]
	v_fma_f64 v[183:184], v[4:5], v[38:39], v[183:184]
	v_fma_f64 v[187:188], v[2:3], v[38:39], -v[40:41]
	ds_load_b128 v[2:5], v1 offset:1808
	scratch_load_b128 v[38:41], off, off offset:960
	v_add_f64_e32 v[175:176], v[175:176], v[185:186]
	v_add_f64_e32 v[177:178], v[177:178], v[181:182]
	v_fma_f64 v[179:180], v[8:9], v[171:172], v[179:180]
	v_fma_f64 v[185:186], v[6:7], v[171:172], -v[173:174]
	ds_load_b128 v[6:9], v1 offset:1824
	s_wait_loadcnt_dscnt 0x801
	v_mul_f64_e32 v[181:182], v[2:3], v[36:37]
	v_mul_f64_e32 v[36:37], v[4:5], v[36:37]
	scratch_load_b128 v[171:174], off, off offset:976
	v_add_f64_e32 v[175:176], v[175:176], v[187:188]
	v_add_f64_e32 v[177:178], v[177:178], v[183:184]
	s_wait_loadcnt_dscnt 0x800
	v_mul_f64_e32 v[183:184], v[6:7], v[169:170]
	v_mul_f64_e32 v[169:170], v[8:9], v[169:170]
	v_fma_f64 v[181:182], v[4:5], v[34:35], v[181:182]
	v_fma_f64 v[187:188], v[2:3], v[34:35], -v[36:37]
	ds_load_b128 v[2:5], v1 offset:1840
	scratch_load_b128 v[34:37], off, off offset:992
	v_add_f64_e32 v[175:176], v[175:176], v[185:186]
	v_add_f64_e32 v[177:178], v[177:178], v[179:180]
	v_fma_f64 v[183:184], v[8:9], v[167:168], v[183:184]
	v_fma_f64 v[167:168], v[6:7], v[167:168], -v[169:170]
	ds_load_b128 v[6:9], v1 offset:1856
	s_wait_loadcnt_dscnt 0x801
	v_mul_f64_e32 v[179:180], v[2:3], v[12:13]
	v_mul_f64_e32 v[12:13], v[4:5], v[12:13]
	v_add_f64_e32 v[169:170], v[175:176], v[187:188]
	v_add_f64_e32 v[175:176], v[177:178], v[181:182]
	s_wait_loadcnt_dscnt 0x700
	v_mul_f64_e32 v[177:178], v[6:7], v[16:17]
	v_mul_f64_e32 v[16:17], v[8:9], v[16:17]
	v_fma_f64 v[179:180], v[4:5], v[10:11], v[179:180]
	v_fma_f64 v[10:11], v[2:3], v[10:11], -v[12:13]
	ds_load_b128 v[2:5], v1 offset:1872
	v_add_f64_e32 v[12:13], v[169:170], v[167:168]
	v_add_f64_e32 v[167:168], v[175:176], v[183:184]
	v_fma_f64 v[175:176], v[8:9], v[14:15], v[177:178]
	v_fma_f64 v[14:15], v[6:7], v[14:15], -v[16:17]
	ds_load_b128 v[6:9], v1 offset:1888
	s_wait_loadcnt_dscnt 0x500
	v_mul_f64_e32 v[177:178], v[6:7], v[24:25]
	v_mul_f64_e32 v[24:25], v[8:9], v[24:25]
	v_add_f64_e32 v[16:17], v[12:13], v[10:11]
	v_add_f64_e32 v[167:168], v[167:168], v[179:180]
	scratch_load_b128 v[10:13], off, off offset:496
	v_mul_f64_e32 v[169:170], v[2:3], v[20:21]
	v_mul_f64_e32 v[20:21], v[4:5], v[20:21]
	v_add_f64_e32 v[14:15], v[16:17], v[14:15]
	v_add_f64_e32 v[16:17], v[167:168], v[175:176]
	v_fma_f64 v[167:168], v[8:9], v[22:23], v[177:178]
	v_fma_f64 v[169:170], v[4:5], v[18:19], v[169:170]
	v_fma_f64 v[18:19], v[2:3], v[18:19], -v[20:21]
	ds_load_b128 v[2:5], v1 offset:1904
	v_fma_f64 v[22:23], v[6:7], v[22:23], -v[24:25]
	ds_load_b128 v[6:9], v1 offset:1920
	s_wait_loadcnt_dscnt 0x501
	v_mul_f64_e32 v[20:21], v[2:3], v[28:29]
	v_mul_f64_e32 v[28:29], v[4:5], v[28:29]
	s_wait_loadcnt_dscnt 0x400
	v_mul_f64_e32 v[24:25], v[8:9], v[32:33]
	v_add_f64_e32 v[16:17], v[16:17], v[169:170]
	v_add_f64_e32 v[14:15], v[14:15], v[18:19]
	v_mul_f64_e32 v[18:19], v[6:7], v[32:33]
	v_fma_f64 v[20:21], v[4:5], v[26:27], v[20:21]
	v_fma_f64 v[26:27], v[2:3], v[26:27], -v[28:29]
	ds_load_b128 v[2:5], v1 offset:1936
	v_fma_f64 v[24:25], v[6:7], v[30:31], -v[24:25]
	v_add_f64_e32 v[16:17], v[16:17], v[167:168]
	v_add_f64_e32 v[14:15], v[14:15], v[22:23]
	v_fma_f64 v[18:19], v[8:9], v[30:31], v[18:19]
	ds_load_b128 v[6:9], v1 offset:1952
	s_wait_loadcnt_dscnt 0x301
	v_mul_f64_e32 v[22:23], v[2:3], v[40:41]
	v_mul_f64_e32 v[28:29], v[4:5], v[40:41]
	v_add_f64_e32 v[16:17], v[16:17], v[20:21]
	v_add_f64_e32 v[14:15], v[14:15], v[26:27]
	s_wait_loadcnt_dscnt 0x200
	v_mul_f64_e32 v[20:21], v[6:7], v[173:174]
	v_mul_f64_e32 v[26:27], v[8:9], v[173:174]
	v_fma_f64 v[22:23], v[4:5], v[38:39], v[22:23]
	v_fma_f64 v[28:29], v[2:3], v[38:39], -v[28:29]
	ds_load_b128 v[2:5], v1 offset:1968
	v_add_f64_e32 v[16:17], v[16:17], v[18:19]
	v_add_f64_e32 v[14:15], v[14:15], v[24:25]
	s_wait_loadcnt_dscnt 0x100
	v_mul_f64_e32 v[18:19], v[2:3], v[36:37]
	v_mul_f64_e32 v[24:25], v[4:5], v[36:37]
	v_fma_f64 v[8:9], v[8:9], v[171:172], v[20:21]
	v_fma_f64 v[6:7], v[6:7], v[171:172], -v[26:27]
	v_add_f64_e32 v[16:17], v[16:17], v[22:23]
	v_add_f64_e32 v[14:15], v[14:15], v[28:29]
	v_fma_f64 v[4:5], v[4:5], v[34:35], v[18:19]
	v_fma_f64 v[2:3], v[2:3], v[34:35], -v[24:25]
	s_delay_alu instid0(VALU_DEP_4) | instskip(NEXT) | instid1(VALU_DEP_4)
	v_add_f64_e32 v[8:9], v[16:17], v[8:9]
	v_add_f64_e32 v[6:7], v[14:15], v[6:7]
	s_delay_alu instid0(VALU_DEP_2) | instskip(NEXT) | instid1(VALU_DEP_2)
	v_add_f64_e32 v[4:5], v[8:9], v[4:5]
	v_add_f64_e32 v[2:3], v[6:7], v[2:3]
	s_wait_loadcnt 0x0
	s_delay_alu instid0(VALU_DEP_2) | instskip(NEXT) | instid1(VALU_DEP_2)
	v_add_f64_e64 v[4:5], v[12:13], -v[4:5]
	v_add_f64_e64 v[2:3], v[10:11], -v[2:3]
	scratch_store_b128 off, v[2:5], off offset:496
	v_cmpx_lt_u32_e32 29, v0
	s_cbranch_execz .LBB125_339
; %bb.338:
	scratch_load_b128 v[5:8], off, s48
	v_dual_mov_b32 v2, v1 :: v_dual_mov_b32 v3, v1
	v_mov_b32_e32 v4, v1
	scratch_store_b128 off, v[1:4], off offset:480
	s_wait_loadcnt 0x0
	ds_store_b128 v166, v[5:8]
.LBB125_339:
	s_wait_alu 0xfffe
	s_or_b32 exec_lo, exec_lo, s0
	s_wait_storecnt_dscnt 0x0
	s_barrier_signal -1
	s_barrier_wait -1
	global_inv scope:SCOPE_SE
	s_clause 0x7
	scratch_load_b128 v[2:5], off, off offset:496
	scratch_load_b128 v[6:9], off, off offset:512
	scratch_load_b128 v[10:13], off, off offset:528
	scratch_load_b128 v[14:17], off, off offset:544
	scratch_load_b128 v[18:21], off, off offset:560
	scratch_load_b128 v[22:25], off, off offset:576
	scratch_load_b128 v[26:29], off, off offset:592
	scratch_load_b128 v[30:33], off, off offset:608
	ds_load_b128 v[34:37], v1 offset:1472
	ds_load_b128 v[167:170], v1 offset:1488
	s_clause 0x1
	scratch_load_b128 v[38:41], off, off offset:624
	scratch_load_b128 v[171:174], off, off offset:640
	s_mov_b32 s0, exec_lo
	s_wait_loadcnt_dscnt 0x901
	v_mul_f64_e32 v[175:176], v[36:37], v[4:5]
	v_mul_f64_e32 v[4:5], v[34:35], v[4:5]
	s_wait_loadcnt_dscnt 0x800
	v_mul_f64_e32 v[177:178], v[167:168], v[8:9]
	v_mul_f64_e32 v[8:9], v[169:170], v[8:9]
	s_delay_alu instid0(VALU_DEP_4) | instskip(NEXT) | instid1(VALU_DEP_4)
	v_fma_f64 v[175:176], v[34:35], v[2:3], -v[175:176]
	v_fma_f64 v[179:180], v[36:37], v[2:3], v[4:5]
	ds_load_b128 v[2:5], v1 offset:1504
	scratch_load_b128 v[34:37], off, off offset:656
	v_fma_f64 v[177:178], v[169:170], v[6:7], v[177:178]
	v_fma_f64 v[183:184], v[167:168], v[6:7], -v[8:9]
	ds_load_b128 v[6:9], v1 offset:1520
	scratch_load_b128 v[167:170], off, off offset:672
	s_wait_loadcnt_dscnt 0x901
	v_mul_f64_e32 v[181:182], v[2:3], v[12:13]
	v_mul_f64_e32 v[12:13], v[4:5], v[12:13]
	s_wait_loadcnt_dscnt 0x800
	v_mul_f64_e32 v[185:186], v[6:7], v[16:17]
	v_mul_f64_e32 v[16:17], v[8:9], v[16:17]
	v_add_f64_e32 v[175:176], 0, v[175:176]
	v_add_f64_e32 v[179:180], 0, v[179:180]
	v_fma_f64 v[181:182], v[4:5], v[10:11], v[181:182]
	v_fma_f64 v[187:188], v[2:3], v[10:11], -v[12:13]
	ds_load_b128 v[2:5], v1 offset:1536
	scratch_load_b128 v[10:13], off, off offset:688
	v_add_f64_e32 v[175:176], v[175:176], v[183:184]
	v_add_f64_e32 v[177:178], v[179:180], v[177:178]
	v_fma_f64 v[183:184], v[8:9], v[14:15], v[185:186]
	v_fma_f64 v[185:186], v[6:7], v[14:15], -v[16:17]
	ds_load_b128 v[6:9], v1 offset:1552
	scratch_load_b128 v[14:17], off, off offset:704
	s_wait_loadcnt_dscnt 0x901
	v_mul_f64_e32 v[179:180], v[2:3], v[20:21]
	v_mul_f64_e32 v[20:21], v[4:5], v[20:21]
	v_add_f64_e32 v[175:176], v[175:176], v[187:188]
	v_add_f64_e32 v[177:178], v[177:178], v[181:182]
	s_wait_loadcnt_dscnt 0x800
	v_mul_f64_e32 v[181:182], v[6:7], v[24:25]
	v_mul_f64_e32 v[24:25], v[8:9], v[24:25]
	v_fma_f64 v[179:180], v[4:5], v[18:19], v[179:180]
	v_fma_f64 v[187:188], v[2:3], v[18:19], -v[20:21]
	ds_load_b128 v[2:5], v1 offset:1568
	scratch_load_b128 v[18:21], off, off offset:720
	v_add_f64_e32 v[175:176], v[175:176], v[185:186]
	v_add_f64_e32 v[177:178], v[177:178], v[183:184]
	v_fma_f64 v[181:182], v[8:9], v[22:23], v[181:182]
	v_fma_f64 v[185:186], v[6:7], v[22:23], -v[24:25]
	ds_load_b128 v[6:9], v1 offset:1584
	s_wait_loadcnt_dscnt 0x801
	v_mul_f64_e32 v[183:184], v[2:3], v[28:29]
	v_mul_f64_e32 v[28:29], v[4:5], v[28:29]
	scratch_load_b128 v[22:25], off, off offset:736
	v_add_f64_e32 v[175:176], v[175:176], v[187:188]
	v_add_f64_e32 v[177:178], v[177:178], v[179:180]
	s_wait_loadcnt_dscnt 0x800
	v_mul_f64_e32 v[179:180], v[6:7], v[32:33]
	v_mul_f64_e32 v[32:33], v[8:9], v[32:33]
	v_fma_f64 v[183:184], v[4:5], v[26:27], v[183:184]
	v_fma_f64 v[187:188], v[2:3], v[26:27], -v[28:29]
	ds_load_b128 v[2:5], v1 offset:1600
	scratch_load_b128 v[26:29], off, off offset:752
	v_add_f64_e32 v[175:176], v[175:176], v[185:186]
	v_add_f64_e32 v[177:178], v[177:178], v[181:182]
	v_fma_f64 v[179:180], v[8:9], v[30:31], v[179:180]
	v_fma_f64 v[185:186], v[6:7], v[30:31], -v[32:33]
	ds_load_b128 v[6:9], v1 offset:1616
	s_wait_loadcnt_dscnt 0x801
	v_mul_f64_e32 v[181:182], v[2:3], v[40:41]
	v_mul_f64_e32 v[40:41], v[4:5], v[40:41]
	scratch_load_b128 v[30:33], off, off offset:768
	v_add_f64_e32 v[175:176], v[175:176], v[187:188]
	v_add_f64_e32 v[177:178], v[177:178], v[183:184]
	s_wait_loadcnt_dscnt 0x800
	v_mul_f64_e32 v[183:184], v[6:7], v[173:174]
	v_mul_f64_e32 v[173:174], v[8:9], v[173:174]
	v_fma_f64 v[181:182], v[4:5], v[38:39], v[181:182]
	v_fma_f64 v[187:188], v[2:3], v[38:39], -v[40:41]
	ds_load_b128 v[2:5], v1 offset:1632
	scratch_load_b128 v[38:41], off, off offset:784
	v_add_f64_e32 v[175:176], v[175:176], v[185:186]
	v_add_f64_e32 v[177:178], v[177:178], v[179:180]
	v_fma_f64 v[183:184], v[8:9], v[171:172], v[183:184]
	v_fma_f64 v[185:186], v[6:7], v[171:172], -v[173:174]
	ds_load_b128 v[6:9], v1 offset:1648
	scratch_load_b128 v[171:174], off, off offset:800
	s_wait_loadcnt_dscnt 0x901
	v_mul_f64_e32 v[179:180], v[2:3], v[36:37]
	v_mul_f64_e32 v[36:37], v[4:5], v[36:37]
	v_add_f64_e32 v[175:176], v[175:176], v[187:188]
	v_add_f64_e32 v[177:178], v[177:178], v[181:182]
	s_wait_loadcnt_dscnt 0x800
	v_mul_f64_e32 v[181:182], v[6:7], v[169:170]
	v_mul_f64_e32 v[169:170], v[8:9], v[169:170]
	v_fma_f64 v[179:180], v[4:5], v[34:35], v[179:180]
	v_fma_f64 v[187:188], v[2:3], v[34:35], -v[36:37]
	ds_load_b128 v[2:5], v1 offset:1664
	scratch_load_b128 v[34:37], off, off offset:816
	v_add_f64_e32 v[175:176], v[175:176], v[185:186]
	v_add_f64_e32 v[177:178], v[177:178], v[183:184]
	v_fma_f64 v[181:182], v[8:9], v[167:168], v[181:182]
	v_fma_f64 v[185:186], v[6:7], v[167:168], -v[169:170]
	ds_load_b128 v[6:9], v1 offset:1680
	s_wait_loadcnt_dscnt 0x801
	v_mul_f64_e32 v[183:184], v[2:3], v[12:13]
	v_mul_f64_e32 v[12:13], v[4:5], v[12:13]
	scratch_load_b128 v[167:170], off, off offset:832
	v_add_f64_e32 v[175:176], v[175:176], v[187:188]
	v_add_f64_e32 v[177:178], v[177:178], v[179:180]
	s_wait_loadcnt_dscnt 0x800
	v_mul_f64_e32 v[179:180], v[6:7], v[16:17]
	v_mul_f64_e32 v[16:17], v[8:9], v[16:17]
	v_fma_f64 v[183:184], v[4:5], v[10:11], v[183:184]
	v_fma_f64 v[187:188], v[2:3], v[10:11], -v[12:13]
	ds_load_b128 v[2:5], v1 offset:1696
	scratch_load_b128 v[10:13], off, off offset:848
	v_add_f64_e32 v[175:176], v[175:176], v[185:186]
	v_add_f64_e32 v[177:178], v[177:178], v[181:182]
	v_fma_f64 v[179:180], v[8:9], v[14:15], v[179:180]
	v_fma_f64 v[185:186], v[6:7], v[14:15], -v[16:17]
	ds_load_b128 v[6:9], v1 offset:1712
	s_wait_loadcnt_dscnt 0x801
	v_mul_f64_e32 v[181:182], v[2:3], v[20:21]
	v_mul_f64_e32 v[20:21], v[4:5], v[20:21]
	scratch_load_b128 v[14:17], off, off offset:864
	;; [unrolled: 18-line block ×6, first 2 shown]
	v_add_f64_e32 v[175:176], v[175:176], v[187:188]
	v_add_f64_e32 v[177:178], v[177:178], v[181:182]
	s_wait_loadcnt_dscnt 0x800
	v_mul_f64_e32 v[181:182], v[6:7], v[16:17]
	v_mul_f64_e32 v[16:17], v[8:9], v[16:17]
	v_fma_f64 v[179:180], v[4:5], v[10:11], v[179:180]
	v_fma_f64 v[10:11], v[2:3], v[10:11], -v[12:13]
	ds_load_b128 v[2:5], v1 offset:1856
	v_add_f64_e32 v[12:13], v[175:176], v[185:186]
	v_add_f64_e32 v[175:176], v[177:178], v[183:184]
	v_fma_f64 v[181:182], v[8:9], v[14:15], v[181:182]
	v_fma_f64 v[14:15], v[6:7], v[14:15], -v[16:17]
	ds_load_b128 v[6:9], v1 offset:1872
	s_wait_loadcnt_dscnt 0x701
	v_mul_f64_e32 v[177:178], v[2:3], v[20:21]
	v_mul_f64_e32 v[20:21], v[4:5], v[20:21]
	v_add_f64_e32 v[10:11], v[12:13], v[10:11]
	v_add_f64_e32 v[12:13], v[175:176], v[179:180]
	s_delay_alu instid0(VALU_DEP_4) | instskip(NEXT) | instid1(VALU_DEP_4)
	v_fma_f64 v[175:176], v[4:5], v[18:19], v[177:178]
	v_fma_f64 v[18:19], v[2:3], v[18:19], -v[20:21]
	ds_load_b128 v[2:5], v1 offset:1888
	v_add_f64_e32 v[14:15], v[10:11], v[14:15]
	v_add_f64_e32 v[20:21], v[12:13], v[181:182]
	scratch_load_b128 v[10:13], off, off offset:480
	s_wait_loadcnt_dscnt 0x701
	v_mul_f64_e32 v[16:17], v[6:7], v[24:25]
	v_mul_f64_e32 v[24:25], v[8:9], v[24:25]
	v_add_f64_e32 v[14:15], v[14:15], v[18:19]
	v_add_f64_e32 v[18:19], v[20:21], v[175:176]
	s_delay_alu instid0(VALU_DEP_4) | instskip(NEXT) | instid1(VALU_DEP_4)
	v_fma_f64 v[16:17], v[8:9], v[22:23], v[16:17]
	v_fma_f64 v[22:23], v[6:7], v[22:23], -v[24:25]
	ds_load_b128 v[6:9], v1 offset:1904
	s_wait_loadcnt_dscnt 0x601
	v_mul_f64_e32 v[177:178], v[2:3], v[28:29]
	v_mul_f64_e32 v[28:29], v[4:5], v[28:29]
	s_wait_loadcnt_dscnt 0x500
	v_mul_f64_e32 v[20:21], v[6:7], v[32:33]
	v_mul_f64_e32 v[24:25], v[8:9], v[32:33]
	v_add_f64_e32 v[16:17], v[18:19], v[16:17]
	v_add_f64_e32 v[14:15], v[14:15], v[22:23]
	v_fma_f64 v[32:33], v[4:5], v[26:27], v[177:178]
	v_fma_f64 v[26:27], v[2:3], v[26:27], -v[28:29]
	ds_load_b128 v[2:5], v1 offset:1920
	v_fma_f64 v[20:21], v[8:9], v[30:31], v[20:21]
	v_fma_f64 v[24:25], v[6:7], v[30:31], -v[24:25]
	ds_load_b128 v[6:9], v1 offset:1936
	s_wait_loadcnt_dscnt 0x401
	v_mul_f64_e32 v[18:19], v[2:3], v[40:41]
	v_mul_f64_e32 v[22:23], v[4:5], v[40:41]
	v_add_f64_e32 v[16:17], v[16:17], v[32:33]
	v_add_f64_e32 v[14:15], v[14:15], v[26:27]
	s_wait_loadcnt_dscnt 0x300
	v_mul_f64_e32 v[26:27], v[6:7], v[173:174]
	v_mul_f64_e32 v[28:29], v[8:9], v[173:174]
	v_fma_f64 v[18:19], v[4:5], v[38:39], v[18:19]
	v_fma_f64 v[22:23], v[2:3], v[38:39], -v[22:23]
	ds_load_b128 v[2:5], v1 offset:1952
	v_add_f64_e32 v[16:17], v[16:17], v[20:21]
	v_add_f64_e32 v[14:15], v[14:15], v[24:25]
	v_fma_f64 v[26:27], v[8:9], v[171:172], v[26:27]
	v_fma_f64 v[28:29], v[6:7], v[171:172], -v[28:29]
	ds_load_b128 v[6:9], v1 offset:1968
	s_wait_loadcnt_dscnt 0x201
	v_mul_f64_e32 v[20:21], v[2:3], v[36:37]
	v_mul_f64_e32 v[24:25], v[4:5], v[36:37]
	v_add_f64_e32 v[16:17], v[16:17], v[18:19]
	v_add_f64_e32 v[14:15], v[14:15], v[22:23]
	s_wait_loadcnt_dscnt 0x100
	v_mul_f64_e32 v[18:19], v[6:7], v[169:170]
	v_mul_f64_e32 v[22:23], v[8:9], v[169:170]
	v_fma_f64 v[4:5], v[4:5], v[34:35], v[20:21]
	v_fma_f64 v[1:2], v[2:3], v[34:35], -v[24:25]
	v_add_f64_e32 v[16:17], v[16:17], v[26:27]
	v_add_f64_e32 v[14:15], v[14:15], v[28:29]
	v_fma_f64 v[8:9], v[8:9], v[167:168], v[18:19]
	v_fma_f64 v[6:7], v[6:7], v[167:168], -v[22:23]
	s_delay_alu instid0(VALU_DEP_4) | instskip(NEXT) | instid1(VALU_DEP_4)
	v_add_f64_e32 v[3:4], v[16:17], v[4:5]
	v_add_f64_e32 v[1:2], v[14:15], v[1:2]
	s_delay_alu instid0(VALU_DEP_2) | instskip(NEXT) | instid1(VALU_DEP_2)
	v_add_f64_e32 v[3:4], v[3:4], v[8:9]
	v_add_f64_e32 v[1:2], v[1:2], v[6:7]
	s_wait_loadcnt 0x0
	s_delay_alu instid0(VALU_DEP_2) | instskip(NEXT) | instid1(VALU_DEP_2)
	v_add_f64_e64 v[3:4], v[12:13], -v[3:4]
	v_add_f64_e64 v[1:2], v[10:11], -v[1:2]
	scratch_store_b128 off, v[1:4], off offset:480
	v_cmpx_lt_u32_e32 28, v0
	s_cbranch_execz .LBB125_341
; %bb.340:
	scratch_load_b128 v[1:4], off, s49
	v_mov_b32_e32 v5, 0
	s_delay_alu instid0(VALU_DEP_1)
	v_dual_mov_b32 v6, v5 :: v_dual_mov_b32 v7, v5
	v_mov_b32_e32 v8, v5
	scratch_store_b128 off, v[5:8], off offset:464
	s_wait_loadcnt 0x0
	ds_store_b128 v166, v[1:4]
.LBB125_341:
	s_wait_alu 0xfffe
	s_or_b32 exec_lo, exec_lo, s0
	s_wait_storecnt_dscnt 0x0
	s_barrier_signal -1
	s_barrier_wait -1
	global_inv scope:SCOPE_SE
	s_clause 0x7
	scratch_load_b128 v[2:5], off, off offset:480
	scratch_load_b128 v[6:9], off, off offset:496
	;; [unrolled: 1-line block ×8, first 2 shown]
	v_mov_b32_e32 v1, 0
	s_clause 0x1
	scratch_load_b128 v[38:41], off, off offset:608
	scratch_load_b128 v[171:174], off, off offset:624
	s_mov_b32 s0, exec_lo
	ds_load_b128 v[34:37], v1 offset:1456
	ds_load_b128 v[167:170], v1 offset:1472
	s_wait_loadcnt_dscnt 0x901
	v_mul_f64_e32 v[175:176], v[36:37], v[4:5]
	v_mul_f64_e32 v[4:5], v[34:35], v[4:5]
	s_wait_loadcnt_dscnt 0x800
	v_mul_f64_e32 v[177:178], v[167:168], v[8:9]
	v_mul_f64_e32 v[8:9], v[169:170], v[8:9]
	s_delay_alu instid0(VALU_DEP_4) | instskip(NEXT) | instid1(VALU_DEP_4)
	v_fma_f64 v[175:176], v[34:35], v[2:3], -v[175:176]
	v_fma_f64 v[179:180], v[36:37], v[2:3], v[4:5]
	ds_load_b128 v[2:5], v1 offset:1488
	scratch_load_b128 v[34:37], off, off offset:640
	v_fma_f64 v[177:178], v[169:170], v[6:7], v[177:178]
	v_fma_f64 v[183:184], v[167:168], v[6:7], -v[8:9]
	ds_load_b128 v[6:9], v1 offset:1504
	scratch_load_b128 v[167:170], off, off offset:656
	s_wait_loadcnt_dscnt 0x901
	v_mul_f64_e32 v[181:182], v[2:3], v[12:13]
	v_mul_f64_e32 v[12:13], v[4:5], v[12:13]
	s_wait_loadcnt_dscnt 0x800
	v_mul_f64_e32 v[185:186], v[6:7], v[16:17]
	v_mul_f64_e32 v[16:17], v[8:9], v[16:17]
	v_add_f64_e32 v[175:176], 0, v[175:176]
	v_add_f64_e32 v[179:180], 0, v[179:180]
	v_fma_f64 v[181:182], v[4:5], v[10:11], v[181:182]
	v_fma_f64 v[187:188], v[2:3], v[10:11], -v[12:13]
	ds_load_b128 v[2:5], v1 offset:1520
	scratch_load_b128 v[10:13], off, off offset:672
	v_add_f64_e32 v[175:176], v[175:176], v[183:184]
	v_add_f64_e32 v[177:178], v[179:180], v[177:178]
	v_fma_f64 v[183:184], v[8:9], v[14:15], v[185:186]
	v_fma_f64 v[185:186], v[6:7], v[14:15], -v[16:17]
	ds_load_b128 v[6:9], v1 offset:1536
	scratch_load_b128 v[14:17], off, off offset:688
	s_wait_loadcnt_dscnt 0x901
	v_mul_f64_e32 v[179:180], v[2:3], v[20:21]
	v_mul_f64_e32 v[20:21], v[4:5], v[20:21]
	v_add_f64_e32 v[175:176], v[175:176], v[187:188]
	v_add_f64_e32 v[177:178], v[177:178], v[181:182]
	s_wait_loadcnt_dscnt 0x800
	v_mul_f64_e32 v[181:182], v[6:7], v[24:25]
	v_mul_f64_e32 v[24:25], v[8:9], v[24:25]
	v_fma_f64 v[179:180], v[4:5], v[18:19], v[179:180]
	v_fma_f64 v[187:188], v[2:3], v[18:19], -v[20:21]
	ds_load_b128 v[2:5], v1 offset:1552
	scratch_load_b128 v[18:21], off, off offset:704
	v_add_f64_e32 v[175:176], v[175:176], v[185:186]
	v_add_f64_e32 v[177:178], v[177:178], v[183:184]
	v_fma_f64 v[181:182], v[8:9], v[22:23], v[181:182]
	v_fma_f64 v[185:186], v[6:7], v[22:23], -v[24:25]
	ds_load_b128 v[6:9], v1 offset:1568
	s_wait_loadcnt_dscnt 0x801
	v_mul_f64_e32 v[183:184], v[2:3], v[28:29]
	v_mul_f64_e32 v[28:29], v[4:5], v[28:29]
	scratch_load_b128 v[22:25], off, off offset:720
	v_add_f64_e32 v[175:176], v[175:176], v[187:188]
	v_add_f64_e32 v[177:178], v[177:178], v[179:180]
	s_wait_loadcnt_dscnt 0x800
	v_mul_f64_e32 v[179:180], v[6:7], v[32:33]
	v_mul_f64_e32 v[32:33], v[8:9], v[32:33]
	v_fma_f64 v[183:184], v[4:5], v[26:27], v[183:184]
	v_fma_f64 v[187:188], v[2:3], v[26:27], -v[28:29]
	ds_load_b128 v[2:5], v1 offset:1584
	scratch_load_b128 v[26:29], off, off offset:736
	v_add_f64_e32 v[175:176], v[175:176], v[185:186]
	v_add_f64_e32 v[177:178], v[177:178], v[181:182]
	v_fma_f64 v[179:180], v[8:9], v[30:31], v[179:180]
	v_fma_f64 v[185:186], v[6:7], v[30:31], -v[32:33]
	ds_load_b128 v[6:9], v1 offset:1600
	s_wait_loadcnt_dscnt 0x801
	v_mul_f64_e32 v[181:182], v[2:3], v[40:41]
	v_mul_f64_e32 v[40:41], v[4:5], v[40:41]
	scratch_load_b128 v[30:33], off, off offset:752
	v_add_f64_e32 v[175:176], v[175:176], v[187:188]
	v_add_f64_e32 v[177:178], v[177:178], v[183:184]
	s_wait_loadcnt_dscnt 0x800
	v_mul_f64_e32 v[183:184], v[6:7], v[173:174]
	v_mul_f64_e32 v[173:174], v[8:9], v[173:174]
	v_fma_f64 v[181:182], v[4:5], v[38:39], v[181:182]
	v_fma_f64 v[187:188], v[2:3], v[38:39], -v[40:41]
	ds_load_b128 v[2:5], v1 offset:1616
	scratch_load_b128 v[38:41], off, off offset:768
	v_add_f64_e32 v[175:176], v[175:176], v[185:186]
	v_add_f64_e32 v[177:178], v[177:178], v[179:180]
	v_fma_f64 v[183:184], v[8:9], v[171:172], v[183:184]
	v_fma_f64 v[185:186], v[6:7], v[171:172], -v[173:174]
	ds_load_b128 v[6:9], v1 offset:1632
	scratch_load_b128 v[171:174], off, off offset:784
	s_wait_loadcnt_dscnt 0x901
	v_mul_f64_e32 v[179:180], v[2:3], v[36:37]
	v_mul_f64_e32 v[36:37], v[4:5], v[36:37]
	v_add_f64_e32 v[175:176], v[175:176], v[187:188]
	v_add_f64_e32 v[177:178], v[177:178], v[181:182]
	s_wait_loadcnt_dscnt 0x800
	v_mul_f64_e32 v[181:182], v[6:7], v[169:170]
	v_mul_f64_e32 v[169:170], v[8:9], v[169:170]
	v_fma_f64 v[179:180], v[4:5], v[34:35], v[179:180]
	v_fma_f64 v[187:188], v[2:3], v[34:35], -v[36:37]
	ds_load_b128 v[2:5], v1 offset:1648
	scratch_load_b128 v[34:37], off, off offset:800
	v_add_f64_e32 v[175:176], v[175:176], v[185:186]
	v_add_f64_e32 v[177:178], v[177:178], v[183:184]
	v_fma_f64 v[181:182], v[8:9], v[167:168], v[181:182]
	v_fma_f64 v[185:186], v[6:7], v[167:168], -v[169:170]
	ds_load_b128 v[6:9], v1 offset:1664
	s_wait_loadcnt_dscnt 0x801
	v_mul_f64_e32 v[183:184], v[2:3], v[12:13]
	v_mul_f64_e32 v[12:13], v[4:5], v[12:13]
	scratch_load_b128 v[167:170], off, off offset:816
	v_add_f64_e32 v[175:176], v[175:176], v[187:188]
	v_add_f64_e32 v[177:178], v[177:178], v[179:180]
	s_wait_loadcnt_dscnt 0x800
	v_mul_f64_e32 v[179:180], v[6:7], v[16:17]
	v_mul_f64_e32 v[16:17], v[8:9], v[16:17]
	v_fma_f64 v[183:184], v[4:5], v[10:11], v[183:184]
	v_fma_f64 v[187:188], v[2:3], v[10:11], -v[12:13]
	ds_load_b128 v[2:5], v1 offset:1680
	scratch_load_b128 v[10:13], off, off offset:832
	v_add_f64_e32 v[175:176], v[175:176], v[185:186]
	v_add_f64_e32 v[177:178], v[177:178], v[181:182]
	v_fma_f64 v[179:180], v[8:9], v[14:15], v[179:180]
	v_fma_f64 v[185:186], v[6:7], v[14:15], -v[16:17]
	ds_load_b128 v[6:9], v1 offset:1696
	s_wait_loadcnt_dscnt 0x801
	v_mul_f64_e32 v[181:182], v[2:3], v[20:21]
	v_mul_f64_e32 v[20:21], v[4:5], v[20:21]
	scratch_load_b128 v[14:17], off, off offset:848
	;; [unrolled: 18-line block ×6, first 2 shown]
	v_add_f64_e32 v[175:176], v[175:176], v[187:188]
	v_add_f64_e32 v[177:178], v[177:178], v[181:182]
	s_wait_loadcnt_dscnt 0x800
	v_mul_f64_e32 v[181:182], v[6:7], v[16:17]
	v_mul_f64_e32 v[16:17], v[8:9], v[16:17]
	v_fma_f64 v[179:180], v[4:5], v[10:11], v[179:180]
	v_fma_f64 v[187:188], v[2:3], v[10:11], -v[12:13]
	ds_load_b128 v[2:5], v1 offset:1840
	scratch_load_b128 v[10:13], off, off offset:992
	v_add_f64_e32 v[175:176], v[175:176], v[185:186]
	v_add_f64_e32 v[177:178], v[177:178], v[183:184]
	v_fma_f64 v[181:182], v[8:9], v[14:15], v[181:182]
	v_fma_f64 v[14:15], v[6:7], v[14:15], -v[16:17]
	ds_load_b128 v[6:9], v1 offset:1856
	s_wait_loadcnt_dscnt 0x801
	v_mul_f64_e32 v[183:184], v[2:3], v[20:21]
	v_mul_f64_e32 v[20:21], v[4:5], v[20:21]
	v_add_f64_e32 v[16:17], v[175:176], v[187:188]
	v_add_f64_e32 v[175:176], v[177:178], v[179:180]
	s_wait_loadcnt_dscnt 0x700
	v_mul_f64_e32 v[177:178], v[6:7], v[24:25]
	v_mul_f64_e32 v[24:25], v[8:9], v[24:25]
	v_fma_f64 v[179:180], v[4:5], v[18:19], v[183:184]
	v_fma_f64 v[18:19], v[2:3], v[18:19], -v[20:21]
	ds_load_b128 v[2:5], v1 offset:1872
	v_add_f64_e32 v[14:15], v[16:17], v[14:15]
	v_add_f64_e32 v[16:17], v[175:176], v[181:182]
	v_fma_f64 v[175:176], v[8:9], v[22:23], v[177:178]
	v_fma_f64 v[22:23], v[6:7], v[22:23], -v[24:25]
	ds_load_b128 v[6:9], v1 offset:1888
	s_wait_loadcnt_dscnt 0x500
	v_mul_f64_e32 v[177:178], v[6:7], v[32:33]
	v_mul_f64_e32 v[32:33], v[8:9], v[32:33]
	v_add_f64_e32 v[18:19], v[14:15], v[18:19]
	v_add_f64_e32 v[24:25], v[16:17], v[179:180]
	scratch_load_b128 v[14:17], off, off offset:464
	v_mul_f64_e32 v[20:21], v[2:3], v[28:29]
	v_mul_f64_e32 v[28:29], v[4:5], v[28:29]
	v_add_f64_e32 v[18:19], v[18:19], v[22:23]
	v_add_f64_e32 v[22:23], v[24:25], v[175:176]
	s_delay_alu instid0(VALU_DEP_4) | instskip(NEXT) | instid1(VALU_DEP_4)
	v_fma_f64 v[20:21], v[4:5], v[26:27], v[20:21]
	v_fma_f64 v[26:27], v[2:3], v[26:27], -v[28:29]
	ds_load_b128 v[2:5], v1 offset:1904
	s_wait_loadcnt_dscnt 0x500
	v_mul_f64_e32 v[24:25], v[2:3], v[40:41]
	v_mul_f64_e32 v[28:29], v[4:5], v[40:41]
	v_fma_f64 v[40:41], v[8:9], v[30:31], v[177:178]
	v_fma_f64 v[30:31], v[6:7], v[30:31], -v[32:33]
	ds_load_b128 v[6:9], v1 offset:1920
	v_add_f64_e32 v[20:21], v[22:23], v[20:21]
	v_add_f64_e32 v[18:19], v[18:19], v[26:27]
	v_fma_f64 v[24:25], v[4:5], v[38:39], v[24:25]
	v_fma_f64 v[28:29], v[2:3], v[38:39], -v[28:29]
	ds_load_b128 v[2:5], v1 offset:1936
	s_wait_loadcnt_dscnt 0x401
	v_mul_f64_e32 v[22:23], v[6:7], v[173:174]
	v_mul_f64_e32 v[26:27], v[8:9], v[173:174]
	v_add_f64_e32 v[20:21], v[20:21], v[40:41]
	v_add_f64_e32 v[18:19], v[18:19], v[30:31]
	s_wait_loadcnt_dscnt 0x300
	v_mul_f64_e32 v[30:31], v[2:3], v[36:37]
	v_mul_f64_e32 v[32:33], v[4:5], v[36:37]
	v_fma_f64 v[22:23], v[8:9], v[171:172], v[22:23]
	v_fma_f64 v[26:27], v[6:7], v[171:172], -v[26:27]
	ds_load_b128 v[6:9], v1 offset:1952
	v_add_f64_e32 v[20:21], v[20:21], v[24:25]
	v_add_f64_e32 v[18:19], v[18:19], v[28:29]
	v_fma_f64 v[30:31], v[4:5], v[34:35], v[30:31]
	v_fma_f64 v[32:33], v[2:3], v[34:35], -v[32:33]
	ds_load_b128 v[2:5], v1 offset:1968
	s_wait_loadcnt_dscnt 0x201
	v_mul_f64_e32 v[24:25], v[6:7], v[169:170]
	v_mul_f64_e32 v[28:29], v[8:9], v[169:170]
	v_add_f64_e32 v[20:21], v[20:21], v[22:23]
	v_add_f64_e32 v[18:19], v[18:19], v[26:27]
	s_wait_loadcnt_dscnt 0x100
	v_mul_f64_e32 v[22:23], v[2:3], v[12:13]
	v_mul_f64_e32 v[12:13], v[4:5], v[12:13]
	v_fma_f64 v[8:9], v[8:9], v[167:168], v[24:25]
	v_fma_f64 v[6:7], v[6:7], v[167:168], -v[28:29]
	v_add_f64_e32 v[20:21], v[20:21], v[30:31]
	v_add_f64_e32 v[18:19], v[18:19], v[32:33]
	v_fma_f64 v[4:5], v[4:5], v[10:11], v[22:23]
	v_fma_f64 v[2:3], v[2:3], v[10:11], -v[12:13]
	s_delay_alu instid0(VALU_DEP_4) | instskip(NEXT) | instid1(VALU_DEP_4)
	v_add_f64_e32 v[8:9], v[20:21], v[8:9]
	v_add_f64_e32 v[6:7], v[18:19], v[6:7]
	s_delay_alu instid0(VALU_DEP_2) | instskip(NEXT) | instid1(VALU_DEP_2)
	v_add_f64_e32 v[4:5], v[8:9], v[4:5]
	v_add_f64_e32 v[2:3], v[6:7], v[2:3]
	s_wait_loadcnt 0x0
	s_delay_alu instid0(VALU_DEP_2) | instskip(NEXT) | instid1(VALU_DEP_2)
	v_add_f64_e64 v[4:5], v[16:17], -v[4:5]
	v_add_f64_e64 v[2:3], v[14:15], -v[2:3]
	scratch_store_b128 off, v[2:5], off offset:464
	v_cmpx_lt_u32_e32 27, v0
	s_cbranch_execz .LBB125_343
; %bb.342:
	scratch_load_b128 v[5:8], off, s50
	v_dual_mov_b32 v2, v1 :: v_dual_mov_b32 v3, v1
	v_mov_b32_e32 v4, v1
	scratch_store_b128 off, v[1:4], off offset:448
	s_wait_loadcnt 0x0
	ds_store_b128 v166, v[5:8]
.LBB125_343:
	s_wait_alu 0xfffe
	s_or_b32 exec_lo, exec_lo, s0
	s_wait_storecnt_dscnt 0x0
	s_barrier_signal -1
	s_barrier_wait -1
	global_inv scope:SCOPE_SE
	s_clause 0x7
	scratch_load_b128 v[2:5], off, off offset:464
	scratch_load_b128 v[6:9], off, off offset:480
	;; [unrolled: 1-line block ×8, first 2 shown]
	ds_load_b128 v[38:41], v1 offset:1440
	ds_load_b128 v[167:170], v1 offset:1456
	s_clause 0x1
	scratch_load_b128 v[34:37], off, off offset:592
	scratch_load_b128 v[171:174], off, off offset:608
	s_mov_b32 s0, exec_lo
	s_wait_loadcnt_dscnt 0x901
	v_mul_f64_e32 v[175:176], v[40:41], v[4:5]
	v_mul_f64_e32 v[4:5], v[38:39], v[4:5]
	s_wait_loadcnt_dscnt 0x800
	v_mul_f64_e32 v[177:178], v[167:168], v[8:9]
	v_mul_f64_e32 v[8:9], v[169:170], v[8:9]
	s_delay_alu instid0(VALU_DEP_4) | instskip(NEXT) | instid1(VALU_DEP_4)
	v_fma_f64 v[175:176], v[38:39], v[2:3], -v[175:176]
	v_fma_f64 v[179:180], v[40:41], v[2:3], v[4:5]
	ds_load_b128 v[2:5], v1 offset:1472
	scratch_load_b128 v[38:41], off, off offset:624
	v_fma_f64 v[177:178], v[169:170], v[6:7], v[177:178]
	v_fma_f64 v[183:184], v[167:168], v[6:7], -v[8:9]
	ds_load_b128 v[6:9], v1 offset:1488
	scratch_load_b128 v[167:170], off, off offset:640
	s_wait_loadcnt_dscnt 0x901
	v_mul_f64_e32 v[181:182], v[2:3], v[12:13]
	v_mul_f64_e32 v[12:13], v[4:5], v[12:13]
	s_wait_loadcnt_dscnt 0x800
	v_mul_f64_e32 v[185:186], v[6:7], v[16:17]
	v_mul_f64_e32 v[16:17], v[8:9], v[16:17]
	v_add_f64_e32 v[175:176], 0, v[175:176]
	v_add_f64_e32 v[179:180], 0, v[179:180]
	v_fma_f64 v[181:182], v[4:5], v[10:11], v[181:182]
	v_fma_f64 v[187:188], v[2:3], v[10:11], -v[12:13]
	ds_load_b128 v[2:5], v1 offset:1504
	scratch_load_b128 v[10:13], off, off offset:656
	v_add_f64_e32 v[175:176], v[175:176], v[183:184]
	v_add_f64_e32 v[177:178], v[179:180], v[177:178]
	v_fma_f64 v[183:184], v[8:9], v[14:15], v[185:186]
	v_fma_f64 v[185:186], v[6:7], v[14:15], -v[16:17]
	ds_load_b128 v[6:9], v1 offset:1520
	scratch_load_b128 v[14:17], off, off offset:672
	s_wait_loadcnt_dscnt 0x901
	v_mul_f64_e32 v[179:180], v[2:3], v[20:21]
	v_mul_f64_e32 v[20:21], v[4:5], v[20:21]
	v_add_f64_e32 v[175:176], v[175:176], v[187:188]
	v_add_f64_e32 v[177:178], v[177:178], v[181:182]
	s_wait_loadcnt_dscnt 0x800
	v_mul_f64_e32 v[181:182], v[6:7], v[24:25]
	v_mul_f64_e32 v[24:25], v[8:9], v[24:25]
	v_fma_f64 v[179:180], v[4:5], v[18:19], v[179:180]
	v_fma_f64 v[187:188], v[2:3], v[18:19], -v[20:21]
	ds_load_b128 v[2:5], v1 offset:1536
	scratch_load_b128 v[18:21], off, off offset:688
	v_add_f64_e32 v[175:176], v[175:176], v[185:186]
	v_add_f64_e32 v[177:178], v[177:178], v[183:184]
	v_fma_f64 v[181:182], v[8:9], v[22:23], v[181:182]
	v_fma_f64 v[185:186], v[6:7], v[22:23], -v[24:25]
	ds_load_b128 v[6:9], v1 offset:1552
	s_wait_loadcnt_dscnt 0x801
	v_mul_f64_e32 v[183:184], v[2:3], v[28:29]
	v_mul_f64_e32 v[28:29], v[4:5], v[28:29]
	scratch_load_b128 v[22:25], off, off offset:704
	v_add_f64_e32 v[175:176], v[175:176], v[187:188]
	v_add_f64_e32 v[177:178], v[177:178], v[179:180]
	s_wait_loadcnt_dscnt 0x800
	v_mul_f64_e32 v[179:180], v[6:7], v[32:33]
	v_mul_f64_e32 v[32:33], v[8:9], v[32:33]
	v_fma_f64 v[183:184], v[4:5], v[26:27], v[183:184]
	v_fma_f64 v[187:188], v[2:3], v[26:27], -v[28:29]
	ds_load_b128 v[2:5], v1 offset:1568
	scratch_load_b128 v[26:29], off, off offset:720
	v_add_f64_e32 v[175:176], v[175:176], v[185:186]
	v_add_f64_e32 v[177:178], v[177:178], v[181:182]
	v_fma_f64 v[179:180], v[8:9], v[30:31], v[179:180]
	v_fma_f64 v[185:186], v[6:7], v[30:31], -v[32:33]
	ds_load_b128 v[6:9], v1 offset:1584
	s_wait_loadcnt_dscnt 0x801
	v_mul_f64_e32 v[181:182], v[2:3], v[36:37]
	v_mul_f64_e32 v[36:37], v[4:5], v[36:37]
	scratch_load_b128 v[30:33], off, off offset:736
	v_add_f64_e32 v[175:176], v[175:176], v[187:188]
	v_add_f64_e32 v[177:178], v[177:178], v[183:184]
	s_wait_loadcnt_dscnt 0x800
	v_mul_f64_e32 v[183:184], v[6:7], v[173:174]
	v_mul_f64_e32 v[173:174], v[8:9], v[173:174]
	v_fma_f64 v[181:182], v[4:5], v[34:35], v[181:182]
	v_fma_f64 v[187:188], v[2:3], v[34:35], -v[36:37]
	ds_load_b128 v[2:5], v1 offset:1600
	scratch_load_b128 v[34:37], off, off offset:752
	v_add_f64_e32 v[175:176], v[175:176], v[185:186]
	v_add_f64_e32 v[177:178], v[177:178], v[179:180]
	v_fma_f64 v[183:184], v[8:9], v[171:172], v[183:184]
	v_fma_f64 v[185:186], v[6:7], v[171:172], -v[173:174]
	ds_load_b128 v[6:9], v1 offset:1616
	scratch_load_b128 v[171:174], off, off offset:768
	s_wait_loadcnt_dscnt 0x901
	v_mul_f64_e32 v[179:180], v[2:3], v[40:41]
	v_mul_f64_e32 v[40:41], v[4:5], v[40:41]
	v_add_f64_e32 v[175:176], v[175:176], v[187:188]
	v_add_f64_e32 v[177:178], v[177:178], v[181:182]
	s_wait_loadcnt_dscnt 0x800
	v_mul_f64_e32 v[181:182], v[6:7], v[169:170]
	v_mul_f64_e32 v[169:170], v[8:9], v[169:170]
	v_fma_f64 v[179:180], v[4:5], v[38:39], v[179:180]
	v_fma_f64 v[187:188], v[2:3], v[38:39], -v[40:41]
	ds_load_b128 v[2:5], v1 offset:1632
	scratch_load_b128 v[38:41], off, off offset:784
	v_add_f64_e32 v[175:176], v[175:176], v[185:186]
	v_add_f64_e32 v[177:178], v[177:178], v[183:184]
	v_fma_f64 v[181:182], v[8:9], v[167:168], v[181:182]
	v_fma_f64 v[185:186], v[6:7], v[167:168], -v[169:170]
	ds_load_b128 v[6:9], v1 offset:1648
	s_wait_loadcnt_dscnt 0x801
	v_mul_f64_e32 v[183:184], v[2:3], v[12:13]
	v_mul_f64_e32 v[12:13], v[4:5], v[12:13]
	scratch_load_b128 v[167:170], off, off offset:800
	v_add_f64_e32 v[175:176], v[175:176], v[187:188]
	v_add_f64_e32 v[177:178], v[177:178], v[179:180]
	s_wait_loadcnt_dscnt 0x800
	v_mul_f64_e32 v[179:180], v[6:7], v[16:17]
	v_mul_f64_e32 v[16:17], v[8:9], v[16:17]
	v_fma_f64 v[183:184], v[4:5], v[10:11], v[183:184]
	v_fma_f64 v[187:188], v[2:3], v[10:11], -v[12:13]
	ds_load_b128 v[2:5], v1 offset:1664
	scratch_load_b128 v[10:13], off, off offset:816
	v_add_f64_e32 v[175:176], v[175:176], v[185:186]
	v_add_f64_e32 v[177:178], v[177:178], v[181:182]
	v_fma_f64 v[179:180], v[8:9], v[14:15], v[179:180]
	v_fma_f64 v[185:186], v[6:7], v[14:15], -v[16:17]
	ds_load_b128 v[6:9], v1 offset:1680
	s_wait_loadcnt_dscnt 0x801
	v_mul_f64_e32 v[181:182], v[2:3], v[20:21]
	v_mul_f64_e32 v[20:21], v[4:5], v[20:21]
	scratch_load_b128 v[14:17], off, off offset:832
	;; [unrolled: 18-line block ×7, first 2 shown]
	v_add_f64_e32 v[175:176], v[175:176], v[187:188]
	v_add_f64_e32 v[177:178], v[177:178], v[179:180]
	s_wait_loadcnt_dscnt 0x800
	v_mul_f64_e32 v[179:180], v[6:7], v[24:25]
	v_mul_f64_e32 v[24:25], v[8:9], v[24:25]
	v_fma_f64 v[183:184], v[4:5], v[18:19], v[183:184]
	v_fma_f64 v[18:19], v[2:3], v[18:19], -v[20:21]
	ds_load_b128 v[2:5], v1 offset:1856
	v_add_f64_e32 v[20:21], v[175:176], v[185:186]
	v_add_f64_e32 v[175:176], v[177:178], v[181:182]
	v_fma_f64 v[179:180], v[8:9], v[22:23], v[179:180]
	v_fma_f64 v[22:23], v[6:7], v[22:23], -v[24:25]
	ds_load_b128 v[6:9], v1 offset:1872
	s_wait_loadcnt_dscnt 0x701
	v_mul_f64_e32 v[177:178], v[2:3], v[28:29]
	v_mul_f64_e32 v[28:29], v[4:5], v[28:29]
	v_add_f64_e32 v[18:19], v[20:21], v[18:19]
	v_add_f64_e32 v[20:21], v[175:176], v[183:184]
	s_delay_alu instid0(VALU_DEP_4) | instskip(NEXT) | instid1(VALU_DEP_4)
	v_fma_f64 v[175:176], v[4:5], v[26:27], v[177:178]
	v_fma_f64 v[26:27], v[2:3], v[26:27], -v[28:29]
	ds_load_b128 v[2:5], v1 offset:1888
	v_add_f64_e32 v[22:23], v[18:19], v[22:23]
	v_add_f64_e32 v[28:29], v[20:21], v[179:180]
	scratch_load_b128 v[18:21], off, off offset:448
	s_wait_loadcnt_dscnt 0x701
	v_mul_f64_e32 v[24:25], v[6:7], v[32:33]
	v_mul_f64_e32 v[32:33], v[8:9], v[32:33]
	v_add_f64_e32 v[22:23], v[22:23], v[26:27]
	v_add_f64_e32 v[26:27], v[28:29], v[175:176]
	s_delay_alu instid0(VALU_DEP_4) | instskip(NEXT) | instid1(VALU_DEP_4)
	v_fma_f64 v[24:25], v[8:9], v[30:31], v[24:25]
	v_fma_f64 v[30:31], v[6:7], v[30:31], -v[32:33]
	ds_load_b128 v[6:9], v1 offset:1904
	s_wait_loadcnt_dscnt 0x601
	v_mul_f64_e32 v[177:178], v[2:3], v[36:37]
	v_mul_f64_e32 v[36:37], v[4:5], v[36:37]
	s_wait_loadcnt_dscnt 0x500
	v_mul_f64_e32 v[28:29], v[6:7], v[173:174]
	v_mul_f64_e32 v[32:33], v[8:9], v[173:174]
	v_add_f64_e32 v[24:25], v[26:27], v[24:25]
	v_add_f64_e32 v[22:23], v[22:23], v[30:31]
	v_fma_f64 v[173:174], v[4:5], v[34:35], v[177:178]
	v_fma_f64 v[34:35], v[2:3], v[34:35], -v[36:37]
	ds_load_b128 v[2:5], v1 offset:1920
	v_fma_f64 v[28:29], v[8:9], v[171:172], v[28:29]
	v_fma_f64 v[32:33], v[6:7], v[171:172], -v[32:33]
	ds_load_b128 v[6:9], v1 offset:1936
	s_wait_loadcnt_dscnt 0x401
	v_mul_f64_e32 v[26:27], v[2:3], v[40:41]
	v_mul_f64_e32 v[30:31], v[4:5], v[40:41]
	v_add_f64_e32 v[24:25], v[24:25], v[173:174]
	v_add_f64_e32 v[22:23], v[22:23], v[34:35]
	s_wait_loadcnt_dscnt 0x300
	v_mul_f64_e32 v[34:35], v[6:7], v[169:170]
	v_mul_f64_e32 v[36:37], v[8:9], v[169:170]
	v_fma_f64 v[26:27], v[4:5], v[38:39], v[26:27]
	v_fma_f64 v[30:31], v[2:3], v[38:39], -v[30:31]
	ds_load_b128 v[2:5], v1 offset:1952
	v_add_f64_e32 v[24:25], v[24:25], v[28:29]
	v_add_f64_e32 v[22:23], v[22:23], v[32:33]
	v_fma_f64 v[32:33], v[8:9], v[167:168], v[34:35]
	v_fma_f64 v[34:35], v[6:7], v[167:168], -v[36:37]
	ds_load_b128 v[6:9], v1 offset:1968
	s_wait_loadcnt_dscnt 0x201
	v_mul_f64_e32 v[28:29], v[2:3], v[12:13]
	v_mul_f64_e32 v[12:13], v[4:5], v[12:13]
	v_add_f64_e32 v[24:25], v[24:25], v[26:27]
	v_add_f64_e32 v[22:23], v[22:23], v[30:31]
	s_wait_loadcnt_dscnt 0x100
	v_mul_f64_e32 v[26:27], v[6:7], v[16:17]
	v_mul_f64_e32 v[16:17], v[8:9], v[16:17]
	v_fma_f64 v[4:5], v[4:5], v[10:11], v[28:29]
	v_fma_f64 v[1:2], v[2:3], v[10:11], -v[12:13]
	v_add_f64_e32 v[12:13], v[24:25], v[32:33]
	v_add_f64_e32 v[10:11], v[22:23], v[34:35]
	v_fma_f64 v[8:9], v[8:9], v[14:15], v[26:27]
	v_fma_f64 v[6:7], v[6:7], v[14:15], -v[16:17]
	s_delay_alu instid0(VALU_DEP_4) | instskip(NEXT) | instid1(VALU_DEP_4)
	v_add_f64_e32 v[3:4], v[12:13], v[4:5]
	v_add_f64_e32 v[1:2], v[10:11], v[1:2]
	s_delay_alu instid0(VALU_DEP_2) | instskip(NEXT) | instid1(VALU_DEP_2)
	v_add_f64_e32 v[3:4], v[3:4], v[8:9]
	v_add_f64_e32 v[1:2], v[1:2], v[6:7]
	s_wait_loadcnt 0x0
	s_delay_alu instid0(VALU_DEP_2) | instskip(NEXT) | instid1(VALU_DEP_2)
	v_add_f64_e64 v[3:4], v[20:21], -v[3:4]
	v_add_f64_e64 v[1:2], v[18:19], -v[1:2]
	scratch_store_b128 off, v[1:4], off offset:448
	v_cmpx_lt_u32_e32 26, v0
	s_cbranch_execz .LBB125_345
; %bb.344:
	scratch_load_b128 v[1:4], off, s51
	v_mov_b32_e32 v5, 0
	s_delay_alu instid0(VALU_DEP_1)
	v_dual_mov_b32 v6, v5 :: v_dual_mov_b32 v7, v5
	v_mov_b32_e32 v8, v5
	scratch_store_b128 off, v[5:8], off offset:432
	s_wait_loadcnt 0x0
	ds_store_b128 v166, v[1:4]
.LBB125_345:
	s_wait_alu 0xfffe
	s_or_b32 exec_lo, exec_lo, s0
	s_wait_storecnt_dscnt 0x0
	s_barrier_signal -1
	s_barrier_wait -1
	global_inv scope:SCOPE_SE
	s_clause 0x7
	scratch_load_b128 v[2:5], off, off offset:448
	scratch_load_b128 v[6:9], off, off offset:464
	;; [unrolled: 1-line block ×8, first 2 shown]
	v_mov_b32_e32 v1, 0
	s_clause 0x1
	scratch_load_b128 v[34:37], off, off offset:576
	scratch_load_b128 v[171:174], off, off offset:592
	s_mov_b32 s0, exec_lo
	ds_load_b128 v[38:41], v1 offset:1424
	ds_load_b128 v[167:170], v1 offset:1440
	s_wait_loadcnt_dscnt 0x901
	v_mul_f64_e32 v[175:176], v[40:41], v[4:5]
	v_mul_f64_e32 v[4:5], v[38:39], v[4:5]
	s_wait_loadcnt_dscnt 0x800
	v_mul_f64_e32 v[177:178], v[167:168], v[8:9]
	v_mul_f64_e32 v[8:9], v[169:170], v[8:9]
	s_delay_alu instid0(VALU_DEP_4) | instskip(NEXT) | instid1(VALU_DEP_4)
	v_fma_f64 v[175:176], v[38:39], v[2:3], -v[175:176]
	v_fma_f64 v[179:180], v[40:41], v[2:3], v[4:5]
	ds_load_b128 v[2:5], v1 offset:1456
	scratch_load_b128 v[38:41], off, off offset:608
	v_fma_f64 v[177:178], v[169:170], v[6:7], v[177:178]
	v_fma_f64 v[183:184], v[167:168], v[6:7], -v[8:9]
	ds_load_b128 v[6:9], v1 offset:1472
	scratch_load_b128 v[167:170], off, off offset:624
	s_wait_loadcnt_dscnt 0x901
	v_mul_f64_e32 v[181:182], v[2:3], v[12:13]
	v_mul_f64_e32 v[12:13], v[4:5], v[12:13]
	s_wait_loadcnt_dscnt 0x800
	v_mul_f64_e32 v[185:186], v[6:7], v[16:17]
	v_mul_f64_e32 v[16:17], v[8:9], v[16:17]
	v_add_f64_e32 v[175:176], 0, v[175:176]
	v_add_f64_e32 v[179:180], 0, v[179:180]
	v_fma_f64 v[181:182], v[4:5], v[10:11], v[181:182]
	v_fma_f64 v[187:188], v[2:3], v[10:11], -v[12:13]
	ds_load_b128 v[2:5], v1 offset:1488
	scratch_load_b128 v[10:13], off, off offset:640
	v_add_f64_e32 v[175:176], v[175:176], v[183:184]
	v_add_f64_e32 v[177:178], v[179:180], v[177:178]
	v_fma_f64 v[183:184], v[8:9], v[14:15], v[185:186]
	v_fma_f64 v[185:186], v[6:7], v[14:15], -v[16:17]
	ds_load_b128 v[6:9], v1 offset:1504
	scratch_load_b128 v[14:17], off, off offset:656
	s_wait_loadcnt_dscnt 0x901
	v_mul_f64_e32 v[179:180], v[2:3], v[20:21]
	v_mul_f64_e32 v[20:21], v[4:5], v[20:21]
	v_add_f64_e32 v[175:176], v[175:176], v[187:188]
	v_add_f64_e32 v[177:178], v[177:178], v[181:182]
	s_wait_loadcnt_dscnt 0x800
	v_mul_f64_e32 v[181:182], v[6:7], v[24:25]
	v_mul_f64_e32 v[24:25], v[8:9], v[24:25]
	v_fma_f64 v[179:180], v[4:5], v[18:19], v[179:180]
	v_fma_f64 v[187:188], v[2:3], v[18:19], -v[20:21]
	ds_load_b128 v[2:5], v1 offset:1520
	scratch_load_b128 v[18:21], off, off offset:672
	v_add_f64_e32 v[175:176], v[175:176], v[185:186]
	v_add_f64_e32 v[177:178], v[177:178], v[183:184]
	v_fma_f64 v[181:182], v[8:9], v[22:23], v[181:182]
	v_fma_f64 v[185:186], v[6:7], v[22:23], -v[24:25]
	ds_load_b128 v[6:9], v1 offset:1536
	s_wait_loadcnt_dscnt 0x801
	v_mul_f64_e32 v[183:184], v[2:3], v[28:29]
	v_mul_f64_e32 v[28:29], v[4:5], v[28:29]
	scratch_load_b128 v[22:25], off, off offset:688
	v_add_f64_e32 v[175:176], v[175:176], v[187:188]
	v_add_f64_e32 v[177:178], v[177:178], v[179:180]
	s_wait_loadcnt_dscnt 0x800
	v_mul_f64_e32 v[179:180], v[6:7], v[32:33]
	v_mul_f64_e32 v[32:33], v[8:9], v[32:33]
	v_fma_f64 v[183:184], v[4:5], v[26:27], v[183:184]
	v_fma_f64 v[187:188], v[2:3], v[26:27], -v[28:29]
	ds_load_b128 v[2:5], v1 offset:1552
	scratch_load_b128 v[26:29], off, off offset:704
	v_add_f64_e32 v[175:176], v[175:176], v[185:186]
	v_add_f64_e32 v[177:178], v[177:178], v[181:182]
	v_fma_f64 v[179:180], v[8:9], v[30:31], v[179:180]
	v_fma_f64 v[185:186], v[6:7], v[30:31], -v[32:33]
	ds_load_b128 v[6:9], v1 offset:1568
	s_wait_loadcnt_dscnt 0x801
	v_mul_f64_e32 v[181:182], v[2:3], v[36:37]
	v_mul_f64_e32 v[36:37], v[4:5], v[36:37]
	scratch_load_b128 v[30:33], off, off offset:720
	v_add_f64_e32 v[175:176], v[175:176], v[187:188]
	v_add_f64_e32 v[177:178], v[177:178], v[183:184]
	s_wait_loadcnt_dscnt 0x800
	v_mul_f64_e32 v[183:184], v[6:7], v[173:174]
	v_mul_f64_e32 v[173:174], v[8:9], v[173:174]
	v_fma_f64 v[181:182], v[4:5], v[34:35], v[181:182]
	v_fma_f64 v[187:188], v[2:3], v[34:35], -v[36:37]
	ds_load_b128 v[2:5], v1 offset:1584
	scratch_load_b128 v[34:37], off, off offset:736
	v_add_f64_e32 v[175:176], v[175:176], v[185:186]
	v_add_f64_e32 v[177:178], v[177:178], v[179:180]
	v_fma_f64 v[183:184], v[8:9], v[171:172], v[183:184]
	v_fma_f64 v[185:186], v[6:7], v[171:172], -v[173:174]
	ds_load_b128 v[6:9], v1 offset:1600
	scratch_load_b128 v[171:174], off, off offset:752
	s_wait_loadcnt_dscnt 0x901
	v_mul_f64_e32 v[179:180], v[2:3], v[40:41]
	v_mul_f64_e32 v[40:41], v[4:5], v[40:41]
	v_add_f64_e32 v[175:176], v[175:176], v[187:188]
	v_add_f64_e32 v[177:178], v[177:178], v[181:182]
	s_wait_loadcnt_dscnt 0x800
	v_mul_f64_e32 v[181:182], v[6:7], v[169:170]
	v_mul_f64_e32 v[169:170], v[8:9], v[169:170]
	v_fma_f64 v[179:180], v[4:5], v[38:39], v[179:180]
	v_fma_f64 v[187:188], v[2:3], v[38:39], -v[40:41]
	ds_load_b128 v[2:5], v1 offset:1616
	scratch_load_b128 v[38:41], off, off offset:768
	v_add_f64_e32 v[175:176], v[175:176], v[185:186]
	v_add_f64_e32 v[177:178], v[177:178], v[183:184]
	v_fma_f64 v[181:182], v[8:9], v[167:168], v[181:182]
	v_fma_f64 v[185:186], v[6:7], v[167:168], -v[169:170]
	ds_load_b128 v[6:9], v1 offset:1632
	s_wait_loadcnt_dscnt 0x801
	v_mul_f64_e32 v[183:184], v[2:3], v[12:13]
	v_mul_f64_e32 v[12:13], v[4:5], v[12:13]
	scratch_load_b128 v[167:170], off, off offset:784
	v_add_f64_e32 v[175:176], v[175:176], v[187:188]
	v_add_f64_e32 v[177:178], v[177:178], v[179:180]
	s_wait_loadcnt_dscnt 0x800
	v_mul_f64_e32 v[179:180], v[6:7], v[16:17]
	v_mul_f64_e32 v[16:17], v[8:9], v[16:17]
	v_fma_f64 v[183:184], v[4:5], v[10:11], v[183:184]
	v_fma_f64 v[187:188], v[2:3], v[10:11], -v[12:13]
	ds_load_b128 v[2:5], v1 offset:1648
	scratch_load_b128 v[10:13], off, off offset:800
	v_add_f64_e32 v[175:176], v[175:176], v[185:186]
	v_add_f64_e32 v[177:178], v[177:178], v[181:182]
	v_fma_f64 v[179:180], v[8:9], v[14:15], v[179:180]
	v_fma_f64 v[185:186], v[6:7], v[14:15], -v[16:17]
	ds_load_b128 v[6:9], v1 offset:1664
	s_wait_loadcnt_dscnt 0x801
	v_mul_f64_e32 v[181:182], v[2:3], v[20:21]
	v_mul_f64_e32 v[20:21], v[4:5], v[20:21]
	scratch_load_b128 v[14:17], off, off offset:816
	;; [unrolled: 18-line block ×7, first 2 shown]
	v_add_f64_e32 v[175:176], v[175:176], v[187:188]
	v_add_f64_e32 v[177:178], v[177:178], v[179:180]
	s_wait_loadcnt_dscnt 0x800
	v_mul_f64_e32 v[179:180], v[6:7], v[24:25]
	v_mul_f64_e32 v[24:25], v[8:9], v[24:25]
	v_fma_f64 v[183:184], v[4:5], v[18:19], v[183:184]
	v_fma_f64 v[187:188], v[2:3], v[18:19], -v[20:21]
	ds_load_b128 v[2:5], v1 offset:1840
	scratch_load_b128 v[18:21], off, off offset:992
	v_add_f64_e32 v[175:176], v[175:176], v[185:186]
	v_add_f64_e32 v[177:178], v[177:178], v[181:182]
	v_fma_f64 v[179:180], v[8:9], v[22:23], v[179:180]
	v_fma_f64 v[22:23], v[6:7], v[22:23], -v[24:25]
	ds_load_b128 v[6:9], v1 offset:1856
	s_wait_loadcnt_dscnt 0x801
	v_mul_f64_e32 v[181:182], v[2:3], v[28:29]
	v_mul_f64_e32 v[28:29], v[4:5], v[28:29]
	v_add_f64_e32 v[24:25], v[175:176], v[187:188]
	v_add_f64_e32 v[175:176], v[177:178], v[183:184]
	s_wait_loadcnt_dscnt 0x700
	v_mul_f64_e32 v[177:178], v[6:7], v[32:33]
	v_mul_f64_e32 v[32:33], v[8:9], v[32:33]
	v_fma_f64 v[181:182], v[4:5], v[26:27], v[181:182]
	v_fma_f64 v[26:27], v[2:3], v[26:27], -v[28:29]
	ds_load_b128 v[2:5], v1 offset:1872
	v_add_f64_e32 v[22:23], v[24:25], v[22:23]
	v_add_f64_e32 v[24:25], v[175:176], v[179:180]
	v_fma_f64 v[175:176], v[8:9], v[30:31], v[177:178]
	v_fma_f64 v[30:31], v[6:7], v[30:31], -v[32:33]
	ds_load_b128 v[6:9], v1 offset:1888
	s_wait_loadcnt_dscnt 0x500
	v_mul_f64_e32 v[177:178], v[6:7], v[173:174]
	v_mul_f64_e32 v[173:174], v[8:9], v[173:174]
	v_add_f64_e32 v[26:27], v[22:23], v[26:27]
	v_add_f64_e32 v[32:33], v[24:25], v[181:182]
	scratch_load_b128 v[22:25], off, off offset:432
	v_mul_f64_e32 v[28:29], v[2:3], v[36:37]
	v_mul_f64_e32 v[36:37], v[4:5], v[36:37]
	v_add_f64_e32 v[26:27], v[26:27], v[30:31]
	v_add_f64_e32 v[30:31], v[32:33], v[175:176]
	s_delay_alu instid0(VALU_DEP_4) | instskip(NEXT) | instid1(VALU_DEP_4)
	v_fma_f64 v[28:29], v[4:5], v[34:35], v[28:29]
	v_fma_f64 v[34:35], v[2:3], v[34:35], -v[36:37]
	ds_load_b128 v[2:5], v1 offset:1904
	s_wait_loadcnt_dscnt 0x500
	v_mul_f64_e32 v[32:33], v[2:3], v[40:41]
	v_mul_f64_e32 v[36:37], v[4:5], v[40:41]
	v_fma_f64 v[40:41], v[8:9], v[171:172], v[177:178]
	v_fma_f64 v[171:172], v[6:7], v[171:172], -v[173:174]
	ds_load_b128 v[6:9], v1 offset:1920
	v_add_f64_e32 v[28:29], v[30:31], v[28:29]
	v_add_f64_e32 v[26:27], v[26:27], v[34:35]
	v_fma_f64 v[32:33], v[4:5], v[38:39], v[32:33]
	v_fma_f64 v[36:37], v[2:3], v[38:39], -v[36:37]
	ds_load_b128 v[2:5], v1 offset:1936
	s_wait_loadcnt_dscnt 0x401
	v_mul_f64_e32 v[30:31], v[6:7], v[169:170]
	v_mul_f64_e32 v[34:35], v[8:9], v[169:170]
	v_add_f64_e32 v[28:29], v[28:29], v[40:41]
	v_add_f64_e32 v[26:27], v[26:27], v[171:172]
	s_wait_loadcnt_dscnt 0x300
	v_mul_f64_e32 v[38:39], v[2:3], v[12:13]
	v_mul_f64_e32 v[12:13], v[4:5], v[12:13]
	v_fma_f64 v[30:31], v[8:9], v[167:168], v[30:31]
	v_fma_f64 v[34:35], v[6:7], v[167:168], -v[34:35]
	ds_load_b128 v[6:9], v1 offset:1952
	v_add_f64_e32 v[28:29], v[28:29], v[32:33]
	v_add_f64_e32 v[26:27], v[26:27], v[36:37]
	v_fma_f64 v[36:37], v[4:5], v[10:11], v[38:39]
	v_fma_f64 v[10:11], v[2:3], v[10:11], -v[12:13]
	ds_load_b128 v[2:5], v1 offset:1968
	s_wait_loadcnt_dscnt 0x201
	v_mul_f64_e32 v[32:33], v[6:7], v[16:17]
	v_mul_f64_e32 v[16:17], v[8:9], v[16:17]
	v_add_f64_e32 v[12:13], v[26:27], v[34:35]
	v_add_f64_e32 v[26:27], v[28:29], v[30:31]
	s_wait_loadcnt_dscnt 0x100
	v_mul_f64_e32 v[28:29], v[2:3], v[20:21]
	v_mul_f64_e32 v[20:21], v[4:5], v[20:21]
	v_fma_f64 v[8:9], v[8:9], v[14:15], v[32:33]
	v_fma_f64 v[6:7], v[6:7], v[14:15], -v[16:17]
	v_add_f64_e32 v[10:11], v[12:13], v[10:11]
	v_add_f64_e32 v[12:13], v[26:27], v[36:37]
	v_fma_f64 v[4:5], v[4:5], v[18:19], v[28:29]
	v_fma_f64 v[2:3], v[2:3], v[18:19], -v[20:21]
	s_delay_alu instid0(VALU_DEP_4) | instskip(NEXT) | instid1(VALU_DEP_4)
	v_add_f64_e32 v[6:7], v[10:11], v[6:7]
	v_add_f64_e32 v[8:9], v[12:13], v[8:9]
	s_delay_alu instid0(VALU_DEP_2) | instskip(NEXT) | instid1(VALU_DEP_2)
	v_add_f64_e32 v[2:3], v[6:7], v[2:3]
	v_add_f64_e32 v[4:5], v[8:9], v[4:5]
	s_wait_loadcnt 0x0
	s_delay_alu instid0(VALU_DEP_2) | instskip(NEXT) | instid1(VALU_DEP_2)
	v_add_f64_e64 v[2:3], v[22:23], -v[2:3]
	v_add_f64_e64 v[4:5], v[24:25], -v[4:5]
	scratch_store_b128 off, v[2:5], off offset:432
	v_cmpx_lt_u32_e32 25, v0
	s_cbranch_execz .LBB125_347
; %bb.346:
	scratch_load_b128 v[5:8], off, s52
	v_dual_mov_b32 v2, v1 :: v_dual_mov_b32 v3, v1
	v_mov_b32_e32 v4, v1
	scratch_store_b128 off, v[1:4], off offset:416
	s_wait_loadcnt 0x0
	ds_store_b128 v166, v[5:8]
.LBB125_347:
	s_wait_alu 0xfffe
	s_or_b32 exec_lo, exec_lo, s0
	s_wait_storecnt_dscnt 0x0
	s_barrier_signal -1
	s_barrier_wait -1
	global_inv scope:SCOPE_SE
	s_clause 0x7
	scratch_load_b128 v[2:5], off, off offset:432
	scratch_load_b128 v[6:9], off, off offset:448
	;; [unrolled: 1-line block ×8, first 2 shown]
	ds_load_b128 v[38:41], v1 offset:1408
	ds_load_b128 v[167:170], v1 offset:1424
	s_clause 0x1
	scratch_load_b128 v[34:37], off, off offset:560
	scratch_load_b128 v[171:174], off, off offset:576
	s_mov_b32 s0, exec_lo
	s_wait_loadcnt_dscnt 0x901
	v_mul_f64_e32 v[175:176], v[40:41], v[4:5]
	v_mul_f64_e32 v[4:5], v[38:39], v[4:5]
	s_wait_loadcnt_dscnt 0x800
	v_mul_f64_e32 v[177:178], v[167:168], v[8:9]
	v_mul_f64_e32 v[8:9], v[169:170], v[8:9]
	s_delay_alu instid0(VALU_DEP_4) | instskip(NEXT) | instid1(VALU_DEP_4)
	v_fma_f64 v[175:176], v[38:39], v[2:3], -v[175:176]
	v_fma_f64 v[179:180], v[40:41], v[2:3], v[4:5]
	ds_load_b128 v[2:5], v1 offset:1440
	scratch_load_b128 v[38:41], off, off offset:592
	v_fma_f64 v[177:178], v[169:170], v[6:7], v[177:178]
	v_fma_f64 v[183:184], v[167:168], v[6:7], -v[8:9]
	ds_load_b128 v[6:9], v1 offset:1456
	scratch_load_b128 v[167:170], off, off offset:608
	s_wait_loadcnt_dscnt 0x901
	v_mul_f64_e32 v[181:182], v[2:3], v[12:13]
	v_mul_f64_e32 v[12:13], v[4:5], v[12:13]
	s_wait_loadcnt_dscnt 0x800
	v_mul_f64_e32 v[185:186], v[6:7], v[16:17]
	v_mul_f64_e32 v[16:17], v[8:9], v[16:17]
	v_add_f64_e32 v[175:176], 0, v[175:176]
	v_add_f64_e32 v[179:180], 0, v[179:180]
	v_fma_f64 v[181:182], v[4:5], v[10:11], v[181:182]
	v_fma_f64 v[187:188], v[2:3], v[10:11], -v[12:13]
	ds_load_b128 v[2:5], v1 offset:1472
	scratch_load_b128 v[10:13], off, off offset:624
	v_add_f64_e32 v[175:176], v[175:176], v[183:184]
	v_add_f64_e32 v[177:178], v[179:180], v[177:178]
	v_fma_f64 v[183:184], v[8:9], v[14:15], v[185:186]
	v_fma_f64 v[185:186], v[6:7], v[14:15], -v[16:17]
	ds_load_b128 v[6:9], v1 offset:1488
	scratch_load_b128 v[14:17], off, off offset:640
	s_wait_loadcnt_dscnt 0x901
	v_mul_f64_e32 v[179:180], v[2:3], v[20:21]
	v_mul_f64_e32 v[20:21], v[4:5], v[20:21]
	v_add_f64_e32 v[175:176], v[175:176], v[187:188]
	v_add_f64_e32 v[177:178], v[177:178], v[181:182]
	s_wait_loadcnt_dscnt 0x800
	v_mul_f64_e32 v[181:182], v[6:7], v[24:25]
	v_mul_f64_e32 v[24:25], v[8:9], v[24:25]
	v_fma_f64 v[179:180], v[4:5], v[18:19], v[179:180]
	v_fma_f64 v[187:188], v[2:3], v[18:19], -v[20:21]
	ds_load_b128 v[2:5], v1 offset:1504
	scratch_load_b128 v[18:21], off, off offset:656
	v_add_f64_e32 v[175:176], v[175:176], v[185:186]
	v_add_f64_e32 v[177:178], v[177:178], v[183:184]
	v_fma_f64 v[181:182], v[8:9], v[22:23], v[181:182]
	v_fma_f64 v[185:186], v[6:7], v[22:23], -v[24:25]
	ds_load_b128 v[6:9], v1 offset:1520
	s_wait_loadcnt_dscnt 0x801
	v_mul_f64_e32 v[183:184], v[2:3], v[28:29]
	v_mul_f64_e32 v[28:29], v[4:5], v[28:29]
	scratch_load_b128 v[22:25], off, off offset:672
	v_add_f64_e32 v[175:176], v[175:176], v[187:188]
	v_add_f64_e32 v[177:178], v[177:178], v[179:180]
	s_wait_loadcnt_dscnt 0x800
	v_mul_f64_e32 v[179:180], v[6:7], v[32:33]
	v_mul_f64_e32 v[32:33], v[8:9], v[32:33]
	v_fma_f64 v[183:184], v[4:5], v[26:27], v[183:184]
	v_fma_f64 v[187:188], v[2:3], v[26:27], -v[28:29]
	ds_load_b128 v[2:5], v1 offset:1536
	scratch_load_b128 v[26:29], off, off offset:688
	v_add_f64_e32 v[175:176], v[175:176], v[185:186]
	v_add_f64_e32 v[177:178], v[177:178], v[181:182]
	v_fma_f64 v[179:180], v[8:9], v[30:31], v[179:180]
	v_fma_f64 v[185:186], v[6:7], v[30:31], -v[32:33]
	ds_load_b128 v[6:9], v1 offset:1552
	s_wait_loadcnt_dscnt 0x801
	v_mul_f64_e32 v[181:182], v[2:3], v[36:37]
	v_mul_f64_e32 v[36:37], v[4:5], v[36:37]
	scratch_load_b128 v[30:33], off, off offset:704
	v_add_f64_e32 v[175:176], v[175:176], v[187:188]
	v_add_f64_e32 v[177:178], v[177:178], v[183:184]
	s_wait_loadcnt_dscnt 0x800
	v_mul_f64_e32 v[183:184], v[6:7], v[173:174]
	v_mul_f64_e32 v[173:174], v[8:9], v[173:174]
	v_fma_f64 v[181:182], v[4:5], v[34:35], v[181:182]
	v_fma_f64 v[187:188], v[2:3], v[34:35], -v[36:37]
	ds_load_b128 v[2:5], v1 offset:1568
	scratch_load_b128 v[34:37], off, off offset:720
	v_add_f64_e32 v[175:176], v[175:176], v[185:186]
	v_add_f64_e32 v[177:178], v[177:178], v[179:180]
	v_fma_f64 v[183:184], v[8:9], v[171:172], v[183:184]
	v_fma_f64 v[185:186], v[6:7], v[171:172], -v[173:174]
	ds_load_b128 v[6:9], v1 offset:1584
	scratch_load_b128 v[171:174], off, off offset:736
	s_wait_loadcnt_dscnt 0x901
	v_mul_f64_e32 v[179:180], v[2:3], v[40:41]
	v_mul_f64_e32 v[40:41], v[4:5], v[40:41]
	v_add_f64_e32 v[175:176], v[175:176], v[187:188]
	v_add_f64_e32 v[177:178], v[177:178], v[181:182]
	s_wait_loadcnt_dscnt 0x800
	v_mul_f64_e32 v[181:182], v[6:7], v[169:170]
	v_mul_f64_e32 v[169:170], v[8:9], v[169:170]
	v_fma_f64 v[179:180], v[4:5], v[38:39], v[179:180]
	v_fma_f64 v[187:188], v[2:3], v[38:39], -v[40:41]
	ds_load_b128 v[2:5], v1 offset:1600
	scratch_load_b128 v[38:41], off, off offset:752
	v_add_f64_e32 v[175:176], v[175:176], v[185:186]
	v_add_f64_e32 v[177:178], v[177:178], v[183:184]
	v_fma_f64 v[181:182], v[8:9], v[167:168], v[181:182]
	v_fma_f64 v[185:186], v[6:7], v[167:168], -v[169:170]
	ds_load_b128 v[6:9], v1 offset:1616
	s_wait_loadcnt_dscnt 0x801
	v_mul_f64_e32 v[183:184], v[2:3], v[12:13]
	v_mul_f64_e32 v[12:13], v[4:5], v[12:13]
	scratch_load_b128 v[167:170], off, off offset:768
	v_add_f64_e32 v[175:176], v[175:176], v[187:188]
	v_add_f64_e32 v[177:178], v[177:178], v[179:180]
	s_wait_loadcnt_dscnt 0x800
	v_mul_f64_e32 v[179:180], v[6:7], v[16:17]
	v_mul_f64_e32 v[16:17], v[8:9], v[16:17]
	v_fma_f64 v[183:184], v[4:5], v[10:11], v[183:184]
	v_fma_f64 v[187:188], v[2:3], v[10:11], -v[12:13]
	ds_load_b128 v[2:5], v1 offset:1632
	scratch_load_b128 v[10:13], off, off offset:784
	v_add_f64_e32 v[175:176], v[175:176], v[185:186]
	v_add_f64_e32 v[177:178], v[177:178], v[181:182]
	v_fma_f64 v[179:180], v[8:9], v[14:15], v[179:180]
	v_fma_f64 v[185:186], v[6:7], v[14:15], -v[16:17]
	ds_load_b128 v[6:9], v1 offset:1648
	s_wait_loadcnt_dscnt 0x801
	v_mul_f64_e32 v[181:182], v[2:3], v[20:21]
	v_mul_f64_e32 v[20:21], v[4:5], v[20:21]
	scratch_load_b128 v[14:17], off, off offset:800
	;; [unrolled: 18-line block ×8, first 2 shown]
	v_add_f64_e32 v[175:176], v[175:176], v[187:188]
	v_add_f64_e32 v[177:178], v[177:178], v[183:184]
	s_wait_loadcnt_dscnt 0x800
	v_mul_f64_e32 v[183:184], v[6:7], v[32:33]
	v_mul_f64_e32 v[32:33], v[8:9], v[32:33]
	v_fma_f64 v[181:182], v[4:5], v[26:27], v[181:182]
	v_fma_f64 v[26:27], v[2:3], v[26:27], -v[28:29]
	ds_load_b128 v[2:5], v1 offset:1856
	v_add_f64_e32 v[28:29], v[175:176], v[185:186]
	v_add_f64_e32 v[175:176], v[177:178], v[179:180]
	v_fma_f64 v[179:180], v[8:9], v[30:31], v[183:184]
	v_fma_f64 v[30:31], v[6:7], v[30:31], -v[32:33]
	ds_load_b128 v[6:9], v1 offset:1872
	s_wait_loadcnt_dscnt 0x701
	v_mul_f64_e32 v[177:178], v[2:3], v[36:37]
	v_mul_f64_e32 v[36:37], v[4:5], v[36:37]
	v_add_f64_e32 v[26:27], v[28:29], v[26:27]
	v_add_f64_e32 v[28:29], v[175:176], v[181:182]
	s_delay_alu instid0(VALU_DEP_4) | instskip(NEXT) | instid1(VALU_DEP_4)
	v_fma_f64 v[175:176], v[4:5], v[34:35], v[177:178]
	v_fma_f64 v[34:35], v[2:3], v[34:35], -v[36:37]
	ds_load_b128 v[2:5], v1 offset:1888
	v_add_f64_e32 v[30:31], v[26:27], v[30:31]
	v_add_f64_e32 v[36:37], v[28:29], v[179:180]
	scratch_load_b128 v[26:29], off, off offset:416
	s_wait_loadcnt_dscnt 0x701
	v_mul_f64_e32 v[32:33], v[6:7], v[173:174]
	v_mul_f64_e32 v[173:174], v[8:9], v[173:174]
	v_add_f64_e32 v[30:31], v[30:31], v[34:35]
	v_add_f64_e32 v[34:35], v[36:37], v[175:176]
	s_delay_alu instid0(VALU_DEP_4) | instskip(NEXT) | instid1(VALU_DEP_4)
	v_fma_f64 v[32:33], v[8:9], v[171:172], v[32:33]
	v_fma_f64 v[171:172], v[6:7], v[171:172], -v[173:174]
	ds_load_b128 v[6:9], v1 offset:1904
	s_wait_loadcnt_dscnt 0x601
	v_mul_f64_e32 v[177:178], v[2:3], v[40:41]
	v_mul_f64_e32 v[40:41], v[4:5], v[40:41]
	s_wait_loadcnt_dscnt 0x500
	v_mul_f64_e32 v[36:37], v[6:7], v[169:170]
	v_mul_f64_e32 v[169:170], v[8:9], v[169:170]
	v_add_f64_e32 v[32:33], v[34:35], v[32:33]
	v_add_f64_e32 v[30:31], v[30:31], v[171:172]
	v_fma_f64 v[173:174], v[4:5], v[38:39], v[177:178]
	v_fma_f64 v[38:39], v[2:3], v[38:39], -v[40:41]
	ds_load_b128 v[2:5], v1 offset:1920
	v_fma_f64 v[36:37], v[8:9], v[167:168], v[36:37]
	v_fma_f64 v[40:41], v[6:7], v[167:168], -v[169:170]
	ds_load_b128 v[6:9], v1 offset:1936
	s_wait_loadcnt_dscnt 0x401
	v_mul_f64_e32 v[34:35], v[2:3], v[12:13]
	v_mul_f64_e32 v[12:13], v[4:5], v[12:13]
	v_add_f64_e32 v[32:33], v[32:33], v[173:174]
	v_add_f64_e32 v[30:31], v[30:31], v[38:39]
	s_wait_loadcnt_dscnt 0x300
	v_mul_f64_e32 v[38:39], v[6:7], v[16:17]
	v_mul_f64_e32 v[16:17], v[8:9], v[16:17]
	v_fma_f64 v[34:35], v[4:5], v[10:11], v[34:35]
	v_fma_f64 v[10:11], v[2:3], v[10:11], -v[12:13]
	ds_load_b128 v[2:5], v1 offset:1952
	v_add_f64_e32 v[12:13], v[30:31], v[40:41]
	v_add_f64_e32 v[30:31], v[32:33], v[36:37]
	v_fma_f64 v[36:37], v[8:9], v[14:15], v[38:39]
	v_fma_f64 v[14:15], v[6:7], v[14:15], -v[16:17]
	ds_load_b128 v[6:9], v1 offset:1968
	s_wait_loadcnt_dscnt 0x201
	v_mul_f64_e32 v[32:33], v[2:3], v[20:21]
	v_mul_f64_e32 v[20:21], v[4:5], v[20:21]
	s_wait_loadcnt_dscnt 0x100
	v_mul_f64_e32 v[16:17], v[6:7], v[24:25]
	v_mul_f64_e32 v[24:25], v[8:9], v[24:25]
	v_add_f64_e32 v[10:11], v[12:13], v[10:11]
	v_add_f64_e32 v[12:13], v[30:31], v[34:35]
	v_fma_f64 v[4:5], v[4:5], v[18:19], v[32:33]
	v_fma_f64 v[1:2], v[2:3], v[18:19], -v[20:21]
	v_fma_f64 v[8:9], v[8:9], v[22:23], v[16:17]
	v_fma_f64 v[6:7], v[6:7], v[22:23], -v[24:25]
	v_add_f64_e32 v[10:11], v[10:11], v[14:15]
	v_add_f64_e32 v[12:13], v[12:13], v[36:37]
	s_delay_alu instid0(VALU_DEP_2) | instskip(NEXT) | instid1(VALU_DEP_2)
	v_add_f64_e32 v[1:2], v[10:11], v[1:2]
	v_add_f64_e32 v[3:4], v[12:13], v[4:5]
	s_delay_alu instid0(VALU_DEP_2) | instskip(NEXT) | instid1(VALU_DEP_2)
	v_add_f64_e32 v[1:2], v[1:2], v[6:7]
	v_add_f64_e32 v[3:4], v[3:4], v[8:9]
	s_wait_loadcnt 0x0
	s_delay_alu instid0(VALU_DEP_2) | instskip(NEXT) | instid1(VALU_DEP_2)
	v_add_f64_e64 v[1:2], v[26:27], -v[1:2]
	v_add_f64_e64 v[3:4], v[28:29], -v[3:4]
	scratch_store_b128 off, v[1:4], off offset:416
	v_cmpx_lt_u32_e32 24, v0
	s_cbranch_execz .LBB125_349
; %bb.348:
	scratch_load_b128 v[1:4], off, s53
	v_mov_b32_e32 v5, 0
	s_delay_alu instid0(VALU_DEP_1)
	v_dual_mov_b32 v6, v5 :: v_dual_mov_b32 v7, v5
	v_mov_b32_e32 v8, v5
	scratch_store_b128 off, v[5:8], off offset:400
	s_wait_loadcnt 0x0
	ds_store_b128 v166, v[1:4]
.LBB125_349:
	s_wait_alu 0xfffe
	s_or_b32 exec_lo, exec_lo, s0
	s_wait_storecnt_dscnt 0x0
	s_barrier_signal -1
	s_barrier_wait -1
	global_inv scope:SCOPE_SE
	s_clause 0x7
	scratch_load_b128 v[2:5], off, off offset:416
	scratch_load_b128 v[6:9], off, off offset:432
	;; [unrolled: 1-line block ×8, first 2 shown]
	v_mov_b32_e32 v1, 0
	s_clause 0x1
	scratch_load_b128 v[34:37], off, off offset:544
	scratch_load_b128 v[171:174], off, off offset:560
	s_mov_b32 s0, exec_lo
	ds_load_b128 v[38:41], v1 offset:1392
	ds_load_b128 v[167:170], v1 offset:1408
	s_wait_loadcnt_dscnt 0x901
	v_mul_f64_e32 v[175:176], v[40:41], v[4:5]
	v_mul_f64_e32 v[4:5], v[38:39], v[4:5]
	s_wait_loadcnt_dscnt 0x800
	v_mul_f64_e32 v[177:178], v[167:168], v[8:9]
	v_mul_f64_e32 v[8:9], v[169:170], v[8:9]
	s_delay_alu instid0(VALU_DEP_4) | instskip(NEXT) | instid1(VALU_DEP_4)
	v_fma_f64 v[175:176], v[38:39], v[2:3], -v[175:176]
	v_fma_f64 v[179:180], v[40:41], v[2:3], v[4:5]
	ds_load_b128 v[2:5], v1 offset:1424
	scratch_load_b128 v[38:41], off, off offset:576
	v_fma_f64 v[177:178], v[169:170], v[6:7], v[177:178]
	v_fma_f64 v[183:184], v[167:168], v[6:7], -v[8:9]
	ds_load_b128 v[6:9], v1 offset:1440
	scratch_load_b128 v[167:170], off, off offset:592
	s_wait_loadcnt_dscnt 0x901
	v_mul_f64_e32 v[181:182], v[2:3], v[12:13]
	v_mul_f64_e32 v[12:13], v[4:5], v[12:13]
	s_wait_loadcnt_dscnt 0x800
	v_mul_f64_e32 v[185:186], v[6:7], v[16:17]
	v_mul_f64_e32 v[16:17], v[8:9], v[16:17]
	v_add_f64_e32 v[175:176], 0, v[175:176]
	v_add_f64_e32 v[179:180], 0, v[179:180]
	v_fma_f64 v[181:182], v[4:5], v[10:11], v[181:182]
	v_fma_f64 v[187:188], v[2:3], v[10:11], -v[12:13]
	ds_load_b128 v[2:5], v1 offset:1456
	scratch_load_b128 v[10:13], off, off offset:608
	v_add_f64_e32 v[175:176], v[175:176], v[183:184]
	v_add_f64_e32 v[177:178], v[179:180], v[177:178]
	v_fma_f64 v[183:184], v[8:9], v[14:15], v[185:186]
	v_fma_f64 v[185:186], v[6:7], v[14:15], -v[16:17]
	ds_load_b128 v[6:9], v1 offset:1472
	scratch_load_b128 v[14:17], off, off offset:624
	s_wait_loadcnt_dscnt 0x901
	v_mul_f64_e32 v[179:180], v[2:3], v[20:21]
	v_mul_f64_e32 v[20:21], v[4:5], v[20:21]
	v_add_f64_e32 v[175:176], v[175:176], v[187:188]
	v_add_f64_e32 v[177:178], v[177:178], v[181:182]
	s_wait_loadcnt_dscnt 0x800
	v_mul_f64_e32 v[181:182], v[6:7], v[24:25]
	v_mul_f64_e32 v[24:25], v[8:9], v[24:25]
	v_fma_f64 v[179:180], v[4:5], v[18:19], v[179:180]
	v_fma_f64 v[187:188], v[2:3], v[18:19], -v[20:21]
	ds_load_b128 v[2:5], v1 offset:1488
	scratch_load_b128 v[18:21], off, off offset:640
	v_add_f64_e32 v[175:176], v[175:176], v[185:186]
	v_add_f64_e32 v[177:178], v[177:178], v[183:184]
	v_fma_f64 v[181:182], v[8:9], v[22:23], v[181:182]
	v_fma_f64 v[185:186], v[6:7], v[22:23], -v[24:25]
	ds_load_b128 v[6:9], v1 offset:1504
	s_wait_loadcnt_dscnt 0x801
	v_mul_f64_e32 v[183:184], v[2:3], v[28:29]
	v_mul_f64_e32 v[28:29], v[4:5], v[28:29]
	scratch_load_b128 v[22:25], off, off offset:656
	v_add_f64_e32 v[175:176], v[175:176], v[187:188]
	v_add_f64_e32 v[177:178], v[177:178], v[179:180]
	s_wait_loadcnt_dscnt 0x800
	v_mul_f64_e32 v[179:180], v[6:7], v[32:33]
	v_mul_f64_e32 v[32:33], v[8:9], v[32:33]
	v_fma_f64 v[183:184], v[4:5], v[26:27], v[183:184]
	v_fma_f64 v[187:188], v[2:3], v[26:27], -v[28:29]
	ds_load_b128 v[2:5], v1 offset:1520
	scratch_load_b128 v[26:29], off, off offset:672
	v_add_f64_e32 v[175:176], v[175:176], v[185:186]
	v_add_f64_e32 v[177:178], v[177:178], v[181:182]
	v_fma_f64 v[179:180], v[8:9], v[30:31], v[179:180]
	v_fma_f64 v[185:186], v[6:7], v[30:31], -v[32:33]
	ds_load_b128 v[6:9], v1 offset:1536
	s_wait_loadcnt_dscnt 0x801
	v_mul_f64_e32 v[181:182], v[2:3], v[36:37]
	v_mul_f64_e32 v[36:37], v[4:5], v[36:37]
	scratch_load_b128 v[30:33], off, off offset:688
	v_add_f64_e32 v[175:176], v[175:176], v[187:188]
	v_add_f64_e32 v[177:178], v[177:178], v[183:184]
	s_wait_loadcnt_dscnt 0x800
	v_mul_f64_e32 v[183:184], v[6:7], v[173:174]
	v_mul_f64_e32 v[173:174], v[8:9], v[173:174]
	v_fma_f64 v[181:182], v[4:5], v[34:35], v[181:182]
	v_fma_f64 v[187:188], v[2:3], v[34:35], -v[36:37]
	ds_load_b128 v[2:5], v1 offset:1552
	scratch_load_b128 v[34:37], off, off offset:704
	v_add_f64_e32 v[175:176], v[175:176], v[185:186]
	v_add_f64_e32 v[177:178], v[177:178], v[179:180]
	v_fma_f64 v[183:184], v[8:9], v[171:172], v[183:184]
	v_fma_f64 v[185:186], v[6:7], v[171:172], -v[173:174]
	ds_load_b128 v[6:9], v1 offset:1568
	scratch_load_b128 v[171:174], off, off offset:720
	s_wait_loadcnt_dscnt 0x901
	v_mul_f64_e32 v[179:180], v[2:3], v[40:41]
	v_mul_f64_e32 v[40:41], v[4:5], v[40:41]
	v_add_f64_e32 v[175:176], v[175:176], v[187:188]
	v_add_f64_e32 v[177:178], v[177:178], v[181:182]
	s_wait_loadcnt_dscnt 0x800
	v_mul_f64_e32 v[181:182], v[6:7], v[169:170]
	v_mul_f64_e32 v[169:170], v[8:9], v[169:170]
	v_fma_f64 v[179:180], v[4:5], v[38:39], v[179:180]
	v_fma_f64 v[187:188], v[2:3], v[38:39], -v[40:41]
	ds_load_b128 v[2:5], v1 offset:1584
	scratch_load_b128 v[38:41], off, off offset:736
	v_add_f64_e32 v[175:176], v[175:176], v[185:186]
	v_add_f64_e32 v[177:178], v[177:178], v[183:184]
	v_fma_f64 v[181:182], v[8:9], v[167:168], v[181:182]
	v_fma_f64 v[185:186], v[6:7], v[167:168], -v[169:170]
	ds_load_b128 v[6:9], v1 offset:1600
	s_wait_loadcnt_dscnt 0x801
	v_mul_f64_e32 v[183:184], v[2:3], v[12:13]
	v_mul_f64_e32 v[12:13], v[4:5], v[12:13]
	scratch_load_b128 v[167:170], off, off offset:752
	v_add_f64_e32 v[175:176], v[175:176], v[187:188]
	v_add_f64_e32 v[177:178], v[177:178], v[179:180]
	s_wait_loadcnt_dscnt 0x800
	v_mul_f64_e32 v[179:180], v[6:7], v[16:17]
	v_mul_f64_e32 v[16:17], v[8:9], v[16:17]
	v_fma_f64 v[183:184], v[4:5], v[10:11], v[183:184]
	v_fma_f64 v[187:188], v[2:3], v[10:11], -v[12:13]
	ds_load_b128 v[2:5], v1 offset:1616
	scratch_load_b128 v[10:13], off, off offset:768
	v_add_f64_e32 v[175:176], v[175:176], v[185:186]
	v_add_f64_e32 v[177:178], v[177:178], v[181:182]
	v_fma_f64 v[179:180], v[8:9], v[14:15], v[179:180]
	v_fma_f64 v[185:186], v[6:7], v[14:15], -v[16:17]
	ds_load_b128 v[6:9], v1 offset:1632
	s_wait_loadcnt_dscnt 0x801
	v_mul_f64_e32 v[181:182], v[2:3], v[20:21]
	v_mul_f64_e32 v[20:21], v[4:5], v[20:21]
	scratch_load_b128 v[14:17], off, off offset:784
	;; [unrolled: 18-line block ×8, first 2 shown]
	v_add_f64_e32 v[175:176], v[175:176], v[187:188]
	v_add_f64_e32 v[177:178], v[177:178], v[183:184]
	s_wait_loadcnt_dscnt 0x800
	v_mul_f64_e32 v[183:184], v[6:7], v[32:33]
	v_mul_f64_e32 v[32:33], v[8:9], v[32:33]
	v_fma_f64 v[181:182], v[4:5], v[26:27], v[181:182]
	v_fma_f64 v[187:188], v[2:3], v[26:27], -v[28:29]
	ds_load_b128 v[2:5], v1 offset:1840
	scratch_load_b128 v[26:29], off, off offset:992
	v_add_f64_e32 v[175:176], v[175:176], v[185:186]
	v_add_f64_e32 v[177:178], v[177:178], v[179:180]
	v_fma_f64 v[183:184], v[8:9], v[30:31], v[183:184]
	v_fma_f64 v[30:31], v[6:7], v[30:31], -v[32:33]
	ds_load_b128 v[6:9], v1 offset:1856
	s_wait_loadcnt_dscnt 0x801
	v_mul_f64_e32 v[179:180], v[2:3], v[36:37]
	v_mul_f64_e32 v[36:37], v[4:5], v[36:37]
	v_add_f64_e32 v[32:33], v[175:176], v[187:188]
	v_add_f64_e32 v[175:176], v[177:178], v[181:182]
	s_wait_loadcnt_dscnt 0x700
	v_mul_f64_e32 v[177:178], v[6:7], v[173:174]
	v_mul_f64_e32 v[173:174], v[8:9], v[173:174]
	v_fma_f64 v[179:180], v[4:5], v[34:35], v[179:180]
	v_fma_f64 v[34:35], v[2:3], v[34:35], -v[36:37]
	ds_load_b128 v[2:5], v1 offset:1872
	v_add_f64_e32 v[30:31], v[32:33], v[30:31]
	v_add_f64_e32 v[32:33], v[175:176], v[183:184]
	v_fma_f64 v[175:176], v[8:9], v[171:172], v[177:178]
	v_fma_f64 v[171:172], v[6:7], v[171:172], -v[173:174]
	ds_load_b128 v[6:9], v1 offset:1888
	s_wait_loadcnt_dscnt 0x500
	v_mul_f64_e32 v[177:178], v[6:7], v[169:170]
	v_mul_f64_e32 v[169:170], v[8:9], v[169:170]
	v_add_f64_e32 v[34:35], v[30:31], v[34:35]
	v_add_f64_e32 v[173:174], v[32:33], v[179:180]
	scratch_load_b128 v[30:33], off, off offset:400
	v_mul_f64_e32 v[36:37], v[2:3], v[40:41]
	v_mul_f64_e32 v[40:41], v[4:5], v[40:41]
	v_add_f64_e32 v[34:35], v[34:35], v[171:172]
	s_delay_alu instid0(VALU_DEP_3) | instskip(NEXT) | instid1(VALU_DEP_3)
	v_fma_f64 v[36:37], v[4:5], v[38:39], v[36:37]
	v_fma_f64 v[38:39], v[2:3], v[38:39], -v[40:41]
	v_add_f64_e32 v[40:41], v[173:174], v[175:176]
	ds_load_b128 v[2:5], v1 offset:1904
	v_fma_f64 v[173:174], v[8:9], v[167:168], v[177:178]
	v_fma_f64 v[167:168], v[6:7], v[167:168], -v[169:170]
	ds_load_b128 v[6:9], v1 offset:1920
	s_wait_loadcnt_dscnt 0x501
	v_mul_f64_e32 v[171:172], v[2:3], v[12:13]
	v_mul_f64_e32 v[12:13], v[4:5], v[12:13]
	v_add_f64_e32 v[34:35], v[34:35], v[38:39]
	v_add_f64_e32 v[36:37], v[40:41], v[36:37]
	s_wait_loadcnt_dscnt 0x400
	v_mul_f64_e32 v[38:39], v[6:7], v[16:17]
	v_mul_f64_e32 v[16:17], v[8:9], v[16:17]
	v_fma_f64 v[40:41], v[4:5], v[10:11], v[171:172]
	v_fma_f64 v[10:11], v[2:3], v[10:11], -v[12:13]
	ds_load_b128 v[2:5], v1 offset:1936
	v_add_f64_e32 v[12:13], v[34:35], v[167:168]
	v_add_f64_e32 v[34:35], v[36:37], v[173:174]
	v_fma_f64 v[38:39], v[8:9], v[14:15], v[38:39]
	v_fma_f64 v[14:15], v[6:7], v[14:15], -v[16:17]
	ds_load_b128 v[6:9], v1 offset:1952
	s_wait_loadcnt_dscnt 0x301
	v_mul_f64_e32 v[36:37], v[2:3], v[20:21]
	v_mul_f64_e32 v[20:21], v[4:5], v[20:21]
	s_wait_loadcnt_dscnt 0x200
	v_mul_f64_e32 v[16:17], v[6:7], v[24:25]
	v_mul_f64_e32 v[24:25], v[8:9], v[24:25]
	v_add_f64_e32 v[10:11], v[12:13], v[10:11]
	v_add_f64_e32 v[12:13], v[34:35], v[40:41]
	v_fma_f64 v[34:35], v[4:5], v[18:19], v[36:37]
	v_fma_f64 v[18:19], v[2:3], v[18:19], -v[20:21]
	ds_load_b128 v[2:5], v1 offset:1968
	v_fma_f64 v[8:9], v[8:9], v[22:23], v[16:17]
	v_fma_f64 v[6:7], v[6:7], v[22:23], -v[24:25]
	s_wait_loadcnt_dscnt 0x100
	v_mul_f64_e32 v[20:21], v[4:5], v[28:29]
	v_add_f64_e32 v[10:11], v[10:11], v[14:15]
	v_add_f64_e32 v[12:13], v[12:13], v[38:39]
	v_mul_f64_e32 v[14:15], v[2:3], v[28:29]
	s_delay_alu instid0(VALU_DEP_4) | instskip(NEXT) | instid1(VALU_DEP_4)
	v_fma_f64 v[2:3], v[2:3], v[26:27], -v[20:21]
	v_add_f64_e32 v[10:11], v[10:11], v[18:19]
	s_delay_alu instid0(VALU_DEP_4) | instskip(NEXT) | instid1(VALU_DEP_4)
	v_add_f64_e32 v[12:13], v[12:13], v[34:35]
	v_fma_f64 v[4:5], v[4:5], v[26:27], v[14:15]
	s_delay_alu instid0(VALU_DEP_3) | instskip(NEXT) | instid1(VALU_DEP_3)
	v_add_f64_e32 v[6:7], v[10:11], v[6:7]
	v_add_f64_e32 v[8:9], v[12:13], v[8:9]
	s_delay_alu instid0(VALU_DEP_2) | instskip(NEXT) | instid1(VALU_DEP_2)
	v_add_f64_e32 v[2:3], v[6:7], v[2:3]
	v_add_f64_e32 v[4:5], v[8:9], v[4:5]
	s_wait_loadcnt 0x0
	s_delay_alu instid0(VALU_DEP_2) | instskip(NEXT) | instid1(VALU_DEP_2)
	v_add_f64_e64 v[2:3], v[30:31], -v[2:3]
	v_add_f64_e64 v[4:5], v[32:33], -v[4:5]
	scratch_store_b128 off, v[2:5], off offset:400
	v_cmpx_lt_u32_e32 23, v0
	s_cbranch_execz .LBB125_351
; %bb.350:
	scratch_load_b128 v[5:8], off, s54
	v_dual_mov_b32 v2, v1 :: v_dual_mov_b32 v3, v1
	v_mov_b32_e32 v4, v1
	scratch_store_b128 off, v[1:4], off offset:384
	s_wait_loadcnt 0x0
	ds_store_b128 v166, v[5:8]
.LBB125_351:
	s_wait_alu 0xfffe
	s_or_b32 exec_lo, exec_lo, s0
	s_wait_storecnt_dscnt 0x0
	s_barrier_signal -1
	s_barrier_wait -1
	global_inv scope:SCOPE_SE
	s_clause 0x7
	scratch_load_b128 v[2:5], off, off offset:400
	scratch_load_b128 v[6:9], off, off offset:416
	;; [unrolled: 1-line block ×8, first 2 shown]
	ds_load_b128 v[38:41], v1 offset:1376
	ds_load_b128 v[167:170], v1 offset:1392
	s_clause 0x1
	scratch_load_b128 v[34:37], off, off offset:528
	scratch_load_b128 v[171:174], off, off offset:544
	s_mov_b32 s0, exec_lo
	s_wait_loadcnt_dscnt 0x901
	v_mul_f64_e32 v[175:176], v[40:41], v[4:5]
	v_mul_f64_e32 v[4:5], v[38:39], v[4:5]
	s_wait_loadcnt_dscnt 0x800
	v_mul_f64_e32 v[177:178], v[167:168], v[8:9]
	v_mul_f64_e32 v[8:9], v[169:170], v[8:9]
	s_delay_alu instid0(VALU_DEP_4) | instskip(NEXT) | instid1(VALU_DEP_4)
	v_fma_f64 v[175:176], v[38:39], v[2:3], -v[175:176]
	v_fma_f64 v[179:180], v[40:41], v[2:3], v[4:5]
	ds_load_b128 v[2:5], v1 offset:1408
	scratch_load_b128 v[38:41], off, off offset:560
	v_fma_f64 v[177:178], v[169:170], v[6:7], v[177:178]
	v_fma_f64 v[183:184], v[167:168], v[6:7], -v[8:9]
	ds_load_b128 v[6:9], v1 offset:1424
	scratch_load_b128 v[167:170], off, off offset:576
	s_wait_loadcnt_dscnt 0x901
	v_mul_f64_e32 v[181:182], v[2:3], v[12:13]
	v_mul_f64_e32 v[12:13], v[4:5], v[12:13]
	s_wait_loadcnt_dscnt 0x800
	v_mul_f64_e32 v[185:186], v[6:7], v[16:17]
	v_mul_f64_e32 v[16:17], v[8:9], v[16:17]
	v_add_f64_e32 v[175:176], 0, v[175:176]
	v_add_f64_e32 v[179:180], 0, v[179:180]
	v_fma_f64 v[181:182], v[4:5], v[10:11], v[181:182]
	v_fma_f64 v[187:188], v[2:3], v[10:11], -v[12:13]
	ds_load_b128 v[2:5], v1 offset:1440
	scratch_load_b128 v[10:13], off, off offset:592
	v_add_f64_e32 v[175:176], v[175:176], v[183:184]
	v_add_f64_e32 v[177:178], v[179:180], v[177:178]
	v_fma_f64 v[183:184], v[8:9], v[14:15], v[185:186]
	v_fma_f64 v[185:186], v[6:7], v[14:15], -v[16:17]
	ds_load_b128 v[6:9], v1 offset:1456
	scratch_load_b128 v[14:17], off, off offset:608
	s_wait_loadcnt_dscnt 0x901
	v_mul_f64_e32 v[179:180], v[2:3], v[20:21]
	v_mul_f64_e32 v[20:21], v[4:5], v[20:21]
	v_add_f64_e32 v[175:176], v[175:176], v[187:188]
	v_add_f64_e32 v[177:178], v[177:178], v[181:182]
	s_wait_loadcnt_dscnt 0x800
	v_mul_f64_e32 v[181:182], v[6:7], v[24:25]
	v_mul_f64_e32 v[24:25], v[8:9], v[24:25]
	v_fma_f64 v[179:180], v[4:5], v[18:19], v[179:180]
	v_fma_f64 v[187:188], v[2:3], v[18:19], -v[20:21]
	ds_load_b128 v[2:5], v1 offset:1472
	scratch_load_b128 v[18:21], off, off offset:624
	v_add_f64_e32 v[175:176], v[175:176], v[185:186]
	v_add_f64_e32 v[177:178], v[177:178], v[183:184]
	v_fma_f64 v[181:182], v[8:9], v[22:23], v[181:182]
	v_fma_f64 v[185:186], v[6:7], v[22:23], -v[24:25]
	ds_load_b128 v[6:9], v1 offset:1488
	s_wait_loadcnt_dscnt 0x801
	v_mul_f64_e32 v[183:184], v[2:3], v[28:29]
	v_mul_f64_e32 v[28:29], v[4:5], v[28:29]
	scratch_load_b128 v[22:25], off, off offset:640
	v_add_f64_e32 v[175:176], v[175:176], v[187:188]
	v_add_f64_e32 v[177:178], v[177:178], v[179:180]
	s_wait_loadcnt_dscnt 0x800
	v_mul_f64_e32 v[179:180], v[6:7], v[32:33]
	v_mul_f64_e32 v[32:33], v[8:9], v[32:33]
	v_fma_f64 v[183:184], v[4:5], v[26:27], v[183:184]
	v_fma_f64 v[187:188], v[2:3], v[26:27], -v[28:29]
	ds_load_b128 v[2:5], v1 offset:1504
	scratch_load_b128 v[26:29], off, off offset:656
	v_add_f64_e32 v[175:176], v[175:176], v[185:186]
	v_add_f64_e32 v[177:178], v[177:178], v[181:182]
	v_fma_f64 v[179:180], v[8:9], v[30:31], v[179:180]
	v_fma_f64 v[185:186], v[6:7], v[30:31], -v[32:33]
	ds_load_b128 v[6:9], v1 offset:1520
	s_wait_loadcnt_dscnt 0x801
	v_mul_f64_e32 v[181:182], v[2:3], v[36:37]
	v_mul_f64_e32 v[36:37], v[4:5], v[36:37]
	scratch_load_b128 v[30:33], off, off offset:672
	v_add_f64_e32 v[175:176], v[175:176], v[187:188]
	v_add_f64_e32 v[177:178], v[177:178], v[183:184]
	s_wait_loadcnt_dscnt 0x800
	v_mul_f64_e32 v[183:184], v[6:7], v[173:174]
	v_mul_f64_e32 v[173:174], v[8:9], v[173:174]
	v_fma_f64 v[181:182], v[4:5], v[34:35], v[181:182]
	v_fma_f64 v[187:188], v[2:3], v[34:35], -v[36:37]
	ds_load_b128 v[2:5], v1 offset:1536
	scratch_load_b128 v[34:37], off, off offset:688
	v_add_f64_e32 v[175:176], v[175:176], v[185:186]
	v_add_f64_e32 v[177:178], v[177:178], v[179:180]
	v_fma_f64 v[183:184], v[8:9], v[171:172], v[183:184]
	v_fma_f64 v[185:186], v[6:7], v[171:172], -v[173:174]
	ds_load_b128 v[6:9], v1 offset:1552
	scratch_load_b128 v[171:174], off, off offset:704
	s_wait_loadcnt_dscnt 0x901
	v_mul_f64_e32 v[179:180], v[2:3], v[40:41]
	v_mul_f64_e32 v[40:41], v[4:5], v[40:41]
	v_add_f64_e32 v[175:176], v[175:176], v[187:188]
	v_add_f64_e32 v[177:178], v[177:178], v[181:182]
	s_wait_loadcnt_dscnt 0x800
	v_mul_f64_e32 v[181:182], v[6:7], v[169:170]
	v_mul_f64_e32 v[169:170], v[8:9], v[169:170]
	v_fma_f64 v[179:180], v[4:5], v[38:39], v[179:180]
	v_fma_f64 v[187:188], v[2:3], v[38:39], -v[40:41]
	ds_load_b128 v[2:5], v1 offset:1568
	scratch_load_b128 v[38:41], off, off offset:720
	v_add_f64_e32 v[175:176], v[175:176], v[185:186]
	v_add_f64_e32 v[177:178], v[177:178], v[183:184]
	v_fma_f64 v[181:182], v[8:9], v[167:168], v[181:182]
	v_fma_f64 v[185:186], v[6:7], v[167:168], -v[169:170]
	ds_load_b128 v[6:9], v1 offset:1584
	s_wait_loadcnt_dscnt 0x801
	v_mul_f64_e32 v[183:184], v[2:3], v[12:13]
	v_mul_f64_e32 v[12:13], v[4:5], v[12:13]
	scratch_load_b128 v[167:170], off, off offset:736
	v_add_f64_e32 v[175:176], v[175:176], v[187:188]
	v_add_f64_e32 v[177:178], v[177:178], v[179:180]
	s_wait_loadcnt_dscnt 0x800
	v_mul_f64_e32 v[179:180], v[6:7], v[16:17]
	v_mul_f64_e32 v[16:17], v[8:9], v[16:17]
	v_fma_f64 v[183:184], v[4:5], v[10:11], v[183:184]
	v_fma_f64 v[187:188], v[2:3], v[10:11], -v[12:13]
	ds_load_b128 v[2:5], v1 offset:1600
	scratch_load_b128 v[10:13], off, off offset:752
	v_add_f64_e32 v[175:176], v[175:176], v[185:186]
	v_add_f64_e32 v[177:178], v[177:178], v[181:182]
	v_fma_f64 v[179:180], v[8:9], v[14:15], v[179:180]
	v_fma_f64 v[185:186], v[6:7], v[14:15], -v[16:17]
	ds_load_b128 v[6:9], v1 offset:1616
	s_wait_loadcnt_dscnt 0x801
	v_mul_f64_e32 v[181:182], v[2:3], v[20:21]
	v_mul_f64_e32 v[20:21], v[4:5], v[20:21]
	scratch_load_b128 v[14:17], off, off offset:768
	;; [unrolled: 18-line block ×9, first 2 shown]
	v_add_f64_e32 v[175:176], v[175:176], v[187:188]
	v_add_f64_e32 v[177:178], v[177:178], v[181:182]
	s_wait_loadcnt_dscnt 0x800
	v_mul_f64_e32 v[181:182], v[6:7], v[173:174]
	v_mul_f64_e32 v[173:174], v[8:9], v[173:174]
	v_fma_f64 v[179:180], v[4:5], v[34:35], v[179:180]
	v_fma_f64 v[34:35], v[2:3], v[34:35], -v[36:37]
	ds_load_b128 v[2:5], v1 offset:1856
	v_add_f64_e32 v[36:37], v[175:176], v[185:186]
	v_add_f64_e32 v[175:176], v[177:178], v[183:184]
	v_fma_f64 v[181:182], v[8:9], v[171:172], v[181:182]
	v_fma_f64 v[171:172], v[6:7], v[171:172], -v[173:174]
	ds_load_b128 v[6:9], v1 offset:1872
	s_wait_loadcnt_dscnt 0x701
	v_mul_f64_e32 v[177:178], v[2:3], v[40:41]
	v_mul_f64_e32 v[40:41], v[4:5], v[40:41]
	v_add_f64_e32 v[34:35], v[36:37], v[34:35]
	v_add_f64_e32 v[36:37], v[175:176], v[179:180]
	s_delay_alu instid0(VALU_DEP_4) | instskip(NEXT) | instid1(VALU_DEP_4)
	v_fma_f64 v[175:176], v[4:5], v[38:39], v[177:178]
	v_fma_f64 v[38:39], v[2:3], v[38:39], -v[40:41]
	ds_load_b128 v[2:5], v1 offset:1888
	v_add_f64_e32 v[40:41], v[34:35], v[171:172]
	v_add_f64_e32 v[171:172], v[36:37], v[181:182]
	scratch_load_b128 v[34:37], off, off offset:384
	s_wait_loadcnt_dscnt 0x701
	v_mul_f64_e32 v[173:174], v[6:7], v[169:170]
	v_mul_f64_e32 v[169:170], v[8:9], v[169:170]
	v_add_f64_e32 v[38:39], v[40:41], v[38:39]
	v_add_f64_e32 v[40:41], v[171:172], v[175:176]
	s_delay_alu instid0(VALU_DEP_4) | instskip(NEXT) | instid1(VALU_DEP_4)
	v_fma_f64 v[173:174], v[8:9], v[167:168], v[173:174]
	v_fma_f64 v[167:168], v[6:7], v[167:168], -v[169:170]
	ds_load_b128 v[6:9], v1 offset:1904
	s_wait_loadcnt_dscnt 0x601
	v_mul_f64_e32 v[177:178], v[2:3], v[12:13]
	v_mul_f64_e32 v[12:13], v[4:5], v[12:13]
	s_wait_loadcnt_dscnt 0x500
	v_mul_f64_e32 v[169:170], v[6:7], v[16:17]
	v_mul_f64_e32 v[16:17], v[8:9], v[16:17]
	s_delay_alu instid0(VALU_DEP_4) | instskip(NEXT) | instid1(VALU_DEP_4)
	v_fma_f64 v[171:172], v[4:5], v[10:11], v[177:178]
	v_fma_f64 v[10:11], v[2:3], v[10:11], -v[12:13]
	v_add_f64_e32 v[12:13], v[38:39], v[167:168]
	v_add_f64_e32 v[38:39], v[40:41], v[173:174]
	ds_load_b128 v[2:5], v1 offset:1920
	v_fma_f64 v[167:168], v[8:9], v[14:15], v[169:170]
	v_fma_f64 v[14:15], v[6:7], v[14:15], -v[16:17]
	ds_load_b128 v[6:9], v1 offset:1936
	s_wait_loadcnt_dscnt 0x401
	v_mul_f64_e32 v[40:41], v[2:3], v[20:21]
	v_mul_f64_e32 v[20:21], v[4:5], v[20:21]
	v_add_f64_e32 v[10:11], v[12:13], v[10:11]
	v_add_f64_e32 v[12:13], v[38:39], v[171:172]
	s_wait_loadcnt_dscnt 0x300
	v_mul_f64_e32 v[16:17], v[6:7], v[24:25]
	v_mul_f64_e32 v[24:25], v[8:9], v[24:25]
	v_fma_f64 v[38:39], v[4:5], v[18:19], v[40:41]
	v_fma_f64 v[18:19], v[2:3], v[18:19], -v[20:21]
	ds_load_b128 v[2:5], v1 offset:1952
	v_add_f64_e32 v[10:11], v[10:11], v[14:15]
	v_add_f64_e32 v[12:13], v[12:13], v[167:168]
	v_fma_f64 v[16:17], v[8:9], v[22:23], v[16:17]
	v_fma_f64 v[22:23], v[6:7], v[22:23], -v[24:25]
	ds_load_b128 v[6:9], v1 offset:1968
	s_wait_loadcnt_dscnt 0x201
	v_mul_f64_e32 v[14:15], v[2:3], v[28:29]
	v_mul_f64_e32 v[20:21], v[4:5], v[28:29]
	s_wait_loadcnt_dscnt 0x100
	v_mul_f64_e32 v[24:25], v[8:9], v[32:33]
	v_add_f64_e32 v[10:11], v[10:11], v[18:19]
	v_add_f64_e32 v[12:13], v[12:13], v[38:39]
	v_mul_f64_e32 v[18:19], v[6:7], v[32:33]
	v_fma_f64 v[4:5], v[4:5], v[26:27], v[14:15]
	v_fma_f64 v[1:2], v[2:3], v[26:27], -v[20:21]
	v_fma_f64 v[6:7], v[6:7], v[30:31], -v[24:25]
	v_add_f64_e32 v[10:11], v[10:11], v[22:23]
	v_add_f64_e32 v[12:13], v[12:13], v[16:17]
	v_fma_f64 v[8:9], v[8:9], v[30:31], v[18:19]
	s_delay_alu instid0(VALU_DEP_3) | instskip(NEXT) | instid1(VALU_DEP_3)
	v_add_f64_e32 v[1:2], v[10:11], v[1:2]
	v_add_f64_e32 v[3:4], v[12:13], v[4:5]
	s_delay_alu instid0(VALU_DEP_2) | instskip(NEXT) | instid1(VALU_DEP_2)
	v_add_f64_e32 v[1:2], v[1:2], v[6:7]
	v_add_f64_e32 v[3:4], v[3:4], v[8:9]
	s_wait_loadcnt 0x0
	s_delay_alu instid0(VALU_DEP_2) | instskip(NEXT) | instid1(VALU_DEP_2)
	v_add_f64_e64 v[1:2], v[34:35], -v[1:2]
	v_add_f64_e64 v[3:4], v[36:37], -v[3:4]
	scratch_store_b128 off, v[1:4], off offset:384
	v_cmpx_lt_u32_e32 22, v0
	s_cbranch_execz .LBB125_353
; %bb.352:
	scratch_load_b128 v[1:4], off, s55
	v_mov_b32_e32 v5, 0
	s_delay_alu instid0(VALU_DEP_1)
	v_dual_mov_b32 v6, v5 :: v_dual_mov_b32 v7, v5
	v_mov_b32_e32 v8, v5
	scratch_store_b128 off, v[5:8], off offset:368
	s_wait_loadcnt 0x0
	ds_store_b128 v166, v[1:4]
.LBB125_353:
	s_wait_alu 0xfffe
	s_or_b32 exec_lo, exec_lo, s0
	s_wait_storecnt_dscnt 0x0
	s_barrier_signal -1
	s_barrier_wait -1
	global_inv scope:SCOPE_SE
	s_clause 0x7
	scratch_load_b128 v[2:5], off, off offset:384
	scratch_load_b128 v[6:9], off, off offset:400
	;; [unrolled: 1-line block ×8, first 2 shown]
	v_mov_b32_e32 v1, 0
	s_clause 0x1
	scratch_load_b128 v[34:37], off, off offset:512
	scratch_load_b128 v[171:174], off, off offset:528
	s_mov_b32 s0, exec_lo
	ds_load_b128 v[38:41], v1 offset:1360
	ds_load_b128 v[167:170], v1 offset:1376
	s_wait_loadcnt_dscnt 0x901
	v_mul_f64_e32 v[175:176], v[40:41], v[4:5]
	v_mul_f64_e32 v[4:5], v[38:39], v[4:5]
	s_wait_loadcnt_dscnt 0x800
	v_mul_f64_e32 v[177:178], v[167:168], v[8:9]
	v_mul_f64_e32 v[8:9], v[169:170], v[8:9]
	s_delay_alu instid0(VALU_DEP_4) | instskip(NEXT) | instid1(VALU_DEP_4)
	v_fma_f64 v[175:176], v[38:39], v[2:3], -v[175:176]
	v_fma_f64 v[179:180], v[40:41], v[2:3], v[4:5]
	ds_load_b128 v[2:5], v1 offset:1392
	scratch_load_b128 v[38:41], off, off offset:544
	v_fma_f64 v[177:178], v[169:170], v[6:7], v[177:178]
	v_fma_f64 v[183:184], v[167:168], v[6:7], -v[8:9]
	ds_load_b128 v[6:9], v1 offset:1408
	scratch_load_b128 v[167:170], off, off offset:560
	s_wait_loadcnt_dscnt 0x901
	v_mul_f64_e32 v[181:182], v[2:3], v[12:13]
	v_mul_f64_e32 v[12:13], v[4:5], v[12:13]
	s_wait_loadcnt_dscnt 0x800
	v_mul_f64_e32 v[185:186], v[6:7], v[16:17]
	v_mul_f64_e32 v[16:17], v[8:9], v[16:17]
	v_add_f64_e32 v[175:176], 0, v[175:176]
	v_add_f64_e32 v[179:180], 0, v[179:180]
	v_fma_f64 v[181:182], v[4:5], v[10:11], v[181:182]
	v_fma_f64 v[187:188], v[2:3], v[10:11], -v[12:13]
	ds_load_b128 v[2:5], v1 offset:1424
	scratch_load_b128 v[10:13], off, off offset:576
	v_add_f64_e32 v[175:176], v[175:176], v[183:184]
	v_add_f64_e32 v[177:178], v[179:180], v[177:178]
	v_fma_f64 v[183:184], v[8:9], v[14:15], v[185:186]
	v_fma_f64 v[185:186], v[6:7], v[14:15], -v[16:17]
	ds_load_b128 v[6:9], v1 offset:1440
	scratch_load_b128 v[14:17], off, off offset:592
	s_wait_loadcnt_dscnt 0x901
	v_mul_f64_e32 v[179:180], v[2:3], v[20:21]
	v_mul_f64_e32 v[20:21], v[4:5], v[20:21]
	v_add_f64_e32 v[175:176], v[175:176], v[187:188]
	v_add_f64_e32 v[177:178], v[177:178], v[181:182]
	s_wait_loadcnt_dscnt 0x800
	v_mul_f64_e32 v[181:182], v[6:7], v[24:25]
	v_mul_f64_e32 v[24:25], v[8:9], v[24:25]
	v_fma_f64 v[179:180], v[4:5], v[18:19], v[179:180]
	v_fma_f64 v[187:188], v[2:3], v[18:19], -v[20:21]
	ds_load_b128 v[2:5], v1 offset:1456
	scratch_load_b128 v[18:21], off, off offset:608
	v_add_f64_e32 v[175:176], v[175:176], v[185:186]
	v_add_f64_e32 v[177:178], v[177:178], v[183:184]
	v_fma_f64 v[181:182], v[8:9], v[22:23], v[181:182]
	v_fma_f64 v[185:186], v[6:7], v[22:23], -v[24:25]
	ds_load_b128 v[6:9], v1 offset:1472
	s_wait_loadcnt_dscnt 0x801
	v_mul_f64_e32 v[183:184], v[2:3], v[28:29]
	v_mul_f64_e32 v[28:29], v[4:5], v[28:29]
	scratch_load_b128 v[22:25], off, off offset:624
	v_add_f64_e32 v[175:176], v[175:176], v[187:188]
	v_add_f64_e32 v[177:178], v[177:178], v[179:180]
	s_wait_loadcnt_dscnt 0x800
	v_mul_f64_e32 v[179:180], v[6:7], v[32:33]
	v_mul_f64_e32 v[32:33], v[8:9], v[32:33]
	v_fma_f64 v[183:184], v[4:5], v[26:27], v[183:184]
	v_fma_f64 v[187:188], v[2:3], v[26:27], -v[28:29]
	ds_load_b128 v[2:5], v1 offset:1488
	scratch_load_b128 v[26:29], off, off offset:640
	v_add_f64_e32 v[175:176], v[175:176], v[185:186]
	v_add_f64_e32 v[177:178], v[177:178], v[181:182]
	v_fma_f64 v[179:180], v[8:9], v[30:31], v[179:180]
	v_fma_f64 v[185:186], v[6:7], v[30:31], -v[32:33]
	ds_load_b128 v[6:9], v1 offset:1504
	s_wait_loadcnt_dscnt 0x801
	v_mul_f64_e32 v[181:182], v[2:3], v[36:37]
	v_mul_f64_e32 v[36:37], v[4:5], v[36:37]
	scratch_load_b128 v[30:33], off, off offset:656
	v_add_f64_e32 v[175:176], v[175:176], v[187:188]
	v_add_f64_e32 v[177:178], v[177:178], v[183:184]
	s_wait_loadcnt_dscnt 0x800
	v_mul_f64_e32 v[183:184], v[6:7], v[173:174]
	v_mul_f64_e32 v[173:174], v[8:9], v[173:174]
	v_fma_f64 v[181:182], v[4:5], v[34:35], v[181:182]
	v_fma_f64 v[187:188], v[2:3], v[34:35], -v[36:37]
	ds_load_b128 v[2:5], v1 offset:1520
	scratch_load_b128 v[34:37], off, off offset:672
	v_add_f64_e32 v[175:176], v[175:176], v[185:186]
	v_add_f64_e32 v[177:178], v[177:178], v[179:180]
	v_fma_f64 v[183:184], v[8:9], v[171:172], v[183:184]
	v_fma_f64 v[185:186], v[6:7], v[171:172], -v[173:174]
	ds_load_b128 v[6:9], v1 offset:1536
	scratch_load_b128 v[171:174], off, off offset:688
	s_wait_loadcnt_dscnt 0x901
	v_mul_f64_e32 v[179:180], v[2:3], v[40:41]
	v_mul_f64_e32 v[40:41], v[4:5], v[40:41]
	v_add_f64_e32 v[175:176], v[175:176], v[187:188]
	v_add_f64_e32 v[177:178], v[177:178], v[181:182]
	s_wait_loadcnt_dscnt 0x800
	v_mul_f64_e32 v[181:182], v[6:7], v[169:170]
	v_mul_f64_e32 v[169:170], v[8:9], v[169:170]
	v_fma_f64 v[179:180], v[4:5], v[38:39], v[179:180]
	v_fma_f64 v[187:188], v[2:3], v[38:39], -v[40:41]
	ds_load_b128 v[2:5], v1 offset:1552
	scratch_load_b128 v[38:41], off, off offset:704
	v_add_f64_e32 v[175:176], v[175:176], v[185:186]
	v_add_f64_e32 v[177:178], v[177:178], v[183:184]
	v_fma_f64 v[181:182], v[8:9], v[167:168], v[181:182]
	v_fma_f64 v[185:186], v[6:7], v[167:168], -v[169:170]
	ds_load_b128 v[6:9], v1 offset:1568
	s_wait_loadcnt_dscnt 0x801
	v_mul_f64_e32 v[183:184], v[2:3], v[12:13]
	v_mul_f64_e32 v[12:13], v[4:5], v[12:13]
	scratch_load_b128 v[167:170], off, off offset:720
	v_add_f64_e32 v[175:176], v[175:176], v[187:188]
	v_add_f64_e32 v[177:178], v[177:178], v[179:180]
	s_wait_loadcnt_dscnt 0x800
	v_mul_f64_e32 v[179:180], v[6:7], v[16:17]
	v_mul_f64_e32 v[16:17], v[8:9], v[16:17]
	v_fma_f64 v[183:184], v[4:5], v[10:11], v[183:184]
	v_fma_f64 v[187:188], v[2:3], v[10:11], -v[12:13]
	ds_load_b128 v[2:5], v1 offset:1584
	scratch_load_b128 v[10:13], off, off offset:736
	v_add_f64_e32 v[175:176], v[175:176], v[185:186]
	v_add_f64_e32 v[177:178], v[177:178], v[181:182]
	v_fma_f64 v[179:180], v[8:9], v[14:15], v[179:180]
	v_fma_f64 v[185:186], v[6:7], v[14:15], -v[16:17]
	ds_load_b128 v[6:9], v1 offset:1600
	s_wait_loadcnt_dscnt 0x801
	v_mul_f64_e32 v[181:182], v[2:3], v[20:21]
	v_mul_f64_e32 v[20:21], v[4:5], v[20:21]
	scratch_load_b128 v[14:17], off, off offset:752
	;; [unrolled: 18-line block ×9, first 2 shown]
	v_add_f64_e32 v[175:176], v[175:176], v[187:188]
	v_add_f64_e32 v[177:178], v[177:178], v[181:182]
	s_wait_loadcnt_dscnt 0x800
	v_mul_f64_e32 v[181:182], v[6:7], v[173:174]
	v_mul_f64_e32 v[173:174], v[8:9], v[173:174]
	v_fma_f64 v[179:180], v[4:5], v[34:35], v[179:180]
	v_fma_f64 v[187:188], v[2:3], v[34:35], -v[36:37]
	ds_load_b128 v[2:5], v1 offset:1840
	scratch_load_b128 v[34:37], off, off offset:992
	v_add_f64_e32 v[175:176], v[175:176], v[185:186]
	v_add_f64_e32 v[177:178], v[177:178], v[183:184]
	v_fma_f64 v[181:182], v[8:9], v[171:172], v[181:182]
	v_fma_f64 v[171:172], v[6:7], v[171:172], -v[173:174]
	ds_load_b128 v[6:9], v1 offset:1856
	s_wait_loadcnt_dscnt 0x801
	v_mul_f64_e32 v[183:184], v[2:3], v[40:41]
	v_mul_f64_e32 v[40:41], v[4:5], v[40:41]
	v_add_f64_e32 v[173:174], v[175:176], v[187:188]
	v_add_f64_e32 v[175:176], v[177:178], v[179:180]
	s_wait_loadcnt_dscnt 0x700
	v_mul_f64_e32 v[177:178], v[6:7], v[169:170]
	v_mul_f64_e32 v[169:170], v[8:9], v[169:170]
	v_fma_f64 v[179:180], v[4:5], v[38:39], v[183:184]
	v_fma_f64 v[38:39], v[2:3], v[38:39], -v[40:41]
	ds_load_b128 v[2:5], v1 offset:1872
	v_add_f64_e32 v[40:41], v[173:174], v[171:172]
	v_add_f64_e32 v[171:172], v[175:176], v[181:182]
	v_fma_f64 v[175:176], v[8:9], v[167:168], v[177:178]
	v_fma_f64 v[167:168], v[6:7], v[167:168], -v[169:170]
	ds_load_b128 v[6:9], v1 offset:1888
	s_wait_loadcnt_dscnt 0x500
	v_mul_f64_e32 v[177:178], v[6:7], v[16:17]
	v_mul_f64_e32 v[16:17], v[8:9], v[16:17]
	v_add_f64_e32 v[169:170], v[40:41], v[38:39]
	v_add_f64_e32 v[171:172], v[171:172], v[179:180]
	scratch_load_b128 v[38:41], off, off offset:368
	v_mul_f64_e32 v[173:174], v[2:3], v[12:13]
	v_mul_f64_e32 v[12:13], v[4:5], v[12:13]
	s_delay_alu instid0(VALU_DEP_2) | instskip(NEXT) | instid1(VALU_DEP_2)
	v_fma_f64 v[173:174], v[4:5], v[10:11], v[173:174]
	v_fma_f64 v[10:11], v[2:3], v[10:11], -v[12:13]
	v_add_f64_e32 v[12:13], v[169:170], v[167:168]
	v_add_f64_e32 v[167:168], v[171:172], v[175:176]
	ds_load_b128 v[2:5], v1 offset:1904
	v_fma_f64 v[171:172], v[8:9], v[14:15], v[177:178]
	v_fma_f64 v[14:15], v[6:7], v[14:15], -v[16:17]
	ds_load_b128 v[6:9], v1 offset:1920
	s_wait_loadcnt_dscnt 0x501
	v_mul_f64_e32 v[169:170], v[2:3], v[20:21]
	v_mul_f64_e32 v[20:21], v[4:5], v[20:21]
	s_wait_loadcnt_dscnt 0x400
	v_mul_f64_e32 v[16:17], v[6:7], v[24:25]
	v_mul_f64_e32 v[24:25], v[8:9], v[24:25]
	v_add_f64_e32 v[10:11], v[12:13], v[10:11]
	v_add_f64_e32 v[12:13], v[167:168], v[173:174]
	v_fma_f64 v[167:168], v[4:5], v[18:19], v[169:170]
	v_fma_f64 v[18:19], v[2:3], v[18:19], -v[20:21]
	ds_load_b128 v[2:5], v1 offset:1936
	v_fma_f64 v[16:17], v[8:9], v[22:23], v[16:17]
	v_fma_f64 v[22:23], v[6:7], v[22:23], -v[24:25]
	ds_load_b128 v[6:9], v1 offset:1952
	v_add_f64_e32 v[10:11], v[10:11], v[14:15]
	v_add_f64_e32 v[12:13], v[12:13], v[171:172]
	s_wait_loadcnt_dscnt 0x301
	v_mul_f64_e32 v[14:15], v[2:3], v[28:29]
	v_mul_f64_e32 v[20:21], v[4:5], v[28:29]
	s_wait_loadcnt_dscnt 0x200
	v_mul_f64_e32 v[24:25], v[8:9], v[32:33]
	v_add_f64_e32 v[10:11], v[10:11], v[18:19]
	v_add_f64_e32 v[12:13], v[12:13], v[167:168]
	v_mul_f64_e32 v[18:19], v[6:7], v[32:33]
	v_fma_f64 v[14:15], v[4:5], v[26:27], v[14:15]
	v_fma_f64 v[20:21], v[2:3], v[26:27], -v[20:21]
	ds_load_b128 v[2:5], v1 offset:1968
	v_fma_f64 v[6:7], v[6:7], v[30:31], -v[24:25]
	v_add_f64_e32 v[10:11], v[10:11], v[22:23]
	v_add_f64_e32 v[12:13], v[12:13], v[16:17]
	s_wait_loadcnt_dscnt 0x100
	v_mul_f64_e32 v[16:17], v[2:3], v[36:37]
	v_mul_f64_e32 v[22:23], v[4:5], v[36:37]
	v_fma_f64 v[8:9], v[8:9], v[30:31], v[18:19]
	v_add_f64_e32 v[10:11], v[10:11], v[20:21]
	v_add_f64_e32 v[12:13], v[12:13], v[14:15]
	v_fma_f64 v[4:5], v[4:5], v[34:35], v[16:17]
	v_fma_f64 v[2:3], v[2:3], v[34:35], -v[22:23]
	s_delay_alu instid0(VALU_DEP_4) | instskip(NEXT) | instid1(VALU_DEP_4)
	v_add_f64_e32 v[6:7], v[10:11], v[6:7]
	v_add_f64_e32 v[8:9], v[12:13], v[8:9]
	s_delay_alu instid0(VALU_DEP_2) | instskip(NEXT) | instid1(VALU_DEP_2)
	v_add_f64_e32 v[2:3], v[6:7], v[2:3]
	v_add_f64_e32 v[4:5], v[8:9], v[4:5]
	s_wait_loadcnt 0x0
	s_delay_alu instid0(VALU_DEP_2) | instskip(NEXT) | instid1(VALU_DEP_2)
	v_add_f64_e64 v[2:3], v[38:39], -v[2:3]
	v_add_f64_e64 v[4:5], v[40:41], -v[4:5]
	scratch_store_b128 off, v[2:5], off offset:368
	v_cmpx_lt_u32_e32 21, v0
	s_cbranch_execz .LBB125_355
; %bb.354:
	scratch_load_b128 v[5:8], off, s56
	v_dual_mov_b32 v2, v1 :: v_dual_mov_b32 v3, v1
	v_mov_b32_e32 v4, v1
	scratch_store_b128 off, v[1:4], off offset:352
	s_wait_loadcnt 0x0
	ds_store_b128 v166, v[5:8]
.LBB125_355:
	s_wait_alu 0xfffe
	s_or_b32 exec_lo, exec_lo, s0
	s_wait_storecnt_dscnt 0x0
	s_barrier_signal -1
	s_barrier_wait -1
	global_inv scope:SCOPE_SE
	s_clause 0x7
	scratch_load_b128 v[2:5], off, off offset:368
	scratch_load_b128 v[6:9], off, off offset:384
	;; [unrolled: 1-line block ×8, first 2 shown]
	ds_load_b128 v[38:41], v1 offset:1344
	ds_load_b128 v[167:170], v1 offset:1360
	s_clause 0x1
	scratch_load_b128 v[34:37], off, off offset:496
	scratch_load_b128 v[171:174], off, off offset:512
	s_mov_b32 s0, exec_lo
	s_wait_loadcnt_dscnt 0x901
	v_mul_f64_e32 v[175:176], v[40:41], v[4:5]
	v_mul_f64_e32 v[4:5], v[38:39], v[4:5]
	s_wait_loadcnt_dscnt 0x800
	v_mul_f64_e32 v[177:178], v[167:168], v[8:9]
	v_mul_f64_e32 v[8:9], v[169:170], v[8:9]
	s_delay_alu instid0(VALU_DEP_4) | instskip(NEXT) | instid1(VALU_DEP_4)
	v_fma_f64 v[175:176], v[38:39], v[2:3], -v[175:176]
	v_fma_f64 v[179:180], v[40:41], v[2:3], v[4:5]
	ds_load_b128 v[2:5], v1 offset:1376
	scratch_load_b128 v[38:41], off, off offset:528
	v_fma_f64 v[177:178], v[169:170], v[6:7], v[177:178]
	v_fma_f64 v[183:184], v[167:168], v[6:7], -v[8:9]
	ds_load_b128 v[6:9], v1 offset:1392
	scratch_load_b128 v[167:170], off, off offset:544
	s_wait_loadcnt_dscnt 0x901
	v_mul_f64_e32 v[181:182], v[2:3], v[12:13]
	v_mul_f64_e32 v[12:13], v[4:5], v[12:13]
	s_wait_loadcnt_dscnt 0x800
	v_mul_f64_e32 v[185:186], v[6:7], v[16:17]
	v_mul_f64_e32 v[16:17], v[8:9], v[16:17]
	v_add_f64_e32 v[175:176], 0, v[175:176]
	v_add_f64_e32 v[179:180], 0, v[179:180]
	v_fma_f64 v[181:182], v[4:5], v[10:11], v[181:182]
	v_fma_f64 v[187:188], v[2:3], v[10:11], -v[12:13]
	ds_load_b128 v[2:5], v1 offset:1408
	scratch_load_b128 v[10:13], off, off offset:560
	v_add_f64_e32 v[175:176], v[175:176], v[183:184]
	v_add_f64_e32 v[177:178], v[179:180], v[177:178]
	v_fma_f64 v[183:184], v[8:9], v[14:15], v[185:186]
	v_fma_f64 v[185:186], v[6:7], v[14:15], -v[16:17]
	ds_load_b128 v[6:9], v1 offset:1424
	scratch_load_b128 v[14:17], off, off offset:576
	s_wait_loadcnt_dscnt 0x901
	v_mul_f64_e32 v[179:180], v[2:3], v[20:21]
	v_mul_f64_e32 v[20:21], v[4:5], v[20:21]
	v_add_f64_e32 v[175:176], v[175:176], v[187:188]
	v_add_f64_e32 v[177:178], v[177:178], v[181:182]
	s_wait_loadcnt_dscnt 0x800
	v_mul_f64_e32 v[181:182], v[6:7], v[24:25]
	v_mul_f64_e32 v[24:25], v[8:9], v[24:25]
	v_fma_f64 v[179:180], v[4:5], v[18:19], v[179:180]
	v_fma_f64 v[187:188], v[2:3], v[18:19], -v[20:21]
	ds_load_b128 v[2:5], v1 offset:1440
	scratch_load_b128 v[18:21], off, off offset:592
	v_add_f64_e32 v[175:176], v[175:176], v[185:186]
	v_add_f64_e32 v[177:178], v[177:178], v[183:184]
	v_fma_f64 v[181:182], v[8:9], v[22:23], v[181:182]
	v_fma_f64 v[185:186], v[6:7], v[22:23], -v[24:25]
	ds_load_b128 v[6:9], v1 offset:1456
	s_wait_loadcnt_dscnt 0x801
	v_mul_f64_e32 v[183:184], v[2:3], v[28:29]
	v_mul_f64_e32 v[28:29], v[4:5], v[28:29]
	scratch_load_b128 v[22:25], off, off offset:608
	v_add_f64_e32 v[175:176], v[175:176], v[187:188]
	v_add_f64_e32 v[177:178], v[177:178], v[179:180]
	s_wait_loadcnt_dscnt 0x800
	v_mul_f64_e32 v[179:180], v[6:7], v[32:33]
	v_mul_f64_e32 v[32:33], v[8:9], v[32:33]
	v_fma_f64 v[183:184], v[4:5], v[26:27], v[183:184]
	v_fma_f64 v[187:188], v[2:3], v[26:27], -v[28:29]
	ds_load_b128 v[2:5], v1 offset:1472
	scratch_load_b128 v[26:29], off, off offset:624
	v_add_f64_e32 v[175:176], v[175:176], v[185:186]
	v_add_f64_e32 v[177:178], v[177:178], v[181:182]
	v_fma_f64 v[179:180], v[8:9], v[30:31], v[179:180]
	v_fma_f64 v[185:186], v[6:7], v[30:31], -v[32:33]
	ds_load_b128 v[6:9], v1 offset:1488
	s_wait_loadcnt_dscnt 0x801
	v_mul_f64_e32 v[181:182], v[2:3], v[36:37]
	v_mul_f64_e32 v[36:37], v[4:5], v[36:37]
	scratch_load_b128 v[30:33], off, off offset:640
	v_add_f64_e32 v[175:176], v[175:176], v[187:188]
	v_add_f64_e32 v[177:178], v[177:178], v[183:184]
	s_wait_loadcnt_dscnt 0x800
	v_mul_f64_e32 v[183:184], v[6:7], v[173:174]
	v_mul_f64_e32 v[173:174], v[8:9], v[173:174]
	v_fma_f64 v[181:182], v[4:5], v[34:35], v[181:182]
	v_fma_f64 v[187:188], v[2:3], v[34:35], -v[36:37]
	ds_load_b128 v[2:5], v1 offset:1504
	scratch_load_b128 v[34:37], off, off offset:656
	v_add_f64_e32 v[175:176], v[175:176], v[185:186]
	v_add_f64_e32 v[177:178], v[177:178], v[179:180]
	v_fma_f64 v[183:184], v[8:9], v[171:172], v[183:184]
	v_fma_f64 v[185:186], v[6:7], v[171:172], -v[173:174]
	ds_load_b128 v[6:9], v1 offset:1520
	scratch_load_b128 v[171:174], off, off offset:672
	s_wait_loadcnt_dscnt 0x901
	v_mul_f64_e32 v[179:180], v[2:3], v[40:41]
	v_mul_f64_e32 v[40:41], v[4:5], v[40:41]
	v_add_f64_e32 v[175:176], v[175:176], v[187:188]
	v_add_f64_e32 v[177:178], v[177:178], v[181:182]
	s_wait_loadcnt_dscnt 0x800
	v_mul_f64_e32 v[181:182], v[6:7], v[169:170]
	v_mul_f64_e32 v[169:170], v[8:9], v[169:170]
	v_fma_f64 v[179:180], v[4:5], v[38:39], v[179:180]
	v_fma_f64 v[187:188], v[2:3], v[38:39], -v[40:41]
	ds_load_b128 v[2:5], v1 offset:1536
	scratch_load_b128 v[38:41], off, off offset:688
	v_add_f64_e32 v[175:176], v[175:176], v[185:186]
	v_add_f64_e32 v[177:178], v[177:178], v[183:184]
	v_fma_f64 v[181:182], v[8:9], v[167:168], v[181:182]
	v_fma_f64 v[185:186], v[6:7], v[167:168], -v[169:170]
	ds_load_b128 v[6:9], v1 offset:1552
	s_wait_loadcnt_dscnt 0x801
	v_mul_f64_e32 v[183:184], v[2:3], v[12:13]
	v_mul_f64_e32 v[12:13], v[4:5], v[12:13]
	scratch_load_b128 v[167:170], off, off offset:704
	v_add_f64_e32 v[175:176], v[175:176], v[187:188]
	v_add_f64_e32 v[177:178], v[177:178], v[179:180]
	s_wait_loadcnt_dscnt 0x800
	v_mul_f64_e32 v[179:180], v[6:7], v[16:17]
	v_mul_f64_e32 v[16:17], v[8:9], v[16:17]
	v_fma_f64 v[183:184], v[4:5], v[10:11], v[183:184]
	v_fma_f64 v[187:188], v[2:3], v[10:11], -v[12:13]
	scratch_load_b128 v[10:13], off, off offset:720
	ds_load_b128 v[2:5], v1 offset:1568
	v_add_f64_e32 v[175:176], v[175:176], v[185:186]
	v_add_f64_e32 v[177:178], v[177:178], v[181:182]
	v_fma_f64 v[179:180], v[8:9], v[14:15], v[179:180]
	v_fma_f64 v[185:186], v[6:7], v[14:15], -v[16:17]
	ds_load_b128 v[6:9], v1 offset:1584
	s_wait_loadcnt_dscnt 0x801
	v_mul_f64_e32 v[181:182], v[2:3], v[20:21]
	v_mul_f64_e32 v[20:21], v[4:5], v[20:21]
	scratch_load_b128 v[14:17], off, off offset:736
	v_add_f64_e32 v[175:176], v[175:176], v[187:188]
	v_add_f64_e32 v[177:178], v[177:178], v[183:184]
	s_wait_loadcnt_dscnt 0x800
	v_mul_f64_e32 v[183:184], v[6:7], v[24:25]
	v_mul_f64_e32 v[24:25], v[8:9], v[24:25]
	v_fma_f64 v[181:182], v[4:5], v[18:19], v[181:182]
	v_fma_f64 v[187:188], v[2:3], v[18:19], -v[20:21]
	ds_load_b128 v[2:5], v1 offset:1600
	scratch_load_b128 v[18:21], off, off offset:752
	v_add_f64_e32 v[175:176], v[175:176], v[185:186]
	v_add_f64_e32 v[177:178], v[177:178], v[179:180]
	v_fma_f64 v[183:184], v[8:9], v[22:23], v[183:184]
	v_fma_f64 v[185:186], v[6:7], v[22:23], -v[24:25]
	ds_load_b128 v[6:9], v1 offset:1616
	s_wait_loadcnt_dscnt 0x801
	v_mul_f64_e32 v[179:180], v[2:3], v[28:29]
	v_mul_f64_e32 v[28:29], v[4:5], v[28:29]
	scratch_load_b128 v[22:25], off, off offset:768
	v_add_f64_e32 v[175:176], v[175:176], v[187:188]
	v_add_f64_e32 v[177:178], v[177:178], v[181:182]
	s_wait_loadcnt_dscnt 0x800
	v_mul_f64_e32 v[181:182], v[6:7], v[32:33]
	v_mul_f64_e32 v[32:33], v[8:9], v[32:33]
	v_fma_f64 v[179:180], v[4:5], v[26:27], v[179:180]
	v_fma_f64 v[187:188], v[2:3], v[26:27], -v[28:29]
	ds_load_b128 v[2:5], v1 offset:1632
	scratch_load_b128 v[26:29], off, off offset:784
	;; [unrolled: 18-line block ×4, first 2 shown]
	v_add_f64_e32 v[175:176], v[175:176], v[185:186]
	v_add_f64_e32 v[177:178], v[177:178], v[179:180]
	v_fma_f64 v[183:184], v[8:9], v[167:168], v[183:184]
	v_fma_f64 v[185:186], v[6:7], v[167:168], -v[169:170]
	ds_load_b128 v[6:9], v1 offset:1712
	s_wait_loadcnt_dscnt 0x801
	v_mul_f64_e32 v[179:180], v[2:3], v[12:13]
	v_mul_f64_e32 v[12:13], v[4:5], v[12:13]
	scratch_load_b128 v[167:170], off, off offset:864
	v_add_f64_e32 v[175:176], v[175:176], v[187:188]
	v_add_f64_e32 v[177:178], v[177:178], v[181:182]
	s_wait_loadcnt_dscnt 0x800
	v_mul_f64_e32 v[181:182], v[6:7], v[16:17]
	v_mul_f64_e32 v[16:17], v[8:9], v[16:17]
	v_fma_f64 v[179:180], v[4:5], v[10:11], v[179:180]
	v_fma_f64 v[187:188], v[2:3], v[10:11], -v[12:13]
	scratch_load_b128 v[10:13], off, off offset:880
	ds_load_b128 v[2:5], v1 offset:1728
	v_add_f64_e32 v[175:176], v[175:176], v[185:186]
	v_add_f64_e32 v[177:178], v[177:178], v[183:184]
	v_fma_f64 v[181:182], v[8:9], v[14:15], v[181:182]
	v_fma_f64 v[185:186], v[6:7], v[14:15], -v[16:17]
	ds_load_b128 v[6:9], v1 offset:1744
	s_wait_loadcnt_dscnt 0x801
	v_mul_f64_e32 v[183:184], v[2:3], v[20:21]
	v_mul_f64_e32 v[20:21], v[4:5], v[20:21]
	scratch_load_b128 v[14:17], off, off offset:896
	v_add_f64_e32 v[175:176], v[175:176], v[187:188]
	v_add_f64_e32 v[177:178], v[177:178], v[179:180]
	s_wait_loadcnt_dscnt 0x800
	v_mul_f64_e32 v[179:180], v[6:7], v[24:25]
	v_mul_f64_e32 v[24:25], v[8:9], v[24:25]
	v_fma_f64 v[183:184], v[4:5], v[18:19], v[183:184]
	v_fma_f64 v[187:188], v[2:3], v[18:19], -v[20:21]
	ds_load_b128 v[2:5], v1 offset:1760
	scratch_load_b128 v[18:21], off, off offset:912
	v_add_f64_e32 v[175:176], v[175:176], v[185:186]
	v_add_f64_e32 v[177:178], v[177:178], v[181:182]
	v_fma_f64 v[179:180], v[8:9], v[22:23], v[179:180]
	v_fma_f64 v[185:186], v[6:7], v[22:23], -v[24:25]
	ds_load_b128 v[6:9], v1 offset:1776
	s_wait_loadcnt_dscnt 0x801
	v_mul_f64_e32 v[181:182], v[2:3], v[28:29]
	v_mul_f64_e32 v[28:29], v[4:5], v[28:29]
	scratch_load_b128 v[22:25], off, off offset:928
	v_add_f64_e32 v[175:176], v[175:176], v[187:188]
	v_add_f64_e32 v[177:178], v[177:178], v[183:184]
	s_wait_loadcnt_dscnt 0x800
	v_mul_f64_e32 v[183:184], v[6:7], v[32:33]
	v_mul_f64_e32 v[32:33], v[8:9], v[32:33]
	v_fma_f64 v[181:182], v[4:5], v[26:27], v[181:182]
	v_fma_f64 v[187:188], v[2:3], v[26:27], -v[28:29]
	ds_load_b128 v[2:5], v1 offset:1792
	scratch_load_b128 v[26:29], off, off offset:944
	;; [unrolled: 18-line block ×3, first 2 shown]
	v_add_f64_e32 v[175:176], v[175:176], v[185:186]
	v_add_f64_e32 v[177:178], v[177:178], v[183:184]
	v_fma_f64 v[181:182], v[8:9], v[171:172], v[181:182]
	v_fma_f64 v[185:186], v[6:7], v[171:172], -v[173:174]
	ds_load_b128 v[6:9], v1 offset:1840
	s_wait_loadcnt_dscnt 0x801
	v_mul_f64_e32 v[183:184], v[2:3], v[40:41]
	v_mul_f64_e32 v[40:41], v[4:5], v[40:41]
	scratch_load_b128 v[171:174], off, off offset:992
	v_add_f64_e32 v[175:176], v[175:176], v[187:188]
	v_add_f64_e32 v[177:178], v[177:178], v[179:180]
	v_fma_f64 v[183:184], v[4:5], v[38:39], v[183:184]
	v_fma_f64 v[38:39], v[2:3], v[38:39], -v[40:41]
	ds_load_b128 v[2:5], v1 offset:1856
	v_add_f64_e32 v[40:41], v[175:176], v[185:186]
	v_add_f64_e32 v[175:176], v[177:178], v[181:182]
	s_wait_loadcnt_dscnt 0x700
	v_mul_f64_e32 v[177:178], v[2:3], v[12:13]
	v_mul_f64_e32 v[12:13], v[4:5], v[12:13]
	s_delay_alu instid0(VALU_DEP_4) | instskip(NEXT) | instid1(VALU_DEP_4)
	v_add_f64_e32 v[38:39], v[40:41], v[38:39]
	v_add_f64_e32 v[40:41], v[175:176], v[183:184]
	s_delay_alu instid0(VALU_DEP_4) | instskip(NEXT) | instid1(VALU_DEP_4)
	v_fma_f64 v[175:176], v[4:5], v[10:11], v[177:178]
	v_fma_f64 v[177:178], v[2:3], v[10:11], -v[12:13]
	scratch_load_b128 v[10:13], off, off offset:352
	v_mul_f64_e32 v[179:180], v[6:7], v[169:170]
	v_mul_f64_e32 v[169:170], v[8:9], v[169:170]
	ds_load_b128 v[2:5], v1 offset:1888
	v_fma_f64 v[179:180], v[8:9], v[167:168], v[179:180]
	v_fma_f64 v[167:168], v[6:7], v[167:168], -v[169:170]
	ds_load_b128 v[6:9], v1 offset:1872
	s_wait_loadcnt_dscnt 0x700
	v_mul_f64_e32 v[169:170], v[6:7], v[16:17]
	v_mul_f64_e32 v[16:17], v[8:9], v[16:17]
	v_add_f64_e32 v[40:41], v[40:41], v[179:180]
	v_add_f64_e32 v[38:39], v[38:39], v[167:168]
	s_wait_loadcnt 0x6
	v_mul_f64_e32 v[167:168], v[2:3], v[20:21]
	v_mul_f64_e32 v[20:21], v[4:5], v[20:21]
	v_fma_f64 v[169:170], v[8:9], v[14:15], v[169:170]
	v_fma_f64 v[14:15], v[6:7], v[14:15], -v[16:17]
	ds_load_b128 v[6:9], v1 offset:1904
	v_add_f64_e32 v[16:17], v[38:39], v[177:178]
	v_add_f64_e32 v[38:39], v[40:41], v[175:176]
	v_fma_f64 v[167:168], v[4:5], v[18:19], v[167:168]
	v_fma_f64 v[18:19], v[2:3], v[18:19], -v[20:21]
	ds_load_b128 v[2:5], v1 offset:1920
	s_wait_loadcnt_dscnt 0x501
	v_mul_f64_e32 v[40:41], v[6:7], v[24:25]
	v_mul_f64_e32 v[24:25], v[8:9], v[24:25]
	s_wait_loadcnt_dscnt 0x400
	v_mul_f64_e32 v[20:21], v[2:3], v[28:29]
	v_mul_f64_e32 v[28:29], v[4:5], v[28:29]
	v_add_f64_e32 v[14:15], v[16:17], v[14:15]
	v_add_f64_e32 v[16:17], v[38:39], v[169:170]
	v_fma_f64 v[38:39], v[8:9], v[22:23], v[40:41]
	v_fma_f64 v[22:23], v[6:7], v[22:23], -v[24:25]
	ds_load_b128 v[6:9], v1 offset:1936
	v_fma_f64 v[20:21], v[4:5], v[26:27], v[20:21]
	v_fma_f64 v[26:27], v[2:3], v[26:27], -v[28:29]
	ds_load_b128 v[2:5], v1 offset:1952
	s_wait_loadcnt_dscnt 0x301
	v_mul_f64_e32 v[24:25], v[8:9], v[32:33]
	v_add_f64_e32 v[14:15], v[14:15], v[18:19]
	v_add_f64_e32 v[16:17], v[16:17], v[167:168]
	v_mul_f64_e32 v[18:19], v[6:7], v[32:33]
	s_wait_loadcnt_dscnt 0x200
	v_mul_f64_e32 v[28:29], v[4:5], v[36:37]
	v_fma_f64 v[24:25], v[6:7], v[30:31], -v[24:25]
	v_add_f64_e32 v[14:15], v[14:15], v[22:23]
	v_add_f64_e32 v[16:17], v[16:17], v[38:39]
	v_mul_f64_e32 v[22:23], v[2:3], v[36:37]
	v_fma_f64 v[18:19], v[8:9], v[30:31], v[18:19]
	ds_load_b128 v[6:9], v1 offset:1968
	v_fma_f64 v[1:2], v[2:3], v[34:35], -v[28:29]
	v_add_f64_e32 v[14:15], v[14:15], v[26:27]
	v_add_f64_e32 v[16:17], v[16:17], v[20:21]
	s_wait_loadcnt_dscnt 0x100
	v_mul_f64_e32 v[20:21], v[6:7], v[173:174]
	v_mul_f64_e32 v[26:27], v[8:9], v[173:174]
	v_fma_f64 v[4:5], v[4:5], v[34:35], v[22:23]
	v_add_f64_e32 v[14:15], v[14:15], v[24:25]
	v_add_f64_e32 v[16:17], v[16:17], v[18:19]
	v_fma_f64 v[8:9], v[8:9], v[171:172], v[20:21]
	v_fma_f64 v[6:7], v[6:7], v[171:172], -v[26:27]
	s_delay_alu instid0(VALU_DEP_4) | instskip(NEXT) | instid1(VALU_DEP_4)
	v_add_f64_e32 v[1:2], v[14:15], v[1:2]
	v_add_f64_e32 v[3:4], v[16:17], v[4:5]
	s_delay_alu instid0(VALU_DEP_2) | instskip(NEXT) | instid1(VALU_DEP_2)
	v_add_f64_e32 v[1:2], v[1:2], v[6:7]
	v_add_f64_e32 v[3:4], v[3:4], v[8:9]
	s_wait_loadcnt 0x0
	s_delay_alu instid0(VALU_DEP_2) | instskip(NEXT) | instid1(VALU_DEP_2)
	v_add_f64_e64 v[1:2], v[10:11], -v[1:2]
	v_add_f64_e64 v[3:4], v[12:13], -v[3:4]
	scratch_store_b128 off, v[1:4], off offset:352
	v_cmpx_lt_u32_e32 20, v0
	s_cbranch_execz .LBB125_357
; %bb.356:
	scratch_load_b128 v[1:4], off, s57
	v_mov_b32_e32 v5, 0
	s_delay_alu instid0(VALU_DEP_1)
	v_dual_mov_b32 v6, v5 :: v_dual_mov_b32 v7, v5
	v_mov_b32_e32 v8, v5
	scratch_store_b128 off, v[5:8], off offset:336
	s_wait_loadcnt 0x0
	ds_store_b128 v166, v[1:4]
.LBB125_357:
	s_wait_alu 0xfffe
	s_or_b32 exec_lo, exec_lo, s0
	s_wait_storecnt_dscnt 0x0
	s_barrier_signal -1
	s_barrier_wait -1
	global_inv scope:SCOPE_SE
	s_clause 0x7
	scratch_load_b128 v[2:5], off, off offset:352
	scratch_load_b128 v[6:9], off, off offset:368
	scratch_load_b128 v[10:13], off, off offset:384
	scratch_load_b128 v[14:17], off, off offset:400
	scratch_load_b128 v[18:21], off, off offset:416
	scratch_load_b128 v[22:25], off, off offset:432
	scratch_load_b128 v[26:29], off, off offset:448
	scratch_load_b128 v[30:33], off, off offset:464
	v_mov_b32_e32 v1, 0
	s_clause 0x1
	scratch_load_b128 v[34:37], off, off offset:480
	scratch_load_b128 v[171:174], off, off offset:496
	s_mov_b32 s0, exec_lo
	ds_load_b128 v[38:41], v1 offset:1328
	ds_load_b128 v[167:170], v1 offset:1344
	s_wait_loadcnt_dscnt 0x901
	v_mul_f64_e32 v[175:176], v[40:41], v[4:5]
	v_mul_f64_e32 v[4:5], v[38:39], v[4:5]
	s_wait_loadcnt_dscnt 0x800
	v_mul_f64_e32 v[177:178], v[167:168], v[8:9]
	v_mul_f64_e32 v[8:9], v[169:170], v[8:9]
	s_delay_alu instid0(VALU_DEP_4) | instskip(NEXT) | instid1(VALU_DEP_4)
	v_fma_f64 v[175:176], v[38:39], v[2:3], -v[175:176]
	v_fma_f64 v[179:180], v[40:41], v[2:3], v[4:5]
	ds_load_b128 v[2:5], v1 offset:1360
	scratch_load_b128 v[38:41], off, off offset:512
	v_fma_f64 v[177:178], v[169:170], v[6:7], v[177:178]
	v_fma_f64 v[183:184], v[167:168], v[6:7], -v[8:9]
	ds_load_b128 v[6:9], v1 offset:1376
	scratch_load_b128 v[167:170], off, off offset:528
	s_wait_loadcnt_dscnt 0x901
	v_mul_f64_e32 v[181:182], v[2:3], v[12:13]
	v_mul_f64_e32 v[12:13], v[4:5], v[12:13]
	s_wait_loadcnt_dscnt 0x800
	v_mul_f64_e32 v[185:186], v[6:7], v[16:17]
	v_mul_f64_e32 v[16:17], v[8:9], v[16:17]
	v_add_f64_e32 v[175:176], 0, v[175:176]
	v_add_f64_e32 v[179:180], 0, v[179:180]
	v_fma_f64 v[181:182], v[4:5], v[10:11], v[181:182]
	v_fma_f64 v[187:188], v[2:3], v[10:11], -v[12:13]
	ds_load_b128 v[2:5], v1 offset:1392
	scratch_load_b128 v[10:13], off, off offset:544
	v_add_f64_e32 v[175:176], v[175:176], v[183:184]
	v_add_f64_e32 v[177:178], v[179:180], v[177:178]
	v_fma_f64 v[183:184], v[8:9], v[14:15], v[185:186]
	v_fma_f64 v[185:186], v[6:7], v[14:15], -v[16:17]
	ds_load_b128 v[6:9], v1 offset:1408
	scratch_load_b128 v[14:17], off, off offset:560
	s_wait_loadcnt_dscnt 0x901
	v_mul_f64_e32 v[179:180], v[2:3], v[20:21]
	v_mul_f64_e32 v[20:21], v[4:5], v[20:21]
	v_add_f64_e32 v[175:176], v[175:176], v[187:188]
	v_add_f64_e32 v[177:178], v[177:178], v[181:182]
	s_wait_loadcnt_dscnt 0x800
	v_mul_f64_e32 v[181:182], v[6:7], v[24:25]
	v_mul_f64_e32 v[24:25], v[8:9], v[24:25]
	v_fma_f64 v[179:180], v[4:5], v[18:19], v[179:180]
	v_fma_f64 v[187:188], v[2:3], v[18:19], -v[20:21]
	ds_load_b128 v[2:5], v1 offset:1424
	scratch_load_b128 v[18:21], off, off offset:576
	v_add_f64_e32 v[175:176], v[175:176], v[185:186]
	v_add_f64_e32 v[177:178], v[177:178], v[183:184]
	v_fma_f64 v[181:182], v[8:9], v[22:23], v[181:182]
	v_fma_f64 v[185:186], v[6:7], v[22:23], -v[24:25]
	ds_load_b128 v[6:9], v1 offset:1440
	s_wait_loadcnt_dscnt 0x801
	v_mul_f64_e32 v[183:184], v[2:3], v[28:29]
	v_mul_f64_e32 v[28:29], v[4:5], v[28:29]
	scratch_load_b128 v[22:25], off, off offset:592
	v_add_f64_e32 v[175:176], v[175:176], v[187:188]
	v_add_f64_e32 v[177:178], v[177:178], v[179:180]
	s_wait_loadcnt_dscnt 0x800
	v_mul_f64_e32 v[179:180], v[6:7], v[32:33]
	v_mul_f64_e32 v[32:33], v[8:9], v[32:33]
	v_fma_f64 v[183:184], v[4:5], v[26:27], v[183:184]
	v_fma_f64 v[187:188], v[2:3], v[26:27], -v[28:29]
	ds_load_b128 v[2:5], v1 offset:1456
	scratch_load_b128 v[26:29], off, off offset:608
	v_add_f64_e32 v[175:176], v[175:176], v[185:186]
	v_add_f64_e32 v[177:178], v[177:178], v[181:182]
	v_fma_f64 v[179:180], v[8:9], v[30:31], v[179:180]
	v_fma_f64 v[185:186], v[6:7], v[30:31], -v[32:33]
	ds_load_b128 v[6:9], v1 offset:1472
	s_wait_loadcnt_dscnt 0x801
	v_mul_f64_e32 v[181:182], v[2:3], v[36:37]
	v_mul_f64_e32 v[36:37], v[4:5], v[36:37]
	scratch_load_b128 v[30:33], off, off offset:624
	v_add_f64_e32 v[175:176], v[175:176], v[187:188]
	v_add_f64_e32 v[177:178], v[177:178], v[183:184]
	s_wait_loadcnt_dscnt 0x800
	v_mul_f64_e32 v[183:184], v[6:7], v[173:174]
	v_mul_f64_e32 v[173:174], v[8:9], v[173:174]
	v_fma_f64 v[181:182], v[4:5], v[34:35], v[181:182]
	v_fma_f64 v[187:188], v[2:3], v[34:35], -v[36:37]
	ds_load_b128 v[2:5], v1 offset:1488
	scratch_load_b128 v[34:37], off, off offset:640
	v_add_f64_e32 v[175:176], v[175:176], v[185:186]
	v_add_f64_e32 v[177:178], v[177:178], v[179:180]
	v_fma_f64 v[183:184], v[8:9], v[171:172], v[183:184]
	v_fma_f64 v[185:186], v[6:7], v[171:172], -v[173:174]
	ds_load_b128 v[6:9], v1 offset:1504
	scratch_load_b128 v[171:174], off, off offset:656
	s_wait_loadcnt_dscnt 0x901
	v_mul_f64_e32 v[179:180], v[2:3], v[40:41]
	v_mul_f64_e32 v[40:41], v[4:5], v[40:41]
	v_add_f64_e32 v[175:176], v[175:176], v[187:188]
	v_add_f64_e32 v[177:178], v[177:178], v[181:182]
	s_wait_loadcnt_dscnt 0x800
	v_mul_f64_e32 v[181:182], v[6:7], v[169:170]
	v_mul_f64_e32 v[169:170], v[8:9], v[169:170]
	v_fma_f64 v[179:180], v[4:5], v[38:39], v[179:180]
	v_fma_f64 v[187:188], v[2:3], v[38:39], -v[40:41]
	ds_load_b128 v[2:5], v1 offset:1520
	scratch_load_b128 v[38:41], off, off offset:672
	v_add_f64_e32 v[175:176], v[175:176], v[185:186]
	v_add_f64_e32 v[177:178], v[177:178], v[183:184]
	v_fma_f64 v[181:182], v[8:9], v[167:168], v[181:182]
	v_fma_f64 v[185:186], v[6:7], v[167:168], -v[169:170]
	ds_load_b128 v[6:9], v1 offset:1536
	s_wait_loadcnt_dscnt 0x801
	v_mul_f64_e32 v[183:184], v[2:3], v[12:13]
	v_mul_f64_e32 v[12:13], v[4:5], v[12:13]
	scratch_load_b128 v[167:170], off, off offset:688
	v_add_f64_e32 v[175:176], v[175:176], v[187:188]
	v_add_f64_e32 v[177:178], v[177:178], v[179:180]
	s_wait_loadcnt_dscnt 0x800
	v_mul_f64_e32 v[179:180], v[6:7], v[16:17]
	v_mul_f64_e32 v[16:17], v[8:9], v[16:17]
	v_fma_f64 v[183:184], v[4:5], v[10:11], v[183:184]
	v_fma_f64 v[187:188], v[2:3], v[10:11], -v[12:13]
	ds_load_b128 v[2:5], v1 offset:1552
	scratch_load_b128 v[10:13], off, off offset:704
	v_add_f64_e32 v[175:176], v[175:176], v[185:186]
	v_add_f64_e32 v[177:178], v[177:178], v[181:182]
	v_fma_f64 v[179:180], v[8:9], v[14:15], v[179:180]
	v_fma_f64 v[185:186], v[6:7], v[14:15], -v[16:17]
	ds_load_b128 v[6:9], v1 offset:1568
	s_wait_loadcnt_dscnt 0x801
	v_mul_f64_e32 v[181:182], v[2:3], v[20:21]
	v_mul_f64_e32 v[20:21], v[4:5], v[20:21]
	scratch_load_b128 v[14:17], off, off offset:720
	;; [unrolled: 18-line block ×10, first 2 shown]
	v_add_f64_e32 v[175:176], v[175:176], v[187:188]
	v_add_f64_e32 v[177:178], v[177:178], v[179:180]
	s_wait_loadcnt_dscnt 0x800
	v_mul_f64_e32 v[179:180], v[6:7], v[169:170]
	v_mul_f64_e32 v[169:170], v[8:9], v[169:170]
	v_fma_f64 v[183:184], v[4:5], v[38:39], v[183:184]
	v_fma_f64 v[187:188], v[2:3], v[38:39], -v[40:41]
	ds_load_b128 v[2:5], v1 offset:1840
	scratch_load_b128 v[38:41], off, off offset:992
	v_add_f64_e32 v[175:176], v[175:176], v[185:186]
	v_add_f64_e32 v[177:178], v[177:178], v[181:182]
	v_fma_f64 v[179:180], v[8:9], v[167:168], v[179:180]
	v_fma_f64 v[167:168], v[6:7], v[167:168], -v[169:170]
	ds_load_b128 v[6:9], v1 offset:1856
	s_wait_loadcnt_dscnt 0x801
	v_mul_f64_e32 v[181:182], v[2:3], v[12:13]
	v_mul_f64_e32 v[12:13], v[4:5], v[12:13]
	v_add_f64_e32 v[169:170], v[175:176], v[187:188]
	v_add_f64_e32 v[175:176], v[177:178], v[183:184]
	s_wait_loadcnt_dscnt 0x700
	v_mul_f64_e32 v[177:178], v[6:7], v[16:17]
	v_mul_f64_e32 v[16:17], v[8:9], v[16:17]
	v_fma_f64 v[181:182], v[4:5], v[10:11], v[181:182]
	v_fma_f64 v[10:11], v[2:3], v[10:11], -v[12:13]
	ds_load_b128 v[2:5], v1 offset:1872
	v_add_f64_e32 v[12:13], v[169:170], v[167:168]
	v_add_f64_e32 v[167:168], v[175:176], v[179:180]
	v_fma_f64 v[175:176], v[8:9], v[14:15], v[177:178]
	v_fma_f64 v[14:15], v[6:7], v[14:15], -v[16:17]
	ds_load_b128 v[6:9], v1 offset:1888
	s_wait_loadcnt_dscnt 0x500
	v_mul_f64_e32 v[177:178], v[6:7], v[24:25]
	v_mul_f64_e32 v[24:25], v[8:9], v[24:25]
	v_add_f64_e32 v[16:17], v[12:13], v[10:11]
	v_add_f64_e32 v[167:168], v[167:168], v[181:182]
	scratch_load_b128 v[10:13], off, off offset:336
	v_mul_f64_e32 v[169:170], v[2:3], v[20:21]
	v_mul_f64_e32 v[20:21], v[4:5], v[20:21]
	v_add_f64_e32 v[14:15], v[16:17], v[14:15]
	v_add_f64_e32 v[16:17], v[167:168], v[175:176]
	v_fma_f64 v[167:168], v[8:9], v[22:23], v[177:178]
	v_fma_f64 v[169:170], v[4:5], v[18:19], v[169:170]
	v_fma_f64 v[18:19], v[2:3], v[18:19], -v[20:21]
	ds_load_b128 v[2:5], v1 offset:1904
	v_fma_f64 v[22:23], v[6:7], v[22:23], -v[24:25]
	ds_load_b128 v[6:9], v1 offset:1920
	s_wait_loadcnt_dscnt 0x501
	v_mul_f64_e32 v[20:21], v[2:3], v[28:29]
	v_mul_f64_e32 v[28:29], v[4:5], v[28:29]
	s_wait_loadcnt_dscnt 0x400
	v_mul_f64_e32 v[24:25], v[8:9], v[32:33]
	v_add_f64_e32 v[16:17], v[16:17], v[169:170]
	v_add_f64_e32 v[14:15], v[14:15], v[18:19]
	v_mul_f64_e32 v[18:19], v[6:7], v[32:33]
	v_fma_f64 v[20:21], v[4:5], v[26:27], v[20:21]
	v_fma_f64 v[26:27], v[2:3], v[26:27], -v[28:29]
	ds_load_b128 v[2:5], v1 offset:1936
	v_fma_f64 v[24:25], v[6:7], v[30:31], -v[24:25]
	v_add_f64_e32 v[16:17], v[16:17], v[167:168]
	v_add_f64_e32 v[14:15], v[14:15], v[22:23]
	v_fma_f64 v[18:19], v[8:9], v[30:31], v[18:19]
	ds_load_b128 v[6:9], v1 offset:1952
	s_wait_loadcnt_dscnt 0x301
	v_mul_f64_e32 v[22:23], v[2:3], v[36:37]
	v_mul_f64_e32 v[28:29], v[4:5], v[36:37]
	v_add_f64_e32 v[16:17], v[16:17], v[20:21]
	v_add_f64_e32 v[14:15], v[14:15], v[26:27]
	s_wait_loadcnt_dscnt 0x200
	v_mul_f64_e32 v[20:21], v[6:7], v[173:174]
	v_mul_f64_e32 v[26:27], v[8:9], v[173:174]
	v_fma_f64 v[22:23], v[4:5], v[34:35], v[22:23]
	v_fma_f64 v[28:29], v[2:3], v[34:35], -v[28:29]
	ds_load_b128 v[2:5], v1 offset:1968
	v_add_f64_e32 v[16:17], v[16:17], v[18:19]
	v_add_f64_e32 v[14:15], v[14:15], v[24:25]
	s_wait_loadcnt_dscnt 0x100
	v_mul_f64_e32 v[18:19], v[2:3], v[40:41]
	v_mul_f64_e32 v[24:25], v[4:5], v[40:41]
	v_fma_f64 v[8:9], v[8:9], v[171:172], v[20:21]
	v_fma_f64 v[6:7], v[6:7], v[171:172], -v[26:27]
	v_add_f64_e32 v[16:17], v[16:17], v[22:23]
	v_add_f64_e32 v[14:15], v[14:15], v[28:29]
	v_fma_f64 v[4:5], v[4:5], v[38:39], v[18:19]
	v_fma_f64 v[2:3], v[2:3], v[38:39], -v[24:25]
	s_delay_alu instid0(VALU_DEP_4) | instskip(NEXT) | instid1(VALU_DEP_4)
	v_add_f64_e32 v[8:9], v[16:17], v[8:9]
	v_add_f64_e32 v[6:7], v[14:15], v[6:7]
	s_delay_alu instid0(VALU_DEP_2) | instskip(NEXT) | instid1(VALU_DEP_2)
	v_add_f64_e32 v[4:5], v[8:9], v[4:5]
	v_add_f64_e32 v[2:3], v[6:7], v[2:3]
	s_wait_loadcnt 0x0
	s_delay_alu instid0(VALU_DEP_2) | instskip(NEXT) | instid1(VALU_DEP_2)
	v_add_f64_e64 v[4:5], v[12:13], -v[4:5]
	v_add_f64_e64 v[2:3], v[10:11], -v[2:3]
	scratch_store_b128 off, v[2:5], off offset:336
	v_cmpx_lt_u32_e32 19, v0
	s_cbranch_execz .LBB125_359
; %bb.358:
	scratch_load_b128 v[5:8], off, s58
	v_dual_mov_b32 v2, v1 :: v_dual_mov_b32 v3, v1
	v_mov_b32_e32 v4, v1
	scratch_store_b128 off, v[1:4], off offset:320
	s_wait_loadcnt 0x0
	ds_store_b128 v166, v[5:8]
.LBB125_359:
	s_wait_alu 0xfffe
	s_or_b32 exec_lo, exec_lo, s0
	s_wait_storecnt_dscnt 0x0
	s_barrier_signal -1
	s_barrier_wait -1
	global_inv scope:SCOPE_SE
	s_clause 0x7
	scratch_load_b128 v[2:5], off, off offset:336
	scratch_load_b128 v[6:9], off, off offset:352
	;; [unrolled: 1-line block ×8, first 2 shown]
	ds_load_b128 v[38:41], v1 offset:1312
	ds_load_b128 v[167:170], v1 offset:1328
	s_clause 0x1
	scratch_load_b128 v[34:37], off, off offset:464
	scratch_load_b128 v[171:174], off, off offset:480
	s_mov_b32 s0, exec_lo
	s_wait_loadcnt_dscnt 0x901
	v_mul_f64_e32 v[175:176], v[40:41], v[4:5]
	v_mul_f64_e32 v[4:5], v[38:39], v[4:5]
	s_wait_loadcnt_dscnt 0x800
	v_mul_f64_e32 v[177:178], v[167:168], v[8:9]
	v_mul_f64_e32 v[8:9], v[169:170], v[8:9]
	s_delay_alu instid0(VALU_DEP_4) | instskip(NEXT) | instid1(VALU_DEP_4)
	v_fma_f64 v[175:176], v[38:39], v[2:3], -v[175:176]
	v_fma_f64 v[179:180], v[40:41], v[2:3], v[4:5]
	ds_load_b128 v[2:5], v1 offset:1344
	scratch_load_b128 v[38:41], off, off offset:496
	v_fma_f64 v[177:178], v[169:170], v[6:7], v[177:178]
	v_fma_f64 v[183:184], v[167:168], v[6:7], -v[8:9]
	ds_load_b128 v[6:9], v1 offset:1360
	scratch_load_b128 v[167:170], off, off offset:512
	s_wait_loadcnt_dscnt 0x901
	v_mul_f64_e32 v[181:182], v[2:3], v[12:13]
	v_mul_f64_e32 v[12:13], v[4:5], v[12:13]
	s_wait_loadcnt_dscnt 0x800
	v_mul_f64_e32 v[185:186], v[6:7], v[16:17]
	v_mul_f64_e32 v[16:17], v[8:9], v[16:17]
	v_add_f64_e32 v[175:176], 0, v[175:176]
	v_add_f64_e32 v[179:180], 0, v[179:180]
	v_fma_f64 v[181:182], v[4:5], v[10:11], v[181:182]
	v_fma_f64 v[187:188], v[2:3], v[10:11], -v[12:13]
	ds_load_b128 v[2:5], v1 offset:1376
	scratch_load_b128 v[10:13], off, off offset:528
	v_add_f64_e32 v[175:176], v[175:176], v[183:184]
	v_add_f64_e32 v[177:178], v[179:180], v[177:178]
	v_fma_f64 v[183:184], v[8:9], v[14:15], v[185:186]
	v_fma_f64 v[185:186], v[6:7], v[14:15], -v[16:17]
	ds_load_b128 v[6:9], v1 offset:1392
	scratch_load_b128 v[14:17], off, off offset:544
	s_wait_loadcnt_dscnt 0x901
	v_mul_f64_e32 v[179:180], v[2:3], v[20:21]
	v_mul_f64_e32 v[20:21], v[4:5], v[20:21]
	v_add_f64_e32 v[175:176], v[175:176], v[187:188]
	v_add_f64_e32 v[177:178], v[177:178], v[181:182]
	s_wait_loadcnt_dscnt 0x800
	v_mul_f64_e32 v[181:182], v[6:7], v[24:25]
	v_mul_f64_e32 v[24:25], v[8:9], v[24:25]
	v_fma_f64 v[179:180], v[4:5], v[18:19], v[179:180]
	v_fma_f64 v[187:188], v[2:3], v[18:19], -v[20:21]
	ds_load_b128 v[2:5], v1 offset:1408
	scratch_load_b128 v[18:21], off, off offset:560
	v_add_f64_e32 v[175:176], v[175:176], v[185:186]
	v_add_f64_e32 v[177:178], v[177:178], v[183:184]
	v_fma_f64 v[181:182], v[8:9], v[22:23], v[181:182]
	v_fma_f64 v[185:186], v[6:7], v[22:23], -v[24:25]
	ds_load_b128 v[6:9], v1 offset:1424
	s_wait_loadcnt_dscnt 0x801
	v_mul_f64_e32 v[183:184], v[2:3], v[28:29]
	v_mul_f64_e32 v[28:29], v[4:5], v[28:29]
	scratch_load_b128 v[22:25], off, off offset:576
	v_add_f64_e32 v[175:176], v[175:176], v[187:188]
	v_add_f64_e32 v[177:178], v[177:178], v[179:180]
	s_wait_loadcnt_dscnt 0x800
	v_mul_f64_e32 v[179:180], v[6:7], v[32:33]
	v_mul_f64_e32 v[32:33], v[8:9], v[32:33]
	v_fma_f64 v[183:184], v[4:5], v[26:27], v[183:184]
	v_fma_f64 v[187:188], v[2:3], v[26:27], -v[28:29]
	ds_load_b128 v[2:5], v1 offset:1440
	scratch_load_b128 v[26:29], off, off offset:592
	v_add_f64_e32 v[175:176], v[175:176], v[185:186]
	v_add_f64_e32 v[177:178], v[177:178], v[181:182]
	v_fma_f64 v[179:180], v[8:9], v[30:31], v[179:180]
	v_fma_f64 v[185:186], v[6:7], v[30:31], -v[32:33]
	ds_load_b128 v[6:9], v1 offset:1456
	s_wait_loadcnt_dscnt 0x801
	v_mul_f64_e32 v[181:182], v[2:3], v[36:37]
	v_mul_f64_e32 v[36:37], v[4:5], v[36:37]
	scratch_load_b128 v[30:33], off, off offset:608
	v_add_f64_e32 v[175:176], v[175:176], v[187:188]
	v_add_f64_e32 v[177:178], v[177:178], v[183:184]
	s_wait_loadcnt_dscnt 0x800
	v_mul_f64_e32 v[183:184], v[6:7], v[173:174]
	v_mul_f64_e32 v[173:174], v[8:9], v[173:174]
	v_fma_f64 v[181:182], v[4:5], v[34:35], v[181:182]
	v_fma_f64 v[187:188], v[2:3], v[34:35], -v[36:37]
	ds_load_b128 v[2:5], v1 offset:1472
	scratch_load_b128 v[34:37], off, off offset:624
	v_add_f64_e32 v[175:176], v[175:176], v[185:186]
	v_add_f64_e32 v[177:178], v[177:178], v[179:180]
	v_fma_f64 v[183:184], v[8:9], v[171:172], v[183:184]
	v_fma_f64 v[185:186], v[6:7], v[171:172], -v[173:174]
	ds_load_b128 v[6:9], v1 offset:1488
	scratch_load_b128 v[171:174], off, off offset:640
	s_wait_loadcnt_dscnt 0x901
	v_mul_f64_e32 v[179:180], v[2:3], v[40:41]
	v_mul_f64_e32 v[40:41], v[4:5], v[40:41]
	v_add_f64_e32 v[175:176], v[175:176], v[187:188]
	v_add_f64_e32 v[177:178], v[177:178], v[181:182]
	s_wait_loadcnt_dscnt 0x800
	v_mul_f64_e32 v[181:182], v[6:7], v[169:170]
	v_mul_f64_e32 v[169:170], v[8:9], v[169:170]
	v_fma_f64 v[179:180], v[4:5], v[38:39], v[179:180]
	v_fma_f64 v[187:188], v[2:3], v[38:39], -v[40:41]
	ds_load_b128 v[2:5], v1 offset:1504
	scratch_load_b128 v[38:41], off, off offset:656
	v_add_f64_e32 v[175:176], v[175:176], v[185:186]
	v_add_f64_e32 v[177:178], v[177:178], v[183:184]
	v_fma_f64 v[181:182], v[8:9], v[167:168], v[181:182]
	v_fma_f64 v[185:186], v[6:7], v[167:168], -v[169:170]
	ds_load_b128 v[6:9], v1 offset:1520
	s_wait_loadcnt_dscnt 0x801
	v_mul_f64_e32 v[183:184], v[2:3], v[12:13]
	v_mul_f64_e32 v[12:13], v[4:5], v[12:13]
	scratch_load_b128 v[167:170], off, off offset:672
	v_add_f64_e32 v[175:176], v[175:176], v[187:188]
	v_add_f64_e32 v[177:178], v[177:178], v[179:180]
	s_wait_loadcnt_dscnt 0x800
	v_mul_f64_e32 v[179:180], v[6:7], v[16:17]
	v_mul_f64_e32 v[16:17], v[8:9], v[16:17]
	v_fma_f64 v[183:184], v[4:5], v[10:11], v[183:184]
	v_fma_f64 v[187:188], v[2:3], v[10:11], -v[12:13]
	ds_load_b128 v[2:5], v1 offset:1536
	scratch_load_b128 v[10:13], off, off offset:688
	v_add_f64_e32 v[175:176], v[175:176], v[185:186]
	v_add_f64_e32 v[177:178], v[177:178], v[181:182]
	v_fma_f64 v[179:180], v[8:9], v[14:15], v[179:180]
	v_fma_f64 v[185:186], v[6:7], v[14:15], -v[16:17]
	ds_load_b128 v[6:9], v1 offset:1552
	s_wait_loadcnt_dscnt 0x801
	v_mul_f64_e32 v[181:182], v[2:3], v[20:21]
	v_mul_f64_e32 v[20:21], v[4:5], v[20:21]
	scratch_load_b128 v[14:17], off, off offset:704
	;; [unrolled: 18-line block ×11, first 2 shown]
	v_add_f64_e32 v[175:176], v[175:176], v[187:188]
	v_add_f64_e32 v[177:178], v[177:178], v[183:184]
	s_wait_loadcnt_dscnt 0x800
	v_mul_f64_e32 v[183:184], v[6:7], v[16:17]
	v_mul_f64_e32 v[16:17], v[8:9], v[16:17]
	v_fma_f64 v[181:182], v[4:5], v[10:11], v[181:182]
	v_fma_f64 v[10:11], v[2:3], v[10:11], -v[12:13]
	ds_load_b128 v[2:5], v1 offset:1856
	v_add_f64_e32 v[12:13], v[175:176], v[185:186]
	v_add_f64_e32 v[175:176], v[177:178], v[179:180]
	v_fma_f64 v[179:180], v[8:9], v[14:15], v[183:184]
	v_fma_f64 v[14:15], v[6:7], v[14:15], -v[16:17]
	ds_load_b128 v[6:9], v1 offset:1872
	s_wait_loadcnt_dscnt 0x701
	v_mul_f64_e32 v[177:178], v[2:3], v[20:21]
	v_mul_f64_e32 v[20:21], v[4:5], v[20:21]
	v_add_f64_e32 v[10:11], v[12:13], v[10:11]
	v_add_f64_e32 v[12:13], v[175:176], v[181:182]
	s_delay_alu instid0(VALU_DEP_4) | instskip(NEXT) | instid1(VALU_DEP_4)
	v_fma_f64 v[175:176], v[4:5], v[18:19], v[177:178]
	v_fma_f64 v[18:19], v[2:3], v[18:19], -v[20:21]
	ds_load_b128 v[2:5], v1 offset:1888
	v_add_f64_e32 v[14:15], v[10:11], v[14:15]
	v_add_f64_e32 v[20:21], v[12:13], v[179:180]
	scratch_load_b128 v[10:13], off, off offset:320
	s_wait_loadcnt_dscnt 0x701
	v_mul_f64_e32 v[16:17], v[6:7], v[24:25]
	v_mul_f64_e32 v[24:25], v[8:9], v[24:25]
	v_add_f64_e32 v[14:15], v[14:15], v[18:19]
	v_add_f64_e32 v[18:19], v[20:21], v[175:176]
	s_delay_alu instid0(VALU_DEP_4) | instskip(NEXT) | instid1(VALU_DEP_4)
	v_fma_f64 v[16:17], v[8:9], v[22:23], v[16:17]
	v_fma_f64 v[22:23], v[6:7], v[22:23], -v[24:25]
	ds_load_b128 v[6:9], v1 offset:1904
	s_wait_loadcnt_dscnt 0x601
	v_mul_f64_e32 v[177:178], v[2:3], v[28:29]
	v_mul_f64_e32 v[28:29], v[4:5], v[28:29]
	s_wait_loadcnt_dscnt 0x500
	v_mul_f64_e32 v[20:21], v[6:7], v[32:33]
	v_mul_f64_e32 v[24:25], v[8:9], v[32:33]
	v_add_f64_e32 v[16:17], v[18:19], v[16:17]
	v_add_f64_e32 v[14:15], v[14:15], v[22:23]
	v_fma_f64 v[32:33], v[4:5], v[26:27], v[177:178]
	v_fma_f64 v[26:27], v[2:3], v[26:27], -v[28:29]
	ds_load_b128 v[2:5], v1 offset:1920
	v_fma_f64 v[20:21], v[8:9], v[30:31], v[20:21]
	v_fma_f64 v[24:25], v[6:7], v[30:31], -v[24:25]
	ds_load_b128 v[6:9], v1 offset:1936
	s_wait_loadcnt_dscnt 0x401
	v_mul_f64_e32 v[18:19], v[2:3], v[36:37]
	v_mul_f64_e32 v[22:23], v[4:5], v[36:37]
	v_add_f64_e32 v[16:17], v[16:17], v[32:33]
	v_add_f64_e32 v[14:15], v[14:15], v[26:27]
	s_wait_loadcnt_dscnt 0x300
	v_mul_f64_e32 v[26:27], v[6:7], v[173:174]
	v_mul_f64_e32 v[28:29], v[8:9], v[173:174]
	v_fma_f64 v[18:19], v[4:5], v[34:35], v[18:19]
	v_fma_f64 v[22:23], v[2:3], v[34:35], -v[22:23]
	ds_load_b128 v[2:5], v1 offset:1952
	v_add_f64_e32 v[16:17], v[16:17], v[20:21]
	v_add_f64_e32 v[14:15], v[14:15], v[24:25]
	v_fma_f64 v[26:27], v[8:9], v[171:172], v[26:27]
	v_fma_f64 v[28:29], v[6:7], v[171:172], -v[28:29]
	ds_load_b128 v[6:9], v1 offset:1968
	s_wait_loadcnt_dscnt 0x201
	v_mul_f64_e32 v[20:21], v[2:3], v[40:41]
	v_mul_f64_e32 v[24:25], v[4:5], v[40:41]
	v_add_f64_e32 v[16:17], v[16:17], v[18:19]
	v_add_f64_e32 v[14:15], v[14:15], v[22:23]
	s_wait_loadcnt_dscnt 0x100
	v_mul_f64_e32 v[18:19], v[6:7], v[169:170]
	v_mul_f64_e32 v[22:23], v[8:9], v[169:170]
	v_fma_f64 v[4:5], v[4:5], v[38:39], v[20:21]
	v_fma_f64 v[1:2], v[2:3], v[38:39], -v[24:25]
	v_add_f64_e32 v[16:17], v[16:17], v[26:27]
	v_add_f64_e32 v[14:15], v[14:15], v[28:29]
	v_fma_f64 v[8:9], v[8:9], v[167:168], v[18:19]
	v_fma_f64 v[6:7], v[6:7], v[167:168], -v[22:23]
	s_delay_alu instid0(VALU_DEP_4) | instskip(NEXT) | instid1(VALU_DEP_4)
	v_add_f64_e32 v[3:4], v[16:17], v[4:5]
	v_add_f64_e32 v[1:2], v[14:15], v[1:2]
	s_delay_alu instid0(VALU_DEP_2) | instskip(NEXT) | instid1(VALU_DEP_2)
	v_add_f64_e32 v[3:4], v[3:4], v[8:9]
	v_add_f64_e32 v[1:2], v[1:2], v[6:7]
	s_wait_loadcnt 0x0
	s_delay_alu instid0(VALU_DEP_2) | instskip(NEXT) | instid1(VALU_DEP_2)
	v_add_f64_e64 v[3:4], v[12:13], -v[3:4]
	v_add_f64_e64 v[1:2], v[10:11], -v[1:2]
	scratch_store_b128 off, v[1:4], off offset:320
	v_cmpx_lt_u32_e32 18, v0
	s_cbranch_execz .LBB125_361
; %bb.360:
	scratch_load_b128 v[1:4], off, s59
	v_mov_b32_e32 v5, 0
	s_delay_alu instid0(VALU_DEP_1)
	v_dual_mov_b32 v6, v5 :: v_dual_mov_b32 v7, v5
	v_mov_b32_e32 v8, v5
	scratch_store_b128 off, v[5:8], off offset:304
	s_wait_loadcnt 0x0
	ds_store_b128 v166, v[1:4]
.LBB125_361:
	s_wait_alu 0xfffe
	s_or_b32 exec_lo, exec_lo, s0
	s_wait_storecnt_dscnt 0x0
	s_barrier_signal -1
	s_barrier_wait -1
	global_inv scope:SCOPE_SE
	s_clause 0x7
	scratch_load_b128 v[2:5], off, off offset:320
	scratch_load_b128 v[6:9], off, off offset:336
	;; [unrolled: 1-line block ×8, first 2 shown]
	v_mov_b32_e32 v1, 0
	s_clause 0x1
	scratch_load_b128 v[34:37], off, off offset:448
	scratch_load_b128 v[171:174], off, off offset:464
	s_mov_b32 s0, exec_lo
	ds_load_b128 v[38:41], v1 offset:1296
	ds_load_b128 v[167:170], v1 offset:1312
	s_wait_loadcnt_dscnt 0x901
	v_mul_f64_e32 v[175:176], v[40:41], v[4:5]
	v_mul_f64_e32 v[4:5], v[38:39], v[4:5]
	s_wait_loadcnt_dscnt 0x800
	v_mul_f64_e32 v[177:178], v[167:168], v[8:9]
	v_mul_f64_e32 v[8:9], v[169:170], v[8:9]
	s_delay_alu instid0(VALU_DEP_4) | instskip(NEXT) | instid1(VALU_DEP_4)
	v_fma_f64 v[175:176], v[38:39], v[2:3], -v[175:176]
	v_fma_f64 v[179:180], v[40:41], v[2:3], v[4:5]
	ds_load_b128 v[2:5], v1 offset:1328
	scratch_load_b128 v[38:41], off, off offset:480
	v_fma_f64 v[177:178], v[169:170], v[6:7], v[177:178]
	v_fma_f64 v[183:184], v[167:168], v[6:7], -v[8:9]
	ds_load_b128 v[6:9], v1 offset:1344
	scratch_load_b128 v[167:170], off, off offset:496
	s_wait_loadcnt_dscnt 0x901
	v_mul_f64_e32 v[181:182], v[2:3], v[12:13]
	v_mul_f64_e32 v[12:13], v[4:5], v[12:13]
	s_wait_loadcnt_dscnt 0x800
	v_mul_f64_e32 v[185:186], v[6:7], v[16:17]
	v_mul_f64_e32 v[16:17], v[8:9], v[16:17]
	v_add_f64_e32 v[175:176], 0, v[175:176]
	v_add_f64_e32 v[179:180], 0, v[179:180]
	v_fma_f64 v[181:182], v[4:5], v[10:11], v[181:182]
	v_fma_f64 v[187:188], v[2:3], v[10:11], -v[12:13]
	ds_load_b128 v[2:5], v1 offset:1360
	scratch_load_b128 v[10:13], off, off offset:512
	v_add_f64_e32 v[175:176], v[175:176], v[183:184]
	v_add_f64_e32 v[177:178], v[179:180], v[177:178]
	v_fma_f64 v[183:184], v[8:9], v[14:15], v[185:186]
	v_fma_f64 v[185:186], v[6:7], v[14:15], -v[16:17]
	ds_load_b128 v[6:9], v1 offset:1376
	scratch_load_b128 v[14:17], off, off offset:528
	s_wait_loadcnt_dscnt 0x901
	v_mul_f64_e32 v[179:180], v[2:3], v[20:21]
	v_mul_f64_e32 v[20:21], v[4:5], v[20:21]
	v_add_f64_e32 v[175:176], v[175:176], v[187:188]
	v_add_f64_e32 v[177:178], v[177:178], v[181:182]
	s_wait_loadcnt_dscnt 0x800
	v_mul_f64_e32 v[181:182], v[6:7], v[24:25]
	v_mul_f64_e32 v[24:25], v[8:9], v[24:25]
	v_fma_f64 v[179:180], v[4:5], v[18:19], v[179:180]
	v_fma_f64 v[187:188], v[2:3], v[18:19], -v[20:21]
	ds_load_b128 v[2:5], v1 offset:1392
	scratch_load_b128 v[18:21], off, off offset:544
	v_add_f64_e32 v[175:176], v[175:176], v[185:186]
	v_add_f64_e32 v[177:178], v[177:178], v[183:184]
	v_fma_f64 v[181:182], v[8:9], v[22:23], v[181:182]
	v_fma_f64 v[185:186], v[6:7], v[22:23], -v[24:25]
	ds_load_b128 v[6:9], v1 offset:1408
	s_wait_loadcnt_dscnt 0x801
	v_mul_f64_e32 v[183:184], v[2:3], v[28:29]
	v_mul_f64_e32 v[28:29], v[4:5], v[28:29]
	scratch_load_b128 v[22:25], off, off offset:560
	v_add_f64_e32 v[175:176], v[175:176], v[187:188]
	v_add_f64_e32 v[177:178], v[177:178], v[179:180]
	s_wait_loadcnt_dscnt 0x800
	v_mul_f64_e32 v[179:180], v[6:7], v[32:33]
	v_mul_f64_e32 v[32:33], v[8:9], v[32:33]
	v_fma_f64 v[183:184], v[4:5], v[26:27], v[183:184]
	v_fma_f64 v[187:188], v[2:3], v[26:27], -v[28:29]
	ds_load_b128 v[2:5], v1 offset:1424
	scratch_load_b128 v[26:29], off, off offset:576
	v_add_f64_e32 v[175:176], v[175:176], v[185:186]
	v_add_f64_e32 v[177:178], v[177:178], v[181:182]
	v_fma_f64 v[179:180], v[8:9], v[30:31], v[179:180]
	v_fma_f64 v[185:186], v[6:7], v[30:31], -v[32:33]
	ds_load_b128 v[6:9], v1 offset:1440
	s_wait_loadcnt_dscnt 0x801
	v_mul_f64_e32 v[181:182], v[2:3], v[36:37]
	v_mul_f64_e32 v[36:37], v[4:5], v[36:37]
	scratch_load_b128 v[30:33], off, off offset:592
	v_add_f64_e32 v[175:176], v[175:176], v[187:188]
	v_add_f64_e32 v[177:178], v[177:178], v[183:184]
	s_wait_loadcnt_dscnt 0x800
	v_mul_f64_e32 v[183:184], v[6:7], v[173:174]
	v_mul_f64_e32 v[173:174], v[8:9], v[173:174]
	v_fma_f64 v[181:182], v[4:5], v[34:35], v[181:182]
	v_fma_f64 v[187:188], v[2:3], v[34:35], -v[36:37]
	ds_load_b128 v[2:5], v1 offset:1456
	scratch_load_b128 v[34:37], off, off offset:608
	v_add_f64_e32 v[175:176], v[175:176], v[185:186]
	v_add_f64_e32 v[177:178], v[177:178], v[179:180]
	v_fma_f64 v[183:184], v[8:9], v[171:172], v[183:184]
	v_fma_f64 v[185:186], v[6:7], v[171:172], -v[173:174]
	ds_load_b128 v[6:9], v1 offset:1472
	scratch_load_b128 v[171:174], off, off offset:624
	s_wait_loadcnt_dscnt 0x901
	v_mul_f64_e32 v[179:180], v[2:3], v[40:41]
	v_mul_f64_e32 v[40:41], v[4:5], v[40:41]
	v_add_f64_e32 v[175:176], v[175:176], v[187:188]
	v_add_f64_e32 v[177:178], v[177:178], v[181:182]
	s_wait_loadcnt_dscnt 0x800
	v_mul_f64_e32 v[181:182], v[6:7], v[169:170]
	v_mul_f64_e32 v[169:170], v[8:9], v[169:170]
	v_fma_f64 v[179:180], v[4:5], v[38:39], v[179:180]
	v_fma_f64 v[187:188], v[2:3], v[38:39], -v[40:41]
	ds_load_b128 v[2:5], v1 offset:1488
	scratch_load_b128 v[38:41], off, off offset:640
	v_add_f64_e32 v[175:176], v[175:176], v[185:186]
	v_add_f64_e32 v[177:178], v[177:178], v[183:184]
	v_fma_f64 v[181:182], v[8:9], v[167:168], v[181:182]
	v_fma_f64 v[185:186], v[6:7], v[167:168], -v[169:170]
	ds_load_b128 v[6:9], v1 offset:1504
	s_wait_loadcnt_dscnt 0x801
	v_mul_f64_e32 v[183:184], v[2:3], v[12:13]
	v_mul_f64_e32 v[12:13], v[4:5], v[12:13]
	scratch_load_b128 v[167:170], off, off offset:656
	v_add_f64_e32 v[175:176], v[175:176], v[187:188]
	v_add_f64_e32 v[177:178], v[177:178], v[179:180]
	s_wait_loadcnt_dscnt 0x800
	v_mul_f64_e32 v[179:180], v[6:7], v[16:17]
	v_mul_f64_e32 v[16:17], v[8:9], v[16:17]
	v_fma_f64 v[183:184], v[4:5], v[10:11], v[183:184]
	v_fma_f64 v[187:188], v[2:3], v[10:11], -v[12:13]
	ds_load_b128 v[2:5], v1 offset:1520
	scratch_load_b128 v[10:13], off, off offset:672
	v_add_f64_e32 v[175:176], v[175:176], v[185:186]
	v_add_f64_e32 v[177:178], v[177:178], v[181:182]
	v_fma_f64 v[179:180], v[8:9], v[14:15], v[179:180]
	v_fma_f64 v[185:186], v[6:7], v[14:15], -v[16:17]
	ds_load_b128 v[6:9], v1 offset:1536
	s_wait_loadcnt_dscnt 0x801
	v_mul_f64_e32 v[181:182], v[2:3], v[20:21]
	v_mul_f64_e32 v[20:21], v[4:5], v[20:21]
	scratch_load_b128 v[14:17], off, off offset:688
	;; [unrolled: 18-line block ×11, first 2 shown]
	v_add_f64_e32 v[175:176], v[175:176], v[187:188]
	v_add_f64_e32 v[177:178], v[177:178], v[183:184]
	s_wait_loadcnt_dscnt 0x800
	v_mul_f64_e32 v[183:184], v[6:7], v[16:17]
	v_mul_f64_e32 v[16:17], v[8:9], v[16:17]
	v_fma_f64 v[181:182], v[4:5], v[10:11], v[181:182]
	v_fma_f64 v[187:188], v[2:3], v[10:11], -v[12:13]
	ds_load_b128 v[2:5], v1 offset:1840
	scratch_load_b128 v[10:13], off, off offset:992
	v_add_f64_e32 v[175:176], v[175:176], v[185:186]
	v_add_f64_e32 v[177:178], v[177:178], v[179:180]
	v_fma_f64 v[183:184], v[8:9], v[14:15], v[183:184]
	v_fma_f64 v[14:15], v[6:7], v[14:15], -v[16:17]
	ds_load_b128 v[6:9], v1 offset:1856
	s_wait_loadcnt_dscnt 0x801
	v_mul_f64_e32 v[179:180], v[2:3], v[20:21]
	v_mul_f64_e32 v[20:21], v[4:5], v[20:21]
	v_add_f64_e32 v[16:17], v[175:176], v[187:188]
	v_add_f64_e32 v[175:176], v[177:178], v[181:182]
	s_wait_loadcnt_dscnt 0x700
	v_mul_f64_e32 v[177:178], v[6:7], v[24:25]
	v_mul_f64_e32 v[24:25], v[8:9], v[24:25]
	v_fma_f64 v[179:180], v[4:5], v[18:19], v[179:180]
	v_fma_f64 v[18:19], v[2:3], v[18:19], -v[20:21]
	ds_load_b128 v[2:5], v1 offset:1872
	v_add_f64_e32 v[14:15], v[16:17], v[14:15]
	v_add_f64_e32 v[16:17], v[175:176], v[183:184]
	v_fma_f64 v[175:176], v[8:9], v[22:23], v[177:178]
	v_fma_f64 v[22:23], v[6:7], v[22:23], -v[24:25]
	ds_load_b128 v[6:9], v1 offset:1888
	s_wait_loadcnt_dscnt 0x500
	v_mul_f64_e32 v[177:178], v[6:7], v[32:33]
	v_mul_f64_e32 v[32:33], v[8:9], v[32:33]
	v_add_f64_e32 v[18:19], v[14:15], v[18:19]
	v_add_f64_e32 v[24:25], v[16:17], v[179:180]
	scratch_load_b128 v[14:17], off, off offset:304
	v_mul_f64_e32 v[20:21], v[2:3], v[28:29]
	v_mul_f64_e32 v[28:29], v[4:5], v[28:29]
	v_add_f64_e32 v[18:19], v[18:19], v[22:23]
	v_add_f64_e32 v[22:23], v[24:25], v[175:176]
	s_delay_alu instid0(VALU_DEP_4) | instskip(NEXT) | instid1(VALU_DEP_4)
	v_fma_f64 v[20:21], v[4:5], v[26:27], v[20:21]
	v_fma_f64 v[26:27], v[2:3], v[26:27], -v[28:29]
	ds_load_b128 v[2:5], v1 offset:1904
	s_wait_loadcnt_dscnt 0x500
	v_mul_f64_e32 v[24:25], v[2:3], v[36:37]
	v_mul_f64_e32 v[28:29], v[4:5], v[36:37]
	v_fma_f64 v[36:37], v[8:9], v[30:31], v[177:178]
	v_fma_f64 v[30:31], v[6:7], v[30:31], -v[32:33]
	ds_load_b128 v[6:9], v1 offset:1920
	v_add_f64_e32 v[20:21], v[22:23], v[20:21]
	v_add_f64_e32 v[18:19], v[18:19], v[26:27]
	v_fma_f64 v[24:25], v[4:5], v[34:35], v[24:25]
	v_fma_f64 v[28:29], v[2:3], v[34:35], -v[28:29]
	ds_load_b128 v[2:5], v1 offset:1936
	s_wait_loadcnt_dscnt 0x401
	v_mul_f64_e32 v[22:23], v[6:7], v[173:174]
	v_mul_f64_e32 v[26:27], v[8:9], v[173:174]
	v_add_f64_e32 v[20:21], v[20:21], v[36:37]
	v_add_f64_e32 v[18:19], v[18:19], v[30:31]
	s_wait_loadcnt_dscnt 0x300
	v_mul_f64_e32 v[30:31], v[2:3], v[40:41]
	v_mul_f64_e32 v[32:33], v[4:5], v[40:41]
	v_fma_f64 v[22:23], v[8:9], v[171:172], v[22:23]
	v_fma_f64 v[26:27], v[6:7], v[171:172], -v[26:27]
	ds_load_b128 v[6:9], v1 offset:1952
	v_add_f64_e32 v[20:21], v[20:21], v[24:25]
	v_add_f64_e32 v[18:19], v[18:19], v[28:29]
	v_fma_f64 v[30:31], v[4:5], v[38:39], v[30:31]
	v_fma_f64 v[32:33], v[2:3], v[38:39], -v[32:33]
	ds_load_b128 v[2:5], v1 offset:1968
	s_wait_loadcnt_dscnt 0x201
	v_mul_f64_e32 v[24:25], v[6:7], v[169:170]
	v_mul_f64_e32 v[28:29], v[8:9], v[169:170]
	v_add_f64_e32 v[20:21], v[20:21], v[22:23]
	v_add_f64_e32 v[18:19], v[18:19], v[26:27]
	s_wait_loadcnt_dscnt 0x100
	v_mul_f64_e32 v[22:23], v[2:3], v[12:13]
	v_mul_f64_e32 v[12:13], v[4:5], v[12:13]
	v_fma_f64 v[8:9], v[8:9], v[167:168], v[24:25]
	v_fma_f64 v[6:7], v[6:7], v[167:168], -v[28:29]
	v_add_f64_e32 v[20:21], v[20:21], v[30:31]
	v_add_f64_e32 v[18:19], v[18:19], v[32:33]
	v_fma_f64 v[4:5], v[4:5], v[10:11], v[22:23]
	v_fma_f64 v[2:3], v[2:3], v[10:11], -v[12:13]
	s_delay_alu instid0(VALU_DEP_4) | instskip(NEXT) | instid1(VALU_DEP_4)
	v_add_f64_e32 v[8:9], v[20:21], v[8:9]
	v_add_f64_e32 v[6:7], v[18:19], v[6:7]
	s_delay_alu instid0(VALU_DEP_2) | instskip(NEXT) | instid1(VALU_DEP_2)
	v_add_f64_e32 v[4:5], v[8:9], v[4:5]
	v_add_f64_e32 v[2:3], v[6:7], v[2:3]
	s_wait_loadcnt 0x0
	s_delay_alu instid0(VALU_DEP_2) | instskip(NEXT) | instid1(VALU_DEP_2)
	v_add_f64_e64 v[4:5], v[16:17], -v[4:5]
	v_add_f64_e64 v[2:3], v[14:15], -v[2:3]
	scratch_store_b128 off, v[2:5], off offset:304
	v_cmpx_lt_u32_e32 17, v0
	s_cbranch_execz .LBB125_363
; %bb.362:
	scratch_load_b128 v[5:8], off, s60
	v_dual_mov_b32 v2, v1 :: v_dual_mov_b32 v3, v1
	v_mov_b32_e32 v4, v1
	scratch_store_b128 off, v[1:4], off offset:288
	s_wait_loadcnt 0x0
	ds_store_b128 v166, v[5:8]
.LBB125_363:
	s_wait_alu 0xfffe
	s_or_b32 exec_lo, exec_lo, s0
	s_wait_storecnt_dscnt 0x0
	s_barrier_signal -1
	s_barrier_wait -1
	global_inv scope:SCOPE_SE
	s_clause 0x7
	scratch_load_b128 v[2:5], off, off offset:304
	scratch_load_b128 v[6:9], off, off offset:320
	;; [unrolled: 1-line block ×8, first 2 shown]
	ds_load_b128 v[38:41], v1 offset:1280
	ds_load_b128 v[167:170], v1 offset:1296
	s_clause 0x1
	scratch_load_b128 v[34:37], off, off offset:432
	scratch_load_b128 v[171:174], off, off offset:448
	s_mov_b32 s0, exec_lo
	s_wait_loadcnt_dscnt 0x901
	v_mul_f64_e32 v[175:176], v[40:41], v[4:5]
	v_mul_f64_e32 v[4:5], v[38:39], v[4:5]
	s_wait_loadcnt_dscnt 0x800
	v_mul_f64_e32 v[177:178], v[167:168], v[8:9]
	v_mul_f64_e32 v[8:9], v[169:170], v[8:9]
	s_delay_alu instid0(VALU_DEP_4) | instskip(NEXT) | instid1(VALU_DEP_4)
	v_fma_f64 v[175:176], v[38:39], v[2:3], -v[175:176]
	v_fma_f64 v[179:180], v[40:41], v[2:3], v[4:5]
	ds_load_b128 v[2:5], v1 offset:1312
	scratch_load_b128 v[38:41], off, off offset:464
	v_fma_f64 v[177:178], v[169:170], v[6:7], v[177:178]
	v_fma_f64 v[183:184], v[167:168], v[6:7], -v[8:9]
	ds_load_b128 v[6:9], v1 offset:1328
	scratch_load_b128 v[167:170], off, off offset:480
	s_wait_loadcnt_dscnt 0x901
	v_mul_f64_e32 v[181:182], v[2:3], v[12:13]
	v_mul_f64_e32 v[12:13], v[4:5], v[12:13]
	s_wait_loadcnt_dscnt 0x800
	v_mul_f64_e32 v[185:186], v[6:7], v[16:17]
	v_mul_f64_e32 v[16:17], v[8:9], v[16:17]
	v_add_f64_e32 v[175:176], 0, v[175:176]
	v_add_f64_e32 v[179:180], 0, v[179:180]
	v_fma_f64 v[181:182], v[4:5], v[10:11], v[181:182]
	v_fma_f64 v[187:188], v[2:3], v[10:11], -v[12:13]
	ds_load_b128 v[2:5], v1 offset:1344
	scratch_load_b128 v[10:13], off, off offset:496
	v_add_f64_e32 v[175:176], v[175:176], v[183:184]
	v_add_f64_e32 v[177:178], v[179:180], v[177:178]
	v_fma_f64 v[183:184], v[8:9], v[14:15], v[185:186]
	v_fma_f64 v[185:186], v[6:7], v[14:15], -v[16:17]
	ds_load_b128 v[6:9], v1 offset:1360
	scratch_load_b128 v[14:17], off, off offset:512
	s_wait_loadcnt_dscnt 0x901
	v_mul_f64_e32 v[179:180], v[2:3], v[20:21]
	v_mul_f64_e32 v[20:21], v[4:5], v[20:21]
	v_add_f64_e32 v[175:176], v[175:176], v[187:188]
	v_add_f64_e32 v[177:178], v[177:178], v[181:182]
	s_wait_loadcnt_dscnt 0x800
	v_mul_f64_e32 v[181:182], v[6:7], v[24:25]
	v_mul_f64_e32 v[24:25], v[8:9], v[24:25]
	v_fma_f64 v[179:180], v[4:5], v[18:19], v[179:180]
	v_fma_f64 v[187:188], v[2:3], v[18:19], -v[20:21]
	ds_load_b128 v[2:5], v1 offset:1376
	scratch_load_b128 v[18:21], off, off offset:528
	v_add_f64_e32 v[175:176], v[175:176], v[185:186]
	v_add_f64_e32 v[177:178], v[177:178], v[183:184]
	v_fma_f64 v[181:182], v[8:9], v[22:23], v[181:182]
	v_fma_f64 v[185:186], v[6:7], v[22:23], -v[24:25]
	ds_load_b128 v[6:9], v1 offset:1392
	s_wait_loadcnt_dscnt 0x801
	v_mul_f64_e32 v[183:184], v[2:3], v[28:29]
	v_mul_f64_e32 v[28:29], v[4:5], v[28:29]
	scratch_load_b128 v[22:25], off, off offset:544
	v_add_f64_e32 v[175:176], v[175:176], v[187:188]
	v_add_f64_e32 v[177:178], v[177:178], v[179:180]
	s_wait_loadcnt_dscnt 0x800
	v_mul_f64_e32 v[179:180], v[6:7], v[32:33]
	v_mul_f64_e32 v[32:33], v[8:9], v[32:33]
	v_fma_f64 v[183:184], v[4:5], v[26:27], v[183:184]
	v_fma_f64 v[187:188], v[2:3], v[26:27], -v[28:29]
	ds_load_b128 v[2:5], v1 offset:1408
	scratch_load_b128 v[26:29], off, off offset:560
	v_add_f64_e32 v[175:176], v[175:176], v[185:186]
	v_add_f64_e32 v[177:178], v[177:178], v[181:182]
	v_fma_f64 v[179:180], v[8:9], v[30:31], v[179:180]
	v_fma_f64 v[185:186], v[6:7], v[30:31], -v[32:33]
	ds_load_b128 v[6:9], v1 offset:1424
	s_wait_loadcnt_dscnt 0x801
	v_mul_f64_e32 v[181:182], v[2:3], v[36:37]
	v_mul_f64_e32 v[36:37], v[4:5], v[36:37]
	scratch_load_b128 v[30:33], off, off offset:576
	v_add_f64_e32 v[175:176], v[175:176], v[187:188]
	v_add_f64_e32 v[177:178], v[177:178], v[183:184]
	s_wait_loadcnt_dscnt 0x800
	v_mul_f64_e32 v[183:184], v[6:7], v[173:174]
	v_mul_f64_e32 v[173:174], v[8:9], v[173:174]
	v_fma_f64 v[181:182], v[4:5], v[34:35], v[181:182]
	v_fma_f64 v[187:188], v[2:3], v[34:35], -v[36:37]
	ds_load_b128 v[2:5], v1 offset:1440
	scratch_load_b128 v[34:37], off, off offset:592
	v_add_f64_e32 v[175:176], v[175:176], v[185:186]
	v_add_f64_e32 v[177:178], v[177:178], v[179:180]
	v_fma_f64 v[183:184], v[8:9], v[171:172], v[183:184]
	v_fma_f64 v[185:186], v[6:7], v[171:172], -v[173:174]
	ds_load_b128 v[6:9], v1 offset:1456
	scratch_load_b128 v[171:174], off, off offset:608
	s_wait_loadcnt_dscnt 0x901
	v_mul_f64_e32 v[179:180], v[2:3], v[40:41]
	v_mul_f64_e32 v[40:41], v[4:5], v[40:41]
	v_add_f64_e32 v[175:176], v[175:176], v[187:188]
	v_add_f64_e32 v[177:178], v[177:178], v[181:182]
	s_wait_loadcnt_dscnt 0x800
	v_mul_f64_e32 v[181:182], v[6:7], v[169:170]
	v_mul_f64_e32 v[169:170], v[8:9], v[169:170]
	v_fma_f64 v[179:180], v[4:5], v[38:39], v[179:180]
	v_fma_f64 v[187:188], v[2:3], v[38:39], -v[40:41]
	ds_load_b128 v[2:5], v1 offset:1472
	scratch_load_b128 v[38:41], off, off offset:624
	v_add_f64_e32 v[175:176], v[175:176], v[185:186]
	v_add_f64_e32 v[177:178], v[177:178], v[183:184]
	v_fma_f64 v[181:182], v[8:9], v[167:168], v[181:182]
	v_fma_f64 v[185:186], v[6:7], v[167:168], -v[169:170]
	ds_load_b128 v[6:9], v1 offset:1488
	s_wait_loadcnt_dscnt 0x801
	v_mul_f64_e32 v[183:184], v[2:3], v[12:13]
	v_mul_f64_e32 v[12:13], v[4:5], v[12:13]
	scratch_load_b128 v[167:170], off, off offset:640
	v_add_f64_e32 v[175:176], v[175:176], v[187:188]
	v_add_f64_e32 v[177:178], v[177:178], v[179:180]
	s_wait_loadcnt_dscnt 0x800
	v_mul_f64_e32 v[179:180], v[6:7], v[16:17]
	v_mul_f64_e32 v[16:17], v[8:9], v[16:17]
	v_fma_f64 v[183:184], v[4:5], v[10:11], v[183:184]
	v_fma_f64 v[187:188], v[2:3], v[10:11], -v[12:13]
	ds_load_b128 v[2:5], v1 offset:1504
	scratch_load_b128 v[10:13], off, off offset:656
	v_add_f64_e32 v[175:176], v[175:176], v[185:186]
	v_add_f64_e32 v[177:178], v[177:178], v[181:182]
	v_fma_f64 v[179:180], v[8:9], v[14:15], v[179:180]
	v_fma_f64 v[185:186], v[6:7], v[14:15], -v[16:17]
	ds_load_b128 v[6:9], v1 offset:1520
	s_wait_loadcnt_dscnt 0x801
	v_mul_f64_e32 v[181:182], v[2:3], v[20:21]
	v_mul_f64_e32 v[20:21], v[4:5], v[20:21]
	scratch_load_b128 v[14:17], off, off offset:672
	;; [unrolled: 18-line block ×12, first 2 shown]
	v_add_f64_e32 v[175:176], v[175:176], v[187:188]
	v_add_f64_e32 v[177:178], v[177:178], v[181:182]
	s_wait_loadcnt_dscnt 0x800
	v_mul_f64_e32 v[181:182], v[6:7], v[24:25]
	v_mul_f64_e32 v[24:25], v[8:9], v[24:25]
	v_fma_f64 v[179:180], v[4:5], v[18:19], v[179:180]
	v_fma_f64 v[18:19], v[2:3], v[18:19], -v[20:21]
	ds_load_b128 v[2:5], v1 offset:1856
	v_add_f64_e32 v[20:21], v[175:176], v[185:186]
	v_add_f64_e32 v[175:176], v[177:178], v[183:184]
	v_fma_f64 v[181:182], v[8:9], v[22:23], v[181:182]
	v_fma_f64 v[22:23], v[6:7], v[22:23], -v[24:25]
	ds_load_b128 v[6:9], v1 offset:1872
	s_wait_loadcnt_dscnt 0x701
	v_mul_f64_e32 v[177:178], v[2:3], v[28:29]
	v_mul_f64_e32 v[28:29], v[4:5], v[28:29]
	v_add_f64_e32 v[18:19], v[20:21], v[18:19]
	v_add_f64_e32 v[20:21], v[175:176], v[179:180]
	s_delay_alu instid0(VALU_DEP_4) | instskip(NEXT) | instid1(VALU_DEP_4)
	v_fma_f64 v[175:176], v[4:5], v[26:27], v[177:178]
	v_fma_f64 v[26:27], v[2:3], v[26:27], -v[28:29]
	ds_load_b128 v[2:5], v1 offset:1888
	v_add_f64_e32 v[22:23], v[18:19], v[22:23]
	v_add_f64_e32 v[28:29], v[20:21], v[181:182]
	scratch_load_b128 v[18:21], off, off offset:288
	s_wait_loadcnt_dscnt 0x701
	v_mul_f64_e32 v[24:25], v[6:7], v[32:33]
	v_mul_f64_e32 v[32:33], v[8:9], v[32:33]
	v_add_f64_e32 v[22:23], v[22:23], v[26:27]
	v_add_f64_e32 v[26:27], v[28:29], v[175:176]
	s_delay_alu instid0(VALU_DEP_4) | instskip(NEXT) | instid1(VALU_DEP_4)
	v_fma_f64 v[24:25], v[8:9], v[30:31], v[24:25]
	v_fma_f64 v[30:31], v[6:7], v[30:31], -v[32:33]
	ds_load_b128 v[6:9], v1 offset:1904
	s_wait_loadcnt_dscnt 0x601
	v_mul_f64_e32 v[177:178], v[2:3], v[36:37]
	v_mul_f64_e32 v[36:37], v[4:5], v[36:37]
	s_wait_loadcnt_dscnt 0x500
	v_mul_f64_e32 v[28:29], v[6:7], v[173:174]
	v_mul_f64_e32 v[32:33], v[8:9], v[173:174]
	v_add_f64_e32 v[24:25], v[26:27], v[24:25]
	v_add_f64_e32 v[22:23], v[22:23], v[30:31]
	v_fma_f64 v[173:174], v[4:5], v[34:35], v[177:178]
	v_fma_f64 v[34:35], v[2:3], v[34:35], -v[36:37]
	ds_load_b128 v[2:5], v1 offset:1920
	v_fma_f64 v[28:29], v[8:9], v[171:172], v[28:29]
	v_fma_f64 v[32:33], v[6:7], v[171:172], -v[32:33]
	ds_load_b128 v[6:9], v1 offset:1936
	s_wait_loadcnt_dscnt 0x401
	v_mul_f64_e32 v[26:27], v[2:3], v[40:41]
	v_mul_f64_e32 v[30:31], v[4:5], v[40:41]
	v_add_f64_e32 v[24:25], v[24:25], v[173:174]
	v_add_f64_e32 v[22:23], v[22:23], v[34:35]
	s_wait_loadcnt_dscnt 0x300
	v_mul_f64_e32 v[34:35], v[6:7], v[169:170]
	v_mul_f64_e32 v[36:37], v[8:9], v[169:170]
	v_fma_f64 v[26:27], v[4:5], v[38:39], v[26:27]
	v_fma_f64 v[30:31], v[2:3], v[38:39], -v[30:31]
	ds_load_b128 v[2:5], v1 offset:1952
	v_add_f64_e32 v[24:25], v[24:25], v[28:29]
	v_add_f64_e32 v[22:23], v[22:23], v[32:33]
	v_fma_f64 v[32:33], v[8:9], v[167:168], v[34:35]
	v_fma_f64 v[34:35], v[6:7], v[167:168], -v[36:37]
	ds_load_b128 v[6:9], v1 offset:1968
	s_wait_loadcnt_dscnt 0x201
	v_mul_f64_e32 v[28:29], v[2:3], v[12:13]
	v_mul_f64_e32 v[12:13], v[4:5], v[12:13]
	v_add_f64_e32 v[24:25], v[24:25], v[26:27]
	v_add_f64_e32 v[22:23], v[22:23], v[30:31]
	s_wait_loadcnt_dscnt 0x100
	v_mul_f64_e32 v[26:27], v[6:7], v[16:17]
	v_mul_f64_e32 v[16:17], v[8:9], v[16:17]
	v_fma_f64 v[4:5], v[4:5], v[10:11], v[28:29]
	v_fma_f64 v[1:2], v[2:3], v[10:11], -v[12:13]
	v_add_f64_e32 v[12:13], v[24:25], v[32:33]
	v_add_f64_e32 v[10:11], v[22:23], v[34:35]
	v_fma_f64 v[8:9], v[8:9], v[14:15], v[26:27]
	v_fma_f64 v[6:7], v[6:7], v[14:15], -v[16:17]
	s_delay_alu instid0(VALU_DEP_4) | instskip(NEXT) | instid1(VALU_DEP_4)
	v_add_f64_e32 v[3:4], v[12:13], v[4:5]
	v_add_f64_e32 v[1:2], v[10:11], v[1:2]
	s_delay_alu instid0(VALU_DEP_2) | instskip(NEXT) | instid1(VALU_DEP_2)
	v_add_f64_e32 v[3:4], v[3:4], v[8:9]
	v_add_f64_e32 v[1:2], v[1:2], v[6:7]
	s_wait_loadcnt 0x0
	s_delay_alu instid0(VALU_DEP_2) | instskip(NEXT) | instid1(VALU_DEP_2)
	v_add_f64_e64 v[3:4], v[20:21], -v[3:4]
	v_add_f64_e64 v[1:2], v[18:19], -v[1:2]
	scratch_store_b128 off, v[1:4], off offset:288
	v_cmpx_lt_u32_e32 16, v0
	s_cbranch_execz .LBB125_365
; %bb.364:
	scratch_load_b128 v[1:4], off, s61
	v_mov_b32_e32 v5, 0
	s_delay_alu instid0(VALU_DEP_1)
	v_dual_mov_b32 v6, v5 :: v_dual_mov_b32 v7, v5
	v_mov_b32_e32 v8, v5
	scratch_store_b128 off, v[5:8], off offset:272
	s_wait_loadcnt 0x0
	ds_store_b128 v166, v[1:4]
.LBB125_365:
	s_wait_alu 0xfffe
	s_or_b32 exec_lo, exec_lo, s0
	s_wait_storecnt_dscnt 0x0
	s_barrier_signal -1
	s_barrier_wait -1
	global_inv scope:SCOPE_SE
	s_clause 0x7
	scratch_load_b128 v[2:5], off, off offset:288
	scratch_load_b128 v[6:9], off, off offset:304
	;; [unrolled: 1-line block ×8, first 2 shown]
	v_mov_b32_e32 v1, 0
	s_clause 0x1
	scratch_load_b128 v[34:37], off, off offset:416
	scratch_load_b128 v[171:174], off, off offset:432
	s_mov_b32 s0, exec_lo
	ds_load_b128 v[38:41], v1 offset:1264
	ds_load_b128 v[167:170], v1 offset:1280
	s_wait_loadcnt_dscnt 0x901
	v_mul_f64_e32 v[175:176], v[40:41], v[4:5]
	v_mul_f64_e32 v[4:5], v[38:39], v[4:5]
	s_wait_loadcnt_dscnt 0x800
	v_mul_f64_e32 v[177:178], v[167:168], v[8:9]
	v_mul_f64_e32 v[8:9], v[169:170], v[8:9]
	s_delay_alu instid0(VALU_DEP_4) | instskip(NEXT) | instid1(VALU_DEP_4)
	v_fma_f64 v[175:176], v[38:39], v[2:3], -v[175:176]
	v_fma_f64 v[179:180], v[40:41], v[2:3], v[4:5]
	ds_load_b128 v[2:5], v1 offset:1296
	scratch_load_b128 v[38:41], off, off offset:448
	v_fma_f64 v[177:178], v[169:170], v[6:7], v[177:178]
	v_fma_f64 v[183:184], v[167:168], v[6:7], -v[8:9]
	ds_load_b128 v[6:9], v1 offset:1312
	scratch_load_b128 v[167:170], off, off offset:464
	s_wait_loadcnt_dscnt 0x901
	v_mul_f64_e32 v[181:182], v[2:3], v[12:13]
	v_mul_f64_e32 v[12:13], v[4:5], v[12:13]
	s_wait_loadcnt_dscnt 0x800
	v_mul_f64_e32 v[185:186], v[6:7], v[16:17]
	v_mul_f64_e32 v[16:17], v[8:9], v[16:17]
	v_add_f64_e32 v[175:176], 0, v[175:176]
	v_add_f64_e32 v[179:180], 0, v[179:180]
	v_fma_f64 v[181:182], v[4:5], v[10:11], v[181:182]
	v_fma_f64 v[187:188], v[2:3], v[10:11], -v[12:13]
	ds_load_b128 v[2:5], v1 offset:1328
	scratch_load_b128 v[10:13], off, off offset:480
	v_add_f64_e32 v[175:176], v[175:176], v[183:184]
	v_add_f64_e32 v[177:178], v[179:180], v[177:178]
	v_fma_f64 v[183:184], v[8:9], v[14:15], v[185:186]
	v_fma_f64 v[185:186], v[6:7], v[14:15], -v[16:17]
	ds_load_b128 v[6:9], v1 offset:1344
	scratch_load_b128 v[14:17], off, off offset:496
	s_wait_loadcnt_dscnt 0x901
	v_mul_f64_e32 v[179:180], v[2:3], v[20:21]
	v_mul_f64_e32 v[20:21], v[4:5], v[20:21]
	v_add_f64_e32 v[175:176], v[175:176], v[187:188]
	v_add_f64_e32 v[177:178], v[177:178], v[181:182]
	s_wait_loadcnt_dscnt 0x800
	v_mul_f64_e32 v[181:182], v[6:7], v[24:25]
	v_mul_f64_e32 v[24:25], v[8:9], v[24:25]
	v_fma_f64 v[179:180], v[4:5], v[18:19], v[179:180]
	v_fma_f64 v[187:188], v[2:3], v[18:19], -v[20:21]
	ds_load_b128 v[2:5], v1 offset:1360
	scratch_load_b128 v[18:21], off, off offset:512
	v_add_f64_e32 v[175:176], v[175:176], v[185:186]
	v_add_f64_e32 v[177:178], v[177:178], v[183:184]
	v_fma_f64 v[181:182], v[8:9], v[22:23], v[181:182]
	v_fma_f64 v[185:186], v[6:7], v[22:23], -v[24:25]
	ds_load_b128 v[6:9], v1 offset:1376
	s_wait_loadcnt_dscnt 0x801
	v_mul_f64_e32 v[183:184], v[2:3], v[28:29]
	v_mul_f64_e32 v[28:29], v[4:5], v[28:29]
	scratch_load_b128 v[22:25], off, off offset:528
	v_add_f64_e32 v[175:176], v[175:176], v[187:188]
	v_add_f64_e32 v[177:178], v[177:178], v[179:180]
	s_wait_loadcnt_dscnt 0x800
	v_mul_f64_e32 v[179:180], v[6:7], v[32:33]
	v_mul_f64_e32 v[32:33], v[8:9], v[32:33]
	v_fma_f64 v[183:184], v[4:5], v[26:27], v[183:184]
	v_fma_f64 v[187:188], v[2:3], v[26:27], -v[28:29]
	ds_load_b128 v[2:5], v1 offset:1392
	scratch_load_b128 v[26:29], off, off offset:544
	v_add_f64_e32 v[175:176], v[175:176], v[185:186]
	v_add_f64_e32 v[177:178], v[177:178], v[181:182]
	v_fma_f64 v[179:180], v[8:9], v[30:31], v[179:180]
	v_fma_f64 v[185:186], v[6:7], v[30:31], -v[32:33]
	ds_load_b128 v[6:9], v1 offset:1408
	s_wait_loadcnt_dscnt 0x801
	v_mul_f64_e32 v[181:182], v[2:3], v[36:37]
	v_mul_f64_e32 v[36:37], v[4:5], v[36:37]
	scratch_load_b128 v[30:33], off, off offset:560
	v_add_f64_e32 v[175:176], v[175:176], v[187:188]
	v_add_f64_e32 v[177:178], v[177:178], v[183:184]
	s_wait_loadcnt_dscnt 0x800
	v_mul_f64_e32 v[183:184], v[6:7], v[173:174]
	v_mul_f64_e32 v[173:174], v[8:9], v[173:174]
	v_fma_f64 v[181:182], v[4:5], v[34:35], v[181:182]
	v_fma_f64 v[187:188], v[2:3], v[34:35], -v[36:37]
	ds_load_b128 v[2:5], v1 offset:1424
	scratch_load_b128 v[34:37], off, off offset:576
	v_add_f64_e32 v[175:176], v[175:176], v[185:186]
	v_add_f64_e32 v[177:178], v[177:178], v[179:180]
	v_fma_f64 v[183:184], v[8:9], v[171:172], v[183:184]
	v_fma_f64 v[185:186], v[6:7], v[171:172], -v[173:174]
	ds_load_b128 v[6:9], v1 offset:1440
	scratch_load_b128 v[171:174], off, off offset:592
	s_wait_loadcnt_dscnt 0x901
	v_mul_f64_e32 v[179:180], v[2:3], v[40:41]
	v_mul_f64_e32 v[40:41], v[4:5], v[40:41]
	v_add_f64_e32 v[175:176], v[175:176], v[187:188]
	v_add_f64_e32 v[177:178], v[177:178], v[181:182]
	s_wait_loadcnt_dscnt 0x800
	v_mul_f64_e32 v[181:182], v[6:7], v[169:170]
	v_mul_f64_e32 v[169:170], v[8:9], v[169:170]
	v_fma_f64 v[179:180], v[4:5], v[38:39], v[179:180]
	v_fma_f64 v[187:188], v[2:3], v[38:39], -v[40:41]
	ds_load_b128 v[2:5], v1 offset:1456
	scratch_load_b128 v[38:41], off, off offset:608
	v_add_f64_e32 v[175:176], v[175:176], v[185:186]
	v_add_f64_e32 v[177:178], v[177:178], v[183:184]
	v_fma_f64 v[181:182], v[8:9], v[167:168], v[181:182]
	v_fma_f64 v[185:186], v[6:7], v[167:168], -v[169:170]
	ds_load_b128 v[6:9], v1 offset:1472
	s_wait_loadcnt_dscnt 0x801
	v_mul_f64_e32 v[183:184], v[2:3], v[12:13]
	v_mul_f64_e32 v[12:13], v[4:5], v[12:13]
	scratch_load_b128 v[167:170], off, off offset:624
	v_add_f64_e32 v[175:176], v[175:176], v[187:188]
	v_add_f64_e32 v[177:178], v[177:178], v[179:180]
	s_wait_loadcnt_dscnt 0x800
	v_mul_f64_e32 v[179:180], v[6:7], v[16:17]
	v_mul_f64_e32 v[16:17], v[8:9], v[16:17]
	v_fma_f64 v[183:184], v[4:5], v[10:11], v[183:184]
	v_fma_f64 v[187:188], v[2:3], v[10:11], -v[12:13]
	ds_load_b128 v[2:5], v1 offset:1488
	scratch_load_b128 v[10:13], off, off offset:640
	v_add_f64_e32 v[175:176], v[175:176], v[185:186]
	v_add_f64_e32 v[177:178], v[177:178], v[181:182]
	v_fma_f64 v[179:180], v[8:9], v[14:15], v[179:180]
	v_fma_f64 v[185:186], v[6:7], v[14:15], -v[16:17]
	ds_load_b128 v[6:9], v1 offset:1504
	s_wait_loadcnt_dscnt 0x801
	v_mul_f64_e32 v[181:182], v[2:3], v[20:21]
	v_mul_f64_e32 v[20:21], v[4:5], v[20:21]
	scratch_load_b128 v[14:17], off, off offset:656
	;; [unrolled: 18-line block ×12, first 2 shown]
	v_add_f64_e32 v[175:176], v[175:176], v[187:188]
	v_add_f64_e32 v[177:178], v[177:178], v[181:182]
	s_wait_loadcnt_dscnt 0x800
	v_mul_f64_e32 v[181:182], v[6:7], v[24:25]
	v_mul_f64_e32 v[24:25], v[8:9], v[24:25]
	v_fma_f64 v[179:180], v[4:5], v[18:19], v[179:180]
	v_fma_f64 v[187:188], v[2:3], v[18:19], -v[20:21]
	ds_load_b128 v[2:5], v1 offset:1840
	scratch_load_b128 v[18:21], off, off offset:992
	v_add_f64_e32 v[175:176], v[175:176], v[185:186]
	v_add_f64_e32 v[177:178], v[177:178], v[183:184]
	v_fma_f64 v[181:182], v[8:9], v[22:23], v[181:182]
	v_fma_f64 v[22:23], v[6:7], v[22:23], -v[24:25]
	ds_load_b128 v[6:9], v1 offset:1856
	s_wait_loadcnt_dscnt 0x801
	v_mul_f64_e32 v[183:184], v[2:3], v[28:29]
	v_mul_f64_e32 v[28:29], v[4:5], v[28:29]
	v_add_f64_e32 v[24:25], v[175:176], v[187:188]
	v_add_f64_e32 v[175:176], v[177:178], v[179:180]
	s_wait_loadcnt_dscnt 0x700
	v_mul_f64_e32 v[177:178], v[6:7], v[32:33]
	v_mul_f64_e32 v[32:33], v[8:9], v[32:33]
	v_fma_f64 v[179:180], v[4:5], v[26:27], v[183:184]
	v_fma_f64 v[26:27], v[2:3], v[26:27], -v[28:29]
	ds_load_b128 v[2:5], v1 offset:1872
	v_add_f64_e32 v[22:23], v[24:25], v[22:23]
	v_add_f64_e32 v[24:25], v[175:176], v[181:182]
	v_fma_f64 v[175:176], v[8:9], v[30:31], v[177:178]
	v_fma_f64 v[30:31], v[6:7], v[30:31], -v[32:33]
	ds_load_b128 v[6:9], v1 offset:1888
	s_wait_loadcnt_dscnt 0x500
	v_mul_f64_e32 v[177:178], v[6:7], v[173:174]
	v_mul_f64_e32 v[173:174], v[8:9], v[173:174]
	v_add_f64_e32 v[26:27], v[22:23], v[26:27]
	v_add_f64_e32 v[32:33], v[24:25], v[179:180]
	scratch_load_b128 v[22:25], off, off offset:272
	v_mul_f64_e32 v[28:29], v[2:3], v[36:37]
	v_mul_f64_e32 v[36:37], v[4:5], v[36:37]
	v_add_f64_e32 v[26:27], v[26:27], v[30:31]
	v_add_f64_e32 v[30:31], v[32:33], v[175:176]
	s_delay_alu instid0(VALU_DEP_4) | instskip(NEXT) | instid1(VALU_DEP_4)
	v_fma_f64 v[28:29], v[4:5], v[34:35], v[28:29]
	v_fma_f64 v[34:35], v[2:3], v[34:35], -v[36:37]
	ds_load_b128 v[2:5], v1 offset:1904
	s_wait_loadcnt_dscnt 0x500
	v_mul_f64_e32 v[32:33], v[2:3], v[40:41]
	v_mul_f64_e32 v[36:37], v[4:5], v[40:41]
	v_fma_f64 v[40:41], v[8:9], v[171:172], v[177:178]
	v_fma_f64 v[171:172], v[6:7], v[171:172], -v[173:174]
	ds_load_b128 v[6:9], v1 offset:1920
	v_add_f64_e32 v[28:29], v[30:31], v[28:29]
	v_add_f64_e32 v[26:27], v[26:27], v[34:35]
	v_fma_f64 v[32:33], v[4:5], v[38:39], v[32:33]
	v_fma_f64 v[36:37], v[2:3], v[38:39], -v[36:37]
	ds_load_b128 v[2:5], v1 offset:1936
	s_wait_loadcnt_dscnt 0x401
	v_mul_f64_e32 v[30:31], v[6:7], v[169:170]
	v_mul_f64_e32 v[34:35], v[8:9], v[169:170]
	v_add_f64_e32 v[28:29], v[28:29], v[40:41]
	v_add_f64_e32 v[26:27], v[26:27], v[171:172]
	s_wait_loadcnt_dscnt 0x300
	v_mul_f64_e32 v[38:39], v[2:3], v[12:13]
	v_mul_f64_e32 v[12:13], v[4:5], v[12:13]
	v_fma_f64 v[30:31], v[8:9], v[167:168], v[30:31]
	v_fma_f64 v[34:35], v[6:7], v[167:168], -v[34:35]
	ds_load_b128 v[6:9], v1 offset:1952
	v_add_f64_e32 v[28:29], v[28:29], v[32:33]
	v_add_f64_e32 v[26:27], v[26:27], v[36:37]
	v_fma_f64 v[36:37], v[4:5], v[10:11], v[38:39]
	v_fma_f64 v[10:11], v[2:3], v[10:11], -v[12:13]
	ds_load_b128 v[2:5], v1 offset:1968
	s_wait_loadcnt_dscnt 0x201
	v_mul_f64_e32 v[32:33], v[6:7], v[16:17]
	v_mul_f64_e32 v[16:17], v[8:9], v[16:17]
	v_add_f64_e32 v[12:13], v[26:27], v[34:35]
	v_add_f64_e32 v[26:27], v[28:29], v[30:31]
	s_wait_loadcnt_dscnt 0x100
	v_mul_f64_e32 v[28:29], v[2:3], v[20:21]
	v_mul_f64_e32 v[20:21], v[4:5], v[20:21]
	v_fma_f64 v[8:9], v[8:9], v[14:15], v[32:33]
	v_fma_f64 v[6:7], v[6:7], v[14:15], -v[16:17]
	v_add_f64_e32 v[10:11], v[12:13], v[10:11]
	v_add_f64_e32 v[12:13], v[26:27], v[36:37]
	v_fma_f64 v[4:5], v[4:5], v[18:19], v[28:29]
	v_fma_f64 v[2:3], v[2:3], v[18:19], -v[20:21]
	s_delay_alu instid0(VALU_DEP_4) | instskip(NEXT) | instid1(VALU_DEP_4)
	v_add_f64_e32 v[6:7], v[10:11], v[6:7]
	v_add_f64_e32 v[8:9], v[12:13], v[8:9]
	s_delay_alu instid0(VALU_DEP_2) | instskip(NEXT) | instid1(VALU_DEP_2)
	v_add_f64_e32 v[2:3], v[6:7], v[2:3]
	v_add_f64_e32 v[4:5], v[8:9], v[4:5]
	s_wait_loadcnt 0x0
	s_delay_alu instid0(VALU_DEP_2) | instskip(NEXT) | instid1(VALU_DEP_2)
	v_add_f64_e64 v[2:3], v[22:23], -v[2:3]
	v_add_f64_e64 v[4:5], v[24:25], -v[4:5]
	scratch_store_b128 off, v[2:5], off offset:272
	v_cmpx_lt_u32_e32 15, v0
	s_cbranch_execz .LBB125_367
; %bb.366:
	scratch_load_b128 v[5:8], off, s62
	v_dual_mov_b32 v2, v1 :: v_dual_mov_b32 v3, v1
	v_mov_b32_e32 v4, v1
	scratch_store_b128 off, v[1:4], off offset:256
	s_wait_loadcnt 0x0
	ds_store_b128 v166, v[5:8]
.LBB125_367:
	s_wait_alu 0xfffe
	s_or_b32 exec_lo, exec_lo, s0
	s_wait_storecnt_dscnt 0x0
	s_barrier_signal -1
	s_barrier_wait -1
	global_inv scope:SCOPE_SE
	s_clause 0x7
	scratch_load_b128 v[2:5], off, off offset:272
	scratch_load_b128 v[6:9], off, off offset:288
	;; [unrolled: 1-line block ×8, first 2 shown]
	ds_load_b128 v[38:41], v1 offset:1248
	ds_load_b128 v[167:170], v1 offset:1264
	s_clause 0x1
	scratch_load_b128 v[34:37], off, off offset:400
	scratch_load_b128 v[171:174], off, off offset:416
	s_mov_b32 s0, exec_lo
	s_wait_loadcnt_dscnt 0x901
	v_mul_f64_e32 v[175:176], v[40:41], v[4:5]
	v_mul_f64_e32 v[4:5], v[38:39], v[4:5]
	s_wait_loadcnt_dscnt 0x800
	v_mul_f64_e32 v[177:178], v[167:168], v[8:9]
	v_mul_f64_e32 v[8:9], v[169:170], v[8:9]
	s_delay_alu instid0(VALU_DEP_4) | instskip(NEXT) | instid1(VALU_DEP_4)
	v_fma_f64 v[175:176], v[38:39], v[2:3], -v[175:176]
	v_fma_f64 v[179:180], v[40:41], v[2:3], v[4:5]
	ds_load_b128 v[2:5], v1 offset:1280
	scratch_load_b128 v[38:41], off, off offset:432
	v_fma_f64 v[177:178], v[169:170], v[6:7], v[177:178]
	v_fma_f64 v[183:184], v[167:168], v[6:7], -v[8:9]
	ds_load_b128 v[6:9], v1 offset:1296
	scratch_load_b128 v[167:170], off, off offset:448
	s_wait_loadcnt_dscnt 0x901
	v_mul_f64_e32 v[181:182], v[2:3], v[12:13]
	v_mul_f64_e32 v[12:13], v[4:5], v[12:13]
	s_wait_loadcnt_dscnt 0x800
	v_mul_f64_e32 v[185:186], v[6:7], v[16:17]
	v_mul_f64_e32 v[16:17], v[8:9], v[16:17]
	v_add_f64_e32 v[175:176], 0, v[175:176]
	v_add_f64_e32 v[179:180], 0, v[179:180]
	v_fma_f64 v[181:182], v[4:5], v[10:11], v[181:182]
	v_fma_f64 v[187:188], v[2:3], v[10:11], -v[12:13]
	ds_load_b128 v[2:5], v1 offset:1312
	scratch_load_b128 v[10:13], off, off offset:464
	v_add_f64_e32 v[175:176], v[175:176], v[183:184]
	v_add_f64_e32 v[177:178], v[179:180], v[177:178]
	v_fma_f64 v[183:184], v[8:9], v[14:15], v[185:186]
	v_fma_f64 v[185:186], v[6:7], v[14:15], -v[16:17]
	ds_load_b128 v[6:9], v1 offset:1328
	scratch_load_b128 v[14:17], off, off offset:480
	s_wait_loadcnt_dscnt 0x901
	v_mul_f64_e32 v[179:180], v[2:3], v[20:21]
	v_mul_f64_e32 v[20:21], v[4:5], v[20:21]
	v_add_f64_e32 v[175:176], v[175:176], v[187:188]
	v_add_f64_e32 v[177:178], v[177:178], v[181:182]
	s_wait_loadcnt_dscnt 0x800
	v_mul_f64_e32 v[181:182], v[6:7], v[24:25]
	v_mul_f64_e32 v[24:25], v[8:9], v[24:25]
	v_fma_f64 v[179:180], v[4:5], v[18:19], v[179:180]
	v_fma_f64 v[187:188], v[2:3], v[18:19], -v[20:21]
	ds_load_b128 v[2:5], v1 offset:1344
	scratch_load_b128 v[18:21], off, off offset:496
	v_add_f64_e32 v[175:176], v[175:176], v[185:186]
	v_add_f64_e32 v[177:178], v[177:178], v[183:184]
	v_fma_f64 v[181:182], v[8:9], v[22:23], v[181:182]
	v_fma_f64 v[185:186], v[6:7], v[22:23], -v[24:25]
	ds_load_b128 v[6:9], v1 offset:1360
	s_wait_loadcnt_dscnt 0x801
	v_mul_f64_e32 v[183:184], v[2:3], v[28:29]
	v_mul_f64_e32 v[28:29], v[4:5], v[28:29]
	scratch_load_b128 v[22:25], off, off offset:512
	v_add_f64_e32 v[175:176], v[175:176], v[187:188]
	v_add_f64_e32 v[177:178], v[177:178], v[179:180]
	s_wait_loadcnt_dscnt 0x800
	v_mul_f64_e32 v[179:180], v[6:7], v[32:33]
	v_mul_f64_e32 v[32:33], v[8:9], v[32:33]
	v_fma_f64 v[183:184], v[4:5], v[26:27], v[183:184]
	v_fma_f64 v[187:188], v[2:3], v[26:27], -v[28:29]
	ds_load_b128 v[2:5], v1 offset:1376
	scratch_load_b128 v[26:29], off, off offset:528
	v_add_f64_e32 v[175:176], v[175:176], v[185:186]
	v_add_f64_e32 v[177:178], v[177:178], v[181:182]
	v_fma_f64 v[179:180], v[8:9], v[30:31], v[179:180]
	v_fma_f64 v[185:186], v[6:7], v[30:31], -v[32:33]
	ds_load_b128 v[6:9], v1 offset:1392
	s_wait_loadcnt_dscnt 0x801
	v_mul_f64_e32 v[181:182], v[2:3], v[36:37]
	v_mul_f64_e32 v[36:37], v[4:5], v[36:37]
	scratch_load_b128 v[30:33], off, off offset:544
	v_add_f64_e32 v[175:176], v[175:176], v[187:188]
	v_add_f64_e32 v[177:178], v[177:178], v[183:184]
	s_wait_loadcnt_dscnt 0x800
	v_mul_f64_e32 v[183:184], v[6:7], v[173:174]
	v_mul_f64_e32 v[173:174], v[8:9], v[173:174]
	v_fma_f64 v[181:182], v[4:5], v[34:35], v[181:182]
	v_fma_f64 v[187:188], v[2:3], v[34:35], -v[36:37]
	ds_load_b128 v[2:5], v1 offset:1408
	scratch_load_b128 v[34:37], off, off offset:560
	v_add_f64_e32 v[175:176], v[175:176], v[185:186]
	v_add_f64_e32 v[177:178], v[177:178], v[179:180]
	v_fma_f64 v[183:184], v[8:9], v[171:172], v[183:184]
	v_fma_f64 v[185:186], v[6:7], v[171:172], -v[173:174]
	ds_load_b128 v[6:9], v1 offset:1424
	scratch_load_b128 v[171:174], off, off offset:576
	s_wait_loadcnt_dscnt 0x901
	v_mul_f64_e32 v[179:180], v[2:3], v[40:41]
	v_mul_f64_e32 v[40:41], v[4:5], v[40:41]
	v_add_f64_e32 v[175:176], v[175:176], v[187:188]
	v_add_f64_e32 v[177:178], v[177:178], v[181:182]
	s_wait_loadcnt_dscnt 0x800
	v_mul_f64_e32 v[181:182], v[6:7], v[169:170]
	v_mul_f64_e32 v[169:170], v[8:9], v[169:170]
	v_fma_f64 v[179:180], v[4:5], v[38:39], v[179:180]
	v_fma_f64 v[187:188], v[2:3], v[38:39], -v[40:41]
	ds_load_b128 v[2:5], v1 offset:1440
	scratch_load_b128 v[38:41], off, off offset:592
	v_add_f64_e32 v[175:176], v[175:176], v[185:186]
	v_add_f64_e32 v[177:178], v[177:178], v[183:184]
	v_fma_f64 v[181:182], v[8:9], v[167:168], v[181:182]
	v_fma_f64 v[185:186], v[6:7], v[167:168], -v[169:170]
	ds_load_b128 v[6:9], v1 offset:1456
	s_wait_loadcnt_dscnt 0x801
	v_mul_f64_e32 v[183:184], v[2:3], v[12:13]
	v_mul_f64_e32 v[12:13], v[4:5], v[12:13]
	scratch_load_b128 v[167:170], off, off offset:608
	v_add_f64_e32 v[175:176], v[175:176], v[187:188]
	v_add_f64_e32 v[177:178], v[177:178], v[179:180]
	s_wait_loadcnt_dscnt 0x800
	v_mul_f64_e32 v[179:180], v[6:7], v[16:17]
	v_mul_f64_e32 v[16:17], v[8:9], v[16:17]
	v_fma_f64 v[183:184], v[4:5], v[10:11], v[183:184]
	v_fma_f64 v[187:188], v[2:3], v[10:11], -v[12:13]
	ds_load_b128 v[2:5], v1 offset:1472
	scratch_load_b128 v[10:13], off, off offset:624
	v_add_f64_e32 v[175:176], v[175:176], v[185:186]
	v_add_f64_e32 v[177:178], v[177:178], v[181:182]
	v_fma_f64 v[179:180], v[8:9], v[14:15], v[179:180]
	v_fma_f64 v[185:186], v[6:7], v[14:15], -v[16:17]
	ds_load_b128 v[6:9], v1 offset:1488
	s_wait_loadcnt_dscnt 0x801
	v_mul_f64_e32 v[181:182], v[2:3], v[20:21]
	v_mul_f64_e32 v[20:21], v[4:5], v[20:21]
	scratch_load_b128 v[14:17], off, off offset:640
	;; [unrolled: 18-line block ×13, first 2 shown]
	v_add_f64_e32 v[175:176], v[175:176], v[187:188]
	v_add_f64_e32 v[177:178], v[177:178], v[179:180]
	s_wait_loadcnt_dscnt 0x800
	v_mul_f64_e32 v[179:180], v[6:7], v[32:33]
	v_mul_f64_e32 v[32:33], v[8:9], v[32:33]
	v_fma_f64 v[183:184], v[4:5], v[26:27], v[183:184]
	v_fma_f64 v[26:27], v[2:3], v[26:27], -v[28:29]
	ds_load_b128 v[2:5], v1 offset:1856
	v_add_f64_e32 v[28:29], v[175:176], v[185:186]
	v_add_f64_e32 v[175:176], v[177:178], v[181:182]
	v_fma_f64 v[179:180], v[8:9], v[30:31], v[179:180]
	v_fma_f64 v[30:31], v[6:7], v[30:31], -v[32:33]
	ds_load_b128 v[6:9], v1 offset:1872
	s_wait_loadcnt_dscnt 0x701
	v_mul_f64_e32 v[177:178], v[2:3], v[36:37]
	v_mul_f64_e32 v[36:37], v[4:5], v[36:37]
	v_add_f64_e32 v[26:27], v[28:29], v[26:27]
	v_add_f64_e32 v[28:29], v[175:176], v[183:184]
	s_delay_alu instid0(VALU_DEP_4) | instskip(NEXT) | instid1(VALU_DEP_4)
	v_fma_f64 v[175:176], v[4:5], v[34:35], v[177:178]
	v_fma_f64 v[34:35], v[2:3], v[34:35], -v[36:37]
	ds_load_b128 v[2:5], v1 offset:1888
	v_add_f64_e32 v[30:31], v[26:27], v[30:31]
	v_add_f64_e32 v[36:37], v[28:29], v[179:180]
	scratch_load_b128 v[26:29], off, off offset:256
	s_wait_loadcnt_dscnt 0x701
	v_mul_f64_e32 v[32:33], v[6:7], v[173:174]
	v_mul_f64_e32 v[173:174], v[8:9], v[173:174]
	v_add_f64_e32 v[30:31], v[30:31], v[34:35]
	v_add_f64_e32 v[34:35], v[36:37], v[175:176]
	s_delay_alu instid0(VALU_DEP_4) | instskip(NEXT) | instid1(VALU_DEP_4)
	v_fma_f64 v[32:33], v[8:9], v[171:172], v[32:33]
	v_fma_f64 v[171:172], v[6:7], v[171:172], -v[173:174]
	ds_load_b128 v[6:9], v1 offset:1904
	s_wait_loadcnt_dscnt 0x601
	v_mul_f64_e32 v[177:178], v[2:3], v[40:41]
	v_mul_f64_e32 v[40:41], v[4:5], v[40:41]
	s_wait_loadcnt_dscnt 0x500
	v_mul_f64_e32 v[36:37], v[6:7], v[169:170]
	v_mul_f64_e32 v[169:170], v[8:9], v[169:170]
	v_add_f64_e32 v[32:33], v[34:35], v[32:33]
	v_add_f64_e32 v[30:31], v[30:31], v[171:172]
	v_fma_f64 v[173:174], v[4:5], v[38:39], v[177:178]
	v_fma_f64 v[38:39], v[2:3], v[38:39], -v[40:41]
	ds_load_b128 v[2:5], v1 offset:1920
	v_fma_f64 v[36:37], v[8:9], v[167:168], v[36:37]
	v_fma_f64 v[40:41], v[6:7], v[167:168], -v[169:170]
	ds_load_b128 v[6:9], v1 offset:1936
	s_wait_loadcnt_dscnt 0x401
	v_mul_f64_e32 v[34:35], v[2:3], v[12:13]
	v_mul_f64_e32 v[12:13], v[4:5], v[12:13]
	v_add_f64_e32 v[32:33], v[32:33], v[173:174]
	v_add_f64_e32 v[30:31], v[30:31], v[38:39]
	s_wait_loadcnt_dscnt 0x300
	v_mul_f64_e32 v[38:39], v[6:7], v[16:17]
	v_mul_f64_e32 v[16:17], v[8:9], v[16:17]
	v_fma_f64 v[34:35], v[4:5], v[10:11], v[34:35]
	v_fma_f64 v[10:11], v[2:3], v[10:11], -v[12:13]
	ds_load_b128 v[2:5], v1 offset:1952
	v_add_f64_e32 v[12:13], v[30:31], v[40:41]
	v_add_f64_e32 v[30:31], v[32:33], v[36:37]
	v_fma_f64 v[36:37], v[8:9], v[14:15], v[38:39]
	v_fma_f64 v[14:15], v[6:7], v[14:15], -v[16:17]
	ds_load_b128 v[6:9], v1 offset:1968
	s_wait_loadcnt_dscnt 0x201
	v_mul_f64_e32 v[32:33], v[2:3], v[20:21]
	v_mul_f64_e32 v[20:21], v[4:5], v[20:21]
	s_wait_loadcnt_dscnt 0x100
	v_mul_f64_e32 v[16:17], v[6:7], v[24:25]
	v_mul_f64_e32 v[24:25], v[8:9], v[24:25]
	v_add_f64_e32 v[10:11], v[12:13], v[10:11]
	v_add_f64_e32 v[12:13], v[30:31], v[34:35]
	v_fma_f64 v[4:5], v[4:5], v[18:19], v[32:33]
	v_fma_f64 v[1:2], v[2:3], v[18:19], -v[20:21]
	v_fma_f64 v[8:9], v[8:9], v[22:23], v[16:17]
	v_fma_f64 v[6:7], v[6:7], v[22:23], -v[24:25]
	v_add_f64_e32 v[10:11], v[10:11], v[14:15]
	v_add_f64_e32 v[12:13], v[12:13], v[36:37]
	s_delay_alu instid0(VALU_DEP_2) | instskip(NEXT) | instid1(VALU_DEP_2)
	v_add_f64_e32 v[1:2], v[10:11], v[1:2]
	v_add_f64_e32 v[3:4], v[12:13], v[4:5]
	s_delay_alu instid0(VALU_DEP_2) | instskip(NEXT) | instid1(VALU_DEP_2)
	v_add_f64_e32 v[1:2], v[1:2], v[6:7]
	v_add_f64_e32 v[3:4], v[3:4], v[8:9]
	s_wait_loadcnt 0x0
	s_delay_alu instid0(VALU_DEP_2) | instskip(NEXT) | instid1(VALU_DEP_2)
	v_add_f64_e64 v[1:2], v[26:27], -v[1:2]
	v_add_f64_e64 v[3:4], v[28:29], -v[3:4]
	scratch_store_b128 off, v[1:4], off offset:256
	v_cmpx_lt_u32_e32 14, v0
	s_cbranch_execz .LBB125_369
; %bb.368:
	scratch_load_b128 v[1:4], off, s63
	v_mov_b32_e32 v5, 0
	s_delay_alu instid0(VALU_DEP_1)
	v_dual_mov_b32 v6, v5 :: v_dual_mov_b32 v7, v5
	v_mov_b32_e32 v8, v5
	scratch_store_b128 off, v[5:8], off offset:240
	s_wait_loadcnt 0x0
	ds_store_b128 v166, v[1:4]
.LBB125_369:
	s_wait_alu 0xfffe
	s_or_b32 exec_lo, exec_lo, s0
	s_wait_storecnt_dscnt 0x0
	s_barrier_signal -1
	s_barrier_wait -1
	global_inv scope:SCOPE_SE
	s_clause 0x7
	scratch_load_b128 v[2:5], off, off offset:256
	scratch_load_b128 v[6:9], off, off offset:272
	;; [unrolled: 1-line block ×8, first 2 shown]
	v_mov_b32_e32 v1, 0
	s_clause 0x1
	scratch_load_b128 v[34:37], off, off offset:384
	scratch_load_b128 v[171:174], off, off offset:400
	s_mov_b32 s0, exec_lo
	ds_load_b128 v[38:41], v1 offset:1232
	ds_load_b128 v[167:170], v1 offset:1248
	s_wait_loadcnt_dscnt 0x901
	v_mul_f64_e32 v[175:176], v[40:41], v[4:5]
	v_mul_f64_e32 v[4:5], v[38:39], v[4:5]
	s_wait_loadcnt_dscnt 0x800
	v_mul_f64_e32 v[177:178], v[167:168], v[8:9]
	v_mul_f64_e32 v[8:9], v[169:170], v[8:9]
	s_delay_alu instid0(VALU_DEP_4) | instskip(NEXT) | instid1(VALU_DEP_4)
	v_fma_f64 v[175:176], v[38:39], v[2:3], -v[175:176]
	v_fma_f64 v[179:180], v[40:41], v[2:3], v[4:5]
	ds_load_b128 v[2:5], v1 offset:1264
	scratch_load_b128 v[38:41], off, off offset:416
	v_fma_f64 v[177:178], v[169:170], v[6:7], v[177:178]
	v_fma_f64 v[183:184], v[167:168], v[6:7], -v[8:9]
	ds_load_b128 v[6:9], v1 offset:1280
	scratch_load_b128 v[167:170], off, off offset:432
	s_wait_loadcnt_dscnt 0x901
	v_mul_f64_e32 v[181:182], v[2:3], v[12:13]
	v_mul_f64_e32 v[12:13], v[4:5], v[12:13]
	s_wait_loadcnt_dscnt 0x800
	v_mul_f64_e32 v[185:186], v[6:7], v[16:17]
	v_mul_f64_e32 v[16:17], v[8:9], v[16:17]
	v_add_f64_e32 v[175:176], 0, v[175:176]
	v_add_f64_e32 v[179:180], 0, v[179:180]
	v_fma_f64 v[181:182], v[4:5], v[10:11], v[181:182]
	v_fma_f64 v[187:188], v[2:3], v[10:11], -v[12:13]
	ds_load_b128 v[2:5], v1 offset:1296
	scratch_load_b128 v[10:13], off, off offset:448
	v_add_f64_e32 v[175:176], v[175:176], v[183:184]
	v_add_f64_e32 v[177:178], v[179:180], v[177:178]
	v_fma_f64 v[183:184], v[8:9], v[14:15], v[185:186]
	v_fma_f64 v[185:186], v[6:7], v[14:15], -v[16:17]
	ds_load_b128 v[6:9], v1 offset:1312
	scratch_load_b128 v[14:17], off, off offset:464
	s_wait_loadcnt_dscnt 0x901
	v_mul_f64_e32 v[179:180], v[2:3], v[20:21]
	v_mul_f64_e32 v[20:21], v[4:5], v[20:21]
	v_add_f64_e32 v[175:176], v[175:176], v[187:188]
	v_add_f64_e32 v[177:178], v[177:178], v[181:182]
	s_wait_loadcnt_dscnt 0x800
	v_mul_f64_e32 v[181:182], v[6:7], v[24:25]
	v_mul_f64_e32 v[24:25], v[8:9], v[24:25]
	v_fma_f64 v[179:180], v[4:5], v[18:19], v[179:180]
	v_fma_f64 v[187:188], v[2:3], v[18:19], -v[20:21]
	ds_load_b128 v[2:5], v1 offset:1328
	scratch_load_b128 v[18:21], off, off offset:480
	v_add_f64_e32 v[175:176], v[175:176], v[185:186]
	v_add_f64_e32 v[177:178], v[177:178], v[183:184]
	v_fma_f64 v[181:182], v[8:9], v[22:23], v[181:182]
	v_fma_f64 v[185:186], v[6:7], v[22:23], -v[24:25]
	ds_load_b128 v[6:9], v1 offset:1344
	s_wait_loadcnt_dscnt 0x801
	v_mul_f64_e32 v[183:184], v[2:3], v[28:29]
	v_mul_f64_e32 v[28:29], v[4:5], v[28:29]
	scratch_load_b128 v[22:25], off, off offset:496
	v_add_f64_e32 v[175:176], v[175:176], v[187:188]
	v_add_f64_e32 v[177:178], v[177:178], v[179:180]
	s_wait_loadcnt_dscnt 0x800
	v_mul_f64_e32 v[179:180], v[6:7], v[32:33]
	v_mul_f64_e32 v[32:33], v[8:9], v[32:33]
	v_fma_f64 v[183:184], v[4:5], v[26:27], v[183:184]
	v_fma_f64 v[187:188], v[2:3], v[26:27], -v[28:29]
	ds_load_b128 v[2:5], v1 offset:1360
	scratch_load_b128 v[26:29], off, off offset:512
	v_add_f64_e32 v[175:176], v[175:176], v[185:186]
	v_add_f64_e32 v[177:178], v[177:178], v[181:182]
	v_fma_f64 v[179:180], v[8:9], v[30:31], v[179:180]
	v_fma_f64 v[185:186], v[6:7], v[30:31], -v[32:33]
	ds_load_b128 v[6:9], v1 offset:1376
	s_wait_loadcnt_dscnt 0x801
	v_mul_f64_e32 v[181:182], v[2:3], v[36:37]
	v_mul_f64_e32 v[36:37], v[4:5], v[36:37]
	scratch_load_b128 v[30:33], off, off offset:528
	v_add_f64_e32 v[175:176], v[175:176], v[187:188]
	v_add_f64_e32 v[177:178], v[177:178], v[183:184]
	s_wait_loadcnt_dscnt 0x800
	v_mul_f64_e32 v[183:184], v[6:7], v[173:174]
	v_mul_f64_e32 v[173:174], v[8:9], v[173:174]
	v_fma_f64 v[181:182], v[4:5], v[34:35], v[181:182]
	v_fma_f64 v[187:188], v[2:3], v[34:35], -v[36:37]
	ds_load_b128 v[2:5], v1 offset:1392
	scratch_load_b128 v[34:37], off, off offset:544
	v_add_f64_e32 v[175:176], v[175:176], v[185:186]
	v_add_f64_e32 v[177:178], v[177:178], v[179:180]
	v_fma_f64 v[183:184], v[8:9], v[171:172], v[183:184]
	v_fma_f64 v[185:186], v[6:7], v[171:172], -v[173:174]
	ds_load_b128 v[6:9], v1 offset:1408
	scratch_load_b128 v[171:174], off, off offset:560
	s_wait_loadcnt_dscnt 0x901
	v_mul_f64_e32 v[179:180], v[2:3], v[40:41]
	v_mul_f64_e32 v[40:41], v[4:5], v[40:41]
	v_add_f64_e32 v[175:176], v[175:176], v[187:188]
	v_add_f64_e32 v[177:178], v[177:178], v[181:182]
	s_wait_loadcnt_dscnt 0x800
	v_mul_f64_e32 v[181:182], v[6:7], v[169:170]
	v_mul_f64_e32 v[169:170], v[8:9], v[169:170]
	v_fma_f64 v[179:180], v[4:5], v[38:39], v[179:180]
	v_fma_f64 v[187:188], v[2:3], v[38:39], -v[40:41]
	ds_load_b128 v[2:5], v1 offset:1424
	scratch_load_b128 v[38:41], off, off offset:576
	v_add_f64_e32 v[175:176], v[175:176], v[185:186]
	v_add_f64_e32 v[177:178], v[177:178], v[183:184]
	v_fma_f64 v[181:182], v[8:9], v[167:168], v[181:182]
	v_fma_f64 v[185:186], v[6:7], v[167:168], -v[169:170]
	ds_load_b128 v[6:9], v1 offset:1440
	s_wait_loadcnt_dscnt 0x801
	v_mul_f64_e32 v[183:184], v[2:3], v[12:13]
	v_mul_f64_e32 v[12:13], v[4:5], v[12:13]
	scratch_load_b128 v[167:170], off, off offset:592
	v_add_f64_e32 v[175:176], v[175:176], v[187:188]
	v_add_f64_e32 v[177:178], v[177:178], v[179:180]
	s_wait_loadcnt_dscnt 0x800
	v_mul_f64_e32 v[179:180], v[6:7], v[16:17]
	v_mul_f64_e32 v[16:17], v[8:9], v[16:17]
	v_fma_f64 v[183:184], v[4:5], v[10:11], v[183:184]
	v_fma_f64 v[187:188], v[2:3], v[10:11], -v[12:13]
	ds_load_b128 v[2:5], v1 offset:1456
	scratch_load_b128 v[10:13], off, off offset:608
	v_add_f64_e32 v[175:176], v[175:176], v[185:186]
	v_add_f64_e32 v[177:178], v[177:178], v[181:182]
	v_fma_f64 v[179:180], v[8:9], v[14:15], v[179:180]
	v_fma_f64 v[185:186], v[6:7], v[14:15], -v[16:17]
	ds_load_b128 v[6:9], v1 offset:1472
	s_wait_loadcnt_dscnt 0x801
	v_mul_f64_e32 v[181:182], v[2:3], v[20:21]
	v_mul_f64_e32 v[20:21], v[4:5], v[20:21]
	scratch_load_b128 v[14:17], off, off offset:624
	;; [unrolled: 18-line block ×13, first 2 shown]
	v_add_f64_e32 v[175:176], v[175:176], v[187:188]
	v_add_f64_e32 v[177:178], v[177:178], v[179:180]
	s_wait_loadcnt_dscnt 0x800
	v_mul_f64_e32 v[179:180], v[6:7], v[32:33]
	v_mul_f64_e32 v[32:33], v[8:9], v[32:33]
	v_fma_f64 v[183:184], v[4:5], v[26:27], v[183:184]
	v_fma_f64 v[187:188], v[2:3], v[26:27], -v[28:29]
	ds_load_b128 v[2:5], v1 offset:1840
	scratch_load_b128 v[26:29], off, off offset:992
	v_add_f64_e32 v[175:176], v[175:176], v[185:186]
	v_add_f64_e32 v[177:178], v[177:178], v[181:182]
	v_fma_f64 v[179:180], v[8:9], v[30:31], v[179:180]
	v_fma_f64 v[30:31], v[6:7], v[30:31], -v[32:33]
	ds_load_b128 v[6:9], v1 offset:1856
	s_wait_loadcnt_dscnt 0x801
	v_mul_f64_e32 v[181:182], v[2:3], v[36:37]
	v_mul_f64_e32 v[36:37], v[4:5], v[36:37]
	v_add_f64_e32 v[32:33], v[175:176], v[187:188]
	v_add_f64_e32 v[175:176], v[177:178], v[183:184]
	s_wait_loadcnt_dscnt 0x700
	v_mul_f64_e32 v[177:178], v[6:7], v[173:174]
	v_mul_f64_e32 v[173:174], v[8:9], v[173:174]
	v_fma_f64 v[181:182], v[4:5], v[34:35], v[181:182]
	v_fma_f64 v[34:35], v[2:3], v[34:35], -v[36:37]
	ds_load_b128 v[2:5], v1 offset:1872
	v_add_f64_e32 v[30:31], v[32:33], v[30:31]
	v_add_f64_e32 v[32:33], v[175:176], v[179:180]
	v_fma_f64 v[175:176], v[8:9], v[171:172], v[177:178]
	v_fma_f64 v[171:172], v[6:7], v[171:172], -v[173:174]
	ds_load_b128 v[6:9], v1 offset:1888
	s_wait_loadcnt_dscnt 0x500
	v_mul_f64_e32 v[177:178], v[6:7], v[169:170]
	v_mul_f64_e32 v[169:170], v[8:9], v[169:170]
	v_add_f64_e32 v[34:35], v[30:31], v[34:35]
	v_add_f64_e32 v[173:174], v[32:33], v[181:182]
	scratch_load_b128 v[30:33], off, off offset:240
	v_mul_f64_e32 v[36:37], v[2:3], v[40:41]
	v_mul_f64_e32 v[40:41], v[4:5], v[40:41]
	v_add_f64_e32 v[34:35], v[34:35], v[171:172]
	s_delay_alu instid0(VALU_DEP_3) | instskip(NEXT) | instid1(VALU_DEP_3)
	v_fma_f64 v[36:37], v[4:5], v[38:39], v[36:37]
	v_fma_f64 v[38:39], v[2:3], v[38:39], -v[40:41]
	v_add_f64_e32 v[40:41], v[173:174], v[175:176]
	ds_load_b128 v[2:5], v1 offset:1904
	v_fma_f64 v[173:174], v[8:9], v[167:168], v[177:178]
	v_fma_f64 v[167:168], v[6:7], v[167:168], -v[169:170]
	ds_load_b128 v[6:9], v1 offset:1920
	s_wait_loadcnt_dscnt 0x501
	v_mul_f64_e32 v[171:172], v[2:3], v[12:13]
	v_mul_f64_e32 v[12:13], v[4:5], v[12:13]
	v_add_f64_e32 v[34:35], v[34:35], v[38:39]
	v_add_f64_e32 v[36:37], v[40:41], v[36:37]
	s_wait_loadcnt_dscnt 0x400
	v_mul_f64_e32 v[38:39], v[6:7], v[16:17]
	v_mul_f64_e32 v[16:17], v[8:9], v[16:17]
	v_fma_f64 v[40:41], v[4:5], v[10:11], v[171:172]
	v_fma_f64 v[10:11], v[2:3], v[10:11], -v[12:13]
	ds_load_b128 v[2:5], v1 offset:1936
	v_add_f64_e32 v[12:13], v[34:35], v[167:168]
	v_add_f64_e32 v[34:35], v[36:37], v[173:174]
	v_fma_f64 v[38:39], v[8:9], v[14:15], v[38:39]
	v_fma_f64 v[14:15], v[6:7], v[14:15], -v[16:17]
	ds_load_b128 v[6:9], v1 offset:1952
	s_wait_loadcnt_dscnt 0x301
	v_mul_f64_e32 v[36:37], v[2:3], v[20:21]
	v_mul_f64_e32 v[20:21], v[4:5], v[20:21]
	s_wait_loadcnt_dscnt 0x200
	v_mul_f64_e32 v[16:17], v[6:7], v[24:25]
	v_mul_f64_e32 v[24:25], v[8:9], v[24:25]
	v_add_f64_e32 v[10:11], v[12:13], v[10:11]
	v_add_f64_e32 v[12:13], v[34:35], v[40:41]
	v_fma_f64 v[34:35], v[4:5], v[18:19], v[36:37]
	v_fma_f64 v[18:19], v[2:3], v[18:19], -v[20:21]
	ds_load_b128 v[2:5], v1 offset:1968
	v_fma_f64 v[8:9], v[8:9], v[22:23], v[16:17]
	v_fma_f64 v[6:7], v[6:7], v[22:23], -v[24:25]
	s_wait_loadcnt_dscnt 0x100
	v_mul_f64_e32 v[20:21], v[4:5], v[28:29]
	v_add_f64_e32 v[10:11], v[10:11], v[14:15]
	v_add_f64_e32 v[12:13], v[12:13], v[38:39]
	v_mul_f64_e32 v[14:15], v[2:3], v[28:29]
	s_delay_alu instid0(VALU_DEP_4) | instskip(NEXT) | instid1(VALU_DEP_4)
	v_fma_f64 v[2:3], v[2:3], v[26:27], -v[20:21]
	v_add_f64_e32 v[10:11], v[10:11], v[18:19]
	s_delay_alu instid0(VALU_DEP_4) | instskip(NEXT) | instid1(VALU_DEP_4)
	v_add_f64_e32 v[12:13], v[12:13], v[34:35]
	v_fma_f64 v[4:5], v[4:5], v[26:27], v[14:15]
	s_delay_alu instid0(VALU_DEP_3) | instskip(NEXT) | instid1(VALU_DEP_3)
	v_add_f64_e32 v[6:7], v[10:11], v[6:7]
	v_add_f64_e32 v[8:9], v[12:13], v[8:9]
	s_delay_alu instid0(VALU_DEP_2) | instskip(NEXT) | instid1(VALU_DEP_2)
	v_add_f64_e32 v[2:3], v[6:7], v[2:3]
	v_add_f64_e32 v[4:5], v[8:9], v[4:5]
	s_wait_loadcnt 0x0
	s_delay_alu instid0(VALU_DEP_2) | instskip(NEXT) | instid1(VALU_DEP_2)
	v_add_f64_e64 v[2:3], v[30:31], -v[2:3]
	v_add_f64_e64 v[4:5], v[32:33], -v[4:5]
	scratch_store_b128 off, v[2:5], off offset:240
	v_cmpx_lt_u32_e32 13, v0
	s_cbranch_execz .LBB125_371
; %bb.370:
	scratch_load_b128 v[5:8], off, s64
	v_dual_mov_b32 v2, v1 :: v_dual_mov_b32 v3, v1
	v_mov_b32_e32 v4, v1
	scratch_store_b128 off, v[1:4], off offset:224
	s_wait_loadcnt 0x0
	ds_store_b128 v166, v[5:8]
.LBB125_371:
	s_wait_alu 0xfffe
	s_or_b32 exec_lo, exec_lo, s0
	s_wait_storecnt_dscnt 0x0
	s_barrier_signal -1
	s_barrier_wait -1
	global_inv scope:SCOPE_SE
	s_clause 0x7
	scratch_load_b128 v[2:5], off, off offset:240
	scratch_load_b128 v[6:9], off, off offset:256
	;; [unrolled: 1-line block ×8, first 2 shown]
	ds_load_b128 v[38:41], v1 offset:1216
	ds_load_b128 v[167:170], v1 offset:1232
	s_clause 0x1
	scratch_load_b128 v[34:37], off, off offset:368
	scratch_load_b128 v[171:174], off, off offset:384
	s_mov_b32 s0, exec_lo
	s_wait_loadcnt_dscnt 0x901
	v_mul_f64_e32 v[175:176], v[40:41], v[4:5]
	v_mul_f64_e32 v[4:5], v[38:39], v[4:5]
	s_wait_loadcnt_dscnt 0x800
	v_mul_f64_e32 v[177:178], v[167:168], v[8:9]
	v_mul_f64_e32 v[8:9], v[169:170], v[8:9]
	s_delay_alu instid0(VALU_DEP_4) | instskip(NEXT) | instid1(VALU_DEP_4)
	v_fma_f64 v[175:176], v[38:39], v[2:3], -v[175:176]
	v_fma_f64 v[179:180], v[40:41], v[2:3], v[4:5]
	ds_load_b128 v[2:5], v1 offset:1248
	scratch_load_b128 v[38:41], off, off offset:400
	v_fma_f64 v[177:178], v[169:170], v[6:7], v[177:178]
	v_fma_f64 v[183:184], v[167:168], v[6:7], -v[8:9]
	ds_load_b128 v[6:9], v1 offset:1264
	scratch_load_b128 v[167:170], off, off offset:416
	s_wait_loadcnt_dscnt 0x901
	v_mul_f64_e32 v[181:182], v[2:3], v[12:13]
	v_mul_f64_e32 v[12:13], v[4:5], v[12:13]
	s_wait_loadcnt_dscnt 0x800
	v_mul_f64_e32 v[185:186], v[6:7], v[16:17]
	v_mul_f64_e32 v[16:17], v[8:9], v[16:17]
	v_add_f64_e32 v[175:176], 0, v[175:176]
	v_add_f64_e32 v[179:180], 0, v[179:180]
	v_fma_f64 v[181:182], v[4:5], v[10:11], v[181:182]
	v_fma_f64 v[187:188], v[2:3], v[10:11], -v[12:13]
	ds_load_b128 v[2:5], v1 offset:1280
	scratch_load_b128 v[10:13], off, off offset:432
	v_add_f64_e32 v[175:176], v[175:176], v[183:184]
	v_add_f64_e32 v[177:178], v[179:180], v[177:178]
	v_fma_f64 v[183:184], v[8:9], v[14:15], v[185:186]
	v_fma_f64 v[185:186], v[6:7], v[14:15], -v[16:17]
	ds_load_b128 v[6:9], v1 offset:1296
	scratch_load_b128 v[14:17], off, off offset:448
	s_wait_loadcnt_dscnt 0x901
	v_mul_f64_e32 v[179:180], v[2:3], v[20:21]
	v_mul_f64_e32 v[20:21], v[4:5], v[20:21]
	v_add_f64_e32 v[175:176], v[175:176], v[187:188]
	v_add_f64_e32 v[177:178], v[177:178], v[181:182]
	s_wait_loadcnt_dscnt 0x800
	v_mul_f64_e32 v[181:182], v[6:7], v[24:25]
	v_mul_f64_e32 v[24:25], v[8:9], v[24:25]
	v_fma_f64 v[179:180], v[4:5], v[18:19], v[179:180]
	v_fma_f64 v[187:188], v[2:3], v[18:19], -v[20:21]
	ds_load_b128 v[2:5], v1 offset:1312
	scratch_load_b128 v[18:21], off, off offset:464
	v_add_f64_e32 v[175:176], v[175:176], v[185:186]
	v_add_f64_e32 v[177:178], v[177:178], v[183:184]
	v_fma_f64 v[181:182], v[8:9], v[22:23], v[181:182]
	v_fma_f64 v[185:186], v[6:7], v[22:23], -v[24:25]
	ds_load_b128 v[6:9], v1 offset:1328
	s_wait_loadcnt_dscnt 0x801
	v_mul_f64_e32 v[183:184], v[2:3], v[28:29]
	v_mul_f64_e32 v[28:29], v[4:5], v[28:29]
	scratch_load_b128 v[22:25], off, off offset:480
	v_add_f64_e32 v[175:176], v[175:176], v[187:188]
	v_add_f64_e32 v[177:178], v[177:178], v[179:180]
	s_wait_loadcnt_dscnt 0x800
	v_mul_f64_e32 v[179:180], v[6:7], v[32:33]
	v_mul_f64_e32 v[32:33], v[8:9], v[32:33]
	v_fma_f64 v[183:184], v[4:5], v[26:27], v[183:184]
	v_fma_f64 v[187:188], v[2:3], v[26:27], -v[28:29]
	ds_load_b128 v[2:5], v1 offset:1344
	scratch_load_b128 v[26:29], off, off offset:496
	v_add_f64_e32 v[175:176], v[175:176], v[185:186]
	v_add_f64_e32 v[177:178], v[177:178], v[181:182]
	v_fma_f64 v[179:180], v[8:9], v[30:31], v[179:180]
	v_fma_f64 v[185:186], v[6:7], v[30:31], -v[32:33]
	ds_load_b128 v[6:9], v1 offset:1360
	s_wait_loadcnt_dscnt 0x801
	v_mul_f64_e32 v[181:182], v[2:3], v[36:37]
	v_mul_f64_e32 v[36:37], v[4:5], v[36:37]
	scratch_load_b128 v[30:33], off, off offset:512
	v_add_f64_e32 v[175:176], v[175:176], v[187:188]
	v_add_f64_e32 v[177:178], v[177:178], v[183:184]
	s_wait_loadcnt_dscnt 0x800
	v_mul_f64_e32 v[183:184], v[6:7], v[173:174]
	v_mul_f64_e32 v[173:174], v[8:9], v[173:174]
	v_fma_f64 v[181:182], v[4:5], v[34:35], v[181:182]
	v_fma_f64 v[187:188], v[2:3], v[34:35], -v[36:37]
	ds_load_b128 v[2:5], v1 offset:1376
	scratch_load_b128 v[34:37], off, off offset:528
	v_add_f64_e32 v[175:176], v[175:176], v[185:186]
	v_add_f64_e32 v[177:178], v[177:178], v[179:180]
	v_fma_f64 v[183:184], v[8:9], v[171:172], v[183:184]
	v_fma_f64 v[185:186], v[6:7], v[171:172], -v[173:174]
	ds_load_b128 v[6:9], v1 offset:1392
	scratch_load_b128 v[171:174], off, off offset:544
	s_wait_loadcnt_dscnt 0x901
	v_mul_f64_e32 v[179:180], v[2:3], v[40:41]
	v_mul_f64_e32 v[40:41], v[4:5], v[40:41]
	v_add_f64_e32 v[175:176], v[175:176], v[187:188]
	v_add_f64_e32 v[177:178], v[177:178], v[181:182]
	s_wait_loadcnt_dscnt 0x800
	v_mul_f64_e32 v[181:182], v[6:7], v[169:170]
	v_mul_f64_e32 v[169:170], v[8:9], v[169:170]
	v_fma_f64 v[179:180], v[4:5], v[38:39], v[179:180]
	v_fma_f64 v[187:188], v[2:3], v[38:39], -v[40:41]
	ds_load_b128 v[2:5], v1 offset:1408
	scratch_load_b128 v[38:41], off, off offset:560
	v_add_f64_e32 v[175:176], v[175:176], v[185:186]
	v_add_f64_e32 v[177:178], v[177:178], v[183:184]
	v_fma_f64 v[181:182], v[8:9], v[167:168], v[181:182]
	v_fma_f64 v[185:186], v[6:7], v[167:168], -v[169:170]
	ds_load_b128 v[6:9], v1 offset:1424
	s_wait_loadcnt_dscnt 0x801
	v_mul_f64_e32 v[183:184], v[2:3], v[12:13]
	v_mul_f64_e32 v[12:13], v[4:5], v[12:13]
	scratch_load_b128 v[167:170], off, off offset:576
	v_add_f64_e32 v[175:176], v[175:176], v[187:188]
	v_add_f64_e32 v[177:178], v[177:178], v[179:180]
	s_wait_loadcnt_dscnt 0x800
	v_mul_f64_e32 v[179:180], v[6:7], v[16:17]
	v_mul_f64_e32 v[16:17], v[8:9], v[16:17]
	v_fma_f64 v[183:184], v[4:5], v[10:11], v[183:184]
	v_fma_f64 v[187:188], v[2:3], v[10:11], -v[12:13]
	ds_load_b128 v[2:5], v1 offset:1440
	scratch_load_b128 v[10:13], off, off offset:592
	v_add_f64_e32 v[175:176], v[175:176], v[185:186]
	v_add_f64_e32 v[177:178], v[177:178], v[181:182]
	v_fma_f64 v[179:180], v[8:9], v[14:15], v[179:180]
	v_fma_f64 v[185:186], v[6:7], v[14:15], -v[16:17]
	ds_load_b128 v[6:9], v1 offset:1456
	s_wait_loadcnt_dscnt 0x801
	v_mul_f64_e32 v[181:182], v[2:3], v[20:21]
	v_mul_f64_e32 v[20:21], v[4:5], v[20:21]
	scratch_load_b128 v[14:17], off, off offset:608
	v_add_f64_e32 v[175:176], v[175:176], v[187:188]
	v_add_f64_e32 v[177:178], v[177:178], v[183:184]
	s_wait_loadcnt_dscnt 0x800
	v_mul_f64_e32 v[183:184], v[6:7], v[24:25]
	v_mul_f64_e32 v[24:25], v[8:9], v[24:25]
	v_fma_f64 v[181:182], v[4:5], v[18:19], v[181:182]
	v_fma_f64 v[187:188], v[2:3], v[18:19], -v[20:21]
	ds_load_b128 v[2:5], v1 offset:1472
	scratch_load_b128 v[18:21], off, off offset:624
	v_add_f64_e32 v[175:176], v[175:176], v[185:186]
	v_add_f64_e32 v[177:178], v[177:178], v[179:180]
	v_fma_f64 v[183:184], v[8:9], v[22:23], v[183:184]
	v_fma_f64 v[185:186], v[6:7], v[22:23], -v[24:25]
	ds_load_b128 v[6:9], v1 offset:1488
	s_wait_loadcnt_dscnt 0x801
	v_mul_f64_e32 v[179:180], v[2:3], v[28:29]
	v_mul_f64_e32 v[28:29], v[4:5], v[28:29]
	scratch_load_b128 v[22:25], off, off offset:640
	v_add_f64_e32 v[175:176], v[175:176], v[187:188]
	v_add_f64_e32 v[177:178], v[177:178], v[181:182]
	s_wait_loadcnt_dscnt 0x800
	v_mul_f64_e32 v[181:182], v[6:7], v[32:33]
	v_mul_f64_e32 v[32:33], v[8:9], v[32:33]
	v_fma_f64 v[179:180], v[4:5], v[26:27], v[179:180]
	v_fma_f64 v[187:188], v[2:3], v[26:27], -v[28:29]
	ds_load_b128 v[2:5], v1 offset:1504
	scratch_load_b128 v[26:29], off, off offset:656
	v_add_f64_e32 v[175:176], v[175:176], v[185:186]
	v_add_f64_e32 v[177:178], v[177:178], v[183:184]
	v_fma_f64 v[181:182], v[8:9], v[30:31], v[181:182]
	v_fma_f64 v[185:186], v[6:7], v[30:31], -v[32:33]
	ds_load_b128 v[6:9], v1 offset:1520
	s_wait_loadcnt_dscnt 0x801
	v_mul_f64_e32 v[183:184], v[2:3], v[36:37]
	v_mul_f64_e32 v[36:37], v[4:5], v[36:37]
	scratch_load_b128 v[30:33], off, off offset:672
	v_add_f64_e32 v[175:176], v[175:176], v[187:188]
	v_add_f64_e32 v[177:178], v[177:178], v[179:180]
	s_wait_loadcnt_dscnt 0x800
	v_mul_f64_e32 v[179:180], v[6:7], v[173:174]
	v_mul_f64_e32 v[173:174], v[8:9], v[173:174]
	v_fma_f64 v[183:184], v[4:5], v[34:35], v[183:184]
	v_fma_f64 v[187:188], v[2:3], v[34:35], -v[36:37]
	ds_load_b128 v[2:5], v1 offset:1536
	scratch_load_b128 v[34:37], off, off offset:688
	v_add_f64_e32 v[175:176], v[175:176], v[185:186]
	v_add_f64_e32 v[177:178], v[177:178], v[181:182]
	v_fma_f64 v[179:180], v[8:9], v[171:172], v[179:180]
	v_fma_f64 v[185:186], v[6:7], v[171:172], -v[173:174]
	ds_load_b128 v[6:9], v1 offset:1552
	s_wait_loadcnt_dscnt 0x801
	v_mul_f64_e32 v[181:182], v[2:3], v[40:41]
	v_mul_f64_e32 v[40:41], v[4:5], v[40:41]
	scratch_load_b128 v[171:174], off, off offset:704
	v_add_f64_e32 v[175:176], v[175:176], v[187:188]
	v_add_f64_e32 v[177:178], v[177:178], v[183:184]
	s_wait_loadcnt_dscnt 0x800
	v_mul_f64_e32 v[183:184], v[6:7], v[169:170]
	v_mul_f64_e32 v[169:170], v[8:9], v[169:170]
	v_fma_f64 v[181:182], v[4:5], v[38:39], v[181:182]
	v_fma_f64 v[187:188], v[2:3], v[38:39], -v[40:41]
	ds_load_b128 v[2:5], v1 offset:1568
	scratch_load_b128 v[38:41], off, off offset:720
	v_add_f64_e32 v[175:176], v[175:176], v[185:186]
	v_add_f64_e32 v[177:178], v[177:178], v[179:180]
	v_fma_f64 v[183:184], v[8:9], v[167:168], v[183:184]
	v_fma_f64 v[185:186], v[6:7], v[167:168], -v[169:170]
	ds_load_b128 v[6:9], v1 offset:1584
	s_wait_loadcnt_dscnt 0x801
	v_mul_f64_e32 v[179:180], v[2:3], v[12:13]
	v_mul_f64_e32 v[12:13], v[4:5], v[12:13]
	scratch_load_b128 v[167:170], off, off offset:736
	v_add_f64_e32 v[175:176], v[175:176], v[187:188]
	v_add_f64_e32 v[177:178], v[177:178], v[181:182]
	s_wait_loadcnt_dscnt 0x800
	v_mul_f64_e32 v[181:182], v[6:7], v[16:17]
	v_mul_f64_e32 v[16:17], v[8:9], v[16:17]
	v_fma_f64 v[179:180], v[4:5], v[10:11], v[179:180]
	v_fma_f64 v[187:188], v[2:3], v[10:11], -v[12:13]
	ds_load_b128 v[2:5], v1 offset:1600
	scratch_load_b128 v[10:13], off, off offset:752
	v_add_f64_e32 v[175:176], v[175:176], v[185:186]
	v_add_f64_e32 v[177:178], v[177:178], v[183:184]
	v_fma_f64 v[181:182], v[8:9], v[14:15], v[181:182]
	v_fma_f64 v[185:186], v[6:7], v[14:15], -v[16:17]
	ds_load_b128 v[6:9], v1 offset:1616
	s_wait_loadcnt_dscnt 0x801
	v_mul_f64_e32 v[183:184], v[2:3], v[20:21]
	v_mul_f64_e32 v[20:21], v[4:5], v[20:21]
	scratch_load_b128 v[14:17], off, off offset:768
	v_add_f64_e32 v[175:176], v[175:176], v[187:188]
	v_add_f64_e32 v[177:178], v[177:178], v[179:180]
	s_wait_loadcnt_dscnt 0x800
	v_mul_f64_e32 v[179:180], v[6:7], v[24:25]
	v_mul_f64_e32 v[24:25], v[8:9], v[24:25]
	v_fma_f64 v[183:184], v[4:5], v[18:19], v[183:184]
	v_fma_f64 v[187:188], v[2:3], v[18:19], -v[20:21]
	ds_load_b128 v[2:5], v1 offset:1632
	scratch_load_b128 v[18:21], off, off offset:784
	v_add_f64_e32 v[175:176], v[175:176], v[185:186]
	v_add_f64_e32 v[177:178], v[177:178], v[181:182]
	v_fma_f64 v[179:180], v[8:9], v[22:23], v[179:180]
	v_fma_f64 v[185:186], v[6:7], v[22:23], -v[24:25]
	ds_load_b128 v[6:9], v1 offset:1648
	s_wait_loadcnt_dscnt 0x801
	v_mul_f64_e32 v[181:182], v[2:3], v[28:29]
	v_mul_f64_e32 v[28:29], v[4:5], v[28:29]
	scratch_load_b128 v[22:25], off, off offset:800
	v_add_f64_e32 v[175:176], v[175:176], v[187:188]
	v_add_f64_e32 v[177:178], v[177:178], v[183:184]
	s_wait_loadcnt_dscnt 0x800
	v_mul_f64_e32 v[183:184], v[6:7], v[32:33]
	v_mul_f64_e32 v[32:33], v[8:9], v[32:33]
	v_fma_f64 v[181:182], v[4:5], v[26:27], v[181:182]
	v_fma_f64 v[187:188], v[2:3], v[26:27], -v[28:29]
	ds_load_b128 v[2:5], v1 offset:1664
	scratch_load_b128 v[26:29], off, off offset:816
	v_add_f64_e32 v[175:176], v[175:176], v[185:186]
	v_add_f64_e32 v[177:178], v[177:178], v[179:180]
	v_fma_f64 v[183:184], v[8:9], v[30:31], v[183:184]
	v_fma_f64 v[185:186], v[6:7], v[30:31], -v[32:33]
	ds_load_b128 v[6:9], v1 offset:1680
	s_wait_loadcnt_dscnt 0x801
	v_mul_f64_e32 v[179:180], v[2:3], v[36:37]
	v_mul_f64_e32 v[36:37], v[4:5], v[36:37]
	scratch_load_b128 v[30:33], off, off offset:832
	v_add_f64_e32 v[175:176], v[175:176], v[187:188]
	v_add_f64_e32 v[177:178], v[177:178], v[181:182]
	s_wait_loadcnt_dscnt 0x800
	v_mul_f64_e32 v[181:182], v[6:7], v[173:174]
	v_mul_f64_e32 v[173:174], v[8:9], v[173:174]
	v_fma_f64 v[179:180], v[4:5], v[34:35], v[179:180]
	v_fma_f64 v[187:188], v[2:3], v[34:35], -v[36:37]
	ds_load_b128 v[2:5], v1 offset:1696
	scratch_load_b128 v[34:37], off, off offset:848
	v_add_f64_e32 v[175:176], v[175:176], v[185:186]
	v_add_f64_e32 v[177:178], v[177:178], v[183:184]
	v_fma_f64 v[181:182], v[8:9], v[171:172], v[181:182]
	v_fma_f64 v[185:186], v[6:7], v[171:172], -v[173:174]
	ds_load_b128 v[6:9], v1 offset:1712
	s_wait_loadcnt_dscnt 0x801
	v_mul_f64_e32 v[183:184], v[2:3], v[40:41]
	v_mul_f64_e32 v[40:41], v[4:5], v[40:41]
	scratch_load_b128 v[171:174], off, off offset:864
	v_add_f64_e32 v[175:176], v[175:176], v[187:188]
	v_add_f64_e32 v[177:178], v[177:178], v[179:180]
	s_wait_loadcnt_dscnt 0x800
	v_mul_f64_e32 v[179:180], v[6:7], v[169:170]
	v_mul_f64_e32 v[169:170], v[8:9], v[169:170]
	v_fma_f64 v[183:184], v[4:5], v[38:39], v[183:184]
	v_fma_f64 v[187:188], v[2:3], v[38:39], -v[40:41]
	ds_load_b128 v[2:5], v1 offset:1728
	scratch_load_b128 v[38:41], off, off offset:880
	v_add_f64_e32 v[175:176], v[175:176], v[185:186]
	v_add_f64_e32 v[177:178], v[177:178], v[181:182]
	v_fma_f64 v[179:180], v[8:9], v[167:168], v[179:180]
	v_fma_f64 v[185:186], v[6:7], v[167:168], -v[169:170]
	ds_load_b128 v[6:9], v1 offset:1744
	s_wait_loadcnt_dscnt 0x801
	v_mul_f64_e32 v[181:182], v[2:3], v[12:13]
	v_mul_f64_e32 v[12:13], v[4:5], v[12:13]
	scratch_load_b128 v[167:170], off, off offset:896
	v_add_f64_e32 v[175:176], v[175:176], v[187:188]
	v_add_f64_e32 v[177:178], v[177:178], v[183:184]
	s_wait_loadcnt_dscnt 0x800
	v_mul_f64_e32 v[183:184], v[6:7], v[16:17]
	v_mul_f64_e32 v[16:17], v[8:9], v[16:17]
	v_fma_f64 v[181:182], v[4:5], v[10:11], v[181:182]
	v_fma_f64 v[187:188], v[2:3], v[10:11], -v[12:13]
	ds_load_b128 v[2:5], v1 offset:1760
	scratch_load_b128 v[10:13], off, off offset:912
	v_add_f64_e32 v[175:176], v[175:176], v[185:186]
	v_add_f64_e32 v[177:178], v[177:178], v[179:180]
	v_fma_f64 v[183:184], v[8:9], v[14:15], v[183:184]
	v_fma_f64 v[185:186], v[6:7], v[14:15], -v[16:17]
	ds_load_b128 v[6:9], v1 offset:1776
	s_wait_loadcnt_dscnt 0x801
	v_mul_f64_e32 v[179:180], v[2:3], v[20:21]
	v_mul_f64_e32 v[20:21], v[4:5], v[20:21]
	scratch_load_b128 v[14:17], off, off offset:928
	v_add_f64_e32 v[175:176], v[175:176], v[187:188]
	v_add_f64_e32 v[177:178], v[177:178], v[181:182]
	s_wait_loadcnt_dscnt 0x800
	v_mul_f64_e32 v[181:182], v[6:7], v[24:25]
	v_mul_f64_e32 v[24:25], v[8:9], v[24:25]
	v_fma_f64 v[179:180], v[4:5], v[18:19], v[179:180]
	v_fma_f64 v[187:188], v[2:3], v[18:19], -v[20:21]
	ds_load_b128 v[2:5], v1 offset:1792
	scratch_load_b128 v[18:21], off, off offset:944
	v_add_f64_e32 v[175:176], v[175:176], v[185:186]
	v_add_f64_e32 v[177:178], v[177:178], v[183:184]
	v_fma_f64 v[181:182], v[8:9], v[22:23], v[181:182]
	v_fma_f64 v[185:186], v[6:7], v[22:23], -v[24:25]
	ds_load_b128 v[6:9], v1 offset:1808
	s_wait_loadcnt_dscnt 0x801
	v_mul_f64_e32 v[183:184], v[2:3], v[28:29]
	v_mul_f64_e32 v[28:29], v[4:5], v[28:29]
	scratch_load_b128 v[22:25], off, off offset:960
	v_add_f64_e32 v[175:176], v[175:176], v[187:188]
	v_add_f64_e32 v[177:178], v[177:178], v[179:180]
	s_wait_loadcnt_dscnt 0x800
	v_mul_f64_e32 v[179:180], v[6:7], v[32:33]
	v_mul_f64_e32 v[32:33], v[8:9], v[32:33]
	v_fma_f64 v[183:184], v[4:5], v[26:27], v[183:184]
	v_fma_f64 v[187:188], v[2:3], v[26:27], -v[28:29]
	ds_load_b128 v[2:5], v1 offset:1824
	scratch_load_b128 v[26:29], off, off offset:976
	v_add_f64_e32 v[175:176], v[175:176], v[185:186]
	v_add_f64_e32 v[177:178], v[177:178], v[181:182]
	v_fma_f64 v[179:180], v[8:9], v[30:31], v[179:180]
	v_fma_f64 v[185:186], v[6:7], v[30:31], -v[32:33]
	ds_load_b128 v[6:9], v1 offset:1840
	s_wait_loadcnt_dscnt 0x801
	v_mul_f64_e32 v[181:182], v[2:3], v[36:37]
	v_mul_f64_e32 v[36:37], v[4:5], v[36:37]
	scratch_load_b128 v[30:33], off, off offset:992
	v_add_f64_e32 v[175:176], v[175:176], v[187:188]
	v_add_f64_e32 v[177:178], v[177:178], v[183:184]
	s_wait_loadcnt_dscnt 0x800
	v_mul_f64_e32 v[183:184], v[6:7], v[173:174]
	v_mul_f64_e32 v[173:174], v[8:9], v[173:174]
	v_fma_f64 v[181:182], v[4:5], v[34:35], v[181:182]
	v_fma_f64 v[34:35], v[2:3], v[34:35], -v[36:37]
	ds_load_b128 v[2:5], v1 offset:1856
	v_add_f64_e32 v[36:37], v[175:176], v[185:186]
	v_add_f64_e32 v[175:176], v[177:178], v[179:180]
	v_fma_f64 v[179:180], v[8:9], v[171:172], v[183:184]
	v_fma_f64 v[171:172], v[6:7], v[171:172], -v[173:174]
	ds_load_b128 v[6:9], v1 offset:1872
	s_wait_loadcnt_dscnt 0x701
	v_mul_f64_e32 v[177:178], v[2:3], v[40:41]
	v_mul_f64_e32 v[40:41], v[4:5], v[40:41]
	v_add_f64_e32 v[34:35], v[36:37], v[34:35]
	v_add_f64_e32 v[36:37], v[175:176], v[181:182]
	s_delay_alu instid0(VALU_DEP_4) | instskip(NEXT) | instid1(VALU_DEP_4)
	v_fma_f64 v[175:176], v[4:5], v[38:39], v[177:178]
	v_fma_f64 v[38:39], v[2:3], v[38:39], -v[40:41]
	ds_load_b128 v[2:5], v1 offset:1888
	v_add_f64_e32 v[40:41], v[34:35], v[171:172]
	v_add_f64_e32 v[171:172], v[36:37], v[179:180]
	scratch_load_b128 v[34:37], off, off offset:224
	s_wait_loadcnt_dscnt 0x701
	v_mul_f64_e32 v[173:174], v[6:7], v[169:170]
	v_mul_f64_e32 v[169:170], v[8:9], v[169:170]
	v_add_f64_e32 v[38:39], v[40:41], v[38:39]
	v_add_f64_e32 v[40:41], v[171:172], v[175:176]
	s_delay_alu instid0(VALU_DEP_4) | instskip(NEXT) | instid1(VALU_DEP_4)
	v_fma_f64 v[173:174], v[8:9], v[167:168], v[173:174]
	v_fma_f64 v[167:168], v[6:7], v[167:168], -v[169:170]
	ds_load_b128 v[6:9], v1 offset:1904
	s_wait_loadcnt_dscnt 0x601
	v_mul_f64_e32 v[177:178], v[2:3], v[12:13]
	v_mul_f64_e32 v[12:13], v[4:5], v[12:13]
	s_wait_loadcnt_dscnt 0x500
	v_mul_f64_e32 v[169:170], v[6:7], v[16:17]
	v_mul_f64_e32 v[16:17], v[8:9], v[16:17]
	s_delay_alu instid0(VALU_DEP_4) | instskip(NEXT) | instid1(VALU_DEP_4)
	v_fma_f64 v[171:172], v[4:5], v[10:11], v[177:178]
	v_fma_f64 v[10:11], v[2:3], v[10:11], -v[12:13]
	v_add_f64_e32 v[12:13], v[38:39], v[167:168]
	v_add_f64_e32 v[38:39], v[40:41], v[173:174]
	ds_load_b128 v[2:5], v1 offset:1920
	v_fma_f64 v[167:168], v[8:9], v[14:15], v[169:170]
	v_fma_f64 v[14:15], v[6:7], v[14:15], -v[16:17]
	ds_load_b128 v[6:9], v1 offset:1936
	s_wait_loadcnt_dscnt 0x401
	v_mul_f64_e32 v[40:41], v[2:3], v[20:21]
	v_mul_f64_e32 v[20:21], v[4:5], v[20:21]
	v_add_f64_e32 v[10:11], v[12:13], v[10:11]
	v_add_f64_e32 v[12:13], v[38:39], v[171:172]
	s_wait_loadcnt_dscnt 0x300
	v_mul_f64_e32 v[16:17], v[6:7], v[24:25]
	v_mul_f64_e32 v[24:25], v[8:9], v[24:25]
	v_fma_f64 v[38:39], v[4:5], v[18:19], v[40:41]
	v_fma_f64 v[18:19], v[2:3], v[18:19], -v[20:21]
	ds_load_b128 v[2:5], v1 offset:1952
	v_add_f64_e32 v[10:11], v[10:11], v[14:15]
	v_add_f64_e32 v[12:13], v[12:13], v[167:168]
	v_fma_f64 v[16:17], v[8:9], v[22:23], v[16:17]
	v_fma_f64 v[22:23], v[6:7], v[22:23], -v[24:25]
	ds_load_b128 v[6:9], v1 offset:1968
	s_wait_loadcnt_dscnt 0x201
	v_mul_f64_e32 v[14:15], v[2:3], v[28:29]
	v_mul_f64_e32 v[20:21], v[4:5], v[28:29]
	s_wait_loadcnt_dscnt 0x100
	v_mul_f64_e32 v[24:25], v[8:9], v[32:33]
	v_add_f64_e32 v[10:11], v[10:11], v[18:19]
	v_add_f64_e32 v[12:13], v[12:13], v[38:39]
	v_mul_f64_e32 v[18:19], v[6:7], v[32:33]
	v_fma_f64 v[4:5], v[4:5], v[26:27], v[14:15]
	v_fma_f64 v[1:2], v[2:3], v[26:27], -v[20:21]
	v_fma_f64 v[6:7], v[6:7], v[30:31], -v[24:25]
	v_add_f64_e32 v[10:11], v[10:11], v[22:23]
	v_add_f64_e32 v[12:13], v[12:13], v[16:17]
	v_fma_f64 v[8:9], v[8:9], v[30:31], v[18:19]
	s_delay_alu instid0(VALU_DEP_3) | instskip(NEXT) | instid1(VALU_DEP_3)
	v_add_f64_e32 v[1:2], v[10:11], v[1:2]
	v_add_f64_e32 v[3:4], v[12:13], v[4:5]
	s_delay_alu instid0(VALU_DEP_2) | instskip(NEXT) | instid1(VALU_DEP_2)
	v_add_f64_e32 v[1:2], v[1:2], v[6:7]
	v_add_f64_e32 v[3:4], v[3:4], v[8:9]
	s_wait_loadcnt 0x0
	s_delay_alu instid0(VALU_DEP_2) | instskip(NEXT) | instid1(VALU_DEP_2)
	v_add_f64_e64 v[1:2], v[34:35], -v[1:2]
	v_add_f64_e64 v[3:4], v[36:37], -v[3:4]
	scratch_store_b128 off, v[1:4], off offset:224
	v_cmpx_lt_u32_e32 12, v0
	s_cbranch_execz .LBB125_373
; %bb.372:
	scratch_load_b128 v[1:4], off, s65
	v_mov_b32_e32 v5, 0
	s_delay_alu instid0(VALU_DEP_1)
	v_dual_mov_b32 v6, v5 :: v_dual_mov_b32 v7, v5
	v_mov_b32_e32 v8, v5
	scratch_store_b128 off, v[5:8], off offset:208
	s_wait_loadcnt 0x0
	ds_store_b128 v166, v[1:4]
.LBB125_373:
	s_wait_alu 0xfffe
	s_or_b32 exec_lo, exec_lo, s0
	s_wait_storecnt_dscnt 0x0
	s_barrier_signal -1
	s_barrier_wait -1
	global_inv scope:SCOPE_SE
	s_clause 0x7
	scratch_load_b128 v[2:5], off, off offset:224
	scratch_load_b128 v[6:9], off, off offset:240
	;; [unrolled: 1-line block ×8, first 2 shown]
	v_mov_b32_e32 v1, 0
	s_clause 0x1
	scratch_load_b128 v[34:37], off, off offset:352
	scratch_load_b128 v[171:174], off, off offset:368
	s_mov_b32 s0, exec_lo
	ds_load_b128 v[38:41], v1 offset:1200
	ds_load_b128 v[167:170], v1 offset:1216
	s_wait_loadcnt_dscnt 0x901
	v_mul_f64_e32 v[175:176], v[40:41], v[4:5]
	v_mul_f64_e32 v[4:5], v[38:39], v[4:5]
	s_wait_loadcnt_dscnt 0x800
	v_mul_f64_e32 v[177:178], v[167:168], v[8:9]
	v_mul_f64_e32 v[8:9], v[169:170], v[8:9]
	s_delay_alu instid0(VALU_DEP_4) | instskip(NEXT) | instid1(VALU_DEP_4)
	v_fma_f64 v[175:176], v[38:39], v[2:3], -v[175:176]
	v_fma_f64 v[179:180], v[40:41], v[2:3], v[4:5]
	ds_load_b128 v[2:5], v1 offset:1232
	scratch_load_b128 v[38:41], off, off offset:384
	v_fma_f64 v[177:178], v[169:170], v[6:7], v[177:178]
	v_fma_f64 v[183:184], v[167:168], v[6:7], -v[8:9]
	ds_load_b128 v[6:9], v1 offset:1248
	scratch_load_b128 v[167:170], off, off offset:400
	s_wait_loadcnt_dscnt 0x901
	v_mul_f64_e32 v[181:182], v[2:3], v[12:13]
	v_mul_f64_e32 v[12:13], v[4:5], v[12:13]
	s_wait_loadcnt_dscnt 0x800
	v_mul_f64_e32 v[185:186], v[6:7], v[16:17]
	v_mul_f64_e32 v[16:17], v[8:9], v[16:17]
	v_add_f64_e32 v[175:176], 0, v[175:176]
	v_add_f64_e32 v[179:180], 0, v[179:180]
	v_fma_f64 v[181:182], v[4:5], v[10:11], v[181:182]
	v_fma_f64 v[187:188], v[2:3], v[10:11], -v[12:13]
	ds_load_b128 v[2:5], v1 offset:1264
	scratch_load_b128 v[10:13], off, off offset:416
	v_add_f64_e32 v[175:176], v[175:176], v[183:184]
	v_add_f64_e32 v[177:178], v[179:180], v[177:178]
	v_fma_f64 v[183:184], v[8:9], v[14:15], v[185:186]
	v_fma_f64 v[185:186], v[6:7], v[14:15], -v[16:17]
	ds_load_b128 v[6:9], v1 offset:1280
	scratch_load_b128 v[14:17], off, off offset:432
	s_wait_loadcnt_dscnt 0x901
	v_mul_f64_e32 v[179:180], v[2:3], v[20:21]
	v_mul_f64_e32 v[20:21], v[4:5], v[20:21]
	v_add_f64_e32 v[175:176], v[175:176], v[187:188]
	v_add_f64_e32 v[177:178], v[177:178], v[181:182]
	s_wait_loadcnt_dscnt 0x800
	v_mul_f64_e32 v[181:182], v[6:7], v[24:25]
	v_mul_f64_e32 v[24:25], v[8:9], v[24:25]
	v_fma_f64 v[179:180], v[4:5], v[18:19], v[179:180]
	v_fma_f64 v[187:188], v[2:3], v[18:19], -v[20:21]
	ds_load_b128 v[2:5], v1 offset:1296
	scratch_load_b128 v[18:21], off, off offset:448
	v_add_f64_e32 v[175:176], v[175:176], v[185:186]
	v_add_f64_e32 v[177:178], v[177:178], v[183:184]
	v_fma_f64 v[181:182], v[8:9], v[22:23], v[181:182]
	v_fma_f64 v[185:186], v[6:7], v[22:23], -v[24:25]
	ds_load_b128 v[6:9], v1 offset:1312
	s_wait_loadcnt_dscnt 0x801
	v_mul_f64_e32 v[183:184], v[2:3], v[28:29]
	v_mul_f64_e32 v[28:29], v[4:5], v[28:29]
	scratch_load_b128 v[22:25], off, off offset:464
	v_add_f64_e32 v[175:176], v[175:176], v[187:188]
	v_add_f64_e32 v[177:178], v[177:178], v[179:180]
	s_wait_loadcnt_dscnt 0x800
	v_mul_f64_e32 v[179:180], v[6:7], v[32:33]
	v_mul_f64_e32 v[32:33], v[8:9], v[32:33]
	v_fma_f64 v[183:184], v[4:5], v[26:27], v[183:184]
	v_fma_f64 v[187:188], v[2:3], v[26:27], -v[28:29]
	ds_load_b128 v[2:5], v1 offset:1328
	scratch_load_b128 v[26:29], off, off offset:480
	v_add_f64_e32 v[175:176], v[175:176], v[185:186]
	v_add_f64_e32 v[177:178], v[177:178], v[181:182]
	v_fma_f64 v[179:180], v[8:9], v[30:31], v[179:180]
	v_fma_f64 v[185:186], v[6:7], v[30:31], -v[32:33]
	ds_load_b128 v[6:9], v1 offset:1344
	s_wait_loadcnt_dscnt 0x801
	v_mul_f64_e32 v[181:182], v[2:3], v[36:37]
	v_mul_f64_e32 v[36:37], v[4:5], v[36:37]
	scratch_load_b128 v[30:33], off, off offset:496
	v_add_f64_e32 v[175:176], v[175:176], v[187:188]
	v_add_f64_e32 v[177:178], v[177:178], v[183:184]
	s_wait_loadcnt_dscnt 0x800
	v_mul_f64_e32 v[183:184], v[6:7], v[173:174]
	v_mul_f64_e32 v[173:174], v[8:9], v[173:174]
	v_fma_f64 v[181:182], v[4:5], v[34:35], v[181:182]
	v_fma_f64 v[187:188], v[2:3], v[34:35], -v[36:37]
	ds_load_b128 v[2:5], v1 offset:1360
	scratch_load_b128 v[34:37], off, off offset:512
	v_add_f64_e32 v[175:176], v[175:176], v[185:186]
	v_add_f64_e32 v[177:178], v[177:178], v[179:180]
	v_fma_f64 v[183:184], v[8:9], v[171:172], v[183:184]
	v_fma_f64 v[185:186], v[6:7], v[171:172], -v[173:174]
	ds_load_b128 v[6:9], v1 offset:1376
	scratch_load_b128 v[171:174], off, off offset:528
	s_wait_loadcnt_dscnt 0x901
	v_mul_f64_e32 v[179:180], v[2:3], v[40:41]
	v_mul_f64_e32 v[40:41], v[4:5], v[40:41]
	v_add_f64_e32 v[175:176], v[175:176], v[187:188]
	v_add_f64_e32 v[177:178], v[177:178], v[181:182]
	s_wait_loadcnt_dscnt 0x800
	v_mul_f64_e32 v[181:182], v[6:7], v[169:170]
	v_mul_f64_e32 v[169:170], v[8:9], v[169:170]
	v_fma_f64 v[179:180], v[4:5], v[38:39], v[179:180]
	v_fma_f64 v[187:188], v[2:3], v[38:39], -v[40:41]
	ds_load_b128 v[2:5], v1 offset:1392
	scratch_load_b128 v[38:41], off, off offset:544
	v_add_f64_e32 v[175:176], v[175:176], v[185:186]
	v_add_f64_e32 v[177:178], v[177:178], v[183:184]
	v_fma_f64 v[181:182], v[8:9], v[167:168], v[181:182]
	v_fma_f64 v[185:186], v[6:7], v[167:168], -v[169:170]
	ds_load_b128 v[6:9], v1 offset:1408
	s_wait_loadcnt_dscnt 0x801
	v_mul_f64_e32 v[183:184], v[2:3], v[12:13]
	v_mul_f64_e32 v[12:13], v[4:5], v[12:13]
	scratch_load_b128 v[167:170], off, off offset:560
	v_add_f64_e32 v[175:176], v[175:176], v[187:188]
	v_add_f64_e32 v[177:178], v[177:178], v[179:180]
	s_wait_loadcnt_dscnt 0x800
	v_mul_f64_e32 v[179:180], v[6:7], v[16:17]
	v_mul_f64_e32 v[16:17], v[8:9], v[16:17]
	v_fma_f64 v[183:184], v[4:5], v[10:11], v[183:184]
	v_fma_f64 v[187:188], v[2:3], v[10:11], -v[12:13]
	ds_load_b128 v[2:5], v1 offset:1424
	scratch_load_b128 v[10:13], off, off offset:576
	v_add_f64_e32 v[175:176], v[175:176], v[185:186]
	v_add_f64_e32 v[177:178], v[177:178], v[181:182]
	v_fma_f64 v[179:180], v[8:9], v[14:15], v[179:180]
	v_fma_f64 v[185:186], v[6:7], v[14:15], -v[16:17]
	ds_load_b128 v[6:9], v1 offset:1440
	s_wait_loadcnt_dscnt 0x801
	v_mul_f64_e32 v[181:182], v[2:3], v[20:21]
	v_mul_f64_e32 v[20:21], v[4:5], v[20:21]
	scratch_load_b128 v[14:17], off, off offset:592
	;; [unrolled: 18-line block ×14, first 2 shown]
	v_add_f64_e32 v[175:176], v[175:176], v[187:188]
	v_add_f64_e32 v[177:178], v[177:178], v[183:184]
	s_wait_loadcnt_dscnt 0x800
	v_mul_f64_e32 v[183:184], v[6:7], v[173:174]
	v_mul_f64_e32 v[173:174], v[8:9], v[173:174]
	v_fma_f64 v[181:182], v[4:5], v[34:35], v[181:182]
	v_fma_f64 v[187:188], v[2:3], v[34:35], -v[36:37]
	ds_load_b128 v[2:5], v1 offset:1840
	scratch_load_b128 v[34:37], off, off offset:992
	v_add_f64_e32 v[175:176], v[175:176], v[185:186]
	v_add_f64_e32 v[177:178], v[177:178], v[179:180]
	v_fma_f64 v[183:184], v[8:9], v[171:172], v[183:184]
	v_fma_f64 v[171:172], v[6:7], v[171:172], -v[173:174]
	ds_load_b128 v[6:9], v1 offset:1856
	s_wait_loadcnt_dscnt 0x801
	v_mul_f64_e32 v[179:180], v[2:3], v[40:41]
	v_mul_f64_e32 v[40:41], v[4:5], v[40:41]
	v_add_f64_e32 v[173:174], v[175:176], v[187:188]
	v_add_f64_e32 v[175:176], v[177:178], v[181:182]
	s_wait_loadcnt_dscnt 0x700
	v_mul_f64_e32 v[177:178], v[6:7], v[169:170]
	v_mul_f64_e32 v[169:170], v[8:9], v[169:170]
	v_fma_f64 v[179:180], v[4:5], v[38:39], v[179:180]
	v_fma_f64 v[38:39], v[2:3], v[38:39], -v[40:41]
	ds_load_b128 v[2:5], v1 offset:1872
	v_add_f64_e32 v[40:41], v[173:174], v[171:172]
	v_add_f64_e32 v[171:172], v[175:176], v[183:184]
	v_fma_f64 v[175:176], v[8:9], v[167:168], v[177:178]
	v_fma_f64 v[167:168], v[6:7], v[167:168], -v[169:170]
	ds_load_b128 v[6:9], v1 offset:1888
	s_wait_loadcnt_dscnt 0x500
	v_mul_f64_e32 v[177:178], v[6:7], v[16:17]
	v_mul_f64_e32 v[16:17], v[8:9], v[16:17]
	v_add_f64_e32 v[169:170], v[40:41], v[38:39]
	v_add_f64_e32 v[171:172], v[171:172], v[179:180]
	scratch_load_b128 v[38:41], off, off offset:208
	v_mul_f64_e32 v[173:174], v[2:3], v[12:13]
	v_mul_f64_e32 v[12:13], v[4:5], v[12:13]
	s_delay_alu instid0(VALU_DEP_2) | instskip(NEXT) | instid1(VALU_DEP_2)
	v_fma_f64 v[173:174], v[4:5], v[10:11], v[173:174]
	v_fma_f64 v[10:11], v[2:3], v[10:11], -v[12:13]
	v_add_f64_e32 v[12:13], v[169:170], v[167:168]
	v_add_f64_e32 v[167:168], v[171:172], v[175:176]
	ds_load_b128 v[2:5], v1 offset:1904
	v_fma_f64 v[171:172], v[8:9], v[14:15], v[177:178]
	v_fma_f64 v[14:15], v[6:7], v[14:15], -v[16:17]
	ds_load_b128 v[6:9], v1 offset:1920
	s_wait_loadcnt_dscnt 0x501
	v_mul_f64_e32 v[169:170], v[2:3], v[20:21]
	v_mul_f64_e32 v[20:21], v[4:5], v[20:21]
	s_wait_loadcnt_dscnt 0x400
	v_mul_f64_e32 v[16:17], v[6:7], v[24:25]
	v_mul_f64_e32 v[24:25], v[8:9], v[24:25]
	v_add_f64_e32 v[10:11], v[12:13], v[10:11]
	v_add_f64_e32 v[12:13], v[167:168], v[173:174]
	v_fma_f64 v[167:168], v[4:5], v[18:19], v[169:170]
	v_fma_f64 v[18:19], v[2:3], v[18:19], -v[20:21]
	ds_load_b128 v[2:5], v1 offset:1936
	v_fma_f64 v[16:17], v[8:9], v[22:23], v[16:17]
	v_fma_f64 v[22:23], v[6:7], v[22:23], -v[24:25]
	ds_load_b128 v[6:9], v1 offset:1952
	v_add_f64_e32 v[10:11], v[10:11], v[14:15]
	v_add_f64_e32 v[12:13], v[12:13], v[171:172]
	s_wait_loadcnt_dscnt 0x301
	v_mul_f64_e32 v[14:15], v[2:3], v[28:29]
	v_mul_f64_e32 v[20:21], v[4:5], v[28:29]
	s_wait_loadcnt_dscnt 0x200
	v_mul_f64_e32 v[24:25], v[8:9], v[32:33]
	v_add_f64_e32 v[10:11], v[10:11], v[18:19]
	v_add_f64_e32 v[12:13], v[12:13], v[167:168]
	v_mul_f64_e32 v[18:19], v[6:7], v[32:33]
	v_fma_f64 v[14:15], v[4:5], v[26:27], v[14:15]
	v_fma_f64 v[20:21], v[2:3], v[26:27], -v[20:21]
	ds_load_b128 v[2:5], v1 offset:1968
	v_fma_f64 v[6:7], v[6:7], v[30:31], -v[24:25]
	v_add_f64_e32 v[10:11], v[10:11], v[22:23]
	v_add_f64_e32 v[12:13], v[12:13], v[16:17]
	s_wait_loadcnt_dscnt 0x100
	v_mul_f64_e32 v[16:17], v[2:3], v[36:37]
	v_mul_f64_e32 v[22:23], v[4:5], v[36:37]
	v_fma_f64 v[8:9], v[8:9], v[30:31], v[18:19]
	v_add_f64_e32 v[10:11], v[10:11], v[20:21]
	v_add_f64_e32 v[12:13], v[12:13], v[14:15]
	v_fma_f64 v[4:5], v[4:5], v[34:35], v[16:17]
	v_fma_f64 v[2:3], v[2:3], v[34:35], -v[22:23]
	s_delay_alu instid0(VALU_DEP_4) | instskip(NEXT) | instid1(VALU_DEP_4)
	v_add_f64_e32 v[6:7], v[10:11], v[6:7]
	v_add_f64_e32 v[8:9], v[12:13], v[8:9]
	s_delay_alu instid0(VALU_DEP_2) | instskip(NEXT) | instid1(VALU_DEP_2)
	v_add_f64_e32 v[2:3], v[6:7], v[2:3]
	v_add_f64_e32 v[4:5], v[8:9], v[4:5]
	s_wait_loadcnt 0x0
	s_delay_alu instid0(VALU_DEP_2) | instskip(NEXT) | instid1(VALU_DEP_2)
	v_add_f64_e64 v[2:3], v[38:39], -v[2:3]
	v_add_f64_e64 v[4:5], v[40:41], -v[4:5]
	scratch_store_b128 off, v[2:5], off offset:208
	v_cmpx_lt_u32_e32 11, v0
	s_cbranch_execz .LBB125_375
; %bb.374:
	scratch_load_b128 v[5:8], off, s66
	v_dual_mov_b32 v2, v1 :: v_dual_mov_b32 v3, v1
	v_mov_b32_e32 v4, v1
	scratch_store_b128 off, v[1:4], off offset:192
	s_wait_loadcnt 0x0
	ds_store_b128 v166, v[5:8]
.LBB125_375:
	s_wait_alu 0xfffe
	s_or_b32 exec_lo, exec_lo, s0
	s_wait_storecnt_dscnt 0x0
	s_barrier_signal -1
	s_barrier_wait -1
	global_inv scope:SCOPE_SE
	s_clause 0x7
	scratch_load_b128 v[2:5], off, off offset:208
	scratch_load_b128 v[6:9], off, off offset:224
	;; [unrolled: 1-line block ×8, first 2 shown]
	ds_load_b128 v[38:41], v1 offset:1184
	ds_load_b128 v[167:170], v1 offset:1200
	s_clause 0x1
	scratch_load_b128 v[34:37], off, off offset:336
	scratch_load_b128 v[171:174], off, off offset:352
	s_mov_b32 s0, exec_lo
	s_wait_loadcnt_dscnt 0x901
	v_mul_f64_e32 v[175:176], v[40:41], v[4:5]
	v_mul_f64_e32 v[4:5], v[38:39], v[4:5]
	s_wait_loadcnt_dscnt 0x800
	v_mul_f64_e32 v[177:178], v[167:168], v[8:9]
	v_mul_f64_e32 v[8:9], v[169:170], v[8:9]
	s_delay_alu instid0(VALU_DEP_4) | instskip(NEXT) | instid1(VALU_DEP_4)
	v_fma_f64 v[175:176], v[38:39], v[2:3], -v[175:176]
	v_fma_f64 v[179:180], v[40:41], v[2:3], v[4:5]
	ds_load_b128 v[2:5], v1 offset:1216
	scratch_load_b128 v[38:41], off, off offset:368
	v_fma_f64 v[177:178], v[169:170], v[6:7], v[177:178]
	v_fma_f64 v[183:184], v[167:168], v[6:7], -v[8:9]
	ds_load_b128 v[6:9], v1 offset:1232
	scratch_load_b128 v[167:170], off, off offset:384
	s_wait_loadcnt_dscnt 0x901
	v_mul_f64_e32 v[181:182], v[2:3], v[12:13]
	v_mul_f64_e32 v[12:13], v[4:5], v[12:13]
	s_wait_loadcnt_dscnt 0x800
	v_mul_f64_e32 v[185:186], v[6:7], v[16:17]
	v_mul_f64_e32 v[16:17], v[8:9], v[16:17]
	v_add_f64_e32 v[175:176], 0, v[175:176]
	v_add_f64_e32 v[179:180], 0, v[179:180]
	v_fma_f64 v[181:182], v[4:5], v[10:11], v[181:182]
	v_fma_f64 v[187:188], v[2:3], v[10:11], -v[12:13]
	ds_load_b128 v[2:5], v1 offset:1248
	scratch_load_b128 v[10:13], off, off offset:400
	v_add_f64_e32 v[175:176], v[175:176], v[183:184]
	v_add_f64_e32 v[177:178], v[179:180], v[177:178]
	v_fma_f64 v[183:184], v[8:9], v[14:15], v[185:186]
	v_fma_f64 v[185:186], v[6:7], v[14:15], -v[16:17]
	ds_load_b128 v[6:9], v1 offset:1264
	scratch_load_b128 v[14:17], off, off offset:416
	s_wait_loadcnt_dscnt 0x901
	v_mul_f64_e32 v[179:180], v[2:3], v[20:21]
	v_mul_f64_e32 v[20:21], v[4:5], v[20:21]
	v_add_f64_e32 v[175:176], v[175:176], v[187:188]
	v_add_f64_e32 v[177:178], v[177:178], v[181:182]
	s_wait_loadcnt_dscnt 0x800
	v_mul_f64_e32 v[181:182], v[6:7], v[24:25]
	v_mul_f64_e32 v[24:25], v[8:9], v[24:25]
	v_fma_f64 v[179:180], v[4:5], v[18:19], v[179:180]
	v_fma_f64 v[187:188], v[2:3], v[18:19], -v[20:21]
	ds_load_b128 v[2:5], v1 offset:1280
	scratch_load_b128 v[18:21], off, off offset:432
	v_add_f64_e32 v[175:176], v[175:176], v[185:186]
	v_add_f64_e32 v[177:178], v[177:178], v[183:184]
	v_fma_f64 v[181:182], v[8:9], v[22:23], v[181:182]
	v_fma_f64 v[185:186], v[6:7], v[22:23], -v[24:25]
	ds_load_b128 v[6:9], v1 offset:1296
	s_wait_loadcnt_dscnt 0x801
	v_mul_f64_e32 v[183:184], v[2:3], v[28:29]
	v_mul_f64_e32 v[28:29], v[4:5], v[28:29]
	scratch_load_b128 v[22:25], off, off offset:448
	v_add_f64_e32 v[175:176], v[175:176], v[187:188]
	v_add_f64_e32 v[177:178], v[177:178], v[179:180]
	s_wait_loadcnt_dscnt 0x800
	v_mul_f64_e32 v[179:180], v[6:7], v[32:33]
	v_mul_f64_e32 v[32:33], v[8:9], v[32:33]
	v_fma_f64 v[183:184], v[4:5], v[26:27], v[183:184]
	v_fma_f64 v[187:188], v[2:3], v[26:27], -v[28:29]
	ds_load_b128 v[2:5], v1 offset:1312
	scratch_load_b128 v[26:29], off, off offset:464
	v_add_f64_e32 v[175:176], v[175:176], v[185:186]
	v_add_f64_e32 v[177:178], v[177:178], v[181:182]
	v_fma_f64 v[179:180], v[8:9], v[30:31], v[179:180]
	v_fma_f64 v[185:186], v[6:7], v[30:31], -v[32:33]
	ds_load_b128 v[6:9], v1 offset:1328
	s_wait_loadcnt_dscnt 0x801
	v_mul_f64_e32 v[181:182], v[2:3], v[36:37]
	v_mul_f64_e32 v[36:37], v[4:5], v[36:37]
	scratch_load_b128 v[30:33], off, off offset:480
	v_add_f64_e32 v[175:176], v[175:176], v[187:188]
	v_add_f64_e32 v[177:178], v[177:178], v[183:184]
	s_wait_loadcnt_dscnt 0x800
	v_mul_f64_e32 v[183:184], v[6:7], v[173:174]
	v_mul_f64_e32 v[173:174], v[8:9], v[173:174]
	v_fma_f64 v[181:182], v[4:5], v[34:35], v[181:182]
	v_fma_f64 v[187:188], v[2:3], v[34:35], -v[36:37]
	ds_load_b128 v[2:5], v1 offset:1344
	scratch_load_b128 v[34:37], off, off offset:496
	v_add_f64_e32 v[175:176], v[175:176], v[185:186]
	v_add_f64_e32 v[177:178], v[177:178], v[179:180]
	v_fma_f64 v[183:184], v[8:9], v[171:172], v[183:184]
	v_fma_f64 v[185:186], v[6:7], v[171:172], -v[173:174]
	ds_load_b128 v[6:9], v1 offset:1360
	scratch_load_b128 v[171:174], off, off offset:512
	s_wait_loadcnt_dscnt 0x901
	v_mul_f64_e32 v[179:180], v[2:3], v[40:41]
	v_mul_f64_e32 v[40:41], v[4:5], v[40:41]
	v_add_f64_e32 v[175:176], v[175:176], v[187:188]
	v_add_f64_e32 v[177:178], v[177:178], v[181:182]
	s_wait_loadcnt_dscnt 0x800
	v_mul_f64_e32 v[181:182], v[6:7], v[169:170]
	v_mul_f64_e32 v[169:170], v[8:9], v[169:170]
	v_fma_f64 v[179:180], v[4:5], v[38:39], v[179:180]
	v_fma_f64 v[187:188], v[2:3], v[38:39], -v[40:41]
	ds_load_b128 v[2:5], v1 offset:1376
	scratch_load_b128 v[38:41], off, off offset:528
	v_add_f64_e32 v[175:176], v[175:176], v[185:186]
	v_add_f64_e32 v[177:178], v[177:178], v[183:184]
	v_fma_f64 v[181:182], v[8:9], v[167:168], v[181:182]
	v_fma_f64 v[185:186], v[6:7], v[167:168], -v[169:170]
	ds_load_b128 v[6:9], v1 offset:1392
	s_wait_loadcnt_dscnt 0x801
	v_mul_f64_e32 v[183:184], v[2:3], v[12:13]
	v_mul_f64_e32 v[12:13], v[4:5], v[12:13]
	scratch_load_b128 v[167:170], off, off offset:544
	v_add_f64_e32 v[175:176], v[175:176], v[187:188]
	v_add_f64_e32 v[177:178], v[177:178], v[179:180]
	s_wait_loadcnt_dscnt 0x800
	v_mul_f64_e32 v[179:180], v[6:7], v[16:17]
	v_mul_f64_e32 v[16:17], v[8:9], v[16:17]
	v_fma_f64 v[183:184], v[4:5], v[10:11], v[183:184]
	v_fma_f64 v[187:188], v[2:3], v[10:11], -v[12:13]
	ds_load_b128 v[2:5], v1 offset:1408
	scratch_load_b128 v[10:13], off, off offset:560
	v_add_f64_e32 v[175:176], v[175:176], v[185:186]
	v_add_f64_e32 v[177:178], v[177:178], v[181:182]
	v_fma_f64 v[179:180], v[8:9], v[14:15], v[179:180]
	v_fma_f64 v[185:186], v[6:7], v[14:15], -v[16:17]
	ds_load_b128 v[6:9], v1 offset:1424
	s_wait_loadcnt_dscnt 0x801
	v_mul_f64_e32 v[181:182], v[2:3], v[20:21]
	v_mul_f64_e32 v[20:21], v[4:5], v[20:21]
	scratch_load_b128 v[14:17], off, off offset:576
	;; [unrolled: 18-line block ×6, first 2 shown]
	v_add_f64_e32 v[175:176], v[175:176], v[187:188]
	v_add_f64_e32 v[177:178], v[177:178], v[181:182]
	s_wait_loadcnt_dscnt 0x800
	v_mul_f64_e32 v[181:182], v[6:7], v[16:17]
	v_mul_f64_e32 v[16:17], v[8:9], v[16:17]
	v_fma_f64 v[179:180], v[4:5], v[10:11], v[179:180]
	v_fma_f64 v[187:188], v[2:3], v[10:11], -v[12:13]
	scratch_load_b128 v[10:13], off, off offset:720
	ds_load_b128 v[2:5], v1 offset:1568
	v_add_f64_e32 v[175:176], v[175:176], v[185:186]
	v_add_f64_e32 v[177:178], v[177:178], v[183:184]
	v_fma_f64 v[181:182], v[8:9], v[14:15], v[181:182]
	v_fma_f64 v[185:186], v[6:7], v[14:15], -v[16:17]
	ds_load_b128 v[6:9], v1 offset:1584
	s_wait_loadcnt_dscnt 0x801
	v_mul_f64_e32 v[183:184], v[2:3], v[20:21]
	v_mul_f64_e32 v[20:21], v[4:5], v[20:21]
	scratch_load_b128 v[14:17], off, off offset:736
	v_add_f64_e32 v[175:176], v[175:176], v[187:188]
	v_add_f64_e32 v[177:178], v[177:178], v[179:180]
	s_wait_loadcnt_dscnt 0x800
	v_mul_f64_e32 v[179:180], v[6:7], v[24:25]
	v_mul_f64_e32 v[24:25], v[8:9], v[24:25]
	v_fma_f64 v[183:184], v[4:5], v[18:19], v[183:184]
	v_fma_f64 v[187:188], v[2:3], v[18:19], -v[20:21]
	ds_load_b128 v[2:5], v1 offset:1600
	scratch_load_b128 v[18:21], off, off offset:752
	v_add_f64_e32 v[175:176], v[175:176], v[185:186]
	v_add_f64_e32 v[177:178], v[177:178], v[181:182]
	v_fma_f64 v[179:180], v[8:9], v[22:23], v[179:180]
	v_fma_f64 v[185:186], v[6:7], v[22:23], -v[24:25]
	ds_load_b128 v[6:9], v1 offset:1616
	s_wait_loadcnt_dscnt 0x801
	v_mul_f64_e32 v[181:182], v[2:3], v[28:29]
	v_mul_f64_e32 v[28:29], v[4:5], v[28:29]
	scratch_load_b128 v[22:25], off, off offset:768
	v_add_f64_e32 v[175:176], v[175:176], v[187:188]
	v_add_f64_e32 v[177:178], v[177:178], v[183:184]
	s_wait_loadcnt_dscnt 0x800
	v_mul_f64_e32 v[183:184], v[6:7], v[32:33]
	v_mul_f64_e32 v[32:33], v[8:9], v[32:33]
	v_fma_f64 v[181:182], v[4:5], v[26:27], v[181:182]
	v_fma_f64 v[187:188], v[2:3], v[26:27], -v[28:29]
	ds_load_b128 v[2:5], v1 offset:1632
	scratch_load_b128 v[26:29], off, off offset:784
	;; [unrolled: 18-line block ×4, first 2 shown]
	v_add_f64_e32 v[175:176], v[175:176], v[185:186]
	v_add_f64_e32 v[177:178], v[177:178], v[181:182]
	v_fma_f64 v[179:180], v[8:9], v[167:168], v[179:180]
	v_fma_f64 v[185:186], v[6:7], v[167:168], -v[169:170]
	ds_load_b128 v[6:9], v1 offset:1712
	s_wait_loadcnt_dscnt 0x801
	v_mul_f64_e32 v[181:182], v[2:3], v[12:13]
	v_mul_f64_e32 v[12:13], v[4:5], v[12:13]
	scratch_load_b128 v[167:170], off, off offset:864
	v_add_f64_e32 v[175:176], v[175:176], v[187:188]
	v_add_f64_e32 v[177:178], v[177:178], v[183:184]
	s_wait_loadcnt_dscnt 0x800
	v_mul_f64_e32 v[183:184], v[6:7], v[16:17]
	v_mul_f64_e32 v[16:17], v[8:9], v[16:17]
	v_fma_f64 v[181:182], v[4:5], v[10:11], v[181:182]
	v_fma_f64 v[187:188], v[2:3], v[10:11], -v[12:13]
	scratch_load_b128 v[10:13], off, off offset:880
	ds_load_b128 v[2:5], v1 offset:1728
	v_add_f64_e32 v[175:176], v[175:176], v[185:186]
	v_add_f64_e32 v[177:178], v[177:178], v[179:180]
	v_fma_f64 v[183:184], v[8:9], v[14:15], v[183:184]
	v_fma_f64 v[185:186], v[6:7], v[14:15], -v[16:17]
	ds_load_b128 v[6:9], v1 offset:1744
	s_wait_loadcnt_dscnt 0x801
	v_mul_f64_e32 v[179:180], v[2:3], v[20:21]
	v_mul_f64_e32 v[20:21], v[4:5], v[20:21]
	scratch_load_b128 v[14:17], off, off offset:896
	v_add_f64_e32 v[175:176], v[175:176], v[187:188]
	v_add_f64_e32 v[177:178], v[177:178], v[181:182]
	s_wait_loadcnt_dscnt 0x800
	v_mul_f64_e32 v[181:182], v[6:7], v[24:25]
	v_mul_f64_e32 v[24:25], v[8:9], v[24:25]
	v_fma_f64 v[179:180], v[4:5], v[18:19], v[179:180]
	v_fma_f64 v[187:188], v[2:3], v[18:19], -v[20:21]
	ds_load_b128 v[2:5], v1 offset:1760
	scratch_load_b128 v[18:21], off, off offset:912
	v_add_f64_e32 v[175:176], v[175:176], v[185:186]
	v_add_f64_e32 v[177:178], v[177:178], v[183:184]
	v_fma_f64 v[181:182], v[8:9], v[22:23], v[181:182]
	v_fma_f64 v[185:186], v[6:7], v[22:23], -v[24:25]
	ds_load_b128 v[6:9], v1 offset:1776
	s_wait_loadcnt_dscnt 0x801
	v_mul_f64_e32 v[183:184], v[2:3], v[28:29]
	v_mul_f64_e32 v[28:29], v[4:5], v[28:29]
	scratch_load_b128 v[22:25], off, off offset:928
	v_add_f64_e32 v[175:176], v[175:176], v[187:188]
	v_add_f64_e32 v[177:178], v[177:178], v[179:180]
	s_wait_loadcnt_dscnt 0x800
	v_mul_f64_e32 v[179:180], v[6:7], v[32:33]
	v_mul_f64_e32 v[32:33], v[8:9], v[32:33]
	v_fma_f64 v[183:184], v[4:5], v[26:27], v[183:184]
	v_fma_f64 v[187:188], v[2:3], v[26:27], -v[28:29]
	ds_load_b128 v[2:5], v1 offset:1792
	scratch_load_b128 v[26:29], off, off offset:944
	;; [unrolled: 18-line block ×3, first 2 shown]
	v_add_f64_e32 v[175:176], v[175:176], v[185:186]
	v_add_f64_e32 v[177:178], v[177:178], v[179:180]
	v_fma_f64 v[183:184], v[8:9], v[171:172], v[183:184]
	v_fma_f64 v[185:186], v[6:7], v[171:172], -v[173:174]
	ds_load_b128 v[6:9], v1 offset:1840
	s_wait_loadcnt_dscnt 0x801
	v_mul_f64_e32 v[179:180], v[2:3], v[40:41]
	v_mul_f64_e32 v[40:41], v[4:5], v[40:41]
	scratch_load_b128 v[171:174], off, off offset:992
	v_add_f64_e32 v[175:176], v[175:176], v[187:188]
	v_add_f64_e32 v[177:178], v[177:178], v[181:182]
	v_fma_f64 v[179:180], v[4:5], v[38:39], v[179:180]
	v_fma_f64 v[38:39], v[2:3], v[38:39], -v[40:41]
	ds_load_b128 v[2:5], v1 offset:1856
	v_add_f64_e32 v[40:41], v[175:176], v[185:186]
	v_add_f64_e32 v[175:176], v[177:178], v[183:184]
	s_wait_loadcnt_dscnt 0x700
	v_mul_f64_e32 v[177:178], v[2:3], v[12:13]
	v_mul_f64_e32 v[12:13], v[4:5], v[12:13]
	s_delay_alu instid0(VALU_DEP_4) | instskip(NEXT) | instid1(VALU_DEP_4)
	v_add_f64_e32 v[38:39], v[40:41], v[38:39]
	v_add_f64_e32 v[40:41], v[175:176], v[179:180]
	s_delay_alu instid0(VALU_DEP_4) | instskip(NEXT) | instid1(VALU_DEP_4)
	v_fma_f64 v[175:176], v[4:5], v[10:11], v[177:178]
	v_fma_f64 v[177:178], v[2:3], v[10:11], -v[12:13]
	scratch_load_b128 v[10:13], off, off offset:192
	v_mul_f64_e32 v[181:182], v[6:7], v[169:170]
	v_mul_f64_e32 v[169:170], v[8:9], v[169:170]
	ds_load_b128 v[2:5], v1 offset:1888
	v_fma_f64 v[181:182], v[8:9], v[167:168], v[181:182]
	v_fma_f64 v[167:168], v[6:7], v[167:168], -v[169:170]
	ds_load_b128 v[6:9], v1 offset:1872
	s_wait_loadcnt_dscnt 0x700
	v_mul_f64_e32 v[169:170], v[6:7], v[16:17]
	v_mul_f64_e32 v[16:17], v[8:9], v[16:17]
	v_add_f64_e32 v[40:41], v[40:41], v[181:182]
	v_add_f64_e32 v[38:39], v[38:39], v[167:168]
	s_wait_loadcnt 0x6
	v_mul_f64_e32 v[167:168], v[2:3], v[20:21]
	v_mul_f64_e32 v[20:21], v[4:5], v[20:21]
	v_fma_f64 v[169:170], v[8:9], v[14:15], v[169:170]
	v_fma_f64 v[14:15], v[6:7], v[14:15], -v[16:17]
	ds_load_b128 v[6:9], v1 offset:1904
	v_add_f64_e32 v[16:17], v[38:39], v[177:178]
	v_add_f64_e32 v[38:39], v[40:41], v[175:176]
	v_fma_f64 v[167:168], v[4:5], v[18:19], v[167:168]
	v_fma_f64 v[18:19], v[2:3], v[18:19], -v[20:21]
	ds_load_b128 v[2:5], v1 offset:1920
	s_wait_loadcnt_dscnt 0x501
	v_mul_f64_e32 v[40:41], v[6:7], v[24:25]
	v_mul_f64_e32 v[24:25], v[8:9], v[24:25]
	s_wait_loadcnt_dscnt 0x400
	v_mul_f64_e32 v[20:21], v[2:3], v[28:29]
	v_mul_f64_e32 v[28:29], v[4:5], v[28:29]
	v_add_f64_e32 v[14:15], v[16:17], v[14:15]
	v_add_f64_e32 v[16:17], v[38:39], v[169:170]
	v_fma_f64 v[38:39], v[8:9], v[22:23], v[40:41]
	v_fma_f64 v[22:23], v[6:7], v[22:23], -v[24:25]
	ds_load_b128 v[6:9], v1 offset:1936
	v_fma_f64 v[20:21], v[4:5], v[26:27], v[20:21]
	v_fma_f64 v[26:27], v[2:3], v[26:27], -v[28:29]
	ds_load_b128 v[2:5], v1 offset:1952
	s_wait_loadcnt_dscnt 0x301
	v_mul_f64_e32 v[24:25], v[8:9], v[32:33]
	v_add_f64_e32 v[14:15], v[14:15], v[18:19]
	v_add_f64_e32 v[16:17], v[16:17], v[167:168]
	v_mul_f64_e32 v[18:19], v[6:7], v[32:33]
	s_wait_loadcnt_dscnt 0x200
	v_mul_f64_e32 v[28:29], v[4:5], v[36:37]
	v_fma_f64 v[24:25], v[6:7], v[30:31], -v[24:25]
	v_add_f64_e32 v[14:15], v[14:15], v[22:23]
	v_add_f64_e32 v[16:17], v[16:17], v[38:39]
	v_mul_f64_e32 v[22:23], v[2:3], v[36:37]
	v_fma_f64 v[18:19], v[8:9], v[30:31], v[18:19]
	ds_load_b128 v[6:9], v1 offset:1968
	v_fma_f64 v[1:2], v[2:3], v[34:35], -v[28:29]
	v_add_f64_e32 v[14:15], v[14:15], v[26:27]
	v_add_f64_e32 v[16:17], v[16:17], v[20:21]
	s_wait_loadcnt_dscnt 0x100
	v_mul_f64_e32 v[20:21], v[6:7], v[173:174]
	v_mul_f64_e32 v[26:27], v[8:9], v[173:174]
	v_fma_f64 v[4:5], v[4:5], v[34:35], v[22:23]
	v_add_f64_e32 v[14:15], v[14:15], v[24:25]
	v_add_f64_e32 v[16:17], v[16:17], v[18:19]
	v_fma_f64 v[8:9], v[8:9], v[171:172], v[20:21]
	v_fma_f64 v[6:7], v[6:7], v[171:172], -v[26:27]
	s_delay_alu instid0(VALU_DEP_4) | instskip(NEXT) | instid1(VALU_DEP_4)
	v_add_f64_e32 v[1:2], v[14:15], v[1:2]
	v_add_f64_e32 v[3:4], v[16:17], v[4:5]
	s_delay_alu instid0(VALU_DEP_2) | instskip(NEXT) | instid1(VALU_DEP_2)
	v_add_f64_e32 v[1:2], v[1:2], v[6:7]
	v_add_f64_e32 v[3:4], v[3:4], v[8:9]
	s_wait_loadcnt 0x0
	s_delay_alu instid0(VALU_DEP_2) | instskip(NEXT) | instid1(VALU_DEP_2)
	v_add_f64_e64 v[1:2], v[10:11], -v[1:2]
	v_add_f64_e64 v[3:4], v[12:13], -v[3:4]
	scratch_store_b128 off, v[1:4], off offset:192
	v_cmpx_lt_u32_e32 10, v0
	s_cbranch_execz .LBB125_377
; %bb.376:
	scratch_load_b128 v[1:4], off, s67
	v_mov_b32_e32 v5, 0
	s_delay_alu instid0(VALU_DEP_1)
	v_dual_mov_b32 v6, v5 :: v_dual_mov_b32 v7, v5
	v_mov_b32_e32 v8, v5
	scratch_store_b128 off, v[5:8], off offset:176
	s_wait_loadcnt 0x0
	ds_store_b128 v166, v[1:4]
.LBB125_377:
	s_wait_alu 0xfffe
	s_or_b32 exec_lo, exec_lo, s0
	s_wait_storecnt_dscnt 0x0
	s_barrier_signal -1
	s_barrier_wait -1
	global_inv scope:SCOPE_SE
	s_clause 0x7
	scratch_load_b128 v[2:5], off, off offset:192
	scratch_load_b128 v[6:9], off, off offset:208
	;; [unrolled: 1-line block ×8, first 2 shown]
	v_mov_b32_e32 v1, 0
	s_clause 0x1
	scratch_load_b128 v[34:37], off, off offset:320
	scratch_load_b128 v[171:174], off, off offset:336
	s_mov_b32 s0, exec_lo
	ds_load_b128 v[38:41], v1 offset:1168
	ds_load_b128 v[167:170], v1 offset:1184
	s_wait_loadcnt_dscnt 0x901
	v_mul_f64_e32 v[175:176], v[40:41], v[4:5]
	v_mul_f64_e32 v[4:5], v[38:39], v[4:5]
	s_wait_loadcnt_dscnt 0x800
	v_mul_f64_e32 v[177:178], v[167:168], v[8:9]
	v_mul_f64_e32 v[8:9], v[169:170], v[8:9]
	s_delay_alu instid0(VALU_DEP_4) | instskip(NEXT) | instid1(VALU_DEP_4)
	v_fma_f64 v[175:176], v[38:39], v[2:3], -v[175:176]
	v_fma_f64 v[179:180], v[40:41], v[2:3], v[4:5]
	ds_load_b128 v[2:5], v1 offset:1200
	scratch_load_b128 v[38:41], off, off offset:352
	v_fma_f64 v[177:178], v[169:170], v[6:7], v[177:178]
	v_fma_f64 v[183:184], v[167:168], v[6:7], -v[8:9]
	ds_load_b128 v[6:9], v1 offset:1216
	scratch_load_b128 v[167:170], off, off offset:368
	s_wait_loadcnt_dscnt 0x901
	v_mul_f64_e32 v[181:182], v[2:3], v[12:13]
	v_mul_f64_e32 v[12:13], v[4:5], v[12:13]
	s_wait_loadcnt_dscnt 0x800
	v_mul_f64_e32 v[185:186], v[6:7], v[16:17]
	v_mul_f64_e32 v[16:17], v[8:9], v[16:17]
	v_add_f64_e32 v[175:176], 0, v[175:176]
	v_add_f64_e32 v[179:180], 0, v[179:180]
	v_fma_f64 v[181:182], v[4:5], v[10:11], v[181:182]
	v_fma_f64 v[187:188], v[2:3], v[10:11], -v[12:13]
	ds_load_b128 v[2:5], v1 offset:1232
	scratch_load_b128 v[10:13], off, off offset:384
	v_add_f64_e32 v[175:176], v[175:176], v[183:184]
	v_add_f64_e32 v[177:178], v[179:180], v[177:178]
	v_fma_f64 v[183:184], v[8:9], v[14:15], v[185:186]
	v_fma_f64 v[185:186], v[6:7], v[14:15], -v[16:17]
	ds_load_b128 v[6:9], v1 offset:1248
	scratch_load_b128 v[14:17], off, off offset:400
	s_wait_loadcnt_dscnt 0x901
	v_mul_f64_e32 v[179:180], v[2:3], v[20:21]
	v_mul_f64_e32 v[20:21], v[4:5], v[20:21]
	v_add_f64_e32 v[175:176], v[175:176], v[187:188]
	v_add_f64_e32 v[177:178], v[177:178], v[181:182]
	s_wait_loadcnt_dscnt 0x800
	v_mul_f64_e32 v[181:182], v[6:7], v[24:25]
	v_mul_f64_e32 v[24:25], v[8:9], v[24:25]
	v_fma_f64 v[179:180], v[4:5], v[18:19], v[179:180]
	v_fma_f64 v[187:188], v[2:3], v[18:19], -v[20:21]
	ds_load_b128 v[2:5], v1 offset:1264
	scratch_load_b128 v[18:21], off, off offset:416
	v_add_f64_e32 v[175:176], v[175:176], v[185:186]
	v_add_f64_e32 v[177:178], v[177:178], v[183:184]
	v_fma_f64 v[181:182], v[8:9], v[22:23], v[181:182]
	v_fma_f64 v[185:186], v[6:7], v[22:23], -v[24:25]
	ds_load_b128 v[6:9], v1 offset:1280
	s_wait_loadcnt_dscnt 0x801
	v_mul_f64_e32 v[183:184], v[2:3], v[28:29]
	v_mul_f64_e32 v[28:29], v[4:5], v[28:29]
	scratch_load_b128 v[22:25], off, off offset:432
	v_add_f64_e32 v[175:176], v[175:176], v[187:188]
	v_add_f64_e32 v[177:178], v[177:178], v[179:180]
	s_wait_loadcnt_dscnt 0x800
	v_mul_f64_e32 v[179:180], v[6:7], v[32:33]
	v_mul_f64_e32 v[32:33], v[8:9], v[32:33]
	v_fma_f64 v[183:184], v[4:5], v[26:27], v[183:184]
	v_fma_f64 v[187:188], v[2:3], v[26:27], -v[28:29]
	ds_load_b128 v[2:5], v1 offset:1296
	scratch_load_b128 v[26:29], off, off offset:448
	v_add_f64_e32 v[175:176], v[175:176], v[185:186]
	v_add_f64_e32 v[177:178], v[177:178], v[181:182]
	v_fma_f64 v[179:180], v[8:9], v[30:31], v[179:180]
	v_fma_f64 v[185:186], v[6:7], v[30:31], -v[32:33]
	ds_load_b128 v[6:9], v1 offset:1312
	s_wait_loadcnt_dscnt 0x801
	v_mul_f64_e32 v[181:182], v[2:3], v[36:37]
	v_mul_f64_e32 v[36:37], v[4:5], v[36:37]
	scratch_load_b128 v[30:33], off, off offset:464
	v_add_f64_e32 v[175:176], v[175:176], v[187:188]
	v_add_f64_e32 v[177:178], v[177:178], v[183:184]
	s_wait_loadcnt_dscnt 0x800
	v_mul_f64_e32 v[183:184], v[6:7], v[173:174]
	v_mul_f64_e32 v[173:174], v[8:9], v[173:174]
	v_fma_f64 v[181:182], v[4:5], v[34:35], v[181:182]
	v_fma_f64 v[187:188], v[2:3], v[34:35], -v[36:37]
	ds_load_b128 v[2:5], v1 offset:1328
	scratch_load_b128 v[34:37], off, off offset:480
	v_add_f64_e32 v[175:176], v[175:176], v[185:186]
	v_add_f64_e32 v[177:178], v[177:178], v[179:180]
	v_fma_f64 v[183:184], v[8:9], v[171:172], v[183:184]
	v_fma_f64 v[185:186], v[6:7], v[171:172], -v[173:174]
	ds_load_b128 v[6:9], v1 offset:1344
	scratch_load_b128 v[171:174], off, off offset:496
	s_wait_loadcnt_dscnt 0x901
	v_mul_f64_e32 v[179:180], v[2:3], v[40:41]
	v_mul_f64_e32 v[40:41], v[4:5], v[40:41]
	v_add_f64_e32 v[175:176], v[175:176], v[187:188]
	v_add_f64_e32 v[177:178], v[177:178], v[181:182]
	s_wait_loadcnt_dscnt 0x800
	v_mul_f64_e32 v[181:182], v[6:7], v[169:170]
	v_mul_f64_e32 v[169:170], v[8:9], v[169:170]
	v_fma_f64 v[179:180], v[4:5], v[38:39], v[179:180]
	v_fma_f64 v[187:188], v[2:3], v[38:39], -v[40:41]
	ds_load_b128 v[2:5], v1 offset:1360
	scratch_load_b128 v[38:41], off, off offset:512
	v_add_f64_e32 v[175:176], v[175:176], v[185:186]
	v_add_f64_e32 v[177:178], v[177:178], v[183:184]
	v_fma_f64 v[181:182], v[8:9], v[167:168], v[181:182]
	v_fma_f64 v[185:186], v[6:7], v[167:168], -v[169:170]
	ds_load_b128 v[6:9], v1 offset:1376
	s_wait_loadcnt_dscnt 0x801
	v_mul_f64_e32 v[183:184], v[2:3], v[12:13]
	v_mul_f64_e32 v[12:13], v[4:5], v[12:13]
	scratch_load_b128 v[167:170], off, off offset:528
	v_add_f64_e32 v[175:176], v[175:176], v[187:188]
	v_add_f64_e32 v[177:178], v[177:178], v[179:180]
	s_wait_loadcnt_dscnt 0x800
	v_mul_f64_e32 v[179:180], v[6:7], v[16:17]
	v_mul_f64_e32 v[16:17], v[8:9], v[16:17]
	v_fma_f64 v[183:184], v[4:5], v[10:11], v[183:184]
	v_fma_f64 v[187:188], v[2:3], v[10:11], -v[12:13]
	ds_load_b128 v[2:5], v1 offset:1392
	scratch_load_b128 v[10:13], off, off offset:544
	v_add_f64_e32 v[175:176], v[175:176], v[185:186]
	v_add_f64_e32 v[177:178], v[177:178], v[181:182]
	v_fma_f64 v[179:180], v[8:9], v[14:15], v[179:180]
	v_fma_f64 v[185:186], v[6:7], v[14:15], -v[16:17]
	ds_load_b128 v[6:9], v1 offset:1408
	s_wait_loadcnt_dscnt 0x801
	v_mul_f64_e32 v[181:182], v[2:3], v[20:21]
	v_mul_f64_e32 v[20:21], v[4:5], v[20:21]
	scratch_load_b128 v[14:17], off, off offset:560
	;; [unrolled: 18-line block ×15, first 2 shown]
	v_add_f64_e32 v[175:176], v[175:176], v[187:188]
	v_add_f64_e32 v[177:178], v[177:178], v[181:182]
	s_wait_loadcnt_dscnt 0x800
	v_mul_f64_e32 v[181:182], v[6:7], v[169:170]
	v_mul_f64_e32 v[169:170], v[8:9], v[169:170]
	v_fma_f64 v[179:180], v[4:5], v[38:39], v[179:180]
	v_fma_f64 v[187:188], v[2:3], v[38:39], -v[40:41]
	ds_load_b128 v[2:5], v1 offset:1840
	scratch_load_b128 v[38:41], off, off offset:992
	v_add_f64_e32 v[175:176], v[175:176], v[185:186]
	v_add_f64_e32 v[177:178], v[177:178], v[183:184]
	v_fma_f64 v[181:182], v[8:9], v[167:168], v[181:182]
	v_fma_f64 v[167:168], v[6:7], v[167:168], -v[169:170]
	ds_load_b128 v[6:9], v1 offset:1856
	s_wait_loadcnt_dscnt 0x801
	v_mul_f64_e32 v[183:184], v[2:3], v[12:13]
	v_mul_f64_e32 v[12:13], v[4:5], v[12:13]
	v_add_f64_e32 v[169:170], v[175:176], v[187:188]
	v_add_f64_e32 v[175:176], v[177:178], v[179:180]
	s_wait_loadcnt_dscnt 0x700
	v_mul_f64_e32 v[177:178], v[6:7], v[16:17]
	v_mul_f64_e32 v[16:17], v[8:9], v[16:17]
	v_fma_f64 v[179:180], v[4:5], v[10:11], v[183:184]
	v_fma_f64 v[10:11], v[2:3], v[10:11], -v[12:13]
	ds_load_b128 v[2:5], v1 offset:1872
	v_add_f64_e32 v[12:13], v[169:170], v[167:168]
	v_add_f64_e32 v[167:168], v[175:176], v[181:182]
	v_fma_f64 v[175:176], v[8:9], v[14:15], v[177:178]
	v_fma_f64 v[14:15], v[6:7], v[14:15], -v[16:17]
	ds_load_b128 v[6:9], v1 offset:1888
	s_wait_loadcnt_dscnt 0x500
	v_mul_f64_e32 v[177:178], v[6:7], v[24:25]
	v_mul_f64_e32 v[24:25], v[8:9], v[24:25]
	v_add_f64_e32 v[16:17], v[12:13], v[10:11]
	v_add_f64_e32 v[167:168], v[167:168], v[179:180]
	scratch_load_b128 v[10:13], off, off offset:176
	v_mul_f64_e32 v[169:170], v[2:3], v[20:21]
	v_mul_f64_e32 v[20:21], v[4:5], v[20:21]
	v_add_f64_e32 v[14:15], v[16:17], v[14:15]
	v_add_f64_e32 v[16:17], v[167:168], v[175:176]
	v_fma_f64 v[167:168], v[8:9], v[22:23], v[177:178]
	v_fma_f64 v[169:170], v[4:5], v[18:19], v[169:170]
	v_fma_f64 v[18:19], v[2:3], v[18:19], -v[20:21]
	ds_load_b128 v[2:5], v1 offset:1904
	v_fma_f64 v[22:23], v[6:7], v[22:23], -v[24:25]
	ds_load_b128 v[6:9], v1 offset:1920
	s_wait_loadcnt_dscnt 0x501
	v_mul_f64_e32 v[20:21], v[2:3], v[28:29]
	v_mul_f64_e32 v[28:29], v[4:5], v[28:29]
	s_wait_loadcnt_dscnt 0x400
	v_mul_f64_e32 v[24:25], v[8:9], v[32:33]
	v_add_f64_e32 v[16:17], v[16:17], v[169:170]
	v_add_f64_e32 v[14:15], v[14:15], v[18:19]
	v_mul_f64_e32 v[18:19], v[6:7], v[32:33]
	v_fma_f64 v[20:21], v[4:5], v[26:27], v[20:21]
	v_fma_f64 v[26:27], v[2:3], v[26:27], -v[28:29]
	ds_load_b128 v[2:5], v1 offset:1936
	v_fma_f64 v[24:25], v[6:7], v[30:31], -v[24:25]
	v_add_f64_e32 v[16:17], v[16:17], v[167:168]
	v_add_f64_e32 v[14:15], v[14:15], v[22:23]
	v_fma_f64 v[18:19], v[8:9], v[30:31], v[18:19]
	ds_load_b128 v[6:9], v1 offset:1952
	s_wait_loadcnt_dscnt 0x301
	v_mul_f64_e32 v[22:23], v[2:3], v[36:37]
	v_mul_f64_e32 v[28:29], v[4:5], v[36:37]
	v_add_f64_e32 v[16:17], v[16:17], v[20:21]
	v_add_f64_e32 v[14:15], v[14:15], v[26:27]
	s_wait_loadcnt_dscnt 0x200
	v_mul_f64_e32 v[20:21], v[6:7], v[173:174]
	v_mul_f64_e32 v[26:27], v[8:9], v[173:174]
	v_fma_f64 v[22:23], v[4:5], v[34:35], v[22:23]
	v_fma_f64 v[28:29], v[2:3], v[34:35], -v[28:29]
	ds_load_b128 v[2:5], v1 offset:1968
	v_add_f64_e32 v[16:17], v[16:17], v[18:19]
	v_add_f64_e32 v[14:15], v[14:15], v[24:25]
	s_wait_loadcnt_dscnt 0x100
	v_mul_f64_e32 v[18:19], v[2:3], v[40:41]
	v_mul_f64_e32 v[24:25], v[4:5], v[40:41]
	v_fma_f64 v[8:9], v[8:9], v[171:172], v[20:21]
	v_fma_f64 v[6:7], v[6:7], v[171:172], -v[26:27]
	v_add_f64_e32 v[16:17], v[16:17], v[22:23]
	v_add_f64_e32 v[14:15], v[14:15], v[28:29]
	v_fma_f64 v[4:5], v[4:5], v[38:39], v[18:19]
	v_fma_f64 v[2:3], v[2:3], v[38:39], -v[24:25]
	s_delay_alu instid0(VALU_DEP_4) | instskip(NEXT) | instid1(VALU_DEP_4)
	v_add_f64_e32 v[8:9], v[16:17], v[8:9]
	v_add_f64_e32 v[6:7], v[14:15], v[6:7]
	s_delay_alu instid0(VALU_DEP_2) | instskip(NEXT) | instid1(VALU_DEP_2)
	v_add_f64_e32 v[4:5], v[8:9], v[4:5]
	v_add_f64_e32 v[2:3], v[6:7], v[2:3]
	s_wait_loadcnt 0x0
	s_delay_alu instid0(VALU_DEP_2) | instskip(NEXT) | instid1(VALU_DEP_2)
	v_add_f64_e64 v[4:5], v[12:13], -v[4:5]
	v_add_f64_e64 v[2:3], v[10:11], -v[2:3]
	scratch_store_b128 off, v[2:5], off offset:176
	v_cmpx_lt_u32_e32 9, v0
	s_cbranch_execz .LBB125_379
; %bb.378:
	scratch_load_b128 v[5:8], off, s68
	v_dual_mov_b32 v2, v1 :: v_dual_mov_b32 v3, v1
	v_mov_b32_e32 v4, v1
	scratch_store_b128 off, v[1:4], off offset:160
	s_wait_loadcnt 0x0
	ds_store_b128 v166, v[5:8]
.LBB125_379:
	s_wait_alu 0xfffe
	s_or_b32 exec_lo, exec_lo, s0
	s_wait_storecnt_dscnt 0x0
	s_barrier_signal -1
	s_barrier_wait -1
	global_inv scope:SCOPE_SE
	s_clause 0x7
	scratch_load_b128 v[2:5], off, off offset:176
	scratch_load_b128 v[6:9], off, off offset:192
	;; [unrolled: 1-line block ×8, first 2 shown]
	ds_load_b128 v[38:41], v1 offset:1152
	ds_load_b128 v[167:170], v1 offset:1168
	s_clause 0x1
	scratch_load_b128 v[34:37], off, off offset:304
	scratch_load_b128 v[171:174], off, off offset:320
	s_mov_b32 s0, exec_lo
	s_wait_loadcnt_dscnt 0x901
	v_mul_f64_e32 v[175:176], v[40:41], v[4:5]
	v_mul_f64_e32 v[4:5], v[38:39], v[4:5]
	s_wait_loadcnt_dscnt 0x800
	v_mul_f64_e32 v[177:178], v[167:168], v[8:9]
	v_mul_f64_e32 v[8:9], v[169:170], v[8:9]
	s_delay_alu instid0(VALU_DEP_4) | instskip(NEXT) | instid1(VALU_DEP_4)
	v_fma_f64 v[175:176], v[38:39], v[2:3], -v[175:176]
	v_fma_f64 v[179:180], v[40:41], v[2:3], v[4:5]
	ds_load_b128 v[2:5], v1 offset:1184
	scratch_load_b128 v[38:41], off, off offset:336
	v_fma_f64 v[177:178], v[169:170], v[6:7], v[177:178]
	v_fma_f64 v[183:184], v[167:168], v[6:7], -v[8:9]
	ds_load_b128 v[6:9], v1 offset:1200
	scratch_load_b128 v[167:170], off, off offset:352
	s_wait_loadcnt_dscnt 0x901
	v_mul_f64_e32 v[181:182], v[2:3], v[12:13]
	v_mul_f64_e32 v[12:13], v[4:5], v[12:13]
	s_wait_loadcnt_dscnt 0x800
	v_mul_f64_e32 v[185:186], v[6:7], v[16:17]
	v_mul_f64_e32 v[16:17], v[8:9], v[16:17]
	v_add_f64_e32 v[175:176], 0, v[175:176]
	v_add_f64_e32 v[179:180], 0, v[179:180]
	v_fma_f64 v[181:182], v[4:5], v[10:11], v[181:182]
	v_fma_f64 v[187:188], v[2:3], v[10:11], -v[12:13]
	ds_load_b128 v[2:5], v1 offset:1216
	scratch_load_b128 v[10:13], off, off offset:368
	v_add_f64_e32 v[175:176], v[175:176], v[183:184]
	v_add_f64_e32 v[177:178], v[179:180], v[177:178]
	v_fma_f64 v[183:184], v[8:9], v[14:15], v[185:186]
	v_fma_f64 v[185:186], v[6:7], v[14:15], -v[16:17]
	ds_load_b128 v[6:9], v1 offset:1232
	scratch_load_b128 v[14:17], off, off offset:384
	s_wait_loadcnt_dscnt 0x901
	v_mul_f64_e32 v[179:180], v[2:3], v[20:21]
	v_mul_f64_e32 v[20:21], v[4:5], v[20:21]
	v_add_f64_e32 v[175:176], v[175:176], v[187:188]
	v_add_f64_e32 v[177:178], v[177:178], v[181:182]
	s_wait_loadcnt_dscnt 0x800
	v_mul_f64_e32 v[181:182], v[6:7], v[24:25]
	v_mul_f64_e32 v[24:25], v[8:9], v[24:25]
	v_fma_f64 v[179:180], v[4:5], v[18:19], v[179:180]
	v_fma_f64 v[187:188], v[2:3], v[18:19], -v[20:21]
	ds_load_b128 v[2:5], v1 offset:1248
	scratch_load_b128 v[18:21], off, off offset:400
	v_add_f64_e32 v[175:176], v[175:176], v[185:186]
	v_add_f64_e32 v[177:178], v[177:178], v[183:184]
	v_fma_f64 v[181:182], v[8:9], v[22:23], v[181:182]
	v_fma_f64 v[185:186], v[6:7], v[22:23], -v[24:25]
	ds_load_b128 v[6:9], v1 offset:1264
	s_wait_loadcnt_dscnt 0x801
	v_mul_f64_e32 v[183:184], v[2:3], v[28:29]
	v_mul_f64_e32 v[28:29], v[4:5], v[28:29]
	scratch_load_b128 v[22:25], off, off offset:416
	v_add_f64_e32 v[175:176], v[175:176], v[187:188]
	v_add_f64_e32 v[177:178], v[177:178], v[179:180]
	s_wait_loadcnt_dscnt 0x800
	v_mul_f64_e32 v[179:180], v[6:7], v[32:33]
	v_mul_f64_e32 v[32:33], v[8:9], v[32:33]
	v_fma_f64 v[183:184], v[4:5], v[26:27], v[183:184]
	v_fma_f64 v[187:188], v[2:3], v[26:27], -v[28:29]
	ds_load_b128 v[2:5], v1 offset:1280
	scratch_load_b128 v[26:29], off, off offset:432
	v_add_f64_e32 v[175:176], v[175:176], v[185:186]
	v_add_f64_e32 v[177:178], v[177:178], v[181:182]
	v_fma_f64 v[179:180], v[8:9], v[30:31], v[179:180]
	v_fma_f64 v[185:186], v[6:7], v[30:31], -v[32:33]
	ds_load_b128 v[6:9], v1 offset:1296
	s_wait_loadcnt_dscnt 0x801
	v_mul_f64_e32 v[181:182], v[2:3], v[36:37]
	v_mul_f64_e32 v[36:37], v[4:5], v[36:37]
	scratch_load_b128 v[30:33], off, off offset:448
	v_add_f64_e32 v[175:176], v[175:176], v[187:188]
	v_add_f64_e32 v[177:178], v[177:178], v[183:184]
	s_wait_loadcnt_dscnt 0x800
	v_mul_f64_e32 v[183:184], v[6:7], v[173:174]
	v_mul_f64_e32 v[173:174], v[8:9], v[173:174]
	v_fma_f64 v[181:182], v[4:5], v[34:35], v[181:182]
	v_fma_f64 v[187:188], v[2:3], v[34:35], -v[36:37]
	ds_load_b128 v[2:5], v1 offset:1312
	scratch_load_b128 v[34:37], off, off offset:464
	v_add_f64_e32 v[175:176], v[175:176], v[185:186]
	v_add_f64_e32 v[177:178], v[177:178], v[179:180]
	v_fma_f64 v[183:184], v[8:9], v[171:172], v[183:184]
	v_fma_f64 v[185:186], v[6:7], v[171:172], -v[173:174]
	ds_load_b128 v[6:9], v1 offset:1328
	scratch_load_b128 v[171:174], off, off offset:480
	s_wait_loadcnt_dscnt 0x901
	v_mul_f64_e32 v[179:180], v[2:3], v[40:41]
	v_mul_f64_e32 v[40:41], v[4:5], v[40:41]
	v_add_f64_e32 v[175:176], v[175:176], v[187:188]
	v_add_f64_e32 v[177:178], v[177:178], v[181:182]
	s_wait_loadcnt_dscnt 0x800
	v_mul_f64_e32 v[181:182], v[6:7], v[169:170]
	v_mul_f64_e32 v[169:170], v[8:9], v[169:170]
	v_fma_f64 v[179:180], v[4:5], v[38:39], v[179:180]
	v_fma_f64 v[187:188], v[2:3], v[38:39], -v[40:41]
	ds_load_b128 v[2:5], v1 offset:1344
	scratch_load_b128 v[38:41], off, off offset:496
	v_add_f64_e32 v[175:176], v[175:176], v[185:186]
	v_add_f64_e32 v[177:178], v[177:178], v[183:184]
	v_fma_f64 v[181:182], v[8:9], v[167:168], v[181:182]
	v_fma_f64 v[185:186], v[6:7], v[167:168], -v[169:170]
	ds_load_b128 v[6:9], v1 offset:1360
	s_wait_loadcnt_dscnt 0x801
	v_mul_f64_e32 v[183:184], v[2:3], v[12:13]
	v_mul_f64_e32 v[12:13], v[4:5], v[12:13]
	scratch_load_b128 v[167:170], off, off offset:512
	v_add_f64_e32 v[175:176], v[175:176], v[187:188]
	v_add_f64_e32 v[177:178], v[177:178], v[179:180]
	s_wait_loadcnt_dscnt 0x800
	v_mul_f64_e32 v[179:180], v[6:7], v[16:17]
	v_mul_f64_e32 v[16:17], v[8:9], v[16:17]
	v_fma_f64 v[183:184], v[4:5], v[10:11], v[183:184]
	v_fma_f64 v[187:188], v[2:3], v[10:11], -v[12:13]
	ds_load_b128 v[2:5], v1 offset:1376
	scratch_load_b128 v[10:13], off, off offset:528
	v_add_f64_e32 v[175:176], v[175:176], v[185:186]
	v_add_f64_e32 v[177:178], v[177:178], v[181:182]
	v_fma_f64 v[179:180], v[8:9], v[14:15], v[179:180]
	v_fma_f64 v[185:186], v[6:7], v[14:15], -v[16:17]
	ds_load_b128 v[6:9], v1 offset:1392
	s_wait_loadcnt_dscnt 0x801
	v_mul_f64_e32 v[181:182], v[2:3], v[20:21]
	v_mul_f64_e32 v[20:21], v[4:5], v[20:21]
	scratch_load_b128 v[14:17], off, off offset:544
	;; [unrolled: 18-line block ×16, first 2 shown]
	v_add_f64_e32 v[175:176], v[175:176], v[187:188]
	v_add_f64_e32 v[177:178], v[177:178], v[179:180]
	s_wait_loadcnt_dscnt 0x800
	v_mul_f64_e32 v[179:180], v[6:7], v[16:17]
	v_mul_f64_e32 v[16:17], v[8:9], v[16:17]
	v_fma_f64 v[183:184], v[4:5], v[10:11], v[183:184]
	v_fma_f64 v[10:11], v[2:3], v[10:11], -v[12:13]
	ds_load_b128 v[2:5], v1 offset:1856
	v_add_f64_e32 v[12:13], v[175:176], v[185:186]
	v_add_f64_e32 v[175:176], v[177:178], v[181:182]
	v_fma_f64 v[179:180], v[8:9], v[14:15], v[179:180]
	v_fma_f64 v[14:15], v[6:7], v[14:15], -v[16:17]
	ds_load_b128 v[6:9], v1 offset:1872
	s_wait_loadcnt_dscnt 0x701
	v_mul_f64_e32 v[177:178], v[2:3], v[20:21]
	v_mul_f64_e32 v[20:21], v[4:5], v[20:21]
	v_add_f64_e32 v[10:11], v[12:13], v[10:11]
	v_add_f64_e32 v[12:13], v[175:176], v[183:184]
	s_delay_alu instid0(VALU_DEP_4) | instskip(NEXT) | instid1(VALU_DEP_4)
	v_fma_f64 v[175:176], v[4:5], v[18:19], v[177:178]
	v_fma_f64 v[18:19], v[2:3], v[18:19], -v[20:21]
	ds_load_b128 v[2:5], v1 offset:1888
	v_add_f64_e32 v[14:15], v[10:11], v[14:15]
	v_add_f64_e32 v[20:21], v[12:13], v[179:180]
	scratch_load_b128 v[10:13], off, off offset:160
	s_wait_loadcnt_dscnt 0x701
	v_mul_f64_e32 v[16:17], v[6:7], v[24:25]
	v_mul_f64_e32 v[24:25], v[8:9], v[24:25]
	v_add_f64_e32 v[14:15], v[14:15], v[18:19]
	v_add_f64_e32 v[18:19], v[20:21], v[175:176]
	s_delay_alu instid0(VALU_DEP_4) | instskip(NEXT) | instid1(VALU_DEP_4)
	v_fma_f64 v[16:17], v[8:9], v[22:23], v[16:17]
	v_fma_f64 v[22:23], v[6:7], v[22:23], -v[24:25]
	ds_load_b128 v[6:9], v1 offset:1904
	s_wait_loadcnt_dscnt 0x601
	v_mul_f64_e32 v[177:178], v[2:3], v[28:29]
	v_mul_f64_e32 v[28:29], v[4:5], v[28:29]
	s_wait_loadcnt_dscnt 0x500
	v_mul_f64_e32 v[20:21], v[6:7], v[32:33]
	v_mul_f64_e32 v[24:25], v[8:9], v[32:33]
	v_add_f64_e32 v[16:17], v[18:19], v[16:17]
	v_add_f64_e32 v[14:15], v[14:15], v[22:23]
	v_fma_f64 v[32:33], v[4:5], v[26:27], v[177:178]
	v_fma_f64 v[26:27], v[2:3], v[26:27], -v[28:29]
	ds_load_b128 v[2:5], v1 offset:1920
	v_fma_f64 v[20:21], v[8:9], v[30:31], v[20:21]
	v_fma_f64 v[24:25], v[6:7], v[30:31], -v[24:25]
	ds_load_b128 v[6:9], v1 offset:1936
	s_wait_loadcnt_dscnt 0x401
	v_mul_f64_e32 v[18:19], v[2:3], v[36:37]
	v_mul_f64_e32 v[22:23], v[4:5], v[36:37]
	v_add_f64_e32 v[16:17], v[16:17], v[32:33]
	v_add_f64_e32 v[14:15], v[14:15], v[26:27]
	s_wait_loadcnt_dscnt 0x300
	v_mul_f64_e32 v[26:27], v[6:7], v[173:174]
	v_mul_f64_e32 v[28:29], v[8:9], v[173:174]
	v_fma_f64 v[18:19], v[4:5], v[34:35], v[18:19]
	v_fma_f64 v[22:23], v[2:3], v[34:35], -v[22:23]
	ds_load_b128 v[2:5], v1 offset:1952
	v_add_f64_e32 v[16:17], v[16:17], v[20:21]
	v_add_f64_e32 v[14:15], v[14:15], v[24:25]
	v_fma_f64 v[26:27], v[8:9], v[171:172], v[26:27]
	v_fma_f64 v[28:29], v[6:7], v[171:172], -v[28:29]
	ds_load_b128 v[6:9], v1 offset:1968
	s_wait_loadcnt_dscnt 0x201
	v_mul_f64_e32 v[20:21], v[2:3], v[40:41]
	v_mul_f64_e32 v[24:25], v[4:5], v[40:41]
	v_add_f64_e32 v[16:17], v[16:17], v[18:19]
	v_add_f64_e32 v[14:15], v[14:15], v[22:23]
	s_wait_loadcnt_dscnt 0x100
	v_mul_f64_e32 v[18:19], v[6:7], v[169:170]
	v_mul_f64_e32 v[22:23], v[8:9], v[169:170]
	v_fma_f64 v[4:5], v[4:5], v[38:39], v[20:21]
	v_fma_f64 v[1:2], v[2:3], v[38:39], -v[24:25]
	v_add_f64_e32 v[16:17], v[16:17], v[26:27]
	v_add_f64_e32 v[14:15], v[14:15], v[28:29]
	v_fma_f64 v[8:9], v[8:9], v[167:168], v[18:19]
	v_fma_f64 v[6:7], v[6:7], v[167:168], -v[22:23]
	s_delay_alu instid0(VALU_DEP_4) | instskip(NEXT) | instid1(VALU_DEP_4)
	v_add_f64_e32 v[3:4], v[16:17], v[4:5]
	v_add_f64_e32 v[1:2], v[14:15], v[1:2]
	s_delay_alu instid0(VALU_DEP_2) | instskip(NEXT) | instid1(VALU_DEP_2)
	v_add_f64_e32 v[3:4], v[3:4], v[8:9]
	v_add_f64_e32 v[1:2], v[1:2], v[6:7]
	s_wait_loadcnt 0x0
	s_delay_alu instid0(VALU_DEP_2) | instskip(NEXT) | instid1(VALU_DEP_2)
	v_add_f64_e64 v[3:4], v[12:13], -v[3:4]
	v_add_f64_e64 v[1:2], v[10:11], -v[1:2]
	scratch_store_b128 off, v[1:4], off offset:160
	v_cmpx_lt_u32_e32 8, v0
	s_cbranch_execz .LBB125_381
; %bb.380:
	scratch_load_b128 v[1:4], off, s69
	v_mov_b32_e32 v5, 0
	s_delay_alu instid0(VALU_DEP_1)
	v_dual_mov_b32 v6, v5 :: v_dual_mov_b32 v7, v5
	v_mov_b32_e32 v8, v5
	scratch_store_b128 off, v[5:8], off offset:144
	s_wait_loadcnt 0x0
	ds_store_b128 v166, v[1:4]
.LBB125_381:
	s_wait_alu 0xfffe
	s_or_b32 exec_lo, exec_lo, s0
	s_wait_storecnt_dscnt 0x0
	s_barrier_signal -1
	s_barrier_wait -1
	global_inv scope:SCOPE_SE
	s_clause 0x7
	scratch_load_b128 v[2:5], off, off offset:160
	scratch_load_b128 v[6:9], off, off offset:176
	;; [unrolled: 1-line block ×8, first 2 shown]
	v_mov_b32_e32 v1, 0
	s_clause 0x1
	scratch_load_b128 v[34:37], off, off offset:288
	scratch_load_b128 v[171:174], off, off offset:304
	s_mov_b32 s0, exec_lo
	ds_load_b128 v[38:41], v1 offset:1136
	ds_load_b128 v[167:170], v1 offset:1152
	s_wait_loadcnt_dscnt 0x901
	v_mul_f64_e32 v[175:176], v[40:41], v[4:5]
	v_mul_f64_e32 v[4:5], v[38:39], v[4:5]
	s_wait_loadcnt_dscnt 0x800
	v_mul_f64_e32 v[177:178], v[167:168], v[8:9]
	v_mul_f64_e32 v[8:9], v[169:170], v[8:9]
	s_delay_alu instid0(VALU_DEP_4) | instskip(NEXT) | instid1(VALU_DEP_4)
	v_fma_f64 v[175:176], v[38:39], v[2:3], -v[175:176]
	v_fma_f64 v[179:180], v[40:41], v[2:3], v[4:5]
	ds_load_b128 v[2:5], v1 offset:1168
	scratch_load_b128 v[38:41], off, off offset:320
	v_fma_f64 v[177:178], v[169:170], v[6:7], v[177:178]
	v_fma_f64 v[183:184], v[167:168], v[6:7], -v[8:9]
	ds_load_b128 v[6:9], v1 offset:1184
	scratch_load_b128 v[167:170], off, off offset:336
	s_wait_loadcnt_dscnt 0x901
	v_mul_f64_e32 v[181:182], v[2:3], v[12:13]
	v_mul_f64_e32 v[12:13], v[4:5], v[12:13]
	s_wait_loadcnt_dscnt 0x800
	v_mul_f64_e32 v[185:186], v[6:7], v[16:17]
	v_mul_f64_e32 v[16:17], v[8:9], v[16:17]
	v_add_f64_e32 v[175:176], 0, v[175:176]
	v_add_f64_e32 v[179:180], 0, v[179:180]
	v_fma_f64 v[181:182], v[4:5], v[10:11], v[181:182]
	v_fma_f64 v[187:188], v[2:3], v[10:11], -v[12:13]
	ds_load_b128 v[2:5], v1 offset:1200
	scratch_load_b128 v[10:13], off, off offset:352
	v_add_f64_e32 v[175:176], v[175:176], v[183:184]
	v_add_f64_e32 v[177:178], v[179:180], v[177:178]
	v_fma_f64 v[183:184], v[8:9], v[14:15], v[185:186]
	v_fma_f64 v[185:186], v[6:7], v[14:15], -v[16:17]
	ds_load_b128 v[6:9], v1 offset:1216
	scratch_load_b128 v[14:17], off, off offset:368
	s_wait_loadcnt_dscnt 0x901
	v_mul_f64_e32 v[179:180], v[2:3], v[20:21]
	v_mul_f64_e32 v[20:21], v[4:5], v[20:21]
	v_add_f64_e32 v[175:176], v[175:176], v[187:188]
	v_add_f64_e32 v[177:178], v[177:178], v[181:182]
	s_wait_loadcnt_dscnt 0x800
	v_mul_f64_e32 v[181:182], v[6:7], v[24:25]
	v_mul_f64_e32 v[24:25], v[8:9], v[24:25]
	v_fma_f64 v[179:180], v[4:5], v[18:19], v[179:180]
	v_fma_f64 v[187:188], v[2:3], v[18:19], -v[20:21]
	ds_load_b128 v[2:5], v1 offset:1232
	scratch_load_b128 v[18:21], off, off offset:384
	v_add_f64_e32 v[175:176], v[175:176], v[185:186]
	v_add_f64_e32 v[177:178], v[177:178], v[183:184]
	v_fma_f64 v[181:182], v[8:9], v[22:23], v[181:182]
	v_fma_f64 v[185:186], v[6:7], v[22:23], -v[24:25]
	ds_load_b128 v[6:9], v1 offset:1248
	s_wait_loadcnt_dscnt 0x801
	v_mul_f64_e32 v[183:184], v[2:3], v[28:29]
	v_mul_f64_e32 v[28:29], v[4:5], v[28:29]
	scratch_load_b128 v[22:25], off, off offset:400
	v_add_f64_e32 v[175:176], v[175:176], v[187:188]
	v_add_f64_e32 v[177:178], v[177:178], v[179:180]
	s_wait_loadcnt_dscnt 0x800
	v_mul_f64_e32 v[179:180], v[6:7], v[32:33]
	v_mul_f64_e32 v[32:33], v[8:9], v[32:33]
	v_fma_f64 v[183:184], v[4:5], v[26:27], v[183:184]
	v_fma_f64 v[187:188], v[2:3], v[26:27], -v[28:29]
	ds_load_b128 v[2:5], v1 offset:1264
	scratch_load_b128 v[26:29], off, off offset:416
	v_add_f64_e32 v[175:176], v[175:176], v[185:186]
	v_add_f64_e32 v[177:178], v[177:178], v[181:182]
	v_fma_f64 v[179:180], v[8:9], v[30:31], v[179:180]
	v_fma_f64 v[185:186], v[6:7], v[30:31], -v[32:33]
	ds_load_b128 v[6:9], v1 offset:1280
	s_wait_loadcnt_dscnt 0x801
	v_mul_f64_e32 v[181:182], v[2:3], v[36:37]
	v_mul_f64_e32 v[36:37], v[4:5], v[36:37]
	scratch_load_b128 v[30:33], off, off offset:432
	v_add_f64_e32 v[175:176], v[175:176], v[187:188]
	v_add_f64_e32 v[177:178], v[177:178], v[183:184]
	s_wait_loadcnt_dscnt 0x800
	v_mul_f64_e32 v[183:184], v[6:7], v[173:174]
	v_mul_f64_e32 v[173:174], v[8:9], v[173:174]
	v_fma_f64 v[181:182], v[4:5], v[34:35], v[181:182]
	v_fma_f64 v[187:188], v[2:3], v[34:35], -v[36:37]
	ds_load_b128 v[2:5], v1 offset:1296
	scratch_load_b128 v[34:37], off, off offset:448
	v_add_f64_e32 v[175:176], v[175:176], v[185:186]
	v_add_f64_e32 v[177:178], v[177:178], v[179:180]
	v_fma_f64 v[183:184], v[8:9], v[171:172], v[183:184]
	v_fma_f64 v[185:186], v[6:7], v[171:172], -v[173:174]
	ds_load_b128 v[6:9], v1 offset:1312
	scratch_load_b128 v[171:174], off, off offset:464
	s_wait_loadcnt_dscnt 0x901
	v_mul_f64_e32 v[179:180], v[2:3], v[40:41]
	v_mul_f64_e32 v[40:41], v[4:5], v[40:41]
	v_add_f64_e32 v[175:176], v[175:176], v[187:188]
	v_add_f64_e32 v[177:178], v[177:178], v[181:182]
	s_wait_loadcnt_dscnt 0x800
	v_mul_f64_e32 v[181:182], v[6:7], v[169:170]
	v_mul_f64_e32 v[169:170], v[8:9], v[169:170]
	v_fma_f64 v[179:180], v[4:5], v[38:39], v[179:180]
	v_fma_f64 v[187:188], v[2:3], v[38:39], -v[40:41]
	ds_load_b128 v[2:5], v1 offset:1328
	scratch_load_b128 v[38:41], off, off offset:480
	v_add_f64_e32 v[175:176], v[175:176], v[185:186]
	v_add_f64_e32 v[177:178], v[177:178], v[183:184]
	v_fma_f64 v[181:182], v[8:9], v[167:168], v[181:182]
	v_fma_f64 v[185:186], v[6:7], v[167:168], -v[169:170]
	ds_load_b128 v[6:9], v1 offset:1344
	s_wait_loadcnt_dscnt 0x801
	v_mul_f64_e32 v[183:184], v[2:3], v[12:13]
	v_mul_f64_e32 v[12:13], v[4:5], v[12:13]
	scratch_load_b128 v[167:170], off, off offset:496
	v_add_f64_e32 v[175:176], v[175:176], v[187:188]
	v_add_f64_e32 v[177:178], v[177:178], v[179:180]
	s_wait_loadcnt_dscnt 0x800
	v_mul_f64_e32 v[179:180], v[6:7], v[16:17]
	v_mul_f64_e32 v[16:17], v[8:9], v[16:17]
	v_fma_f64 v[183:184], v[4:5], v[10:11], v[183:184]
	v_fma_f64 v[187:188], v[2:3], v[10:11], -v[12:13]
	ds_load_b128 v[2:5], v1 offset:1360
	scratch_load_b128 v[10:13], off, off offset:512
	v_add_f64_e32 v[175:176], v[175:176], v[185:186]
	v_add_f64_e32 v[177:178], v[177:178], v[181:182]
	v_fma_f64 v[179:180], v[8:9], v[14:15], v[179:180]
	v_fma_f64 v[185:186], v[6:7], v[14:15], -v[16:17]
	ds_load_b128 v[6:9], v1 offset:1376
	s_wait_loadcnt_dscnt 0x801
	v_mul_f64_e32 v[181:182], v[2:3], v[20:21]
	v_mul_f64_e32 v[20:21], v[4:5], v[20:21]
	scratch_load_b128 v[14:17], off, off offset:528
	;; [unrolled: 18-line block ×16, first 2 shown]
	v_add_f64_e32 v[175:176], v[175:176], v[187:188]
	v_add_f64_e32 v[177:178], v[177:178], v[179:180]
	s_wait_loadcnt_dscnt 0x800
	v_mul_f64_e32 v[179:180], v[6:7], v[16:17]
	v_mul_f64_e32 v[16:17], v[8:9], v[16:17]
	v_fma_f64 v[183:184], v[4:5], v[10:11], v[183:184]
	v_fma_f64 v[187:188], v[2:3], v[10:11], -v[12:13]
	ds_load_b128 v[2:5], v1 offset:1840
	scratch_load_b128 v[10:13], off, off offset:992
	v_add_f64_e32 v[175:176], v[175:176], v[185:186]
	v_add_f64_e32 v[177:178], v[177:178], v[181:182]
	v_fma_f64 v[179:180], v[8:9], v[14:15], v[179:180]
	v_fma_f64 v[14:15], v[6:7], v[14:15], -v[16:17]
	ds_load_b128 v[6:9], v1 offset:1856
	s_wait_loadcnt_dscnt 0x801
	v_mul_f64_e32 v[181:182], v[2:3], v[20:21]
	v_mul_f64_e32 v[20:21], v[4:5], v[20:21]
	v_add_f64_e32 v[16:17], v[175:176], v[187:188]
	v_add_f64_e32 v[175:176], v[177:178], v[183:184]
	s_wait_loadcnt_dscnt 0x700
	v_mul_f64_e32 v[177:178], v[6:7], v[24:25]
	v_mul_f64_e32 v[24:25], v[8:9], v[24:25]
	v_fma_f64 v[181:182], v[4:5], v[18:19], v[181:182]
	v_fma_f64 v[18:19], v[2:3], v[18:19], -v[20:21]
	ds_load_b128 v[2:5], v1 offset:1872
	v_add_f64_e32 v[14:15], v[16:17], v[14:15]
	v_add_f64_e32 v[16:17], v[175:176], v[179:180]
	v_fma_f64 v[175:176], v[8:9], v[22:23], v[177:178]
	v_fma_f64 v[22:23], v[6:7], v[22:23], -v[24:25]
	ds_load_b128 v[6:9], v1 offset:1888
	s_wait_loadcnt_dscnt 0x500
	v_mul_f64_e32 v[177:178], v[6:7], v[32:33]
	v_mul_f64_e32 v[32:33], v[8:9], v[32:33]
	v_add_f64_e32 v[18:19], v[14:15], v[18:19]
	v_add_f64_e32 v[24:25], v[16:17], v[181:182]
	scratch_load_b128 v[14:17], off, off offset:144
	v_mul_f64_e32 v[20:21], v[2:3], v[28:29]
	v_mul_f64_e32 v[28:29], v[4:5], v[28:29]
	v_add_f64_e32 v[18:19], v[18:19], v[22:23]
	v_add_f64_e32 v[22:23], v[24:25], v[175:176]
	s_delay_alu instid0(VALU_DEP_4) | instskip(NEXT) | instid1(VALU_DEP_4)
	v_fma_f64 v[20:21], v[4:5], v[26:27], v[20:21]
	v_fma_f64 v[26:27], v[2:3], v[26:27], -v[28:29]
	ds_load_b128 v[2:5], v1 offset:1904
	s_wait_loadcnt_dscnt 0x500
	v_mul_f64_e32 v[24:25], v[2:3], v[36:37]
	v_mul_f64_e32 v[28:29], v[4:5], v[36:37]
	v_fma_f64 v[36:37], v[8:9], v[30:31], v[177:178]
	v_fma_f64 v[30:31], v[6:7], v[30:31], -v[32:33]
	ds_load_b128 v[6:9], v1 offset:1920
	v_add_f64_e32 v[20:21], v[22:23], v[20:21]
	v_add_f64_e32 v[18:19], v[18:19], v[26:27]
	v_fma_f64 v[24:25], v[4:5], v[34:35], v[24:25]
	v_fma_f64 v[28:29], v[2:3], v[34:35], -v[28:29]
	ds_load_b128 v[2:5], v1 offset:1936
	s_wait_loadcnt_dscnt 0x401
	v_mul_f64_e32 v[22:23], v[6:7], v[173:174]
	v_mul_f64_e32 v[26:27], v[8:9], v[173:174]
	v_add_f64_e32 v[20:21], v[20:21], v[36:37]
	v_add_f64_e32 v[18:19], v[18:19], v[30:31]
	s_wait_loadcnt_dscnt 0x300
	v_mul_f64_e32 v[30:31], v[2:3], v[40:41]
	v_mul_f64_e32 v[32:33], v[4:5], v[40:41]
	v_fma_f64 v[22:23], v[8:9], v[171:172], v[22:23]
	v_fma_f64 v[26:27], v[6:7], v[171:172], -v[26:27]
	ds_load_b128 v[6:9], v1 offset:1952
	v_add_f64_e32 v[20:21], v[20:21], v[24:25]
	v_add_f64_e32 v[18:19], v[18:19], v[28:29]
	v_fma_f64 v[30:31], v[4:5], v[38:39], v[30:31]
	v_fma_f64 v[32:33], v[2:3], v[38:39], -v[32:33]
	ds_load_b128 v[2:5], v1 offset:1968
	s_wait_loadcnt_dscnt 0x201
	v_mul_f64_e32 v[24:25], v[6:7], v[169:170]
	v_mul_f64_e32 v[28:29], v[8:9], v[169:170]
	v_add_f64_e32 v[20:21], v[20:21], v[22:23]
	v_add_f64_e32 v[18:19], v[18:19], v[26:27]
	s_wait_loadcnt_dscnt 0x100
	v_mul_f64_e32 v[22:23], v[2:3], v[12:13]
	v_mul_f64_e32 v[12:13], v[4:5], v[12:13]
	v_fma_f64 v[8:9], v[8:9], v[167:168], v[24:25]
	v_fma_f64 v[6:7], v[6:7], v[167:168], -v[28:29]
	v_add_f64_e32 v[20:21], v[20:21], v[30:31]
	v_add_f64_e32 v[18:19], v[18:19], v[32:33]
	v_fma_f64 v[4:5], v[4:5], v[10:11], v[22:23]
	v_fma_f64 v[2:3], v[2:3], v[10:11], -v[12:13]
	s_delay_alu instid0(VALU_DEP_4) | instskip(NEXT) | instid1(VALU_DEP_4)
	v_add_f64_e32 v[8:9], v[20:21], v[8:9]
	v_add_f64_e32 v[6:7], v[18:19], v[6:7]
	s_delay_alu instid0(VALU_DEP_2) | instskip(NEXT) | instid1(VALU_DEP_2)
	v_add_f64_e32 v[4:5], v[8:9], v[4:5]
	v_add_f64_e32 v[2:3], v[6:7], v[2:3]
	s_wait_loadcnt 0x0
	s_delay_alu instid0(VALU_DEP_2) | instskip(NEXT) | instid1(VALU_DEP_2)
	v_add_f64_e64 v[4:5], v[16:17], -v[4:5]
	v_add_f64_e64 v[2:3], v[14:15], -v[2:3]
	scratch_store_b128 off, v[2:5], off offset:144
	v_cmpx_lt_u32_e32 7, v0
	s_cbranch_execz .LBB125_383
; %bb.382:
	scratch_load_b128 v[5:8], off, s70
	v_dual_mov_b32 v2, v1 :: v_dual_mov_b32 v3, v1
	v_mov_b32_e32 v4, v1
	scratch_store_b128 off, v[1:4], off offset:128
	s_wait_loadcnt 0x0
	ds_store_b128 v166, v[5:8]
.LBB125_383:
	s_wait_alu 0xfffe
	s_or_b32 exec_lo, exec_lo, s0
	s_wait_storecnt_dscnt 0x0
	s_barrier_signal -1
	s_barrier_wait -1
	global_inv scope:SCOPE_SE
	s_clause 0x7
	scratch_load_b128 v[2:5], off, off offset:144
	scratch_load_b128 v[6:9], off, off offset:160
	;; [unrolled: 1-line block ×8, first 2 shown]
	ds_load_b128 v[38:41], v1 offset:1120
	ds_load_b128 v[167:170], v1 offset:1136
	s_clause 0x1
	scratch_load_b128 v[34:37], off, off offset:272
	scratch_load_b128 v[171:174], off, off offset:288
	s_mov_b32 s0, exec_lo
	s_wait_loadcnt_dscnt 0x901
	v_mul_f64_e32 v[175:176], v[40:41], v[4:5]
	v_mul_f64_e32 v[4:5], v[38:39], v[4:5]
	s_wait_loadcnt_dscnt 0x800
	v_mul_f64_e32 v[177:178], v[167:168], v[8:9]
	v_mul_f64_e32 v[8:9], v[169:170], v[8:9]
	s_delay_alu instid0(VALU_DEP_4) | instskip(NEXT) | instid1(VALU_DEP_4)
	v_fma_f64 v[175:176], v[38:39], v[2:3], -v[175:176]
	v_fma_f64 v[179:180], v[40:41], v[2:3], v[4:5]
	ds_load_b128 v[2:5], v1 offset:1152
	scratch_load_b128 v[38:41], off, off offset:304
	v_fma_f64 v[177:178], v[169:170], v[6:7], v[177:178]
	v_fma_f64 v[183:184], v[167:168], v[6:7], -v[8:9]
	ds_load_b128 v[6:9], v1 offset:1168
	scratch_load_b128 v[167:170], off, off offset:320
	s_wait_loadcnt_dscnt 0x901
	v_mul_f64_e32 v[181:182], v[2:3], v[12:13]
	v_mul_f64_e32 v[12:13], v[4:5], v[12:13]
	s_wait_loadcnt_dscnt 0x800
	v_mul_f64_e32 v[185:186], v[6:7], v[16:17]
	v_mul_f64_e32 v[16:17], v[8:9], v[16:17]
	v_add_f64_e32 v[175:176], 0, v[175:176]
	v_add_f64_e32 v[179:180], 0, v[179:180]
	v_fma_f64 v[181:182], v[4:5], v[10:11], v[181:182]
	v_fma_f64 v[187:188], v[2:3], v[10:11], -v[12:13]
	ds_load_b128 v[2:5], v1 offset:1184
	scratch_load_b128 v[10:13], off, off offset:336
	v_add_f64_e32 v[175:176], v[175:176], v[183:184]
	v_add_f64_e32 v[177:178], v[179:180], v[177:178]
	v_fma_f64 v[183:184], v[8:9], v[14:15], v[185:186]
	v_fma_f64 v[185:186], v[6:7], v[14:15], -v[16:17]
	ds_load_b128 v[6:9], v1 offset:1200
	scratch_load_b128 v[14:17], off, off offset:352
	s_wait_loadcnt_dscnt 0x901
	v_mul_f64_e32 v[179:180], v[2:3], v[20:21]
	v_mul_f64_e32 v[20:21], v[4:5], v[20:21]
	v_add_f64_e32 v[175:176], v[175:176], v[187:188]
	v_add_f64_e32 v[177:178], v[177:178], v[181:182]
	s_wait_loadcnt_dscnt 0x800
	v_mul_f64_e32 v[181:182], v[6:7], v[24:25]
	v_mul_f64_e32 v[24:25], v[8:9], v[24:25]
	v_fma_f64 v[179:180], v[4:5], v[18:19], v[179:180]
	v_fma_f64 v[187:188], v[2:3], v[18:19], -v[20:21]
	ds_load_b128 v[2:5], v1 offset:1216
	scratch_load_b128 v[18:21], off, off offset:368
	v_add_f64_e32 v[175:176], v[175:176], v[185:186]
	v_add_f64_e32 v[177:178], v[177:178], v[183:184]
	v_fma_f64 v[181:182], v[8:9], v[22:23], v[181:182]
	v_fma_f64 v[185:186], v[6:7], v[22:23], -v[24:25]
	ds_load_b128 v[6:9], v1 offset:1232
	s_wait_loadcnt_dscnt 0x801
	v_mul_f64_e32 v[183:184], v[2:3], v[28:29]
	v_mul_f64_e32 v[28:29], v[4:5], v[28:29]
	scratch_load_b128 v[22:25], off, off offset:384
	v_add_f64_e32 v[175:176], v[175:176], v[187:188]
	v_add_f64_e32 v[177:178], v[177:178], v[179:180]
	s_wait_loadcnt_dscnt 0x800
	v_mul_f64_e32 v[179:180], v[6:7], v[32:33]
	v_mul_f64_e32 v[32:33], v[8:9], v[32:33]
	v_fma_f64 v[183:184], v[4:5], v[26:27], v[183:184]
	v_fma_f64 v[187:188], v[2:3], v[26:27], -v[28:29]
	ds_load_b128 v[2:5], v1 offset:1248
	scratch_load_b128 v[26:29], off, off offset:400
	v_add_f64_e32 v[175:176], v[175:176], v[185:186]
	v_add_f64_e32 v[177:178], v[177:178], v[181:182]
	v_fma_f64 v[179:180], v[8:9], v[30:31], v[179:180]
	v_fma_f64 v[185:186], v[6:7], v[30:31], -v[32:33]
	ds_load_b128 v[6:9], v1 offset:1264
	s_wait_loadcnt_dscnt 0x801
	v_mul_f64_e32 v[181:182], v[2:3], v[36:37]
	v_mul_f64_e32 v[36:37], v[4:5], v[36:37]
	scratch_load_b128 v[30:33], off, off offset:416
	v_add_f64_e32 v[175:176], v[175:176], v[187:188]
	v_add_f64_e32 v[177:178], v[177:178], v[183:184]
	s_wait_loadcnt_dscnt 0x800
	v_mul_f64_e32 v[183:184], v[6:7], v[173:174]
	v_mul_f64_e32 v[173:174], v[8:9], v[173:174]
	v_fma_f64 v[181:182], v[4:5], v[34:35], v[181:182]
	v_fma_f64 v[187:188], v[2:3], v[34:35], -v[36:37]
	ds_load_b128 v[2:5], v1 offset:1280
	scratch_load_b128 v[34:37], off, off offset:432
	v_add_f64_e32 v[175:176], v[175:176], v[185:186]
	v_add_f64_e32 v[177:178], v[177:178], v[179:180]
	v_fma_f64 v[183:184], v[8:9], v[171:172], v[183:184]
	v_fma_f64 v[185:186], v[6:7], v[171:172], -v[173:174]
	ds_load_b128 v[6:9], v1 offset:1296
	scratch_load_b128 v[171:174], off, off offset:448
	s_wait_loadcnt_dscnt 0x901
	v_mul_f64_e32 v[179:180], v[2:3], v[40:41]
	v_mul_f64_e32 v[40:41], v[4:5], v[40:41]
	v_add_f64_e32 v[175:176], v[175:176], v[187:188]
	v_add_f64_e32 v[177:178], v[177:178], v[181:182]
	s_wait_loadcnt_dscnt 0x800
	v_mul_f64_e32 v[181:182], v[6:7], v[169:170]
	v_mul_f64_e32 v[169:170], v[8:9], v[169:170]
	v_fma_f64 v[179:180], v[4:5], v[38:39], v[179:180]
	v_fma_f64 v[187:188], v[2:3], v[38:39], -v[40:41]
	ds_load_b128 v[2:5], v1 offset:1312
	scratch_load_b128 v[38:41], off, off offset:464
	v_add_f64_e32 v[175:176], v[175:176], v[185:186]
	v_add_f64_e32 v[177:178], v[177:178], v[183:184]
	v_fma_f64 v[181:182], v[8:9], v[167:168], v[181:182]
	v_fma_f64 v[185:186], v[6:7], v[167:168], -v[169:170]
	ds_load_b128 v[6:9], v1 offset:1328
	s_wait_loadcnt_dscnt 0x801
	v_mul_f64_e32 v[183:184], v[2:3], v[12:13]
	v_mul_f64_e32 v[12:13], v[4:5], v[12:13]
	scratch_load_b128 v[167:170], off, off offset:480
	v_add_f64_e32 v[175:176], v[175:176], v[187:188]
	v_add_f64_e32 v[177:178], v[177:178], v[179:180]
	s_wait_loadcnt_dscnt 0x800
	v_mul_f64_e32 v[179:180], v[6:7], v[16:17]
	v_mul_f64_e32 v[16:17], v[8:9], v[16:17]
	v_fma_f64 v[183:184], v[4:5], v[10:11], v[183:184]
	v_fma_f64 v[187:188], v[2:3], v[10:11], -v[12:13]
	ds_load_b128 v[2:5], v1 offset:1344
	scratch_load_b128 v[10:13], off, off offset:496
	v_add_f64_e32 v[175:176], v[175:176], v[185:186]
	v_add_f64_e32 v[177:178], v[177:178], v[181:182]
	v_fma_f64 v[179:180], v[8:9], v[14:15], v[179:180]
	v_fma_f64 v[185:186], v[6:7], v[14:15], -v[16:17]
	ds_load_b128 v[6:9], v1 offset:1360
	s_wait_loadcnt_dscnt 0x801
	v_mul_f64_e32 v[181:182], v[2:3], v[20:21]
	v_mul_f64_e32 v[20:21], v[4:5], v[20:21]
	scratch_load_b128 v[14:17], off, off offset:512
	;; [unrolled: 18-line block ×17, first 2 shown]
	v_add_f64_e32 v[175:176], v[175:176], v[187:188]
	v_add_f64_e32 v[177:178], v[177:178], v[183:184]
	s_wait_loadcnt_dscnt 0x800
	v_mul_f64_e32 v[183:184], v[6:7], v[24:25]
	v_mul_f64_e32 v[24:25], v[8:9], v[24:25]
	v_fma_f64 v[181:182], v[4:5], v[18:19], v[181:182]
	v_fma_f64 v[18:19], v[2:3], v[18:19], -v[20:21]
	ds_load_b128 v[2:5], v1 offset:1856
	v_add_f64_e32 v[20:21], v[175:176], v[185:186]
	v_add_f64_e32 v[175:176], v[177:178], v[179:180]
	v_fma_f64 v[179:180], v[8:9], v[22:23], v[183:184]
	v_fma_f64 v[22:23], v[6:7], v[22:23], -v[24:25]
	ds_load_b128 v[6:9], v1 offset:1872
	s_wait_loadcnt_dscnt 0x701
	v_mul_f64_e32 v[177:178], v[2:3], v[28:29]
	v_mul_f64_e32 v[28:29], v[4:5], v[28:29]
	v_add_f64_e32 v[18:19], v[20:21], v[18:19]
	v_add_f64_e32 v[20:21], v[175:176], v[181:182]
	s_delay_alu instid0(VALU_DEP_4) | instskip(NEXT) | instid1(VALU_DEP_4)
	v_fma_f64 v[175:176], v[4:5], v[26:27], v[177:178]
	v_fma_f64 v[26:27], v[2:3], v[26:27], -v[28:29]
	ds_load_b128 v[2:5], v1 offset:1888
	v_add_f64_e32 v[22:23], v[18:19], v[22:23]
	v_add_f64_e32 v[28:29], v[20:21], v[179:180]
	scratch_load_b128 v[18:21], off, off offset:128
	s_wait_loadcnt_dscnt 0x701
	v_mul_f64_e32 v[24:25], v[6:7], v[32:33]
	v_mul_f64_e32 v[32:33], v[8:9], v[32:33]
	v_add_f64_e32 v[22:23], v[22:23], v[26:27]
	v_add_f64_e32 v[26:27], v[28:29], v[175:176]
	s_delay_alu instid0(VALU_DEP_4) | instskip(NEXT) | instid1(VALU_DEP_4)
	v_fma_f64 v[24:25], v[8:9], v[30:31], v[24:25]
	v_fma_f64 v[30:31], v[6:7], v[30:31], -v[32:33]
	ds_load_b128 v[6:9], v1 offset:1904
	s_wait_loadcnt_dscnt 0x601
	v_mul_f64_e32 v[177:178], v[2:3], v[36:37]
	v_mul_f64_e32 v[36:37], v[4:5], v[36:37]
	s_wait_loadcnt_dscnt 0x500
	v_mul_f64_e32 v[28:29], v[6:7], v[173:174]
	v_mul_f64_e32 v[32:33], v[8:9], v[173:174]
	v_add_f64_e32 v[24:25], v[26:27], v[24:25]
	v_add_f64_e32 v[22:23], v[22:23], v[30:31]
	v_fma_f64 v[173:174], v[4:5], v[34:35], v[177:178]
	v_fma_f64 v[34:35], v[2:3], v[34:35], -v[36:37]
	ds_load_b128 v[2:5], v1 offset:1920
	v_fma_f64 v[28:29], v[8:9], v[171:172], v[28:29]
	v_fma_f64 v[32:33], v[6:7], v[171:172], -v[32:33]
	ds_load_b128 v[6:9], v1 offset:1936
	s_wait_loadcnt_dscnt 0x401
	v_mul_f64_e32 v[26:27], v[2:3], v[40:41]
	v_mul_f64_e32 v[30:31], v[4:5], v[40:41]
	v_add_f64_e32 v[24:25], v[24:25], v[173:174]
	v_add_f64_e32 v[22:23], v[22:23], v[34:35]
	s_wait_loadcnt_dscnt 0x300
	v_mul_f64_e32 v[34:35], v[6:7], v[169:170]
	v_mul_f64_e32 v[36:37], v[8:9], v[169:170]
	v_fma_f64 v[26:27], v[4:5], v[38:39], v[26:27]
	v_fma_f64 v[30:31], v[2:3], v[38:39], -v[30:31]
	ds_load_b128 v[2:5], v1 offset:1952
	v_add_f64_e32 v[24:25], v[24:25], v[28:29]
	v_add_f64_e32 v[22:23], v[22:23], v[32:33]
	v_fma_f64 v[32:33], v[8:9], v[167:168], v[34:35]
	v_fma_f64 v[34:35], v[6:7], v[167:168], -v[36:37]
	ds_load_b128 v[6:9], v1 offset:1968
	s_wait_loadcnt_dscnt 0x201
	v_mul_f64_e32 v[28:29], v[2:3], v[12:13]
	v_mul_f64_e32 v[12:13], v[4:5], v[12:13]
	v_add_f64_e32 v[24:25], v[24:25], v[26:27]
	v_add_f64_e32 v[22:23], v[22:23], v[30:31]
	s_wait_loadcnt_dscnt 0x100
	v_mul_f64_e32 v[26:27], v[6:7], v[16:17]
	v_mul_f64_e32 v[16:17], v[8:9], v[16:17]
	v_fma_f64 v[4:5], v[4:5], v[10:11], v[28:29]
	v_fma_f64 v[1:2], v[2:3], v[10:11], -v[12:13]
	v_add_f64_e32 v[12:13], v[24:25], v[32:33]
	v_add_f64_e32 v[10:11], v[22:23], v[34:35]
	v_fma_f64 v[8:9], v[8:9], v[14:15], v[26:27]
	v_fma_f64 v[6:7], v[6:7], v[14:15], -v[16:17]
	s_delay_alu instid0(VALU_DEP_4) | instskip(NEXT) | instid1(VALU_DEP_4)
	v_add_f64_e32 v[3:4], v[12:13], v[4:5]
	v_add_f64_e32 v[1:2], v[10:11], v[1:2]
	s_delay_alu instid0(VALU_DEP_2) | instskip(NEXT) | instid1(VALU_DEP_2)
	v_add_f64_e32 v[3:4], v[3:4], v[8:9]
	v_add_f64_e32 v[1:2], v[1:2], v[6:7]
	s_wait_loadcnt 0x0
	s_delay_alu instid0(VALU_DEP_2) | instskip(NEXT) | instid1(VALU_DEP_2)
	v_add_f64_e64 v[3:4], v[20:21], -v[3:4]
	v_add_f64_e64 v[1:2], v[18:19], -v[1:2]
	scratch_store_b128 off, v[1:4], off offset:128
	v_cmpx_lt_u32_e32 6, v0
	s_cbranch_execz .LBB125_385
; %bb.384:
	scratch_load_b128 v[1:4], off, s71
	v_mov_b32_e32 v5, 0
	s_delay_alu instid0(VALU_DEP_1)
	v_dual_mov_b32 v6, v5 :: v_dual_mov_b32 v7, v5
	v_mov_b32_e32 v8, v5
	scratch_store_b128 off, v[5:8], off offset:112
	s_wait_loadcnt 0x0
	ds_store_b128 v166, v[1:4]
.LBB125_385:
	s_wait_alu 0xfffe
	s_or_b32 exec_lo, exec_lo, s0
	s_wait_storecnt_dscnt 0x0
	s_barrier_signal -1
	s_barrier_wait -1
	global_inv scope:SCOPE_SE
	s_clause 0x7
	scratch_load_b128 v[2:5], off, off offset:128
	scratch_load_b128 v[6:9], off, off offset:144
	scratch_load_b128 v[10:13], off, off offset:160
	scratch_load_b128 v[14:17], off, off offset:176
	scratch_load_b128 v[18:21], off, off offset:192
	scratch_load_b128 v[22:25], off, off offset:208
	scratch_load_b128 v[26:29], off, off offset:224
	scratch_load_b128 v[30:33], off, off offset:240
	v_mov_b32_e32 v1, 0
	s_clause 0x1
	scratch_load_b128 v[34:37], off, off offset:256
	scratch_load_b128 v[171:174], off, off offset:272
	s_mov_b32 s0, exec_lo
	ds_load_b128 v[38:41], v1 offset:1104
	ds_load_b128 v[167:170], v1 offset:1120
	s_wait_loadcnt_dscnt 0x901
	v_mul_f64_e32 v[175:176], v[40:41], v[4:5]
	v_mul_f64_e32 v[4:5], v[38:39], v[4:5]
	s_wait_loadcnt_dscnt 0x800
	v_mul_f64_e32 v[177:178], v[167:168], v[8:9]
	v_mul_f64_e32 v[8:9], v[169:170], v[8:9]
	s_delay_alu instid0(VALU_DEP_4) | instskip(NEXT) | instid1(VALU_DEP_4)
	v_fma_f64 v[175:176], v[38:39], v[2:3], -v[175:176]
	v_fma_f64 v[179:180], v[40:41], v[2:3], v[4:5]
	ds_load_b128 v[2:5], v1 offset:1136
	scratch_load_b128 v[38:41], off, off offset:288
	v_fma_f64 v[177:178], v[169:170], v[6:7], v[177:178]
	v_fma_f64 v[183:184], v[167:168], v[6:7], -v[8:9]
	ds_load_b128 v[6:9], v1 offset:1152
	scratch_load_b128 v[167:170], off, off offset:304
	s_wait_loadcnt_dscnt 0x901
	v_mul_f64_e32 v[181:182], v[2:3], v[12:13]
	v_mul_f64_e32 v[12:13], v[4:5], v[12:13]
	s_wait_loadcnt_dscnt 0x800
	v_mul_f64_e32 v[185:186], v[6:7], v[16:17]
	v_mul_f64_e32 v[16:17], v[8:9], v[16:17]
	v_add_f64_e32 v[175:176], 0, v[175:176]
	v_add_f64_e32 v[179:180], 0, v[179:180]
	v_fma_f64 v[181:182], v[4:5], v[10:11], v[181:182]
	v_fma_f64 v[187:188], v[2:3], v[10:11], -v[12:13]
	ds_load_b128 v[2:5], v1 offset:1168
	scratch_load_b128 v[10:13], off, off offset:320
	v_add_f64_e32 v[175:176], v[175:176], v[183:184]
	v_add_f64_e32 v[177:178], v[179:180], v[177:178]
	v_fma_f64 v[183:184], v[8:9], v[14:15], v[185:186]
	v_fma_f64 v[185:186], v[6:7], v[14:15], -v[16:17]
	ds_load_b128 v[6:9], v1 offset:1184
	scratch_load_b128 v[14:17], off, off offset:336
	s_wait_loadcnt_dscnt 0x901
	v_mul_f64_e32 v[179:180], v[2:3], v[20:21]
	v_mul_f64_e32 v[20:21], v[4:5], v[20:21]
	v_add_f64_e32 v[175:176], v[175:176], v[187:188]
	v_add_f64_e32 v[177:178], v[177:178], v[181:182]
	s_wait_loadcnt_dscnt 0x800
	v_mul_f64_e32 v[181:182], v[6:7], v[24:25]
	v_mul_f64_e32 v[24:25], v[8:9], v[24:25]
	v_fma_f64 v[179:180], v[4:5], v[18:19], v[179:180]
	v_fma_f64 v[187:188], v[2:3], v[18:19], -v[20:21]
	ds_load_b128 v[2:5], v1 offset:1200
	scratch_load_b128 v[18:21], off, off offset:352
	v_add_f64_e32 v[175:176], v[175:176], v[185:186]
	v_add_f64_e32 v[177:178], v[177:178], v[183:184]
	v_fma_f64 v[181:182], v[8:9], v[22:23], v[181:182]
	v_fma_f64 v[185:186], v[6:7], v[22:23], -v[24:25]
	ds_load_b128 v[6:9], v1 offset:1216
	s_wait_loadcnt_dscnt 0x801
	v_mul_f64_e32 v[183:184], v[2:3], v[28:29]
	v_mul_f64_e32 v[28:29], v[4:5], v[28:29]
	scratch_load_b128 v[22:25], off, off offset:368
	v_add_f64_e32 v[175:176], v[175:176], v[187:188]
	v_add_f64_e32 v[177:178], v[177:178], v[179:180]
	s_wait_loadcnt_dscnt 0x800
	v_mul_f64_e32 v[179:180], v[6:7], v[32:33]
	v_mul_f64_e32 v[32:33], v[8:9], v[32:33]
	v_fma_f64 v[183:184], v[4:5], v[26:27], v[183:184]
	v_fma_f64 v[187:188], v[2:3], v[26:27], -v[28:29]
	ds_load_b128 v[2:5], v1 offset:1232
	scratch_load_b128 v[26:29], off, off offset:384
	v_add_f64_e32 v[175:176], v[175:176], v[185:186]
	v_add_f64_e32 v[177:178], v[177:178], v[181:182]
	v_fma_f64 v[179:180], v[8:9], v[30:31], v[179:180]
	v_fma_f64 v[185:186], v[6:7], v[30:31], -v[32:33]
	ds_load_b128 v[6:9], v1 offset:1248
	s_wait_loadcnt_dscnt 0x801
	v_mul_f64_e32 v[181:182], v[2:3], v[36:37]
	v_mul_f64_e32 v[36:37], v[4:5], v[36:37]
	scratch_load_b128 v[30:33], off, off offset:400
	v_add_f64_e32 v[175:176], v[175:176], v[187:188]
	v_add_f64_e32 v[177:178], v[177:178], v[183:184]
	s_wait_loadcnt_dscnt 0x800
	v_mul_f64_e32 v[183:184], v[6:7], v[173:174]
	v_mul_f64_e32 v[173:174], v[8:9], v[173:174]
	v_fma_f64 v[181:182], v[4:5], v[34:35], v[181:182]
	v_fma_f64 v[187:188], v[2:3], v[34:35], -v[36:37]
	ds_load_b128 v[2:5], v1 offset:1264
	scratch_load_b128 v[34:37], off, off offset:416
	v_add_f64_e32 v[175:176], v[175:176], v[185:186]
	v_add_f64_e32 v[177:178], v[177:178], v[179:180]
	v_fma_f64 v[183:184], v[8:9], v[171:172], v[183:184]
	v_fma_f64 v[185:186], v[6:7], v[171:172], -v[173:174]
	ds_load_b128 v[6:9], v1 offset:1280
	scratch_load_b128 v[171:174], off, off offset:432
	s_wait_loadcnt_dscnt 0x901
	v_mul_f64_e32 v[179:180], v[2:3], v[40:41]
	v_mul_f64_e32 v[40:41], v[4:5], v[40:41]
	v_add_f64_e32 v[175:176], v[175:176], v[187:188]
	v_add_f64_e32 v[177:178], v[177:178], v[181:182]
	s_wait_loadcnt_dscnt 0x800
	v_mul_f64_e32 v[181:182], v[6:7], v[169:170]
	v_mul_f64_e32 v[169:170], v[8:9], v[169:170]
	v_fma_f64 v[179:180], v[4:5], v[38:39], v[179:180]
	v_fma_f64 v[187:188], v[2:3], v[38:39], -v[40:41]
	ds_load_b128 v[2:5], v1 offset:1296
	scratch_load_b128 v[38:41], off, off offset:448
	v_add_f64_e32 v[175:176], v[175:176], v[185:186]
	v_add_f64_e32 v[177:178], v[177:178], v[183:184]
	v_fma_f64 v[181:182], v[8:9], v[167:168], v[181:182]
	v_fma_f64 v[185:186], v[6:7], v[167:168], -v[169:170]
	ds_load_b128 v[6:9], v1 offset:1312
	s_wait_loadcnt_dscnt 0x801
	v_mul_f64_e32 v[183:184], v[2:3], v[12:13]
	v_mul_f64_e32 v[12:13], v[4:5], v[12:13]
	scratch_load_b128 v[167:170], off, off offset:464
	v_add_f64_e32 v[175:176], v[175:176], v[187:188]
	v_add_f64_e32 v[177:178], v[177:178], v[179:180]
	s_wait_loadcnt_dscnt 0x800
	v_mul_f64_e32 v[179:180], v[6:7], v[16:17]
	v_mul_f64_e32 v[16:17], v[8:9], v[16:17]
	v_fma_f64 v[183:184], v[4:5], v[10:11], v[183:184]
	v_fma_f64 v[187:188], v[2:3], v[10:11], -v[12:13]
	ds_load_b128 v[2:5], v1 offset:1328
	scratch_load_b128 v[10:13], off, off offset:480
	v_add_f64_e32 v[175:176], v[175:176], v[185:186]
	v_add_f64_e32 v[177:178], v[177:178], v[181:182]
	v_fma_f64 v[179:180], v[8:9], v[14:15], v[179:180]
	v_fma_f64 v[185:186], v[6:7], v[14:15], -v[16:17]
	ds_load_b128 v[6:9], v1 offset:1344
	s_wait_loadcnt_dscnt 0x801
	v_mul_f64_e32 v[181:182], v[2:3], v[20:21]
	v_mul_f64_e32 v[20:21], v[4:5], v[20:21]
	scratch_load_b128 v[14:17], off, off offset:496
	;; [unrolled: 18-line block ×17, first 2 shown]
	v_add_f64_e32 v[175:176], v[175:176], v[187:188]
	v_add_f64_e32 v[177:178], v[177:178], v[183:184]
	s_wait_loadcnt_dscnt 0x800
	v_mul_f64_e32 v[183:184], v[6:7], v[24:25]
	v_mul_f64_e32 v[24:25], v[8:9], v[24:25]
	v_fma_f64 v[181:182], v[4:5], v[18:19], v[181:182]
	v_fma_f64 v[187:188], v[2:3], v[18:19], -v[20:21]
	ds_load_b128 v[2:5], v1 offset:1840
	scratch_load_b128 v[18:21], off, off offset:992
	v_add_f64_e32 v[175:176], v[175:176], v[185:186]
	v_add_f64_e32 v[177:178], v[177:178], v[179:180]
	v_fma_f64 v[183:184], v[8:9], v[22:23], v[183:184]
	v_fma_f64 v[22:23], v[6:7], v[22:23], -v[24:25]
	ds_load_b128 v[6:9], v1 offset:1856
	s_wait_loadcnt_dscnt 0x801
	v_mul_f64_e32 v[179:180], v[2:3], v[28:29]
	v_mul_f64_e32 v[28:29], v[4:5], v[28:29]
	v_add_f64_e32 v[24:25], v[175:176], v[187:188]
	v_add_f64_e32 v[175:176], v[177:178], v[181:182]
	s_wait_loadcnt_dscnt 0x700
	v_mul_f64_e32 v[177:178], v[6:7], v[32:33]
	v_mul_f64_e32 v[32:33], v[8:9], v[32:33]
	v_fma_f64 v[179:180], v[4:5], v[26:27], v[179:180]
	v_fma_f64 v[26:27], v[2:3], v[26:27], -v[28:29]
	ds_load_b128 v[2:5], v1 offset:1872
	v_add_f64_e32 v[22:23], v[24:25], v[22:23]
	v_add_f64_e32 v[24:25], v[175:176], v[183:184]
	v_fma_f64 v[175:176], v[8:9], v[30:31], v[177:178]
	v_fma_f64 v[30:31], v[6:7], v[30:31], -v[32:33]
	ds_load_b128 v[6:9], v1 offset:1888
	s_wait_loadcnt_dscnt 0x500
	v_mul_f64_e32 v[177:178], v[6:7], v[173:174]
	v_mul_f64_e32 v[173:174], v[8:9], v[173:174]
	v_add_f64_e32 v[26:27], v[22:23], v[26:27]
	v_add_f64_e32 v[32:33], v[24:25], v[179:180]
	scratch_load_b128 v[22:25], off, off offset:112
	v_mul_f64_e32 v[28:29], v[2:3], v[36:37]
	v_mul_f64_e32 v[36:37], v[4:5], v[36:37]
	v_add_f64_e32 v[26:27], v[26:27], v[30:31]
	v_add_f64_e32 v[30:31], v[32:33], v[175:176]
	s_delay_alu instid0(VALU_DEP_4) | instskip(NEXT) | instid1(VALU_DEP_4)
	v_fma_f64 v[28:29], v[4:5], v[34:35], v[28:29]
	v_fma_f64 v[34:35], v[2:3], v[34:35], -v[36:37]
	ds_load_b128 v[2:5], v1 offset:1904
	s_wait_loadcnt_dscnt 0x500
	v_mul_f64_e32 v[32:33], v[2:3], v[40:41]
	v_mul_f64_e32 v[36:37], v[4:5], v[40:41]
	v_fma_f64 v[40:41], v[8:9], v[171:172], v[177:178]
	v_fma_f64 v[171:172], v[6:7], v[171:172], -v[173:174]
	ds_load_b128 v[6:9], v1 offset:1920
	v_add_f64_e32 v[28:29], v[30:31], v[28:29]
	v_add_f64_e32 v[26:27], v[26:27], v[34:35]
	v_fma_f64 v[32:33], v[4:5], v[38:39], v[32:33]
	v_fma_f64 v[36:37], v[2:3], v[38:39], -v[36:37]
	ds_load_b128 v[2:5], v1 offset:1936
	s_wait_loadcnt_dscnt 0x401
	v_mul_f64_e32 v[30:31], v[6:7], v[169:170]
	v_mul_f64_e32 v[34:35], v[8:9], v[169:170]
	v_add_f64_e32 v[28:29], v[28:29], v[40:41]
	v_add_f64_e32 v[26:27], v[26:27], v[171:172]
	s_wait_loadcnt_dscnt 0x300
	v_mul_f64_e32 v[38:39], v[2:3], v[12:13]
	v_mul_f64_e32 v[12:13], v[4:5], v[12:13]
	v_fma_f64 v[30:31], v[8:9], v[167:168], v[30:31]
	v_fma_f64 v[34:35], v[6:7], v[167:168], -v[34:35]
	ds_load_b128 v[6:9], v1 offset:1952
	v_add_f64_e32 v[28:29], v[28:29], v[32:33]
	v_add_f64_e32 v[26:27], v[26:27], v[36:37]
	v_fma_f64 v[36:37], v[4:5], v[10:11], v[38:39]
	v_fma_f64 v[10:11], v[2:3], v[10:11], -v[12:13]
	ds_load_b128 v[2:5], v1 offset:1968
	s_wait_loadcnt_dscnt 0x201
	v_mul_f64_e32 v[32:33], v[6:7], v[16:17]
	v_mul_f64_e32 v[16:17], v[8:9], v[16:17]
	v_add_f64_e32 v[12:13], v[26:27], v[34:35]
	v_add_f64_e32 v[26:27], v[28:29], v[30:31]
	s_wait_loadcnt_dscnt 0x100
	v_mul_f64_e32 v[28:29], v[2:3], v[20:21]
	v_mul_f64_e32 v[20:21], v[4:5], v[20:21]
	v_fma_f64 v[8:9], v[8:9], v[14:15], v[32:33]
	v_fma_f64 v[6:7], v[6:7], v[14:15], -v[16:17]
	v_add_f64_e32 v[10:11], v[12:13], v[10:11]
	v_add_f64_e32 v[12:13], v[26:27], v[36:37]
	v_fma_f64 v[4:5], v[4:5], v[18:19], v[28:29]
	v_fma_f64 v[2:3], v[2:3], v[18:19], -v[20:21]
	s_delay_alu instid0(VALU_DEP_4) | instskip(NEXT) | instid1(VALU_DEP_4)
	v_add_f64_e32 v[6:7], v[10:11], v[6:7]
	v_add_f64_e32 v[8:9], v[12:13], v[8:9]
	s_delay_alu instid0(VALU_DEP_2) | instskip(NEXT) | instid1(VALU_DEP_2)
	v_add_f64_e32 v[2:3], v[6:7], v[2:3]
	v_add_f64_e32 v[4:5], v[8:9], v[4:5]
	s_wait_loadcnt 0x0
	s_delay_alu instid0(VALU_DEP_2) | instskip(NEXT) | instid1(VALU_DEP_2)
	v_add_f64_e64 v[2:3], v[22:23], -v[2:3]
	v_add_f64_e64 v[4:5], v[24:25], -v[4:5]
	scratch_store_b128 off, v[2:5], off offset:112
	v_cmpx_lt_u32_e32 5, v0
	s_cbranch_execz .LBB125_387
; %bb.386:
	scratch_load_b128 v[5:8], off, s72
	v_dual_mov_b32 v2, v1 :: v_dual_mov_b32 v3, v1
	v_mov_b32_e32 v4, v1
	scratch_store_b128 off, v[1:4], off offset:96
	s_wait_loadcnt 0x0
	ds_store_b128 v166, v[5:8]
.LBB125_387:
	s_wait_alu 0xfffe
	s_or_b32 exec_lo, exec_lo, s0
	s_wait_storecnt_dscnt 0x0
	s_barrier_signal -1
	s_barrier_wait -1
	global_inv scope:SCOPE_SE
	s_clause 0x7
	scratch_load_b128 v[2:5], off, off offset:112
	scratch_load_b128 v[6:9], off, off offset:128
	scratch_load_b128 v[10:13], off, off offset:144
	scratch_load_b128 v[14:17], off, off offset:160
	scratch_load_b128 v[18:21], off, off offset:176
	scratch_load_b128 v[22:25], off, off offset:192
	scratch_load_b128 v[26:29], off, off offset:208
	scratch_load_b128 v[30:33], off, off offset:224
	ds_load_b128 v[38:41], v1 offset:1088
	ds_load_b128 v[167:170], v1 offset:1104
	s_clause 0x1
	scratch_load_b128 v[34:37], off, off offset:240
	scratch_load_b128 v[171:174], off, off offset:256
	s_mov_b32 s0, exec_lo
	s_wait_loadcnt_dscnt 0x901
	v_mul_f64_e32 v[175:176], v[40:41], v[4:5]
	v_mul_f64_e32 v[4:5], v[38:39], v[4:5]
	s_wait_loadcnt_dscnt 0x800
	v_mul_f64_e32 v[177:178], v[167:168], v[8:9]
	v_mul_f64_e32 v[8:9], v[169:170], v[8:9]
	s_delay_alu instid0(VALU_DEP_4) | instskip(NEXT) | instid1(VALU_DEP_4)
	v_fma_f64 v[175:176], v[38:39], v[2:3], -v[175:176]
	v_fma_f64 v[179:180], v[40:41], v[2:3], v[4:5]
	ds_load_b128 v[2:5], v1 offset:1120
	scratch_load_b128 v[38:41], off, off offset:272
	v_fma_f64 v[177:178], v[169:170], v[6:7], v[177:178]
	v_fma_f64 v[183:184], v[167:168], v[6:7], -v[8:9]
	ds_load_b128 v[6:9], v1 offset:1136
	scratch_load_b128 v[167:170], off, off offset:288
	s_wait_loadcnt_dscnt 0x901
	v_mul_f64_e32 v[181:182], v[2:3], v[12:13]
	v_mul_f64_e32 v[12:13], v[4:5], v[12:13]
	s_wait_loadcnt_dscnt 0x800
	v_mul_f64_e32 v[185:186], v[6:7], v[16:17]
	v_mul_f64_e32 v[16:17], v[8:9], v[16:17]
	v_add_f64_e32 v[175:176], 0, v[175:176]
	v_add_f64_e32 v[179:180], 0, v[179:180]
	v_fma_f64 v[181:182], v[4:5], v[10:11], v[181:182]
	v_fma_f64 v[187:188], v[2:3], v[10:11], -v[12:13]
	ds_load_b128 v[2:5], v1 offset:1152
	scratch_load_b128 v[10:13], off, off offset:304
	v_add_f64_e32 v[175:176], v[175:176], v[183:184]
	v_add_f64_e32 v[177:178], v[179:180], v[177:178]
	v_fma_f64 v[183:184], v[8:9], v[14:15], v[185:186]
	v_fma_f64 v[185:186], v[6:7], v[14:15], -v[16:17]
	ds_load_b128 v[6:9], v1 offset:1168
	scratch_load_b128 v[14:17], off, off offset:320
	s_wait_loadcnt_dscnt 0x901
	v_mul_f64_e32 v[179:180], v[2:3], v[20:21]
	v_mul_f64_e32 v[20:21], v[4:5], v[20:21]
	v_add_f64_e32 v[175:176], v[175:176], v[187:188]
	v_add_f64_e32 v[177:178], v[177:178], v[181:182]
	s_wait_loadcnt_dscnt 0x800
	v_mul_f64_e32 v[181:182], v[6:7], v[24:25]
	v_mul_f64_e32 v[24:25], v[8:9], v[24:25]
	v_fma_f64 v[179:180], v[4:5], v[18:19], v[179:180]
	v_fma_f64 v[187:188], v[2:3], v[18:19], -v[20:21]
	ds_load_b128 v[2:5], v1 offset:1184
	scratch_load_b128 v[18:21], off, off offset:336
	v_add_f64_e32 v[175:176], v[175:176], v[185:186]
	v_add_f64_e32 v[177:178], v[177:178], v[183:184]
	v_fma_f64 v[181:182], v[8:9], v[22:23], v[181:182]
	v_fma_f64 v[185:186], v[6:7], v[22:23], -v[24:25]
	ds_load_b128 v[6:9], v1 offset:1200
	s_wait_loadcnt_dscnt 0x801
	v_mul_f64_e32 v[183:184], v[2:3], v[28:29]
	v_mul_f64_e32 v[28:29], v[4:5], v[28:29]
	scratch_load_b128 v[22:25], off, off offset:352
	v_add_f64_e32 v[175:176], v[175:176], v[187:188]
	v_add_f64_e32 v[177:178], v[177:178], v[179:180]
	s_wait_loadcnt_dscnt 0x800
	v_mul_f64_e32 v[179:180], v[6:7], v[32:33]
	v_mul_f64_e32 v[32:33], v[8:9], v[32:33]
	v_fma_f64 v[183:184], v[4:5], v[26:27], v[183:184]
	v_fma_f64 v[187:188], v[2:3], v[26:27], -v[28:29]
	ds_load_b128 v[2:5], v1 offset:1216
	scratch_load_b128 v[26:29], off, off offset:368
	v_add_f64_e32 v[175:176], v[175:176], v[185:186]
	v_add_f64_e32 v[177:178], v[177:178], v[181:182]
	v_fma_f64 v[179:180], v[8:9], v[30:31], v[179:180]
	v_fma_f64 v[185:186], v[6:7], v[30:31], -v[32:33]
	ds_load_b128 v[6:9], v1 offset:1232
	s_wait_loadcnt_dscnt 0x801
	v_mul_f64_e32 v[181:182], v[2:3], v[36:37]
	v_mul_f64_e32 v[36:37], v[4:5], v[36:37]
	scratch_load_b128 v[30:33], off, off offset:384
	v_add_f64_e32 v[175:176], v[175:176], v[187:188]
	v_add_f64_e32 v[177:178], v[177:178], v[183:184]
	s_wait_loadcnt_dscnt 0x800
	v_mul_f64_e32 v[183:184], v[6:7], v[173:174]
	v_mul_f64_e32 v[173:174], v[8:9], v[173:174]
	v_fma_f64 v[181:182], v[4:5], v[34:35], v[181:182]
	v_fma_f64 v[187:188], v[2:3], v[34:35], -v[36:37]
	ds_load_b128 v[2:5], v1 offset:1248
	scratch_load_b128 v[34:37], off, off offset:400
	v_add_f64_e32 v[175:176], v[175:176], v[185:186]
	v_add_f64_e32 v[177:178], v[177:178], v[179:180]
	v_fma_f64 v[183:184], v[8:9], v[171:172], v[183:184]
	v_fma_f64 v[185:186], v[6:7], v[171:172], -v[173:174]
	ds_load_b128 v[6:9], v1 offset:1264
	scratch_load_b128 v[171:174], off, off offset:416
	s_wait_loadcnt_dscnt 0x901
	v_mul_f64_e32 v[179:180], v[2:3], v[40:41]
	v_mul_f64_e32 v[40:41], v[4:5], v[40:41]
	v_add_f64_e32 v[175:176], v[175:176], v[187:188]
	v_add_f64_e32 v[177:178], v[177:178], v[181:182]
	s_wait_loadcnt_dscnt 0x800
	v_mul_f64_e32 v[181:182], v[6:7], v[169:170]
	v_mul_f64_e32 v[169:170], v[8:9], v[169:170]
	v_fma_f64 v[179:180], v[4:5], v[38:39], v[179:180]
	v_fma_f64 v[187:188], v[2:3], v[38:39], -v[40:41]
	ds_load_b128 v[2:5], v1 offset:1280
	scratch_load_b128 v[38:41], off, off offset:432
	v_add_f64_e32 v[175:176], v[175:176], v[185:186]
	v_add_f64_e32 v[177:178], v[177:178], v[183:184]
	v_fma_f64 v[181:182], v[8:9], v[167:168], v[181:182]
	v_fma_f64 v[185:186], v[6:7], v[167:168], -v[169:170]
	ds_load_b128 v[6:9], v1 offset:1296
	s_wait_loadcnt_dscnt 0x801
	v_mul_f64_e32 v[183:184], v[2:3], v[12:13]
	v_mul_f64_e32 v[12:13], v[4:5], v[12:13]
	scratch_load_b128 v[167:170], off, off offset:448
	v_add_f64_e32 v[175:176], v[175:176], v[187:188]
	v_add_f64_e32 v[177:178], v[177:178], v[179:180]
	s_wait_loadcnt_dscnt 0x800
	v_mul_f64_e32 v[179:180], v[6:7], v[16:17]
	v_mul_f64_e32 v[16:17], v[8:9], v[16:17]
	v_fma_f64 v[183:184], v[4:5], v[10:11], v[183:184]
	v_fma_f64 v[187:188], v[2:3], v[10:11], -v[12:13]
	ds_load_b128 v[2:5], v1 offset:1312
	scratch_load_b128 v[10:13], off, off offset:464
	v_add_f64_e32 v[175:176], v[175:176], v[185:186]
	v_add_f64_e32 v[177:178], v[177:178], v[181:182]
	v_fma_f64 v[179:180], v[8:9], v[14:15], v[179:180]
	v_fma_f64 v[185:186], v[6:7], v[14:15], -v[16:17]
	ds_load_b128 v[6:9], v1 offset:1328
	s_wait_loadcnt_dscnt 0x801
	v_mul_f64_e32 v[181:182], v[2:3], v[20:21]
	v_mul_f64_e32 v[20:21], v[4:5], v[20:21]
	scratch_load_b128 v[14:17], off, off offset:480
	;; [unrolled: 18-line block ×18, first 2 shown]
	v_add_f64_e32 v[175:176], v[175:176], v[187:188]
	v_add_f64_e32 v[177:178], v[177:178], v[181:182]
	s_wait_loadcnt_dscnt 0x800
	v_mul_f64_e32 v[181:182], v[6:7], v[32:33]
	v_mul_f64_e32 v[32:33], v[8:9], v[32:33]
	v_fma_f64 v[179:180], v[4:5], v[26:27], v[179:180]
	v_fma_f64 v[26:27], v[2:3], v[26:27], -v[28:29]
	ds_load_b128 v[2:5], v1 offset:1856
	v_add_f64_e32 v[28:29], v[175:176], v[185:186]
	v_add_f64_e32 v[175:176], v[177:178], v[183:184]
	v_fma_f64 v[181:182], v[8:9], v[30:31], v[181:182]
	v_fma_f64 v[30:31], v[6:7], v[30:31], -v[32:33]
	ds_load_b128 v[6:9], v1 offset:1872
	s_wait_loadcnt_dscnt 0x701
	v_mul_f64_e32 v[177:178], v[2:3], v[36:37]
	v_mul_f64_e32 v[36:37], v[4:5], v[36:37]
	v_add_f64_e32 v[26:27], v[28:29], v[26:27]
	v_add_f64_e32 v[28:29], v[175:176], v[179:180]
	s_delay_alu instid0(VALU_DEP_4) | instskip(NEXT) | instid1(VALU_DEP_4)
	v_fma_f64 v[175:176], v[4:5], v[34:35], v[177:178]
	v_fma_f64 v[34:35], v[2:3], v[34:35], -v[36:37]
	ds_load_b128 v[2:5], v1 offset:1888
	v_add_f64_e32 v[30:31], v[26:27], v[30:31]
	v_add_f64_e32 v[36:37], v[28:29], v[181:182]
	scratch_load_b128 v[26:29], off, off offset:96
	s_wait_loadcnt_dscnt 0x701
	v_mul_f64_e32 v[32:33], v[6:7], v[173:174]
	v_mul_f64_e32 v[173:174], v[8:9], v[173:174]
	v_add_f64_e32 v[30:31], v[30:31], v[34:35]
	v_add_f64_e32 v[34:35], v[36:37], v[175:176]
	s_delay_alu instid0(VALU_DEP_4) | instskip(NEXT) | instid1(VALU_DEP_4)
	v_fma_f64 v[32:33], v[8:9], v[171:172], v[32:33]
	v_fma_f64 v[171:172], v[6:7], v[171:172], -v[173:174]
	ds_load_b128 v[6:9], v1 offset:1904
	s_wait_loadcnt_dscnt 0x601
	v_mul_f64_e32 v[177:178], v[2:3], v[40:41]
	v_mul_f64_e32 v[40:41], v[4:5], v[40:41]
	s_wait_loadcnt_dscnt 0x500
	v_mul_f64_e32 v[36:37], v[6:7], v[169:170]
	v_mul_f64_e32 v[169:170], v[8:9], v[169:170]
	v_add_f64_e32 v[32:33], v[34:35], v[32:33]
	v_add_f64_e32 v[30:31], v[30:31], v[171:172]
	v_fma_f64 v[173:174], v[4:5], v[38:39], v[177:178]
	v_fma_f64 v[38:39], v[2:3], v[38:39], -v[40:41]
	ds_load_b128 v[2:5], v1 offset:1920
	v_fma_f64 v[36:37], v[8:9], v[167:168], v[36:37]
	v_fma_f64 v[40:41], v[6:7], v[167:168], -v[169:170]
	ds_load_b128 v[6:9], v1 offset:1936
	s_wait_loadcnt_dscnt 0x401
	v_mul_f64_e32 v[34:35], v[2:3], v[12:13]
	v_mul_f64_e32 v[12:13], v[4:5], v[12:13]
	v_add_f64_e32 v[32:33], v[32:33], v[173:174]
	v_add_f64_e32 v[30:31], v[30:31], v[38:39]
	s_wait_loadcnt_dscnt 0x300
	v_mul_f64_e32 v[38:39], v[6:7], v[16:17]
	v_mul_f64_e32 v[16:17], v[8:9], v[16:17]
	v_fma_f64 v[34:35], v[4:5], v[10:11], v[34:35]
	v_fma_f64 v[10:11], v[2:3], v[10:11], -v[12:13]
	ds_load_b128 v[2:5], v1 offset:1952
	v_add_f64_e32 v[12:13], v[30:31], v[40:41]
	v_add_f64_e32 v[30:31], v[32:33], v[36:37]
	v_fma_f64 v[36:37], v[8:9], v[14:15], v[38:39]
	v_fma_f64 v[14:15], v[6:7], v[14:15], -v[16:17]
	ds_load_b128 v[6:9], v1 offset:1968
	s_wait_loadcnt_dscnt 0x201
	v_mul_f64_e32 v[32:33], v[2:3], v[20:21]
	v_mul_f64_e32 v[20:21], v[4:5], v[20:21]
	s_wait_loadcnt_dscnt 0x100
	v_mul_f64_e32 v[16:17], v[6:7], v[24:25]
	v_mul_f64_e32 v[24:25], v[8:9], v[24:25]
	v_add_f64_e32 v[10:11], v[12:13], v[10:11]
	v_add_f64_e32 v[12:13], v[30:31], v[34:35]
	v_fma_f64 v[4:5], v[4:5], v[18:19], v[32:33]
	v_fma_f64 v[1:2], v[2:3], v[18:19], -v[20:21]
	v_fma_f64 v[8:9], v[8:9], v[22:23], v[16:17]
	v_fma_f64 v[6:7], v[6:7], v[22:23], -v[24:25]
	v_add_f64_e32 v[10:11], v[10:11], v[14:15]
	v_add_f64_e32 v[12:13], v[12:13], v[36:37]
	s_delay_alu instid0(VALU_DEP_2) | instskip(NEXT) | instid1(VALU_DEP_2)
	v_add_f64_e32 v[1:2], v[10:11], v[1:2]
	v_add_f64_e32 v[3:4], v[12:13], v[4:5]
	s_delay_alu instid0(VALU_DEP_2) | instskip(NEXT) | instid1(VALU_DEP_2)
	v_add_f64_e32 v[1:2], v[1:2], v[6:7]
	v_add_f64_e32 v[3:4], v[3:4], v[8:9]
	s_wait_loadcnt 0x0
	s_delay_alu instid0(VALU_DEP_2) | instskip(NEXT) | instid1(VALU_DEP_2)
	v_add_f64_e64 v[1:2], v[26:27], -v[1:2]
	v_add_f64_e64 v[3:4], v[28:29], -v[3:4]
	scratch_store_b128 off, v[1:4], off offset:96
	v_cmpx_lt_u32_e32 4, v0
	s_cbranch_execz .LBB125_389
; %bb.388:
	scratch_load_b128 v[1:4], off, s4
	v_mov_b32_e32 v5, 0
	s_delay_alu instid0(VALU_DEP_1)
	v_dual_mov_b32 v6, v5 :: v_dual_mov_b32 v7, v5
	v_mov_b32_e32 v8, v5
	scratch_store_b128 off, v[5:8], off offset:80
	s_wait_loadcnt 0x0
	ds_store_b128 v166, v[1:4]
.LBB125_389:
	s_wait_alu 0xfffe
	s_or_b32 exec_lo, exec_lo, s0
	s_wait_storecnt_dscnt 0x0
	s_barrier_signal -1
	s_barrier_wait -1
	global_inv scope:SCOPE_SE
	s_clause 0x7
	scratch_load_b128 v[2:5], off, off offset:96
	scratch_load_b128 v[6:9], off, off offset:112
	;; [unrolled: 1-line block ×8, first 2 shown]
	v_mov_b32_e32 v1, 0
	s_clause 0x1
	scratch_load_b128 v[34:37], off, off offset:224
	scratch_load_b128 v[171:174], off, off offset:240
	s_mov_b32 s0, exec_lo
	ds_load_b128 v[38:41], v1 offset:1072
	ds_load_b128 v[167:170], v1 offset:1088
	s_wait_loadcnt_dscnt 0x901
	v_mul_f64_e32 v[175:176], v[40:41], v[4:5]
	v_mul_f64_e32 v[4:5], v[38:39], v[4:5]
	s_wait_loadcnt_dscnt 0x800
	v_mul_f64_e32 v[177:178], v[167:168], v[8:9]
	v_mul_f64_e32 v[8:9], v[169:170], v[8:9]
	s_delay_alu instid0(VALU_DEP_4) | instskip(NEXT) | instid1(VALU_DEP_4)
	v_fma_f64 v[175:176], v[38:39], v[2:3], -v[175:176]
	v_fma_f64 v[179:180], v[40:41], v[2:3], v[4:5]
	ds_load_b128 v[2:5], v1 offset:1104
	scratch_load_b128 v[38:41], off, off offset:256
	v_fma_f64 v[177:178], v[169:170], v[6:7], v[177:178]
	v_fma_f64 v[183:184], v[167:168], v[6:7], -v[8:9]
	ds_load_b128 v[6:9], v1 offset:1120
	scratch_load_b128 v[167:170], off, off offset:272
	s_wait_loadcnt_dscnt 0x901
	v_mul_f64_e32 v[181:182], v[2:3], v[12:13]
	v_mul_f64_e32 v[12:13], v[4:5], v[12:13]
	s_wait_loadcnt_dscnt 0x800
	v_mul_f64_e32 v[185:186], v[6:7], v[16:17]
	v_mul_f64_e32 v[16:17], v[8:9], v[16:17]
	v_add_f64_e32 v[175:176], 0, v[175:176]
	v_add_f64_e32 v[179:180], 0, v[179:180]
	v_fma_f64 v[181:182], v[4:5], v[10:11], v[181:182]
	v_fma_f64 v[187:188], v[2:3], v[10:11], -v[12:13]
	ds_load_b128 v[2:5], v1 offset:1136
	scratch_load_b128 v[10:13], off, off offset:288
	v_add_f64_e32 v[175:176], v[175:176], v[183:184]
	v_add_f64_e32 v[177:178], v[179:180], v[177:178]
	v_fma_f64 v[183:184], v[8:9], v[14:15], v[185:186]
	v_fma_f64 v[185:186], v[6:7], v[14:15], -v[16:17]
	ds_load_b128 v[6:9], v1 offset:1152
	scratch_load_b128 v[14:17], off, off offset:304
	s_wait_loadcnt_dscnt 0x901
	v_mul_f64_e32 v[179:180], v[2:3], v[20:21]
	v_mul_f64_e32 v[20:21], v[4:5], v[20:21]
	v_add_f64_e32 v[175:176], v[175:176], v[187:188]
	v_add_f64_e32 v[177:178], v[177:178], v[181:182]
	s_wait_loadcnt_dscnt 0x800
	v_mul_f64_e32 v[181:182], v[6:7], v[24:25]
	v_mul_f64_e32 v[24:25], v[8:9], v[24:25]
	v_fma_f64 v[179:180], v[4:5], v[18:19], v[179:180]
	v_fma_f64 v[187:188], v[2:3], v[18:19], -v[20:21]
	ds_load_b128 v[2:5], v1 offset:1168
	scratch_load_b128 v[18:21], off, off offset:320
	v_add_f64_e32 v[175:176], v[175:176], v[185:186]
	v_add_f64_e32 v[177:178], v[177:178], v[183:184]
	v_fma_f64 v[181:182], v[8:9], v[22:23], v[181:182]
	v_fma_f64 v[185:186], v[6:7], v[22:23], -v[24:25]
	ds_load_b128 v[6:9], v1 offset:1184
	s_wait_loadcnt_dscnt 0x801
	v_mul_f64_e32 v[183:184], v[2:3], v[28:29]
	v_mul_f64_e32 v[28:29], v[4:5], v[28:29]
	scratch_load_b128 v[22:25], off, off offset:336
	v_add_f64_e32 v[175:176], v[175:176], v[187:188]
	v_add_f64_e32 v[177:178], v[177:178], v[179:180]
	s_wait_loadcnt_dscnt 0x800
	v_mul_f64_e32 v[179:180], v[6:7], v[32:33]
	v_mul_f64_e32 v[32:33], v[8:9], v[32:33]
	v_fma_f64 v[183:184], v[4:5], v[26:27], v[183:184]
	v_fma_f64 v[187:188], v[2:3], v[26:27], -v[28:29]
	ds_load_b128 v[2:5], v1 offset:1200
	scratch_load_b128 v[26:29], off, off offset:352
	v_add_f64_e32 v[175:176], v[175:176], v[185:186]
	v_add_f64_e32 v[177:178], v[177:178], v[181:182]
	v_fma_f64 v[179:180], v[8:9], v[30:31], v[179:180]
	v_fma_f64 v[185:186], v[6:7], v[30:31], -v[32:33]
	ds_load_b128 v[6:9], v1 offset:1216
	s_wait_loadcnt_dscnt 0x801
	v_mul_f64_e32 v[181:182], v[2:3], v[36:37]
	v_mul_f64_e32 v[36:37], v[4:5], v[36:37]
	scratch_load_b128 v[30:33], off, off offset:368
	v_add_f64_e32 v[175:176], v[175:176], v[187:188]
	v_add_f64_e32 v[177:178], v[177:178], v[183:184]
	s_wait_loadcnt_dscnt 0x800
	v_mul_f64_e32 v[183:184], v[6:7], v[173:174]
	v_mul_f64_e32 v[173:174], v[8:9], v[173:174]
	v_fma_f64 v[181:182], v[4:5], v[34:35], v[181:182]
	v_fma_f64 v[187:188], v[2:3], v[34:35], -v[36:37]
	ds_load_b128 v[2:5], v1 offset:1232
	scratch_load_b128 v[34:37], off, off offset:384
	v_add_f64_e32 v[175:176], v[175:176], v[185:186]
	v_add_f64_e32 v[177:178], v[177:178], v[179:180]
	v_fma_f64 v[183:184], v[8:9], v[171:172], v[183:184]
	v_fma_f64 v[185:186], v[6:7], v[171:172], -v[173:174]
	ds_load_b128 v[6:9], v1 offset:1248
	scratch_load_b128 v[171:174], off, off offset:400
	s_wait_loadcnt_dscnt 0x901
	v_mul_f64_e32 v[179:180], v[2:3], v[40:41]
	v_mul_f64_e32 v[40:41], v[4:5], v[40:41]
	v_add_f64_e32 v[175:176], v[175:176], v[187:188]
	v_add_f64_e32 v[177:178], v[177:178], v[181:182]
	s_wait_loadcnt_dscnt 0x800
	v_mul_f64_e32 v[181:182], v[6:7], v[169:170]
	v_mul_f64_e32 v[169:170], v[8:9], v[169:170]
	v_fma_f64 v[179:180], v[4:5], v[38:39], v[179:180]
	v_fma_f64 v[187:188], v[2:3], v[38:39], -v[40:41]
	ds_load_b128 v[2:5], v1 offset:1264
	scratch_load_b128 v[38:41], off, off offset:416
	v_add_f64_e32 v[175:176], v[175:176], v[185:186]
	v_add_f64_e32 v[177:178], v[177:178], v[183:184]
	v_fma_f64 v[181:182], v[8:9], v[167:168], v[181:182]
	v_fma_f64 v[185:186], v[6:7], v[167:168], -v[169:170]
	ds_load_b128 v[6:9], v1 offset:1280
	s_wait_loadcnt_dscnt 0x801
	v_mul_f64_e32 v[183:184], v[2:3], v[12:13]
	v_mul_f64_e32 v[12:13], v[4:5], v[12:13]
	scratch_load_b128 v[167:170], off, off offset:432
	v_add_f64_e32 v[175:176], v[175:176], v[187:188]
	v_add_f64_e32 v[177:178], v[177:178], v[179:180]
	s_wait_loadcnt_dscnt 0x800
	v_mul_f64_e32 v[179:180], v[6:7], v[16:17]
	v_mul_f64_e32 v[16:17], v[8:9], v[16:17]
	v_fma_f64 v[183:184], v[4:5], v[10:11], v[183:184]
	v_fma_f64 v[187:188], v[2:3], v[10:11], -v[12:13]
	ds_load_b128 v[2:5], v1 offset:1296
	scratch_load_b128 v[10:13], off, off offset:448
	v_add_f64_e32 v[175:176], v[175:176], v[185:186]
	v_add_f64_e32 v[177:178], v[177:178], v[181:182]
	v_fma_f64 v[179:180], v[8:9], v[14:15], v[179:180]
	v_fma_f64 v[185:186], v[6:7], v[14:15], -v[16:17]
	ds_load_b128 v[6:9], v1 offset:1312
	s_wait_loadcnt_dscnt 0x801
	v_mul_f64_e32 v[181:182], v[2:3], v[20:21]
	v_mul_f64_e32 v[20:21], v[4:5], v[20:21]
	scratch_load_b128 v[14:17], off, off offset:464
	;; [unrolled: 18-line block ×18, first 2 shown]
	v_add_f64_e32 v[175:176], v[175:176], v[187:188]
	v_add_f64_e32 v[177:178], v[177:178], v[181:182]
	s_wait_loadcnt_dscnt 0x800
	v_mul_f64_e32 v[181:182], v[6:7], v[32:33]
	v_mul_f64_e32 v[32:33], v[8:9], v[32:33]
	v_fma_f64 v[179:180], v[4:5], v[26:27], v[179:180]
	v_fma_f64 v[187:188], v[2:3], v[26:27], -v[28:29]
	ds_load_b128 v[2:5], v1 offset:1840
	scratch_load_b128 v[26:29], off, off offset:992
	v_add_f64_e32 v[175:176], v[175:176], v[185:186]
	v_add_f64_e32 v[177:178], v[177:178], v[183:184]
	v_fma_f64 v[181:182], v[8:9], v[30:31], v[181:182]
	v_fma_f64 v[30:31], v[6:7], v[30:31], -v[32:33]
	ds_load_b128 v[6:9], v1 offset:1856
	s_wait_loadcnt_dscnt 0x801
	v_mul_f64_e32 v[183:184], v[2:3], v[36:37]
	v_mul_f64_e32 v[36:37], v[4:5], v[36:37]
	v_add_f64_e32 v[32:33], v[175:176], v[187:188]
	v_add_f64_e32 v[175:176], v[177:178], v[179:180]
	s_wait_loadcnt_dscnt 0x700
	v_mul_f64_e32 v[177:178], v[6:7], v[173:174]
	v_mul_f64_e32 v[173:174], v[8:9], v[173:174]
	v_fma_f64 v[179:180], v[4:5], v[34:35], v[183:184]
	v_fma_f64 v[34:35], v[2:3], v[34:35], -v[36:37]
	ds_load_b128 v[2:5], v1 offset:1872
	v_add_f64_e32 v[30:31], v[32:33], v[30:31]
	v_add_f64_e32 v[32:33], v[175:176], v[181:182]
	v_fma_f64 v[175:176], v[8:9], v[171:172], v[177:178]
	v_fma_f64 v[171:172], v[6:7], v[171:172], -v[173:174]
	ds_load_b128 v[6:9], v1 offset:1888
	s_wait_loadcnt_dscnt 0x500
	v_mul_f64_e32 v[177:178], v[6:7], v[169:170]
	v_mul_f64_e32 v[169:170], v[8:9], v[169:170]
	v_add_f64_e32 v[34:35], v[30:31], v[34:35]
	v_add_f64_e32 v[173:174], v[32:33], v[179:180]
	scratch_load_b128 v[30:33], off, off offset:80
	v_mul_f64_e32 v[36:37], v[2:3], v[40:41]
	v_mul_f64_e32 v[40:41], v[4:5], v[40:41]
	v_add_f64_e32 v[34:35], v[34:35], v[171:172]
	s_delay_alu instid0(VALU_DEP_3) | instskip(NEXT) | instid1(VALU_DEP_3)
	v_fma_f64 v[36:37], v[4:5], v[38:39], v[36:37]
	v_fma_f64 v[38:39], v[2:3], v[38:39], -v[40:41]
	v_add_f64_e32 v[40:41], v[173:174], v[175:176]
	ds_load_b128 v[2:5], v1 offset:1904
	v_fma_f64 v[173:174], v[8:9], v[167:168], v[177:178]
	v_fma_f64 v[167:168], v[6:7], v[167:168], -v[169:170]
	ds_load_b128 v[6:9], v1 offset:1920
	s_wait_loadcnt_dscnt 0x501
	v_mul_f64_e32 v[171:172], v[2:3], v[12:13]
	v_mul_f64_e32 v[12:13], v[4:5], v[12:13]
	v_add_f64_e32 v[34:35], v[34:35], v[38:39]
	v_add_f64_e32 v[36:37], v[40:41], v[36:37]
	s_wait_loadcnt_dscnt 0x400
	v_mul_f64_e32 v[38:39], v[6:7], v[16:17]
	v_mul_f64_e32 v[16:17], v[8:9], v[16:17]
	v_fma_f64 v[40:41], v[4:5], v[10:11], v[171:172]
	v_fma_f64 v[10:11], v[2:3], v[10:11], -v[12:13]
	ds_load_b128 v[2:5], v1 offset:1936
	v_add_f64_e32 v[12:13], v[34:35], v[167:168]
	v_add_f64_e32 v[34:35], v[36:37], v[173:174]
	v_fma_f64 v[38:39], v[8:9], v[14:15], v[38:39]
	v_fma_f64 v[14:15], v[6:7], v[14:15], -v[16:17]
	ds_load_b128 v[6:9], v1 offset:1952
	s_wait_loadcnt_dscnt 0x301
	v_mul_f64_e32 v[36:37], v[2:3], v[20:21]
	v_mul_f64_e32 v[20:21], v[4:5], v[20:21]
	s_wait_loadcnt_dscnt 0x200
	v_mul_f64_e32 v[16:17], v[6:7], v[24:25]
	v_mul_f64_e32 v[24:25], v[8:9], v[24:25]
	v_add_f64_e32 v[10:11], v[12:13], v[10:11]
	v_add_f64_e32 v[12:13], v[34:35], v[40:41]
	v_fma_f64 v[34:35], v[4:5], v[18:19], v[36:37]
	v_fma_f64 v[18:19], v[2:3], v[18:19], -v[20:21]
	ds_load_b128 v[2:5], v1 offset:1968
	v_fma_f64 v[8:9], v[8:9], v[22:23], v[16:17]
	v_fma_f64 v[6:7], v[6:7], v[22:23], -v[24:25]
	s_wait_loadcnt_dscnt 0x100
	v_mul_f64_e32 v[20:21], v[4:5], v[28:29]
	v_add_f64_e32 v[10:11], v[10:11], v[14:15]
	v_add_f64_e32 v[12:13], v[12:13], v[38:39]
	v_mul_f64_e32 v[14:15], v[2:3], v[28:29]
	s_delay_alu instid0(VALU_DEP_4) | instskip(NEXT) | instid1(VALU_DEP_4)
	v_fma_f64 v[2:3], v[2:3], v[26:27], -v[20:21]
	v_add_f64_e32 v[10:11], v[10:11], v[18:19]
	s_delay_alu instid0(VALU_DEP_4) | instskip(NEXT) | instid1(VALU_DEP_4)
	v_add_f64_e32 v[12:13], v[12:13], v[34:35]
	v_fma_f64 v[4:5], v[4:5], v[26:27], v[14:15]
	s_delay_alu instid0(VALU_DEP_3) | instskip(NEXT) | instid1(VALU_DEP_3)
	v_add_f64_e32 v[6:7], v[10:11], v[6:7]
	v_add_f64_e32 v[8:9], v[12:13], v[8:9]
	s_delay_alu instid0(VALU_DEP_2) | instskip(NEXT) | instid1(VALU_DEP_2)
	v_add_f64_e32 v[2:3], v[6:7], v[2:3]
	v_add_f64_e32 v[4:5], v[8:9], v[4:5]
	s_wait_loadcnt 0x0
	s_delay_alu instid0(VALU_DEP_2) | instskip(NEXT) | instid1(VALU_DEP_2)
	v_add_f64_e64 v[2:3], v[30:31], -v[2:3]
	v_add_f64_e64 v[4:5], v[32:33], -v[4:5]
	scratch_store_b128 off, v[2:5], off offset:80
	v_cmpx_lt_u32_e32 3, v0
	s_cbranch_execz .LBB125_391
; %bb.390:
	scratch_load_b128 v[5:8], off, s12
	v_dual_mov_b32 v2, v1 :: v_dual_mov_b32 v3, v1
	v_mov_b32_e32 v4, v1
	scratch_store_b128 off, v[1:4], off offset:64
	s_wait_loadcnt 0x0
	ds_store_b128 v166, v[5:8]
.LBB125_391:
	s_wait_alu 0xfffe
	s_or_b32 exec_lo, exec_lo, s0
	s_wait_storecnt_dscnt 0x0
	s_barrier_signal -1
	s_barrier_wait -1
	global_inv scope:SCOPE_SE
	s_clause 0x7
	scratch_load_b128 v[2:5], off, off offset:80
	scratch_load_b128 v[6:9], off, off offset:96
	;; [unrolled: 1-line block ×8, first 2 shown]
	ds_load_b128 v[38:41], v1 offset:1056
	ds_load_b128 v[167:170], v1 offset:1072
	s_clause 0x1
	scratch_load_b128 v[34:37], off, off offset:208
	scratch_load_b128 v[171:174], off, off offset:224
	s_mov_b32 s0, exec_lo
	s_wait_loadcnt_dscnt 0x901
	v_mul_f64_e32 v[175:176], v[40:41], v[4:5]
	v_mul_f64_e32 v[4:5], v[38:39], v[4:5]
	s_wait_loadcnt_dscnt 0x800
	v_mul_f64_e32 v[177:178], v[167:168], v[8:9]
	v_mul_f64_e32 v[8:9], v[169:170], v[8:9]
	s_delay_alu instid0(VALU_DEP_4) | instskip(NEXT) | instid1(VALU_DEP_4)
	v_fma_f64 v[175:176], v[38:39], v[2:3], -v[175:176]
	v_fma_f64 v[179:180], v[40:41], v[2:3], v[4:5]
	ds_load_b128 v[2:5], v1 offset:1088
	scratch_load_b128 v[38:41], off, off offset:240
	v_fma_f64 v[177:178], v[169:170], v[6:7], v[177:178]
	v_fma_f64 v[183:184], v[167:168], v[6:7], -v[8:9]
	ds_load_b128 v[6:9], v1 offset:1104
	scratch_load_b128 v[167:170], off, off offset:256
	s_wait_loadcnt_dscnt 0x901
	v_mul_f64_e32 v[181:182], v[2:3], v[12:13]
	v_mul_f64_e32 v[12:13], v[4:5], v[12:13]
	s_wait_loadcnt_dscnt 0x800
	v_mul_f64_e32 v[185:186], v[6:7], v[16:17]
	v_mul_f64_e32 v[16:17], v[8:9], v[16:17]
	v_add_f64_e32 v[175:176], 0, v[175:176]
	v_add_f64_e32 v[179:180], 0, v[179:180]
	v_fma_f64 v[181:182], v[4:5], v[10:11], v[181:182]
	v_fma_f64 v[187:188], v[2:3], v[10:11], -v[12:13]
	ds_load_b128 v[2:5], v1 offset:1120
	scratch_load_b128 v[10:13], off, off offset:272
	v_add_f64_e32 v[175:176], v[175:176], v[183:184]
	v_add_f64_e32 v[177:178], v[179:180], v[177:178]
	v_fma_f64 v[183:184], v[8:9], v[14:15], v[185:186]
	v_fma_f64 v[185:186], v[6:7], v[14:15], -v[16:17]
	ds_load_b128 v[6:9], v1 offset:1136
	scratch_load_b128 v[14:17], off, off offset:288
	s_wait_loadcnt_dscnt 0x901
	v_mul_f64_e32 v[179:180], v[2:3], v[20:21]
	v_mul_f64_e32 v[20:21], v[4:5], v[20:21]
	v_add_f64_e32 v[175:176], v[175:176], v[187:188]
	v_add_f64_e32 v[177:178], v[177:178], v[181:182]
	s_wait_loadcnt_dscnt 0x800
	v_mul_f64_e32 v[181:182], v[6:7], v[24:25]
	v_mul_f64_e32 v[24:25], v[8:9], v[24:25]
	v_fma_f64 v[179:180], v[4:5], v[18:19], v[179:180]
	v_fma_f64 v[187:188], v[2:3], v[18:19], -v[20:21]
	ds_load_b128 v[2:5], v1 offset:1152
	scratch_load_b128 v[18:21], off, off offset:304
	v_add_f64_e32 v[175:176], v[175:176], v[185:186]
	v_add_f64_e32 v[177:178], v[177:178], v[183:184]
	v_fma_f64 v[181:182], v[8:9], v[22:23], v[181:182]
	v_fma_f64 v[185:186], v[6:7], v[22:23], -v[24:25]
	ds_load_b128 v[6:9], v1 offset:1168
	s_wait_loadcnt_dscnt 0x801
	v_mul_f64_e32 v[183:184], v[2:3], v[28:29]
	v_mul_f64_e32 v[28:29], v[4:5], v[28:29]
	scratch_load_b128 v[22:25], off, off offset:320
	v_add_f64_e32 v[175:176], v[175:176], v[187:188]
	v_add_f64_e32 v[177:178], v[177:178], v[179:180]
	s_wait_loadcnt_dscnt 0x800
	v_mul_f64_e32 v[179:180], v[6:7], v[32:33]
	v_mul_f64_e32 v[32:33], v[8:9], v[32:33]
	v_fma_f64 v[183:184], v[4:5], v[26:27], v[183:184]
	v_fma_f64 v[187:188], v[2:3], v[26:27], -v[28:29]
	ds_load_b128 v[2:5], v1 offset:1184
	scratch_load_b128 v[26:29], off, off offset:336
	v_add_f64_e32 v[175:176], v[175:176], v[185:186]
	v_add_f64_e32 v[177:178], v[177:178], v[181:182]
	v_fma_f64 v[179:180], v[8:9], v[30:31], v[179:180]
	v_fma_f64 v[185:186], v[6:7], v[30:31], -v[32:33]
	ds_load_b128 v[6:9], v1 offset:1200
	s_wait_loadcnt_dscnt 0x801
	v_mul_f64_e32 v[181:182], v[2:3], v[36:37]
	v_mul_f64_e32 v[36:37], v[4:5], v[36:37]
	scratch_load_b128 v[30:33], off, off offset:352
	v_add_f64_e32 v[175:176], v[175:176], v[187:188]
	v_add_f64_e32 v[177:178], v[177:178], v[183:184]
	s_wait_loadcnt_dscnt 0x800
	v_mul_f64_e32 v[183:184], v[6:7], v[173:174]
	v_mul_f64_e32 v[173:174], v[8:9], v[173:174]
	v_fma_f64 v[181:182], v[4:5], v[34:35], v[181:182]
	v_fma_f64 v[187:188], v[2:3], v[34:35], -v[36:37]
	ds_load_b128 v[2:5], v1 offset:1216
	scratch_load_b128 v[34:37], off, off offset:368
	v_add_f64_e32 v[175:176], v[175:176], v[185:186]
	v_add_f64_e32 v[177:178], v[177:178], v[179:180]
	v_fma_f64 v[183:184], v[8:9], v[171:172], v[183:184]
	v_fma_f64 v[185:186], v[6:7], v[171:172], -v[173:174]
	ds_load_b128 v[6:9], v1 offset:1232
	scratch_load_b128 v[171:174], off, off offset:384
	s_wait_loadcnt_dscnt 0x901
	v_mul_f64_e32 v[179:180], v[2:3], v[40:41]
	v_mul_f64_e32 v[40:41], v[4:5], v[40:41]
	v_add_f64_e32 v[175:176], v[175:176], v[187:188]
	v_add_f64_e32 v[177:178], v[177:178], v[181:182]
	s_wait_loadcnt_dscnt 0x800
	v_mul_f64_e32 v[181:182], v[6:7], v[169:170]
	v_mul_f64_e32 v[169:170], v[8:9], v[169:170]
	v_fma_f64 v[179:180], v[4:5], v[38:39], v[179:180]
	v_fma_f64 v[187:188], v[2:3], v[38:39], -v[40:41]
	ds_load_b128 v[2:5], v1 offset:1248
	scratch_load_b128 v[38:41], off, off offset:400
	v_add_f64_e32 v[175:176], v[175:176], v[185:186]
	v_add_f64_e32 v[177:178], v[177:178], v[183:184]
	v_fma_f64 v[181:182], v[8:9], v[167:168], v[181:182]
	v_fma_f64 v[185:186], v[6:7], v[167:168], -v[169:170]
	ds_load_b128 v[6:9], v1 offset:1264
	s_wait_loadcnt_dscnt 0x801
	v_mul_f64_e32 v[183:184], v[2:3], v[12:13]
	v_mul_f64_e32 v[12:13], v[4:5], v[12:13]
	scratch_load_b128 v[167:170], off, off offset:416
	v_add_f64_e32 v[175:176], v[175:176], v[187:188]
	v_add_f64_e32 v[177:178], v[177:178], v[179:180]
	s_wait_loadcnt_dscnt 0x800
	v_mul_f64_e32 v[179:180], v[6:7], v[16:17]
	v_mul_f64_e32 v[16:17], v[8:9], v[16:17]
	v_fma_f64 v[183:184], v[4:5], v[10:11], v[183:184]
	v_fma_f64 v[187:188], v[2:3], v[10:11], -v[12:13]
	ds_load_b128 v[2:5], v1 offset:1280
	scratch_load_b128 v[10:13], off, off offset:432
	v_add_f64_e32 v[175:176], v[175:176], v[185:186]
	v_add_f64_e32 v[177:178], v[177:178], v[181:182]
	v_fma_f64 v[179:180], v[8:9], v[14:15], v[179:180]
	v_fma_f64 v[185:186], v[6:7], v[14:15], -v[16:17]
	ds_load_b128 v[6:9], v1 offset:1296
	s_wait_loadcnt_dscnt 0x801
	v_mul_f64_e32 v[181:182], v[2:3], v[20:21]
	v_mul_f64_e32 v[20:21], v[4:5], v[20:21]
	scratch_load_b128 v[14:17], off, off offset:448
	;; [unrolled: 18-line block ×19, first 2 shown]
	v_add_f64_e32 v[175:176], v[175:176], v[187:188]
	v_add_f64_e32 v[177:178], v[177:178], v[179:180]
	s_wait_loadcnt_dscnt 0x800
	v_mul_f64_e32 v[179:180], v[6:7], v[173:174]
	v_mul_f64_e32 v[173:174], v[8:9], v[173:174]
	v_fma_f64 v[183:184], v[4:5], v[34:35], v[183:184]
	v_fma_f64 v[34:35], v[2:3], v[34:35], -v[36:37]
	ds_load_b128 v[2:5], v1 offset:1856
	v_add_f64_e32 v[36:37], v[175:176], v[185:186]
	v_add_f64_e32 v[175:176], v[177:178], v[181:182]
	v_fma_f64 v[179:180], v[8:9], v[171:172], v[179:180]
	v_fma_f64 v[171:172], v[6:7], v[171:172], -v[173:174]
	ds_load_b128 v[6:9], v1 offset:1872
	s_wait_loadcnt_dscnt 0x701
	v_mul_f64_e32 v[177:178], v[2:3], v[40:41]
	v_mul_f64_e32 v[40:41], v[4:5], v[40:41]
	v_add_f64_e32 v[34:35], v[36:37], v[34:35]
	v_add_f64_e32 v[36:37], v[175:176], v[183:184]
	s_delay_alu instid0(VALU_DEP_4) | instskip(NEXT) | instid1(VALU_DEP_4)
	v_fma_f64 v[175:176], v[4:5], v[38:39], v[177:178]
	v_fma_f64 v[38:39], v[2:3], v[38:39], -v[40:41]
	ds_load_b128 v[2:5], v1 offset:1888
	v_add_f64_e32 v[40:41], v[34:35], v[171:172]
	v_add_f64_e32 v[171:172], v[36:37], v[179:180]
	scratch_load_b128 v[34:37], off, off offset:64
	s_wait_loadcnt_dscnt 0x701
	v_mul_f64_e32 v[173:174], v[6:7], v[169:170]
	v_mul_f64_e32 v[169:170], v[8:9], v[169:170]
	v_add_f64_e32 v[38:39], v[40:41], v[38:39]
	v_add_f64_e32 v[40:41], v[171:172], v[175:176]
	s_delay_alu instid0(VALU_DEP_4) | instskip(NEXT) | instid1(VALU_DEP_4)
	v_fma_f64 v[173:174], v[8:9], v[167:168], v[173:174]
	v_fma_f64 v[167:168], v[6:7], v[167:168], -v[169:170]
	ds_load_b128 v[6:9], v1 offset:1904
	s_wait_loadcnt_dscnt 0x601
	v_mul_f64_e32 v[177:178], v[2:3], v[12:13]
	v_mul_f64_e32 v[12:13], v[4:5], v[12:13]
	s_wait_loadcnt_dscnt 0x500
	v_mul_f64_e32 v[169:170], v[6:7], v[16:17]
	v_mul_f64_e32 v[16:17], v[8:9], v[16:17]
	s_delay_alu instid0(VALU_DEP_4) | instskip(NEXT) | instid1(VALU_DEP_4)
	v_fma_f64 v[171:172], v[4:5], v[10:11], v[177:178]
	v_fma_f64 v[10:11], v[2:3], v[10:11], -v[12:13]
	v_add_f64_e32 v[12:13], v[38:39], v[167:168]
	v_add_f64_e32 v[38:39], v[40:41], v[173:174]
	ds_load_b128 v[2:5], v1 offset:1920
	v_fma_f64 v[167:168], v[8:9], v[14:15], v[169:170]
	v_fma_f64 v[14:15], v[6:7], v[14:15], -v[16:17]
	ds_load_b128 v[6:9], v1 offset:1936
	s_wait_loadcnt_dscnt 0x401
	v_mul_f64_e32 v[40:41], v[2:3], v[20:21]
	v_mul_f64_e32 v[20:21], v[4:5], v[20:21]
	v_add_f64_e32 v[10:11], v[12:13], v[10:11]
	v_add_f64_e32 v[12:13], v[38:39], v[171:172]
	s_wait_loadcnt_dscnt 0x300
	v_mul_f64_e32 v[16:17], v[6:7], v[24:25]
	v_mul_f64_e32 v[24:25], v[8:9], v[24:25]
	v_fma_f64 v[38:39], v[4:5], v[18:19], v[40:41]
	v_fma_f64 v[18:19], v[2:3], v[18:19], -v[20:21]
	ds_load_b128 v[2:5], v1 offset:1952
	v_add_f64_e32 v[10:11], v[10:11], v[14:15]
	v_add_f64_e32 v[12:13], v[12:13], v[167:168]
	v_fma_f64 v[16:17], v[8:9], v[22:23], v[16:17]
	v_fma_f64 v[22:23], v[6:7], v[22:23], -v[24:25]
	ds_load_b128 v[6:9], v1 offset:1968
	s_wait_loadcnt_dscnt 0x201
	v_mul_f64_e32 v[14:15], v[2:3], v[28:29]
	v_mul_f64_e32 v[20:21], v[4:5], v[28:29]
	s_wait_loadcnt_dscnt 0x100
	v_mul_f64_e32 v[24:25], v[8:9], v[32:33]
	v_add_f64_e32 v[10:11], v[10:11], v[18:19]
	v_add_f64_e32 v[12:13], v[12:13], v[38:39]
	v_mul_f64_e32 v[18:19], v[6:7], v[32:33]
	v_fma_f64 v[4:5], v[4:5], v[26:27], v[14:15]
	v_fma_f64 v[1:2], v[2:3], v[26:27], -v[20:21]
	v_fma_f64 v[6:7], v[6:7], v[30:31], -v[24:25]
	v_add_f64_e32 v[10:11], v[10:11], v[22:23]
	v_add_f64_e32 v[12:13], v[12:13], v[16:17]
	v_fma_f64 v[8:9], v[8:9], v[30:31], v[18:19]
	s_delay_alu instid0(VALU_DEP_3) | instskip(NEXT) | instid1(VALU_DEP_3)
	v_add_f64_e32 v[1:2], v[10:11], v[1:2]
	v_add_f64_e32 v[3:4], v[12:13], v[4:5]
	s_delay_alu instid0(VALU_DEP_2) | instskip(NEXT) | instid1(VALU_DEP_2)
	v_add_f64_e32 v[1:2], v[1:2], v[6:7]
	v_add_f64_e32 v[3:4], v[3:4], v[8:9]
	s_wait_loadcnt 0x0
	s_delay_alu instid0(VALU_DEP_2) | instskip(NEXT) | instid1(VALU_DEP_2)
	v_add_f64_e64 v[1:2], v[34:35], -v[1:2]
	v_add_f64_e64 v[3:4], v[36:37], -v[3:4]
	scratch_store_b128 off, v[1:4], off offset:64
	v_cmpx_lt_u32_e32 2, v0
	s_cbranch_execz .LBB125_393
; %bb.392:
	scratch_load_b128 v[1:4], off, s15
	v_mov_b32_e32 v5, 0
	s_delay_alu instid0(VALU_DEP_1)
	v_dual_mov_b32 v6, v5 :: v_dual_mov_b32 v7, v5
	v_mov_b32_e32 v8, v5
	scratch_store_b128 off, v[5:8], off offset:48
	s_wait_loadcnt 0x0
	ds_store_b128 v166, v[1:4]
.LBB125_393:
	s_wait_alu 0xfffe
	s_or_b32 exec_lo, exec_lo, s0
	s_wait_storecnt_dscnt 0x0
	s_barrier_signal -1
	s_barrier_wait -1
	global_inv scope:SCOPE_SE
	s_clause 0x7
	scratch_load_b128 v[2:5], off, off offset:64
	scratch_load_b128 v[6:9], off, off offset:80
	;; [unrolled: 1-line block ×8, first 2 shown]
	v_mov_b32_e32 v1, 0
	s_clause 0x1
	scratch_load_b128 v[34:37], off, off offset:192
	scratch_load_b128 v[171:174], off, off offset:208
	s_mov_b32 s0, exec_lo
	ds_load_b128 v[38:41], v1 offset:1040
	ds_load_b128 v[167:170], v1 offset:1056
	s_wait_loadcnt_dscnt 0x901
	v_mul_f64_e32 v[175:176], v[40:41], v[4:5]
	v_mul_f64_e32 v[4:5], v[38:39], v[4:5]
	s_wait_loadcnt_dscnt 0x800
	v_mul_f64_e32 v[177:178], v[167:168], v[8:9]
	v_mul_f64_e32 v[8:9], v[169:170], v[8:9]
	s_delay_alu instid0(VALU_DEP_4) | instskip(NEXT) | instid1(VALU_DEP_4)
	v_fma_f64 v[175:176], v[38:39], v[2:3], -v[175:176]
	v_fma_f64 v[179:180], v[40:41], v[2:3], v[4:5]
	ds_load_b128 v[2:5], v1 offset:1072
	scratch_load_b128 v[38:41], off, off offset:224
	v_fma_f64 v[177:178], v[169:170], v[6:7], v[177:178]
	v_fma_f64 v[183:184], v[167:168], v[6:7], -v[8:9]
	ds_load_b128 v[6:9], v1 offset:1088
	scratch_load_b128 v[167:170], off, off offset:240
	s_wait_loadcnt_dscnt 0x901
	v_mul_f64_e32 v[181:182], v[2:3], v[12:13]
	v_mul_f64_e32 v[12:13], v[4:5], v[12:13]
	s_wait_loadcnt_dscnt 0x800
	v_mul_f64_e32 v[185:186], v[6:7], v[16:17]
	v_mul_f64_e32 v[16:17], v[8:9], v[16:17]
	v_add_f64_e32 v[175:176], 0, v[175:176]
	v_add_f64_e32 v[179:180], 0, v[179:180]
	v_fma_f64 v[181:182], v[4:5], v[10:11], v[181:182]
	v_fma_f64 v[187:188], v[2:3], v[10:11], -v[12:13]
	ds_load_b128 v[2:5], v1 offset:1104
	scratch_load_b128 v[10:13], off, off offset:256
	v_add_f64_e32 v[175:176], v[175:176], v[183:184]
	v_add_f64_e32 v[177:178], v[179:180], v[177:178]
	v_fma_f64 v[183:184], v[8:9], v[14:15], v[185:186]
	v_fma_f64 v[185:186], v[6:7], v[14:15], -v[16:17]
	ds_load_b128 v[6:9], v1 offset:1120
	scratch_load_b128 v[14:17], off, off offset:272
	s_wait_loadcnt_dscnt 0x901
	v_mul_f64_e32 v[179:180], v[2:3], v[20:21]
	v_mul_f64_e32 v[20:21], v[4:5], v[20:21]
	v_add_f64_e32 v[175:176], v[175:176], v[187:188]
	v_add_f64_e32 v[177:178], v[177:178], v[181:182]
	s_wait_loadcnt_dscnt 0x800
	v_mul_f64_e32 v[181:182], v[6:7], v[24:25]
	v_mul_f64_e32 v[24:25], v[8:9], v[24:25]
	v_fma_f64 v[179:180], v[4:5], v[18:19], v[179:180]
	v_fma_f64 v[187:188], v[2:3], v[18:19], -v[20:21]
	ds_load_b128 v[2:5], v1 offset:1136
	scratch_load_b128 v[18:21], off, off offset:288
	v_add_f64_e32 v[175:176], v[175:176], v[185:186]
	v_add_f64_e32 v[177:178], v[177:178], v[183:184]
	v_fma_f64 v[181:182], v[8:9], v[22:23], v[181:182]
	v_fma_f64 v[185:186], v[6:7], v[22:23], -v[24:25]
	ds_load_b128 v[6:9], v1 offset:1152
	s_wait_loadcnt_dscnt 0x801
	v_mul_f64_e32 v[183:184], v[2:3], v[28:29]
	v_mul_f64_e32 v[28:29], v[4:5], v[28:29]
	scratch_load_b128 v[22:25], off, off offset:304
	v_add_f64_e32 v[175:176], v[175:176], v[187:188]
	v_add_f64_e32 v[177:178], v[177:178], v[179:180]
	s_wait_loadcnt_dscnt 0x800
	v_mul_f64_e32 v[179:180], v[6:7], v[32:33]
	v_mul_f64_e32 v[32:33], v[8:9], v[32:33]
	v_fma_f64 v[183:184], v[4:5], v[26:27], v[183:184]
	v_fma_f64 v[187:188], v[2:3], v[26:27], -v[28:29]
	ds_load_b128 v[2:5], v1 offset:1168
	scratch_load_b128 v[26:29], off, off offset:320
	v_add_f64_e32 v[175:176], v[175:176], v[185:186]
	v_add_f64_e32 v[177:178], v[177:178], v[181:182]
	v_fma_f64 v[179:180], v[8:9], v[30:31], v[179:180]
	v_fma_f64 v[185:186], v[6:7], v[30:31], -v[32:33]
	ds_load_b128 v[6:9], v1 offset:1184
	s_wait_loadcnt_dscnt 0x801
	v_mul_f64_e32 v[181:182], v[2:3], v[36:37]
	v_mul_f64_e32 v[36:37], v[4:5], v[36:37]
	scratch_load_b128 v[30:33], off, off offset:336
	v_add_f64_e32 v[175:176], v[175:176], v[187:188]
	v_add_f64_e32 v[177:178], v[177:178], v[183:184]
	s_wait_loadcnt_dscnt 0x800
	v_mul_f64_e32 v[183:184], v[6:7], v[173:174]
	v_mul_f64_e32 v[173:174], v[8:9], v[173:174]
	v_fma_f64 v[181:182], v[4:5], v[34:35], v[181:182]
	v_fma_f64 v[187:188], v[2:3], v[34:35], -v[36:37]
	ds_load_b128 v[2:5], v1 offset:1200
	scratch_load_b128 v[34:37], off, off offset:352
	v_add_f64_e32 v[175:176], v[175:176], v[185:186]
	v_add_f64_e32 v[177:178], v[177:178], v[179:180]
	v_fma_f64 v[183:184], v[8:9], v[171:172], v[183:184]
	v_fma_f64 v[185:186], v[6:7], v[171:172], -v[173:174]
	ds_load_b128 v[6:9], v1 offset:1216
	scratch_load_b128 v[171:174], off, off offset:368
	s_wait_loadcnt_dscnt 0x901
	v_mul_f64_e32 v[179:180], v[2:3], v[40:41]
	v_mul_f64_e32 v[40:41], v[4:5], v[40:41]
	v_add_f64_e32 v[175:176], v[175:176], v[187:188]
	v_add_f64_e32 v[177:178], v[177:178], v[181:182]
	s_wait_loadcnt_dscnt 0x800
	v_mul_f64_e32 v[181:182], v[6:7], v[169:170]
	v_mul_f64_e32 v[169:170], v[8:9], v[169:170]
	v_fma_f64 v[179:180], v[4:5], v[38:39], v[179:180]
	v_fma_f64 v[187:188], v[2:3], v[38:39], -v[40:41]
	ds_load_b128 v[2:5], v1 offset:1232
	scratch_load_b128 v[38:41], off, off offset:384
	v_add_f64_e32 v[175:176], v[175:176], v[185:186]
	v_add_f64_e32 v[177:178], v[177:178], v[183:184]
	v_fma_f64 v[181:182], v[8:9], v[167:168], v[181:182]
	v_fma_f64 v[185:186], v[6:7], v[167:168], -v[169:170]
	ds_load_b128 v[6:9], v1 offset:1248
	s_wait_loadcnt_dscnt 0x801
	v_mul_f64_e32 v[183:184], v[2:3], v[12:13]
	v_mul_f64_e32 v[12:13], v[4:5], v[12:13]
	scratch_load_b128 v[167:170], off, off offset:400
	v_add_f64_e32 v[175:176], v[175:176], v[187:188]
	v_add_f64_e32 v[177:178], v[177:178], v[179:180]
	s_wait_loadcnt_dscnt 0x800
	v_mul_f64_e32 v[179:180], v[6:7], v[16:17]
	v_mul_f64_e32 v[16:17], v[8:9], v[16:17]
	v_fma_f64 v[183:184], v[4:5], v[10:11], v[183:184]
	v_fma_f64 v[187:188], v[2:3], v[10:11], -v[12:13]
	ds_load_b128 v[2:5], v1 offset:1264
	scratch_load_b128 v[10:13], off, off offset:416
	v_add_f64_e32 v[175:176], v[175:176], v[185:186]
	v_add_f64_e32 v[177:178], v[177:178], v[181:182]
	v_fma_f64 v[179:180], v[8:9], v[14:15], v[179:180]
	v_fma_f64 v[185:186], v[6:7], v[14:15], -v[16:17]
	ds_load_b128 v[6:9], v1 offset:1280
	s_wait_loadcnt_dscnt 0x801
	v_mul_f64_e32 v[181:182], v[2:3], v[20:21]
	v_mul_f64_e32 v[20:21], v[4:5], v[20:21]
	scratch_load_b128 v[14:17], off, off offset:432
	v_add_f64_e32 v[175:176], v[175:176], v[187:188]
	v_add_f64_e32 v[177:178], v[177:178], v[183:184]
	s_wait_loadcnt_dscnt 0x800
	v_mul_f64_e32 v[183:184], v[6:7], v[24:25]
	v_mul_f64_e32 v[24:25], v[8:9], v[24:25]
	v_fma_f64 v[181:182], v[4:5], v[18:19], v[181:182]
	v_fma_f64 v[187:188], v[2:3], v[18:19], -v[20:21]
	ds_load_b128 v[2:5], v1 offset:1296
	scratch_load_b128 v[18:21], off, off offset:448
	v_add_f64_e32 v[175:176], v[175:176], v[185:186]
	v_add_f64_e32 v[177:178], v[177:178], v[179:180]
	v_fma_f64 v[183:184], v[8:9], v[22:23], v[183:184]
	v_fma_f64 v[185:186], v[6:7], v[22:23], -v[24:25]
	ds_load_b128 v[6:9], v1 offset:1312
	s_wait_loadcnt_dscnt 0x801
	v_mul_f64_e32 v[179:180], v[2:3], v[28:29]
	v_mul_f64_e32 v[28:29], v[4:5], v[28:29]
	scratch_load_b128 v[22:25], off, off offset:464
	v_add_f64_e32 v[175:176], v[175:176], v[187:188]
	v_add_f64_e32 v[177:178], v[177:178], v[181:182]
	s_wait_loadcnt_dscnt 0x800
	v_mul_f64_e32 v[181:182], v[6:7], v[32:33]
	v_mul_f64_e32 v[32:33], v[8:9], v[32:33]
	v_fma_f64 v[179:180], v[4:5], v[26:27], v[179:180]
	v_fma_f64 v[187:188], v[2:3], v[26:27], -v[28:29]
	ds_load_b128 v[2:5], v1 offset:1328
	scratch_load_b128 v[26:29], off, off offset:480
	v_add_f64_e32 v[175:176], v[175:176], v[185:186]
	v_add_f64_e32 v[177:178], v[177:178], v[183:184]
	v_fma_f64 v[181:182], v[8:9], v[30:31], v[181:182]
	v_fma_f64 v[185:186], v[6:7], v[30:31], -v[32:33]
	ds_load_b128 v[6:9], v1 offset:1344
	s_wait_loadcnt_dscnt 0x801
	v_mul_f64_e32 v[183:184], v[2:3], v[36:37]
	v_mul_f64_e32 v[36:37], v[4:5], v[36:37]
	scratch_load_b128 v[30:33], off, off offset:496
	v_add_f64_e32 v[175:176], v[175:176], v[187:188]
	v_add_f64_e32 v[177:178], v[177:178], v[179:180]
	s_wait_loadcnt_dscnt 0x800
	v_mul_f64_e32 v[179:180], v[6:7], v[173:174]
	v_mul_f64_e32 v[173:174], v[8:9], v[173:174]
	v_fma_f64 v[183:184], v[4:5], v[34:35], v[183:184]
	v_fma_f64 v[187:188], v[2:3], v[34:35], -v[36:37]
	ds_load_b128 v[2:5], v1 offset:1360
	scratch_load_b128 v[34:37], off, off offset:512
	v_add_f64_e32 v[175:176], v[175:176], v[185:186]
	v_add_f64_e32 v[177:178], v[177:178], v[181:182]
	v_fma_f64 v[179:180], v[8:9], v[171:172], v[179:180]
	v_fma_f64 v[185:186], v[6:7], v[171:172], -v[173:174]
	ds_load_b128 v[6:9], v1 offset:1376
	s_wait_loadcnt_dscnt 0x801
	v_mul_f64_e32 v[181:182], v[2:3], v[40:41]
	v_mul_f64_e32 v[40:41], v[4:5], v[40:41]
	scratch_load_b128 v[171:174], off, off offset:528
	v_add_f64_e32 v[175:176], v[175:176], v[187:188]
	v_add_f64_e32 v[177:178], v[177:178], v[183:184]
	s_wait_loadcnt_dscnt 0x800
	v_mul_f64_e32 v[183:184], v[6:7], v[169:170]
	v_mul_f64_e32 v[169:170], v[8:9], v[169:170]
	v_fma_f64 v[181:182], v[4:5], v[38:39], v[181:182]
	v_fma_f64 v[187:188], v[2:3], v[38:39], -v[40:41]
	ds_load_b128 v[2:5], v1 offset:1392
	scratch_load_b128 v[38:41], off, off offset:544
	v_add_f64_e32 v[175:176], v[175:176], v[185:186]
	v_add_f64_e32 v[177:178], v[177:178], v[179:180]
	v_fma_f64 v[183:184], v[8:9], v[167:168], v[183:184]
	v_fma_f64 v[185:186], v[6:7], v[167:168], -v[169:170]
	ds_load_b128 v[6:9], v1 offset:1408
	s_wait_loadcnt_dscnt 0x801
	v_mul_f64_e32 v[179:180], v[2:3], v[12:13]
	v_mul_f64_e32 v[12:13], v[4:5], v[12:13]
	scratch_load_b128 v[167:170], off, off offset:560
	v_add_f64_e32 v[175:176], v[175:176], v[187:188]
	v_add_f64_e32 v[177:178], v[177:178], v[181:182]
	s_wait_loadcnt_dscnt 0x800
	v_mul_f64_e32 v[181:182], v[6:7], v[16:17]
	v_mul_f64_e32 v[16:17], v[8:9], v[16:17]
	v_fma_f64 v[179:180], v[4:5], v[10:11], v[179:180]
	v_fma_f64 v[187:188], v[2:3], v[10:11], -v[12:13]
	ds_load_b128 v[2:5], v1 offset:1424
	scratch_load_b128 v[10:13], off, off offset:576
	v_add_f64_e32 v[175:176], v[175:176], v[185:186]
	v_add_f64_e32 v[177:178], v[177:178], v[183:184]
	v_fma_f64 v[181:182], v[8:9], v[14:15], v[181:182]
	v_fma_f64 v[185:186], v[6:7], v[14:15], -v[16:17]
	ds_load_b128 v[6:9], v1 offset:1440
	s_wait_loadcnt_dscnt 0x801
	v_mul_f64_e32 v[183:184], v[2:3], v[20:21]
	v_mul_f64_e32 v[20:21], v[4:5], v[20:21]
	scratch_load_b128 v[14:17], off, off offset:592
	v_add_f64_e32 v[175:176], v[175:176], v[187:188]
	v_add_f64_e32 v[177:178], v[177:178], v[179:180]
	s_wait_loadcnt_dscnt 0x800
	v_mul_f64_e32 v[179:180], v[6:7], v[24:25]
	v_mul_f64_e32 v[24:25], v[8:9], v[24:25]
	v_fma_f64 v[183:184], v[4:5], v[18:19], v[183:184]
	v_fma_f64 v[187:188], v[2:3], v[18:19], -v[20:21]
	ds_load_b128 v[2:5], v1 offset:1456
	scratch_load_b128 v[18:21], off, off offset:608
	v_add_f64_e32 v[175:176], v[175:176], v[185:186]
	v_add_f64_e32 v[177:178], v[177:178], v[181:182]
	v_fma_f64 v[179:180], v[8:9], v[22:23], v[179:180]
	v_fma_f64 v[185:186], v[6:7], v[22:23], -v[24:25]
	ds_load_b128 v[6:9], v1 offset:1472
	s_wait_loadcnt_dscnt 0x801
	v_mul_f64_e32 v[181:182], v[2:3], v[28:29]
	v_mul_f64_e32 v[28:29], v[4:5], v[28:29]
	scratch_load_b128 v[22:25], off, off offset:624
	v_add_f64_e32 v[175:176], v[175:176], v[187:188]
	v_add_f64_e32 v[177:178], v[177:178], v[183:184]
	s_wait_loadcnt_dscnt 0x800
	v_mul_f64_e32 v[183:184], v[6:7], v[32:33]
	v_mul_f64_e32 v[32:33], v[8:9], v[32:33]
	v_fma_f64 v[181:182], v[4:5], v[26:27], v[181:182]
	v_fma_f64 v[187:188], v[2:3], v[26:27], -v[28:29]
	ds_load_b128 v[2:5], v1 offset:1488
	scratch_load_b128 v[26:29], off, off offset:640
	v_add_f64_e32 v[175:176], v[175:176], v[185:186]
	v_add_f64_e32 v[177:178], v[177:178], v[179:180]
	v_fma_f64 v[183:184], v[8:9], v[30:31], v[183:184]
	v_fma_f64 v[185:186], v[6:7], v[30:31], -v[32:33]
	ds_load_b128 v[6:9], v1 offset:1504
	s_wait_loadcnt_dscnt 0x801
	v_mul_f64_e32 v[179:180], v[2:3], v[36:37]
	v_mul_f64_e32 v[36:37], v[4:5], v[36:37]
	scratch_load_b128 v[30:33], off, off offset:656
	v_add_f64_e32 v[175:176], v[175:176], v[187:188]
	v_add_f64_e32 v[177:178], v[177:178], v[181:182]
	s_wait_loadcnt_dscnt 0x800
	v_mul_f64_e32 v[181:182], v[6:7], v[173:174]
	v_mul_f64_e32 v[173:174], v[8:9], v[173:174]
	v_fma_f64 v[179:180], v[4:5], v[34:35], v[179:180]
	v_fma_f64 v[187:188], v[2:3], v[34:35], -v[36:37]
	ds_load_b128 v[2:5], v1 offset:1520
	scratch_load_b128 v[34:37], off, off offset:672
	v_add_f64_e32 v[175:176], v[175:176], v[185:186]
	v_add_f64_e32 v[177:178], v[177:178], v[183:184]
	v_fma_f64 v[181:182], v[8:9], v[171:172], v[181:182]
	v_fma_f64 v[185:186], v[6:7], v[171:172], -v[173:174]
	ds_load_b128 v[6:9], v1 offset:1536
	s_wait_loadcnt_dscnt 0x801
	v_mul_f64_e32 v[183:184], v[2:3], v[40:41]
	v_mul_f64_e32 v[40:41], v[4:5], v[40:41]
	scratch_load_b128 v[171:174], off, off offset:688
	v_add_f64_e32 v[175:176], v[175:176], v[187:188]
	v_add_f64_e32 v[177:178], v[177:178], v[179:180]
	s_wait_loadcnt_dscnt 0x800
	v_mul_f64_e32 v[179:180], v[6:7], v[169:170]
	v_mul_f64_e32 v[169:170], v[8:9], v[169:170]
	v_fma_f64 v[183:184], v[4:5], v[38:39], v[183:184]
	v_fma_f64 v[187:188], v[2:3], v[38:39], -v[40:41]
	ds_load_b128 v[2:5], v1 offset:1552
	scratch_load_b128 v[38:41], off, off offset:704
	v_add_f64_e32 v[175:176], v[175:176], v[185:186]
	v_add_f64_e32 v[177:178], v[177:178], v[181:182]
	v_fma_f64 v[179:180], v[8:9], v[167:168], v[179:180]
	v_fma_f64 v[185:186], v[6:7], v[167:168], -v[169:170]
	ds_load_b128 v[6:9], v1 offset:1568
	s_wait_loadcnt_dscnt 0x801
	v_mul_f64_e32 v[181:182], v[2:3], v[12:13]
	v_mul_f64_e32 v[12:13], v[4:5], v[12:13]
	scratch_load_b128 v[167:170], off, off offset:720
	v_add_f64_e32 v[175:176], v[175:176], v[187:188]
	v_add_f64_e32 v[177:178], v[177:178], v[183:184]
	s_wait_loadcnt_dscnt 0x800
	v_mul_f64_e32 v[183:184], v[6:7], v[16:17]
	v_mul_f64_e32 v[16:17], v[8:9], v[16:17]
	v_fma_f64 v[181:182], v[4:5], v[10:11], v[181:182]
	v_fma_f64 v[187:188], v[2:3], v[10:11], -v[12:13]
	ds_load_b128 v[2:5], v1 offset:1584
	scratch_load_b128 v[10:13], off, off offset:736
	v_add_f64_e32 v[175:176], v[175:176], v[185:186]
	v_add_f64_e32 v[177:178], v[177:178], v[179:180]
	v_fma_f64 v[183:184], v[8:9], v[14:15], v[183:184]
	v_fma_f64 v[185:186], v[6:7], v[14:15], -v[16:17]
	ds_load_b128 v[6:9], v1 offset:1600
	s_wait_loadcnt_dscnt 0x801
	v_mul_f64_e32 v[179:180], v[2:3], v[20:21]
	v_mul_f64_e32 v[20:21], v[4:5], v[20:21]
	scratch_load_b128 v[14:17], off, off offset:752
	v_add_f64_e32 v[175:176], v[175:176], v[187:188]
	v_add_f64_e32 v[177:178], v[177:178], v[181:182]
	s_wait_loadcnt_dscnt 0x800
	v_mul_f64_e32 v[181:182], v[6:7], v[24:25]
	v_mul_f64_e32 v[24:25], v[8:9], v[24:25]
	v_fma_f64 v[179:180], v[4:5], v[18:19], v[179:180]
	v_fma_f64 v[187:188], v[2:3], v[18:19], -v[20:21]
	ds_load_b128 v[2:5], v1 offset:1616
	scratch_load_b128 v[18:21], off, off offset:768
	v_add_f64_e32 v[175:176], v[175:176], v[185:186]
	v_add_f64_e32 v[177:178], v[177:178], v[183:184]
	v_fma_f64 v[181:182], v[8:9], v[22:23], v[181:182]
	v_fma_f64 v[185:186], v[6:7], v[22:23], -v[24:25]
	ds_load_b128 v[6:9], v1 offset:1632
	s_wait_loadcnt_dscnt 0x801
	v_mul_f64_e32 v[183:184], v[2:3], v[28:29]
	v_mul_f64_e32 v[28:29], v[4:5], v[28:29]
	scratch_load_b128 v[22:25], off, off offset:784
	v_add_f64_e32 v[175:176], v[175:176], v[187:188]
	v_add_f64_e32 v[177:178], v[177:178], v[179:180]
	s_wait_loadcnt_dscnt 0x800
	v_mul_f64_e32 v[179:180], v[6:7], v[32:33]
	v_mul_f64_e32 v[32:33], v[8:9], v[32:33]
	v_fma_f64 v[183:184], v[4:5], v[26:27], v[183:184]
	v_fma_f64 v[187:188], v[2:3], v[26:27], -v[28:29]
	ds_load_b128 v[2:5], v1 offset:1648
	scratch_load_b128 v[26:29], off, off offset:800
	v_add_f64_e32 v[175:176], v[175:176], v[185:186]
	v_add_f64_e32 v[177:178], v[177:178], v[181:182]
	v_fma_f64 v[179:180], v[8:9], v[30:31], v[179:180]
	v_fma_f64 v[185:186], v[6:7], v[30:31], -v[32:33]
	ds_load_b128 v[6:9], v1 offset:1664
	s_wait_loadcnt_dscnt 0x801
	v_mul_f64_e32 v[181:182], v[2:3], v[36:37]
	v_mul_f64_e32 v[36:37], v[4:5], v[36:37]
	scratch_load_b128 v[30:33], off, off offset:816
	v_add_f64_e32 v[175:176], v[175:176], v[187:188]
	v_add_f64_e32 v[177:178], v[177:178], v[183:184]
	s_wait_loadcnt_dscnt 0x800
	v_mul_f64_e32 v[183:184], v[6:7], v[173:174]
	v_mul_f64_e32 v[173:174], v[8:9], v[173:174]
	v_fma_f64 v[181:182], v[4:5], v[34:35], v[181:182]
	v_fma_f64 v[187:188], v[2:3], v[34:35], -v[36:37]
	ds_load_b128 v[2:5], v1 offset:1680
	scratch_load_b128 v[34:37], off, off offset:832
	v_add_f64_e32 v[175:176], v[175:176], v[185:186]
	v_add_f64_e32 v[177:178], v[177:178], v[179:180]
	v_fma_f64 v[183:184], v[8:9], v[171:172], v[183:184]
	v_fma_f64 v[185:186], v[6:7], v[171:172], -v[173:174]
	ds_load_b128 v[6:9], v1 offset:1696
	s_wait_loadcnt_dscnt 0x801
	v_mul_f64_e32 v[179:180], v[2:3], v[40:41]
	v_mul_f64_e32 v[40:41], v[4:5], v[40:41]
	scratch_load_b128 v[171:174], off, off offset:848
	v_add_f64_e32 v[175:176], v[175:176], v[187:188]
	v_add_f64_e32 v[177:178], v[177:178], v[181:182]
	s_wait_loadcnt_dscnt 0x800
	v_mul_f64_e32 v[181:182], v[6:7], v[169:170]
	v_mul_f64_e32 v[169:170], v[8:9], v[169:170]
	v_fma_f64 v[179:180], v[4:5], v[38:39], v[179:180]
	v_fma_f64 v[187:188], v[2:3], v[38:39], -v[40:41]
	ds_load_b128 v[2:5], v1 offset:1712
	scratch_load_b128 v[38:41], off, off offset:864
	v_add_f64_e32 v[175:176], v[175:176], v[185:186]
	v_add_f64_e32 v[177:178], v[177:178], v[183:184]
	v_fma_f64 v[181:182], v[8:9], v[167:168], v[181:182]
	v_fma_f64 v[185:186], v[6:7], v[167:168], -v[169:170]
	ds_load_b128 v[6:9], v1 offset:1728
	s_wait_loadcnt_dscnt 0x801
	v_mul_f64_e32 v[183:184], v[2:3], v[12:13]
	v_mul_f64_e32 v[12:13], v[4:5], v[12:13]
	scratch_load_b128 v[167:170], off, off offset:880
	v_add_f64_e32 v[175:176], v[175:176], v[187:188]
	v_add_f64_e32 v[177:178], v[177:178], v[179:180]
	s_wait_loadcnt_dscnt 0x800
	v_mul_f64_e32 v[179:180], v[6:7], v[16:17]
	v_mul_f64_e32 v[16:17], v[8:9], v[16:17]
	v_fma_f64 v[183:184], v[4:5], v[10:11], v[183:184]
	v_fma_f64 v[187:188], v[2:3], v[10:11], -v[12:13]
	ds_load_b128 v[2:5], v1 offset:1744
	scratch_load_b128 v[10:13], off, off offset:896
	v_add_f64_e32 v[175:176], v[175:176], v[185:186]
	v_add_f64_e32 v[177:178], v[177:178], v[181:182]
	v_fma_f64 v[179:180], v[8:9], v[14:15], v[179:180]
	v_fma_f64 v[185:186], v[6:7], v[14:15], -v[16:17]
	ds_load_b128 v[6:9], v1 offset:1760
	s_wait_loadcnt_dscnt 0x801
	v_mul_f64_e32 v[181:182], v[2:3], v[20:21]
	v_mul_f64_e32 v[20:21], v[4:5], v[20:21]
	scratch_load_b128 v[14:17], off, off offset:912
	v_add_f64_e32 v[175:176], v[175:176], v[187:188]
	v_add_f64_e32 v[177:178], v[177:178], v[183:184]
	s_wait_loadcnt_dscnt 0x800
	v_mul_f64_e32 v[183:184], v[6:7], v[24:25]
	v_mul_f64_e32 v[24:25], v[8:9], v[24:25]
	v_fma_f64 v[181:182], v[4:5], v[18:19], v[181:182]
	v_fma_f64 v[187:188], v[2:3], v[18:19], -v[20:21]
	ds_load_b128 v[2:5], v1 offset:1776
	scratch_load_b128 v[18:21], off, off offset:928
	v_add_f64_e32 v[175:176], v[175:176], v[185:186]
	v_add_f64_e32 v[177:178], v[177:178], v[179:180]
	v_fma_f64 v[183:184], v[8:9], v[22:23], v[183:184]
	v_fma_f64 v[185:186], v[6:7], v[22:23], -v[24:25]
	ds_load_b128 v[6:9], v1 offset:1792
	s_wait_loadcnt_dscnt 0x801
	v_mul_f64_e32 v[179:180], v[2:3], v[28:29]
	v_mul_f64_e32 v[28:29], v[4:5], v[28:29]
	scratch_load_b128 v[22:25], off, off offset:944
	v_add_f64_e32 v[175:176], v[175:176], v[187:188]
	v_add_f64_e32 v[177:178], v[177:178], v[181:182]
	s_wait_loadcnt_dscnt 0x800
	v_mul_f64_e32 v[181:182], v[6:7], v[32:33]
	v_mul_f64_e32 v[32:33], v[8:9], v[32:33]
	v_fma_f64 v[179:180], v[4:5], v[26:27], v[179:180]
	v_fma_f64 v[187:188], v[2:3], v[26:27], -v[28:29]
	ds_load_b128 v[2:5], v1 offset:1808
	scratch_load_b128 v[26:29], off, off offset:960
	v_add_f64_e32 v[175:176], v[175:176], v[185:186]
	v_add_f64_e32 v[177:178], v[177:178], v[183:184]
	v_fma_f64 v[181:182], v[8:9], v[30:31], v[181:182]
	v_fma_f64 v[185:186], v[6:7], v[30:31], -v[32:33]
	ds_load_b128 v[6:9], v1 offset:1824
	s_wait_loadcnt_dscnt 0x801
	v_mul_f64_e32 v[183:184], v[2:3], v[36:37]
	v_mul_f64_e32 v[36:37], v[4:5], v[36:37]
	scratch_load_b128 v[30:33], off, off offset:976
	v_add_f64_e32 v[175:176], v[175:176], v[187:188]
	v_add_f64_e32 v[177:178], v[177:178], v[179:180]
	s_wait_loadcnt_dscnt 0x800
	v_mul_f64_e32 v[179:180], v[6:7], v[173:174]
	v_mul_f64_e32 v[173:174], v[8:9], v[173:174]
	v_fma_f64 v[183:184], v[4:5], v[34:35], v[183:184]
	v_fma_f64 v[187:188], v[2:3], v[34:35], -v[36:37]
	ds_load_b128 v[2:5], v1 offset:1840
	scratch_load_b128 v[34:37], off, off offset:992
	v_add_f64_e32 v[175:176], v[175:176], v[185:186]
	v_add_f64_e32 v[177:178], v[177:178], v[181:182]
	v_fma_f64 v[179:180], v[8:9], v[171:172], v[179:180]
	v_fma_f64 v[171:172], v[6:7], v[171:172], -v[173:174]
	ds_load_b128 v[6:9], v1 offset:1856
	s_wait_loadcnt_dscnt 0x801
	v_mul_f64_e32 v[181:182], v[2:3], v[40:41]
	v_mul_f64_e32 v[40:41], v[4:5], v[40:41]
	v_add_f64_e32 v[173:174], v[175:176], v[187:188]
	v_add_f64_e32 v[175:176], v[177:178], v[183:184]
	s_wait_loadcnt_dscnt 0x700
	v_mul_f64_e32 v[177:178], v[6:7], v[169:170]
	v_mul_f64_e32 v[169:170], v[8:9], v[169:170]
	v_fma_f64 v[181:182], v[4:5], v[38:39], v[181:182]
	v_fma_f64 v[38:39], v[2:3], v[38:39], -v[40:41]
	ds_load_b128 v[2:5], v1 offset:1872
	v_add_f64_e32 v[40:41], v[173:174], v[171:172]
	v_add_f64_e32 v[171:172], v[175:176], v[179:180]
	v_fma_f64 v[175:176], v[8:9], v[167:168], v[177:178]
	v_fma_f64 v[167:168], v[6:7], v[167:168], -v[169:170]
	ds_load_b128 v[6:9], v1 offset:1888
	s_wait_loadcnt_dscnt 0x500
	v_mul_f64_e32 v[177:178], v[6:7], v[16:17]
	v_mul_f64_e32 v[16:17], v[8:9], v[16:17]
	v_add_f64_e32 v[169:170], v[40:41], v[38:39]
	v_add_f64_e32 v[171:172], v[171:172], v[181:182]
	scratch_load_b128 v[38:41], off, off offset:48
	v_mul_f64_e32 v[173:174], v[2:3], v[12:13]
	v_mul_f64_e32 v[12:13], v[4:5], v[12:13]
	s_delay_alu instid0(VALU_DEP_2) | instskip(NEXT) | instid1(VALU_DEP_2)
	v_fma_f64 v[173:174], v[4:5], v[10:11], v[173:174]
	v_fma_f64 v[10:11], v[2:3], v[10:11], -v[12:13]
	v_add_f64_e32 v[12:13], v[169:170], v[167:168]
	v_add_f64_e32 v[167:168], v[171:172], v[175:176]
	ds_load_b128 v[2:5], v1 offset:1904
	v_fma_f64 v[171:172], v[8:9], v[14:15], v[177:178]
	v_fma_f64 v[14:15], v[6:7], v[14:15], -v[16:17]
	ds_load_b128 v[6:9], v1 offset:1920
	s_wait_loadcnt_dscnt 0x501
	v_mul_f64_e32 v[169:170], v[2:3], v[20:21]
	v_mul_f64_e32 v[20:21], v[4:5], v[20:21]
	s_wait_loadcnt_dscnt 0x400
	v_mul_f64_e32 v[16:17], v[6:7], v[24:25]
	v_mul_f64_e32 v[24:25], v[8:9], v[24:25]
	v_add_f64_e32 v[10:11], v[12:13], v[10:11]
	v_add_f64_e32 v[12:13], v[167:168], v[173:174]
	v_fma_f64 v[167:168], v[4:5], v[18:19], v[169:170]
	v_fma_f64 v[18:19], v[2:3], v[18:19], -v[20:21]
	ds_load_b128 v[2:5], v1 offset:1936
	v_fma_f64 v[16:17], v[8:9], v[22:23], v[16:17]
	v_fma_f64 v[22:23], v[6:7], v[22:23], -v[24:25]
	ds_load_b128 v[6:9], v1 offset:1952
	v_add_f64_e32 v[10:11], v[10:11], v[14:15]
	v_add_f64_e32 v[12:13], v[12:13], v[171:172]
	s_wait_loadcnt_dscnt 0x301
	v_mul_f64_e32 v[14:15], v[2:3], v[28:29]
	v_mul_f64_e32 v[20:21], v[4:5], v[28:29]
	s_wait_loadcnt_dscnt 0x200
	v_mul_f64_e32 v[24:25], v[8:9], v[32:33]
	v_add_f64_e32 v[10:11], v[10:11], v[18:19]
	v_add_f64_e32 v[12:13], v[12:13], v[167:168]
	v_mul_f64_e32 v[18:19], v[6:7], v[32:33]
	v_fma_f64 v[14:15], v[4:5], v[26:27], v[14:15]
	v_fma_f64 v[20:21], v[2:3], v[26:27], -v[20:21]
	ds_load_b128 v[2:5], v1 offset:1968
	v_fma_f64 v[6:7], v[6:7], v[30:31], -v[24:25]
	v_add_f64_e32 v[10:11], v[10:11], v[22:23]
	v_add_f64_e32 v[12:13], v[12:13], v[16:17]
	s_wait_loadcnt_dscnt 0x100
	v_mul_f64_e32 v[16:17], v[2:3], v[36:37]
	v_mul_f64_e32 v[22:23], v[4:5], v[36:37]
	v_fma_f64 v[8:9], v[8:9], v[30:31], v[18:19]
	v_add_f64_e32 v[10:11], v[10:11], v[20:21]
	v_add_f64_e32 v[12:13], v[12:13], v[14:15]
	v_fma_f64 v[4:5], v[4:5], v[34:35], v[16:17]
	v_fma_f64 v[2:3], v[2:3], v[34:35], -v[22:23]
	s_delay_alu instid0(VALU_DEP_4) | instskip(NEXT) | instid1(VALU_DEP_4)
	v_add_f64_e32 v[6:7], v[10:11], v[6:7]
	v_add_f64_e32 v[8:9], v[12:13], v[8:9]
	s_delay_alu instid0(VALU_DEP_2) | instskip(NEXT) | instid1(VALU_DEP_2)
	v_add_f64_e32 v[2:3], v[6:7], v[2:3]
	v_add_f64_e32 v[4:5], v[8:9], v[4:5]
	s_wait_loadcnt 0x0
	s_delay_alu instid0(VALU_DEP_2) | instskip(NEXT) | instid1(VALU_DEP_2)
	v_add_f64_e64 v[2:3], v[38:39], -v[2:3]
	v_add_f64_e64 v[4:5], v[40:41], -v[4:5]
	scratch_store_b128 off, v[2:5], off offset:48
	v_cmpx_lt_u32_e32 1, v0
	s_cbranch_execz .LBB125_395
; %bb.394:
	scratch_load_b128 v[5:8], off, s17
	v_dual_mov_b32 v2, v1 :: v_dual_mov_b32 v3, v1
	v_mov_b32_e32 v4, v1
	scratch_store_b128 off, v[1:4], off offset:32
	s_wait_loadcnt 0x0
	ds_store_b128 v166, v[5:8]
.LBB125_395:
	s_wait_alu 0xfffe
	s_or_b32 exec_lo, exec_lo, s0
	s_wait_storecnt_dscnt 0x0
	s_barrier_signal -1
	s_barrier_wait -1
	global_inv scope:SCOPE_SE
	s_clause 0x7
	scratch_load_b128 v[2:5], off, off offset:48
	scratch_load_b128 v[6:9], off, off offset:64
	;; [unrolled: 1-line block ×8, first 2 shown]
	ds_load_b128 v[38:41], v1 offset:1024
	ds_load_b128 v[167:170], v1 offset:1040
	s_clause 0x1
	scratch_load_b128 v[34:37], off, off offset:176
	scratch_load_b128 v[171:174], off, off offset:192
	s_mov_b32 s0, exec_lo
	s_wait_loadcnt_dscnt 0x901
	v_mul_f64_e32 v[175:176], v[40:41], v[4:5]
	v_mul_f64_e32 v[4:5], v[38:39], v[4:5]
	s_wait_loadcnt_dscnt 0x800
	v_mul_f64_e32 v[177:178], v[167:168], v[8:9]
	v_mul_f64_e32 v[8:9], v[169:170], v[8:9]
	s_delay_alu instid0(VALU_DEP_4) | instskip(NEXT) | instid1(VALU_DEP_4)
	v_fma_f64 v[175:176], v[38:39], v[2:3], -v[175:176]
	v_fma_f64 v[179:180], v[40:41], v[2:3], v[4:5]
	ds_load_b128 v[2:5], v1 offset:1056
	scratch_load_b128 v[38:41], off, off offset:208
	v_fma_f64 v[177:178], v[169:170], v[6:7], v[177:178]
	v_fma_f64 v[183:184], v[167:168], v[6:7], -v[8:9]
	ds_load_b128 v[6:9], v1 offset:1072
	scratch_load_b128 v[167:170], off, off offset:224
	s_wait_loadcnt_dscnt 0x901
	v_mul_f64_e32 v[181:182], v[2:3], v[12:13]
	v_mul_f64_e32 v[12:13], v[4:5], v[12:13]
	s_wait_loadcnt_dscnt 0x800
	v_mul_f64_e32 v[185:186], v[6:7], v[16:17]
	v_mul_f64_e32 v[16:17], v[8:9], v[16:17]
	v_add_f64_e32 v[175:176], 0, v[175:176]
	v_add_f64_e32 v[179:180], 0, v[179:180]
	v_fma_f64 v[181:182], v[4:5], v[10:11], v[181:182]
	v_fma_f64 v[187:188], v[2:3], v[10:11], -v[12:13]
	ds_load_b128 v[2:5], v1 offset:1088
	scratch_load_b128 v[10:13], off, off offset:240
	v_add_f64_e32 v[175:176], v[175:176], v[183:184]
	v_add_f64_e32 v[177:178], v[179:180], v[177:178]
	v_fma_f64 v[183:184], v[8:9], v[14:15], v[185:186]
	v_fma_f64 v[185:186], v[6:7], v[14:15], -v[16:17]
	ds_load_b128 v[6:9], v1 offset:1104
	scratch_load_b128 v[14:17], off, off offset:256
	s_wait_loadcnt_dscnt 0x901
	v_mul_f64_e32 v[179:180], v[2:3], v[20:21]
	v_mul_f64_e32 v[20:21], v[4:5], v[20:21]
	v_add_f64_e32 v[175:176], v[175:176], v[187:188]
	v_add_f64_e32 v[177:178], v[177:178], v[181:182]
	s_wait_loadcnt_dscnt 0x800
	v_mul_f64_e32 v[181:182], v[6:7], v[24:25]
	v_mul_f64_e32 v[24:25], v[8:9], v[24:25]
	v_fma_f64 v[179:180], v[4:5], v[18:19], v[179:180]
	v_fma_f64 v[187:188], v[2:3], v[18:19], -v[20:21]
	ds_load_b128 v[2:5], v1 offset:1120
	scratch_load_b128 v[18:21], off, off offset:272
	v_add_f64_e32 v[175:176], v[175:176], v[185:186]
	v_add_f64_e32 v[177:178], v[177:178], v[183:184]
	v_fma_f64 v[181:182], v[8:9], v[22:23], v[181:182]
	v_fma_f64 v[185:186], v[6:7], v[22:23], -v[24:25]
	ds_load_b128 v[6:9], v1 offset:1136
	s_wait_loadcnt_dscnt 0x801
	v_mul_f64_e32 v[183:184], v[2:3], v[28:29]
	v_mul_f64_e32 v[28:29], v[4:5], v[28:29]
	scratch_load_b128 v[22:25], off, off offset:288
	v_add_f64_e32 v[175:176], v[175:176], v[187:188]
	v_add_f64_e32 v[177:178], v[177:178], v[179:180]
	s_wait_loadcnt_dscnt 0x800
	v_mul_f64_e32 v[179:180], v[6:7], v[32:33]
	v_mul_f64_e32 v[32:33], v[8:9], v[32:33]
	v_fma_f64 v[183:184], v[4:5], v[26:27], v[183:184]
	v_fma_f64 v[187:188], v[2:3], v[26:27], -v[28:29]
	ds_load_b128 v[2:5], v1 offset:1152
	scratch_load_b128 v[26:29], off, off offset:304
	v_add_f64_e32 v[175:176], v[175:176], v[185:186]
	v_add_f64_e32 v[177:178], v[177:178], v[181:182]
	v_fma_f64 v[179:180], v[8:9], v[30:31], v[179:180]
	v_fma_f64 v[185:186], v[6:7], v[30:31], -v[32:33]
	ds_load_b128 v[6:9], v1 offset:1168
	s_wait_loadcnt_dscnt 0x801
	v_mul_f64_e32 v[181:182], v[2:3], v[36:37]
	v_mul_f64_e32 v[36:37], v[4:5], v[36:37]
	scratch_load_b128 v[30:33], off, off offset:320
	v_add_f64_e32 v[175:176], v[175:176], v[187:188]
	v_add_f64_e32 v[177:178], v[177:178], v[183:184]
	s_wait_loadcnt_dscnt 0x800
	v_mul_f64_e32 v[183:184], v[6:7], v[173:174]
	v_mul_f64_e32 v[173:174], v[8:9], v[173:174]
	v_fma_f64 v[181:182], v[4:5], v[34:35], v[181:182]
	v_fma_f64 v[187:188], v[2:3], v[34:35], -v[36:37]
	ds_load_b128 v[2:5], v1 offset:1184
	scratch_load_b128 v[34:37], off, off offset:336
	v_add_f64_e32 v[175:176], v[175:176], v[185:186]
	v_add_f64_e32 v[177:178], v[177:178], v[179:180]
	v_fma_f64 v[183:184], v[8:9], v[171:172], v[183:184]
	v_fma_f64 v[185:186], v[6:7], v[171:172], -v[173:174]
	ds_load_b128 v[6:9], v1 offset:1200
	scratch_load_b128 v[171:174], off, off offset:352
	s_wait_loadcnt_dscnt 0x901
	v_mul_f64_e32 v[179:180], v[2:3], v[40:41]
	v_mul_f64_e32 v[40:41], v[4:5], v[40:41]
	v_add_f64_e32 v[175:176], v[175:176], v[187:188]
	v_add_f64_e32 v[177:178], v[177:178], v[181:182]
	s_wait_loadcnt_dscnt 0x800
	v_mul_f64_e32 v[181:182], v[6:7], v[169:170]
	v_mul_f64_e32 v[169:170], v[8:9], v[169:170]
	v_fma_f64 v[179:180], v[4:5], v[38:39], v[179:180]
	v_fma_f64 v[187:188], v[2:3], v[38:39], -v[40:41]
	ds_load_b128 v[2:5], v1 offset:1216
	scratch_load_b128 v[38:41], off, off offset:368
	v_add_f64_e32 v[175:176], v[175:176], v[185:186]
	v_add_f64_e32 v[177:178], v[177:178], v[183:184]
	v_fma_f64 v[181:182], v[8:9], v[167:168], v[181:182]
	v_fma_f64 v[185:186], v[6:7], v[167:168], -v[169:170]
	ds_load_b128 v[6:9], v1 offset:1232
	s_wait_loadcnt_dscnt 0x801
	v_mul_f64_e32 v[183:184], v[2:3], v[12:13]
	v_mul_f64_e32 v[12:13], v[4:5], v[12:13]
	scratch_load_b128 v[167:170], off, off offset:384
	v_add_f64_e32 v[175:176], v[175:176], v[187:188]
	v_add_f64_e32 v[177:178], v[177:178], v[179:180]
	s_wait_loadcnt_dscnt 0x800
	v_mul_f64_e32 v[179:180], v[6:7], v[16:17]
	v_mul_f64_e32 v[16:17], v[8:9], v[16:17]
	v_fma_f64 v[183:184], v[4:5], v[10:11], v[183:184]
	v_fma_f64 v[187:188], v[2:3], v[10:11], -v[12:13]
	ds_load_b128 v[2:5], v1 offset:1248
	scratch_load_b128 v[10:13], off, off offset:400
	v_add_f64_e32 v[175:176], v[175:176], v[185:186]
	v_add_f64_e32 v[177:178], v[177:178], v[181:182]
	v_fma_f64 v[179:180], v[8:9], v[14:15], v[179:180]
	v_fma_f64 v[185:186], v[6:7], v[14:15], -v[16:17]
	ds_load_b128 v[6:9], v1 offset:1264
	s_wait_loadcnt_dscnt 0x801
	v_mul_f64_e32 v[181:182], v[2:3], v[20:21]
	v_mul_f64_e32 v[20:21], v[4:5], v[20:21]
	scratch_load_b128 v[14:17], off, off offset:416
	;; [unrolled: 18-line block ×11, first 2 shown]
	v_add_f64_e32 v[175:176], v[175:176], v[187:188]
	v_add_f64_e32 v[177:178], v[177:178], v[183:184]
	s_wait_loadcnt_dscnt 0x800
	v_mul_f64_e32 v[183:184], v[6:7], v[16:17]
	v_mul_f64_e32 v[16:17], v[8:9], v[16:17]
	v_fma_f64 v[181:182], v[4:5], v[10:11], v[181:182]
	v_fma_f64 v[187:188], v[2:3], v[10:11], -v[12:13]
	scratch_load_b128 v[10:13], off, off offset:720
	ds_load_b128 v[2:5], v1 offset:1568
	v_add_f64_e32 v[175:176], v[175:176], v[185:186]
	v_add_f64_e32 v[177:178], v[177:178], v[179:180]
	v_fma_f64 v[183:184], v[8:9], v[14:15], v[183:184]
	v_fma_f64 v[185:186], v[6:7], v[14:15], -v[16:17]
	ds_load_b128 v[6:9], v1 offset:1584
	s_wait_loadcnt_dscnt 0x801
	v_mul_f64_e32 v[179:180], v[2:3], v[20:21]
	v_mul_f64_e32 v[20:21], v[4:5], v[20:21]
	scratch_load_b128 v[14:17], off, off offset:736
	v_add_f64_e32 v[175:176], v[175:176], v[187:188]
	v_add_f64_e32 v[177:178], v[177:178], v[181:182]
	s_wait_loadcnt_dscnt 0x800
	v_mul_f64_e32 v[181:182], v[6:7], v[24:25]
	v_mul_f64_e32 v[24:25], v[8:9], v[24:25]
	v_fma_f64 v[179:180], v[4:5], v[18:19], v[179:180]
	v_fma_f64 v[187:188], v[2:3], v[18:19], -v[20:21]
	ds_load_b128 v[2:5], v1 offset:1600
	scratch_load_b128 v[18:21], off, off offset:752
	v_add_f64_e32 v[175:176], v[175:176], v[185:186]
	v_add_f64_e32 v[177:178], v[177:178], v[183:184]
	v_fma_f64 v[181:182], v[8:9], v[22:23], v[181:182]
	v_fma_f64 v[185:186], v[6:7], v[22:23], -v[24:25]
	ds_load_b128 v[6:9], v1 offset:1616
	s_wait_loadcnt_dscnt 0x801
	v_mul_f64_e32 v[183:184], v[2:3], v[28:29]
	v_mul_f64_e32 v[28:29], v[4:5], v[28:29]
	scratch_load_b128 v[22:25], off, off offset:768
	v_add_f64_e32 v[175:176], v[175:176], v[187:188]
	v_add_f64_e32 v[177:178], v[177:178], v[179:180]
	s_wait_loadcnt_dscnt 0x800
	v_mul_f64_e32 v[179:180], v[6:7], v[32:33]
	v_mul_f64_e32 v[32:33], v[8:9], v[32:33]
	v_fma_f64 v[183:184], v[4:5], v[26:27], v[183:184]
	v_fma_f64 v[187:188], v[2:3], v[26:27], -v[28:29]
	ds_load_b128 v[2:5], v1 offset:1632
	scratch_load_b128 v[26:29], off, off offset:784
	;; [unrolled: 18-line block ×4, first 2 shown]
	v_add_f64_e32 v[175:176], v[175:176], v[185:186]
	v_add_f64_e32 v[177:178], v[177:178], v[183:184]
	v_fma_f64 v[181:182], v[8:9], v[167:168], v[181:182]
	v_fma_f64 v[185:186], v[6:7], v[167:168], -v[169:170]
	ds_load_b128 v[6:9], v1 offset:1712
	s_wait_loadcnt_dscnt 0x801
	v_mul_f64_e32 v[183:184], v[2:3], v[12:13]
	v_mul_f64_e32 v[12:13], v[4:5], v[12:13]
	scratch_load_b128 v[167:170], off, off offset:864
	v_add_f64_e32 v[175:176], v[175:176], v[187:188]
	v_add_f64_e32 v[177:178], v[177:178], v[179:180]
	s_wait_loadcnt_dscnt 0x800
	v_mul_f64_e32 v[179:180], v[6:7], v[16:17]
	v_mul_f64_e32 v[16:17], v[8:9], v[16:17]
	v_fma_f64 v[183:184], v[4:5], v[10:11], v[183:184]
	v_fma_f64 v[187:188], v[2:3], v[10:11], -v[12:13]
	scratch_load_b128 v[10:13], off, off offset:880
	ds_load_b128 v[2:5], v1 offset:1728
	v_add_f64_e32 v[175:176], v[175:176], v[185:186]
	v_add_f64_e32 v[177:178], v[177:178], v[181:182]
	v_fma_f64 v[179:180], v[8:9], v[14:15], v[179:180]
	v_fma_f64 v[185:186], v[6:7], v[14:15], -v[16:17]
	ds_load_b128 v[6:9], v1 offset:1744
	s_wait_loadcnt_dscnt 0x801
	v_mul_f64_e32 v[181:182], v[2:3], v[20:21]
	v_mul_f64_e32 v[20:21], v[4:5], v[20:21]
	scratch_load_b128 v[14:17], off, off offset:896
	v_add_f64_e32 v[175:176], v[175:176], v[187:188]
	v_add_f64_e32 v[177:178], v[177:178], v[183:184]
	s_wait_loadcnt_dscnt 0x800
	v_mul_f64_e32 v[183:184], v[6:7], v[24:25]
	v_mul_f64_e32 v[24:25], v[8:9], v[24:25]
	v_fma_f64 v[181:182], v[4:5], v[18:19], v[181:182]
	v_fma_f64 v[187:188], v[2:3], v[18:19], -v[20:21]
	ds_load_b128 v[2:5], v1 offset:1760
	scratch_load_b128 v[18:21], off, off offset:912
	v_add_f64_e32 v[175:176], v[175:176], v[185:186]
	v_add_f64_e32 v[177:178], v[177:178], v[179:180]
	v_fma_f64 v[183:184], v[8:9], v[22:23], v[183:184]
	v_fma_f64 v[185:186], v[6:7], v[22:23], -v[24:25]
	ds_load_b128 v[6:9], v1 offset:1776
	s_wait_loadcnt_dscnt 0x801
	v_mul_f64_e32 v[179:180], v[2:3], v[28:29]
	v_mul_f64_e32 v[28:29], v[4:5], v[28:29]
	scratch_load_b128 v[22:25], off, off offset:928
	v_add_f64_e32 v[175:176], v[175:176], v[187:188]
	v_add_f64_e32 v[177:178], v[177:178], v[181:182]
	s_wait_loadcnt_dscnt 0x800
	v_mul_f64_e32 v[181:182], v[6:7], v[32:33]
	v_mul_f64_e32 v[32:33], v[8:9], v[32:33]
	v_fma_f64 v[179:180], v[4:5], v[26:27], v[179:180]
	v_fma_f64 v[187:188], v[2:3], v[26:27], -v[28:29]
	ds_load_b128 v[2:5], v1 offset:1792
	scratch_load_b128 v[26:29], off, off offset:944
	;; [unrolled: 18-line block ×3, first 2 shown]
	v_add_f64_e32 v[175:176], v[175:176], v[185:186]
	v_add_f64_e32 v[177:178], v[177:178], v[181:182]
	v_fma_f64 v[179:180], v[8:9], v[171:172], v[179:180]
	v_fma_f64 v[185:186], v[6:7], v[171:172], -v[173:174]
	ds_load_b128 v[6:9], v1 offset:1840
	s_wait_loadcnt_dscnt 0x801
	v_mul_f64_e32 v[181:182], v[2:3], v[40:41]
	v_mul_f64_e32 v[40:41], v[4:5], v[40:41]
	scratch_load_b128 v[171:174], off, off offset:992
	v_add_f64_e32 v[175:176], v[175:176], v[187:188]
	v_add_f64_e32 v[177:178], v[177:178], v[183:184]
	v_fma_f64 v[181:182], v[4:5], v[38:39], v[181:182]
	v_fma_f64 v[38:39], v[2:3], v[38:39], -v[40:41]
	ds_load_b128 v[2:5], v1 offset:1856
	v_add_f64_e32 v[40:41], v[175:176], v[185:186]
	v_add_f64_e32 v[175:176], v[177:178], v[179:180]
	s_wait_loadcnt_dscnt 0x700
	v_mul_f64_e32 v[177:178], v[2:3], v[12:13]
	v_mul_f64_e32 v[12:13], v[4:5], v[12:13]
	s_delay_alu instid0(VALU_DEP_4) | instskip(NEXT) | instid1(VALU_DEP_4)
	v_add_f64_e32 v[38:39], v[40:41], v[38:39]
	v_add_f64_e32 v[40:41], v[175:176], v[181:182]
	s_delay_alu instid0(VALU_DEP_4) | instskip(NEXT) | instid1(VALU_DEP_4)
	v_fma_f64 v[175:176], v[4:5], v[10:11], v[177:178]
	v_fma_f64 v[177:178], v[2:3], v[10:11], -v[12:13]
	scratch_load_b128 v[10:13], off, off offset:32
	v_mul_f64_e32 v[183:184], v[6:7], v[169:170]
	v_mul_f64_e32 v[169:170], v[8:9], v[169:170]
	ds_load_b128 v[2:5], v1 offset:1888
	v_fma_f64 v[179:180], v[8:9], v[167:168], v[183:184]
	v_fma_f64 v[167:168], v[6:7], v[167:168], -v[169:170]
	ds_load_b128 v[6:9], v1 offset:1872
	s_wait_loadcnt_dscnt 0x700
	v_mul_f64_e32 v[169:170], v[6:7], v[16:17]
	v_mul_f64_e32 v[16:17], v[8:9], v[16:17]
	v_add_f64_e32 v[40:41], v[40:41], v[179:180]
	v_add_f64_e32 v[38:39], v[38:39], v[167:168]
	s_wait_loadcnt 0x6
	v_mul_f64_e32 v[167:168], v[2:3], v[20:21]
	v_mul_f64_e32 v[20:21], v[4:5], v[20:21]
	v_fma_f64 v[169:170], v[8:9], v[14:15], v[169:170]
	v_fma_f64 v[14:15], v[6:7], v[14:15], -v[16:17]
	ds_load_b128 v[6:9], v1 offset:1904
	v_add_f64_e32 v[16:17], v[38:39], v[177:178]
	v_add_f64_e32 v[38:39], v[40:41], v[175:176]
	v_fma_f64 v[167:168], v[4:5], v[18:19], v[167:168]
	v_fma_f64 v[18:19], v[2:3], v[18:19], -v[20:21]
	ds_load_b128 v[2:5], v1 offset:1920
	s_wait_loadcnt_dscnt 0x501
	v_mul_f64_e32 v[40:41], v[6:7], v[24:25]
	v_mul_f64_e32 v[24:25], v[8:9], v[24:25]
	s_wait_loadcnt_dscnt 0x400
	v_mul_f64_e32 v[20:21], v[2:3], v[28:29]
	v_mul_f64_e32 v[28:29], v[4:5], v[28:29]
	v_add_f64_e32 v[14:15], v[16:17], v[14:15]
	v_add_f64_e32 v[16:17], v[38:39], v[169:170]
	v_fma_f64 v[38:39], v[8:9], v[22:23], v[40:41]
	v_fma_f64 v[22:23], v[6:7], v[22:23], -v[24:25]
	ds_load_b128 v[6:9], v1 offset:1936
	v_fma_f64 v[20:21], v[4:5], v[26:27], v[20:21]
	v_fma_f64 v[26:27], v[2:3], v[26:27], -v[28:29]
	ds_load_b128 v[2:5], v1 offset:1952
	s_wait_loadcnt_dscnt 0x301
	v_mul_f64_e32 v[24:25], v[8:9], v[32:33]
	v_add_f64_e32 v[14:15], v[14:15], v[18:19]
	v_add_f64_e32 v[16:17], v[16:17], v[167:168]
	v_mul_f64_e32 v[18:19], v[6:7], v[32:33]
	s_wait_loadcnt_dscnt 0x200
	v_mul_f64_e32 v[28:29], v[4:5], v[36:37]
	v_fma_f64 v[24:25], v[6:7], v[30:31], -v[24:25]
	v_add_f64_e32 v[14:15], v[14:15], v[22:23]
	v_add_f64_e32 v[16:17], v[16:17], v[38:39]
	v_mul_f64_e32 v[22:23], v[2:3], v[36:37]
	v_fma_f64 v[18:19], v[8:9], v[30:31], v[18:19]
	ds_load_b128 v[6:9], v1 offset:1968
	v_fma_f64 v[1:2], v[2:3], v[34:35], -v[28:29]
	v_add_f64_e32 v[14:15], v[14:15], v[26:27]
	v_add_f64_e32 v[16:17], v[16:17], v[20:21]
	s_wait_loadcnt_dscnt 0x100
	v_mul_f64_e32 v[20:21], v[6:7], v[173:174]
	v_mul_f64_e32 v[26:27], v[8:9], v[173:174]
	v_fma_f64 v[4:5], v[4:5], v[34:35], v[22:23]
	v_add_f64_e32 v[14:15], v[14:15], v[24:25]
	v_add_f64_e32 v[16:17], v[16:17], v[18:19]
	v_fma_f64 v[8:9], v[8:9], v[171:172], v[20:21]
	v_fma_f64 v[6:7], v[6:7], v[171:172], -v[26:27]
	s_delay_alu instid0(VALU_DEP_4) | instskip(NEXT) | instid1(VALU_DEP_4)
	v_add_f64_e32 v[1:2], v[14:15], v[1:2]
	v_add_f64_e32 v[3:4], v[16:17], v[4:5]
	s_delay_alu instid0(VALU_DEP_2) | instskip(NEXT) | instid1(VALU_DEP_2)
	v_add_f64_e32 v[1:2], v[1:2], v[6:7]
	v_add_f64_e32 v[3:4], v[3:4], v[8:9]
	s_wait_loadcnt 0x0
	s_delay_alu instid0(VALU_DEP_2) | instskip(NEXT) | instid1(VALU_DEP_2)
	v_add_f64_e64 v[1:2], v[10:11], -v[1:2]
	v_add_f64_e64 v[3:4], v[12:13], -v[3:4]
	scratch_store_b128 off, v[1:4], off offset:32
	v_cmpx_ne_u32_e32 0, v0
	s_cbranch_execz .LBB125_397
; %bb.396:
	scratch_load_b128 v[0:3], off, off offset:16
	v_mov_b32_e32 v4, 0
	s_delay_alu instid0(VALU_DEP_1)
	v_dual_mov_b32 v5, v4 :: v_dual_mov_b32 v6, v4
	v_mov_b32_e32 v7, v4
	scratch_store_b128 off, v[4:7], off offset:16
	s_wait_loadcnt 0x0
	ds_store_b128 v166, v[0:3]
.LBB125_397:
	s_wait_alu 0xfffe
	s_or_b32 exec_lo, exec_lo, s0
	s_wait_storecnt_dscnt 0x0
	s_barrier_signal -1
	s_barrier_wait -1
	global_inv scope:SCOPE_SE
	s_clause 0x7
	scratch_load_b128 v[0:3], off, off offset:32
	scratch_load_b128 v[4:7], off, off offset:48
	;; [unrolled: 1-line block ×8, first 2 shown]
	v_mov_b32_e32 v40, 0
	s_clause 0x1
	scratch_load_b128 v[32:35], off, off offset:160
	scratch_load_b128 v[170:173], off, off offset:176
	s_and_b32 vcc_lo, exec_lo, s14
	ds_load_b128 v[36:39], v40 offset:1008
	ds_load_b128 v[166:169], v40 offset:1024
	s_wait_loadcnt_dscnt 0x901
	v_mul_f64_e32 v[174:175], v[38:39], v[2:3]
	v_mul_f64_e32 v[2:3], v[36:37], v[2:3]
	s_wait_loadcnt_dscnt 0x800
	v_mul_f64_e32 v[176:177], v[166:167], v[6:7]
	v_mul_f64_e32 v[6:7], v[168:169], v[6:7]
	s_delay_alu instid0(VALU_DEP_4) | instskip(NEXT) | instid1(VALU_DEP_4)
	v_fma_f64 v[174:175], v[36:37], v[0:1], -v[174:175]
	v_fma_f64 v[178:179], v[38:39], v[0:1], v[2:3]
	ds_load_b128 v[0:3], v40 offset:1040
	scratch_load_b128 v[36:39], off, off offset:192
	v_fma_f64 v[176:177], v[168:169], v[4:5], v[176:177]
	v_fma_f64 v[182:183], v[166:167], v[4:5], -v[6:7]
	ds_load_b128 v[4:7], v40 offset:1056
	scratch_load_b128 v[166:169], off, off offset:208
	s_wait_loadcnt_dscnt 0x901
	v_mul_f64_e32 v[180:181], v[0:1], v[10:11]
	v_mul_f64_e32 v[10:11], v[2:3], v[10:11]
	s_wait_loadcnt_dscnt 0x800
	v_mul_f64_e32 v[184:185], v[4:5], v[14:15]
	v_mul_f64_e32 v[14:15], v[6:7], v[14:15]
	v_add_f64_e32 v[174:175], 0, v[174:175]
	v_add_f64_e32 v[178:179], 0, v[178:179]
	v_fma_f64 v[180:181], v[2:3], v[8:9], v[180:181]
	v_fma_f64 v[186:187], v[0:1], v[8:9], -v[10:11]
	ds_load_b128 v[0:3], v40 offset:1072
	scratch_load_b128 v[8:11], off, off offset:224
	v_add_f64_e32 v[174:175], v[174:175], v[182:183]
	v_add_f64_e32 v[176:177], v[178:179], v[176:177]
	v_fma_f64 v[182:183], v[6:7], v[12:13], v[184:185]
	v_fma_f64 v[184:185], v[4:5], v[12:13], -v[14:15]
	ds_load_b128 v[4:7], v40 offset:1088
	scratch_load_b128 v[12:15], off, off offset:240
	s_wait_loadcnt_dscnt 0x901
	v_mul_f64_e32 v[178:179], v[0:1], v[18:19]
	v_mul_f64_e32 v[18:19], v[2:3], v[18:19]
	v_add_f64_e32 v[174:175], v[174:175], v[186:187]
	v_add_f64_e32 v[176:177], v[176:177], v[180:181]
	s_wait_loadcnt_dscnt 0x800
	v_mul_f64_e32 v[180:181], v[4:5], v[22:23]
	v_mul_f64_e32 v[22:23], v[6:7], v[22:23]
	v_fma_f64 v[178:179], v[2:3], v[16:17], v[178:179]
	v_fma_f64 v[186:187], v[0:1], v[16:17], -v[18:19]
	ds_load_b128 v[0:3], v40 offset:1104
	scratch_load_b128 v[16:19], off, off offset:256
	v_add_f64_e32 v[174:175], v[174:175], v[184:185]
	v_add_f64_e32 v[176:177], v[176:177], v[182:183]
	v_fma_f64 v[180:181], v[6:7], v[20:21], v[180:181]
	v_fma_f64 v[184:185], v[4:5], v[20:21], -v[22:23]
	ds_load_b128 v[4:7], v40 offset:1120
	s_wait_loadcnt_dscnt 0x801
	v_mul_f64_e32 v[182:183], v[0:1], v[26:27]
	v_mul_f64_e32 v[26:27], v[2:3], v[26:27]
	scratch_load_b128 v[20:23], off, off offset:272
	v_add_f64_e32 v[174:175], v[174:175], v[186:187]
	v_add_f64_e32 v[176:177], v[176:177], v[178:179]
	s_wait_loadcnt_dscnt 0x800
	v_mul_f64_e32 v[178:179], v[4:5], v[30:31]
	v_mul_f64_e32 v[30:31], v[6:7], v[30:31]
	v_fma_f64 v[182:183], v[2:3], v[24:25], v[182:183]
	v_fma_f64 v[186:187], v[0:1], v[24:25], -v[26:27]
	ds_load_b128 v[0:3], v40 offset:1136
	scratch_load_b128 v[24:27], off, off offset:288
	v_add_f64_e32 v[174:175], v[174:175], v[184:185]
	v_add_f64_e32 v[176:177], v[176:177], v[180:181]
	v_fma_f64 v[178:179], v[6:7], v[28:29], v[178:179]
	v_fma_f64 v[184:185], v[4:5], v[28:29], -v[30:31]
	ds_load_b128 v[4:7], v40 offset:1152
	s_wait_loadcnt_dscnt 0x801
	v_mul_f64_e32 v[180:181], v[0:1], v[34:35]
	v_mul_f64_e32 v[34:35], v[2:3], v[34:35]
	scratch_load_b128 v[28:31], off, off offset:304
	v_add_f64_e32 v[174:175], v[174:175], v[186:187]
	v_add_f64_e32 v[176:177], v[176:177], v[182:183]
	s_wait_loadcnt_dscnt 0x800
	v_mul_f64_e32 v[182:183], v[4:5], v[172:173]
	v_mul_f64_e32 v[172:173], v[6:7], v[172:173]
	v_fma_f64 v[180:181], v[2:3], v[32:33], v[180:181]
	v_fma_f64 v[186:187], v[0:1], v[32:33], -v[34:35]
	ds_load_b128 v[0:3], v40 offset:1168
	scratch_load_b128 v[32:35], off, off offset:320
	v_add_f64_e32 v[174:175], v[174:175], v[184:185]
	v_add_f64_e32 v[176:177], v[176:177], v[178:179]
	v_fma_f64 v[182:183], v[6:7], v[170:171], v[182:183]
	v_fma_f64 v[184:185], v[4:5], v[170:171], -v[172:173]
	ds_load_b128 v[4:7], v40 offset:1184
	scratch_load_b128 v[170:173], off, off offset:336
	s_wait_loadcnt_dscnt 0x901
	v_mul_f64_e32 v[178:179], v[0:1], v[38:39]
	v_mul_f64_e32 v[38:39], v[2:3], v[38:39]
	v_add_f64_e32 v[174:175], v[174:175], v[186:187]
	v_add_f64_e32 v[176:177], v[176:177], v[180:181]
	s_wait_loadcnt_dscnt 0x800
	v_mul_f64_e32 v[180:181], v[4:5], v[168:169]
	v_mul_f64_e32 v[168:169], v[6:7], v[168:169]
	v_fma_f64 v[178:179], v[2:3], v[36:37], v[178:179]
	v_fma_f64 v[186:187], v[0:1], v[36:37], -v[38:39]
	ds_load_b128 v[0:3], v40 offset:1200
	scratch_load_b128 v[36:39], off, off offset:352
	v_add_f64_e32 v[174:175], v[174:175], v[184:185]
	v_add_f64_e32 v[176:177], v[176:177], v[182:183]
	v_fma_f64 v[180:181], v[6:7], v[166:167], v[180:181]
	v_fma_f64 v[184:185], v[4:5], v[166:167], -v[168:169]
	ds_load_b128 v[4:7], v40 offset:1216
	s_wait_loadcnt_dscnt 0x801
	v_mul_f64_e32 v[182:183], v[0:1], v[10:11]
	v_mul_f64_e32 v[10:11], v[2:3], v[10:11]
	scratch_load_b128 v[166:169], off, off offset:368
	v_add_f64_e32 v[174:175], v[174:175], v[186:187]
	v_add_f64_e32 v[176:177], v[176:177], v[178:179]
	s_wait_loadcnt_dscnt 0x800
	v_mul_f64_e32 v[178:179], v[4:5], v[14:15]
	v_mul_f64_e32 v[14:15], v[6:7], v[14:15]
	v_fma_f64 v[182:183], v[2:3], v[8:9], v[182:183]
	v_fma_f64 v[186:187], v[0:1], v[8:9], -v[10:11]
	ds_load_b128 v[0:3], v40 offset:1232
	scratch_load_b128 v[8:11], off, off offset:384
	v_add_f64_e32 v[174:175], v[174:175], v[184:185]
	v_add_f64_e32 v[176:177], v[176:177], v[180:181]
	v_fma_f64 v[178:179], v[6:7], v[12:13], v[178:179]
	v_fma_f64 v[184:185], v[4:5], v[12:13], -v[14:15]
	ds_load_b128 v[4:7], v40 offset:1248
	s_wait_loadcnt_dscnt 0x801
	v_mul_f64_e32 v[180:181], v[0:1], v[18:19]
	v_mul_f64_e32 v[18:19], v[2:3], v[18:19]
	scratch_load_b128 v[12:15], off, off offset:400
	;; [unrolled: 18-line block ×20, first 2 shown]
	v_add_f64_e32 v[174:175], v[174:175], v[186:187]
	v_add_f64_e32 v[176:177], v[176:177], v[182:183]
	s_wait_loadcnt_dscnt 0x800
	v_mul_f64_e32 v[182:183], v[4:5], v[168:169]
	v_mul_f64_e32 v[168:169], v[6:7], v[168:169]
	v_fma_f64 v[180:181], v[2:3], v[36:37], v[180:181]
	v_fma_f64 v[186:187], v[0:1], v[36:37], -v[38:39]
	ds_load_b128 v[0:3], v40 offset:1840
	scratch_load_b128 v[36:39], off, off offset:992
	v_add_f64_e32 v[174:175], v[174:175], v[184:185]
	v_add_f64_e32 v[176:177], v[176:177], v[178:179]
	v_fma_f64 v[182:183], v[6:7], v[166:167], v[182:183]
	v_fma_f64 v[166:167], v[4:5], v[166:167], -v[168:169]
	ds_load_b128 v[4:7], v40 offset:1856
	s_wait_loadcnt_dscnt 0x801
	v_mul_f64_e32 v[178:179], v[0:1], v[10:11]
	v_mul_f64_e32 v[10:11], v[2:3], v[10:11]
	v_add_f64_e32 v[168:169], v[174:175], v[186:187]
	v_add_f64_e32 v[174:175], v[176:177], v[180:181]
	s_wait_loadcnt_dscnt 0x700
	v_mul_f64_e32 v[176:177], v[4:5], v[14:15]
	v_mul_f64_e32 v[14:15], v[6:7], v[14:15]
	v_fma_f64 v[178:179], v[2:3], v[8:9], v[178:179]
	v_fma_f64 v[8:9], v[0:1], v[8:9], -v[10:11]
	ds_load_b128 v[0:3], v40 offset:1872
	v_add_f64_e32 v[10:11], v[168:169], v[166:167]
	v_add_f64_e32 v[166:167], v[174:175], v[182:183]
	v_fma_f64 v[174:175], v[6:7], v[12:13], v[176:177]
	v_fma_f64 v[12:13], v[4:5], v[12:13], -v[14:15]
	ds_load_b128 v[4:7], v40 offset:1888
	s_wait_loadcnt_dscnt 0x500
	v_mul_f64_e32 v[176:177], v[4:5], v[22:23]
	v_mul_f64_e32 v[22:23], v[6:7], v[22:23]
	v_add_f64_e32 v[14:15], v[10:11], v[8:9]
	v_add_f64_e32 v[166:167], v[166:167], v[178:179]
	scratch_load_b128 v[8:11], off, off offset:16
	v_mul_f64_e32 v[168:169], v[0:1], v[18:19]
	v_mul_f64_e32 v[18:19], v[2:3], v[18:19]
	v_add_f64_e32 v[12:13], v[14:15], v[12:13]
	v_add_f64_e32 v[14:15], v[166:167], v[174:175]
	v_fma_f64 v[166:167], v[6:7], v[20:21], v[176:177]
	v_fma_f64 v[168:169], v[2:3], v[16:17], v[168:169]
	v_fma_f64 v[16:17], v[0:1], v[16:17], -v[18:19]
	ds_load_b128 v[0:3], v40 offset:1904
	v_fma_f64 v[20:21], v[4:5], v[20:21], -v[22:23]
	ds_load_b128 v[4:7], v40 offset:1920
	s_wait_loadcnt_dscnt 0x501
	v_mul_f64_e32 v[18:19], v[0:1], v[26:27]
	v_mul_f64_e32 v[26:27], v[2:3], v[26:27]
	s_wait_loadcnt_dscnt 0x400
	v_mul_f64_e32 v[22:23], v[6:7], v[30:31]
	v_add_f64_e32 v[14:15], v[14:15], v[168:169]
	v_add_f64_e32 v[12:13], v[12:13], v[16:17]
	v_mul_f64_e32 v[16:17], v[4:5], v[30:31]
	v_fma_f64 v[18:19], v[2:3], v[24:25], v[18:19]
	v_fma_f64 v[24:25], v[0:1], v[24:25], -v[26:27]
	ds_load_b128 v[0:3], v40 offset:1936
	v_fma_f64 v[22:23], v[4:5], v[28:29], -v[22:23]
	v_add_f64_e32 v[14:15], v[14:15], v[166:167]
	v_add_f64_e32 v[12:13], v[12:13], v[20:21]
	v_fma_f64 v[16:17], v[6:7], v[28:29], v[16:17]
	ds_load_b128 v[4:7], v40 offset:1952
	s_wait_loadcnt_dscnt 0x301
	v_mul_f64_e32 v[20:21], v[0:1], v[34:35]
	v_mul_f64_e32 v[26:27], v[2:3], v[34:35]
	v_add_f64_e32 v[14:15], v[14:15], v[18:19]
	v_add_f64_e32 v[12:13], v[12:13], v[24:25]
	s_wait_loadcnt_dscnt 0x200
	v_mul_f64_e32 v[18:19], v[4:5], v[172:173]
	v_mul_f64_e32 v[24:25], v[6:7], v[172:173]
	v_fma_f64 v[20:21], v[2:3], v[32:33], v[20:21]
	v_fma_f64 v[26:27], v[0:1], v[32:33], -v[26:27]
	ds_load_b128 v[0:3], v40 offset:1968
	v_add_f64_e32 v[14:15], v[14:15], v[16:17]
	v_add_f64_e32 v[12:13], v[12:13], v[22:23]
	s_wait_loadcnt_dscnt 0x100
	v_mul_f64_e32 v[16:17], v[0:1], v[38:39]
	v_mul_f64_e32 v[22:23], v[2:3], v[38:39]
	v_fma_f64 v[6:7], v[6:7], v[170:171], v[18:19]
	v_fma_f64 v[4:5], v[4:5], v[170:171], -v[24:25]
	v_add_f64_e32 v[14:15], v[14:15], v[20:21]
	v_add_f64_e32 v[12:13], v[12:13], v[26:27]
	v_fma_f64 v[2:3], v[2:3], v[36:37], v[16:17]
	v_fma_f64 v[0:1], v[0:1], v[36:37], -v[22:23]
	s_delay_alu instid0(VALU_DEP_4) | instskip(NEXT) | instid1(VALU_DEP_4)
	v_add_f64_e32 v[6:7], v[14:15], v[6:7]
	v_add_f64_e32 v[4:5], v[12:13], v[4:5]
	s_delay_alu instid0(VALU_DEP_2) | instskip(NEXT) | instid1(VALU_DEP_2)
	v_add_f64_e32 v[2:3], v[6:7], v[2:3]
	v_add_f64_e32 v[0:1], v[4:5], v[0:1]
	s_wait_loadcnt 0x0
	s_delay_alu instid0(VALU_DEP_2) | instskip(NEXT) | instid1(VALU_DEP_2)
	v_add_f64_e64 v[2:3], v[10:11], -v[2:3]
	v_add_f64_e64 v[0:1], v[8:9], -v[0:1]
	scratch_store_b128 off, v[0:3], off offset:16
	s_wait_alu 0xfffe
	s_cbranch_vccz .LBB125_520
; %bb.398:
	global_load_b32 v0, v40, s[8:9] offset:240
	s_wait_loadcnt 0x0
	v_cmp_ne_u32_e32 vcc_lo, 61, v0
	s_cbranch_vccz .LBB125_400
; %bb.399:
	v_lshlrev_b32_e32 v0, 4, v0
	s_delay_alu instid0(VALU_DEP_1)
	v_add_nc_u32_e32 v8, 16, v0
	s_clause 0x1
	scratch_load_b128 v[0:3], v8, off offset:-16
	scratch_load_b128 v[4:7], off, s13
	s_wait_loadcnt 0x1
	scratch_store_b128 off, v[0:3], s13
	s_wait_loadcnt 0x0
	scratch_store_b128 v8, v[4:7], off offset:-16
.LBB125_400:
	v_mov_b32_e32 v0, 0
	global_load_b32 v1, v0, s[8:9] offset:236
	s_wait_loadcnt 0x0
	v_cmp_eq_u32_e32 vcc_lo, 60, v1
	s_cbranch_vccnz .LBB125_402
; %bb.401:
	v_lshlrev_b32_e32 v1, 4, v1
	s_delay_alu instid0(VALU_DEP_1)
	v_add_nc_u32_e32 v9, 16, v1
	s_clause 0x1
	scratch_load_b128 v[1:4], v9, off offset:-16
	scratch_load_b128 v[5:8], off, s16
	s_wait_loadcnt 0x1
	scratch_store_b128 off, v[1:4], s16
	s_wait_loadcnt 0x0
	scratch_store_b128 v9, v[5:8], off offset:-16
.LBB125_402:
	global_load_b32 v0, v0, s[8:9] offset:232
	s_wait_loadcnt 0x0
	v_cmp_eq_u32_e32 vcc_lo, 59, v0
	s_cbranch_vccnz .LBB125_404
; %bb.403:
	v_lshlrev_b32_e32 v0, 4, v0
	s_delay_alu instid0(VALU_DEP_1)
	v_add_nc_u32_e32 v8, 16, v0
	s_clause 0x1
	scratch_load_b128 v[0:3], v8, off offset:-16
	scratch_load_b128 v[4:7], off, s18
	s_wait_loadcnt 0x1
	scratch_store_b128 off, v[0:3], s18
	s_wait_loadcnt 0x0
	scratch_store_b128 v8, v[4:7], off offset:-16
.LBB125_404:
	v_mov_b32_e32 v0, 0
	global_load_b32 v1, v0, s[8:9] offset:228
	s_wait_loadcnt 0x0
	v_cmp_eq_u32_e32 vcc_lo, 58, v1
	s_cbranch_vccnz .LBB125_406
; %bb.405:
	v_lshlrev_b32_e32 v1, 4, v1
	s_delay_alu instid0(VALU_DEP_1)
	v_add_nc_u32_e32 v9, 16, v1
	s_clause 0x1
	scratch_load_b128 v[1:4], v9, off offset:-16
	scratch_load_b128 v[5:8], off, s19
	s_wait_loadcnt 0x1
	scratch_store_b128 off, v[1:4], s19
	s_wait_loadcnt 0x0
	scratch_store_b128 v9, v[5:8], off offset:-16
.LBB125_406:
	global_load_b32 v0, v0, s[8:9] offset:224
	s_wait_loadcnt 0x0
	v_cmp_eq_u32_e32 vcc_lo, 57, v0
	s_cbranch_vccnz .LBB125_408
; %bb.407:
	v_lshlrev_b32_e32 v0, 4, v0
	s_delay_alu instid0(VALU_DEP_1)
	v_add_nc_u32_e32 v8, 16, v0
	s_clause 0x1
	scratch_load_b128 v[0:3], v8, off offset:-16
	scratch_load_b128 v[4:7], off, s20
	s_wait_loadcnt 0x1
	scratch_store_b128 off, v[0:3], s20
	s_wait_loadcnt 0x0
	scratch_store_b128 v8, v[4:7], off offset:-16
.LBB125_408:
	;; [unrolled: 33-line block ×29, first 2 shown]
	v_mov_b32_e32 v0, 0
	global_load_b32 v1, v0, s[8:9] offset:4
	s_wait_loadcnt 0x0
	v_cmp_eq_u32_e32 vcc_lo, 2, v1
	s_cbranch_vccnz .LBB125_518
; %bb.517:
	v_lshlrev_b32_e32 v1, 4, v1
	s_delay_alu instid0(VALU_DEP_1)
	v_add_nc_u32_e32 v9, 16, v1
	s_clause 0x1
	scratch_load_b128 v[1:4], v9, off offset:-16
	scratch_load_b128 v[5:8], off, s17
	s_wait_loadcnt 0x1
	scratch_store_b128 off, v[1:4], s17
	s_wait_loadcnt 0x0
	scratch_store_b128 v9, v[5:8], off offset:-16
.LBB125_518:
	global_load_b32 v0, v0, s[8:9]
	s_wait_loadcnt 0x0
	v_cmp_eq_u32_e32 vcc_lo, 1, v0
	s_cbranch_vccnz .LBB125_520
; %bb.519:
	v_lshlrev_b32_e32 v0, 4, v0
	s_delay_alu instid0(VALU_DEP_1)
	v_add_nc_u32_e32 v8, 16, v0
	scratch_load_b128 v[0:3], v8, off offset:-16
	scratch_load_b128 v[4:7], off, off offset:16
	s_wait_loadcnt 0x1
	scratch_store_b128 off, v[0:3], off offset:16
	s_wait_loadcnt 0x0
	scratch_store_b128 v8, v[4:7], off offset:-16
.LBB125_520:
	scratch_load_b128 v[0:3], off, off offset:16
	s_wait_loadcnt 0x0
	flat_store_b128 v[42:43], v[0:3]
	scratch_load_b128 v[0:3], off, s17
	s_wait_loadcnt 0x0
	flat_store_b128 v[44:45], v[0:3]
	scratch_load_b128 v[0:3], off, s15
	;; [unrolled: 3-line block ×61, first 2 shown]
	s_wait_loadcnt 0x0
	flat_store_b128 v[164:165], v[0:3]
	s_nop 0
	s_sendmsg sendmsg(MSG_DEALLOC_VGPRS)
	s_endpgm
	.section	.rodata,"a",@progbits
	.p2align	6, 0x0
	.amdhsa_kernel _ZN9rocsolver6v33100L18getri_kernel_smallILi62E19rocblas_complex_numIdEPKPS3_EEvT1_iilPiilS8_bb
		.amdhsa_group_segment_fixed_size 1992
		.amdhsa_private_segment_fixed_size 1024
		.amdhsa_kernarg_size 60
		.amdhsa_user_sgpr_count 2
		.amdhsa_user_sgpr_dispatch_ptr 0
		.amdhsa_user_sgpr_queue_ptr 0
		.amdhsa_user_sgpr_kernarg_segment_ptr 1
		.amdhsa_user_sgpr_dispatch_id 0
		.amdhsa_user_sgpr_private_segment_size 0
		.amdhsa_wavefront_size32 1
		.amdhsa_uses_dynamic_stack 0
		.amdhsa_enable_private_segment 1
		.amdhsa_system_sgpr_workgroup_id_x 1
		.amdhsa_system_sgpr_workgroup_id_y 0
		.amdhsa_system_sgpr_workgroup_id_z 0
		.amdhsa_system_sgpr_workgroup_info 0
		.amdhsa_system_vgpr_workitem_id 0
		.amdhsa_next_free_vgpr 189
		.amdhsa_next_free_sgpr 100
		.amdhsa_reserve_vcc 1
		.amdhsa_float_round_mode_32 0
		.amdhsa_float_round_mode_16_64 0
		.amdhsa_float_denorm_mode_32 3
		.amdhsa_float_denorm_mode_16_64 3
		.amdhsa_fp16_overflow 0
		.amdhsa_workgroup_processor_mode 1
		.amdhsa_memory_ordered 1
		.amdhsa_forward_progress 1
		.amdhsa_inst_pref_size 255
		.amdhsa_round_robin_scheduling 0
		.amdhsa_exception_fp_ieee_invalid_op 0
		.amdhsa_exception_fp_denorm_src 0
		.amdhsa_exception_fp_ieee_div_zero 0
		.amdhsa_exception_fp_ieee_overflow 0
		.amdhsa_exception_fp_ieee_underflow 0
		.amdhsa_exception_fp_ieee_inexact 0
		.amdhsa_exception_int_div_zero 0
	.end_amdhsa_kernel
	.section	.text._ZN9rocsolver6v33100L18getri_kernel_smallILi62E19rocblas_complex_numIdEPKPS3_EEvT1_iilPiilS8_bb,"axG",@progbits,_ZN9rocsolver6v33100L18getri_kernel_smallILi62E19rocblas_complex_numIdEPKPS3_EEvT1_iilPiilS8_bb,comdat
.Lfunc_end125:
	.size	_ZN9rocsolver6v33100L18getri_kernel_smallILi62E19rocblas_complex_numIdEPKPS3_EEvT1_iilPiilS8_bb, .Lfunc_end125-_ZN9rocsolver6v33100L18getri_kernel_smallILi62E19rocblas_complex_numIdEPKPS3_EEvT1_iilPiilS8_bb
                                        ; -- End function
	.set _ZN9rocsolver6v33100L18getri_kernel_smallILi62E19rocblas_complex_numIdEPKPS3_EEvT1_iilPiilS8_bb.num_vgpr, 189
	.set _ZN9rocsolver6v33100L18getri_kernel_smallILi62E19rocblas_complex_numIdEPKPS3_EEvT1_iilPiilS8_bb.num_agpr, 0
	.set _ZN9rocsolver6v33100L18getri_kernel_smallILi62E19rocblas_complex_numIdEPKPS3_EEvT1_iilPiilS8_bb.numbered_sgpr, 100
	.set _ZN9rocsolver6v33100L18getri_kernel_smallILi62E19rocblas_complex_numIdEPKPS3_EEvT1_iilPiilS8_bb.num_named_barrier, 0
	.set _ZN9rocsolver6v33100L18getri_kernel_smallILi62E19rocblas_complex_numIdEPKPS3_EEvT1_iilPiilS8_bb.private_seg_size, 1024
	.set _ZN9rocsolver6v33100L18getri_kernel_smallILi62E19rocblas_complex_numIdEPKPS3_EEvT1_iilPiilS8_bb.uses_vcc, 1
	.set _ZN9rocsolver6v33100L18getri_kernel_smallILi62E19rocblas_complex_numIdEPKPS3_EEvT1_iilPiilS8_bb.uses_flat_scratch, 1
	.set _ZN9rocsolver6v33100L18getri_kernel_smallILi62E19rocblas_complex_numIdEPKPS3_EEvT1_iilPiilS8_bb.has_dyn_sized_stack, 0
	.set _ZN9rocsolver6v33100L18getri_kernel_smallILi62E19rocblas_complex_numIdEPKPS3_EEvT1_iilPiilS8_bb.has_recursion, 0
	.set _ZN9rocsolver6v33100L18getri_kernel_smallILi62E19rocblas_complex_numIdEPKPS3_EEvT1_iilPiilS8_bb.has_indirect_call, 0
	.section	.AMDGPU.csdata,"",@progbits
; Kernel info:
; codeLenInByte = 148164
; TotalNumSgprs: 102
; NumVgprs: 189
; ScratchSize: 1024
; MemoryBound: 0
; FloatMode: 240
; IeeeMode: 1
; LDSByteSize: 1992 bytes/workgroup (compile time only)
; SGPRBlocks: 0
; VGPRBlocks: 23
; NumSGPRsForWavesPerEU: 102
; NumVGPRsForWavesPerEU: 189
; Occupancy: 8
; WaveLimiterHint : 1
; COMPUTE_PGM_RSRC2:SCRATCH_EN: 1
; COMPUTE_PGM_RSRC2:USER_SGPR: 2
; COMPUTE_PGM_RSRC2:TRAP_HANDLER: 0
; COMPUTE_PGM_RSRC2:TGID_X_EN: 1
; COMPUTE_PGM_RSRC2:TGID_Y_EN: 0
; COMPUTE_PGM_RSRC2:TGID_Z_EN: 0
; COMPUTE_PGM_RSRC2:TIDIG_COMP_CNT: 0
	.section	.text._ZN9rocsolver6v33100L18getri_kernel_smallILi63E19rocblas_complex_numIdEPKPS3_EEvT1_iilPiilS8_bb,"axG",@progbits,_ZN9rocsolver6v33100L18getri_kernel_smallILi63E19rocblas_complex_numIdEPKPS3_EEvT1_iilPiilS8_bb,comdat
	.globl	_ZN9rocsolver6v33100L18getri_kernel_smallILi63E19rocblas_complex_numIdEPKPS3_EEvT1_iilPiilS8_bb ; -- Begin function _ZN9rocsolver6v33100L18getri_kernel_smallILi63E19rocblas_complex_numIdEPKPS3_EEvT1_iilPiilS8_bb
	.p2align	8
	.type	_ZN9rocsolver6v33100L18getri_kernel_smallILi63E19rocblas_complex_numIdEPKPS3_EEvT1_iilPiilS8_bb,@function
_ZN9rocsolver6v33100L18getri_kernel_smallILi63E19rocblas_complex_numIdEPKPS3_EEvT1_iilPiilS8_bb: ; @_ZN9rocsolver6v33100L18getri_kernel_smallILi63E19rocblas_complex_numIdEPKPS3_EEvT1_iilPiilS8_bb
; %bb.0:
	s_mov_b32 s2, exec_lo
	v_cmpx_gt_u32_e32 63, v0
	s_cbranch_execz .LBB126_278
; %bb.1:
	s_clause 0x1
	s_load_b32 s15, s[0:1], 0x38
	s_load_b64 s[2:3], s[0:1], 0x0
	s_mov_b32 s10, ttmp9
	s_load_b128 s[4:7], s[0:1], 0x28
	s_wait_kmcnt 0x0
	s_bitcmp1_b32 s15, 8
	s_cselect_b32 s14, -1, 0
	s_ashr_i32 s11, ttmp9, 31
	s_delay_alu instid0(SALU_CYCLE_1) | instskip(NEXT) | instid1(SALU_CYCLE_1)
	s_lshl_b64 s[8:9], s[10:11], 3
	s_add_nc_u64 s[2:3], s[2:3], s[8:9]
                                        ; implicit-def: $sgpr8_sgpr9
	s_load_b64 s[12:13], s[2:3], 0x0
	s_bfe_u32 s2, s15, 0x10008
	s_delay_alu instid0(SALU_CYCLE_1)
	s_cmp_eq_u32 s2, 0
	s_cbranch_scc1 .LBB126_3
; %bb.2:
	s_load_b96 s[16:18], s[0:1], 0x18
	s_mul_u64 s[2:3], s[4:5], s[10:11]
	s_delay_alu instid0(SALU_CYCLE_1)
	s_lshl_b64 s[2:3], s[2:3], 2
	s_wait_kmcnt 0x0
	s_ashr_i32 s5, s18, 31
	s_mov_b32 s4, s18
	s_add_nc_u64 s[2:3], s[16:17], s[2:3]
	s_lshl_b64 s[4:5], s[4:5], 2
	s_delay_alu instid0(SALU_CYCLE_1)
	s_add_nc_u64 s[8:9], s[2:3], s[4:5]
.LBB126_3:
	s_clause 0x1
	s_load_b64 s[2:3], s[0:1], 0x8
	s_load_b32 s74, s[0:1], 0x38
	v_lshlrev_b32_e32 v13, 4, v0
	s_movk_i32 s16, 0xb0
	s_movk_i32 s18, 0xc0
	;; [unrolled: 1-line block ×17, first 2 shown]
	s_wait_kmcnt 0x0
	s_ashr_i32 s1, s2, 31
	s_mov_b32 s0, s2
	s_ashr_i32 s5, s3, 31
	s_lshl_b64 s[0:1], s[0:1], 4
	s_mov_b32 s4, s3
	s_add_nc_u64 s[0:1], s[12:13], s[0:1]
	s_lshl_b64 s[4:5], s[4:5], 4
	v_add_co_u32 v42, s2, s0, v13
	s_delay_alu instid0(VALU_DEP_1) | instskip(SKIP_1) | instid1(VALU_DEP_3)
	v_add_co_ci_u32_e64 v43, null, s1, 0, s2
	v_add3_u32 v5, s3, s3, v0
	v_add_co_u32 v44, vcc_lo, v42, s4
	flat_load_b128 v[1:4], v[42:43]
	v_add_co_ci_u32_e64 v45, null, s5, v43, vcc_lo
	v_ashrrev_i32_e32 v6, 31, v5
	s_movk_i32 s2, 0x70
	s_movk_i32 s5, 0x90
	s_movk_i32 s13, 0xa0
	s_movk_i32 s35, 0x1c0
	v_lshlrev_b64_e32 v[6:7], 4, v[5:6]
	v_add_nc_u32_e32 v5, s3, v5
	s_movk_i32 s36, 0x1d0
	s_movk_i32 s37, 0x1e0
	s_movk_i32 s38, 0x1f0
	s_movk_i32 s39, 0x200
	v_add_co_u32 v46, vcc_lo, s0, v6
	s_wait_alu 0xfffd
	v_add_co_ci_u32_e64 v47, null, s1, v7, vcc_lo
	v_ashrrev_i32_e32 v6, 31, v5
	s_movk_i32 s40, 0x210
	s_movk_i32 s41, 0x220
	s_movk_i32 s42, 0x230
	s_movk_i32 s75, 0x240
	v_lshlrev_b64_e32 v[6:7], 4, v[5:6]
	v_add_nc_u32_e32 v5, s3, v5
	s_movk_i32 s76, 0x250
	s_movk_i32 s77, 0x260
	s_movk_i32 s78, 0x270
	s_movk_i32 s79, 0x280
	v_add_co_u32 v48, vcc_lo, s0, v6
	s_wait_alu 0xfffd
	;; [unrolled: 14-line block ×4, first 2 shown]
	v_add_co_ci_u32_e64 v53, null, s1, v7, vcc_lo
	v_ashrrev_i32_e32 v6, 31, v5
	s_movk_i32 s96, 0x390
	s_movk_i32 s97, 0x3a0
	;; [unrolled: 1-line block ×4, first 2 shown]
	v_lshlrev_b64_e32 v[6:7], 4, v[5:6]
	v_add_nc_u32_e32 v5, s3, v5
	s_movk_i32 s100, 0x3d0
	s_movk_i32 s101, 0x3e0
	s_wait_alu 0xfffe
	s_add_co_i32 s71, s2, 16
	s_add_co_i32 s69, s5, 16
	v_add_co_u32 v54, vcc_lo, s0, v6
	s_wait_alu 0xfffd
	v_add_co_ci_u32_e64 v55, null, s1, v7, vcc_lo
	v_ashrrev_i32_e32 v6, 31, v5
	s_add_co_i32 s68, s13, 16
	s_add_co_i32 s67, s16, 16
	s_add_co_i32 s66, s18, 16
	s_add_co_i32 s65, s19, 16
	v_lshlrev_b64_e32 v[6:7], 4, v[5:6]
	v_add_nc_u32_e32 v5, s3, v5
	s_add_co_i32 s64, s20, 16
	s_add_co_i32 s63, s21, 16
	s_add_co_i32 s62, s22, 16
	s_add_co_i32 s61, s23, 16
	v_add_co_u32 v56, vcc_lo, s0, v6
	s_wait_alu 0xfffd
	v_add_co_ci_u32_e64 v57, null, s1, v7, vcc_lo
	v_ashrrev_i32_e32 v6, 31, v5
	s_add_co_i32 s60, s24, 16
	s_add_co_i32 s59, s25, 16
	s_add_co_i32 s58, s26, 16
	s_add_co_i32 s57, s27, 16
	v_lshlrev_b64_e32 v[6:7], 4, v[5:6]
	v_add_nc_u32_e32 v5, s3, v5
	s_add_co_i32 s56, s28, 16
	s_add_co_i32 s55, s29, 16
	;; [unrolled: 14-line block ×6, first 2 shown]
	s_add_co_i32 s21, s95, 16
	s_add_co_i32 s20, s96, 16
	v_add_co_u32 v66, vcc_lo, s0, v6
	s_wait_alu 0xfffd
	v_add_co_ci_u32_e64 v67, null, s1, v7, vcc_lo
	v_ashrrev_i32_e32 v6, 31, v5
	s_add_co_i32 s19, s97, 16
	s_add_co_i32 s18, s98, 16
	;; [unrolled: 1-line block ×4, first 2 shown]
	v_lshlrev_b64_e32 v[6:7], 4, v[5:6]
	v_add_nc_u32_e32 v5, s3, v5
	s_add_co_i32 s5, s101, 16
	s_mov_b32 s17, 32
	s_mov_b32 s15, 48
	;; [unrolled: 1-line block ×3, first 2 shown]
	v_add_co_u32 v68, vcc_lo, s0, v6
	s_wait_alu 0xfffd
	v_add_co_ci_u32_e64 v69, null, s1, v7, vcc_lo
	v_ashrrev_i32_e32 v6, 31, v5
	s_movk_i32 s4, 0x50
	s_delay_alu instid0(VALU_DEP_1) | instskip(SKIP_1) | instid1(VALU_DEP_2)
	v_lshlrev_b64_e32 v[6:7], 4, v[5:6]
	v_add_nc_u32_e32 v5, s3, v5
	v_add_co_u32 v70, vcc_lo, s0, v6
	s_wait_alu 0xfffd
	s_delay_alu instid0(VALU_DEP_3) | instskip(NEXT) | instid1(VALU_DEP_3)
	v_add_co_ci_u32_e64 v71, null, s1, v7, vcc_lo
	v_ashrrev_i32_e32 v6, 31, v5
	s_delay_alu instid0(VALU_DEP_1) | instskip(SKIP_1) | instid1(VALU_DEP_2)
	v_lshlrev_b64_e32 v[6:7], 4, v[5:6]
	v_add_nc_u32_e32 v5, s3, v5
	v_add_co_u32 v72, vcc_lo, s0, v6
	s_wait_alu 0xfffd
	s_delay_alu instid0(VALU_DEP_3) | instskip(NEXT) | instid1(VALU_DEP_3)
	v_add_co_ci_u32_e64 v73, null, s1, v7, vcc_lo
	v_ashrrev_i32_e32 v6, 31, v5
	;; [unrolled: 8-line block ×9, first 2 shown]
	s_wait_loadcnt_dscnt 0x0
	scratch_store_b128 off, v[1:4], off offset:16
	flat_load_b128 v[1:4], v[44:45]
	v_lshlrev_b64_e32 v[6:7], 4, v[5:6]
	v_add_nc_u32_e32 v5, s3, v5
	s_delay_alu instid0(VALU_DEP_2) | instskip(SKIP_1) | instid1(VALU_DEP_3)
	v_add_co_u32 v88, vcc_lo, s0, v6
	s_wait_alu 0xfffd
	v_add_co_ci_u32_e64 v89, null, s1, v7, vcc_lo
	s_delay_alu instid0(VALU_DEP_3) | instskip(NEXT) | instid1(VALU_DEP_1)
	v_ashrrev_i32_e32 v6, 31, v5
	v_lshlrev_b64_e32 v[6:7], 4, v[5:6]
	v_add_nc_u32_e32 v5, s3, v5
	s_delay_alu instid0(VALU_DEP_2) | instskip(SKIP_1) | instid1(VALU_DEP_3)
	v_add_co_u32 v90, vcc_lo, s0, v6
	s_wait_alu 0xfffd
	v_add_co_ci_u32_e64 v91, null, s1, v7, vcc_lo
	s_delay_alu instid0(VALU_DEP_3) | instskip(NEXT) | instid1(VALU_DEP_1)
	v_ashrrev_i32_e32 v6, 31, v5
	;; [unrolled: 8-line block ×21, first 2 shown]
	v_lshlrev_b64_e32 v[6:7], 4, v[5:6]
	v_add_nc_u32_e32 v5, s3, v5
	s_wait_loadcnt_dscnt 0x0
	scratch_store_b128 off, v[1:4], off offset:32
	flat_load_b128 v[1:4], v[46:47]
	v_add_co_u32 v130, vcc_lo, s0, v6
	s_wait_alu 0xfffd
	v_add_co_ci_u32_e64 v131, null, s1, v7, vcc_lo
	v_ashrrev_i32_e32 v6, 31, v5
	s_delay_alu instid0(VALU_DEP_1) | instskip(SKIP_1) | instid1(VALU_DEP_2)
	v_lshlrev_b64_e32 v[6:7], 4, v[5:6]
	v_add_nc_u32_e32 v5, s3, v5
	v_add_co_u32 v132, vcc_lo, s0, v6
	s_wait_alu 0xfffd
	s_delay_alu instid0(VALU_DEP_3) | instskip(NEXT) | instid1(VALU_DEP_3)
	v_add_co_ci_u32_e64 v133, null, s1, v7, vcc_lo
	v_ashrrev_i32_e32 v6, 31, v5
	s_delay_alu instid0(VALU_DEP_1) | instskip(SKIP_1) | instid1(VALU_DEP_2)
	v_lshlrev_b64_e32 v[6:7], 4, v[5:6]
	v_add_nc_u32_e32 v5, s3, v5
	v_add_co_u32 v134, vcc_lo, s0, v6
	s_wait_alu 0xfffd
	s_delay_alu instid0(VALU_DEP_3) | instskip(NEXT) | instid1(VALU_DEP_3)
	;; [unrolled: 8-line block ×16, first 2 shown]
	v_add_co_ci_u32_e64 v163, null, s1, v7, vcc_lo
	v_ashrrev_i32_e32 v6, 31, v5
	s_delay_alu instid0(VALU_DEP_1) | instskip(SKIP_4) | instid1(VALU_DEP_2)
	v_lshlrev_b64_e32 v[6:7], 4, v[5:6]
	v_add_nc_u32_e32 v5, s3, v5
	s_movk_i32 s3, 0x80
	s_wait_alu 0xfffe
	s_add_co_i32 s70, s3, 16
	v_add_co_u32 v164, vcc_lo, s0, v6
	s_wait_alu 0xfffd
	v_add_co_ci_u32_e64 v165, null, s1, v7, vcc_lo
	v_ashrrev_i32_e32 v6, 31, v5
	s_delay_alu instid0(VALU_DEP_1) | instskip(NEXT) | instid1(VALU_DEP_1)
	v_lshlrev_b64_e32 v[5:6], 4, v[5:6]
	v_add_co_u32 v166, vcc_lo, s0, v5
	s_wait_alu 0xfffd
	s_delay_alu instid0(VALU_DEP_2)
	v_add_co_ci_u32_e64 v167, null, s1, v6, vcc_lo
	s_movk_i32 s0, 0x50
	s_movk_i32 s1, 0x60
	s_wait_alu 0xfffe
	s_add_co_i32 s73, s0, 16
	s_add_co_i32 s72, s1, 16
	s_bitcmp0_b32 s74, 0
	s_mov_b32 s1, -1
	s_wait_loadcnt_dscnt 0x0
	scratch_store_b128 off, v[1:4], off offset:48
	flat_load_b128 v[1:4], v[48:49]
	s_wait_loadcnt_dscnt 0x0
	scratch_store_b128 off, v[1:4], off offset:64
	flat_load_b128 v[1:4], v[50:51]
	;; [unrolled: 3-line block ×60, first 2 shown]
	s_wait_loadcnt_dscnt 0x0
	scratch_store_b128 off, v[1:4], off offset:1008
	s_cbranch_scc1 .LBB126_276
; %bb.4:
	v_cmp_eq_u32_e64 s0, 0, v0
	s_and_saveexec_b32 s1, s0
; %bb.5:
	v_mov_b32_e32 v1, 0
	ds_store_b32 v1, v1 offset:2016
; %bb.6:
	s_wait_alu 0xfffe
	s_or_b32 exec_lo, exec_lo, s1
	s_wait_storecnt_dscnt 0x0
	s_barrier_signal -1
	s_barrier_wait -1
	global_inv scope:SCOPE_SE
	scratch_load_b128 v[1:4], v13, off offset:16
	s_wait_loadcnt 0x0
	v_cmp_eq_f64_e32 vcc_lo, 0, v[1:2]
	v_cmp_eq_f64_e64 s1, 0, v[3:4]
	s_and_b32 s1, vcc_lo, s1
	s_wait_alu 0xfffe
	s_and_saveexec_b32 s2, s1
	s_cbranch_execz .LBB126_10
; %bb.7:
	v_mov_b32_e32 v1, 0
	s_mov_b32 s3, 0
	ds_load_b32 v2, v1 offset:2016
	s_wait_dscnt 0x0
	v_readfirstlane_b32 s1, v2
	v_add_nc_u32_e32 v2, 1, v0
	s_cmp_eq_u32 s1, 0
	s_delay_alu instid0(VALU_DEP_1) | instskip(SKIP_1) | instid1(SALU_CYCLE_1)
	v_cmp_gt_i32_e32 vcc_lo, s1, v2
	s_cselect_b32 s74, -1, 0
	s_or_b32 s74, s74, vcc_lo
	s_delay_alu instid0(SALU_CYCLE_1)
	s_and_b32 exec_lo, exec_lo, s74
	s_cbranch_execz .LBB126_10
; %bb.8:
	v_mov_b32_e32 v3, s1
.LBB126_9:                              ; =>This Inner Loop Header: Depth=1
	ds_cmpstore_rtn_b32 v3, v1, v2, v3 offset:2016
	s_wait_dscnt 0x0
	v_cmp_ne_u32_e32 vcc_lo, 0, v3
	v_cmp_le_i32_e64 s1, v3, v2
	s_and_b32 s1, vcc_lo, s1
	s_wait_alu 0xfffe
	s_and_b32 s1, exec_lo, s1
	s_wait_alu 0xfffe
	s_or_b32 s3, s1, s3
	s_wait_alu 0xfffe
	s_and_not1_b32 exec_lo, exec_lo, s3
	s_cbranch_execnz .LBB126_9
.LBB126_10:
	s_wait_alu 0xfffe
	s_or_b32 exec_lo, exec_lo, s2
	v_mov_b32_e32 v1, 0
	s_barrier_signal -1
	s_barrier_wait -1
	global_inv scope:SCOPE_SE
	ds_load_b32 v2, v1 offset:2016
	s_and_saveexec_b32 s1, s0
	s_cbranch_execz .LBB126_12
; %bb.11:
	s_lshl_b64 s[2:3], s[10:11], 2
	s_wait_alu 0xfffe
	s_add_nc_u64 s[2:3], s[6:7], s[2:3]
	s_wait_dscnt 0x0
	global_store_b32 v1, v2, s[2:3]
.LBB126_12:
	s_wait_alu 0xfffe
	s_or_b32 exec_lo, exec_lo, s1
	s_wait_dscnt 0x0
	v_cmp_ne_u32_e32 vcc_lo, 0, v2
	s_mov_b32 s1, 0
	s_cbranch_vccnz .LBB126_276
; %bb.13:
	v_add_nc_u32_e32 v14, 16, v13
                                        ; implicit-def: $vgpr1_vgpr2
                                        ; implicit-def: $vgpr9_vgpr10
	scratch_load_b128 v[5:8], v14, off
	s_wait_loadcnt 0x0
	v_cmp_ngt_f64_e64 s1, |v[5:6]|, |v[7:8]|
	s_wait_alu 0xfffe
	s_and_saveexec_b32 s2, s1
	s_wait_alu 0xfffe
	s_xor_b32 s1, exec_lo, s2
	s_cbranch_execz .LBB126_15
; %bb.14:
	v_div_scale_f64 v[1:2], null, v[7:8], v[7:8], v[5:6]
	v_div_scale_f64 v[11:12], vcc_lo, v[5:6], v[7:8], v[5:6]
	s_delay_alu instid0(VALU_DEP_2) | instskip(NEXT) | instid1(TRANS32_DEP_1)
	v_rcp_f64_e32 v[3:4], v[1:2]
	v_fma_f64 v[9:10], -v[1:2], v[3:4], 1.0
	s_delay_alu instid0(VALU_DEP_1) | instskip(NEXT) | instid1(VALU_DEP_1)
	v_fma_f64 v[3:4], v[3:4], v[9:10], v[3:4]
	v_fma_f64 v[9:10], -v[1:2], v[3:4], 1.0
	s_delay_alu instid0(VALU_DEP_1) | instskip(NEXT) | instid1(VALU_DEP_1)
	v_fma_f64 v[3:4], v[3:4], v[9:10], v[3:4]
	v_mul_f64_e32 v[9:10], v[11:12], v[3:4]
	s_delay_alu instid0(VALU_DEP_1) | instskip(SKIP_1) | instid1(VALU_DEP_1)
	v_fma_f64 v[1:2], -v[1:2], v[9:10], v[11:12]
	s_wait_alu 0xfffd
	v_div_fmas_f64 v[1:2], v[1:2], v[3:4], v[9:10]
	s_delay_alu instid0(VALU_DEP_1) | instskip(NEXT) | instid1(VALU_DEP_1)
	v_div_fixup_f64 v[1:2], v[1:2], v[7:8], v[5:6]
	v_fma_f64 v[3:4], v[5:6], v[1:2], v[7:8]
	s_delay_alu instid0(VALU_DEP_1) | instskip(SKIP_1) | instid1(VALU_DEP_2)
	v_div_scale_f64 v[5:6], null, v[3:4], v[3:4], 1.0
	v_div_scale_f64 v[11:12], vcc_lo, 1.0, v[3:4], 1.0
	v_rcp_f64_e32 v[7:8], v[5:6]
	s_delay_alu instid0(TRANS32_DEP_1) | instskip(NEXT) | instid1(VALU_DEP_1)
	v_fma_f64 v[9:10], -v[5:6], v[7:8], 1.0
	v_fma_f64 v[7:8], v[7:8], v[9:10], v[7:8]
	s_delay_alu instid0(VALU_DEP_1) | instskip(NEXT) | instid1(VALU_DEP_1)
	v_fma_f64 v[9:10], -v[5:6], v[7:8], 1.0
	v_fma_f64 v[7:8], v[7:8], v[9:10], v[7:8]
	s_delay_alu instid0(VALU_DEP_1) | instskip(NEXT) | instid1(VALU_DEP_1)
	v_mul_f64_e32 v[9:10], v[11:12], v[7:8]
	v_fma_f64 v[5:6], -v[5:6], v[9:10], v[11:12]
	s_wait_alu 0xfffd
	s_delay_alu instid0(VALU_DEP_1) | instskip(NEXT) | instid1(VALU_DEP_1)
	v_div_fmas_f64 v[5:6], v[5:6], v[7:8], v[9:10]
	v_div_fixup_f64 v[3:4], v[5:6], v[3:4], 1.0
                                        ; implicit-def: $vgpr5_vgpr6
	s_delay_alu instid0(VALU_DEP_1) | instskip(SKIP_1) | instid1(VALU_DEP_2)
	v_mul_f64_e32 v[1:2], v[1:2], v[3:4]
	v_xor_b32_e32 v4, 0x80000000, v4
	v_xor_b32_e32 v10, 0x80000000, v2
	s_delay_alu instid0(VALU_DEP_3)
	v_mov_b32_e32 v9, v1
.LBB126_15:
	s_wait_alu 0xfffe
	s_and_not1_saveexec_b32 s1, s1
	s_cbranch_execz .LBB126_17
; %bb.16:
	v_div_scale_f64 v[1:2], null, v[5:6], v[5:6], v[7:8]
	v_div_scale_f64 v[11:12], vcc_lo, v[7:8], v[5:6], v[7:8]
	s_delay_alu instid0(VALU_DEP_2) | instskip(NEXT) | instid1(TRANS32_DEP_1)
	v_rcp_f64_e32 v[3:4], v[1:2]
	v_fma_f64 v[9:10], -v[1:2], v[3:4], 1.0
	s_delay_alu instid0(VALU_DEP_1) | instskip(NEXT) | instid1(VALU_DEP_1)
	v_fma_f64 v[3:4], v[3:4], v[9:10], v[3:4]
	v_fma_f64 v[9:10], -v[1:2], v[3:4], 1.0
	s_delay_alu instid0(VALU_DEP_1) | instskip(NEXT) | instid1(VALU_DEP_1)
	v_fma_f64 v[3:4], v[3:4], v[9:10], v[3:4]
	v_mul_f64_e32 v[9:10], v[11:12], v[3:4]
	s_delay_alu instid0(VALU_DEP_1) | instskip(SKIP_1) | instid1(VALU_DEP_1)
	v_fma_f64 v[1:2], -v[1:2], v[9:10], v[11:12]
	s_wait_alu 0xfffd
	v_div_fmas_f64 v[1:2], v[1:2], v[3:4], v[9:10]
	s_delay_alu instid0(VALU_DEP_1) | instskip(NEXT) | instid1(VALU_DEP_1)
	v_div_fixup_f64 v[3:4], v[1:2], v[5:6], v[7:8]
	v_fma_f64 v[1:2], v[7:8], v[3:4], v[5:6]
	s_delay_alu instid0(VALU_DEP_1) | instskip(NEXT) | instid1(VALU_DEP_1)
	v_div_scale_f64 v[5:6], null, v[1:2], v[1:2], 1.0
	v_rcp_f64_e32 v[7:8], v[5:6]
	s_delay_alu instid0(TRANS32_DEP_1) | instskip(NEXT) | instid1(VALU_DEP_1)
	v_fma_f64 v[9:10], -v[5:6], v[7:8], 1.0
	v_fma_f64 v[7:8], v[7:8], v[9:10], v[7:8]
	s_delay_alu instid0(VALU_DEP_1) | instskip(NEXT) | instid1(VALU_DEP_1)
	v_fma_f64 v[9:10], -v[5:6], v[7:8], 1.0
	v_fma_f64 v[7:8], v[7:8], v[9:10], v[7:8]
	v_div_scale_f64 v[9:10], vcc_lo, 1.0, v[1:2], 1.0
	s_delay_alu instid0(VALU_DEP_1) | instskip(NEXT) | instid1(VALU_DEP_1)
	v_mul_f64_e32 v[11:12], v[9:10], v[7:8]
	v_fma_f64 v[5:6], -v[5:6], v[11:12], v[9:10]
	s_wait_alu 0xfffd
	s_delay_alu instid0(VALU_DEP_1) | instskip(NEXT) | instid1(VALU_DEP_1)
	v_div_fmas_f64 v[5:6], v[5:6], v[7:8], v[11:12]
	v_div_fixup_f64 v[1:2], v[5:6], v[1:2], 1.0
	s_delay_alu instid0(VALU_DEP_1)
	v_mul_f64_e64 v[3:4], v[3:4], -v[1:2]
	v_xor_b32_e32 v10, 0x80000000, v2
	v_mov_b32_e32 v9, v1
.LBB126_17:
	s_wait_alu 0xfffe
	s_or_b32 exec_lo, exec_lo, s1
	scratch_store_b128 v14, v[1:4], off
	scratch_load_b128 v[15:18], off, s17
	v_xor_b32_e32 v12, 0x80000000, v4
	v_mov_b32_e32 v11, v3
	v_add_nc_u32_e32 v5, 0x3f0, v13
	ds_store_b128 v13, v[9:12]
	s_wait_loadcnt 0x0
	ds_store_b128 v13, v[15:18] offset:1008
	s_wait_storecnt_dscnt 0x0
	s_barrier_signal -1
	s_barrier_wait -1
	global_inv scope:SCOPE_SE
	s_and_saveexec_b32 s1, s0
	s_cbranch_execz .LBB126_19
; %bb.18:
	scratch_load_b128 v[1:4], v14, off
	ds_load_b128 v[6:9], v5
	v_mov_b32_e32 v10, 0
	ds_load_b128 v[15:18], v10 offset:16
	s_wait_loadcnt_dscnt 0x1
	v_mul_f64_e32 v[10:11], v[6:7], v[3:4]
	v_mul_f64_e32 v[3:4], v[8:9], v[3:4]
	s_delay_alu instid0(VALU_DEP_2) | instskip(NEXT) | instid1(VALU_DEP_2)
	v_fma_f64 v[8:9], v[8:9], v[1:2], v[10:11]
	v_fma_f64 v[1:2], v[6:7], v[1:2], -v[3:4]
	s_delay_alu instid0(VALU_DEP_2) | instskip(NEXT) | instid1(VALU_DEP_2)
	v_add_f64_e32 v[3:4], 0, v[8:9]
	v_add_f64_e32 v[1:2], 0, v[1:2]
	s_wait_dscnt 0x0
	s_delay_alu instid0(VALU_DEP_2) | instskip(NEXT) | instid1(VALU_DEP_2)
	v_mul_f64_e32 v[6:7], v[3:4], v[17:18]
	v_mul_f64_e32 v[8:9], v[1:2], v[17:18]
	s_delay_alu instid0(VALU_DEP_2) | instskip(NEXT) | instid1(VALU_DEP_2)
	v_fma_f64 v[1:2], v[1:2], v[15:16], -v[6:7]
	v_fma_f64 v[3:4], v[3:4], v[15:16], v[8:9]
	scratch_store_b128 off, v[1:4], off offset:32
.LBB126_19:
	s_wait_alu 0xfffe
	s_or_b32 exec_lo, exec_lo, s1
	s_wait_loadcnt 0x0
	s_wait_storecnt 0x0
	s_barrier_signal -1
	s_barrier_wait -1
	global_inv scope:SCOPE_SE
	scratch_load_b128 v[1:4], off, s15
	v_cmp_gt_u32_e32 vcc_lo, 2, v0
	s_wait_loadcnt 0x0
	ds_store_b128 v5, v[1:4]
	s_wait_dscnt 0x0
	s_barrier_signal -1
	s_barrier_wait -1
	global_inv scope:SCOPE_SE
	s_and_saveexec_b32 s1, vcc_lo
	s_cbranch_execz .LBB126_23
; %bb.20:
	scratch_load_b128 v[1:4], v14, off
	ds_load_b128 v[6:9], v5
	s_wait_loadcnt_dscnt 0x0
	v_mul_f64_e32 v[10:11], v[8:9], v[3:4]
	v_mul_f64_e32 v[3:4], v[6:7], v[3:4]
	s_delay_alu instid0(VALU_DEP_2) | instskip(NEXT) | instid1(VALU_DEP_2)
	v_fma_f64 v[6:7], v[6:7], v[1:2], -v[10:11]
	v_fma_f64 v[3:4], v[8:9], v[1:2], v[3:4]
	s_delay_alu instid0(VALU_DEP_2) | instskip(NEXT) | instid1(VALU_DEP_2)
	v_add_f64_e32 v[1:2], 0, v[6:7]
	v_add_f64_e32 v[3:4], 0, v[3:4]
	s_and_saveexec_b32 s2, s0
	s_cbranch_execz .LBB126_22
; %bb.21:
	scratch_load_b128 v[6:9], off, off offset:32
	v_mov_b32_e32 v10, 0
	ds_load_b128 v[15:18], v10 offset:1024
	s_wait_loadcnt_dscnt 0x0
	v_mul_f64_e32 v[10:11], v[15:16], v[8:9]
	v_mul_f64_e32 v[8:9], v[17:18], v[8:9]
	s_delay_alu instid0(VALU_DEP_2) | instskip(NEXT) | instid1(VALU_DEP_2)
	v_fma_f64 v[10:11], v[17:18], v[6:7], v[10:11]
	v_fma_f64 v[6:7], v[15:16], v[6:7], -v[8:9]
	s_delay_alu instid0(VALU_DEP_2) | instskip(NEXT) | instid1(VALU_DEP_2)
	v_add_f64_e32 v[3:4], v[3:4], v[10:11]
	v_add_f64_e32 v[1:2], v[1:2], v[6:7]
.LBB126_22:
	s_wait_alu 0xfffe
	s_or_b32 exec_lo, exec_lo, s2
	v_mov_b32_e32 v6, 0
	ds_load_b128 v[6:9], v6 offset:32
	s_wait_dscnt 0x0
	v_mul_f64_e32 v[10:11], v[3:4], v[8:9]
	v_mul_f64_e32 v[8:9], v[1:2], v[8:9]
	s_delay_alu instid0(VALU_DEP_2) | instskip(NEXT) | instid1(VALU_DEP_2)
	v_fma_f64 v[1:2], v[1:2], v[6:7], -v[10:11]
	v_fma_f64 v[3:4], v[3:4], v[6:7], v[8:9]
	scratch_store_b128 off, v[1:4], off offset:48
.LBB126_23:
	s_wait_alu 0xfffe
	s_or_b32 exec_lo, exec_lo, s1
	s_wait_loadcnt 0x0
	s_wait_storecnt 0x0
	s_barrier_signal -1
	s_barrier_wait -1
	global_inv scope:SCOPE_SE
	scratch_load_b128 v[1:4], off, s12
	v_add_nc_u32_e32 v6, -1, v0
	s_mov_b32 s2, exec_lo
	s_wait_loadcnt 0x0
	ds_store_b128 v5, v[1:4]
	s_wait_dscnt 0x0
	s_barrier_signal -1
	s_barrier_wait -1
	global_inv scope:SCOPE_SE
	v_cmpx_gt_u32_e32 3, v0
	s_cbranch_execz .LBB126_27
; %bb.24:
	v_dual_mov_b32 v1, 0 :: v_dual_add_nc_u32 v8, 0x3f0, v13
	v_mov_b32_e32 v3, 0
	v_dual_mov_b32 v2, 0 :: v_dual_add_nc_u32 v7, -1, v0
	v_mov_b32_e32 v4, 0
	v_or_b32_e32 v9, 8, v14
	s_mov_b32 s3, 0
.LBB126_25:                             ; =>This Inner Loop Header: Depth=1
	scratch_load_b128 v[15:18], v9, off offset:-8
	ds_load_b128 v[19:22], v8
	v_add_nc_u32_e32 v7, 1, v7
	v_add_nc_u32_e32 v8, 16, v8
	;; [unrolled: 1-line block ×3, first 2 shown]
	s_delay_alu instid0(VALU_DEP_3)
	v_cmp_lt_u32_e64 s1, 1, v7
	s_wait_alu 0xfffe
	s_or_b32 s3, s1, s3
	s_wait_loadcnt_dscnt 0x0
	v_mul_f64_e32 v[10:11], v[21:22], v[17:18]
	v_mul_f64_e32 v[17:18], v[19:20], v[17:18]
	s_delay_alu instid0(VALU_DEP_2) | instskip(NEXT) | instid1(VALU_DEP_2)
	v_fma_f64 v[10:11], v[19:20], v[15:16], -v[10:11]
	v_fma_f64 v[15:16], v[21:22], v[15:16], v[17:18]
	s_delay_alu instid0(VALU_DEP_2) | instskip(NEXT) | instid1(VALU_DEP_2)
	v_add_f64_e32 v[3:4], v[3:4], v[10:11]
	v_add_f64_e32 v[1:2], v[1:2], v[15:16]
	s_wait_alu 0xfffe
	s_and_not1_b32 exec_lo, exec_lo, s3
	s_cbranch_execnz .LBB126_25
; %bb.26:
	s_or_b32 exec_lo, exec_lo, s3
	v_mov_b32_e32 v7, 0
	ds_load_b128 v[7:10], v7 offset:48
	s_wait_dscnt 0x0
	v_mul_f64_e32 v[11:12], v[1:2], v[9:10]
	v_mul_f64_e32 v[15:16], v[3:4], v[9:10]
	s_delay_alu instid0(VALU_DEP_2) | instskip(NEXT) | instid1(VALU_DEP_2)
	v_fma_f64 v[9:10], v[3:4], v[7:8], -v[11:12]
	v_fma_f64 v[11:12], v[1:2], v[7:8], v[15:16]
	scratch_store_b128 off, v[9:12], off offset:64
.LBB126_27:
	s_wait_alu 0xfffe
	s_or_b32 exec_lo, exec_lo, s2
	s_wait_loadcnt 0x0
	s_wait_storecnt 0x0
	s_barrier_signal -1
	s_barrier_wait -1
	global_inv scope:SCOPE_SE
	scratch_load_b128 v[1:4], off, s4
	v_cmp_gt_u32_e64 s1, 4, v0
	s_wait_loadcnt 0x0
	ds_store_b128 v5, v[1:4]
	s_wait_dscnt 0x0
	s_barrier_signal -1
	s_barrier_wait -1
	global_inv scope:SCOPE_SE
	s_and_saveexec_b32 s3, s1
	s_cbranch_execz .LBB126_31
; %bb.28:
	v_dual_mov_b32 v1, 0 :: v_dual_add_nc_u32 v8, 0x3f0, v13
	v_mov_b32_e32 v3, 0
	v_dual_mov_b32 v2, 0 :: v_dual_add_nc_u32 v7, -1, v0
	v_mov_b32_e32 v4, 0
	v_or_b32_e32 v9, 8, v14
	s_mov_b32 s74, 0
.LBB126_29:                             ; =>This Inner Loop Header: Depth=1
	scratch_load_b128 v[15:18], v9, off offset:-8
	ds_load_b128 v[19:22], v8
	v_add_nc_u32_e32 v7, 1, v7
	v_add_nc_u32_e32 v8, 16, v8
	;; [unrolled: 1-line block ×3, first 2 shown]
	s_delay_alu instid0(VALU_DEP_3) | instskip(SKIP_4) | instid1(VALU_DEP_2)
	v_cmp_lt_u32_e64 s2, 2, v7
	s_or_b32 s74, s2, s74
	s_wait_loadcnt_dscnt 0x0
	v_mul_f64_e32 v[10:11], v[21:22], v[17:18]
	v_mul_f64_e32 v[17:18], v[19:20], v[17:18]
	v_fma_f64 v[10:11], v[19:20], v[15:16], -v[10:11]
	s_delay_alu instid0(VALU_DEP_2) | instskip(NEXT) | instid1(VALU_DEP_2)
	v_fma_f64 v[15:16], v[21:22], v[15:16], v[17:18]
	v_add_f64_e32 v[3:4], v[3:4], v[10:11]
	s_delay_alu instid0(VALU_DEP_2)
	v_add_f64_e32 v[1:2], v[1:2], v[15:16]
	s_and_not1_b32 exec_lo, exec_lo, s74
	s_cbranch_execnz .LBB126_29
; %bb.30:
	s_or_b32 exec_lo, exec_lo, s74
	v_mov_b32_e32 v7, 0
	ds_load_b128 v[7:10], v7 offset:64
	s_wait_dscnt 0x0
	v_mul_f64_e32 v[11:12], v[1:2], v[9:10]
	v_mul_f64_e32 v[15:16], v[3:4], v[9:10]
	s_delay_alu instid0(VALU_DEP_2) | instskip(NEXT) | instid1(VALU_DEP_2)
	v_fma_f64 v[9:10], v[3:4], v[7:8], -v[11:12]
	v_fma_f64 v[11:12], v[1:2], v[7:8], v[15:16]
	scratch_store_b128 off, v[9:12], off offset:80
.LBB126_31:
	s_wait_alu 0xfffe
	s_or_b32 exec_lo, exec_lo, s3
	s_wait_loadcnt 0x0
	s_wait_storecnt 0x0
	s_barrier_signal -1
	s_barrier_wait -1
	global_inv scope:SCOPE_SE
	scratch_load_b128 v[1:4], off, s73
	s_mov_b32 s3, exec_lo
	s_wait_loadcnt 0x0
	ds_store_b128 v5, v[1:4]
	s_wait_dscnt 0x0
	s_barrier_signal -1
	s_barrier_wait -1
	global_inv scope:SCOPE_SE
	v_cmpx_gt_u32_e32 5, v0
	s_cbranch_execz .LBB126_35
; %bb.32:
	v_dual_mov_b32 v1, 0 :: v_dual_add_nc_u32 v8, 0x3f0, v13
	v_mov_b32_e32 v3, 0
	v_dual_mov_b32 v2, 0 :: v_dual_add_nc_u32 v7, -1, v0
	v_mov_b32_e32 v4, 0
	v_or_b32_e32 v9, 8, v14
	s_mov_b32 s74, 0
.LBB126_33:                             ; =>This Inner Loop Header: Depth=1
	scratch_load_b128 v[15:18], v9, off offset:-8
	ds_load_b128 v[19:22], v8
	v_add_nc_u32_e32 v7, 1, v7
	v_add_nc_u32_e32 v8, 16, v8
	;; [unrolled: 1-line block ×3, first 2 shown]
	s_delay_alu instid0(VALU_DEP_3) | instskip(SKIP_4) | instid1(VALU_DEP_2)
	v_cmp_lt_u32_e64 s2, 3, v7
	s_or_b32 s74, s2, s74
	s_wait_loadcnt_dscnt 0x0
	v_mul_f64_e32 v[10:11], v[21:22], v[17:18]
	v_mul_f64_e32 v[17:18], v[19:20], v[17:18]
	v_fma_f64 v[10:11], v[19:20], v[15:16], -v[10:11]
	s_delay_alu instid0(VALU_DEP_2) | instskip(NEXT) | instid1(VALU_DEP_2)
	v_fma_f64 v[15:16], v[21:22], v[15:16], v[17:18]
	v_add_f64_e32 v[3:4], v[3:4], v[10:11]
	s_delay_alu instid0(VALU_DEP_2)
	v_add_f64_e32 v[1:2], v[1:2], v[15:16]
	s_and_not1_b32 exec_lo, exec_lo, s74
	s_cbranch_execnz .LBB126_33
; %bb.34:
	s_or_b32 exec_lo, exec_lo, s74
	v_mov_b32_e32 v7, 0
	ds_load_b128 v[7:10], v7 offset:80
	s_wait_dscnt 0x0
	v_mul_f64_e32 v[11:12], v[1:2], v[9:10]
	v_mul_f64_e32 v[15:16], v[3:4], v[9:10]
	s_delay_alu instid0(VALU_DEP_2) | instskip(NEXT) | instid1(VALU_DEP_2)
	v_fma_f64 v[9:10], v[3:4], v[7:8], -v[11:12]
	v_fma_f64 v[11:12], v[1:2], v[7:8], v[15:16]
	scratch_store_b128 off, v[9:12], off offset:96
.LBB126_35:
	s_wait_alu 0xfffe
	s_or_b32 exec_lo, exec_lo, s3
	s_wait_loadcnt 0x0
	s_wait_storecnt 0x0
	s_barrier_signal -1
	s_barrier_wait -1
	global_inv scope:SCOPE_SE
	scratch_load_b128 v[1:4], off, s72
	v_cmp_gt_u32_e64 s2, 6, v0
	s_wait_loadcnt 0x0
	ds_store_b128 v5, v[1:4]
	s_wait_dscnt 0x0
	s_barrier_signal -1
	s_barrier_wait -1
	global_inv scope:SCOPE_SE
	s_and_saveexec_b32 s74, s2
	s_cbranch_execz .LBB126_39
; %bb.36:
	v_dual_mov_b32 v1, 0 :: v_dual_add_nc_u32 v8, 0x3f0, v13
	v_mov_b32_e32 v3, 0
	v_dual_mov_b32 v2, 0 :: v_dual_add_nc_u32 v7, -1, v0
	v_mov_b32_e32 v4, 0
	v_or_b32_e32 v9, 8, v14
	s_mov_b32 s75, 0
.LBB126_37:                             ; =>This Inner Loop Header: Depth=1
	scratch_load_b128 v[15:18], v9, off offset:-8
	ds_load_b128 v[19:22], v8
	v_add_nc_u32_e32 v7, 1, v7
	v_add_nc_u32_e32 v8, 16, v8
	;; [unrolled: 1-line block ×3, first 2 shown]
	s_delay_alu instid0(VALU_DEP_3) | instskip(SKIP_4) | instid1(VALU_DEP_2)
	v_cmp_lt_u32_e64 s3, 4, v7
	s_or_b32 s75, s3, s75
	s_wait_loadcnt_dscnt 0x0
	v_mul_f64_e32 v[10:11], v[21:22], v[17:18]
	v_mul_f64_e32 v[17:18], v[19:20], v[17:18]
	v_fma_f64 v[10:11], v[19:20], v[15:16], -v[10:11]
	s_delay_alu instid0(VALU_DEP_2) | instskip(NEXT) | instid1(VALU_DEP_2)
	v_fma_f64 v[15:16], v[21:22], v[15:16], v[17:18]
	v_add_f64_e32 v[3:4], v[3:4], v[10:11]
	s_delay_alu instid0(VALU_DEP_2)
	v_add_f64_e32 v[1:2], v[1:2], v[15:16]
	s_and_not1_b32 exec_lo, exec_lo, s75
	s_cbranch_execnz .LBB126_37
; %bb.38:
	s_or_b32 exec_lo, exec_lo, s75
	v_mov_b32_e32 v7, 0
	ds_load_b128 v[7:10], v7 offset:96
	s_wait_dscnt 0x0
	v_mul_f64_e32 v[11:12], v[1:2], v[9:10]
	v_mul_f64_e32 v[15:16], v[3:4], v[9:10]
	s_delay_alu instid0(VALU_DEP_2) | instskip(NEXT) | instid1(VALU_DEP_2)
	v_fma_f64 v[9:10], v[3:4], v[7:8], -v[11:12]
	v_fma_f64 v[11:12], v[1:2], v[7:8], v[15:16]
	scratch_store_b128 off, v[9:12], off offset:112
.LBB126_39:
	s_or_b32 exec_lo, exec_lo, s74
	s_wait_loadcnt 0x0
	s_wait_storecnt 0x0
	s_barrier_signal -1
	s_barrier_wait -1
	global_inv scope:SCOPE_SE
	scratch_load_b128 v[1:4], off, s71
	s_mov_b32 s74, exec_lo
	s_wait_loadcnt 0x0
	ds_store_b128 v5, v[1:4]
	s_wait_dscnt 0x0
	s_barrier_signal -1
	s_barrier_wait -1
	global_inv scope:SCOPE_SE
	v_cmpx_gt_u32_e32 7, v0
	s_cbranch_execz .LBB126_43
; %bb.40:
	v_dual_mov_b32 v1, 0 :: v_dual_add_nc_u32 v8, 0x3f0, v13
	v_mov_b32_e32 v3, 0
	v_dual_mov_b32 v2, 0 :: v_dual_add_nc_u32 v7, -1, v0
	v_mov_b32_e32 v4, 0
	v_or_b32_e32 v9, 8, v14
	s_mov_b32 s75, 0
.LBB126_41:                             ; =>This Inner Loop Header: Depth=1
	scratch_load_b128 v[15:18], v9, off offset:-8
	ds_load_b128 v[19:22], v8
	v_add_nc_u32_e32 v7, 1, v7
	v_add_nc_u32_e32 v8, 16, v8
	;; [unrolled: 1-line block ×3, first 2 shown]
	s_delay_alu instid0(VALU_DEP_3) | instskip(SKIP_4) | instid1(VALU_DEP_2)
	v_cmp_lt_u32_e64 s3, 5, v7
	s_or_b32 s75, s3, s75
	s_wait_loadcnt_dscnt 0x0
	v_mul_f64_e32 v[10:11], v[21:22], v[17:18]
	v_mul_f64_e32 v[17:18], v[19:20], v[17:18]
	v_fma_f64 v[10:11], v[19:20], v[15:16], -v[10:11]
	s_delay_alu instid0(VALU_DEP_2) | instskip(NEXT) | instid1(VALU_DEP_2)
	v_fma_f64 v[15:16], v[21:22], v[15:16], v[17:18]
	v_add_f64_e32 v[3:4], v[3:4], v[10:11]
	s_delay_alu instid0(VALU_DEP_2)
	v_add_f64_e32 v[1:2], v[1:2], v[15:16]
	s_and_not1_b32 exec_lo, exec_lo, s75
	s_cbranch_execnz .LBB126_41
; %bb.42:
	s_or_b32 exec_lo, exec_lo, s75
	v_mov_b32_e32 v7, 0
	ds_load_b128 v[7:10], v7 offset:112
	s_wait_dscnt 0x0
	v_mul_f64_e32 v[11:12], v[1:2], v[9:10]
	v_mul_f64_e32 v[15:16], v[3:4], v[9:10]
	s_delay_alu instid0(VALU_DEP_2) | instskip(NEXT) | instid1(VALU_DEP_2)
	v_fma_f64 v[9:10], v[3:4], v[7:8], -v[11:12]
	v_fma_f64 v[11:12], v[1:2], v[7:8], v[15:16]
	scratch_store_b128 off, v[9:12], off offset:128
.LBB126_43:
	s_or_b32 exec_lo, exec_lo, s74
	s_wait_loadcnt 0x0
	s_wait_storecnt 0x0
	s_barrier_signal -1
	s_barrier_wait -1
	global_inv scope:SCOPE_SE
	scratch_load_b128 v[1:4], off, s70
	s_mov_b32 s74, exec_lo
	s_wait_loadcnt 0x0
	ds_store_b128 v5, v[1:4]
	s_wait_dscnt 0x0
	s_barrier_signal -1
	s_barrier_wait -1
	global_inv scope:SCOPE_SE
	v_cmpx_gt_u32_e32 8, v0
	s_cbranch_execz .LBB126_59
; %bb.44:
	scratch_load_b128 v[1:4], v14, off
	ds_load_b128 v[7:10], v5
	s_mov_b32 s75, exec_lo
	s_wait_loadcnt_dscnt 0x0
	v_mul_f64_e32 v[11:12], v[9:10], v[3:4]
	v_mul_f64_e32 v[3:4], v[7:8], v[3:4]
	s_delay_alu instid0(VALU_DEP_2) | instskip(NEXT) | instid1(VALU_DEP_2)
	v_fma_f64 v[7:8], v[7:8], v[1:2], -v[11:12]
	v_fma_f64 v[1:2], v[9:10], v[1:2], v[3:4]
	s_delay_alu instid0(VALU_DEP_2) | instskip(NEXT) | instid1(VALU_DEP_2)
	v_add_f64_e32 v[3:4], 0, v[7:8]
	v_add_f64_e32 v[1:2], 0, v[1:2]
	v_cmpx_ne_u32_e32 7, v0
	s_cbranch_execz .LBB126_58
; %bb.45:
	scratch_load_b128 v[7:10], v14, off offset:16
	ds_load_b128 v[15:18], v5 offset:16
	s_wait_loadcnt_dscnt 0x0
	v_mul_f64_e32 v[11:12], v[17:18], v[9:10]
	v_mul_f64_e32 v[9:10], v[15:16], v[9:10]
	s_delay_alu instid0(VALU_DEP_2) | instskip(NEXT) | instid1(VALU_DEP_2)
	v_fma_f64 v[11:12], v[15:16], v[7:8], -v[11:12]
	v_fma_f64 v[7:8], v[17:18], v[7:8], v[9:10]
	s_delay_alu instid0(VALU_DEP_2) | instskip(NEXT) | instid1(VALU_DEP_2)
	v_add_f64_e32 v[3:4], v[3:4], v[11:12]
	v_add_f64_e32 v[1:2], v[1:2], v[7:8]
	s_and_saveexec_b32 s3, s2
	s_cbranch_execz .LBB126_57
; %bb.46:
	scratch_load_b128 v[7:10], v14, off offset:32
	ds_load_b128 v[15:18], v5 offset:32
	s_mov_b32 s76, exec_lo
	s_wait_loadcnt_dscnt 0x0
	v_mul_f64_e32 v[11:12], v[17:18], v[9:10]
	v_mul_f64_e32 v[9:10], v[15:16], v[9:10]
	s_delay_alu instid0(VALU_DEP_2) | instskip(NEXT) | instid1(VALU_DEP_2)
	v_fma_f64 v[11:12], v[15:16], v[7:8], -v[11:12]
	v_fma_f64 v[7:8], v[17:18], v[7:8], v[9:10]
	s_delay_alu instid0(VALU_DEP_2) | instskip(NEXT) | instid1(VALU_DEP_2)
	v_add_f64_e32 v[3:4], v[3:4], v[11:12]
	v_add_f64_e32 v[1:2], v[1:2], v[7:8]
	v_cmpx_ne_u32_e32 5, v0
	s_cbranch_execz .LBB126_56
; %bb.47:
	scratch_load_b128 v[7:10], v14, off offset:48
	ds_load_b128 v[15:18], v5 offset:48
	s_wait_loadcnt_dscnt 0x0
	v_mul_f64_e32 v[11:12], v[17:18], v[9:10]
	v_mul_f64_e32 v[9:10], v[15:16], v[9:10]
	s_delay_alu instid0(VALU_DEP_2) | instskip(NEXT) | instid1(VALU_DEP_2)
	v_fma_f64 v[11:12], v[15:16], v[7:8], -v[11:12]
	v_fma_f64 v[7:8], v[17:18], v[7:8], v[9:10]
	s_delay_alu instid0(VALU_DEP_2) | instskip(NEXT) | instid1(VALU_DEP_2)
	v_add_f64_e32 v[3:4], v[3:4], v[11:12]
	v_add_f64_e32 v[1:2], v[1:2], v[7:8]
	s_and_saveexec_b32 s2, s1
	s_cbranch_execz .LBB126_55
; %bb.48:
	scratch_load_b128 v[7:10], v14, off offset:64
	ds_load_b128 v[15:18], v5 offset:64
	s_mov_b32 s77, exec_lo
	s_wait_loadcnt_dscnt 0x0
	v_mul_f64_e32 v[11:12], v[17:18], v[9:10]
	v_mul_f64_e32 v[9:10], v[15:16], v[9:10]
	s_delay_alu instid0(VALU_DEP_2) | instskip(NEXT) | instid1(VALU_DEP_2)
	v_fma_f64 v[11:12], v[15:16], v[7:8], -v[11:12]
	v_fma_f64 v[7:8], v[17:18], v[7:8], v[9:10]
	s_delay_alu instid0(VALU_DEP_2) | instskip(NEXT) | instid1(VALU_DEP_2)
	v_add_f64_e32 v[3:4], v[3:4], v[11:12]
	v_add_f64_e32 v[1:2], v[1:2], v[7:8]
	v_cmpx_ne_u32_e32 3, v0
	s_cbranch_execz .LBB126_54
; %bb.49:
	scratch_load_b128 v[7:10], v14, off offset:80
	ds_load_b128 v[15:18], v5 offset:80
	s_wait_loadcnt_dscnt 0x0
	v_mul_f64_e32 v[11:12], v[17:18], v[9:10]
	v_mul_f64_e32 v[9:10], v[15:16], v[9:10]
	s_delay_alu instid0(VALU_DEP_2) | instskip(NEXT) | instid1(VALU_DEP_2)
	v_fma_f64 v[11:12], v[15:16], v[7:8], -v[11:12]
	v_fma_f64 v[7:8], v[17:18], v[7:8], v[9:10]
	s_delay_alu instid0(VALU_DEP_2) | instskip(NEXT) | instid1(VALU_DEP_2)
	v_add_f64_e32 v[3:4], v[3:4], v[11:12]
	v_add_f64_e32 v[1:2], v[1:2], v[7:8]
	s_and_saveexec_b32 s1, vcc_lo
	s_cbranch_execz .LBB126_53
; %bb.50:
	scratch_load_b128 v[7:10], v14, off offset:96
	ds_load_b128 v[15:18], v5 offset:96
	s_wait_loadcnt_dscnt 0x0
	v_mul_f64_e32 v[11:12], v[17:18], v[9:10]
	v_mul_f64_e32 v[9:10], v[15:16], v[9:10]
	s_delay_alu instid0(VALU_DEP_2) | instskip(NEXT) | instid1(VALU_DEP_2)
	v_fma_f64 v[11:12], v[15:16], v[7:8], -v[11:12]
	v_fma_f64 v[7:8], v[17:18], v[7:8], v[9:10]
	s_delay_alu instid0(VALU_DEP_2) | instskip(NEXT) | instid1(VALU_DEP_2)
	v_add_f64_e32 v[3:4], v[3:4], v[11:12]
	v_add_f64_e32 v[1:2], v[1:2], v[7:8]
	s_and_saveexec_b32 s78, s0
	s_cbranch_execz .LBB126_52
; %bb.51:
	scratch_load_b128 v[7:10], v14, off offset:112
	ds_load_b128 v[15:18], v5 offset:112
	s_wait_loadcnt_dscnt 0x0
	v_mul_f64_e32 v[11:12], v[17:18], v[9:10]
	v_mul_f64_e32 v[9:10], v[15:16], v[9:10]
	s_delay_alu instid0(VALU_DEP_2) | instskip(NEXT) | instid1(VALU_DEP_2)
	v_fma_f64 v[11:12], v[15:16], v[7:8], -v[11:12]
	v_fma_f64 v[7:8], v[17:18], v[7:8], v[9:10]
	s_delay_alu instid0(VALU_DEP_2) | instskip(NEXT) | instid1(VALU_DEP_2)
	v_add_f64_e32 v[3:4], v[3:4], v[11:12]
	v_add_f64_e32 v[1:2], v[1:2], v[7:8]
.LBB126_52:
	s_or_b32 exec_lo, exec_lo, s78
.LBB126_53:
	s_wait_alu 0xfffe
	s_or_b32 exec_lo, exec_lo, s1
.LBB126_54:
	s_delay_alu instid0(SALU_CYCLE_1)
	s_or_b32 exec_lo, exec_lo, s77
.LBB126_55:
	s_wait_alu 0xfffe
	s_or_b32 exec_lo, exec_lo, s2
.LBB126_56:
	s_delay_alu instid0(SALU_CYCLE_1)
	s_or_b32 exec_lo, exec_lo, s76
.LBB126_57:
	s_wait_alu 0xfffe
	s_or_b32 exec_lo, exec_lo, s3
.LBB126_58:
	s_delay_alu instid0(SALU_CYCLE_1)
	s_or_b32 exec_lo, exec_lo, s75
	v_mov_b32_e32 v7, 0
	ds_load_b128 v[7:10], v7 offset:128
	s_wait_dscnt 0x0
	v_mul_f64_e32 v[11:12], v[1:2], v[9:10]
	v_mul_f64_e32 v[15:16], v[3:4], v[9:10]
	s_delay_alu instid0(VALU_DEP_2) | instskip(NEXT) | instid1(VALU_DEP_2)
	v_fma_f64 v[9:10], v[3:4], v[7:8], -v[11:12]
	v_fma_f64 v[11:12], v[1:2], v[7:8], v[15:16]
	scratch_store_b128 off, v[9:12], off offset:144
.LBB126_59:
	s_or_b32 exec_lo, exec_lo, s74
	s_wait_loadcnt 0x0
	s_wait_storecnt 0x0
	s_barrier_signal -1
	s_barrier_wait -1
	global_inv scope:SCOPE_SE
	scratch_load_b128 v[1:4], off, s69
	s_mov_b32 s0, exec_lo
	s_wait_loadcnt 0x0
	ds_store_b128 v5, v[1:4]
	s_wait_dscnt 0x0
	s_barrier_signal -1
	s_barrier_wait -1
	global_inv scope:SCOPE_SE
	v_cmpx_gt_u32_e32 9, v0
	s_cbranch_execz .LBB126_63
; %bb.60:
	v_dual_mov_b32 v1, 0 :: v_dual_add_nc_u32 v8, 0x3f0, v13
	v_mov_b32_e32 v3, 0
	v_dual_mov_b32 v2, 0 :: v_dual_add_nc_u32 v7, -1, v0
	v_mov_b32_e32 v4, 0
	v_or_b32_e32 v9, 8, v14
	s_mov_b32 s1, 0
.LBB126_61:                             ; =>This Inner Loop Header: Depth=1
	scratch_load_b128 v[15:18], v9, off offset:-8
	ds_load_b128 v[19:22], v8
	v_add_nc_u32_e32 v7, 1, v7
	v_add_nc_u32_e32 v8, 16, v8
	v_add_nc_u32_e32 v9, 16, v9
	s_delay_alu instid0(VALU_DEP_3)
	v_cmp_lt_u32_e32 vcc_lo, 7, v7
	s_wait_alu 0xfffe
	s_or_b32 s1, vcc_lo, s1
	s_wait_loadcnt_dscnt 0x0
	v_mul_f64_e32 v[10:11], v[21:22], v[17:18]
	v_mul_f64_e32 v[17:18], v[19:20], v[17:18]
	s_delay_alu instid0(VALU_DEP_2) | instskip(NEXT) | instid1(VALU_DEP_2)
	v_fma_f64 v[10:11], v[19:20], v[15:16], -v[10:11]
	v_fma_f64 v[15:16], v[21:22], v[15:16], v[17:18]
	s_delay_alu instid0(VALU_DEP_2) | instskip(NEXT) | instid1(VALU_DEP_2)
	v_add_f64_e32 v[3:4], v[3:4], v[10:11]
	v_add_f64_e32 v[1:2], v[1:2], v[15:16]
	s_wait_alu 0xfffe
	s_and_not1_b32 exec_lo, exec_lo, s1
	s_cbranch_execnz .LBB126_61
; %bb.62:
	s_or_b32 exec_lo, exec_lo, s1
	v_mov_b32_e32 v7, 0
	ds_load_b128 v[7:10], v7 offset:144
	s_wait_dscnt 0x0
	v_mul_f64_e32 v[11:12], v[1:2], v[9:10]
	v_mul_f64_e32 v[15:16], v[3:4], v[9:10]
	s_delay_alu instid0(VALU_DEP_2) | instskip(NEXT) | instid1(VALU_DEP_2)
	v_fma_f64 v[9:10], v[3:4], v[7:8], -v[11:12]
	v_fma_f64 v[11:12], v[1:2], v[7:8], v[15:16]
	scratch_store_b128 off, v[9:12], off offset:160
.LBB126_63:
	s_wait_alu 0xfffe
	s_or_b32 exec_lo, exec_lo, s0
	s_wait_loadcnt 0x0
	s_wait_storecnt 0x0
	s_barrier_signal -1
	s_barrier_wait -1
	global_inv scope:SCOPE_SE
	scratch_load_b128 v[1:4], off, s68
	s_mov_b32 s0, exec_lo
	s_wait_loadcnt 0x0
	ds_store_b128 v5, v[1:4]
	s_wait_dscnt 0x0
	s_barrier_signal -1
	s_barrier_wait -1
	global_inv scope:SCOPE_SE
	v_cmpx_gt_u32_e32 10, v0
	s_cbranch_execz .LBB126_67
; %bb.64:
	v_dual_mov_b32 v1, 0 :: v_dual_add_nc_u32 v8, 0x3f0, v13
	v_mov_b32_e32 v3, 0
	v_dual_mov_b32 v2, 0 :: v_dual_add_nc_u32 v7, -1, v0
	v_mov_b32_e32 v4, 0
	v_or_b32_e32 v9, 8, v14
	s_mov_b32 s1, 0
.LBB126_65:                             ; =>This Inner Loop Header: Depth=1
	scratch_load_b128 v[15:18], v9, off offset:-8
	ds_load_b128 v[19:22], v8
	v_add_nc_u32_e32 v7, 1, v7
	v_add_nc_u32_e32 v8, 16, v8
	v_add_nc_u32_e32 v9, 16, v9
	s_delay_alu instid0(VALU_DEP_3)
	v_cmp_lt_u32_e32 vcc_lo, 8, v7
	s_wait_alu 0xfffe
	s_or_b32 s1, vcc_lo, s1
	s_wait_loadcnt_dscnt 0x0
	v_mul_f64_e32 v[10:11], v[21:22], v[17:18]
	v_mul_f64_e32 v[17:18], v[19:20], v[17:18]
	s_delay_alu instid0(VALU_DEP_2) | instskip(NEXT) | instid1(VALU_DEP_2)
	v_fma_f64 v[10:11], v[19:20], v[15:16], -v[10:11]
	v_fma_f64 v[15:16], v[21:22], v[15:16], v[17:18]
	s_delay_alu instid0(VALU_DEP_2) | instskip(NEXT) | instid1(VALU_DEP_2)
	v_add_f64_e32 v[3:4], v[3:4], v[10:11]
	v_add_f64_e32 v[1:2], v[1:2], v[15:16]
	s_wait_alu 0xfffe
	s_and_not1_b32 exec_lo, exec_lo, s1
	s_cbranch_execnz .LBB126_65
; %bb.66:
	s_or_b32 exec_lo, exec_lo, s1
	v_mov_b32_e32 v7, 0
	ds_load_b128 v[7:10], v7 offset:160
	s_wait_dscnt 0x0
	v_mul_f64_e32 v[11:12], v[1:2], v[9:10]
	v_mul_f64_e32 v[15:16], v[3:4], v[9:10]
	s_delay_alu instid0(VALU_DEP_2) | instskip(NEXT) | instid1(VALU_DEP_2)
	v_fma_f64 v[9:10], v[3:4], v[7:8], -v[11:12]
	v_fma_f64 v[11:12], v[1:2], v[7:8], v[15:16]
	scratch_store_b128 off, v[9:12], off offset:176
.LBB126_67:
	s_wait_alu 0xfffe
	;; [unrolled: 58-line block ×10, first 2 shown]
	s_or_b32 exec_lo, exec_lo, s0
	s_wait_loadcnt 0x0
	s_wait_storecnt 0x0
	s_barrier_signal -1
	s_barrier_wait -1
	global_inv scope:SCOPE_SE
	scratch_load_b128 v[1:4], off, s59
	s_mov_b32 s0, exec_lo
	s_wait_loadcnt 0x0
	ds_store_b128 v5, v[1:4]
	s_wait_dscnt 0x0
	s_barrier_signal -1
	s_barrier_wait -1
	global_inv scope:SCOPE_SE
	v_cmpx_gt_u32_e32 19, v0
	s_cbranch_execz .LBB126_103
; %bb.100:
	v_dual_mov_b32 v1, 0 :: v_dual_add_nc_u32 v8, 0x3f0, v13
	v_mov_b32_e32 v3, 0
	v_dual_mov_b32 v2, 0 :: v_dual_add_nc_u32 v7, -1, v0
	v_mov_b32_e32 v4, 0
	v_or_b32_e32 v9, 8, v14
	s_mov_b32 s1, 0
.LBB126_101:                            ; =>This Inner Loop Header: Depth=1
	scratch_load_b128 v[15:18], v9, off offset:-8
	ds_load_b128 v[19:22], v8
	v_add_nc_u32_e32 v7, 1, v7
	v_add_nc_u32_e32 v8, 16, v8
	v_add_nc_u32_e32 v9, 16, v9
	s_delay_alu instid0(VALU_DEP_3)
	v_cmp_lt_u32_e32 vcc_lo, 17, v7
	s_wait_alu 0xfffe
	s_or_b32 s1, vcc_lo, s1
	s_wait_loadcnt_dscnt 0x0
	v_mul_f64_e32 v[10:11], v[21:22], v[17:18]
	v_mul_f64_e32 v[17:18], v[19:20], v[17:18]
	s_delay_alu instid0(VALU_DEP_2) | instskip(NEXT) | instid1(VALU_DEP_2)
	v_fma_f64 v[10:11], v[19:20], v[15:16], -v[10:11]
	v_fma_f64 v[15:16], v[21:22], v[15:16], v[17:18]
	s_delay_alu instid0(VALU_DEP_2) | instskip(NEXT) | instid1(VALU_DEP_2)
	v_add_f64_e32 v[3:4], v[3:4], v[10:11]
	v_add_f64_e32 v[1:2], v[1:2], v[15:16]
	s_wait_alu 0xfffe
	s_and_not1_b32 exec_lo, exec_lo, s1
	s_cbranch_execnz .LBB126_101
; %bb.102:
	s_or_b32 exec_lo, exec_lo, s1
	v_mov_b32_e32 v7, 0
	ds_load_b128 v[7:10], v7 offset:304
	s_wait_dscnt 0x0
	v_mul_f64_e32 v[11:12], v[1:2], v[9:10]
	v_mul_f64_e32 v[15:16], v[3:4], v[9:10]
	s_delay_alu instid0(VALU_DEP_2) | instskip(NEXT) | instid1(VALU_DEP_2)
	v_fma_f64 v[9:10], v[3:4], v[7:8], -v[11:12]
	v_fma_f64 v[11:12], v[1:2], v[7:8], v[15:16]
	scratch_store_b128 off, v[9:12], off offset:320
.LBB126_103:
	s_wait_alu 0xfffe
	s_or_b32 exec_lo, exec_lo, s0
	s_wait_loadcnt 0x0
	s_wait_storecnt 0x0
	s_barrier_signal -1
	s_barrier_wait -1
	global_inv scope:SCOPE_SE
	scratch_load_b128 v[1:4], off, s58
	s_mov_b32 s0, exec_lo
	s_wait_loadcnt 0x0
	ds_store_b128 v5, v[1:4]
	s_wait_dscnt 0x0
	s_barrier_signal -1
	s_barrier_wait -1
	global_inv scope:SCOPE_SE
	v_cmpx_gt_u32_e32 20, v0
	s_cbranch_execz .LBB126_107
; %bb.104:
	v_dual_mov_b32 v1, 0 :: v_dual_add_nc_u32 v8, 0x3f0, v13
	v_mov_b32_e32 v3, 0
	v_dual_mov_b32 v2, 0 :: v_dual_add_nc_u32 v7, -1, v0
	v_mov_b32_e32 v4, 0
	v_or_b32_e32 v9, 8, v14
	s_mov_b32 s1, 0
.LBB126_105:                            ; =>This Inner Loop Header: Depth=1
	scratch_load_b128 v[15:18], v9, off offset:-8
	ds_load_b128 v[19:22], v8
	v_add_nc_u32_e32 v7, 1, v7
	v_add_nc_u32_e32 v8, 16, v8
	v_add_nc_u32_e32 v9, 16, v9
	s_delay_alu instid0(VALU_DEP_3)
	v_cmp_lt_u32_e32 vcc_lo, 18, v7
	s_wait_alu 0xfffe
	s_or_b32 s1, vcc_lo, s1
	s_wait_loadcnt_dscnt 0x0
	v_mul_f64_e32 v[10:11], v[21:22], v[17:18]
	v_mul_f64_e32 v[17:18], v[19:20], v[17:18]
	s_delay_alu instid0(VALU_DEP_2) | instskip(NEXT) | instid1(VALU_DEP_2)
	v_fma_f64 v[10:11], v[19:20], v[15:16], -v[10:11]
	v_fma_f64 v[15:16], v[21:22], v[15:16], v[17:18]
	s_delay_alu instid0(VALU_DEP_2) | instskip(NEXT) | instid1(VALU_DEP_2)
	v_add_f64_e32 v[3:4], v[3:4], v[10:11]
	v_add_f64_e32 v[1:2], v[1:2], v[15:16]
	s_wait_alu 0xfffe
	s_and_not1_b32 exec_lo, exec_lo, s1
	s_cbranch_execnz .LBB126_105
; %bb.106:
	s_or_b32 exec_lo, exec_lo, s1
	v_mov_b32_e32 v7, 0
	ds_load_b128 v[7:10], v7 offset:320
	s_wait_dscnt 0x0
	v_mul_f64_e32 v[11:12], v[1:2], v[9:10]
	v_mul_f64_e32 v[15:16], v[3:4], v[9:10]
	s_delay_alu instid0(VALU_DEP_2) | instskip(NEXT) | instid1(VALU_DEP_2)
	v_fma_f64 v[9:10], v[3:4], v[7:8], -v[11:12]
	v_fma_f64 v[11:12], v[1:2], v[7:8], v[15:16]
	scratch_store_b128 off, v[9:12], off offset:336
.LBB126_107:
	s_wait_alu 0xfffe
	;; [unrolled: 58-line block ×43, first 2 shown]
	s_or_b32 exec_lo, exec_lo, s0
	s_wait_loadcnt 0x0
	s_wait_storecnt 0x0
	s_barrier_signal -1
	s_barrier_wait -1
	global_inv scope:SCOPE_SE
	scratch_load_b128 v[1:4], off, s5
	s_mov_b32 s0, exec_lo
	s_wait_loadcnt 0x0
	ds_store_b128 v5, v[1:4]
	s_wait_dscnt 0x0
	s_barrier_signal -1
	s_barrier_wait -1
	global_inv scope:SCOPE_SE
	v_cmpx_ne_u32_e32 62, v0
	s_cbranch_execz .LBB126_275
; %bb.272:
	v_mov_b32_e32 v1, 0
	v_dual_mov_b32 v2, 0 :: v_dual_mov_b32 v3, 0
	v_mov_b32_e32 v4, 0
	v_or_b32_e32 v7, 8, v14
	s_mov_b32 s1, 0
.LBB126_273:                            ; =>This Inner Loop Header: Depth=1
	scratch_load_b128 v[8:11], v7, off offset:-8
	ds_load_b128 v[12:15], v5
	v_add_nc_u32_e32 v6, 1, v6
	v_add_nc_u32_e32 v5, 16, v5
	;; [unrolled: 1-line block ×3, first 2 shown]
	s_delay_alu instid0(VALU_DEP_3)
	v_cmp_lt_u32_e32 vcc_lo, 60, v6
	s_wait_alu 0xfffe
	s_or_b32 s1, vcc_lo, s1
	s_wait_loadcnt_dscnt 0x0
	v_mul_f64_e32 v[16:17], v[14:15], v[10:11]
	v_mul_f64_e32 v[10:11], v[12:13], v[10:11]
	s_delay_alu instid0(VALU_DEP_2) | instskip(NEXT) | instid1(VALU_DEP_2)
	v_fma_f64 v[12:13], v[12:13], v[8:9], -v[16:17]
	v_fma_f64 v[8:9], v[14:15], v[8:9], v[10:11]
	s_delay_alu instid0(VALU_DEP_2) | instskip(NEXT) | instid1(VALU_DEP_2)
	v_add_f64_e32 v[3:4], v[3:4], v[12:13]
	v_add_f64_e32 v[1:2], v[1:2], v[8:9]
	s_wait_alu 0xfffe
	s_and_not1_b32 exec_lo, exec_lo, s1
	s_cbranch_execnz .LBB126_273
; %bb.274:
	s_or_b32 exec_lo, exec_lo, s1
	v_mov_b32_e32 v5, 0
	ds_load_b128 v[5:8], v5 offset:992
	s_wait_dscnt 0x0
	v_mul_f64_e32 v[9:10], v[1:2], v[7:8]
	v_mul_f64_e32 v[7:8], v[3:4], v[7:8]
	s_delay_alu instid0(VALU_DEP_2) | instskip(NEXT) | instid1(VALU_DEP_2)
	v_fma_f64 v[3:4], v[3:4], v[5:6], -v[9:10]
	v_fma_f64 v[5:6], v[1:2], v[5:6], v[7:8]
	scratch_store_b128 off, v[3:6], off offset:1008
.LBB126_275:
	s_wait_alu 0xfffe
	s_or_b32 exec_lo, exec_lo, s0
	s_mov_b32 s1, -1
	s_wait_loadcnt 0x0
	s_wait_storecnt 0x0
	s_barrier_signal -1
	s_barrier_wait -1
	global_inv scope:SCOPE_SE
.LBB126_276:
	s_wait_alu 0xfffe
	s_and_b32 vcc_lo, exec_lo, s1
	s_wait_alu 0xfffe
	s_cbranch_vccz .LBB126_278
; %bb.277:
	v_mov_b32_e32 v1, 0
	s_lshl_b64 s[0:1], s[10:11], 2
	s_wait_alu 0xfffe
	s_add_nc_u64 s[0:1], s[6:7], s[0:1]
	global_load_b32 v1, v1, s[0:1]
	s_wait_loadcnt 0x0
	v_cmp_ne_u32_e32 vcc_lo, 0, v1
	s_cbranch_vccz .LBB126_279
.LBB126_278:
	s_nop 0
	s_sendmsg sendmsg(MSG_DEALLOC_VGPRS)
	s_endpgm
.LBB126_279:
	v_lshl_add_u32 v168, v0, 4, 0x3f0
	s_mov_b32 s0, exec_lo
	v_cmpx_eq_u32_e32 62, v0
	s_cbranch_execz .LBB126_281
; %bb.280:
	scratch_load_b128 v[1:4], off, s13
	v_mov_b32_e32 v5, 0
	s_delay_alu instid0(VALU_DEP_1)
	v_dual_mov_b32 v6, v5 :: v_dual_mov_b32 v7, v5
	v_mov_b32_e32 v8, v5
	scratch_store_b128 off, v[5:8], off offset:992
	s_wait_loadcnt 0x0
	ds_store_b128 v168, v[1:4]
.LBB126_281:
	s_wait_alu 0xfffe
	s_or_b32 exec_lo, exec_lo, s0
	s_wait_storecnt_dscnt 0x0
	s_barrier_signal -1
	s_barrier_wait -1
	global_inv scope:SCOPE_SE
	s_clause 0x1
	scratch_load_b128 v[2:5], off, off offset:1008
	scratch_load_b128 v[6:9], off, off offset:992
	v_mov_b32_e32 v1, 0
	s_mov_b32 s0, exec_lo
	ds_load_b128 v[10:13], v1 offset:2000
	s_wait_loadcnt_dscnt 0x100
	v_mul_f64_e32 v[14:15], v[12:13], v[4:5]
	v_mul_f64_e32 v[4:5], v[10:11], v[4:5]
	s_delay_alu instid0(VALU_DEP_2) | instskip(NEXT) | instid1(VALU_DEP_2)
	v_fma_f64 v[10:11], v[10:11], v[2:3], -v[14:15]
	v_fma_f64 v[2:3], v[12:13], v[2:3], v[4:5]
	s_delay_alu instid0(VALU_DEP_2) | instskip(NEXT) | instid1(VALU_DEP_2)
	v_add_f64_e32 v[4:5], 0, v[10:11]
	v_add_f64_e32 v[10:11], 0, v[2:3]
	s_wait_loadcnt 0x0
	s_delay_alu instid0(VALU_DEP_2) | instskip(NEXT) | instid1(VALU_DEP_2)
	v_add_f64_e64 v[2:3], v[6:7], -v[4:5]
	v_add_f64_e64 v[4:5], v[8:9], -v[10:11]
	scratch_store_b128 off, v[2:5], off offset:992
	v_cmpx_lt_u32_e32 60, v0
	s_cbranch_execz .LBB126_283
; %bb.282:
	scratch_load_b128 v[5:8], off, s16
	v_dual_mov_b32 v2, v1 :: v_dual_mov_b32 v3, v1
	v_mov_b32_e32 v4, v1
	scratch_store_b128 off, v[1:4], off offset:976
	s_wait_loadcnt 0x0
	ds_store_b128 v168, v[5:8]
.LBB126_283:
	s_wait_alu 0xfffe
	s_or_b32 exec_lo, exec_lo, s0
	s_wait_storecnt_dscnt 0x0
	s_barrier_signal -1
	s_barrier_wait -1
	global_inv scope:SCOPE_SE
	s_clause 0x2
	scratch_load_b128 v[2:5], off, off offset:992
	scratch_load_b128 v[6:9], off, off offset:1008
	;; [unrolled: 1-line block ×3, first 2 shown]
	ds_load_b128 v[14:17], v1 offset:1984
	ds_load_b128 v[18:21], v1 offset:2000
	s_mov_b32 s0, exec_lo
	s_wait_loadcnt_dscnt 0x201
	v_mul_f64_e32 v[22:23], v[16:17], v[4:5]
	v_mul_f64_e32 v[4:5], v[14:15], v[4:5]
	s_wait_loadcnt_dscnt 0x100
	v_mul_f64_e32 v[24:25], v[18:19], v[8:9]
	v_mul_f64_e32 v[8:9], v[20:21], v[8:9]
	s_delay_alu instid0(VALU_DEP_4) | instskip(NEXT) | instid1(VALU_DEP_4)
	v_fma_f64 v[14:15], v[14:15], v[2:3], -v[22:23]
	v_fma_f64 v[1:2], v[16:17], v[2:3], v[4:5]
	s_delay_alu instid0(VALU_DEP_4) | instskip(NEXT) | instid1(VALU_DEP_4)
	v_fma_f64 v[3:4], v[20:21], v[6:7], v[24:25]
	v_fma_f64 v[5:6], v[18:19], v[6:7], -v[8:9]
	s_delay_alu instid0(VALU_DEP_4) | instskip(NEXT) | instid1(VALU_DEP_4)
	v_add_f64_e32 v[7:8], 0, v[14:15]
	v_add_f64_e32 v[1:2], 0, v[1:2]
	s_delay_alu instid0(VALU_DEP_2) | instskip(NEXT) | instid1(VALU_DEP_2)
	v_add_f64_e32 v[5:6], v[7:8], v[5:6]
	v_add_f64_e32 v[3:4], v[1:2], v[3:4]
	s_wait_loadcnt 0x0
	s_delay_alu instid0(VALU_DEP_2) | instskip(NEXT) | instid1(VALU_DEP_2)
	v_add_f64_e64 v[1:2], v[10:11], -v[5:6]
	v_add_f64_e64 v[3:4], v[12:13], -v[3:4]
	scratch_store_b128 off, v[1:4], off offset:976
	v_cmpx_lt_u32_e32 59, v0
	s_cbranch_execz .LBB126_285
; %bb.284:
	scratch_load_b128 v[1:4], off, s18
	v_mov_b32_e32 v5, 0
	s_delay_alu instid0(VALU_DEP_1)
	v_dual_mov_b32 v6, v5 :: v_dual_mov_b32 v7, v5
	v_mov_b32_e32 v8, v5
	scratch_store_b128 off, v[5:8], off offset:960
	s_wait_loadcnt 0x0
	ds_store_b128 v168, v[1:4]
.LBB126_285:
	s_wait_alu 0xfffe
	s_or_b32 exec_lo, exec_lo, s0
	s_wait_storecnt_dscnt 0x0
	s_barrier_signal -1
	s_barrier_wait -1
	global_inv scope:SCOPE_SE
	s_clause 0x3
	scratch_load_b128 v[2:5], off, off offset:976
	scratch_load_b128 v[6:9], off, off offset:992
	;; [unrolled: 1-line block ×4, first 2 shown]
	v_mov_b32_e32 v1, 0
	ds_load_b128 v[18:21], v1 offset:1968
	ds_load_b128 v[22:25], v1 offset:1984
	s_mov_b32 s0, exec_lo
	s_wait_loadcnt_dscnt 0x301
	v_mul_f64_e32 v[26:27], v[20:21], v[4:5]
	v_mul_f64_e32 v[4:5], v[18:19], v[4:5]
	s_wait_loadcnt_dscnt 0x200
	v_mul_f64_e32 v[28:29], v[22:23], v[8:9]
	v_mul_f64_e32 v[8:9], v[24:25], v[8:9]
	s_delay_alu instid0(VALU_DEP_4) | instskip(NEXT) | instid1(VALU_DEP_4)
	v_fma_f64 v[18:19], v[18:19], v[2:3], -v[26:27]
	v_fma_f64 v[20:21], v[20:21], v[2:3], v[4:5]
	ds_load_b128 v[2:5], v1 offset:2000
	v_fma_f64 v[24:25], v[24:25], v[6:7], v[28:29]
	v_fma_f64 v[6:7], v[22:23], v[6:7], -v[8:9]
	s_wait_loadcnt_dscnt 0x100
	v_mul_f64_e32 v[26:27], v[2:3], v[12:13]
	v_mul_f64_e32 v[12:13], v[4:5], v[12:13]
	v_add_f64_e32 v[8:9], 0, v[18:19]
	v_add_f64_e32 v[18:19], 0, v[20:21]
	s_delay_alu instid0(VALU_DEP_4) | instskip(NEXT) | instid1(VALU_DEP_4)
	v_fma_f64 v[4:5], v[4:5], v[10:11], v[26:27]
	v_fma_f64 v[2:3], v[2:3], v[10:11], -v[12:13]
	s_delay_alu instid0(VALU_DEP_4) | instskip(NEXT) | instid1(VALU_DEP_4)
	v_add_f64_e32 v[6:7], v[8:9], v[6:7]
	v_add_f64_e32 v[8:9], v[18:19], v[24:25]
	s_delay_alu instid0(VALU_DEP_2) | instskip(NEXT) | instid1(VALU_DEP_2)
	v_add_f64_e32 v[2:3], v[6:7], v[2:3]
	v_add_f64_e32 v[4:5], v[8:9], v[4:5]
	s_wait_loadcnt 0x0
	s_delay_alu instid0(VALU_DEP_2) | instskip(NEXT) | instid1(VALU_DEP_2)
	v_add_f64_e64 v[2:3], v[14:15], -v[2:3]
	v_add_f64_e64 v[4:5], v[16:17], -v[4:5]
	scratch_store_b128 off, v[2:5], off offset:960
	v_cmpx_lt_u32_e32 58, v0
	s_cbranch_execz .LBB126_287
; %bb.286:
	scratch_load_b128 v[5:8], off, s19
	v_dual_mov_b32 v2, v1 :: v_dual_mov_b32 v3, v1
	v_mov_b32_e32 v4, v1
	scratch_store_b128 off, v[1:4], off offset:944
	s_wait_loadcnt 0x0
	ds_store_b128 v168, v[5:8]
.LBB126_287:
	s_wait_alu 0xfffe
	s_or_b32 exec_lo, exec_lo, s0
	s_wait_storecnt_dscnt 0x0
	s_barrier_signal -1
	s_barrier_wait -1
	global_inv scope:SCOPE_SE
	s_clause 0x4
	scratch_load_b128 v[2:5], off, off offset:960
	scratch_load_b128 v[6:9], off, off offset:976
	;; [unrolled: 1-line block ×5, first 2 shown]
	ds_load_b128 v[22:25], v1 offset:1952
	ds_load_b128 v[26:29], v1 offset:1968
	s_mov_b32 s0, exec_lo
	s_wait_loadcnt_dscnt 0x401
	v_mul_f64_e32 v[30:31], v[24:25], v[4:5]
	v_mul_f64_e32 v[4:5], v[22:23], v[4:5]
	s_wait_loadcnt_dscnt 0x300
	v_mul_f64_e32 v[32:33], v[26:27], v[8:9]
	v_mul_f64_e32 v[8:9], v[28:29], v[8:9]
	s_delay_alu instid0(VALU_DEP_4) | instskip(NEXT) | instid1(VALU_DEP_4)
	v_fma_f64 v[30:31], v[22:23], v[2:3], -v[30:31]
	v_fma_f64 v[34:35], v[24:25], v[2:3], v[4:5]
	ds_load_b128 v[2:5], v1 offset:1984
	ds_load_b128 v[22:25], v1 offset:2000
	v_fma_f64 v[28:29], v[28:29], v[6:7], v[32:33]
	v_fma_f64 v[6:7], v[26:27], v[6:7], -v[8:9]
	s_wait_loadcnt_dscnt 0x201
	v_mul_f64_e32 v[36:37], v[2:3], v[12:13]
	v_mul_f64_e32 v[12:13], v[4:5], v[12:13]
	v_add_f64_e32 v[8:9], 0, v[30:31]
	v_add_f64_e32 v[26:27], 0, v[34:35]
	s_wait_loadcnt_dscnt 0x100
	v_mul_f64_e32 v[30:31], v[22:23], v[16:17]
	v_mul_f64_e32 v[16:17], v[24:25], v[16:17]
	v_fma_f64 v[4:5], v[4:5], v[10:11], v[36:37]
	v_fma_f64 v[1:2], v[2:3], v[10:11], -v[12:13]
	v_add_f64_e32 v[6:7], v[8:9], v[6:7]
	v_add_f64_e32 v[8:9], v[26:27], v[28:29]
	v_fma_f64 v[10:11], v[24:25], v[14:15], v[30:31]
	v_fma_f64 v[12:13], v[22:23], v[14:15], -v[16:17]
	s_delay_alu instid0(VALU_DEP_4) | instskip(NEXT) | instid1(VALU_DEP_4)
	v_add_f64_e32 v[1:2], v[6:7], v[1:2]
	v_add_f64_e32 v[3:4], v[8:9], v[4:5]
	s_delay_alu instid0(VALU_DEP_2) | instskip(NEXT) | instid1(VALU_DEP_2)
	v_add_f64_e32 v[1:2], v[1:2], v[12:13]
	v_add_f64_e32 v[3:4], v[3:4], v[10:11]
	s_wait_loadcnt 0x0
	s_delay_alu instid0(VALU_DEP_2) | instskip(NEXT) | instid1(VALU_DEP_2)
	v_add_f64_e64 v[1:2], v[18:19], -v[1:2]
	v_add_f64_e64 v[3:4], v[20:21], -v[3:4]
	scratch_store_b128 off, v[1:4], off offset:944
	v_cmpx_lt_u32_e32 57, v0
	s_cbranch_execz .LBB126_289
; %bb.288:
	scratch_load_b128 v[1:4], off, s20
	v_mov_b32_e32 v5, 0
	s_delay_alu instid0(VALU_DEP_1)
	v_dual_mov_b32 v6, v5 :: v_dual_mov_b32 v7, v5
	v_mov_b32_e32 v8, v5
	scratch_store_b128 off, v[5:8], off offset:928
	s_wait_loadcnt 0x0
	ds_store_b128 v168, v[1:4]
.LBB126_289:
	s_wait_alu 0xfffe
	s_or_b32 exec_lo, exec_lo, s0
	s_wait_storecnt_dscnt 0x0
	s_barrier_signal -1
	s_barrier_wait -1
	global_inv scope:SCOPE_SE
	s_clause 0x5
	scratch_load_b128 v[2:5], off, off offset:944
	scratch_load_b128 v[6:9], off, off offset:960
	;; [unrolled: 1-line block ×6, first 2 shown]
	v_mov_b32_e32 v1, 0
	ds_load_b128 v[26:29], v1 offset:1936
	ds_load_b128 v[30:33], v1 offset:1952
	s_mov_b32 s0, exec_lo
	s_wait_loadcnt_dscnt 0x501
	v_mul_f64_e32 v[34:35], v[28:29], v[4:5]
	v_mul_f64_e32 v[4:5], v[26:27], v[4:5]
	s_wait_loadcnt_dscnt 0x400
	v_mul_f64_e32 v[36:37], v[30:31], v[8:9]
	v_mul_f64_e32 v[8:9], v[32:33], v[8:9]
	s_delay_alu instid0(VALU_DEP_4) | instskip(NEXT) | instid1(VALU_DEP_4)
	v_fma_f64 v[34:35], v[26:27], v[2:3], -v[34:35]
	v_fma_f64 v[38:39], v[28:29], v[2:3], v[4:5]
	ds_load_b128 v[2:5], v1 offset:1968
	ds_load_b128 v[26:29], v1 offset:1984
	v_fma_f64 v[32:33], v[32:33], v[6:7], v[36:37]
	v_fma_f64 v[6:7], v[30:31], v[6:7], -v[8:9]
	s_wait_loadcnt_dscnt 0x301
	v_mul_f64_e32 v[40:41], v[2:3], v[12:13]
	v_mul_f64_e32 v[12:13], v[4:5], v[12:13]
	v_add_f64_e32 v[8:9], 0, v[34:35]
	v_add_f64_e32 v[30:31], 0, v[38:39]
	s_wait_loadcnt_dscnt 0x200
	v_mul_f64_e32 v[34:35], v[26:27], v[16:17]
	v_mul_f64_e32 v[16:17], v[28:29], v[16:17]
	v_fma_f64 v[36:37], v[4:5], v[10:11], v[40:41]
	v_fma_f64 v[10:11], v[2:3], v[10:11], -v[12:13]
	ds_load_b128 v[2:5], v1 offset:2000
	v_add_f64_e32 v[6:7], v[8:9], v[6:7]
	v_add_f64_e32 v[8:9], v[30:31], v[32:33]
	v_fma_f64 v[28:29], v[28:29], v[14:15], v[34:35]
	v_fma_f64 v[14:15], v[26:27], v[14:15], -v[16:17]
	s_wait_loadcnt_dscnt 0x100
	v_mul_f64_e32 v[12:13], v[2:3], v[20:21]
	v_mul_f64_e32 v[20:21], v[4:5], v[20:21]
	v_add_f64_e32 v[6:7], v[6:7], v[10:11]
	v_add_f64_e32 v[8:9], v[8:9], v[36:37]
	s_delay_alu instid0(VALU_DEP_4) | instskip(NEXT) | instid1(VALU_DEP_4)
	v_fma_f64 v[4:5], v[4:5], v[18:19], v[12:13]
	v_fma_f64 v[2:3], v[2:3], v[18:19], -v[20:21]
	s_delay_alu instid0(VALU_DEP_4) | instskip(NEXT) | instid1(VALU_DEP_4)
	v_add_f64_e32 v[6:7], v[6:7], v[14:15]
	v_add_f64_e32 v[8:9], v[8:9], v[28:29]
	s_delay_alu instid0(VALU_DEP_2) | instskip(NEXT) | instid1(VALU_DEP_2)
	v_add_f64_e32 v[2:3], v[6:7], v[2:3]
	v_add_f64_e32 v[4:5], v[8:9], v[4:5]
	s_wait_loadcnt 0x0
	s_delay_alu instid0(VALU_DEP_2) | instskip(NEXT) | instid1(VALU_DEP_2)
	v_add_f64_e64 v[2:3], v[22:23], -v[2:3]
	v_add_f64_e64 v[4:5], v[24:25], -v[4:5]
	scratch_store_b128 off, v[2:5], off offset:928
	v_cmpx_lt_u32_e32 56, v0
	s_cbranch_execz .LBB126_291
; %bb.290:
	scratch_load_b128 v[5:8], off, s21
	v_dual_mov_b32 v2, v1 :: v_dual_mov_b32 v3, v1
	v_mov_b32_e32 v4, v1
	scratch_store_b128 off, v[1:4], off offset:912
	s_wait_loadcnt 0x0
	ds_store_b128 v168, v[5:8]
.LBB126_291:
	s_wait_alu 0xfffe
	s_or_b32 exec_lo, exec_lo, s0
	s_wait_storecnt_dscnt 0x0
	s_barrier_signal -1
	s_barrier_wait -1
	global_inv scope:SCOPE_SE
	s_clause 0x5
	scratch_load_b128 v[2:5], off, off offset:928
	scratch_load_b128 v[6:9], off, off offset:944
	;; [unrolled: 1-line block ×6, first 2 shown]
	ds_load_b128 v[26:29], v1 offset:1920
	ds_load_b128 v[34:37], v1 offset:1936
	scratch_load_b128 v[30:33], off, off offset:912
	s_mov_b32 s0, exec_lo
	s_wait_loadcnt_dscnt 0x601
	v_mul_f64_e32 v[38:39], v[28:29], v[4:5]
	v_mul_f64_e32 v[4:5], v[26:27], v[4:5]
	s_wait_loadcnt_dscnt 0x500
	v_mul_f64_e32 v[40:41], v[34:35], v[8:9]
	v_mul_f64_e32 v[8:9], v[36:37], v[8:9]
	s_delay_alu instid0(VALU_DEP_4) | instskip(NEXT) | instid1(VALU_DEP_4)
	v_fma_f64 v[38:39], v[26:27], v[2:3], -v[38:39]
	v_fma_f64 v[169:170], v[28:29], v[2:3], v[4:5]
	ds_load_b128 v[2:5], v1 offset:1952
	ds_load_b128 v[26:29], v1 offset:1968
	v_fma_f64 v[36:37], v[36:37], v[6:7], v[40:41]
	v_fma_f64 v[6:7], v[34:35], v[6:7], -v[8:9]
	s_wait_loadcnt_dscnt 0x401
	v_mul_f64_e32 v[171:172], v[2:3], v[12:13]
	v_mul_f64_e32 v[12:13], v[4:5], v[12:13]
	v_add_f64_e32 v[8:9], 0, v[38:39]
	v_add_f64_e32 v[34:35], 0, v[169:170]
	s_wait_loadcnt_dscnt 0x300
	v_mul_f64_e32 v[38:39], v[26:27], v[16:17]
	v_mul_f64_e32 v[16:17], v[28:29], v[16:17]
	v_fma_f64 v[40:41], v[4:5], v[10:11], v[171:172]
	v_fma_f64 v[10:11], v[2:3], v[10:11], -v[12:13]
	v_add_f64_e32 v[12:13], v[8:9], v[6:7]
	v_add_f64_e32 v[34:35], v[34:35], v[36:37]
	ds_load_b128 v[2:5], v1 offset:1984
	ds_load_b128 v[6:9], v1 offset:2000
	v_fma_f64 v[28:29], v[28:29], v[14:15], v[38:39]
	v_fma_f64 v[14:15], v[26:27], v[14:15], -v[16:17]
	s_wait_loadcnt_dscnt 0x201
	v_mul_f64_e32 v[36:37], v[2:3], v[20:21]
	v_mul_f64_e32 v[20:21], v[4:5], v[20:21]
	s_wait_loadcnt_dscnt 0x100
	v_mul_f64_e32 v[16:17], v[6:7], v[24:25]
	v_mul_f64_e32 v[24:25], v[8:9], v[24:25]
	v_add_f64_e32 v[10:11], v[12:13], v[10:11]
	v_add_f64_e32 v[12:13], v[34:35], v[40:41]
	v_fma_f64 v[4:5], v[4:5], v[18:19], v[36:37]
	v_fma_f64 v[1:2], v[2:3], v[18:19], -v[20:21]
	v_fma_f64 v[8:9], v[8:9], v[22:23], v[16:17]
	v_fma_f64 v[6:7], v[6:7], v[22:23], -v[24:25]
	v_add_f64_e32 v[10:11], v[10:11], v[14:15]
	v_add_f64_e32 v[12:13], v[12:13], v[28:29]
	s_delay_alu instid0(VALU_DEP_2) | instskip(NEXT) | instid1(VALU_DEP_2)
	v_add_f64_e32 v[1:2], v[10:11], v[1:2]
	v_add_f64_e32 v[3:4], v[12:13], v[4:5]
	s_delay_alu instid0(VALU_DEP_2) | instskip(NEXT) | instid1(VALU_DEP_2)
	v_add_f64_e32 v[1:2], v[1:2], v[6:7]
	v_add_f64_e32 v[3:4], v[3:4], v[8:9]
	s_wait_loadcnt 0x0
	s_delay_alu instid0(VALU_DEP_2) | instskip(NEXT) | instid1(VALU_DEP_2)
	v_add_f64_e64 v[1:2], v[30:31], -v[1:2]
	v_add_f64_e64 v[3:4], v[32:33], -v[3:4]
	scratch_store_b128 off, v[1:4], off offset:912
	v_cmpx_lt_u32_e32 55, v0
	s_cbranch_execz .LBB126_293
; %bb.292:
	scratch_load_b128 v[1:4], off, s22
	v_mov_b32_e32 v5, 0
	s_delay_alu instid0(VALU_DEP_1)
	v_dual_mov_b32 v6, v5 :: v_dual_mov_b32 v7, v5
	v_mov_b32_e32 v8, v5
	scratch_store_b128 off, v[5:8], off offset:896
	s_wait_loadcnt 0x0
	ds_store_b128 v168, v[1:4]
.LBB126_293:
	s_wait_alu 0xfffe
	s_or_b32 exec_lo, exec_lo, s0
	s_wait_storecnt_dscnt 0x0
	s_barrier_signal -1
	s_barrier_wait -1
	global_inv scope:SCOPE_SE
	s_clause 0x6
	scratch_load_b128 v[2:5], off, off offset:912
	scratch_load_b128 v[6:9], off, off offset:928
	;; [unrolled: 1-line block ×7, first 2 shown]
	v_mov_b32_e32 v1, 0
	scratch_load_b128 v[34:37], off, off offset:896
	s_mov_b32 s0, exec_lo
	ds_load_b128 v[30:33], v1 offset:1904
	ds_load_b128 v[38:41], v1 offset:1920
	s_wait_loadcnt_dscnt 0x701
	v_mul_f64_e32 v[169:170], v[32:33], v[4:5]
	v_mul_f64_e32 v[4:5], v[30:31], v[4:5]
	s_wait_loadcnt_dscnt 0x600
	v_mul_f64_e32 v[171:172], v[38:39], v[8:9]
	v_mul_f64_e32 v[8:9], v[40:41], v[8:9]
	s_delay_alu instid0(VALU_DEP_4) | instskip(NEXT) | instid1(VALU_DEP_4)
	v_fma_f64 v[169:170], v[30:31], v[2:3], -v[169:170]
	v_fma_f64 v[173:174], v[32:33], v[2:3], v[4:5]
	ds_load_b128 v[2:5], v1 offset:1936
	ds_load_b128 v[30:33], v1 offset:1952
	v_fma_f64 v[40:41], v[40:41], v[6:7], v[171:172]
	v_fma_f64 v[6:7], v[38:39], v[6:7], -v[8:9]
	s_wait_loadcnt_dscnt 0x501
	v_mul_f64_e32 v[175:176], v[2:3], v[12:13]
	v_mul_f64_e32 v[12:13], v[4:5], v[12:13]
	v_add_f64_e32 v[8:9], 0, v[169:170]
	v_add_f64_e32 v[38:39], 0, v[173:174]
	s_wait_loadcnt_dscnt 0x400
	v_mul_f64_e32 v[169:170], v[30:31], v[16:17]
	v_mul_f64_e32 v[16:17], v[32:33], v[16:17]
	v_fma_f64 v[171:172], v[4:5], v[10:11], v[175:176]
	v_fma_f64 v[10:11], v[2:3], v[10:11], -v[12:13]
	v_add_f64_e32 v[12:13], v[8:9], v[6:7]
	v_add_f64_e32 v[38:39], v[38:39], v[40:41]
	ds_load_b128 v[2:5], v1 offset:1968
	ds_load_b128 v[6:9], v1 offset:1984
	v_fma_f64 v[32:33], v[32:33], v[14:15], v[169:170]
	v_fma_f64 v[14:15], v[30:31], v[14:15], -v[16:17]
	s_wait_loadcnt_dscnt 0x301
	v_mul_f64_e32 v[40:41], v[2:3], v[20:21]
	v_mul_f64_e32 v[20:21], v[4:5], v[20:21]
	s_wait_loadcnt_dscnt 0x200
	v_mul_f64_e32 v[16:17], v[6:7], v[24:25]
	v_mul_f64_e32 v[24:25], v[8:9], v[24:25]
	v_add_f64_e32 v[10:11], v[12:13], v[10:11]
	v_add_f64_e32 v[12:13], v[38:39], v[171:172]
	v_fma_f64 v[30:31], v[4:5], v[18:19], v[40:41]
	v_fma_f64 v[18:19], v[2:3], v[18:19], -v[20:21]
	ds_load_b128 v[2:5], v1 offset:2000
	v_fma_f64 v[8:9], v[8:9], v[22:23], v[16:17]
	v_fma_f64 v[6:7], v[6:7], v[22:23], -v[24:25]
	v_add_f64_e32 v[10:11], v[10:11], v[14:15]
	v_add_f64_e32 v[12:13], v[12:13], v[32:33]
	s_wait_loadcnt_dscnt 0x100
	v_mul_f64_e32 v[14:15], v[2:3], v[28:29]
	v_mul_f64_e32 v[20:21], v[4:5], v[28:29]
	s_delay_alu instid0(VALU_DEP_4) | instskip(NEXT) | instid1(VALU_DEP_4)
	v_add_f64_e32 v[10:11], v[10:11], v[18:19]
	v_add_f64_e32 v[12:13], v[12:13], v[30:31]
	s_delay_alu instid0(VALU_DEP_4) | instskip(NEXT) | instid1(VALU_DEP_4)
	v_fma_f64 v[4:5], v[4:5], v[26:27], v[14:15]
	v_fma_f64 v[2:3], v[2:3], v[26:27], -v[20:21]
	s_delay_alu instid0(VALU_DEP_4) | instskip(NEXT) | instid1(VALU_DEP_4)
	v_add_f64_e32 v[6:7], v[10:11], v[6:7]
	v_add_f64_e32 v[8:9], v[12:13], v[8:9]
	s_delay_alu instid0(VALU_DEP_2) | instskip(NEXT) | instid1(VALU_DEP_2)
	v_add_f64_e32 v[2:3], v[6:7], v[2:3]
	v_add_f64_e32 v[4:5], v[8:9], v[4:5]
	s_wait_loadcnt 0x0
	s_delay_alu instid0(VALU_DEP_2) | instskip(NEXT) | instid1(VALU_DEP_2)
	v_add_f64_e64 v[2:3], v[34:35], -v[2:3]
	v_add_f64_e64 v[4:5], v[36:37], -v[4:5]
	scratch_store_b128 off, v[2:5], off offset:896
	v_cmpx_lt_u32_e32 54, v0
	s_cbranch_execz .LBB126_295
; %bb.294:
	scratch_load_b128 v[5:8], off, s23
	v_dual_mov_b32 v2, v1 :: v_dual_mov_b32 v3, v1
	v_mov_b32_e32 v4, v1
	scratch_store_b128 off, v[1:4], off offset:880
	s_wait_loadcnt 0x0
	ds_store_b128 v168, v[5:8]
.LBB126_295:
	s_wait_alu 0xfffe
	s_or_b32 exec_lo, exec_lo, s0
	s_wait_storecnt_dscnt 0x0
	s_barrier_signal -1
	s_barrier_wait -1
	global_inv scope:SCOPE_SE
	s_clause 0x7
	scratch_load_b128 v[2:5], off, off offset:896
	scratch_load_b128 v[6:9], off, off offset:912
	;; [unrolled: 1-line block ×8, first 2 shown]
	ds_load_b128 v[34:37], v1 offset:1888
	ds_load_b128 v[38:41], v1 offset:1904
	scratch_load_b128 v[169:172], off, off offset:880
	s_mov_b32 s0, exec_lo
	s_wait_loadcnt_dscnt 0x801
	v_mul_f64_e32 v[173:174], v[36:37], v[4:5]
	v_mul_f64_e32 v[4:5], v[34:35], v[4:5]
	s_wait_loadcnt_dscnt 0x700
	v_mul_f64_e32 v[175:176], v[38:39], v[8:9]
	v_mul_f64_e32 v[8:9], v[40:41], v[8:9]
	s_delay_alu instid0(VALU_DEP_4) | instskip(NEXT) | instid1(VALU_DEP_4)
	v_fma_f64 v[173:174], v[34:35], v[2:3], -v[173:174]
	v_fma_f64 v[177:178], v[36:37], v[2:3], v[4:5]
	ds_load_b128 v[2:5], v1 offset:1920
	ds_load_b128 v[34:37], v1 offset:1936
	v_fma_f64 v[40:41], v[40:41], v[6:7], v[175:176]
	v_fma_f64 v[6:7], v[38:39], v[6:7], -v[8:9]
	s_wait_loadcnt_dscnt 0x601
	v_mul_f64_e32 v[179:180], v[2:3], v[12:13]
	v_mul_f64_e32 v[12:13], v[4:5], v[12:13]
	v_add_f64_e32 v[8:9], 0, v[173:174]
	v_add_f64_e32 v[38:39], 0, v[177:178]
	s_wait_loadcnt_dscnt 0x500
	v_mul_f64_e32 v[173:174], v[34:35], v[16:17]
	v_mul_f64_e32 v[16:17], v[36:37], v[16:17]
	v_fma_f64 v[175:176], v[4:5], v[10:11], v[179:180]
	v_fma_f64 v[10:11], v[2:3], v[10:11], -v[12:13]
	v_add_f64_e32 v[12:13], v[8:9], v[6:7]
	v_add_f64_e32 v[38:39], v[38:39], v[40:41]
	ds_load_b128 v[2:5], v1 offset:1952
	ds_load_b128 v[6:9], v1 offset:1968
	v_fma_f64 v[36:37], v[36:37], v[14:15], v[173:174]
	v_fma_f64 v[14:15], v[34:35], v[14:15], -v[16:17]
	s_wait_loadcnt_dscnt 0x401
	v_mul_f64_e32 v[40:41], v[2:3], v[20:21]
	v_mul_f64_e32 v[20:21], v[4:5], v[20:21]
	s_wait_loadcnt_dscnt 0x300
	v_mul_f64_e32 v[16:17], v[6:7], v[24:25]
	v_mul_f64_e32 v[24:25], v[8:9], v[24:25]
	v_add_f64_e32 v[10:11], v[12:13], v[10:11]
	v_add_f64_e32 v[12:13], v[38:39], v[175:176]
	v_fma_f64 v[34:35], v[4:5], v[18:19], v[40:41]
	v_fma_f64 v[18:19], v[2:3], v[18:19], -v[20:21]
	v_fma_f64 v[8:9], v[8:9], v[22:23], v[16:17]
	v_fma_f64 v[6:7], v[6:7], v[22:23], -v[24:25]
	v_add_f64_e32 v[14:15], v[10:11], v[14:15]
	v_add_f64_e32 v[20:21], v[12:13], v[36:37]
	ds_load_b128 v[2:5], v1 offset:1984
	ds_load_b128 v[10:13], v1 offset:2000
	s_wait_loadcnt_dscnt 0x201
	v_mul_f64_e32 v[36:37], v[2:3], v[28:29]
	v_mul_f64_e32 v[28:29], v[4:5], v[28:29]
	v_add_f64_e32 v[14:15], v[14:15], v[18:19]
	v_add_f64_e32 v[16:17], v[20:21], v[34:35]
	s_wait_loadcnt_dscnt 0x100
	v_mul_f64_e32 v[18:19], v[10:11], v[32:33]
	v_mul_f64_e32 v[20:21], v[12:13], v[32:33]
	v_fma_f64 v[4:5], v[4:5], v[26:27], v[36:37]
	v_fma_f64 v[1:2], v[2:3], v[26:27], -v[28:29]
	v_add_f64_e32 v[6:7], v[14:15], v[6:7]
	v_add_f64_e32 v[8:9], v[16:17], v[8:9]
	v_fma_f64 v[12:13], v[12:13], v[30:31], v[18:19]
	v_fma_f64 v[10:11], v[10:11], v[30:31], -v[20:21]
	s_delay_alu instid0(VALU_DEP_4) | instskip(NEXT) | instid1(VALU_DEP_4)
	v_add_f64_e32 v[1:2], v[6:7], v[1:2]
	v_add_f64_e32 v[3:4], v[8:9], v[4:5]
	s_delay_alu instid0(VALU_DEP_2) | instskip(NEXT) | instid1(VALU_DEP_2)
	v_add_f64_e32 v[1:2], v[1:2], v[10:11]
	v_add_f64_e32 v[3:4], v[3:4], v[12:13]
	s_wait_loadcnt 0x0
	s_delay_alu instid0(VALU_DEP_2) | instskip(NEXT) | instid1(VALU_DEP_2)
	v_add_f64_e64 v[1:2], v[169:170], -v[1:2]
	v_add_f64_e64 v[3:4], v[171:172], -v[3:4]
	scratch_store_b128 off, v[1:4], off offset:880
	v_cmpx_lt_u32_e32 53, v0
	s_cbranch_execz .LBB126_297
; %bb.296:
	scratch_load_b128 v[1:4], off, s24
	v_mov_b32_e32 v5, 0
	s_delay_alu instid0(VALU_DEP_1)
	v_dual_mov_b32 v6, v5 :: v_dual_mov_b32 v7, v5
	v_mov_b32_e32 v8, v5
	scratch_store_b128 off, v[5:8], off offset:864
	s_wait_loadcnt 0x0
	ds_store_b128 v168, v[1:4]
.LBB126_297:
	s_wait_alu 0xfffe
	s_or_b32 exec_lo, exec_lo, s0
	s_wait_storecnt_dscnt 0x0
	s_barrier_signal -1
	s_barrier_wait -1
	global_inv scope:SCOPE_SE
	s_clause 0x7
	scratch_load_b128 v[2:5], off, off offset:880
	scratch_load_b128 v[6:9], off, off offset:896
	;; [unrolled: 1-line block ×8, first 2 shown]
	v_mov_b32_e32 v1, 0
	s_mov_b32 s0, exec_lo
	ds_load_b128 v[34:37], v1 offset:1872
	s_clause 0x1
	scratch_load_b128 v[38:41], off, off offset:1008
	scratch_load_b128 v[169:172], off, off offset:864
	ds_load_b128 v[173:176], v1 offset:1888
	s_wait_loadcnt_dscnt 0x901
	v_mul_f64_e32 v[177:178], v[36:37], v[4:5]
	v_mul_f64_e32 v[4:5], v[34:35], v[4:5]
	s_wait_loadcnt_dscnt 0x800
	v_mul_f64_e32 v[179:180], v[173:174], v[8:9]
	v_mul_f64_e32 v[8:9], v[175:176], v[8:9]
	s_delay_alu instid0(VALU_DEP_4) | instskip(NEXT) | instid1(VALU_DEP_4)
	v_fma_f64 v[177:178], v[34:35], v[2:3], -v[177:178]
	v_fma_f64 v[181:182], v[36:37], v[2:3], v[4:5]
	ds_load_b128 v[2:5], v1 offset:1904
	ds_load_b128 v[34:37], v1 offset:1920
	v_fma_f64 v[175:176], v[175:176], v[6:7], v[179:180]
	v_fma_f64 v[6:7], v[173:174], v[6:7], -v[8:9]
	s_wait_loadcnt_dscnt 0x701
	v_mul_f64_e32 v[183:184], v[2:3], v[12:13]
	v_mul_f64_e32 v[12:13], v[4:5], v[12:13]
	v_add_f64_e32 v[8:9], 0, v[177:178]
	v_add_f64_e32 v[173:174], 0, v[181:182]
	s_wait_loadcnt_dscnt 0x600
	v_mul_f64_e32 v[177:178], v[34:35], v[16:17]
	v_mul_f64_e32 v[16:17], v[36:37], v[16:17]
	v_fma_f64 v[179:180], v[4:5], v[10:11], v[183:184]
	v_fma_f64 v[10:11], v[2:3], v[10:11], -v[12:13]
	v_add_f64_e32 v[12:13], v[8:9], v[6:7]
	v_add_f64_e32 v[173:174], v[173:174], v[175:176]
	ds_load_b128 v[2:5], v1 offset:1936
	ds_load_b128 v[6:9], v1 offset:1952
	v_fma_f64 v[36:37], v[36:37], v[14:15], v[177:178]
	v_fma_f64 v[14:15], v[34:35], v[14:15], -v[16:17]
	s_wait_loadcnt_dscnt 0x501
	v_mul_f64_e32 v[175:176], v[2:3], v[20:21]
	v_mul_f64_e32 v[20:21], v[4:5], v[20:21]
	s_wait_loadcnt_dscnt 0x400
	v_mul_f64_e32 v[16:17], v[6:7], v[24:25]
	v_mul_f64_e32 v[24:25], v[8:9], v[24:25]
	v_add_f64_e32 v[10:11], v[12:13], v[10:11]
	v_add_f64_e32 v[12:13], v[173:174], v[179:180]
	v_fma_f64 v[34:35], v[4:5], v[18:19], v[175:176]
	v_fma_f64 v[18:19], v[2:3], v[18:19], -v[20:21]
	v_fma_f64 v[8:9], v[8:9], v[22:23], v[16:17]
	v_fma_f64 v[6:7], v[6:7], v[22:23], -v[24:25]
	v_add_f64_e32 v[14:15], v[10:11], v[14:15]
	v_add_f64_e32 v[20:21], v[12:13], v[36:37]
	ds_load_b128 v[2:5], v1 offset:1968
	ds_load_b128 v[10:13], v1 offset:1984
	s_wait_loadcnt_dscnt 0x301
	v_mul_f64_e32 v[36:37], v[2:3], v[28:29]
	v_mul_f64_e32 v[28:29], v[4:5], v[28:29]
	v_add_f64_e32 v[14:15], v[14:15], v[18:19]
	v_add_f64_e32 v[16:17], v[20:21], v[34:35]
	s_wait_loadcnt_dscnt 0x200
	v_mul_f64_e32 v[18:19], v[10:11], v[32:33]
	v_mul_f64_e32 v[20:21], v[12:13], v[32:33]
	v_fma_f64 v[22:23], v[4:5], v[26:27], v[36:37]
	v_fma_f64 v[24:25], v[2:3], v[26:27], -v[28:29]
	ds_load_b128 v[2:5], v1 offset:2000
	v_add_f64_e32 v[6:7], v[14:15], v[6:7]
	v_add_f64_e32 v[8:9], v[16:17], v[8:9]
	v_fma_f64 v[12:13], v[12:13], v[30:31], v[18:19]
	v_fma_f64 v[10:11], v[10:11], v[30:31], -v[20:21]
	s_wait_loadcnt_dscnt 0x100
	v_mul_f64_e32 v[14:15], v[2:3], v[40:41]
	v_mul_f64_e32 v[16:17], v[4:5], v[40:41]
	v_add_f64_e32 v[6:7], v[6:7], v[24:25]
	v_add_f64_e32 v[8:9], v[8:9], v[22:23]
	s_delay_alu instid0(VALU_DEP_4) | instskip(NEXT) | instid1(VALU_DEP_4)
	v_fma_f64 v[4:5], v[4:5], v[38:39], v[14:15]
	v_fma_f64 v[2:3], v[2:3], v[38:39], -v[16:17]
	s_delay_alu instid0(VALU_DEP_4) | instskip(NEXT) | instid1(VALU_DEP_4)
	v_add_f64_e32 v[6:7], v[6:7], v[10:11]
	v_add_f64_e32 v[8:9], v[8:9], v[12:13]
	s_delay_alu instid0(VALU_DEP_2) | instskip(NEXT) | instid1(VALU_DEP_2)
	v_add_f64_e32 v[2:3], v[6:7], v[2:3]
	v_add_f64_e32 v[4:5], v[8:9], v[4:5]
	s_wait_loadcnt 0x0
	s_delay_alu instid0(VALU_DEP_2) | instskip(NEXT) | instid1(VALU_DEP_2)
	v_add_f64_e64 v[2:3], v[169:170], -v[2:3]
	v_add_f64_e64 v[4:5], v[171:172], -v[4:5]
	scratch_store_b128 off, v[2:5], off offset:864
	v_cmpx_lt_u32_e32 52, v0
	s_cbranch_execz .LBB126_299
; %bb.298:
	scratch_load_b128 v[5:8], off, s25
	v_dual_mov_b32 v2, v1 :: v_dual_mov_b32 v3, v1
	v_mov_b32_e32 v4, v1
	scratch_store_b128 off, v[1:4], off offset:848
	s_wait_loadcnt 0x0
	ds_store_b128 v168, v[5:8]
.LBB126_299:
	s_wait_alu 0xfffe
	s_or_b32 exec_lo, exec_lo, s0
	s_wait_storecnt_dscnt 0x0
	s_barrier_signal -1
	s_barrier_wait -1
	global_inv scope:SCOPE_SE
	s_clause 0x8
	scratch_load_b128 v[2:5], off, off offset:864
	scratch_load_b128 v[6:9], off, off offset:880
	;; [unrolled: 1-line block ×9, first 2 shown]
	ds_load_b128 v[38:41], v1 offset:1856
	ds_load_b128 v[169:172], v1 offset:1872
	s_clause 0x1
	scratch_load_b128 v[173:176], off, off offset:848
	scratch_load_b128 v[177:180], off, off offset:1008
	s_mov_b32 s0, exec_lo
	s_wait_loadcnt_dscnt 0xa01
	v_mul_f64_e32 v[181:182], v[40:41], v[4:5]
	v_mul_f64_e32 v[4:5], v[38:39], v[4:5]
	s_wait_loadcnt_dscnt 0x900
	v_mul_f64_e32 v[183:184], v[169:170], v[8:9]
	v_mul_f64_e32 v[8:9], v[171:172], v[8:9]
	s_delay_alu instid0(VALU_DEP_4) | instskip(NEXT) | instid1(VALU_DEP_4)
	v_fma_f64 v[181:182], v[38:39], v[2:3], -v[181:182]
	v_fma_f64 v[185:186], v[40:41], v[2:3], v[4:5]
	ds_load_b128 v[2:5], v1 offset:1888
	ds_load_b128 v[38:41], v1 offset:1904
	v_fma_f64 v[171:172], v[171:172], v[6:7], v[183:184]
	v_fma_f64 v[6:7], v[169:170], v[6:7], -v[8:9]
	s_wait_loadcnt_dscnt 0x801
	v_mul_f64_e32 v[187:188], v[2:3], v[12:13]
	v_mul_f64_e32 v[12:13], v[4:5], v[12:13]
	v_add_f64_e32 v[8:9], 0, v[181:182]
	v_add_f64_e32 v[169:170], 0, v[185:186]
	s_wait_loadcnt_dscnt 0x700
	v_mul_f64_e32 v[181:182], v[38:39], v[16:17]
	v_mul_f64_e32 v[16:17], v[40:41], v[16:17]
	v_fma_f64 v[183:184], v[4:5], v[10:11], v[187:188]
	v_fma_f64 v[10:11], v[2:3], v[10:11], -v[12:13]
	v_add_f64_e32 v[12:13], v[8:9], v[6:7]
	v_add_f64_e32 v[169:170], v[169:170], v[171:172]
	ds_load_b128 v[2:5], v1 offset:1920
	ds_load_b128 v[6:9], v1 offset:1936
	v_fma_f64 v[40:41], v[40:41], v[14:15], v[181:182]
	v_fma_f64 v[14:15], v[38:39], v[14:15], -v[16:17]
	s_wait_loadcnt_dscnt 0x601
	v_mul_f64_e32 v[171:172], v[2:3], v[20:21]
	v_mul_f64_e32 v[20:21], v[4:5], v[20:21]
	s_wait_loadcnt_dscnt 0x500
	v_mul_f64_e32 v[16:17], v[6:7], v[24:25]
	v_mul_f64_e32 v[24:25], v[8:9], v[24:25]
	v_add_f64_e32 v[10:11], v[12:13], v[10:11]
	v_add_f64_e32 v[12:13], v[169:170], v[183:184]
	v_fma_f64 v[38:39], v[4:5], v[18:19], v[171:172]
	v_fma_f64 v[18:19], v[2:3], v[18:19], -v[20:21]
	v_fma_f64 v[8:9], v[8:9], v[22:23], v[16:17]
	v_fma_f64 v[6:7], v[6:7], v[22:23], -v[24:25]
	v_add_f64_e32 v[14:15], v[10:11], v[14:15]
	v_add_f64_e32 v[20:21], v[12:13], v[40:41]
	ds_load_b128 v[2:5], v1 offset:1952
	ds_load_b128 v[10:13], v1 offset:1968
	s_wait_loadcnt_dscnt 0x401
	v_mul_f64_e32 v[40:41], v[2:3], v[28:29]
	v_mul_f64_e32 v[28:29], v[4:5], v[28:29]
	v_add_f64_e32 v[14:15], v[14:15], v[18:19]
	v_add_f64_e32 v[16:17], v[20:21], v[38:39]
	s_wait_loadcnt_dscnt 0x300
	v_mul_f64_e32 v[18:19], v[10:11], v[32:33]
	v_mul_f64_e32 v[20:21], v[12:13], v[32:33]
	v_fma_f64 v[22:23], v[4:5], v[26:27], v[40:41]
	v_fma_f64 v[24:25], v[2:3], v[26:27], -v[28:29]
	v_add_f64_e32 v[14:15], v[14:15], v[6:7]
	v_add_f64_e32 v[16:17], v[16:17], v[8:9]
	ds_load_b128 v[2:5], v1 offset:1984
	ds_load_b128 v[6:9], v1 offset:2000
	v_fma_f64 v[12:13], v[12:13], v[30:31], v[18:19]
	v_fma_f64 v[10:11], v[10:11], v[30:31], -v[20:21]
	s_wait_loadcnt_dscnt 0x201
	v_mul_f64_e32 v[26:27], v[2:3], v[36:37]
	v_mul_f64_e32 v[28:29], v[4:5], v[36:37]
	s_wait_loadcnt_dscnt 0x0
	v_mul_f64_e32 v[18:19], v[6:7], v[179:180]
	v_mul_f64_e32 v[20:21], v[8:9], v[179:180]
	v_add_f64_e32 v[14:15], v[14:15], v[24:25]
	v_add_f64_e32 v[16:17], v[16:17], v[22:23]
	v_fma_f64 v[4:5], v[4:5], v[34:35], v[26:27]
	v_fma_f64 v[1:2], v[2:3], v[34:35], -v[28:29]
	v_fma_f64 v[8:9], v[8:9], v[177:178], v[18:19]
	v_fma_f64 v[6:7], v[6:7], v[177:178], -v[20:21]
	v_add_f64_e32 v[10:11], v[14:15], v[10:11]
	v_add_f64_e32 v[12:13], v[16:17], v[12:13]
	s_delay_alu instid0(VALU_DEP_2) | instskip(NEXT) | instid1(VALU_DEP_2)
	v_add_f64_e32 v[1:2], v[10:11], v[1:2]
	v_add_f64_e32 v[3:4], v[12:13], v[4:5]
	s_delay_alu instid0(VALU_DEP_2) | instskip(NEXT) | instid1(VALU_DEP_2)
	;; [unrolled: 3-line block ×3, first 2 shown]
	v_add_f64_e64 v[1:2], v[173:174], -v[1:2]
	v_add_f64_e64 v[3:4], v[175:176], -v[3:4]
	scratch_store_b128 off, v[1:4], off offset:848
	v_cmpx_lt_u32_e32 51, v0
	s_cbranch_execz .LBB126_301
; %bb.300:
	scratch_load_b128 v[1:4], off, s26
	v_mov_b32_e32 v5, 0
	s_delay_alu instid0(VALU_DEP_1)
	v_dual_mov_b32 v6, v5 :: v_dual_mov_b32 v7, v5
	v_mov_b32_e32 v8, v5
	scratch_store_b128 off, v[5:8], off offset:832
	s_wait_loadcnt 0x0
	ds_store_b128 v168, v[1:4]
.LBB126_301:
	s_wait_alu 0xfffe
	s_or_b32 exec_lo, exec_lo, s0
	s_wait_storecnt_dscnt 0x0
	s_barrier_signal -1
	s_barrier_wait -1
	global_inv scope:SCOPE_SE
	s_clause 0x7
	scratch_load_b128 v[2:5], off, off offset:848
	scratch_load_b128 v[6:9], off, off offset:864
	;; [unrolled: 1-line block ×8, first 2 shown]
	v_mov_b32_e32 v1, 0
	s_clause 0x1
	scratch_load_b128 v[38:41], off, off offset:976
	scratch_load_b128 v[173:176], off, off offset:992
	s_mov_b32 s0, exec_lo
	ds_load_b128 v[34:37], v1 offset:1840
	ds_load_b128 v[169:172], v1 offset:1856
	s_wait_loadcnt_dscnt 0x901
	v_mul_f64_e32 v[177:178], v[36:37], v[4:5]
	v_mul_f64_e32 v[4:5], v[34:35], v[4:5]
	s_wait_loadcnt_dscnt 0x800
	v_mul_f64_e32 v[179:180], v[169:170], v[8:9]
	v_mul_f64_e32 v[8:9], v[171:172], v[8:9]
	s_delay_alu instid0(VALU_DEP_4) | instskip(NEXT) | instid1(VALU_DEP_4)
	v_fma_f64 v[177:178], v[34:35], v[2:3], -v[177:178]
	v_fma_f64 v[181:182], v[36:37], v[2:3], v[4:5]
	ds_load_b128 v[2:5], v1 offset:1872
	scratch_load_b128 v[34:37], off, off offset:1008
	v_fma_f64 v[171:172], v[171:172], v[6:7], v[179:180]
	v_fma_f64 v[169:170], v[169:170], v[6:7], -v[8:9]
	ds_load_b128 v[6:9], v1 offset:1888
	s_wait_loadcnt_dscnt 0x801
	v_mul_f64_e32 v[183:184], v[2:3], v[12:13]
	v_mul_f64_e32 v[12:13], v[4:5], v[12:13]
	v_add_f64_e32 v[177:178], 0, v[177:178]
	v_add_f64_e32 v[179:180], 0, v[181:182]
	s_wait_loadcnt_dscnt 0x700
	v_mul_f64_e32 v[181:182], v[6:7], v[16:17]
	v_mul_f64_e32 v[16:17], v[8:9], v[16:17]
	v_fma_f64 v[183:184], v[4:5], v[10:11], v[183:184]
	v_fma_f64 v[10:11], v[2:3], v[10:11], -v[12:13]
	ds_load_b128 v[2:5], v1 offset:1904
	v_add_f64_e32 v[12:13], v[177:178], v[169:170]
	v_add_f64_e32 v[169:170], v[179:180], v[171:172]
	v_fma_f64 v[177:178], v[8:9], v[14:15], v[181:182]
	v_fma_f64 v[14:15], v[6:7], v[14:15], -v[16:17]
	ds_load_b128 v[6:9], v1 offset:1920
	s_wait_loadcnt_dscnt 0x601
	v_mul_f64_e32 v[171:172], v[2:3], v[20:21]
	v_mul_f64_e32 v[20:21], v[4:5], v[20:21]
	s_wait_loadcnt_dscnt 0x500
	v_mul_f64_e32 v[179:180], v[6:7], v[24:25]
	v_mul_f64_e32 v[24:25], v[8:9], v[24:25]
	v_add_f64_e32 v[16:17], v[12:13], v[10:11]
	v_add_f64_e32 v[169:170], v[169:170], v[183:184]
	scratch_load_b128 v[10:13], off, off offset:832
	v_fma_f64 v[171:172], v[4:5], v[18:19], v[171:172]
	v_fma_f64 v[18:19], v[2:3], v[18:19], -v[20:21]
	ds_load_b128 v[2:5], v1 offset:1936
	v_add_f64_e32 v[14:15], v[16:17], v[14:15]
	v_add_f64_e32 v[16:17], v[169:170], v[177:178]
	v_fma_f64 v[169:170], v[8:9], v[22:23], v[179:180]
	v_fma_f64 v[22:23], v[6:7], v[22:23], -v[24:25]
	ds_load_b128 v[6:9], v1 offset:1952
	s_wait_loadcnt_dscnt 0x501
	v_mul_f64_e32 v[20:21], v[2:3], v[28:29]
	v_mul_f64_e32 v[28:29], v[4:5], v[28:29]
	s_wait_loadcnt_dscnt 0x400
	v_mul_f64_e32 v[24:25], v[8:9], v[32:33]
	v_add_f64_e32 v[14:15], v[14:15], v[18:19]
	v_add_f64_e32 v[16:17], v[16:17], v[171:172]
	v_mul_f64_e32 v[18:19], v[6:7], v[32:33]
	v_fma_f64 v[20:21], v[4:5], v[26:27], v[20:21]
	v_fma_f64 v[26:27], v[2:3], v[26:27], -v[28:29]
	ds_load_b128 v[2:5], v1 offset:1968
	v_fma_f64 v[24:25], v[6:7], v[30:31], -v[24:25]
	v_add_f64_e32 v[14:15], v[14:15], v[22:23]
	v_add_f64_e32 v[16:17], v[16:17], v[169:170]
	v_fma_f64 v[18:19], v[8:9], v[30:31], v[18:19]
	ds_load_b128 v[6:9], v1 offset:1984
	s_wait_loadcnt_dscnt 0x301
	v_mul_f64_e32 v[22:23], v[2:3], v[40:41]
	v_mul_f64_e32 v[28:29], v[4:5], v[40:41]
	v_add_f64_e32 v[14:15], v[14:15], v[26:27]
	v_add_f64_e32 v[16:17], v[16:17], v[20:21]
	s_wait_loadcnt_dscnt 0x200
	v_mul_f64_e32 v[20:21], v[6:7], v[175:176]
	v_mul_f64_e32 v[26:27], v[8:9], v[175:176]
	v_fma_f64 v[22:23], v[4:5], v[38:39], v[22:23]
	v_fma_f64 v[28:29], v[2:3], v[38:39], -v[28:29]
	ds_load_b128 v[2:5], v1 offset:2000
	v_add_f64_e32 v[14:15], v[14:15], v[24:25]
	v_add_f64_e32 v[16:17], v[16:17], v[18:19]
	v_fma_f64 v[8:9], v[8:9], v[173:174], v[20:21]
	v_fma_f64 v[6:7], v[6:7], v[173:174], -v[26:27]
	s_wait_loadcnt_dscnt 0x100
	v_mul_f64_e32 v[18:19], v[2:3], v[36:37]
	v_mul_f64_e32 v[24:25], v[4:5], v[36:37]
	v_add_f64_e32 v[14:15], v[14:15], v[28:29]
	v_add_f64_e32 v[16:17], v[16:17], v[22:23]
	s_delay_alu instid0(VALU_DEP_4) | instskip(NEXT) | instid1(VALU_DEP_4)
	v_fma_f64 v[4:5], v[4:5], v[34:35], v[18:19]
	v_fma_f64 v[2:3], v[2:3], v[34:35], -v[24:25]
	s_delay_alu instid0(VALU_DEP_4) | instskip(NEXT) | instid1(VALU_DEP_4)
	v_add_f64_e32 v[6:7], v[14:15], v[6:7]
	v_add_f64_e32 v[8:9], v[16:17], v[8:9]
	s_delay_alu instid0(VALU_DEP_2) | instskip(NEXT) | instid1(VALU_DEP_2)
	v_add_f64_e32 v[2:3], v[6:7], v[2:3]
	v_add_f64_e32 v[4:5], v[8:9], v[4:5]
	s_wait_loadcnt 0x0
	s_delay_alu instid0(VALU_DEP_2) | instskip(NEXT) | instid1(VALU_DEP_2)
	v_add_f64_e64 v[2:3], v[10:11], -v[2:3]
	v_add_f64_e64 v[4:5], v[12:13], -v[4:5]
	scratch_store_b128 off, v[2:5], off offset:832
	v_cmpx_lt_u32_e32 50, v0
	s_cbranch_execz .LBB126_303
; %bb.302:
	scratch_load_b128 v[5:8], off, s27
	v_dual_mov_b32 v2, v1 :: v_dual_mov_b32 v3, v1
	v_mov_b32_e32 v4, v1
	scratch_store_b128 off, v[1:4], off offset:816
	s_wait_loadcnt 0x0
	ds_store_b128 v168, v[5:8]
.LBB126_303:
	s_wait_alu 0xfffe
	s_or_b32 exec_lo, exec_lo, s0
	s_wait_storecnt_dscnt 0x0
	s_barrier_signal -1
	s_barrier_wait -1
	global_inv scope:SCOPE_SE
	s_clause 0x7
	scratch_load_b128 v[2:5], off, off offset:832
	scratch_load_b128 v[6:9], off, off offset:848
	;; [unrolled: 1-line block ×8, first 2 shown]
	ds_load_b128 v[34:37], v1 offset:1824
	ds_load_b128 v[169:172], v1 offset:1840
	s_clause 0x1
	scratch_load_b128 v[38:41], off, off offset:960
	scratch_load_b128 v[173:176], off, off offset:976
	s_mov_b32 s0, exec_lo
	s_wait_loadcnt_dscnt 0x901
	v_mul_f64_e32 v[177:178], v[36:37], v[4:5]
	v_mul_f64_e32 v[4:5], v[34:35], v[4:5]
	s_wait_loadcnt_dscnt 0x800
	v_mul_f64_e32 v[179:180], v[169:170], v[8:9]
	v_mul_f64_e32 v[8:9], v[171:172], v[8:9]
	s_delay_alu instid0(VALU_DEP_4) | instskip(NEXT) | instid1(VALU_DEP_4)
	v_fma_f64 v[177:178], v[34:35], v[2:3], -v[177:178]
	v_fma_f64 v[181:182], v[36:37], v[2:3], v[4:5]
	ds_load_b128 v[2:5], v1 offset:1856
	scratch_load_b128 v[34:37], off, off offset:992
	v_fma_f64 v[179:180], v[171:172], v[6:7], v[179:180]
	v_fma_f64 v[185:186], v[169:170], v[6:7], -v[8:9]
	ds_load_b128 v[6:9], v1 offset:1872
	scratch_load_b128 v[169:172], off, off offset:1008
	s_wait_loadcnt_dscnt 0x901
	v_mul_f64_e32 v[183:184], v[2:3], v[12:13]
	v_mul_f64_e32 v[12:13], v[4:5], v[12:13]
	s_wait_loadcnt_dscnt 0x800
	v_mul_f64_e32 v[187:188], v[6:7], v[16:17]
	v_mul_f64_e32 v[16:17], v[8:9], v[16:17]
	v_add_f64_e32 v[177:178], 0, v[177:178]
	v_add_f64_e32 v[181:182], 0, v[181:182]
	v_fma_f64 v[183:184], v[4:5], v[10:11], v[183:184]
	v_fma_f64 v[10:11], v[2:3], v[10:11], -v[12:13]
	ds_load_b128 v[2:5], v1 offset:1888
	v_add_f64_e32 v[12:13], v[177:178], v[185:186]
	v_add_f64_e32 v[177:178], v[181:182], v[179:180]
	v_fma_f64 v[181:182], v[8:9], v[14:15], v[187:188]
	v_fma_f64 v[14:15], v[6:7], v[14:15], -v[16:17]
	ds_load_b128 v[6:9], v1 offset:1904
	s_wait_loadcnt_dscnt 0x701
	v_mul_f64_e32 v[179:180], v[2:3], v[20:21]
	v_mul_f64_e32 v[20:21], v[4:5], v[20:21]
	s_wait_loadcnt_dscnt 0x600
	v_mul_f64_e32 v[16:17], v[6:7], v[24:25]
	v_mul_f64_e32 v[24:25], v[8:9], v[24:25]
	v_add_f64_e32 v[10:11], v[12:13], v[10:11]
	v_add_f64_e32 v[12:13], v[177:178], v[183:184]
	v_fma_f64 v[177:178], v[4:5], v[18:19], v[179:180]
	v_fma_f64 v[18:19], v[2:3], v[18:19], -v[20:21]
	ds_load_b128 v[2:5], v1 offset:1920
	v_fma_f64 v[16:17], v[8:9], v[22:23], v[16:17]
	v_fma_f64 v[22:23], v[6:7], v[22:23], -v[24:25]
	ds_load_b128 v[6:9], v1 offset:1936
	s_wait_loadcnt_dscnt 0x501
	v_mul_f64_e32 v[179:180], v[2:3], v[28:29]
	v_mul_f64_e32 v[28:29], v[4:5], v[28:29]
	v_add_f64_e32 v[14:15], v[10:11], v[14:15]
	v_add_f64_e32 v[20:21], v[12:13], v[181:182]
	scratch_load_b128 v[10:13], off, off offset:816
	s_wait_loadcnt_dscnt 0x500
	v_mul_f64_e32 v[24:25], v[8:9], v[32:33]
	v_add_f64_e32 v[14:15], v[14:15], v[18:19]
	v_add_f64_e32 v[18:19], v[20:21], v[177:178]
	v_mul_f64_e32 v[20:21], v[6:7], v[32:33]
	v_fma_f64 v[32:33], v[4:5], v[26:27], v[179:180]
	v_fma_f64 v[26:27], v[2:3], v[26:27], -v[28:29]
	ds_load_b128 v[2:5], v1 offset:1952
	v_fma_f64 v[24:25], v[6:7], v[30:31], -v[24:25]
	v_add_f64_e32 v[14:15], v[14:15], v[22:23]
	v_add_f64_e32 v[16:17], v[18:19], v[16:17]
	v_fma_f64 v[20:21], v[8:9], v[30:31], v[20:21]
	ds_load_b128 v[6:9], v1 offset:1968
	s_wait_loadcnt_dscnt 0x401
	v_mul_f64_e32 v[18:19], v[2:3], v[40:41]
	v_mul_f64_e32 v[22:23], v[4:5], v[40:41]
	s_wait_loadcnt_dscnt 0x300
	v_mul_f64_e32 v[28:29], v[8:9], v[175:176]
	v_add_f64_e32 v[14:15], v[14:15], v[26:27]
	v_add_f64_e32 v[16:17], v[16:17], v[32:33]
	v_mul_f64_e32 v[26:27], v[6:7], v[175:176]
	v_fma_f64 v[18:19], v[4:5], v[38:39], v[18:19]
	v_fma_f64 v[22:23], v[2:3], v[38:39], -v[22:23]
	ds_load_b128 v[2:5], v1 offset:1984
	v_fma_f64 v[28:29], v[6:7], v[173:174], -v[28:29]
	v_add_f64_e32 v[14:15], v[14:15], v[24:25]
	v_add_f64_e32 v[16:17], v[16:17], v[20:21]
	v_fma_f64 v[26:27], v[8:9], v[173:174], v[26:27]
	ds_load_b128 v[6:9], v1 offset:2000
	s_wait_loadcnt_dscnt 0x201
	v_mul_f64_e32 v[20:21], v[2:3], v[36:37]
	v_mul_f64_e32 v[24:25], v[4:5], v[36:37]
	v_add_f64_e32 v[14:15], v[14:15], v[22:23]
	v_add_f64_e32 v[16:17], v[16:17], v[18:19]
	s_wait_loadcnt_dscnt 0x100
	v_mul_f64_e32 v[18:19], v[6:7], v[171:172]
	v_mul_f64_e32 v[22:23], v[8:9], v[171:172]
	v_fma_f64 v[4:5], v[4:5], v[34:35], v[20:21]
	v_fma_f64 v[1:2], v[2:3], v[34:35], -v[24:25]
	v_add_f64_e32 v[14:15], v[14:15], v[28:29]
	v_add_f64_e32 v[16:17], v[16:17], v[26:27]
	v_fma_f64 v[8:9], v[8:9], v[169:170], v[18:19]
	v_fma_f64 v[6:7], v[6:7], v[169:170], -v[22:23]
	s_delay_alu instid0(VALU_DEP_4) | instskip(NEXT) | instid1(VALU_DEP_4)
	v_add_f64_e32 v[1:2], v[14:15], v[1:2]
	v_add_f64_e32 v[3:4], v[16:17], v[4:5]
	s_delay_alu instid0(VALU_DEP_2) | instskip(NEXT) | instid1(VALU_DEP_2)
	v_add_f64_e32 v[1:2], v[1:2], v[6:7]
	v_add_f64_e32 v[3:4], v[3:4], v[8:9]
	s_wait_loadcnt 0x0
	s_delay_alu instid0(VALU_DEP_2) | instskip(NEXT) | instid1(VALU_DEP_2)
	v_add_f64_e64 v[1:2], v[10:11], -v[1:2]
	v_add_f64_e64 v[3:4], v[12:13], -v[3:4]
	scratch_store_b128 off, v[1:4], off offset:816
	v_cmpx_lt_u32_e32 49, v0
	s_cbranch_execz .LBB126_305
; %bb.304:
	scratch_load_b128 v[1:4], off, s28
	v_mov_b32_e32 v5, 0
	s_delay_alu instid0(VALU_DEP_1)
	v_dual_mov_b32 v6, v5 :: v_dual_mov_b32 v7, v5
	v_mov_b32_e32 v8, v5
	scratch_store_b128 off, v[5:8], off offset:800
	s_wait_loadcnt 0x0
	ds_store_b128 v168, v[1:4]
.LBB126_305:
	s_wait_alu 0xfffe
	s_or_b32 exec_lo, exec_lo, s0
	s_wait_storecnt_dscnt 0x0
	s_barrier_signal -1
	s_barrier_wait -1
	global_inv scope:SCOPE_SE
	s_clause 0x7
	scratch_load_b128 v[2:5], off, off offset:816
	scratch_load_b128 v[6:9], off, off offset:832
	;; [unrolled: 1-line block ×8, first 2 shown]
	v_mov_b32_e32 v1, 0
	s_clause 0x1
	scratch_load_b128 v[38:41], off, off offset:944
	scratch_load_b128 v[173:176], off, off offset:960
	s_mov_b32 s0, exec_lo
	ds_load_b128 v[34:37], v1 offset:1808
	ds_load_b128 v[169:172], v1 offset:1824
	s_wait_loadcnt_dscnt 0x901
	v_mul_f64_e32 v[177:178], v[36:37], v[4:5]
	v_mul_f64_e32 v[4:5], v[34:35], v[4:5]
	s_wait_loadcnt_dscnt 0x800
	v_mul_f64_e32 v[179:180], v[169:170], v[8:9]
	v_mul_f64_e32 v[8:9], v[171:172], v[8:9]
	s_delay_alu instid0(VALU_DEP_4) | instskip(NEXT) | instid1(VALU_DEP_4)
	v_fma_f64 v[177:178], v[34:35], v[2:3], -v[177:178]
	v_fma_f64 v[181:182], v[36:37], v[2:3], v[4:5]
	ds_load_b128 v[2:5], v1 offset:1840
	scratch_load_b128 v[34:37], off, off offset:976
	v_fma_f64 v[179:180], v[171:172], v[6:7], v[179:180]
	v_fma_f64 v[185:186], v[169:170], v[6:7], -v[8:9]
	ds_load_b128 v[6:9], v1 offset:1856
	scratch_load_b128 v[169:172], off, off offset:992
	s_wait_loadcnt_dscnt 0x901
	v_mul_f64_e32 v[183:184], v[2:3], v[12:13]
	v_mul_f64_e32 v[12:13], v[4:5], v[12:13]
	s_wait_loadcnt_dscnt 0x800
	v_mul_f64_e32 v[187:188], v[6:7], v[16:17]
	v_mul_f64_e32 v[16:17], v[8:9], v[16:17]
	v_add_f64_e32 v[177:178], 0, v[177:178]
	v_add_f64_e32 v[181:182], 0, v[181:182]
	v_fma_f64 v[183:184], v[4:5], v[10:11], v[183:184]
	v_fma_f64 v[189:190], v[2:3], v[10:11], -v[12:13]
	ds_load_b128 v[2:5], v1 offset:1872
	scratch_load_b128 v[10:13], off, off offset:1008
	v_add_f64_e32 v[177:178], v[177:178], v[185:186]
	v_add_f64_e32 v[179:180], v[181:182], v[179:180]
	v_fma_f64 v[185:186], v[8:9], v[14:15], v[187:188]
	v_fma_f64 v[14:15], v[6:7], v[14:15], -v[16:17]
	ds_load_b128 v[6:9], v1 offset:1888
	s_wait_loadcnt_dscnt 0x801
	v_mul_f64_e32 v[181:182], v[2:3], v[20:21]
	v_mul_f64_e32 v[20:21], v[4:5], v[20:21]
	v_add_f64_e32 v[16:17], v[177:178], v[189:190]
	v_add_f64_e32 v[177:178], v[179:180], v[183:184]
	s_wait_loadcnt_dscnt 0x700
	v_mul_f64_e32 v[179:180], v[6:7], v[24:25]
	v_mul_f64_e32 v[24:25], v[8:9], v[24:25]
	v_fma_f64 v[181:182], v[4:5], v[18:19], v[181:182]
	v_fma_f64 v[18:19], v[2:3], v[18:19], -v[20:21]
	ds_load_b128 v[2:5], v1 offset:1904
	v_add_f64_e32 v[14:15], v[16:17], v[14:15]
	v_add_f64_e32 v[16:17], v[177:178], v[185:186]
	v_fma_f64 v[177:178], v[8:9], v[22:23], v[179:180]
	v_fma_f64 v[22:23], v[6:7], v[22:23], -v[24:25]
	ds_load_b128 v[6:9], v1 offset:1920
	s_wait_loadcnt_dscnt 0x601
	v_mul_f64_e32 v[20:21], v[2:3], v[28:29]
	v_mul_f64_e32 v[28:29], v[4:5], v[28:29]
	s_wait_loadcnt_dscnt 0x500
	v_mul_f64_e32 v[179:180], v[6:7], v[32:33]
	v_mul_f64_e32 v[32:33], v[8:9], v[32:33]
	v_add_f64_e32 v[18:19], v[14:15], v[18:19]
	v_add_f64_e32 v[24:25], v[16:17], v[181:182]
	scratch_load_b128 v[14:17], off, off offset:800
	v_fma_f64 v[20:21], v[4:5], v[26:27], v[20:21]
	v_fma_f64 v[26:27], v[2:3], v[26:27], -v[28:29]
	ds_load_b128 v[2:5], v1 offset:1936
	s_wait_loadcnt_dscnt 0x500
	v_mul_f64_e32 v[28:29], v[4:5], v[40:41]
	v_add_f64_e32 v[18:19], v[18:19], v[22:23]
	v_add_f64_e32 v[22:23], v[24:25], v[177:178]
	v_mul_f64_e32 v[24:25], v[2:3], v[40:41]
	v_fma_f64 v[40:41], v[8:9], v[30:31], v[179:180]
	v_fma_f64 v[30:31], v[6:7], v[30:31], -v[32:33]
	ds_load_b128 v[6:9], v1 offset:1952
	v_fma_f64 v[28:29], v[2:3], v[38:39], -v[28:29]
	v_add_f64_e32 v[18:19], v[18:19], v[26:27]
	v_add_f64_e32 v[20:21], v[22:23], v[20:21]
	v_fma_f64 v[24:25], v[4:5], v[38:39], v[24:25]
	ds_load_b128 v[2:5], v1 offset:1968
	s_wait_loadcnt_dscnt 0x401
	v_mul_f64_e32 v[22:23], v[6:7], v[175:176]
	v_mul_f64_e32 v[26:27], v[8:9], v[175:176]
	v_add_f64_e32 v[18:19], v[18:19], v[30:31]
	v_add_f64_e32 v[20:21], v[20:21], v[40:41]
	s_delay_alu instid0(VALU_DEP_4) | instskip(NEXT) | instid1(VALU_DEP_4)
	v_fma_f64 v[22:23], v[8:9], v[173:174], v[22:23]
	v_fma_f64 v[26:27], v[6:7], v[173:174], -v[26:27]
	ds_load_b128 v[6:9], v1 offset:1984
	s_wait_loadcnt_dscnt 0x301
	v_mul_f64_e32 v[30:31], v[2:3], v[36:37]
	v_mul_f64_e32 v[32:33], v[4:5], v[36:37]
	v_add_f64_e32 v[18:19], v[18:19], v[28:29]
	v_add_f64_e32 v[20:21], v[20:21], v[24:25]
	s_delay_alu instid0(VALU_DEP_4) | instskip(NEXT) | instid1(VALU_DEP_4)
	v_fma_f64 v[30:31], v[4:5], v[34:35], v[30:31]
	v_fma_f64 v[32:33], v[2:3], v[34:35], -v[32:33]
	ds_load_b128 v[2:5], v1 offset:2000
	s_wait_loadcnt_dscnt 0x201
	v_mul_f64_e32 v[24:25], v[6:7], v[171:172]
	v_mul_f64_e32 v[28:29], v[8:9], v[171:172]
	v_add_f64_e32 v[18:19], v[18:19], v[26:27]
	v_add_f64_e32 v[20:21], v[20:21], v[22:23]
	s_wait_loadcnt_dscnt 0x100
	v_mul_f64_e32 v[22:23], v[2:3], v[12:13]
	v_mul_f64_e32 v[12:13], v[4:5], v[12:13]
	v_fma_f64 v[8:9], v[8:9], v[169:170], v[24:25]
	v_fma_f64 v[6:7], v[6:7], v[169:170], -v[28:29]
	v_add_f64_e32 v[18:19], v[18:19], v[32:33]
	v_add_f64_e32 v[20:21], v[20:21], v[30:31]
	v_fma_f64 v[4:5], v[4:5], v[10:11], v[22:23]
	v_fma_f64 v[2:3], v[2:3], v[10:11], -v[12:13]
	s_delay_alu instid0(VALU_DEP_4) | instskip(NEXT) | instid1(VALU_DEP_4)
	v_add_f64_e32 v[6:7], v[18:19], v[6:7]
	v_add_f64_e32 v[8:9], v[20:21], v[8:9]
	s_delay_alu instid0(VALU_DEP_2) | instskip(NEXT) | instid1(VALU_DEP_2)
	v_add_f64_e32 v[2:3], v[6:7], v[2:3]
	v_add_f64_e32 v[4:5], v[8:9], v[4:5]
	s_wait_loadcnt 0x0
	s_delay_alu instid0(VALU_DEP_2) | instskip(NEXT) | instid1(VALU_DEP_2)
	v_add_f64_e64 v[2:3], v[14:15], -v[2:3]
	v_add_f64_e64 v[4:5], v[16:17], -v[4:5]
	scratch_store_b128 off, v[2:5], off offset:800
	v_cmpx_lt_u32_e32 48, v0
	s_cbranch_execz .LBB126_307
; %bb.306:
	scratch_load_b128 v[5:8], off, s29
	v_dual_mov_b32 v2, v1 :: v_dual_mov_b32 v3, v1
	v_mov_b32_e32 v4, v1
	scratch_store_b128 off, v[1:4], off offset:784
	s_wait_loadcnt 0x0
	ds_store_b128 v168, v[5:8]
.LBB126_307:
	s_wait_alu 0xfffe
	s_or_b32 exec_lo, exec_lo, s0
	s_wait_storecnt_dscnt 0x0
	s_barrier_signal -1
	s_barrier_wait -1
	global_inv scope:SCOPE_SE
	s_clause 0x7
	scratch_load_b128 v[2:5], off, off offset:800
	scratch_load_b128 v[6:9], off, off offset:816
	;; [unrolled: 1-line block ×8, first 2 shown]
	ds_load_b128 v[34:37], v1 offset:1792
	ds_load_b128 v[169:172], v1 offset:1808
	s_clause 0x1
	scratch_load_b128 v[38:41], off, off offset:928
	scratch_load_b128 v[173:176], off, off offset:944
	s_mov_b32 s0, exec_lo
	s_wait_loadcnt_dscnt 0x901
	v_mul_f64_e32 v[177:178], v[36:37], v[4:5]
	v_mul_f64_e32 v[4:5], v[34:35], v[4:5]
	s_wait_loadcnt_dscnt 0x800
	v_mul_f64_e32 v[179:180], v[169:170], v[8:9]
	v_mul_f64_e32 v[8:9], v[171:172], v[8:9]
	s_delay_alu instid0(VALU_DEP_4) | instskip(NEXT) | instid1(VALU_DEP_4)
	v_fma_f64 v[177:178], v[34:35], v[2:3], -v[177:178]
	v_fma_f64 v[181:182], v[36:37], v[2:3], v[4:5]
	ds_load_b128 v[2:5], v1 offset:1824
	scratch_load_b128 v[34:37], off, off offset:960
	v_fma_f64 v[179:180], v[171:172], v[6:7], v[179:180]
	v_fma_f64 v[185:186], v[169:170], v[6:7], -v[8:9]
	ds_load_b128 v[6:9], v1 offset:1840
	scratch_load_b128 v[169:172], off, off offset:976
	s_wait_loadcnt_dscnt 0x901
	v_mul_f64_e32 v[183:184], v[2:3], v[12:13]
	v_mul_f64_e32 v[12:13], v[4:5], v[12:13]
	s_wait_loadcnt_dscnt 0x800
	v_mul_f64_e32 v[187:188], v[6:7], v[16:17]
	v_mul_f64_e32 v[16:17], v[8:9], v[16:17]
	v_add_f64_e32 v[177:178], 0, v[177:178]
	v_add_f64_e32 v[181:182], 0, v[181:182]
	v_fma_f64 v[183:184], v[4:5], v[10:11], v[183:184]
	v_fma_f64 v[189:190], v[2:3], v[10:11], -v[12:13]
	ds_load_b128 v[2:5], v1 offset:1856
	scratch_load_b128 v[10:13], off, off offset:992
	v_add_f64_e32 v[177:178], v[177:178], v[185:186]
	v_add_f64_e32 v[179:180], v[181:182], v[179:180]
	v_fma_f64 v[185:186], v[8:9], v[14:15], v[187:188]
	v_fma_f64 v[187:188], v[6:7], v[14:15], -v[16:17]
	ds_load_b128 v[6:9], v1 offset:1872
	scratch_load_b128 v[14:17], off, off offset:1008
	s_wait_loadcnt_dscnt 0x901
	v_mul_f64_e32 v[181:182], v[2:3], v[20:21]
	v_mul_f64_e32 v[20:21], v[4:5], v[20:21]
	v_add_f64_e32 v[177:178], v[177:178], v[189:190]
	v_add_f64_e32 v[179:180], v[179:180], v[183:184]
	s_wait_loadcnt_dscnt 0x800
	v_mul_f64_e32 v[183:184], v[6:7], v[24:25]
	v_mul_f64_e32 v[24:25], v[8:9], v[24:25]
	v_fma_f64 v[181:182], v[4:5], v[18:19], v[181:182]
	v_fma_f64 v[18:19], v[2:3], v[18:19], -v[20:21]
	ds_load_b128 v[2:5], v1 offset:1888
	v_add_f64_e32 v[20:21], v[177:178], v[187:188]
	v_add_f64_e32 v[177:178], v[179:180], v[185:186]
	v_fma_f64 v[183:184], v[8:9], v[22:23], v[183:184]
	v_fma_f64 v[22:23], v[6:7], v[22:23], -v[24:25]
	ds_load_b128 v[6:9], v1 offset:1904
	s_wait_loadcnt_dscnt 0x701
	v_mul_f64_e32 v[179:180], v[2:3], v[28:29]
	v_mul_f64_e32 v[28:29], v[4:5], v[28:29]
	s_wait_loadcnt_dscnt 0x600
	v_mul_f64_e32 v[24:25], v[6:7], v[32:33]
	v_mul_f64_e32 v[32:33], v[8:9], v[32:33]
	v_add_f64_e32 v[18:19], v[20:21], v[18:19]
	v_add_f64_e32 v[20:21], v[177:178], v[181:182]
	v_fma_f64 v[177:178], v[4:5], v[26:27], v[179:180]
	v_fma_f64 v[26:27], v[2:3], v[26:27], -v[28:29]
	ds_load_b128 v[2:5], v1 offset:1920
	v_fma_f64 v[24:25], v[8:9], v[30:31], v[24:25]
	v_fma_f64 v[30:31], v[6:7], v[30:31], -v[32:33]
	ds_load_b128 v[6:9], v1 offset:1936
	v_add_f64_e32 v[22:23], v[18:19], v[22:23]
	v_add_f64_e32 v[28:29], v[20:21], v[183:184]
	scratch_load_b128 v[18:21], off, off offset:784
	s_wait_loadcnt_dscnt 0x601
	v_mul_f64_e32 v[179:180], v[2:3], v[40:41]
	v_mul_f64_e32 v[40:41], v[4:5], v[40:41]
	s_wait_loadcnt_dscnt 0x500
	v_mul_f64_e32 v[32:33], v[8:9], v[175:176]
	v_add_f64_e32 v[22:23], v[22:23], v[26:27]
	v_add_f64_e32 v[26:27], v[28:29], v[177:178]
	v_mul_f64_e32 v[28:29], v[6:7], v[175:176]
	v_fma_f64 v[175:176], v[4:5], v[38:39], v[179:180]
	v_fma_f64 v[38:39], v[2:3], v[38:39], -v[40:41]
	ds_load_b128 v[2:5], v1 offset:1952
	v_fma_f64 v[32:33], v[6:7], v[173:174], -v[32:33]
	v_add_f64_e32 v[22:23], v[22:23], v[30:31]
	v_add_f64_e32 v[24:25], v[26:27], v[24:25]
	v_fma_f64 v[28:29], v[8:9], v[173:174], v[28:29]
	ds_load_b128 v[6:9], v1 offset:1968
	s_wait_loadcnt_dscnt 0x401
	v_mul_f64_e32 v[26:27], v[2:3], v[36:37]
	v_mul_f64_e32 v[30:31], v[4:5], v[36:37]
	s_wait_loadcnt_dscnt 0x300
	v_mul_f64_e32 v[36:37], v[6:7], v[171:172]
	v_add_f64_e32 v[22:23], v[22:23], v[38:39]
	v_add_f64_e32 v[24:25], v[24:25], v[175:176]
	v_mul_f64_e32 v[38:39], v[8:9], v[171:172]
	v_fma_f64 v[26:27], v[4:5], v[34:35], v[26:27]
	v_fma_f64 v[30:31], v[2:3], v[34:35], -v[30:31]
	ds_load_b128 v[2:5], v1 offset:1984
	v_add_f64_e32 v[22:23], v[22:23], v[32:33]
	v_add_f64_e32 v[24:25], v[24:25], v[28:29]
	v_fma_f64 v[32:33], v[8:9], v[169:170], v[36:37]
	v_fma_f64 v[34:35], v[6:7], v[169:170], -v[38:39]
	ds_load_b128 v[6:9], v1 offset:2000
	s_wait_loadcnt_dscnt 0x201
	v_mul_f64_e32 v[28:29], v[2:3], v[12:13]
	v_mul_f64_e32 v[12:13], v[4:5], v[12:13]
	v_add_f64_e32 v[22:23], v[22:23], v[30:31]
	v_add_f64_e32 v[24:25], v[24:25], v[26:27]
	s_wait_loadcnt_dscnt 0x100
	v_mul_f64_e32 v[26:27], v[6:7], v[16:17]
	v_mul_f64_e32 v[16:17], v[8:9], v[16:17]
	v_fma_f64 v[4:5], v[4:5], v[10:11], v[28:29]
	v_fma_f64 v[1:2], v[2:3], v[10:11], -v[12:13]
	v_add_f64_e32 v[10:11], v[22:23], v[34:35]
	v_add_f64_e32 v[12:13], v[24:25], v[32:33]
	v_fma_f64 v[8:9], v[8:9], v[14:15], v[26:27]
	v_fma_f64 v[6:7], v[6:7], v[14:15], -v[16:17]
	s_delay_alu instid0(VALU_DEP_4) | instskip(NEXT) | instid1(VALU_DEP_4)
	v_add_f64_e32 v[1:2], v[10:11], v[1:2]
	v_add_f64_e32 v[3:4], v[12:13], v[4:5]
	s_delay_alu instid0(VALU_DEP_2) | instskip(NEXT) | instid1(VALU_DEP_2)
	v_add_f64_e32 v[1:2], v[1:2], v[6:7]
	v_add_f64_e32 v[3:4], v[3:4], v[8:9]
	s_wait_loadcnt 0x0
	s_delay_alu instid0(VALU_DEP_2) | instskip(NEXT) | instid1(VALU_DEP_2)
	v_add_f64_e64 v[1:2], v[18:19], -v[1:2]
	v_add_f64_e64 v[3:4], v[20:21], -v[3:4]
	scratch_store_b128 off, v[1:4], off offset:784
	v_cmpx_lt_u32_e32 47, v0
	s_cbranch_execz .LBB126_309
; %bb.308:
	scratch_load_b128 v[1:4], off, s30
	v_mov_b32_e32 v5, 0
	s_delay_alu instid0(VALU_DEP_1)
	v_dual_mov_b32 v6, v5 :: v_dual_mov_b32 v7, v5
	v_mov_b32_e32 v8, v5
	scratch_store_b128 off, v[5:8], off offset:768
	s_wait_loadcnt 0x0
	ds_store_b128 v168, v[1:4]
.LBB126_309:
	s_wait_alu 0xfffe
	s_or_b32 exec_lo, exec_lo, s0
	s_wait_storecnt_dscnt 0x0
	s_barrier_signal -1
	s_barrier_wait -1
	global_inv scope:SCOPE_SE
	s_clause 0x7
	scratch_load_b128 v[2:5], off, off offset:784
	scratch_load_b128 v[6:9], off, off offset:800
	;; [unrolled: 1-line block ×8, first 2 shown]
	v_mov_b32_e32 v1, 0
	s_clause 0x1
	scratch_load_b128 v[38:41], off, off offset:912
	scratch_load_b128 v[173:176], off, off offset:928
	s_mov_b32 s0, exec_lo
	ds_load_b128 v[34:37], v1 offset:1776
	ds_load_b128 v[169:172], v1 offset:1792
	s_wait_loadcnt_dscnt 0x901
	v_mul_f64_e32 v[177:178], v[36:37], v[4:5]
	v_mul_f64_e32 v[4:5], v[34:35], v[4:5]
	s_wait_loadcnt_dscnt 0x800
	v_mul_f64_e32 v[179:180], v[169:170], v[8:9]
	v_mul_f64_e32 v[8:9], v[171:172], v[8:9]
	s_delay_alu instid0(VALU_DEP_4) | instskip(NEXT) | instid1(VALU_DEP_4)
	v_fma_f64 v[177:178], v[34:35], v[2:3], -v[177:178]
	v_fma_f64 v[181:182], v[36:37], v[2:3], v[4:5]
	ds_load_b128 v[2:5], v1 offset:1808
	scratch_load_b128 v[34:37], off, off offset:944
	v_fma_f64 v[179:180], v[171:172], v[6:7], v[179:180]
	v_fma_f64 v[185:186], v[169:170], v[6:7], -v[8:9]
	ds_load_b128 v[6:9], v1 offset:1824
	scratch_load_b128 v[169:172], off, off offset:960
	s_wait_loadcnt_dscnt 0x901
	v_mul_f64_e32 v[183:184], v[2:3], v[12:13]
	v_mul_f64_e32 v[12:13], v[4:5], v[12:13]
	s_wait_loadcnt_dscnt 0x800
	v_mul_f64_e32 v[187:188], v[6:7], v[16:17]
	v_mul_f64_e32 v[16:17], v[8:9], v[16:17]
	v_add_f64_e32 v[177:178], 0, v[177:178]
	v_add_f64_e32 v[181:182], 0, v[181:182]
	v_fma_f64 v[183:184], v[4:5], v[10:11], v[183:184]
	v_fma_f64 v[189:190], v[2:3], v[10:11], -v[12:13]
	ds_load_b128 v[2:5], v1 offset:1840
	scratch_load_b128 v[10:13], off, off offset:976
	v_add_f64_e32 v[177:178], v[177:178], v[185:186]
	v_add_f64_e32 v[179:180], v[181:182], v[179:180]
	v_fma_f64 v[185:186], v[8:9], v[14:15], v[187:188]
	v_fma_f64 v[187:188], v[6:7], v[14:15], -v[16:17]
	ds_load_b128 v[6:9], v1 offset:1856
	scratch_load_b128 v[14:17], off, off offset:992
	s_wait_loadcnt_dscnt 0x901
	v_mul_f64_e32 v[181:182], v[2:3], v[20:21]
	v_mul_f64_e32 v[20:21], v[4:5], v[20:21]
	v_add_f64_e32 v[177:178], v[177:178], v[189:190]
	v_add_f64_e32 v[179:180], v[179:180], v[183:184]
	s_wait_loadcnt_dscnt 0x800
	v_mul_f64_e32 v[183:184], v[6:7], v[24:25]
	v_mul_f64_e32 v[24:25], v[8:9], v[24:25]
	v_fma_f64 v[181:182], v[4:5], v[18:19], v[181:182]
	v_fma_f64 v[189:190], v[2:3], v[18:19], -v[20:21]
	ds_load_b128 v[2:5], v1 offset:1872
	scratch_load_b128 v[18:21], off, off offset:1008
	v_add_f64_e32 v[177:178], v[177:178], v[187:188]
	v_add_f64_e32 v[179:180], v[179:180], v[185:186]
	v_fma_f64 v[183:184], v[8:9], v[22:23], v[183:184]
	v_fma_f64 v[22:23], v[6:7], v[22:23], -v[24:25]
	ds_load_b128 v[6:9], v1 offset:1888
	s_wait_loadcnt_dscnt 0x801
	v_mul_f64_e32 v[185:186], v[2:3], v[28:29]
	v_mul_f64_e32 v[28:29], v[4:5], v[28:29]
	v_add_f64_e32 v[24:25], v[177:178], v[189:190]
	v_add_f64_e32 v[177:178], v[179:180], v[181:182]
	s_wait_loadcnt_dscnt 0x700
	v_mul_f64_e32 v[179:180], v[6:7], v[32:33]
	v_mul_f64_e32 v[32:33], v[8:9], v[32:33]
	v_fma_f64 v[181:182], v[4:5], v[26:27], v[185:186]
	v_fma_f64 v[26:27], v[2:3], v[26:27], -v[28:29]
	ds_load_b128 v[2:5], v1 offset:1904
	v_add_f64_e32 v[22:23], v[24:25], v[22:23]
	v_add_f64_e32 v[24:25], v[177:178], v[183:184]
	v_fma_f64 v[177:178], v[8:9], v[30:31], v[179:180]
	v_fma_f64 v[30:31], v[6:7], v[30:31], -v[32:33]
	ds_load_b128 v[6:9], v1 offset:1920
	s_wait_loadcnt_dscnt 0x500
	v_mul_f64_e32 v[179:180], v[6:7], v[175:176]
	v_mul_f64_e32 v[175:176], v[8:9], v[175:176]
	v_add_f64_e32 v[26:27], v[22:23], v[26:27]
	v_add_f64_e32 v[32:33], v[24:25], v[181:182]
	scratch_load_b128 v[22:25], off, off offset:768
	v_mul_f64_e32 v[28:29], v[2:3], v[40:41]
	v_mul_f64_e32 v[40:41], v[4:5], v[40:41]
	v_add_f64_e32 v[26:27], v[26:27], v[30:31]
	v_add_f64_e32 v[30:31], v[32:33], v[177:178]
	s_delay_alu instid0(VALU_DEP_4) | instskip(NEXT) | instid1(VALU_DEP_4)
	v_fma_f64 v[28:29], v[4:5], v[38:39], v[28:29]
	v_fma_f64 v[38:39], v[2:3], v[38:39], -v[40:41]
	ds_load_b128 v[2:5], v1 offset:1936
	v_fma_f64 v[40:41], v[8:9], v[173:174], v[179:180]
	v_fma_f64 v[173:174], v[6:7], v[173:174], -v[175:176]
	ds_load_b128 v[6:9], v1 offset:1952
	s_wait_loadcnt_dscnt 0x501
	v_mul_f64_e32 v[32:33], v[2:3], v[36:37]
	v_mul_f64_e32 v[36:37], v[4:5], v[36:37]
	v_add_f64_e32 v[28:29], v[30:31], v[28:29]
	v_add_f64_e32 v[26:27], v[26:27], v[38:39]
	s_wait_loadcnt_dscnt 0x400
	v_mul_f64_e32 v[30:31], v[6:7], v[171:172]
	v_mul_f64_e32 v[38:39], v[8:9], v[171:172]
	v_fma_f64 v[32:33], v[4:5], v[34:35], v[32:33]
	v_fma_f64 v[34:35], v[2:3], v[34:35], -v[36:37]
	ds_load_b128 v[2:5], v1 offset:1968
	v_add_f64_e32 v[28:29], v[28:29], v[40:41]
	v_add_f64_e32 v[26:27], v[26:27], v[173:174]
	v_fma_f64 v[30:31], v[8:9], v[169:170], v[30:31]
	v_fma_f64 v[38:39], v[6:7], v[169:170], -v[38:39]
	ds_load_b128 v[6:9], v1 offset:1984
	s_wait_loadcnt_dscnt 0x301
	v_mul_f64_e32 v[36:37], v[2:3], v[12:13]
	v_mul_f64_e32 v[12:13], v[4:5], v[12:13]
	v_add_f64_e32 v[28:29], v[28:29], v[32:33]
	v_add_f64_e32 v[26:27], v[26:27], v[34:35]
	s_wait_loadcnt_dscnt 0x200
	v_mul_f64_e32 v[32:33], v[6:7], v[16:17]
	v_mul_f64_e32 v[16:17], v[8:9], v[16:17]
	v_fma_f64 v[34:35], v[4:5], v[10:11], v[36:37]
	v_fma_f64 v[10:11], v[2:3], v[10:11], -v[12:13]
	ds_load_b128 v[2:5], v1 offset:2000
	v_add_f64_e32 v[12:13], v[26:27], v[38:39]
	v_add_f64_e32 v[26:27], v[28:29], v[30:31]
	s_wait_loadcnt_dscnt 0x100
	v_mul_f64_e32 v[28:29], v[2:3], v[20:21]
	v_mul_f64_e32 v[20:21], v[4:5], v[20:21]
	v_fma_f64 v[8:9], v[8:9], v[14:15], v[32:33]
	v_fma_f64 v[6:7], v[6:7], v[14:15], -v[16:17]
	v_add_f64_e32 v[10:11], v[12:13], v[10:11]
	v_add_f64_e32 v[12:13], v[26:27], v[34:35]
	v_fma_f64 v[4:5], v[4:5], v[18:19], v[28:29]
	v_fma_f64 v[2:3], v[2:3], v[18:19], -v[20:21]
	s_delay_alu instid0(VALU_DEP_4) | instskip(NEXT) | instid1(VALU_DEP_4)
	v_add_f64_e32 v[6:7], v[10:11], v[6:7]
	v_add_f64_e32 v[8:9], v[12:13], v[8:9]
	s_delay_alu instid0(VALU_DEP_2) | instskip(NEXT) | instid1(VALU_DEP_2)
	v_add_f64_e32 v[2:3], v[6:7], v[2:3]
	v_add_f64_e32 v[4:5], v[8:9], v[4:5]
	s_wait_loadcnt 0x0
	s_delay_alu instid0(VALU_DEP_2) | instskip(NEXT) | instid1(VALU_DEP_2)
	v_add_f64_e64 v[2:3], v[22:23], -v[2:3]
	v_add_f64_e64 v[4:5], v[24:25], -v[4:5]
	scratch_store_b128 off, v[2:5], off offset:768
	v_cmpx_lt_u32_e32 46, v0
	s_cbranch_execz .LBB126_311
; %bb.310:
	scratch_load_b128 v[5:8], off, s31
	v_dual_mov_b32 v2, v1 :: v_dual_mov_b32 v3, v1
	v_mov_b32_e32 v4, v1
	scratch_store_b128 off, v[1:4], off offset:752
	s_wait_loadcnt 0x0
	ds_store_b128 v168, v[5:8]
.LBB126_311:
	s_wait_alu 0xfffe
	s_or_b32 exec_lo, exec_lo, s0
	s_wait_storecnt_dscnt 0x0
	s_barrier_signal -1
	s_barrier_wait -1
	global_inv scope:SCOPE_SE
	s_clause 0x7
	scratch_load_b128 v[2:5], off, off offset:768
	scratch_load_b128 v[6:9], off, off offset:784
	;; [unrolled: 1-line block ×8, first 2 shown]
	ds_load_b128 v[34:37], v1 offset:1760
	ds_load_b128 v[169:172], v1 offset:1776
	s_clause 0x1
	scratch_load_b128 v[38:41], off, off offset:896
	scratch_load_b128 v[173:176], off, off offset:912
	s_mov_b32 s0, exec_lo
	s_wait_loadcnt_dscnt 0x901
	v_mul_f64_e32 v[177:178], v[36:37], v[4:5]
	v_mul_f64_e32 v[4:5], v[34:35], v[4:5]
	s_wait_loadcnt_dscnt 0x800
	v_mul_f64_e32 v[179:180], v[169:170], v[8:9]
	v_mul_f64_e32 v[8:9], v[171:172], v[8:9]
	s_delay_alu instid0(VALU_DEP_4) | instskip(NEXT) | instid1(VALU_DEP_4)
	v_fma_f64 v[177:178], v[34:35], v[2:3], -v[177:178]
	v_fma_f64 v[181:182], v[36:37], v[2:3], v[4:5]
	ds_load_b128 v[2:5], v1 offset:1792
	scratch_load_b128 v[34:37], off, off offset:928
	v_fma_f64 v[179:180], v[171:172], v[6:7], v[179:180]
	v_fma_f64 v[185:186], v[169:170], v[6:7], -v[8:9]
	ds_load_b128 v[6:9], v1 offset:1808
	scratch_load_b128 v[169:172], off, off offset:944
	s_wait_loadcnt_dscnt 0x901
	v_mul_f64_e32 v[183:184], v[2:3], v[12:13]
	v_mul_f64_e32 v[12:13], v[4:5], v[12:13]
	s_wait_loadcnt_dscnt 0x800
	v_mul_f64_e32 v[187:188], v[6:7], v[16:17]
	v_mul_f64_e32 v[16:17], v[8:9], v[16:17]
	v_add_f64_e32 v[177:178], 0, v[177:178]
	v_add_f64_e32 v[181:182], 0, v[181:182]
	v_fma_f64 v[183:184], v[4:5], v[10:11], v[183:184]
	v_fma_f64 v[189:190], v[2:3], v[10:11], -v[12:13]
	ds_load_b128 v[2:5], v1 offset:1824
	scratch_load_b128 v[10:13], off, off offset:960
	v_add_f64_e32 v[177:178], v[177:178], v[185:186]
	v_add_f64_e32 v[179:180], v[181:182], v[179:180]
	v_fma_f64 v[185:186], v[8:9], v[14:15], v[187:188]
	v_fma_f64 v[187:188], v[6:7], v[14:15], -v[16:17]
	ds_load_b128 v[6:9], v1 offset:1840
	scratch_load_b128 v[14:17], off, off offset:976
	s_wait_loadcnt_dscnt 0x901
	v_mul_f64_e32 v[181:182], v[2:3], v[20:21]
	v_mul_f64_e32 v[20:21], v[4:5], v[20:21]
	v_add_f64_e32 v[177:178], v[177:178], v[189:190]
	v_add_f64_e32 v[179:180], v[179:180], v[183:184]
	s_wait_loadcnt_dscnt 0x800
	v_mul_f64_e32 v[183:184], v[6:7], v[24:25]
	v_mul_f64_e32 v[24:25], v[8:9], v[24:25]
	v_fma_f64 v[181:182], v[4:5], v[18:19], v[181:182]
	v_fma_f64 v[189:190], v[2:3], v[18:19], -v[20:21]
	ds_load_b128 v[2:5], v1 offset:1856
	scratch_load_b128 v[18:21], off, off offset:992
	v_add_f64_e32 v[177:178], v[177:178], v[187:188]
	v_add_f64_e32 v[179:180], v[179:180], v[185:186]
	v_fma_f64 v[183:184], v[8:9], v[22:23], v[183:184]
	v_fma_f64 v[187:188], v[6:7], v[22:23], -v[24:25]
	ds_load_b128 v[6:9], v1 offset:1872
	s_wait_loadcnt_dscnt 0x801
	v_mul_f64_e32 v[185:186], v[2:3], v[28:29]
	v_mul_f64_e32 v[28:29], v[4:5], v[28:29]
	scratch_load_b128 v[22:25], off, off offset:1008
	v_add_f64_e32 v[177:178], v[177:178], v[189:190]
	v_add_f64_e32 v[179:180], v[179:180], v[181:182]
	s_wait_loadcnt_dscnt 0x800
	v_mul_f64_e32 v[181:182], v[6:7], v[32:33]
	v_mul_f64_e32 v[32:33], v[8:9], v[32:33]
	v_fma_f64 v[185:186], v[4:5], v[26:27], v[185:186]
	v_fma_f64 v[26:27], v[2:3], v[26:27], -v[28:29]
	ds_load_b128 v[2:5], v1 offset:1888
	v_add_f64_e32 v[28:29], v[177:178], v[187:188]
	v_add_f64_e32 v[177:178], v[179:180], v[183:184]
	v_fma_f64 v[181:182], v[8:9], v[30:31], v[181:182]
	v_fma_f64 v[30:31], v[6:7], v[30:31], -v[32:33]
	ds_load_b128 v[6:9], v1 offset:1904
	s_wait_loadcnt_dscnt 0x701
	v_mul_f64_e32 v[179:180], v[2:3], v[40:41]
	v_mul_f64_e32 v[40:41], v[4:5], v[40:41]
	v_add_f64_e32 v[26:27], v[28:29], v[26:27]
	v_add_f64_e32 v[28:29], v[177:178], v[185:186]
	s_delay_alu instid0(VALU_DEP_4) | instskip(NEXT) | instid1(VALU_DEP_4)
	v_fma_f64 v[177:178], v[4:5], v[38:39], v[179:180]
	v_fma_f64 v[38:39], v[2:3], v[38:39], -v[40:41]
	ds_load_b128 v[2:5], v1 offset:1920
	v_add_f64_e32 v[30:31], v[26:27], v[30:31]
	v_add_f64_e32 v[40:41], v[28:29], v[181:182]
	scratch_load_b128 v[26:29], off, off offset:752
	s_wait_loadcnt_dscnt 0x701
	v_mul_f64_e32 v[32:33], v[6:7], v[175:176]
	v_mul_f64_e32 v[175:176], v[8:9], v[175:176]
	v_add_f64_e32 v[30:31], v[30:31], v[38:39]
	v_add_f64_e32 v[38:39], v[40:41], v[177:178]
	s_delay_alu instid0(VALU_DEP_4) | instskip(NEXT) | instid1(VALU_DEP_4)
	v_fma_f64 v[32:33], v[8:9], v[173:174], v[32:33]
	v_fma_f64 v[173:174], v[6:7], v[173:174], -v[175:176]
	ds_load_b128 v[6:9], v1 offset:1936
	s_wait_loadcnt_dscnt 0x601
	v_mul_f64_e32 v[179:180], v[2:3], v[36:37]
	v_mul_f64_e32 v[36:37], v[4:5], v[36:37]
	s_wait_loadcnt_dscnt 0x500
	v_mul_f64_e32 v[40:41], v[6:7], v[171:172]
	v_mul_f64_e32 v[171:172], v[8:9], v[171:172]
	v_add_f64_e32 v[32:33], v[38:39], v[32:33]
	v_add_f64_e32 v[30:31], v[30:31], v[173:174]
	v_fma_f64 v[175:176], v[4:5], v[34:35], v[179:180]
	v_fma_f64 v[34:35], v[2:3], v[34:35], -v[36:37]
	ds_load_b128 v[2:5], v1 offset:1952
	v_fma_f64 v[38:39], v[8:9], v[169:170], v[40:41]
	v_fma_f64 v[40:41], v[6:7], v[169:170], -v[171:172]
	ds_load_b128 v[6:9], v1 offset:1968
	s_wait_loadcnt_dscnt 0x401
	v_mul_f64_e32 v[36:37], v[2:3], v[12:13]
	v_mul_f64_e32 v[12:13], v[4:5], v[12:13]
	v_add_f64_e32 v[32:33], v[32:33], v[175:176]
	v_add_f64_e32 v[30:31], v[30:31], v[34:35]
	s_wait_loadcnt_dscnt 0x300
	v_mul_f64_e32 v[34:35], v[6:7], v[16:17]
	v_mul_f64_e32 v[16:17], v[8:9], v[16:17]
	v_fma_f64 v[36:37], v[4:5], v[10:11], v[36:37]
	v_fma_f64 v[10:11], v[2:3], v[10:11], -v[12:13]
	ds_load_b128 v[2:5], v1 offset:1984
	v_add_f64_e32 v[12:13], v[30:31], v[40:41]
	v_add_f64_e32 v[30:31], v[32:33], v[38:39]
	v_fma_f64 v[34:35], v[8:9], v[14:15], v[34:35]
	v_fma_f64 v[14:15], v[6:7], v[14:15], -v[16:17]
	ds_load_b128 v[6:9], v1 offset:2000
	s_wait_loadcnt_dscnt 0x201
	v_mul_f64_e32 v[32:33], v[2:3], v[20:21]
	v_mul_f64_e32 v[20:21], v[4:5], v[20:21]
	s_wait_loadcnt_dscnt 0x100
	v_mul_f64_e32 v[16:17], v[6:7], v[24:25]
	v_mul_f64_e32 v[24:25], v[8:9], v[24:25]
	v_add_f64_e32 v[10:11], v[12:13], v[10:11]
	v_add_f64_e32 v[12:13], v[30:31], v[36:37]
	v_fma_f64 v[4:5], v[4:5], v[18:19], v[32:33]
	v_fma_f64 v[1:2], v[2:3], v[18:19], -v[20:21]
	v_fma_f64 v[8:9], v[8:9], v[22:23], v[16:17]
	v_fma_f64 v[6:7], v[6:7], v[22:23], -v[24:25]
	v_add_f64_e32 v[10:11], v[10:11], v[14:15]
	v_add_f64_e32 v[12:13], v[12:13], v[34:35]
	s_delay_alu instid0(VALU_DEP_2) | instskip(NEXT) | instid1(VALU_DEP_2)
	v_add_f64_e32 v[1:2], v[10:11], v[1:2]
	v_add_f64_e32 v[3:4], v[12:13], v[4:5]
	s_delay_alu instid0(VALU_DEP_2) | instskip(NEXT) | instid1(VALU_DEP_2)
	v_add_f64_e32 v[1:2], v[1:2], v[6:7]
	v_add_f64_e32 v[3:4], v[3:4], v[8:9]
	s_wait_loadcnt 0x0
	s_delay_alu instid0(VALU_DEP_2) | instskip(NEXT) | instid1(VALU_DEP_2)
	v_add_f64_e64 v[1:2], v[26:27], -v[1:2]
	v_add_f64_e64 v[3:4], v[28:29], -v[3:4]
	scratch_store_b128 off, v[1:4], off offset:752
	v_cmpx_lt_u32_e32 45, v0
	s_cbranch_execz .LBB126_313
; %bb.312:
	scratch_load_b128 v[1:4], off, s33
	v_mov_b32_e32 v5, 0
	s_delay_alu instid0(VALU_DEP_1)
	v_dual_mov_b32 v6, v5 :: v_dual_mov_b32 v7, v5
	v_mov_b32_e32 v8, v5
	scratch_store_b128 off, v[5:8], off offset:736
	s_wait_loadcnt 0x0
	ds_store_b128 v168, v[1:4]
.LBB126_313:
	s_wait_alu 0xfffe
	s_or_b32 exec_lo, exec_lo, s0
	s_wait_storecnt_dscnt 0x0
	s_barrier_signal -1
	s_barrier_wait -1
	global_inv scope:SCOPE_SE
	s_clause 0x7
	scratch_load_b128 v[2:5], off, off offset:752
	scratch_load_b128 v[6:9], off, off offset:768
	;; [unrolled: 1-line block ×8, first 2 shown]
	v_mov_b32_e32 v1, 0
	s_clause 0x1
	scratch_load_b128 v[38:41], off, off offset:880
	scratch_load_b128 v[173:176], off, off offset:896
	s_mov_b32 s0, exec_lo
	ds_load_b128 v[34:37], v1 offset:1744
	ds_load_b128 v[169:172], v1 offset:1760
	s_wait_loadcnt_dscnt 0x901
	v_mul_f64_e32 v[177:178], v[36:37], v[4:5]
	v_mul_f64_e32 v[4:5], v[34:35], v[4:5]
	s_wait_loadcnt_dscnt 0x800
	v_mul_f64_e32 v[179:180], v[169:170], v[8:9]
	v_mul_f64_e32 v[8:9], v[171:172], v[8:9]
	s_delay_alu instid0(VALU_DEP_4) | instskip(NEXT) | instid1(VALU_DEP_4)
	v_fma_f64 v[177:178], v[34:35], v[2:3], -v[177:178]
	v_fma_f64 v[181:182], v[36:37], v[2:3], v[4:5]
	ds_load_b128 v[2:5], v1 offset:1776
	scratch_load_b128 v[34:37], off, off offset:912
	v_fma_f64 v[179:180], v[171:172], v[6:7], v[179:180]
	v_fma_f64 v[185:186], v[169:170], v[6:7], -v[8:9]
	ds_load_b128 v[6:9], v1 offset:1792
	scratch_load_b128 v[169:172], off, off offset:928
	s_wait_loadcnt_dscnt 0x901
	v_mul_f64_e32 v[183:184], v[2:3], v[12:13]
	v_mul_f64_e32 v[12:13], v[4:5], v[12:13]
	s_wait_loadcnt_dscnt 0x800
	v_mul_f64_e32 v[187:188], v[6:7], v[16:17]
	v_mul_f64_e32 v[16:17], v[8:9], v[16:17]
	v_add_f64_e32 v[177:178], 0, v[177:178]
	v_add_f64_e32 v[181:182], 0, v[181:182]
	v_fma_f64 v[183:184], v[4:5], v[10:11], v[183:184]
	v_fma_f64 v[189:190], v[2:3], v[10:11], -v[12:13]
	ds_load_b128 v[2:5], v1 offset:1808
	scratch_load_b128 v[10:13], off, off offset:944
	v_add_f64_e32 v[177:178], v[177:178], v[185:186]
	v_add_f64_e32 v[179:180], v[181:182], v[179:180]
	v_fma_f64 v[185:186], v[8:9], v[14:15], v[187:188]
	v_fma_f64 v[187:188], v[6:7], v[14:15], -v[16:17]
	ds_load_b128 v[6:9], v1 offset:1824
	scratch_load_b128 v[14:17], off, off offset:960
	s_wait_loadcnt_dscnt 0x901
	v_mul_f64_e32 v[181:182], v[2:3], v[20:21]
	v_mul_f64_e32 v[20:21], v[4:5], v[20:21]
	v_add_f64_e32 v[177:178], v[177:178], v[189:190]
	v_add_f64_e32 v[179:180], v[179:180], v[183:184]
	s_wait_loadcnt_dscnt 0x800
	v_mul_f64_e32 v[183:184], v[6:7], v[24:25]
	v_mul_f64_e32 v[24:25], v[8:9], v[24:25]
	v_fma_f64 v[181:182], v[4:5], v[18:19], v[181:182]
	v_fma_f64 v[189:190], v[2:3], v[18:19], -v[20:21]
	ds_load_b128 v[2:5], v1 offset:1840
	scratch_load_b128 v[18:21], off, off offset:976
	v_add_f64_e32 v[177:178], v[177:178], v[187:188]
	v_add_f64_e32 v[179:180], v[179:180], v[185:186]
	v_fma_f64 v[183:184], v[8:9], v[22:23], v[183:184]
	v_fma_f64 v[187:188], v[6:7], v[22:23], -v[24:25]
	ds_load_b128 v[6:9], v1 offset:1856
	s_wait_loadcnt_dscnt 0x801
	v_mul_f64_e32 v[185:186], v[2:3], v[28:29]
	v_mul_f64_e32 v[28:29], v[4:5], v[28:29]
	scratch_load_b128 v[22:25], off, off offset:992
	v_add_f64_e32 v[177:178], v[177:178], v[189:190]
	v_add_f64_e32 v[179:180], v[179:180], v[181:182]
	s_wait_loadcnt_dscnt 0x800
	v_mul_f64_e32 v[181:182], v[6:7], v[32:33]
	v_mul_f64_e32 v[32:33], v[8:9], v[32:33]
	v_fma_f64 v[185:186], v[4:5], v[26:27], v[185:186]
	v_fma_f64 v[189:190], v[2:3], v[26:27], -v[28:29]
	ds_load_b128 v[2:5], v1 offset:1872
	scratch_load_b128 v[26:29], off, off offset:1008
	v_add_f64_e32 v[177:178], v[177:178], v[187:188]
	v_add_f64_e32 v[179:180], v[179:180], v[183:184]
	v_fma_f64 v[181:182], v[8:9], v[30:31], v[181:182]
	v_fma_f64 v[30:31], v[6:7], v[30:31], -v[32:33]
	ds_load_b128 v[6:9], v1 offset:1888
	s_wait_loadcnt_dscnt 0x801
	v_mul_f64_e32 v[183:184], v[2:3], v[40:41]
	v_mul_f64_e32 v[40:41], v[4:5], v[40:41]
	v_add_f64_e32 v[32:33], v[177:178], v[189:190]
	v_add_f64_e32 v[177:178], v[179:180], v[185:186]
	s_wait_loadcnt_dscnt 0x700
	v_mul_f64_e32 v[179:180], v[6:7], v[175:176]
	v_mul_f64_e32 v[175:176], v[8:9], v[175:176]
	v_fma_f64 v[183:184], v[4:5], v[38:39], v[183:184]
	v_fma_f64 v[38:39], v[2:3], v[38:39], -v[40:41]
	ds_load_b128 v[2:5], v1 offset:1904
	v_add_f64_e32 v[30:31], v[32:33], v[30:31]
	v_add_f64_e32 v[32:33], v[177:178], v[181:182]
	v_fma_f64 v[177:178], v[8:9], v[173:174], v[179:180]
	v_fma_f64 v[173:174], v[6:7], v[173:174], -v[175:176]
	ds_load_b128 v[6:9], v1 offset:1920
	s_wait_loadcnt_dscnt 0x500
	v_mul_f64_e32 v[179:180], v[6:7], v[171:172]
	v_mul_f64_e32 v[171:172], v[8:9], v[171:172]
	v_add_f64_e32 v[38:39], v[30:31], v[38:39]
	v_add_f64_e32 v[175:176], v[32:33], v[183:184]
	scratch_load_b128 v[30:33], off, off offset:736
	v_mul_f64_e32 v[40:41], v[2:3], v[36:37]
	v_mul_f64_e32 v[36:37], v[4:5], v[36:37]
	s_delay_alu instid0(VALU_DEP_2) | instskip(NEXT) | instid1(VALU_DEP_2)
	v_fma_f64 v[40:41], v[4:5], v[34:35], v[40:41]
	v_fma_f64 v[34:35], v[2:3], v[34:35], -v[36:37]
	v_add_f64_e32 v[36:37], v[38:39], v[173:174]
	v_add_f64_e32 v[38:39], v[175:176], v[177:178]
	ds_load_b128 v[2:5], v1 offset:1936
	v_fma_f64 v[175:176], v[8:9], v[169:170], v[179:180]
	v_fma_f64 v[169:170], v[6:7], v[169:170], -v[171:172]
	ds_load_b128 v[6:9], v1 offset:1952
	s_wait_loadcnt_dscnt 0x501
	v_mul_f64_e32 v[173:174], v[2:3], v[12:13]
	v_mul_f64_e32 v[12:13], v[4:5], v[12:13]
	v_add_f64_e32 v[34:35], v[36:37], v[34:35]
	v_add_f64_e32 v[36:37], v[38:39], v[40:41]
	s_wait_loadcnt_dscnt 0x400
	v_mul_f64_e32 v[38:39], v[6:7], v[16:17]
	v_mul_f64_e32 v[16:17], v[8:9], v[16:17]
	v_fma_f64 v[40:41], v[4:5], v[10:11], v[173:174]
	v_fma_f64 v[10:11], v[2:3], v[10:11], -v[12:13]
	ds_load_b128 v[2:5], v1 offset:1968
	v_add_f64_e32 v[12:13], v[34:35], v[169:170]
	v_add_f64_e32 v[34:35], v[36:37], v[175:176]
	v_fma_f64 v[38:39], v[8:9], v[14:15], v[38:39]
	v_fma_f64 v[14:15], v[6:7], v[14:15], -v[16:17]
	ds_load_b128 v[6:9], v1 offset:1984
	s_wait_loadcnt_dscnt 0x301
	v_mul_f64_e32 v[36:37], v[2:3], v[20:21]
	v_mul_f64_e32 v[20:21], v[4:5], v[20:21]
	s_wait_loadcnt_dscnt 0x200
	v_mul_f64_e32 v[16:17], v[6:7], v[24:25]
	v_mul_f64_e32 v[24:25], v[8:9], v[24:25]
	v_add_f64_e32 v[10:11], v[12:13], v[10:11]
	v_add_f64_e32 v[12:13], v[34:35], v[40:41]
	v_fma_f64 v[34:35], v[4:5], v[18:19], v[36:37]
	v_fma_f64 v[18:19], v[2:3], v[18:19], -v[20:21]
	ds_load_b128 v[2:5], v1 offset:2000
	v_fma_f64 v[8:9], v[8:9], v[22:23], v[16:17]
	v_fma_f64 v[6:7], v[6:7], v[22:23], -v[24:25]
	s_wait_loadcnt_dscnt 0x100
	v_mul_f64_e32 v[20:21], v[4:5], v[28:29]
	v_add_f64_e32 v[10:11], v[10:11], v[14:15]
	v_add_f64_e32 v[12:13], v[12:13], v[38:39]
	v_mul_f64_e32 v[14:15], v[2:3], v[28:29]
	s_delay_alu instid0(VALU_DEP_4) | instskip(NEXT) | instid1(VALU_DEP_4)
	v_fma_f64 v[2:3], v[2:3], v[26:27], -v[20:21]
	v_add_f64_e32 v[10:11], v[10:11], v[18:19]
	s_delay_alu instid0(VALU_DEP_4) | instskip(NEXT) | instid1(VALU_DEP_4)
	v_add_f64_e32 v[12:13], v[12:13], v[34:35]
	v_fma_f64 v[4:5], v[4:5], v[26:27], v[14:15]
	s_delay_alu instid0(VALU_DEP_3) | instskip(NEXT) | instid1(VALU_DEP_3)
	v_add_f64_e32 v[6:7], v[10:11], v[6:7]
	v_add_f64_e32 v[8:9], v[12:13], v[8:9]
	s_delay_alu instid0(VALU_DEP_2) | instskip(NEXT) | instid1(VALU_DEP_2)
	v_add_f64_e32 v[2:3], v[6:7], v[2:3]
	v_add_f64_e32 v[4:5], v[8:9], v[4:5]
	s_wait_loadcnt 0x0
	s_delay_alu instid0(VALU_DEP_2) | instskip(NEXT) | instid1(VALU_DEP_2)
	v_add_f64_e64 v[2:3], v[30:31], -v[2:3]
	v_add_f64_e64 v[4:5], v[32:33], -v[4:5]
	scratch_store_b128 off, v[2:5], off offset:736
	v_cmpx_lt_u32_e32 44, v0
	s_cbranch_execz .LBB126_315
; %bb.314:
	scratch_load_b128 v[5:8], off, s34
	v_dual_mov_b32 v2, v1 :: v_dual_mov_b32 v3, v1
	v_mov_b32_e32 v4, v1
	scratch_store_b128 off, v[1:4], off offset:720
	s_wait_loadcnt 0x0
	ds_store_b128 v168, v[5:8]
.LBB126_315:
	s_wait_alu 0xfffe
	s_or_b32 exec_lo, exec_lo, s0
	s_wait_storecnt_dscnt 0x0
	s_barrier_signal -1
	s_barrier_wait -1
	global_inv scope:SCOPE_SE
	s_clause 0x7
	scratch_load_b128 v[2:5], off, off offset:736
	scratch_load_b128 v[6:9], off, off offset:752
	;; [unrolled: 1-line block ×8, first 2 shown]
	ds_load_b128 v[34:37], v1 offset:1728
	ds_load_b128 v[169:172], v1 offset:1744
	s_clause 0x1
	scratch_load_b128 v[38:41], off, off offset:864
	scratch_load_b128 v[173:176], off, off offset:880
	s_mov_b32 s0, exec_lo
	s_wait_loadcnt_dscnt 0x901
	v_mul_f64_e32 v[177:178], v[36:37], v[4:5]
	v_mul_f64_e32 v[4:5], v[34:35], v[4:5]
	s_wait_loadcnt_dscnt 0x800
	v_mul_f64_e32 v[179:180], v[169:170], v[8:9]
	v_mul_f64_e32 v[8:9], v[171:172], v[8:9]
	s_delay_alu instid0(VALU_DEP_4) | instskip(NEXT) | instid1(VALU_DEP_4)
	v_fma_f64 v[177:178], v[34:35], v[2:3], -v[177:178]
	v_fma_f64 v[181:182], v[36:37], v[2:3], v[4:5]
	scratch_load_b128 v[34:37], off, off offset:896
	ds_load_b128 v[2:5], v1 offset:1760
	v_fma_f64 v[179:180], v[171:172], v[6:7], v[179:180]
	v_fma_f64 v[185:186], v[169:170], v[6:7], -v[8:9]
	ds_load_b128 v[6:9], v1 offset:1776
	scratch_load_b128 v[169:172], off, off offset:912
	s_wait_loadcnt_dscnt 0x901
	v_mul_f64_e32 v[183:184], v[2:3], v[12:13]
	v_mul_f64_e32 v[12:13], v[4:5], v[12:13]
	s_wait_loadcnt_dscnt 0x800
	v_mul_f64_e32 v[187:188], v[6:7], v[16:17]
	v_mul_f64_e32 v[16:17], v[8:9], v[16:17]
	v_add_f64_e32 v[177:178], 0, v[177:178]
	v_add_f64_e32 v[181:182], 0, v[181:182]
	v_fma_f64 v[183:184], v[4:5], v[10:11], v[183:184]
	v_fma_f64 v[189:190], v[2:3], v[10:11], -v[12:13]
	ds_load_b128 v[2:5], v1 offset:1792
	scratch_load_b128 v[10:13], off, off offset:928
	v_add_f64_e32 v[177:178], v[177:178], v[185:186]
	v_add_f64_e32 v[179:180], v[181:182], v[179:180]
	v_fma_f64 v[185:186], v[8:9], v[14:15], v[187:188]
	v_fma_f64 v[187:188], v[6:7], v[14:15], -v[16:17]
	ds_load_b128 v[6:9], v1 offset:1808
	scratch_load_b128 v[14:17], off, off offset:944
	s_wait_loadcnt_dscnt 0x901
	v_mul_f64_e32 v[181:182], v[2:3], v[20:21]
	v_mul_f64_e32 v[20:21], v[4:5], v[20:21]
	v_add_f64_e32 v[177:178], v[177:178], v[189:190]
	v_add_f64_e32 v[179:180], v[179:180], v[183:184]
	s_wait_loadcnt_dscnt 0x800
	v_mul_f64_e32 v[183:184], v[6:7], v[24:25]
	v_mul_f64_e32 v[24:25], v[8:9], v[24:25]
	v_fma_f64 v[181:182], v[4:5], v[18:19], v[181:182]
	v_fma_f64 v[189:190], v[2:3], v[18:19], -v[20:21]
	ds_load_b128 v[2:5], v1 offset:1824
	scratch_load_b128 v[18:21], off, off offset:960
	v_add_f64_e32 v[177:178], v[177:178], v[187:188]
	v_add_f64_e32 v[179:180], v[179:180], v[185:186]
	v_fma_f64 v[183:184], v[8:9], v[22:23], v[183:184]
	v_fma_f64 v[187:188], v[6:7], v[22:23], -v[24:25]
	ds_load_b128 v[6:9], v1 offset:1840
	s_wait_loadcnt_dscnt 0x801
	v_mul_f64_e32 v[185:186], v[2:3], v[28:29]
	v_mul_f64_e32 v[28:29], v[4:5], v[28:29]
	scratch_load_b128 v[22:25], off, off offset:976
	v_add_f64_e32 v[177:178], v[177:178], v[189:190]
	v_add_f64_e32 v[179:180], v[179:180], v[181:182]
	s_wait_loadcnt_dscnt 0x800
	v_mul_f64_e32 v[181:182], v[6:7], v[32:33]
	v_mul_f64_e32 v[32:33], v[8:9], v[32:33]
	v_fma_f64 v[185:186], v[4:5], v[26:27], v[185:186]
	v_fma_f64 v[189:190], v[2:3], v[26:27], -v[28:29]
	ds_load_b128 v[2:5], v1 offset:1856
	scratch_load_b128 v[26:29], off, off offset:992
	v_add_f64_e32 v[177:178], v[177:178], v[187:188]
	v_add_f64_e32 v[179:180], v[179:180], v[183:184]
	v_fma_f64 v[181:182], v[8:9], v[30:31], v[181:182]
	v_fma_f64 v[187:188], v[6:7], v[30:31], -v[32:33]
	ds_load_b128 v[6:9], v1 offset:1872
	s_wait_loadcnt_dscnt 0x801
	v_mul_f64_e32 v[183:184], v[2:3], v[40:41]
	v_mul_f64_e32 v[40:41], v[4:5], v[40:41]
	scratch_load_b128 v[30:33], off, off offset:1008
	v_add_f64_e32 v[177:178], v[177:178], v[189:190]
	v_add_f64_e32 v[179:180], v[179:180], v[185:186]
	v_fma_f64 v[183:184], v[4:5], v[38:39], v[183:184]
	v_fma_f64 v[38:39], v[2:3], v[38:39], -v[40:41]
	ds_load_b128 v[2:5], v1 offset:1888
	v_add_f64_e32 v[40:41], v[177:178], v[187:188]
	v_add_f64_e32 v[177:178], v[179:180], v[181:182]
	s_wait_loadcnt_dscnt 0x700
	v_mul_f64_e32 v[179:180], v[2:3], v[36:37]
	v_mul_f64_e32 v[36:37], v[4:5], v[36:37]
	s_delay_alu instid0(VALU_DEP_4) | instskip(NEXT) | instid1(VALU_DEP_4)
	v_add_f64_e32 v[38:39], v[40:41], v[38:39]
	v_add_f64_e32 v[40:41], v[177:178], v[183:184]
	s_delay_alu instid0(VALU_DEP_4) | instskip(NEXT) | instid1(VALU_DEP_4)
	v_fma_f64 v[177:178], v[4:5], v[34:35], v[179:180]
	v_fma_f64 v[179:180], v[2:3], v[34:35], -v[36:37]
	scratch_load_b128 v[34:37], off, off offset:720
	v_mul_f64_e32 v[185:186], v[6:7], v[175:176]
	v_mul_f64_e32 v[175:176], v[8:9], v[175:176]
	ds_load_b128 v[2:5], v1 offset:1920
	v_fma_f64 v[181:182], v[8:9], v[173:174], v[185:186]
	v_fma_f64 v[173:174], v[6:7], v[173:174], -v[175:176]
	ds_load_b128 v[6:9], v1 offset:1904
	s_wait_loadcnt_dscnt 0x700
	v_mul_f64_e32 v[175:176], v[6:7], v[171:172]
	v_mul_f64_e32 v[171:172], v[8:9], v[171:172]
	v_add_f64_e32 v[40:41], v[40:41], v[181:182]
	v_add_f64_e32 v[38:39], v[38:39], v[173:174]
	s_wait_loadcnt 0x6
	v_mul_f64_e32 v[173:174], v[2:3], v[12:13]
	v_mul_f64_e32 v[12:13], v[4:5], v[12:13]
	v_fma_f64 v[175:176], v[8:9], v[169:170], v[175:176]
	v_fma_f64 v[169:170], v[6:7], v[169:170], -v[171:172]
	ds_load_b128 v[6:9], v1 offset:1936
	v_add_f64_e32 v[40:41], v[40:41], v[177:178]
	v_add_f64_e32 v[38:39], v[38:39], v[179:180]
	v_fma_f64 v[173:174], v[4:5], v[10:11], v[173:174]
	v_fma_f64 v[10:11], v[2:3], v[10:11], -v[12:13]
	ds_load_b128 v[2:5], v1 offset:1952
	s_wait_loadcnt_dscnt 0x501
	v_mul_f64_e32 v[171:172], v[6:7], v[16:17]
	v_mul_f64_e32 v[16:17], v[8:9], v[16:17]
	v_add_f64_e32 v[12:13], v[38:39], v[169:170]
	v_add_f64_e32 v[38:39], v[40:41], v[175:176]
	s_wait_loadcnt_dscnt 0x400
	v_mul_f64_e32 v[40:41], v[2:3], v[20:21]
	v_mul_f64_e32 v[20:21], v[4:5], v[20:21]
	v_fma_f64 v[169:170], v[8:9], v[14:15], v[171:172]
	v_fma_f64 v[14:15], v[6:7], v[14:15], -v[16:17]
	ds_load_b128 v[6:9], v1 offset:1968
	v_add_f64_e32 v[10:11], v[12:13], v[10:11]
	v_add_f64_e32 v[12:13], v[38:39], v[173:174]
	v_fma_f64 v[38:39], v[4:5], v[18:19], v[40:41]
	v_fma_f64 v[18:19], v[2:3], v[18:19], -v[20:21]
	ds_load_b128 v[2:5], v1 offset:1984
	s_wait_loadcnt_dscnt 0x301
	v_mul_f64_e32 v[16:17], v[6:7], v[24:25]
	v_mul_f64_e32 v[24:25], v[8:9], v[24:25]
	s_wait_loadcnt_dscnt 0x200
	v_mul_f64_e32 v[20:21], v[4:5], v[28:29]
	v_add_f64_e32 v[10:11], v[10:11], v[14:15]
	v_add_f64_e32 v[12:13], v[12:13], v[169:170]
	v_mul_f64_e32 v[14:15], v[2:3], v[28:29]
	v_fma_f64 v[16:17], v[8:9], v[22:23], v[16:17]
	v_fma_f64 v[22:23], v[6:7], v[22:23], -v[24:25]
	ds_load_b128 v[6:9], v1 offset:2000
	v_fma_f64 v[1:2], v[2:3], v[26:27], -v[20:21]
	s_wait_loadcnt_dscnt 0x100
	v_mul_f64_e32 v[24:25], v[8:9], v[32:33]
	v_add_f64_e32 v[10:11], v[10:11], v[18:19]
	v_add_f64_e32 v[12:13], v[12:13], v[38:39]
	v_mul_f64_e32 v[18:19], v[6:7], v[32:33]
	v_fma_f64 v[4:5], v[4:5], v[26:27], v[14:15]
	v_fma_f64 v[6:7], v[6:7], v[30:31], -v[24:25]
	v_add_f64_e32 v[10:11], v[10:11], v[22:23]
	v_add_f64_e32 v[12:13], v[12:13], v[16:17]
	v_fma_f64 v[8:9], v[8:9], v[30:31], v[18:19]
	s_delay_alu instid0(VALU_DEP_3) | instskip(NEXT) | instid1(VALU_DEP_3)
	v_add_f64_e32 v[1:2], v[10:11], v[1:2]
	v_add_f64_e32 v[3:4], v[12:13], v[4:5]
	s_delay_alu instid0(VALU_DEP_2) | instskip(NEXT) | instid1(VALU_DEP_2)
	v_add_f64_e32 v[1:2], v[1:2], v[6:7]
	v_add_f64_e32 v[3:4], v[3:4], v[8:9]
	s_wait_loadcnt 0x0
	s_delay_alu instid0(VALU_DEP_2) | instskip(NEXT) | instid1(VALU_DEP_2)
	v_add_f64_e64 v[1:2], v[34:35], -v[1:2]
	v_add_f64_e64 v[3:4], v[36:37], -v[3:4]
	scratch_store_b128 off, v[1:4], off offset:720
	v_cmpx_lt_u32_e32 43, v0
	s_cbranch_execz .LBB126_317
; %bb.316:
	scratch_load_b128 v[1:4], off, s35
	v_mov_b32_e32 v5, 0
	s_delay_alu instid0(VALU_DEP_1)
	v_dual_mov_b32 v6, v5 :: v_dual_mov_b32 v7, v5
	v_mov_b32_e32 v8, v5
	scratch_store_b128 off, v[5:8], off offset:704
	s_wait_loadcnt 0x0
	ds_store_b128 v168, v[1:4]
.LBB126_317:
	s_wait_alu 0xfffe
	s_or_b32 exec_lo, exec_lo, s0
	s_wait_storecnt_dscnt 0x0
	s_barrier_signal -1
	s_barrier_wait -1
	global_inv scope:SCOPE_SE
	s_clause 0x7
	scratch_load_b128 v[2:5], off, off offset:720
	scratch_load_b128 v[6:9], off, off offset:736
	;; [unrolled: 1-line block ×8, first 2 shown]
	v_mov_b32_e32 v1, 0
	s_clause 0x1
	scratch_load_b128 v[38:41], off, off offset:848
	scratch_load_b128 v[173:176], off, off offset:864
	s_mov_b32 s0, exec_lo
	ds_load_b128 v[34:37], v1 offset:1712
	ds_load_b128 v[169:172], v1 offset:1728
	s_wait_loadcnt_dscnt 0x901
	v_mul_f64_e32 v[177:178], v[36:37], v[4:5]
	v_mul_f64_e32 v[4:5], v[34:35], v[4:5]
	s_wait_loadcnt_dscnt 0x800
	v_mul_f64_e32 v[179:180], v[169:170], v[8:9]
	v_mul_f64_e32 v[8:9], v[171:172], v[8:9]
	s_delay_alu instid0(VALU_DEP_4) | instskip(NEXT) | instid1(VALU_DEP_4)
	v_fma_f64 v[177:178], v[34:35], v[2:3], -v[177:178]
	v_fma_f64 v[181:182], v[36:37], v[2:3], v[4:5]
	ds_load_b128 v[2:5], v1 offset:1744
	scratch_load_b128 v[34:37], off, off offset:880
	v_fma_f64 v[179:180], v[171:172], v[6:7], v[179:180]
	v_fma_f64 v[185:186], v[169:170], v[6:7], -v[8:9]
	ds_load_b128 v[6:9], v1 offset:1760
	scratch_load_b128 v[169:172], off, off offset:896
	s_wait_loadcnt_dscnt 0x901
	v_mul_f64_e32 v[183:184], v[2:3], v[12:13]
	v_mul_f64_e32 v[12:13], v[4:5], v[12:13]
	s_wait_loadcnt_dscnt 0x800
	v_mul_f64_e32 v[187:188], v[6:7], v[16:17]
	v_mul_f64_e32 v[16:17], v[8:9], v[16:17]
	v_add_f64_e32 v[177:178], 0, v[177:178]
	v_add_f64_e32 v[181:182], 0, v[181:182]
	v_fma_f64 v[183:184], v[4:5], v[10:11], v[183:184]
	v_fma_f64 v[189:190], v[2:3], v[10:11], -v[12:13]
	ds_load_b128 v[2:5], v1 offset:1776
	scratch_load_b128 v[10:13], off, off offset:912
	v_add_f64_e32 v[177:178], v[177:178], v[185:186]
	v_add_f64_e32 v[179:180], v[181:182], v[179:180]
	v_fma_f64 v[185:186], v[8:9], v[14:15], v[187:188]
	v_fma_f64 v[187:188], v[6:7], v[14:15], -v[16:17]
	ds_load_b128 v[6:9], v1 offset:1792
	scratch_load_b128 v[14:17], off, off offset:928
	s_wait_loadcnt_dscnt 0x901
	v_mul_f64_e32 v[181:182], v[2:3], v[20:21]
	v_mul_f64_e32 v[20:21], v[4:5], v[20:21]
	v_add_f64_e32 v[177:178], v[177:178], v[189:190]
	v_add_f64_e32 v[179:180], v[179:180], v[183:184]
	s_wait_loadcnt_dscnt 0x800
	v_mul_f64_e32 v[183:184], v[6:7], v[24:25]
	v_mul_f64_e32 v[24:25], v[8:9], v[24:25]
	v_fma_f64 v[181:182], v[4:5], v[18:19], v[181:182]
	v_fma_f64 v[189:190], v[2:3], v[18:19], -v[20:21]
	ds_load_b128 v[2:5], v1 offset:1808
	scratch_load_b128 v[18:21], off, off offset:944
	v_add_f64_e32 v[177:178], v[177:178], v[187:188]
	v_add_f64_e32 v[179:180], v[179:180], v[185:186]
	v_fma_f64 v[183:184], v[8:9], v[22:23], v[183:184]
	v_fma_f64 v[187:188], v[6:7], v[22:23], -v[24:25]
	ds_load_b128 v[6:9], v1 offset:1824
	s_wait_loadcnt_dscnt 0x801
	v_mul_f64_e32 v[185:186], v[2:3], v[28:29]
	v_mul_f64_e32 v[28:29], v[4:5], v[28:29]
	scratch_load_b128 v[22:25], off, off offset:960
	v_add_f64_e32 v[177:178], v[177:178], v[189:190]
	v_add_f64_e32 v[179:180], v[179:180], v[181:182]
	s_wait_loadcnt_dscnt 0x800
	v_mul_f64_e32 v[181:182], v[6:7], v[32:33]
	v_mul_f64_e32 v[32:33], v[8:9], v[32:33]
	v_fma_f64 v[185:186], v[4:5], v[26:27], v[185:186]
	v_fma_f64 v[189:190], v[2:3], v[26:27], -v[28:29]
	ds_load_b128 v[2:5], v1 offset:1840
	scratch_load_b128 v[26:29], off, off offset:976
	v_add_f64_e32 v[177:178], v[177:178], v[187:188]
	v_add_f64_e32 v[179:180], v[179:180], v[183:184]
	v_fma_f64 v[181:182], v[8:9], v[30:31], v[181:182]
	v_fma_f64 v[187:188], v[6:7], v[30:31], -v[32:33]
	ds_load_b128 v[6:9], v1 offset:1856
	s_wait_loadcnt_dscnt 0x801
	v_mul_f64_e32 v[183:184], v[2:3], v[40:41]
	v_mul_f64_e32 v[40:41], v[4:5], v[40:41]
	scratch_load_b128 v[30:33], off, off offset:992
	v_add_f64_e32 v[177:178], v[177:178], v[189:190]
	v_add_f64_e32 v[179:180], v[179:180], v[185:186]
	s_wait_loadcnt_dscnt 0x800
	v_mul_f64_e32 v[185:186], v[6:7], v[175:176]
	v_mul_f64_e32 v[175:176], v[8:9], v[175:176]
	v_fma_f64 v[183:184], v[4:5], v[38:39], v[183:184]
	v_fma_f64 v[189:190], v[2:3], v[38:39], -v[40:41]
	ds_load_b128 v[2:5], v1 offset:1872
	scratch_load_b128 v[38:41], off, off offset:1008
	v_add_f64_e32 v[177:178], v[177:178], v[187:188]
	v_add_f64_e32 v[179:180], v[179:180], v[181:182]
	v_fma_f64 v[185:186], v[8:9], v[173:174], v[185:186]
	v_fma_f64 v[173:174], v[6:7], v[173:174], -v[175:176]
	ds_load_b128 v[6:9], v1 offset:1888
	s_wait_loadcnt_dscnt 0x801
	v_mul_f64_e32 v[181:182], v[2:3], v[36:37]
	v_mul_f64_e32 v[36:37], v[4:5], v[36:37]
	v_add_f64_e32 v[175:176], v[177:178], v[189:190]
	v_add_f64_e32 v[177:178], v[179:180], v[183:184]
	s_wait_loadcnt_dscnt 0x700
	v_mul_f64_e32 v[179:180], v[6:7], v[171:172]
	v_mul_f64_e32 v[171:172], v[8:9], v[171:172]
	v_fma_f64 v[181:182], v[4:5], v[34:35], v[181:182]
	v_fma_f64 v[34:35], v[2:3], v[34:35], -v[36:37]
	ds_load_b128 v[2:5], v1 offset:1904
	v_add_f64_e32 v[36:37], v[175:176], v[173:174]
	v_add_f64_e32 v[173:174], v[177:178], v[185:186]
	v_fma_f64 v[177:178], v[8:9], v[169:170], v[179:180]
	v_fma_f64 v[169:170], v[6:7], v[169:170], -v[171:172]
	ds_load_b128 v[6:9], v1 offset:1920
	s_wait_loadcnt_dscnt 0x500
	v_mul_f64_e32 v[179:180], v[6:7], v[16:17]
	v_mul_f64_e32 v[16:17], v[8:9], v[16:17]
	v_add_f64_e32 v[171:172], v[36:37], v[34:35]
	v_add_f64_e32 v[173:174], v[173:174], v[181:182]
	scratch_load_b128 v[34:37], off, off offset:704
	v_mul_f64_e32 v[175:176], v[2:3], v[12:13]
	v_mul_f64_e32 v[12:13], v[4:5], v[12:13]
	s_delay_alu instid0(VALU_DEP_2) | instskip(NEXT) | instid1(VALU_DEP_2)
	v_fma_f64 v[175:176], v[4:5], v[10:11], v[175:176]
	v_fma_f64 v[10:11], v[2:3], v[10:11], -v[12:13]
	v_add_f64_e32 v[12:13], v[171:172], v[169:170]
	v_add_f64_e32 v[169:170], v[173:174], v[177:178]
	ds_load_b128 v[2:5], v1 offset:1936
	v_fma_f64 v[173:174], v[8:9], v[14:15], v[179:180]
	v_fma_f64 v[14:15], v[6:7], v[14:15], -v[16:17]
	ds_load_b128 v[6:9], v1 offset:1952
	s_wait_loadcnt_dscnt 0x501
	v_mul_f64_e32 v[171:172], v[2:3], v[20:21]
	v_mul_f64_e32 v[20:21], v[4:5], v[20:21]
	s_wait_loadcnt_dscnt 0x400
	v_mul_f64_e32 v[16:17], v[6:7], v[24:25]
	v_mul_f64_e32 v[24:25], v[8:9], v[24:25]
	v_add_f64_e32 v[10:11], v[12:13], v[10:11]
	v_add_f64_e32 v[12:13], v[169:170], v[175:176]
	v_fma_f64 v[169:170], v[4:5], v[18:19], v[171:172]
	v_fma_f64 v[18:19], v[2:3], v[18:19], -v[20:21]
	ds_load_b128 v[2:5], v1 offset:1968
	v_fma_f64 v[16:17], v[8:9], v[22:23], v[16:17]
	v_fma_f64 v[22:23], v[6:7], v[22:23], -v[24:25]
	ds_load_b128 v[6:9], v1 offset:1984
	v_add_f64_e32 v[10:11], v[10:11], v[14:15]
	v_add_f64_e32 v[12:13], v[12:13], v[173:174]
	s_wait_loadcnt_dscnt 0x301
	v_mul_f64_e32 v[14:15], v[2:3], v[28:29]
	v_mul_f64_e32 v[20:21], v[4:5], v[28:29]
	s_wait_loadcnt_dscnt 0x200
	v_mul_f64_e32 v[24:25], v[8:9], v[32:33]
	v_add_f64_e32 v[10:11], v[10:11], v[18:19]
	v_add_f64_e32 v[12:13], v[12:13], v[169:170]
	v_mul_f64_e32 v[18:19], v[6:7], v[32:33]
	v_fma_f64 v[14:15], v[4:5], v[26:27], v[14:15]
	v_fma_f64 v[20:21], v[2:3], v[26:27], -v[20:21]
	ds_load_b128 v[2:5], v1 offset:2000
	v_fma_f64 v[6:7], v[6:7], v[30:31], -v[24:25]
	v_add_f64_e32 v[10:11], v[10:11], v[22:23]
	v_add_f64_e32 v[12:13], v[12:13], v[16:17]
	s_wait_loadcnt_dscnt 0x100
	v_mul_f64_e32 v[16:17], v[2:3], v[40:41]
	v_mul_f64_e32 v[22:23], v[4:5], v[40:41]
	v_fma_f64 v[8:9], v[8:9], v[30:31], v[18:19]
	v_add_f64_e32 v[10:11], v[10:11], v[20:21]
	v_add_f64_e32 v[12:13], v[12:13], v[14:15]
	v_fma_f64 v[4:5], v[4:5], v[38:39], v[16:17]
	v_fma_f64 v[2:3], v[2:3], v[38:39], -v[22:23]
	s_delay_alu instid0(VALU_DEP_4) | instskip(NEXT) | instid1(VALU_DEP_4)
	v_add_f64_e32 v[6:7], v[10:11], v[6:7]
	v_add_f64_e32 v[8:9], v[12:13], v[8:9]
	s_delay_alu instid0(VALU_DEP_2) | instskip(NEXT) | instid1(VALU_DEP_2)
	v_add_f64_e32 v[2:3], v[6:7], v[2:3]
	v_add_f64_e32 v[4:5], v[8:9], v[4:5]
	s_wait_loadcnt 0x0
	s_delay_alu instid0(VALU_DEP_2) | instskip(NEXT) | instid1(VALU_DEP_2)
	v_add_f64_e64 v[2:3], v[34:35], -v[2:3]
	v_add_f64_e64 v[4:5], v[36:37], -v[4:5]
	scratch_store_b128 off, v[2:5], off offset:704
	v_cmpx_lt_u32_e32 42, v0
	s_cbranch_execz .LBB126_319
; %bb.318:
	scratch_load_b128 v[5:8], off, s36
	v_dual_mov_b32 v2, v1 :: v_dual_mov_b32 v3, v1
	v_mov_b32_e32 v4, v1
	scratch_store_b128 off, v[1:4], off offset:688
	s_wait_loadcnt 0x0
	ds_store_b128 v168, v[5:8]
.LBB126_319:
	s_wait_alu 0xfffe
	s_or_b32 exec_lo, exec_lo, s0
	s_wait_storecnt_dscnt 0x0
	s_barrier_signal -1
	s_barrier_wait -1
	global_inv scope:SCOPE_SE
	s_clause 0x7
	scratch_load_b128 v[2:5], off, off offset:704
	scratch_load_b128 v[6:9], off, off offset:720
	;; [unrolled: 1-line block ×8, first 2 shown]
	ds_load_b128 v[34:37], v1 offset:1696
	ds_load_b128 v[169:172], v1 offset:1712
	s_clause 0x1
	scratch_load_b128 v[38:41], off, off offset:832
	scratch_load_b128 v[173:176], off, off offset:848
	s_mov_b32 s0, exec_lo
	s_wait_loadcnt_dscnt 0x901
	v_mul_f64_e32 v[177:178], v[36:37], v[4:5]
	v_mul_f64_e32 v[4:5], v[34:35], v[4:5]
	s_wait_loadcnt_dscnt 0x800
	v_mul_f64_e32 v[179:180], v[169:170], v[8:9]
	v_mul_f64_e32 v[8:9], v[171:172], v[8:9]
	s_delay_alu instid0(VALU_DEP_4) | instskip(NEXT) | instid1(VALU_DEP_4)
	v_fma_f64 v[177:178], v[34:35], v[2:3], -v[177:178]
	v_fma_f64 v[181:182], v[36:37], v[2:3], v[4:5]
	ds_load_b128 v[2:5], v1 offset:1728
	scratch_load_b128 v[34:37], off, off offset:864
	v_fma_f64 v[179:180], v[171:172], v[6:7], v[179:180]
	v_fma_f64 v[185:186], v[169:170], v[6:7], -v[8:9]
	ds_load_b128 v[6:9], v1 offset:1744
	scratch_load_b128 v[169:172], off, off offset:880
	s_wait_loadcnt_dscnt 0x901
	v_mul_f64_e32 v[183:184], v[2:3], v[12:13]
	v_mul_f64_e32 v[12:13], v[4:5], v[12:13]
	s_wait_loadcnt_dscnt 0x800
	v_mul_f64_e32 v[187:188], v[6:7], v[16:17]
	v_mul_f64_e32 v[16:17], v[8:9], v[16:17]
	v_add_f64_e32 v[177:178], 0, v[177:178]
	v_add_f64_e32 v[181:182], 0, v[181:182]
	v_fma_f64 v[183:184], v[4:5], v[10:11], v[183:184]
	v_fma_f64 v[189:190], v[2:3], v[10:11], -v[12:13]
	scratch_load_b128 v[10:13], off, off offset:896
	ds_load_b128 v[2:5], v1 offset:1760
	v_add_f64_e32 v[177:178], v[177:178], v[185:186]
	v_add_f64_e32 v[179:180], v[181:182], v[179:180]
	v_fma_f64 v[185:186], v[8:9], v[14:15], v[187:188]
	v_fma_f64 v[187:188], v[6:7], v[14:15], -v[16:17]
	ds_load_b128 v[6:9], v1 offset:1776
	scratch_load_b128 v[14:17], off, off offset:912
	s_wait_loadcnt_dscnt 0x901
	v_mul_f64_e32 v[181:182], v[2:3], v[20:21]
	v_mul_f64_e32 v[20:21], v[4:5], v[20:21]
	v_add_f64_e32 v[177:178], v[177:178], v[189:190]
	v_add_f64_e32 v[179:180], v[179:180], v[183:184]
	s_wait_loadcnt_dscnt 0x800
	v_mul_f64_e32 v[183:184], v[6:7], v[24:25]
	v_mul_f64_e32 v[24:25], v[8:9], v[24:25]
	v_fma_f64 v[181:182], v[4:5], v[18:19], v[181:182]
	v_fma_f64 v[189:190], v[2:3], v[18:19], -v[20:21]
	ds_load_b128 v[2:5], v1 offset:1792
	scratch_load_b128 v[18:21], off, off offset:928
	v_add_f64_e32 v[177:178], v[177:178], v[187:188]
	v_add_f64_e32 v[179:180], v[179:180], v[185:186]
	v_fma_f64 v[183:184], v[8:9], v[22:23], v[183:184]
	v_fma_f64 v[187:188], v[6:7], v[22:23], -v[24:25]
	ds_load_b128 v[6:9], v1 offset:1808
	s_wait_loadcnt_dscnt 0x801
	v_mul_f64_e32 v[185:186], v[2:3], v[28:29]
	v_mul_f64_e32 v[28:29], v[4:5], v[28:29]
	scratch_load_b128 v[22:25], off, off offset:944
	v_add_f64_e32 v[177:178], v[177:178], v[189:190]
	v_add_f64_e32 v[179:180], v[179:180], v[181:182]
	s_wait_loadcnt_dscnt 0x800
	v_mul_f64_e32 v[181:182], v[6:7], v[32:33]
	v_mul_f64_e32 v[32:33], v[8:9], v[32:33]
	v_fma_f64 v[185:186], v[4:5], v[26:27], v[185:186]
	v_fma_f64 v[189:190], v[2:3], v[26:27], -v[28:29]
	ds_load_b128 v[2:5], v1 offset:1824
	scratch_load_b128 v[26:29], off, off offset:960
	v_add_f64_e32 v[177:178], v[177:178], v[187:188]
	v_add_f64_e32 v[179:180], v[179:180], v[183:184]
	v_fma_f64 v[181:182], v[8:9], v[30:31], v[181:182]
	v_fma_f64 v[187:188], v[6:7], v[30:31], -v[32:33]
	ds_load_b128 v[6:9], v1 offset:1840
	s_wait_loadcnt_dscnt 0x801
	v_mul_f64_e32 v[183:184], v[2:3], v[40:41]
	v_mul_f64_e32 v[40:41], v[4:5], v[40:41]
	scratch_load_b128 v[30:33], off, off offset:976
	v_add_f64_e32 v[177:178], v[177:178], v[189:190]
	v_add_f64_e32 v[179:180], v[179:180], v[185:186]
	s_wait_loadcnt_dscnt 0x800
	v_mul_f64_e32 v[185:186], v[6:7], v[175:176]
	v_mul_f64_e32 v[175:176], v[8:9], v[175:176]
	v_fma_f64 v[183:184], v[4:5], v[38:39], v[183:184]
	v_fma_f64 v[189:190], v[2:3], v[38:39], -v[40:41]
	ds_load_b128 v[2:5], v1 offset:1856
	scratch_load_b128 v[38:41], off, off offset:992
	v_add_f64_e32 v[177:178], v[177:178], v[187:188]
	v_add_f64_e32 v[179:180], v[179:180], v[181:182]
	v_fma_f64 v[185:186], v[8:9], v[173:174], v[185:186]
	v_fma_f64 v[187:188], v[6:7], v[173:174], -v[175:176]
	ds_load_b128 v[6:9], v1 offset:1872
	scratch_load_b128 v[173:176], off, off offset:1008
	s_wait_loadcnt_dscnt 0x901
	v_mul_f64_e32 v[181:182], v[2:3], v[36:37]
	v_mul_f64_e32 v[36:37], v[4:5], v[36:37]
	v_add_f64_e32 v[177:178], v[177:178], v[189:190]
	v_add_f64_e32 v[179:180], v[179:180], v[183:184]
	s_delay_alu instid0(VALU_DEP_4) | instskip(NEXT) | instid1(VALU_DEP_4)
	v_fma_f64 v[181:182], v[4:5], v[34:35], v[181:182]
	v_fma_f64 v[34:35], v[2:3], v[34:35], -v[36:37]
	ds_load_b128 v[2:5], v1 offset:1888
	v_add_f64_e32 v[36:37], v[177:178], v[187:188]
	v_add_f64_e32 v[177:178], v[179:180], v[185:186]
	s_wait_loadcnt_dscnt 0x700
	v_mul_f64_e32 v[179:180], v[2:3], v[12:13]
	v_mul_f64_e32 v[12:13], v[4:5], v[12:13]
	s_delay_alu instid0(VALU_DEP_4) | instskip(NEXT) | instid1(VALU_DEP_4)
	v_add_f64_e32 v[34:35], v[36:37], v[34:35]
	v_add_f64_e32 v[36:37], v[177:178], v[181:182]
	s_delay_alu instid0(VALU_DEP_4) | instskip(NEXT) | instid1(VALU_DEP_4)
	v_fma_f64 v[177:178], v[4:5], v[10:11], v[179:180]
	v_fma_f64 v[179:180], v[2:3], v[10:11], -v[12:13]
	scratch_load_b128 v[10:13], off, off offset:688
	v_mul_f64_e32 v[183:184], v[6:7], v[171:172]
	v_mul_f64_e32 v[171:172], v[8:9], v[171:172]
	ds_load_b128 v[2:5], v1 offset:1920
	v_fma_f64 v[183:184], v[8:9], v[169:170], v[183:184]
	v_fma_f64 v[169:170], v[6:7], v[169:170], -v[171:172]
	ds_load_b128 v[6:9], v1 offset:1904
	s_wait_loadcnt_dscnt 0x700
	v_mul_f64_e32 v[171:172], v[6:7], v[16:17]
	v_mul_f64_e32 v[16:17], v[8:9], v[16:17]
	v_add_f64_e32 v[36:37], v[36:37], v[183:184]
	v_add_f64_e32 v[34:35], v[34:35], v[169:170]
	s_wait_loadcnt 0x6
	v_mul_f64_e32 v[169:170], v[2:3], v[20:21]
	v_mul_f64_e32 v[20:21], v[4:5], v[20:21]
	v_fma_f64 v[171:172], v[8:9], v[14:15], v[171:172]
	v_fma_f64 v[14:15], v[6:7], v[14:15], -v[16:17]
	ds_load_b128 v[6:9], v1 offset:1936
	v_add_f64_e32 v[16:17], v[34:35], v[179:180]
	v_add_f64_e32 v[34:35], v[36:37], v[177:178]
	v_fma_f64 v[169:170], v[4:5], v[18:19], v[169:170]
	v_fma_f64 v[18:19], v[2:3], v[18:19], -v[20:21]
	ds_load_b128 v[2:5], v1 offset:1952
	s_wait_loadcnt_dscnt 0x501
	v_mul_f64_e32 v[36:37], v[6:7], v[24:25]
	v_mul_f64_e32 v[24:25], v[8:9], v[24:25]
	s_wait_loadcnt_dscnt 0x400
	v_mul_f64_e32 v[20:21], v[2:3], v[28:29]
	v_mul_f64_e32 v[28:29], v[4:5], v[28:29]
	v_add_f64_e32 v[14:15], v[16:17], v[14:15]
	v_add_f64_e32 v[16:17], v[34:35], v[171:172]
	v_fma_f64 v[34:35], v[8:9], v[22:23], v[36:37]
	v_fma_f64 v[22:23], v[6:7], v[22:23], -v[24:25]
	ds_load_b128 v[6:9], v1 offset:1968
	v_fma_f64 v[20:21], v[4:5], v[26:27], v[20:21]
	v_fma_f64 v[26:27], v[2:3], v[26:27], -v[28:29]
	ds_load_b128 v[2:5], v1 offset:1984
	s_wait_loadcnt_dscnt 0x301
	v_mul_f64_e32 v[24:25], v[8:9], v[32:33]
	v_add_f64_e32 v[14:15], v[14:15], v[18:19]
	v_add_f64_e32 v[16:17], v[16:17], v[169:170]
	v_mul_f64_e32 v[18:19], v[6:7], v[32:33]
	s_wait_loadcnt_dscnt 0x200
	v_mul_f64_e32 v[28:29], v[4:5], v[40:41]
	v_fma_f64 v[24:25], v[6:7], v[30:31], -v[24:25]
	v_add_f64_e32 v[14:15], v[14:15], v[22:23]
	v_add_f64_e32 v[16:17], v[16:17], v[34:35]
	v_mul_f64_e32 v[22:23], v[2:3], v[40:41]
	v_fma_f64 v[18:19], v[8:9], v[30:31], v[18:19]
	ds_load_b128 v[6:9], v1 offset:2000
	v_fma_f64 v[1:2], v[2:3], v[38:39], -v[28:29]
	v_add_f64_e32 v[14:15], v[14:15], v[26:27]
	v_add_f64_e32 v[16:17], v[16:17], v[20:21]
	s_wait_loadcnt_dscnt 0x100
	v_mul_f64_e32 v[20:21], v[6:7], v[175:176]
	v_mul_f64_e32 v[26:27], v[8:9], v[175:176]
	v_fma_f64 v[4:5], v[4:5], v[38:39], v[22:23]
	v_add_f64_e32 v[14:15], v[14:15], v[24:25]
	v_add_f64_e32 v[16:17], v[16:17], v[18:19]
	v_fma_f64 v[8:9], v[8:9], v[173:174], v[20:21]
	v_fma_f64 v[6:7], v[6:7], v[173:174], -v[26:27]
	s_delay_alu instid0(VALU_DEP_4) | instskip(NEXT) | instid1(VALU_DEP_4)
	v_add_f64_e32 v[1:2], v[14:15], v[1:2]
	v_add_f64_e32 v[3:4], v[16:17], v[4:5]
	s_delay_alu instid0(VALU_DEP_2) | instskip(NEXT) | instid1(VALU_DEP_2)
	v_add_f64_e32 v[1:2], v[1:2], v[6:7]
	v_add_f64_e32 v[3:4], v[3:4], v[8:9]
	s_wait_loadcnt 0x0
	s_delay_alu instid0(VALU_DEP_2) | instskip(NEXT) | instid1(VALU_DEP_2)
	v_add_f64_e64 v[1:2], v[10:11], -v[1:2]
	v_add_f64_e64 v[3:4], v[12:13], -v[3:4]
	scratch_store_b128 off, v[1:4], off offset:688
	v_cmpx_lt_u32_e32 41, v0
	s_cbranch_execz .LBB126_321
; %bb.320:
	scratch_load_b128 v[1:4], off, s37
	v_mov_b32_e32 v5, 0
	s_delay_alu instid0(VALU_DEP_1)
	v_dual_mov_b32 v6, v5 :: v_dual_mov_b32 v7, v5
	v_mov_b32_e32 v8, v5
	scratch_store_b128 off, v[5:8], off offset:672
	s_wait_loadcnt 0x0
	ds_store_b128 v168, v[1:4]
.LBB126_321:
	s_wait_alu 0xfffe
	s_or_b32 exec_lo, exec_lo, s0
	s_wait_storecnt_dscnt 0x0
	s_barrier_signal -1
	s_barrier_wait -1
	global_inv scope:SCOPE_SE
	s_clause 0x7
	scratch_load_b128 v[2:5], off, off offset:688
	scratch_load_b128 v[6:9], off, off offset:704
	scratch_load_b128 v[10:13], off, off offset:720
	scratch_load_b128 v[14:17], off, off offset:736
	scratch_load_b128 v[18:21], off, off offset:752
	scratch_load_b128 v[22:25], off, off offset:768
	scratch_load_b128 v[26:29], off, off offset:784
	scratch_load_b128 v[30:33], off, off offset:800
	v_mov_b32_e32 v1, 0
	s_clause 0x1
	scratch_load_b128 v[38:41], off, off offset:816
	scratch_load_b128 v[173:176], off, off offset:832
	s_mov_b32 s0, exec_lo
	ds_load_b128 v[34:37], v1 offset:1680
	ds_load_b128 v[169:172], v1 offset:1696
	s_wait_loadcnt_dscnt 0x901
	v_mul_f64_e32 v[177:178], v[36:37], v[4:5]
	v_mul_f64_e32 v[4:5], v[34:35], v[4:5]
	s_wait_loadcnt_dscnt 0x800
	v_mul_f64_e32 v[179:180], v[169:170], v[8:9]
	v_mul_f64_e32 v[8:9], v[171:172], v[8:9]
	s_delay_alu instid0(VALU_DEP_4) | instskip(NEXT) | instid1(VALU_DEP_4)
	v_fma_f64 v[177:178], v[34:35], v[2:3], -v[177:178]
	v_fma_f64 v[181:182], v[36:37], v[2:3], v[4:5]
	ds_load_b128 v[2:5], v1 offset:1712
	scratch_load_b128 v[34:37], off, off offset:848
	v_fma_f64 v[179:180], v[171:172], v[6:7], v[179:180]
	v_fma_f64 v[185:186], v[169:170], v[6:7], -v[8:9]
	ds_load_b128 v[6:9], v1 offset:1728
	scratch_load_b128 v[169:172], off, off offset:864
	s_wait_loadcnt_dscnt 0x901
	v_mul_f64_e32 v[183:184], v[2:3], v[12:13]
	v_mul_f64_e32 v[12:13], v[4:5], v[12:13]
	s_wait_loadcnt_dscnt 0x800
	v_mul_f64_e32 v[187:188], v[6:7], v[16:17]
	v_mul_f64_e32 v[16:17], v[8:9], v[16:17]
	v_add_f64_e32 v[177:178], 0, v[177:178]
	v_add_f64_e32 v[181:182], 0, v[181:182]
	v_fma_f64 v[183:184], v[4:5], v[10:11], v[183:184]
	v_fma_f64 v[189:190], v[2:3], v[10:11], -v[12:13]
	ds_load_b128 v[2:5], v1 offset:1744
	scratch_load_b128 v[10:13], off, off offset:880
	v_add_f64_e32 v[177:178], v[177:178], v[185:186]
	v_add_f64_e32 v[179:180], v[181:182], v[179:180]
	v_fma_f64 v[185:186], v[8:9], v[14:15], v[187:188]
	v_fma_f64 v[187:188], v[6:7], v[14:15], -v[16:17]
	ds_load_b128 v[6:9], v1 offset:1760
	scratch_load_b128 v[14:17], off, off offset:896
	s_wait_loadcnt_dscnt 0x901
	v_mul_f64_e32 v[181:182], v[2:3], v[20:21]
	v_mul_f64_e32 v[20:21], v[4:5], v[20:21]
	v_add_f64_e32 v[177:178], v[177:178], v[189:190]
	v_add_f64_e32 v[179:180], v[179:180], v[183:184]
	s_wait_loadcnt_dscnt 0x800
	v_mul_f64_e32 v[183:184], v[6:7], v[24:25]
	v_mul_f64_e32 v[24:25], v[8:9], v[24:25]
	v_fma_f64 v[181:182], v[4:5], v[18:19], v[181:182]
	v_fma_f64 v[189:190], v[2:3], v[18:19], -v[20:21]
	ds_load_b128 v[2:5], v1 offset:1776
	scratch_load_b128 v[18:21], off, off offset:912
	v_add_f64_e32 v[177:178], v[177:178], v[187:188]
	v_add_f64_e32 v[179:180], v[179:180], v[185:186]
	v_fma_f64 v[183:184], v[8:9], v[22:23], v[183:184]
	v_fma_f64 v[187:188], v[6:7], v[22:23], -v[24:25]
	ds_load_b128 v[6:9], v1 offset:1792
	s_wait_loadcnt_dscnt 0x801
	v_mul_f64_e32 v[185:186], v[2:3], v[28:29]
	v_mul_f64_e32 v[28:29], v[4:5], v[28:29]
	scratch_load_b128 v[22:25], off, off offset:928
	v_add_f64_e32 v[177:178], v[177:178], v[189:190]
	v_add_f64_e32 v[179:180], v[179:180], v[181:182]
	s_wait_loadcnt_dscnt 0x800
	v_mul_f64_e32 v[181:182], v[6:7], v[32:33]
	v_mul_f64_e32 v[32:33], v[8:9], v[32:33]
	v_fma_f64 v[185:186], v[4:5], v[26:27], v[185:186]
	v_fma_f64 v[189:190], v[2:3], v[26:27], -v[28:29]
	ds_load_b128 v[2:5], v1 offset:1808
	scratch_load_b128 v[26:29], off, off offset:944
	v_add_f64_e32 v[177:178], v[177:178], v[187:188]
	v_add_f64_e32 v[179:180], v[179:180], v[183:184]
	v_fma_f64 v[181:182], v[8:9], v[30:31], v[181:182]
	v_fma_f64 v[187:188], v[6:7], v[30:31], -v[32:33]
	ds_load_b128 v[6:9], v1 offset:1824
	s_wait_loadcnt_dscnt 0x801
	v_mul_f64_e32 v[183:184], v[2:3], v[40:41]
	v_mul_f64_e32 v[40:41], v[4:5], v[40:41]
	scratch_load_b128 v[30:33], off, off offset:960
	v_add_f64_e32 v[177:178], v[177:178], v[189:190]
	v_add_f64_e32 v[179:180], v[179:180], v[185:186]
	s_wait_loadcnt_dscnt 0x800
	v_mul_f64_e32 v[185:186], v[6:7], v[175:176]
	v_mul_f64_e32 v[175:176], v[8:9], v[175:176]
	v_fma_f64 v[183:184], v[4:5], v[38:39], v[183:184]
	v_fma_f64 v[189:190], v[2:3], v[38:39], -v[40:41]
	ds_load_b128 v[2:5], v1 offset:1840
	scratch_load_b128 v[38:41], off, off offset:976
	v_add_f64_e32 v[177:178], v[177:178], v[187:188]
	v_add_f64_e32 v[179:180], v[179:180], v[181:182]
	v_fma_f64 v[185:186], v[8:9], v[173:174], v[185:186]
	v_fma_f64 v[187:188], v[6:7], v[173:174], -v[175:176]
	ds_load_b128 v[6:9], v1 offset:1856
	scratch_load_b128 v[173:176], off, off offset:992
	s_wait_loadcnt_dscnt 0x901
	v_mul_f64_e32 v[181:182], v[2:3], v[36:37]
	v_mul_f64_e32 v[36:37], v[4:5], v[36:37]
	v_add_f64_e32 v[177:178], v[177:178], v[189:190]
	v_add_f64_e32 v[179:180], v[179:180], v[183:184]
	s_wait_loadcnt_dscnt 0x800
	v_mul_f64_e32 v[183:184], v[6:7], v[171:172]
	v_mul_f64_e32 v[171:172], v[8:9], v[171:172]
	v_fma_f64 v[181:182], v[4:5], v[34:35], v[181:182]
	v_fma_f64 v[189:190], v[2:3], v[34:35], -v[36:37]
	ds_load_b128 v[2:5], v1 offset:1872
	scratch_load_b128 v[34:37], off, off offset:1008
	v_add_f64_e32 v[177:178], v[177:178], v[187:188]
	v_add_f64_e32 v[179:180], v[179:180], v[185:186]
	v_fma_f64 v[183:184], v[8:9], v[169:170], v[183:184]
	v_fma_f64 v[169:170], v[6:7], v[169:170], -v[171:172]
	ds_load_b128 v[6:9], v1 offset:1888
	s_wait_loadcnt_dscnt 0x801
	v_mul_f64_e32 v[185:186], v[2:3], v[12:13]
	v_mul_f64_e32 v[12:13], v[4:5], v[12:13]
	v_add_f64_e32 v[171:172], v[177:178], v[189:190]
	v_add_f64_e32 v[177:178], v[179:180], v[181:182]
	s_wait_loadcnt_dscnt 0x700
	v_mul_f64_e32 v[179:180], v[6:7], v[16:17]
	v_mul_f64_e32 v[16:17], v[8:9], v[16:17]
	v_fma_f64 v[181:182], v[4:5], v[10:11], v[185:186]
	v_fma_f64 v[10:11], v[2:3], v[10:11], -v[12:13]
	ds_load_b128 v[2:5], v1 offset:1904
	v_add_f64_e32 v[12:13], v[171:172], v[169:170]
	v_add_f64_e32 v[169:170], v[177:178], v[183:184]
	v_fma_f64 v[177:178], v[8:9], v[14:15], v[179:180]
	v_fma_f64 v[14:15], v[6:7], v[14:15], -v[16:17]
	ds_load_b128 v[6:9], v1 offset:1920
	s_wait_loadcnt_dscnt 0x500
	v_mul_f64_e32 v[179:180], v[6:7], v[24:25]
	v_mul_f64_e32 v[24:25], v[8:9], v[24:25]
	v_add_f64_e32 v[16:17], v[12:13], v[10:11]
	v_add_f64_e32 v[169:170], v[169:170], v[181:182]
	scratch_load_b128 v[10:13], off, off offset:672
	v_mul_f64_e32 v[171:172], v[2:3], v[20:21]
	v_mul_f64_e32 v[20:21], v[4:5], v[20:21]
	v_add_f64_e32 v[14:15], v[16:17], v[14:15]
	v_add_f64_e32 v[16:17], v[169:170], v[177:178]
	v_fma_f64 v[169:170], v[8:9], v[22:23], v[179:180]
	v_fma_f64 v[171:172], v[4:5], v[18:19], v[171:172]
	v_fma_f64 v[18:19], v[2:3], v[18:19], -v[20:21]
	ds_load_b128 v[2:5], v1 offset:1936
	v_fma_f64 v[22:23], v[6:7], v[22:23], -v[24:25]
	ds_load_b128 v[6:9], v1 offset:1952
	s_wait_loadcnt_dscnt 0x501
	v_mul_f64_e32 v[20:21], v[2:3], v[28:29]
	v_mul_f64_e32 v[28:29], v[4:5], v[28:29]
	s_wait_loadcnt_dscnt 0x400
	v_mul_f64_e32 v[24:25], v[8:9], v[32:33]
	v_add_f64_e32 v[16:17], v[16:17], v[171:172]
	v_add_f64_e32 v[14:15], v[14:15], v[18:19]
	v_mul_f64_e32 v[18:19], v[6:7], v[32:33]
	v_fma_f64 v[20:21], v[4:5], v[26:27], v[20:21]
	v_fma_f64 v[26:27], v[2:3], v[26:27], -v[28:29]
	ds_load_b128 v[2:5], v1 offset:1968
	v_fma_f64 v[24:25], v[6:7], v[30:31], -v[24:25]
	v_add_f64_e32 v[16:17], v[16:17], v[169:170]
	v_add_f64_e32 v[14:15], v[14:15], v[22:23]
	v_fma_f64 v[18:19], v[8:9], v[30:31], v[18:19]
	ds_load_b128 v[6:9], v1 offset:1984
	s_wait_loadcnt_dscnt 0x301
	v_mul_f64_e32 v[22:23], v[2:3], v[40:41]
	v_mul_f64_e32 v[28:29], v[4:5], v[40:41]
	v_add_f64_e32 v[16:17], v[16:17], v[20:21]
	v_add_f64_e32 v[14:15], v[14:15], v[26:27]
	s_wait_loadcnt_dscnt 0x200
	v_mul_f64_e32 v[20:21], v[6:7], v[175:176]
	v_mul_f64_e32 v[26:27], v[8:9], v[175:176]
	v_fma_f64 v[22:23], v[4:5], v[38:39], v[22:23]
	v_fma_f64 v[28:29], v[2:3], v[38:39], -v[28:29]
	ds_load_b128 v[2:5], v1 offset:2000
	v_add_f64_e32 v[16:17], v[16:17], v[18:19]
	v_add_f64_e32 v[14:15], v[14:15], v[24:25]
	s_wait_loadcnt_dscnt 0x100
	v_mul_f64_e32 v[18:19], v[2:3], v[36:37]
	v_mul_f64_e32 v[24:25], v[4:5], v[36:37]
	v_fma_f64 v[8:9], v[8:9], v[173:174], v[20:21]
	v_fma_f64 v[6:7], v[6:7], v[173:174], -v[26:27]
	v_add_f64_e32 v[16:17], v[16:17], v[22:23]
	v_add_f64_e32 v[14:15], v[14:15], v[28:29]
	v_fma_f64 v[4:5], v[4:5], v[34:35], v[18:19]
	v_fma_f64 v[2:3], v[2:3], v[34:35], -v[24:25]
	s_delay_alu instid0(VALU_DEP_4) | instskip(NEXT) | instid1(VALU_DEP_4)
	v_add_f64_e32 v[8:9], v[16:17], v[8:9]
	v_add_f64_e32 v[6:7], v[14:15], v[6:7]
	s_delay_alu instid0(VALU_DEP_2) | instskip(NEXT) | instid1(VALU_DEP_2)
	v_add_f64_e32 v[4:5], v[8:9], v[4:5]
	v_add_f64_e32 v[2:3], v[6:7], v[2:3]
	s_wait_loadcnt 0x0
	s_delay_alu instid0(VALU_DEP_2) | instskip(NEXT) | instid1(VALU_DEP_2)
	v_add_f64_e64 v[4:5], v[12:13], -v[4:5]
	v_add_f64_e64 v[2:3], v[10:11], -v[2:3]
	scratch_store_b128 off, v[2:5], off offset:672
	v_cmpx_lt_u32_e32 40, v0
	s_cbranch_execz .LBB126_323
; %bb.322:
	scratch_load_b128 v[5:8], off, s38
	v_dual_mov_b32 v2, v1 :: v_dual_mov_b32 v3, v1
	v_mov_b32_e32 v4, v1
	scratch_store_b128 off, v[1:4], off offset:656
	s_wait_loadcnt 0x0
	ds_store_b128 v168, v[5:8]
.LBB126_323:
	s_wait_alu 0xfffe
	s_or_b32 exec_lo, exec_lo, s0
	s_wait_storecnt_dscnt 0x0
	s_barrier_signal -1
	s_barrier_wait -1
	global_inv scope:SCOPE_SE
	s_clause 0x7
	scratch_load_b128 v[2:5], off, off offset:672
	scratch_load_b128 v[6:9], off, off offset:688
	scratch_load_b128 v[10:13], off, off offset:704
	scratch_load_b128 v[14:17], off, off offset:720
	scratch_load_b128 v[18:21], off, off offset:736
	scratch_load_b128 v[22:25], off, off offset:752
	scratch_load_b128 v[26:29], off, off offset:768
	scratch_load_b128 v[30:33], off, off offset:784
	ds_load_b128 v[34:37], v1 offset:1664
	ds_load_b128 v[169:172], v1 offset:1680
	s_clause 0x1
	scratch_load_b128 v[38:41], off, off offset:800
	scratch_load_b128 v[173:176], off, off offset:816
	s_mov_b32 s0, exec_lo
	s_wait_loadcnt_dscnt 0x901
	v_mul_f64_e32 v[177:178], v[36:37], v[4:5]
	v_mul_f64_e32 v[4:5], v[34:35], v[4:5]
	s_wait_loadcnt_dscnt 0x800
	v_mul_f64_e32 v[179:180], v[169:170], v[8:9]
	v_mul_f64_e32 v[8:9], v[171:172], v[8:9]
	s_delay_alu instid0(VALU_DEP_4) | instskip(NEXT) | instid1(VALU_DEP_4)
	v_fma_f64 v[177:178], v[34:35], v[2:3], -v[177:178]
	v_fma_f64 v[181:182], v[36:37], v[2:3], v[4:5]
	ds_load_b128 v[2:5], v1 offset:1696
	scratch_load_b128 v[34:37], off, off offset:832
	v_fma_f64 v[179:180], v[171:172], v[6:7], v[179:180]
	v_fma_f64 v[185:186], v[169:170], v[6:7], -v[8:9]
	ds_load_b128 v[6:9], v1 offset:1712
	scratch_load_b128 v[169:172], off, off offset:848
	s_wait_loadcnt_dscnt 0x901
	v_mul_f64_e32 v[183:184], v[2:3], v[12:13]
	v_mul_f64_e32 v[12:13], v[4:5], v[12:13]
	s_wait_loadcnt_dscnt 0x800
	v_mul_f64_e32 v[187:188], v[6:7], v[16:17]
	v_mul_f64_e32 v[16:17], v[8:9], v[16:17]
	v_add_f64_e32 v[177:178], 0, v[177:178]
	v_add_f64_e32 v[181:182], 0, v[181:182]
	v_fma_f64 v[183:184], v[4:5], v[10:11], v[183:184]
	v_fma_f64 v[189:190], v[2:3], v[10:11], -v[12:13]
	ds_load_b128 v[2:5], v1 offset:1728
	scratch_load_b128 v[10:13], off, off offset:864
	v_add_f64_e32 v[177:178], v[177:178], v[185:186]
	v_add_f64_e32 v[179:180], v[181:182], v[179:180]
	v_fma_f64 v[185:186], v[8:9], v[14:15], v[187:188]
	v_fma_f64 v[187:188], v[6:7], v[14:15], -v[16:17]
	ds_load_b128 v[6:9], v1 offset:1744
	scratch_load_b128 v[14:17], off, off offset:880
	s_wait_loadcnt_dscnt 0x901
	v_mul_f64_e32 v[181:182], v[2:3], v[20:21]
	v_mul_f64_e32 v[20:21], v[4:5], v[20:21]
	v_add_f64_e32 v[177:178], v[177:178], v[189:190]
	v_add_f64_e32 v[179:180], v[179:180], v[183:184]
	s_wait_loadcnt_dscnt 0x800
	v_mul_f64_e32 v[183:184], v[6:7], v[24:25]
	v_mul_f64_e32 v[24:25], v[8:9], v[24:25]
	v_fma_f64 v[181:182], v[4:5], v[18:19], v[181:182]
	v_fma_f64 v[189:190], v[2:3], v[18:19], -v[20:21]
	ds_load_b128 v[2:5], v1 offset:1760
	scratch_load_b128 v[18:21], off, off offset:896
	v_add_f64_e32 v[177:178], v[177:178], v[187:188]
	v_add_f64_e32 v[179:180], v[179:180], v[185:186]
	v_fma_f64 v[183:184], v[8:9], v[22:23], v[183:184]
	v_fma_f64 v[187:188], v[6:7], v[22:23], -v[24:25]
	ds_load_b128 v[6:9], v1 offset:1776
	s_wait_loadcnt_dscnt 0x801
	v_mul_f64_e32 v[185:186], v[2:3], v[28:29]
	v_mul_f64_e32 v[28:29], v[4:5], v[28:29]
	scratch_load_b128 v[22:25], off, off offset:912
	v_add_f64_e32 v[177:178], v[177:178], v[189:190]
	v_add_f64_e32 v[179:180], v[179:180], v[181:182]
	s_wait_loadcnt_dscnt 0x800
	v_mul_f64_e32 v[181:182], v[6:7], v[32:33]
	v_mul_f64_e32 v[32:33], v[8:9], v[32:33]
	v_fma_f64 v[185:186], v[4:5], v[26:27], v[185:186]
	v_fma_f64 v[189:190], v[2:3], v[26:27], -v[28:29]
	ds_load_b128 v[2:5], v1 offset:1792
	scratch_load_b128 v[26:29], off, off offset:928
	v_add_f64_e32 v[177:178], v[177:178], v[187:188]
	v_add_f64_e32 v[179:180], v[179:180], v[183:184]
	v_fma_f64 v[181:182], v[8:9], v[30:31], v[181:182]
	v_fma_f64 v[187:188], v[6:7], v[30:31], -v[32:33]
	ds_load_b128 v[6:9], v1 offset:1808
	s_wait_loadcnt_dscnt 0x801
	v_mul_f64_e32 v[183:184], v[2:3], v[40:41]
	v_mul_f64_e32 v[40:41], v[4:5], v[40:41]
	scratch_load_b128 v[30:33], off, off offset:944
	v_add_f64_e32 v[177:178], v[177:178], v[189:190]
	v_add_f64_e32 v[179:180], v[179:180], v[185:186]
	s_wait_loadcnt_dscnt 0x800
	v_mul_f64_e32 v[185:186], v[6:7], v[175:176]
	v_mul_f64_e32 v[175:176], v[8:9], v[175:176]
	v_fma_f64 v[183:184], v[4:5], v[38:39], v[183:184]
	v_fma_f64 v[189:190], v[2:3], v[38:39], -v[40:41]
	ds_load_b128 v[2:5], v1 offset:1824
	scratch_load_b128 v[38:41], off, off offset:960
	v_add_f64_e32 v[177:178], v[177:178], v[187:188]
	v_add_f64_e32 v[179:180], v[179:180], v[181:182]
	v_fma_f64 v[185:186], v[8:9], v[173:174], v[185:186]
	v_fma_f64 v[187:188], v[6:7], v[173:174], -v[175:176]
	ds_load_b128 v[6:9], v1 offset:1840
	scratch_load_b128 v[173:176], off, off offset:976
	s_wait_loadcnt_dscnt 0x901
	v_mul_f64_e32 v[181:182], v[2:3], v[36:37]
	v_mul_f64_e32 v[36:37], v[4:5], v[36:37]
	v_add_f64_e32 v[177:178], v[177:178], v[189:190]
	v_add_f64_e32 v[179:180], v[179:180], v[183:184]
	s_wait_loadcnt_dscnt 0x800
	v_mul_f64_e32 v[183:184], v[6:7], v[171:172]
	v_mul_f64_e32 v[171:172], v[8:9], v[171:172]
	v_fma_f64 v[181:182], v[4:5], v[34:35], v[181:182]
	v_fma_f64 v[189:190], v[2:3], v[34:35], -v[36:37]
	ds_load_b128 v[2:5], v1 offset:1856
	scratch_load_b128 v[34:37], off, off offset:992
	v_add_f64_e32 v[177:178], v[177:178], v[187:188]
	v_add_f64_e32 v[179:180], v[179:180], v[185:186]
	v_fma_f64 v[183:184], v[8:9], v[169:170], v[183:184]
	v_fma_f64 v[187:188], v[6:7], v[169:170], -v[171:172]
	ds_load_b128 v[6:9], v1 offset:1872
	s_wait_loadcnt_dscnt 0x801
	v_mul_f64_e32 v[185:186], v[2:3], v[12:13]
	v_mul_f64_e32 v[12:13], v[4:5], v[12:13]
	scratch_load_b128 v[169:172], off, off offset:1008
	v_add_f64_e32 v[177:178], v[177:178], v[189:190]
	v_add_f64_e32 v[179:180], v[179:180], v[181:182]
	s_wait_loadcnt_dscnt 0x800
	v_mul_f64_e32 v[181:182], v[6:7], v[16:17]
	v_mul_f64_e32 v[16:17], v[8:9], v[16:17]
	v_fma_f64 v[185:186], v[4:5], v[10:11], v[185:186]
	v_fma_f64 v[10:11], v[2:3], v[10:11], -v[12:13]
	ds_load_b128 v[2:5], v1 offset:1888
	v_add_f64_e32 v[12:13], v[177:178], v[187:188]
	v_add_f64_e32 v[177:178], v[179:180], v[183:184]
	v_fma_f64 v[181:182], v[8:9], v[14:15], v[181:182]
	v_fma_f64 v[14:15], v[6:7], v[14:15], -v[16:17]
	ds_load_b128 v[6:9], v1 offset:1904
	s_wait_loadcnt_dscnt 0x701
	v_mul_f64_e32 v[179:180], v[2:3], v[20:21]
	v_mul_f64_e32 v[20:21], v[4:5], v[20:21]
	v_add_f64_e32 v[10:11], v[12:13], v[10:11]
	v_add_f64_e32 v[12:13], v[177:178], v[185:186]
	s_delay_alu instid0(VALU_DEP_4) | instskip(NEXT) | instid1(VALU_DEP_4)
	v_fma_f64 v[177:178], v[4:5], v[18:19], v[179:180]
	v_fma_f64 v[18:19], v[2:3], v[18:19], -v[20:21]
	ds_load_b128 v[2:5], v1 offset:1920
	v_add_f64_e32 v[14:15], v[10:11], v[14:15]
	v_add_f64_e32 v[20:21], v[12:13], v[181:182]
	scratch_load_b128 v[10:13], off, off offset:656
	s_wait_loadcnt_dscnt 0x701
	v_mul_f64_e32 v[16:17], v[6:7], v[24:25]
	v_mul_f64_e32 v[24:25], v[8:9], v[24:25]
	v_add_f64_e32 v[14:15], v[14:15], v[18:19]
	v_add_f64_e32 v[18:19], v[20:21], v[177:178]
	s_delay_alu instid0(VALU_DEP_4) | instskip(NEXT) | instid1(VALU_DEP_4)
	v_fma_f64 v[16:17], v[8:9], v[22:23], v[16:17]
	v_fma_f64 v[22:23], v[6:7], v[22:23], -v[24:25]
	ds_load_b128 v[6:9], v1 offset:1936
	s_wait_loadcnt_dscnt 0x601
	v_mul_f64_e32 v[179:180], v[2:3], v[28:29]
	v_mul_f64_e32 v[28:29], v[4:5], v[28:29]
	s_wait_loadcnt_dscnt 0x500
	v_mul_f64_e32 v[20:21], v[6:7], v[32:33]
	v_mul_f64_e32 v[24:25], v[8:9], v[32:33]
	v_add_f64_e32 v[16:17], v[18:19], v[16:17]
	v_add_f64_e32 v[14:15], v[14:15], v[22:23]
	v_fma_f64 v[32:33], v[4:5], v[26:27], v[179:180]
	v_fma_f64 v[26:27], v[2:3], v[26:27], -v[28:29]
	ds_load_b128 v[2:5], v1 offset:1952
	v_fma_f64 v[20:21], v[8:9], v[30:31], v[20:21]
	v_fma_f64 v[24:25], v[6:7], v[30:31], -v[24:25]
	ds_load_b128 v[6:9], v1 offset:1968
	s_wait_loadcnt_dscnt 0x401
	v_mul_f64_e32 v[18:19], v[2:3], v[40:41]
	v_mul_f64_e32 v[22:23], v[4:5], v[40:41]
	v_add_f64_e32 v[16:17], v[16:17], v[32:33]
	v_add_f64_e32 v[14:15], v[14:15], v[26:27]
	s_wait_loadcnt_dscnt 0x300
	v_mul_f64_e32 v[26:27], v[6:7], v[175:176]
	v_mul_f64_e32 v[28:29], v[8:9], v[175:176]
	v_fma_f64 v[18:19], v[4:5], v[38:39], v[18:19]
	v_fma_f64 v[22:23], v[2:3], v[38:39], -v[22:23]
	ds_load_b128 v[2:5], v1 offset:1984
	v_add_f64_e32 v[16:17], v[16:17], v[20:21]
	v_add_f64_e32 v[14:15], v[14:15], v[24:25]
	v_fma_f64 v[26:27], v[8:9], v[173:174], v[26:27]
	v_fma_f64 v[28:29], v[6:7], v[173:174], -v[28:29]
	ds_load_b128 v[6:9], v1 offset:2000
	s_wait_loadcnt_dscnt 0x201
	v_mul_f64_e32 v[20:21], v[2:3], v[36:37]
	v_mul_f64_e32 v[24:25], v[4:5], v[36:37]
	v_add_f64_e32 v[16:17], v[16:17], v[18:19]
	v_add_f64_e32 v[14:15], v[14:15], v[22:23]
	s_wait_loadcnt_dscnt 0x100
	v_mul_f64_e32 v[18:19], v[6:7], v[171:172]
	v_mul_f64_e32 v[22:23], v[8:9], v[171:172]
	v_fma_f64 v[4:5], v[4:5], v[34:35], v[20:21]
	v_fma_f64 v[1:2], v[2:3], v[34:35], -v[24:25]
	v_add_f64_e32 v[16:17], v[16:17], v[26:27]
	v_add_f64_e32 v[14:15], v[14:15], v[28:29]
	v_fma_f64 v[8:9], v[8:9], v[169:170], v[18:19]
	v_fma_f64 v[6:7], v[6:7], v[169:170], -v[22:23]
	s_delay_alu instid0(VALU_DEP_4) | instskip(NEXT) | instid1(VALU_DEP_4)
	v_add_f64_e32 v[3:4], v[16:17], v[4:5]
	v_add_f64_e32 v[1:2], v[14:15], v[1:2]
	s_delay_alu instid0(VALU_DEP_2) | instskip(NEXT) | instid1(VALU_DEP_2)
	v_add_f64_e32 v[3:4], v[3:4], v[8:9]
	v_add_f64_e32 v[1:2], v[1:2], v[6:7]
	s_wait_loadcnt 0x0
	s_delay_alu instid0(VALU_DEP_2) | instskip(NEXT) | instid1(VALU_DEP_2)
	v_add_f64_e64 v[3:4], v[12:13], -v[3:4]
	v_add_f64_e64 v[1:2], v[10:11], -v[1:2]
	scratch_store_b128 off, v[1:4], off offset:656
	v_cmpx_lt_u32_e32 39, v0
	s_cbranch_execz .LBB126_325
; %bb.324:
	scratch_load_b128 v[1:4], off, s39
	v_mov_b32_e32 v5, 0
	s_delay_alu instid0(VALU_DEP_1)
	v_dual_mov_b32 v6, v5 :: v_dual_mov_b32 v7, v5
	v_mov_b32_e32 v8, v5
	scratch_store_b128 off, v[5:8], off offset:640
	s_wait_loadcnt 0x0
	ds_store_b128 v168, v[1:4]
.LBB126_325:
	s_wait_alu 0xfffe
	s_or_b32 exec_lo, exec_lo, s0
	s_wait_storecnt_dscnt 0x0
	s_barrier_signal -1
	s_barrier_wait -1
	global_inv scope:SCOPE_SE
	s_clause 0x7
	scratch_load_b128 v[2:5], off, off offset:656
	scratch_load_b128 v[6:9], off, off offset:672
	;; [unrolled: 1-line block ×8, first 2 shown]
	v_mov_b32_e32 v1, 0
	s_clause 0x1
	scratch_load_b128 v[38:41], off, off offset:784
	scratch_load_b128 v[173:176], off, off offset:800
	s_mov_b32 s0, exec_lo
	ds_load_b128 v[34:37], v1 offset:1648
	ds_load_b128 v[169:172], v1 offset:1664
	s_wait_loadcnt_dscnt 0x901
	v_mul_f64_e32 v[177:178], v[36:37], v[4:5]
	v_mul_f64_e32 v[4:5], v[34:35], v[4:5]
	s_wait_loadcnt_dscnt 0x800
	v_mul_f64_e32 v[179:180], v[169:170], v[8:9]
	v_mul_f64_e32 v[8:9], v[171:172], v[8:9]
	s_delay_alu instid0(VALU_DEP_4) | instskip(NEXT) | instid1(VALU_DEP_4)
	v_fma_f64 v[177:178], v[34:35], v[2:3], -v[177:178]
	v_fma_f64 v[181:182], v[36:37], v[2:3], v[4:5]
	ds_load_b128 v[2:5], v1 offset:1680
	scratch_load_b128 v[34:37], off, off offset:816
	v_fma_f64 v[179:180], v[171:172], v[6:7], v[179:180]
	v_fma_f64 v[185:186], v[169:170], v[6:7], -v[8:9]
	ds_load_b128 v[6:9], v1 offset:1696
	scratch_load_b128 v[169:172], off, off offset:832
	s_wait_loadcnt_dscnt 0x901
	v_mul_f64_e32 v[183:184], v[2:3], v[12:13]
	v_mul_f64_e32 v[12:13], v[4:5], v[12:13]
	s_wait_loadcnt_dscnt 0x800
	v_mul_f64_e32 v[187:188], v[6:7], v[16:17]
	v_mul_f64_e32 v[16:17], v[8:9], v[16:17]
	v_add_f64_e32 v[177:178], 0, v[177:178]
	v_add_f64_e32 v[181:182], 0, v[181:182]
	v_fma_f64 v[183:184], v[4:5], v[10:11], v[183:184]
	v_fma_f64 v[189:190], v[2:3], v[10:11], -v[12:13]
	ds_load_b128 v[2:5], v1 offset:1712
	scratch_load_b128 v[10:13], off, off offset:848
	v_add_f64_e32 v[177:178], v[177:178], v[185:186]
	v_add_f64_e32 v[179:180], v[181:182], v[179:180]
	v_fma_f64 v[185:186], v[8:9], v[14:15], v[187:188]
	v_fma_f64 v[187:188], v[6:7], v[14:15], -v[16:17]
	ds_load_b128 v[6:9], v1 offset:1728
	scratch_load_b128 v[14:17], off, off offset:864
	s_wait_loadcnt_dscnt 0x901
	v_mul_f64_e32 v[181:182], v[2:3], v[20:21]
	v_mul_f64_e32 v[20:21], v[4:5], v[20:21]
	v_add_f64_e32 v[177:178], v[177:178], v[189:190]
	v_add_f64_e32 v[179:180], v[179:180], v[183:184]
	s_wait_loadcnt_dscnt 0x800
	v_mul_f64_e32 v[183:184], v[6:7], v[24:25]
	v_mul_f64_e32 v[24:25], v[8:9], v[24:25]
	v_fma_f64 v[181:182], v[4:5], v[18:19], v[181:182]
	v_fma_f64 v[189:190], v[2:3], v[18:19], -v[20:21]
	ds_load_b128 v[2:5], v1 offset:1744
	scratch_load_b128 v[18:21], off, off offset:880
	v_add_f64_e32 v[177:178], v[177:178], v[187:188]
	v_add_f64_e32 v[179:180], v[179:180], v[185:186]
	v_fma_f64 v[183:184], v[8:9], v[22:23], v[183:184]
	v_fma_f64 v[187:188], v[6:7], v[22:23], -v[24:25]
	ds_load_b128 v[6:9], v1 offset:1760
	s_wait_loadcnt_dscnt 0x801
	v_mul_f64_e32 v[185:186], v[2:3], v[28:29]
	v_mul_f64_e32 v[28:29], v[4:5], v[28:29]
	scratch_load_b128 v[22:25], off, off offset:896
	v_add_f64_e32 v[177:178], v[177:178], v[189:190]
	v_add_f64_e32 v[179:180], v[179:180], v[181:182]
	s_wait_loadcnt_dscnt 0x800
	v_mul_f64_e32 v[181:182], v[6:7], v[32:33]
	v_mul_f64_e32 v[32:33], v[8:9], v[32:33]
	v_fma_f64 v[185:186], v[4:5], v[26:27], v[185:186]
	v_fma_f64 v[189:190], v[2:3], v[26:27], -v[28:29]
	ds_load_b128 v[2:5], v1 offset:1776
	scratch_load_b128 v[26:29], off, off offset:912
	v_add_f64_e32 v[177:178], v[177:178], v[187:188]
	v_add_f64_e32 v[179:180], v[179:180], v[183:184]
	v_fma_f64 v[181:182], v[8:9], v[30:31], v[181:182]
	v_fma_f64 v[187:188], v[6:7], v[30:31], -v[32:33]
	ds_load_b128 v[6:9], v1 offset:1792
	s_wait_loadcnt_dscnt 0x801
	v_mul_f64_e32 v[183:184], v[2:3], v[40:41]
	v_mul_f64_e32 v[40:41], v[4:5], v[40:41]
	scratch_load_b128 v[30:33], off, off offset:928
	v_add_f64_e32 v[177:178], v[177:178], v[189:190]
	v_add_f64_e32 v[179:180], v[179:180], v[185:186]
	s_wait_loadcnt_dscnt 0x800
	v_mul_f64_e32 v[185:186], v[6:7], v[175:176]
	v_mul_f64_e32 v[175:176], v[8:9], v[175:176]
	v_fma_f64 v[183:184], v[4:5], v[38:39], v[183:184]
	v_fma_f64 v[189:190], v[2:3], v[38:39], -v[40:41]
	ds_load_b128 v[2:5], v1 offset:1808
	scratch_load_b128 v[38:41], off, off offset:944
	v_add_f64_e32 v[177:178], v[177:178], v[187:188]
	v_add_f64_e32 v[179:180], v[179:180], v[181:182]
	v_fma_f64 v[185:186], v[8:9], v[173:174], v[185:186]
	v_fma_f64 v[187:188], v[6:7], v[173:174], -v[175:176]
	ds_load_b128 v[6:9], v1 offset:1824
	scratch_load_b128 v[173:176], off, off offset:960
	s_wait_loadcnt_dscnt 0x901
	v_mul_f64_e32 v[181:182], v[2:3], v[36:37]
	v_mul_f64_e32 v[36:37], v[4:5], v[36:37]
	v_add_f64_e32 v[177:178], v[177:178], v[189:190]
	v_add_f64_e32 v[179:180], v[179:180], v[183:184]
	s_wait_loadcnt_dscnt 0x800
	v_mul_f64_e32 v[183:184], v[6:7], v[171:172]
	v_mul_f64_e32 v[171:172], v[8:9], v[171:172]
	v_fma_f64 v[181:182], v[4:5], v[34:35], v[181:182]
	v_fma_f64 v[189:190], v[2:3], v[34:35], -v[36:37]
	ds_load_b128 v[2:5], v1 offset:1840
	scratch_load_b128 v[34:37], off, off offset:976
	v_add_f64_e32 v[177:178], v[177:178], v[187:188]
	v_add_f64_e32 v[179:180], v[179:180], v[185:186]
	v_fma_f64 v[183:184], v[8:9], v[169:170], v[183:184]
	v_fma_f64 v[187:188], v[6:7], v[169:170], -v[171:172]
	ds_load_b128 v[6:9], v1 offset:1856
	s_wait_loadcnt_dscnt 0x801
	v_mul_f64_e32 v[185:186], v[2:3], v[12:13]
	v_mul_f64_e32 v[12:13], v[4:5], v[12:13]
	scratch_load_b128 v[169:172], off, off offset:992
	v_add_f64_e32 v[177:178], v[177:178], v[189:190]
	v_add_f64_e32 v[179:180], v[179:180], v[181:182]
	s_wait_loadcnt_dscnt 0x800
	v_mul_f64_e32 v[181:182], v[6:7], v[16:17]
	v_mul_f64_e32 v[16:17], v[8:9], v[16:17]
	v_fma_f64 v[185:186], v[4:5], v[10:11], v[185:186]
	v_fma_f64 v[189:190], v[2:3], v[10:11], -v[12:13]
	ds_load_b128 v[2:5], v1 offset:1872
	scratch_load_b128 v[10:13], off, off offset:1008
	v_add_f64_e32 v[177:178], v[177:178], v[187:188]
	v_add_f64_e32 v[179:180], v[179:180], v[183:184]
	v_fma_f64 v[181:182], v[8:9], v[14:15], v[181:182]
	v_fma_f64 v[14:15], v[6:7], v[14:15], -v[16:17]
	ds_load_b128 v[6:9], v1 offset:1888
	s_wait_loadcnt_dscnt 0x801
	v_mul_f64_e32 v[183:184], v[2:3], v[20:21]
	v_mul_f64_e32 v[20:21], v[4:5], v[20:21]
	v_add_f64_e32 v[16:17], v[177:178], v[189:190]
	v_add_f64_e32 v[177:178], v[179:180], v[185:186]
	s_wait_loadcnt_dscnt 0x700
	v_mul_f64_e32 v[179:180], v[6:7], v[24:25]
	v_mul_f64_e32 v[24:25], v[8:9], v[24:25]
	v_fma_f64 v[183:184], v[4:5], v[18:19], v[183:184]
	v_fma_f64 v[18:19], v[2:3], v[18:19], -v[20:21]
	ds_load_b128 v[2:5], v1 offset:1904
	v_add_f64_e32 v[14:15], v[16:17], v[14:15]
	v_add_f64_e32 v[16:17], v[177:178], v[181:182]
	v_fma_f64 v[177:178], v[8:9], v[22:23], v[179:180]
	v_fma_f64 v[22:23], v[6:7], v[22:23], -v[24:25]
	ds_load_b128 v[6:9], v1 offset:1920
	s_wait_loadcnt_dscnt 0x500
	v_mul_f64_e32 v[179:180], v[6:7], v[32:33]
	v_mul_f64_e32 v[32:33], v[8:9], v[32:33]
	v_add_f64_e32 v[18:19], v[14:15], v[18:19]
	v_add_f64_e32 v[24:25], v[16:17], v[183:184]
	scratch_load_b128 v[14:17], off, off offset:640
	v_mul_f64_e32 v[20:21], v[2:3], v[28:29]
	v_mul_f64_e32 v[28:29], v[4:5], v[28:29]
	v_add_f64_e32 v[18:19], v[18:19], v[22:23]
	v_add_f64_e32 v[22:23], v[24:25], v[177:178]
	s_delay_alu instid0(VALU_DEP_4) | instskip(NEXT) | instid1(VALU_DEP_4)
	v_fma_f64 v[20:21], v[4:5], v[26:27], v[20:21]
	v_fma_f64 v[26:27], v[2:3], v[26:27], -v[28:29]
	ds_load_b128 v[2:5], v1 offset:1936
	s_wait_loadcnt_dscnt 0x500
	v_mul_f64_e32 v[24:25], v[2:3], v[40:41]
	v_mul_f64_e32 v[28:29], v[4:5], v[40:41]
	v_fma_f64 v[40:41], v[8:9], v[30:31], v[179:180]
	v_fma_f64 v[30:31], v[6:7], v[30:31], -v[32:33]
	ds_load_b128 v[6:9], v1 offset:1952
	v_add_f64_e32 v[20:21], v[22:23], v[20:21]
	v_add_f64_e32 v[18:19], v[18:19], v[26:27]
	v_fma_f64 v[24:25], v[4:5], v[38:39], v[24:25]
	v_fma_f64 v[28:29], v[2:3], v[38:39], -v[28:29]
	ds_load_b128 v[2:5], v1 offset:1968
	s_wait_loadcnt_dscnt 0x401
	v_mul_f64_e32 v[22:23], v[6:7], v[175:176]
	v_mul_f64_e32 v[26:27], v[8:9], v[175:176]
	v_add_f64_e32 v[20:21], v[20:21], v[40:41]
	v_add_f64_e32 v[18:19], v[18:19], v[30:31]
	s_wait_loadcnt_dscnt 0x300
	v_mul_f64_e32 v[30:31], v[2:3], v[36:37]
	v_mul_f64_e32 v[32:33], v[4:5], v[36:37]
	v_fma_f64 v[22:23], v[8:9], v[173:174], v[22:23]
	v_fma_f64 v[26:27], v[6:7], v[173:174], -v[26:27]
	ds_load_b128 v[6:9], v1 offset:1984
	v_add_f64_e32 v[20:21], v[20:21], v[24:25]
	v_add_f64_e32 v[18:19], v[18:19], v[28:29]
	v_fma_f64 v[30:31], v[4:5], v[34:35], v[30:31]
	v_fma_f64 v[32:33], v[2:3], v[34:35], -v[32:33]
	ds_load_b128 v[2:5], v1 offset:2000
	s_wait_loadcnt_dscnt 0x201
	v_mul_f64_e32 v[24:25], v[6:7], v[171:172]
	v_mul_f64_e32 v[28:29], v[8:9], v[171:172]
	v_add_f64_e32 v[20:21], v[20:21], v[22:23]
	v_add_f64_e32 v[18:19], v[18:19], v[26:27]
	s_wait_loadcnt_dscnt 0x100
	v_mul_f64_e32 v[22:23], v[2:3], v[12:13]
	v_mul_f64_e32 v[12:13], v[4:5], v[12:13]
	v_fma_f64 v[8:9], v[8:9], v[169:170], v[24:25]
	v_fma_f64 v[6:7], v[6:7], v[169:170], -v[28:29]
	v_add_f64_e32 v[20:21], v[20:21], v[30:31]
	v_add_f64_e32 v[18:19], v[18:19], v[32:33]
	v_fma_f64 v[4:5], v[4:5], v[10:11], v[22:23]
	v_fma_f64 v[2:3], v[2:3], v[10:11], -v[12:13]
	s_delay_alu instid0(VALU_DEP_4) | instskip(NEXT) | instid1(VALU_DEP_4)
	v_add_f64_e32 v[8:9], v[20:21], v[8:9]
	v_add_f64_e32 v[6:7], v[18:19], v[6:7]
	s_delay_alu instid0(VALU_DEP_2) | instskip(NEXT) | instid1(VALU_DEP_2)
	v_add_f64_e32 v[4:5], v[8:9], v[4:5]
	v_add_f64_e32 v[2:3], v[6:7], v[2:3]
	s_wait_loadcnt 0x0
	s_delay_alu instid0(VALU_DEP_2) | instskip(NEXT) | instid1(VALU_DEP_2)
	v_add_f64_e64 v[4:5], v[16:17], -v[4:5]
	v_add_f64_e64 v[2:3], v[14:15], -v[2:3]
	scratch_store_b128 off, v[2:5], off offset:640
	v_cmpx_lt_u32_e32 38, v0
	s_cbranch_execz .LBB126_327
; %bb.326:
	scratch_load_b128 v[5:8], off, s40
	v_dual_mov_b32 v2, v1 :: v_dual_mov_b32 v3, v1
	v_mov_b32_e32 v4, v1
	scratch_store_b128 off, v[1:4], off offset:624
	s_wait_loadcnt 0x0
	ds_store_b128 v168, v[5:8]
.LBB126_327:
	s_wait_alu 0xfffe
	s_or_b32 exec_lo, exec_lo, s0
	s_wait_storecnt_dscnt 0x0
	s_barrier_signal -1
	s_barrier_wait -1
	global_inv scope:SCOPE_SE
	s_clause 0x7
	scratch_load_b128 v[2:5], off, off offset:640
	scratch_load_b128 v[6:9], off, off offset:656
	scratch_load_b128 v[10:13], off, off offset:672
	scratch_load_b128 v[14:17], off, off offset:688
	scratch_load_b128 v[18:21], off, off offset:704
	scratch_load_b128 v[22:25], off, off offset:720
	scratch_load_b128 v[26:29], off, off offset:736
	scratch_load_b128 v[30:33], off, off offset:752
	ds_load_b128 v[34:37], v1 offset:1632
	ds_load_b128 v[169:172], v1 offset:1648
	s_clause 0x1
	scratch_load_b128 v[38:41], off, off offset:768
	scratch_load_b128 v[173:176], off, off offset:784
	s_mov_b32 s0, exec_lo
	s_wait_loadcnt_dscnt 0x901
	v_mul_f64_e32 v[177:178], v[36:37], v[4:5]
	v_mul_f64_e32 v[4:5], v[34:35], v[4:5]
	s_wait_loadcnt_dscnt 0x800
	v_mul_f64_e32 v[179:180], v[169:170], v[8:9]
	v_mul_f64_e32 v[8:9], v[171:172], v[8:9]
	s_delay_alu instid0(VALU_DEP_4) | instskip(NEXT) | instid1(VALU_DEP_4)
	v_fma_f64 v[177:178], v[34:35], v[2:3], -v[177:178]
	v_fma_f64 v[181:182], v[36:37], v[2:3], v[4:5]
	ds_load_b128 v[2:5], v1 offset:1664
	scratch_load_b128 v[34:37], off, off offset:800
	v_fma_f64 v[179:180], v[171:172], v[6:7], v[179:180]
	v_fma_f64 v[185:186], v[169:170], v[6:7], -v[8:9]
	ds_load_b128 v[6:9], v1 offset:1680
	scratch_load_b128 v[169:172], off, off offset:816
	s_wait_loadcnt_dscnt 0x901
	v_mul_f64_e32 v[183:184], v[2:3], v[12:13]
	v_mul_f64_e32 v[12:13], v[4:5], v[12:13]
	s_wait_loadcnt_dscnt 0x800
	v_mul_f64_e32 v[187:188], v[6:7], v[16:17]
	v_mul_f64_e32 v[16:17], v[8:9], v[16:17]
	v_add_f64_e32 v[177:178], 0, v[177:178]
	v_add_f64_e32 v[181:182], 0, v[181:182]
	v_fma_f64 v[183:184], v[4:5], v[10:11], v[183:184]
	v_fma_f64 v[189:190], v[2:3], v[10:11], -v[12:13]
	ds_load_b128 v[2:5], v1 offset:1696
	scratch_load_b128 v[10:13], off, off offset:832
	v_add_f64_e32 v[177:178], v[177:178], v[185:186]
	v_add_f64_e32 v[179:180], v[181:182], v[179:180]
	v_fma_f64 v[185:186], v[8:9], v[14:15], v[187:188]
	v_fma_f64 v[187:188], v[6:7], v[14:15], -v[16:17]
	ds_load_b128 v[6:9], v1 offset:1712
	scratch_load_b128 v[14:17], off, off offset:848
	s_wait_loadcnt_dscnt 0x901
	v_mul_f64_e32 v[181:182], v[2:3], v[20:21]
	v_mul_f64_e32 v[20:21], v[4:5], v[20:21]
	v_add_f64_e32 v[177:178], v[177:178], v[189:190]
	v_add_f64_e32 v[179:180], v[179:180], v[183:184]
	s_wait_loadcnt_dscnt 0x800
	v_mul_f64_e32 v[183:184], v[6:7], v[24:25]
	v_mul_f64_e32 v[24:25], v[8:9], v[24:25]
	v_fma_f64 v[181:182], v[4:5], v[18:19], v[181:182]
	v_fma_f64 v[189:190], v[2:3], v[18:19], -v[20:21]
	ds_load_b128 v[2:5], v1 offset:1728
	scratch_load_b128 v[18:21], off, off offset:864
	v_add_f64_e32 v[177:178], v[177:178], v[187:188]
	v_add_f64_e32 v[179:180], v[179:180], v[185:186]
	v_fma_f64 v[183:184], v[8:9], v[22:23], v[183:184]
	v_fma_f64 v[187:188], v[6:7], v[22:23], -v[24:25]
	ds_load_b128 v[6:9], v1 offset:1744
	s_wait_loadcnt_dscnt 0x801
	v_mul_f64_e32 v[185:186], v[2:3], v[28:29]
	v_mul_f64_e32 v[28:29], v[4:5], v[28:29]
	scratch_load_b128 v[22:25], off, off offset:880
	v_add_f64_e32 v[177:178], v[177:178], v[189:190]
	v_add_f64_e32 v[179:180], v[179:180], v[181:182]
	s_wait_loadcnt_dscnt 0x800
	v_mul_f64_e32 v[181:182], v[6:7], v[32:33]
	v_mul_f64_e32 v[32:33], v[8:9], v[32:33]
	v_fma_f64 v[185:186], v[4:5], v[26:27], v[185:186]
	v_fma_f64 v[189:190], v[2:3], v[26:27], -v[28:29]
	ds_load_b128 v[2:5], v1 offset:1760
	scratch_load_b128 v[26:29], off, off offset:896
	v_add_f64_e32 v[177:178], v[177:178], v[187:188]
	v_add_f64_e32 v[179:180], v[179:180], v[183:184]
	v_fma_f64 v[181:182], v[8:9], v[30:31], v[181:182]
	v_fma_f64 v[187:188], v[6:7], v[30:31], -v[32:33]
	ds_load_b128 v[6:9], v1 offset:1776
	s_wait_loadcnt_dscnt 0x801
	v_mul_f64_e32 v[183:184], v[2:3], v[40:41]
	v_mul_f64_e32 v[40:41], v[4:5], v[40:41]
	scratch_load_b128 v[30:33], off, off offset:912
	v_add_f64_e32 v[177:178], v[177:178], v[189:190]
	v_add_f64_e32 v[179:180], v[179:180], v[185:186]
	s_wait_loadcnt_dscnt 0x800
	v_mul_f64_e32 v[185:186], v[6:7], v[175:176]
	v_mul_f64_e32 v[175:176], v[8:9], v[175:176]
	v_fma_f64 v[183:184], v[4:5], v[38:39], v[183:184]
	v_fma_f64 v[189:190], v[2:3], v[38:39], -v[40:41]
	ds_load_b128 v[2:5], v1 offset:1792
	scratch_load_b128 v[38:41], off, off offset:928
	v_add_f64_e32 v[177:178], v[177:178], v[187:188]
	v_add_f64_e32 v[179:180], v[179:180], v[181:182]
	v_fma_f64 v[185:186], v[8:9], v[173:174], v[185:186]
	v_fma_f64 v[187:188], v[6:7], v[173:174], -v[175:176]
	ds_load_b128 v[6:9], v1 offset:1808
	scratch_load_b128 v[173:176], off, off offset:944
	s_wait_loadcnt_dscnt 0x901
	v_mul_f64_e32 v[181:182], v[2:3], v[36:37]
	v_mul_f64_e32 v[36:37], v[4:5], v[36:37]
	v_add_f64_e32 v[177:178], v[177:178], v[189:190]
	v_add_f64_e32 v[179:180], v[179:180], v[183:184]
	s_wait_loadcnt_dscnt 0x800
	v_mul_f64_e32 v[183:184], v[6:7], v[171:172]
	v_mul_f64_e32 v[171:172], v[8:9], v[171:172]
	v_fma_f64 v[181:182], v[4:5], v[34:35], v[181:182]
	v_fma_f64 v[189:190], v[2:3], v[34:35], -v[36:37]
	ds_load_b128 v[2:5], v1 offset:1824
	scratch_load_b128 v[34:37], off, off offset:960
	v_add_f64_e32 v[177:178], v[177:178], v[187:188]
	v_add_f64_e32 v[179:180], v[179:180], v[185:186]
	v_fma_f64 v[183:184], v[8:9], v[169:170], v[183:184]
	v_fma_f64 v[187:188], v[6:7], v[169:170], -v[171:172]
	ds_load_b128 v[6:9], v1 offset:1840
	s_wait_loadcnt_dscnt 0x801
	v_mul_f64_e32 v[185:186], v[2:3], v[12:13]
	v_mul_f64_e32 v[12:13], v[4:5], v[12:13]
	scratch_load_b128 v[169:172], off, off offset:976
	v_add_f64_e32 v[177:178], v[177:178], v[189:190]
	v_add_f64_e32 v[179:180], v[179:180], v[181:182]
	s_wait_loadcnt_dscnt 0x800
	v_mul_f64_e32 v[181:182], v[6:7], v[16:17]
	v_mul_f64_e32 v[16:17], v[8:9], v[16:17]
	v_fma_f64 v[185:186], v[4:5], v[10:11], v[185:186]
	v_fma_f64 v[189:190], v[2:3], v[10:11], -v[12:13]
	ds_load_b128 v[2:5], v1 offset:1856
	scratch_load_b128 v[10:13], off, off offset:992
	v_add_f64_e32 v[177:178], v[177:178], v[187:188]
	v_add_f64_e32 v[179:180], v[179:180], v[183:184]
	v_fma_f64 v[181:182], v[8:9], v[14:15], v[181:182]
	v_fma_f64 v[187:188], v[6:7], v[14:15], -v[16:17]
	ds_load_b128 v[6:9], v1 offset:1872
	s_wait_loadcnt_dscnt 0x801
	v_mul_f64_e32 v[183:184], v[2:3], v[20:21]
	v_mul_f64_e32 v[20:21], v[4:5], v[20:21]
	scratch_load_b128 v[14:17], off, off offset:1008
	v_add_f64_e32 v[177:178], v[177:178], v[189:190]
	v_add_f64_e32 v[179:180], v[179:180], v[185:186]
	s_wait_loadcnt_dscnt 0x800
	v_mul_f64_e32 v[185:186], v[6:7], v[24:25]
	v_mul_f64_e32 v[24:25], v[8:9], v[24:25]
	v_fma_f64 v[183:184], v[4:5], v[18:19], v[183:184]
	v_fma_f64 v[18:19], v[2:3], v[18:19], -v[20:21]
	ds_load_b128 v[2:5], v1 offset:1888
	v_add_f64_e32 v[20:21], v[177:178], v[187:188]
	v_add_f64_e32 v[177:178], v[179:180], v[181:182]
	v_fma_f64 v[181:182], v[8:9], v[22:23], v[185:186]
	v_fma_f64 v[22:23], v[6:7], v[22:23], -v[24:25]
	ds_load_b128 v[6:9], v1 offset:1904
	s_wait_loadcnt_dscnt 0x701
	v_mul_f64_e32 v[179:180], v[2:3], v[28:29]
	v_mul_f64_e32 v[28:29], v[4:5], v[28:29]
	v_add_f64_e32 v[18:19], v[20:21], v[18:19]
	v_add_f64_e32 v[20:21], v[177:178], v[183:184]
	s_delay_alu instid0(VALU_DEP_4) | instskip(NEXT) | instid1(VALU_DEP_4)
	v_fma_f64 v[177:178], v[4:5], v[26:27], v[179:180]
	v_fma_f64 v[26:27], v[2:3], v[26:27], -v[28:29]
	ds_load_b128 v[2:5], v1 offset:1920
	v_add_f64_e32 v[22:23], v[18:19], v[22:23]
	v_add_f64_e32 v[28:29], v[20:21], v[181:182]
	scratch_load_b128 v[18:21], off, off offset:624
	s_wait_loadcnt_dscnt 0x701
	v_mul_f64_e32 v[24:25], v[6:7], v[32:33]
	v_mul_f64_e32 v[32:33], v[8:9], v[32:33]
	v_add_f64_e32 v[22:23], v[22:23], v[26:27]
	v_add_f64_e32 v[26:27], v[28:29], v[177:178]
	s_delay_alu instid0(VALU_DEP_4) | instskip(NEXT) | instid1(VALU_DEP_4)
	v_fma_f64 v[24:25], v[8:9], v[30:31], v[24:25]
	v_fma_f64 v[30:31], v[6:7], v[30:31], -v[32:33]
	ds_load_b128 v[6:9], v1 offset:1936
	s_wait_loadcnt_dscnt 0x601
	v_mul_f64_e32 v[179:180], v[2:3], v[40:41]
	v_mul_f64_e32 v[40:41], v[4:5], v[40:41]
	s_wait_loadcnt_dscnt 0x500
	v_mul_f64_e32 v[28:29], v[6:7], v[175:176]
	v_mul_f64_e32 v[32:33], v[8:9], v[175:176]
	v_add_f64_e32 v[24:25], v[26:27], v[24:25]
	v_add_f64_e32 v[22:23], v[22:23], v[30:31]
	v_fma_f64 v[175:176], v[4:5], v[38:39], v[179:180]
	v_fma_f64 v[38:39], v[2:3], v[38:39], -v[40:41]
	ds_load_b128 v[2:5], v1 offset:1952
	v_fma_f64 v[28:29], v[8:9], v[173:174], v[28:29]
	v_fma_f64 v[32:33], v[6:7], v[173:174], -v[32:33]
	ds_load_b128 v[6:9], v1 offset:1968
	s_wait_loadcnt_dscnt 0x401
	v_mul_f64_e32 v[26:27], v[2:3], v[36:37]
	v_mul_f64_e32 v[30:31], v[4:5], v[36:37]
	v_add_f64_e32 v[24:25], v[24:25], v[175:176]
	v_add_f64_e32 v[22:23], v[22:23], v[38:39]
	s_wait_loadcnt_dscnt 0x300
	v_mul_f64_e32 v[36:37], v[6:7], v[171:172]
	v_mul_f64_e32 v[38:39], v[8:9], v[171:172]
	v_fma_f64 v[26:27], v[4:5], v[34:35], v[26:27]
	v_fma_f64 v[30:31], v[2:3], v[34:35], -v[30:31]
	ds_load_b128 v[2:5], v1 offset:1984
	v_add_f64_e32 v[24:25], v[24:25], v[28:29]
	v_add_f64_e32 v[22:23], v[22:23], v[32:33]
	v_fma_f64 v[32:33], v[8:9], v[169:170], v[36:37]
	v_fma_f64 v[34:35], v[6:7], v[169:170], -v[38:39]
	ds_load_b128 v[6:9], v1 offset:2000
	s_wait_loadcnt_dscnt 0x201
	v_mul_f64_e32 v[28:29], v[2:3], v[12:13]
	v_mul_f64_e32 v[12:13], v[4:5], v[12:13]
	v_add_f64_e32 v[24:25], v[24:25], v[26:27]
	v_add_f64_e32 v[22:23], v[22:23], v[30:31]
	s_wait_loadcnt_dscnt 0x100
	v_mul_f64_e32 v[26:27], v[6:7], v[16:17]
	v_mul_f64_e32 v[16:17], v[8:9], v[16:17]
	v_fma_f64 v[4:5], v[4:5], v[10:11], v[28:29]
	v_fma_f64 v[1:2], v[2:3], v[10:11], -v[12:13]
	v_add_f64_e32 v[12:13], v[24:25], v[32:33]
	v_add_f64_e32 v[10:11], v[22:23], v[34:35]
	v_fma_f64 v[8:9], v[8:9], v[14:15], v[26:27]
	v_fma_f64 v[6:7], v[6:7], v[14:15], -v[16:17]
	s_delay_alu instid0(VALU_DEP_4) | instskip(NEXT) | instid1(VALU_DEP_4)
	v_add_f64_e32 v[3:4], v[12:13], v[4:5]
	v_add_f64_e32 v[1:2], v[10:11], v[1:2]
	s_delay_alu instid0(VALU_DEP_2) | instskip(NEXT) | instid1(VALU_DEP_2)
	v_add_f64_e32 v[3:4], v[3:4], v[8:9]
	v_add_f64_e32 v[1:2], v[1:2], v[6:7]
	s_wait_loadcnt 0x0
	s_delay_alu instid0(VALU_DEP_2) | instskip(NEXT) | instid1(VALU_DEP_2)
	v_add_f64_e64 v[3:4], v[20:21], -v[3:4]
	v_add_f64_e64 v[1:2], v[18:19], -v[1:2]
	scratch_store_b128 off, v[1:4], off offset:624
	v_cmpx_lt_u32_e32 37, v0
	s_cbranch_execz .LBB126_329
; %bb.328:
	scratch_load_b128 v[1:4], off, s41
	v_mov_b32_e32 v5, 0
	s_delay_alu instid0(VALU_DEP_1)
	v_dual_mov_b32 v6, v5 :: v_dual_mov_b32 v7, v5
	v_mov_b32_e32 v8, v5
	scratch_store_b128 off, v[5:8], off offset:608
	s_wait_loadcnt 0x0
	ds_store_b128 v168, v[1:4]
.LBB126_329:
	s_wait_alu 0xfffe
	s_or_b32 exec_lo, exec_lo, s0
	s_wait_storecnt_dscnt 0x0
	s_barrier_signal -1
	s_barrier_wait -1
	global_inv scope:SCOPE_SE
	s_clause 0x7
	scratch_load_b128 v[2:5], off, off offset:624
	scratch_load_b128 v[6:9], off, off offset:640
	;; [unrolled: 1-line block ×8, first 2 shown]
	v_mov_b32_e32 v1, 0
	s_clause 0x1
	scratch_load_b128 v[38:41], off, off offset:752
	scratch_load_b128 v[173:176], off, off offset:768
	s_mov_b32 s0, exec_lo
	ds_load_b128 v[34:37], v1 offset:1616
	ds_load_b128 v[169:172], v1 offset:1632
	s_wait_loadcnt_dscnt 0x901
	v_mul_f64_e32 v[177:178], v[36:37], v[4:5]
	v_mul_f64_e32 v[4:5], v[34:35], v[4:5]
	s_wait_loadcnt_dscnt 0x800
	v_mul_f64_e32 v[179:180], v[169:170], v[8:9]
	v_mul_f64_e32 v[8:9], v[171:172], v[8:9]
	s_delay_alu instid0(VALU_DEP_4) | instskip(NEXT) | instid1(VALU_DEP_4)
	v_fma_f64 v[177:178], v[34:35], v[2:3], -v[177:178]
	v_fma_f64 v[181:182], v[36:37], v[2:3], v[4:5]
	ds_load_b128 v[2:5], v1 offset:1648
	scratch_load_b128 v[34:37], off, off offset:784
	v_fma_f64 v[179:180], v[171:172], v[6:7], v[179:180]
	v_fma_f64 v[185:186], v[169:170], v[6:7], -v[8:9]
	ds_load_b128 v[6:9], v1 offset:1664
	scratch_load_b128 v[169:172], off, off offset:800
	s_wait_loadcnt_dscnt 0x901
	v_mul_f64_e32 v[183:184], v[2:3], v[12:13]
	v_mul_f64_e32 v[12:13], v[4:5], v[12:13]
	s_wait_loadcnt_dscnt 0x800
	v_mul_f64_e32 v[187:188], v[6:7], v[16:17]
	v_mul_f64_e32 v[16:17], v[8:9], v[16:17]
	v_add_f64_e32 v[177:178], 0, v[177:178]
	v_add_f64_e32 v[181:182], 0, v[181:182]
	v_fma_f64 v[183:184], v[4:5], v[10:11], v[183:184]
	v_fma_f64 v[189:190], v[2:3], v[10:11], -v[12:13]
	ds_load_b128 v[2:5], v1 offset:1680
	scratch_load_b128 v[10:13], off, off offset:816
	v_add_f64_e32 v[177:178], v[177:178], v[185:186]
	v_add_f64_e32 v[179:180], v[181:182], v[179:180]
	v_fma_f64 v[185:186], v[8:9], v[14:15], v[187:188]
	v_fma_f64 v[187:188], v[6:7], v[14:15], -v[16:17]
	ds_load_b128 v[6:9], v1 offset:1696
	scratch_load_b128 v[14:17], off, off offset:832
	s_wait_loadcnt_dscnt 0x901
	v_mul_f64_e32 v[181:182], v[2:3], v[20:21]
	v_mul_f64_e32 v[20:21], v[4:5], v[20:21]
	v_add_f64_e32 v[177:178], v[177:178], v[189:190]
	v_add_f64_e32 v[179:180], v[179:180], v[183:184]
	s_wait_loadcnt_dscnt 0x800
	v_mul_f64_e32 v[183:184], v[6:7], v[24:25]
	v_mul_f64_e32 v[24:25], v[8:9], v[24:25]
	v_fma_f64 v[181:182], v[4:5], v[18:19], v[181:182]
	v_fma_f64 v[189:190], v[2:3], v[18:19], -v[20:21]
	ds_load_b128 v[2:5], v1 offset:1712
	scratch_load_b128 v[18:21], off, off offset:848
	v_add_f64_e32 v[177:178], v[177:178], v[187:188]
	v_add_f64_e32 v[179:180], v[179:180], v[185:186]
	v_fma_f64 v[183:184], v[8:9], v[22:23], v[183:184]
	v_fma_f64 v[187:188], v[6:7], v[22:23], -v[24:25]
	ds_load_b128 v[6:9], v1 offset:1728
	s_wait_loadcnt_dscnt 0x801
	v_mul_f64_e32 v[185:186], v[2:3], v[28:29]
	v_mul_f64_e32 v[28:29], v[4:5], v[28:29]
	scratch_load_b128 v[22:25], off, off offset:864
	v_add_f64_e32 v[177:178], v[177:178], v[189:190]
	v_add_f64_e32 v[179:180], v[179:180], v[181:182]
	s_wait_loadcnt_dscnt 0x800
	v_mul_f64_e32 v[181:182], v[6:7], v[32:33]
	v_mul_f64_e32 v[32:33], v[8:9], v[32:33]
	v_fma_f64 v[185:186], v[4:5], v[26:27], v[185:186]
	v_fma_f64 v[189:190], v[2:3], v[26:27], -v[28:29]
	ds_load_b128 v[2:5], v1 offset:1744
	scratch_load_b128 v[26:29], off, off offset:880
	v_add_f64_e32 v[177:178], v[177:178], v[187:188]
	v_add_f64_e32 v[179:180], v[179:180], v[183:184]
	v_fma_f64 v[181:182], v[8:9], v[30:31], v[181:182]
	v_fma_f64 v[187:188], v[6:7], v[30:31], -v[32:33]
	ds_load_b128 v[6:9], v1 offset:1760
	s_wait_loadcnt_dscnt 0x801
	v_mul_f64_e32 v[183:184], v[2:3], v[40:41]
	v_mul_f64_e32 v[40:41], v[4:5], v[40:41]
	scratch_load_b128 v[30:33], off, off offset:896
	v_add_f64_e32 v[177:178], v[177:178], v[189:190]
	v_add_f64_e32 v[179:180], v[179:180], v[185:186]
	s_wait_loadcnt_dscnt 0x800
	v_mul_f64_e32 v[185:186], v[6:7], v[175:176]
	v_mul_f64_e32 v[175:176], v[8:9], v[175:176]
	v_fma_f64 v[183:184], v[4:5], v[38:39], v[183:184]
	v_fma_f64 v[189:190], v[2:3], v[38:39], -v[40:41]
	ds_load_b128 v[2:5], v1 offset:1776
	scratch_load_b128 v[38:41], off, off offset:912
	v_add_f64_e32 v[177:178], v[177:178], v[187:188]
	v_add_f64_e32 v[179:180], v[179:180], v[181:182]
	v_fma_f64 v[185:186], v[8:9], v[173:174], v[185:186]
	v_fma_f64 v[187:188], v[6:7], v[173:174], -v[175:176]
	ds_load_b128 v[6:9], v1 offset:1792
	scratch_load_b128 v[173:176], off, off offset:928
	s_wait_loadcnt_dscnt 0x901
	v_mul_f64_e32 v[181:182], v[2:3], v[36:37]
	v_mul_f64_e32 v[36:37], v[4:5], v[36:37]
	v_add_f64_e32 v[177:178], v[177:178], v[189:190]
	v_add_f64_e32 v[179:180], v[179:180], v[183:184]
	s_wait_loadcnt_dscnt 0x800
	v_mul_f64_e32 v[183:184], v[6:7], v[171:172]
	v_mul_f64_e32 v[171:172], v[8:9], v[171:172]
	v_fma_f64 v[181:182], v[4:5], v[34:35], v[181:182]
	v_fma_f64 v[189:190], v[2:3], v[34:35], -v[36:37]
	ds_load_b128 v[2:5], v1 offset:1808
	scratch_load_b128 v[34:37], off, off offset:944
	v_add_f64_e32 v[177:178], v[177:178], v[187:188]
	v_add_f64_e32 v[179:180], v[179:180], v[185:186]
	v_fma_f64 v[183:184], v[8:9], v[169:170], v[183:184]
	v_fma_f64 v[187:188], v[6:7], v[169:170], -v[171:172]
	ds_load_b128 v[6:9], v1 offset:1824
	s_wait_loadcnt_dscnt 0x801
	v_mul_f64_e32 v[185:186], v[2:3], v[12:13]
	v_mul_f64_e32 v[12:13], v[4:5], v[12:13]
	scratch_load_b128 v[169:172], off, off offset:960
	v_add_f64_e32 v[177:178], v[177:178], v[189:190]
	v_add_f64_e32 v[179:180], v[179:180], v[181:182]
	s_wait_loadcnt_dscnt 0x800
	v_mul_f64_e32 v[181:182], v[6:7], v[16:17]
	v_mul_f64_e32 v[16:17], v[8:9], v[16:17]
	v_fma_f64 v[185:186], v[4:5], v[10:11], v[185:186]
	v_fma_f64 v[189:190], v[2:3], v[10:11], -v[12:13]
	ds_load_b128 v[2:5], v1 offset:1840
	scratch_load_b128 v[10:13], off, off offset:976
	v_add_f64_e32 v[177:178], v[177:178], v[187:188]
	v_add_f64_e32 v[179:180], v[179:180], v[183:184]
	v_fma_f64 v[181:182], v[8:9], v[14:15], v[181:182]
	v_fma_f64 v[187:188], v[6:7], v[14:15], -v[16:17]
	ds_load_b128 v[6:9], v1 offset:1856
	s_wait_loadcnt_dscnt 0x801
	v_mul_f64_e32 v[183:184], v[2:3], v[20:21]
	v_mul_f64_e32 v[20:21], v[4:5], v[20:21]
	scratch_load_b128 v[14:17], off, off offset:992
	v_add_f64_e32 v[177:178], v[177:178], v[189:190]
	v_add_f64_e32 v[179:180], v[179:180], v[185:186]
	s_wait_loadcnt_dscnt 0x800
	v_mul_f64_e32 v[185:186], v[6:7], v[24:25]
	v_mul_f64_e32 v[24:25], v[8:9], v[24:25]
	v_fma_f64 v[183:184], v[4:5], v[18:19], v[183:184]
	v_fma_f64 v[189:190], v[2:3], v[18:19], -v[20:21]
	ds_load_b128 v[2:5], v1 offset:1872
	scratch_load_b128 v[18:21], off, off offset:1008
	v_add_f64_e32 v[177:178], v[177:178], v[187:188]
	v_add_f64_e32 v[179:180], v[179:180], v[181:182]
	v_fma_f64 v[185:186], v[8:9], v[22:23], v[185:186]
	v_fma_f64 v[22:23], v[6:7], v[22:23], -v[24:25]
	ds_load_b128 v[6:9], v1 offset:1888
	s_wait_loadcnt_dscnt 0x801
	v_mul_f64_e32 v[181:182], v[2:3], v[28:29]
	v_mul_f64_e32 v[28:29], v[4:5], v[28:29]
	v_add_f64_e32 v[24:25], v[177:178], v[189:190]
	v_add_f64_e32 v[177:178], v[179:180], v[183:184]
	s_wait_loadcnt_dscnt 0x700
	v_mul_f64_e32 v[179:180], v[6:7], v[32:33]
	v_mul_f64_e32 v[32:33], v[8:9], v[32:33]
	v_fma_f64 v[181:182], v[4:5], v[26:27], v[181:182]
	v_fma_f64 v[26:27], v[2:3], v[26:27], -v[28:29]
	ds_load_b128 v[2:5], v1 offset:1904
	v_add_f64_e32 v[22:23], v[24:25], v[22:23]
	v_add_f64_e32 v[24:25], v[177:178], v[185:186]
	v_fma_f64 v[177:178], v[8:9], v[30:31], v[179:180]
	v_fma_f64 v[30:31], v[6:7], v[30:31], -v[32:33]
	ds_load_b128 v[6:9], v1 offset:1920
	s_wait_loadcnt_dscnt 0x500
	v_mul_f64_e32 v[179:180], v[6:7], v[175:176]
	v_mul_f64_e32 v[175:176], v[8:9], v[175:176]
	v_add_f64_e32 v[26:27], v[22:23], v[26:27]
	v_add_f64_e32 v[32:33], v[24:25], v[181:182]
	scratch_load_b128 v[22:25], off, off offset:608
	v_mul_f64_e32 v[28:29], v[2:3], v[40:41]
	v_mul_f64_e32 v[40:41], v[4:5], v[40:41]
	v_add_f64_e32 v[26:27], v[26:27], v[30:31]
	v_add_f64_e32 v[30:31], v[32:33], v[177:178]
	s_delay_alu instid0(VALU_DEP_4) | instskip(NEXT) | instid1(VALU_DEP_4)
	v_fma_f64 v[28:29], v[4:5], v[38:39], v[28:29]
	v_fma_f64 v[38:39], v[2:3], v[38:39], -v[40:41]
	ds_load_b128 v[2:5], v1 offset:1936
	v_fma_f64 v[40:41], v[8:9], v[173:174], v[179:180]
	v_fma_f64 v[173:174], v[6:7], v[173:174], -v[175:176]
	ds_load_b128 v[6:9], v1 offset:1952
	s_wait_loadcnt_dscnt 0x501
	v_mul_f64_e32 v[32:33], v[2:3], v[36:37]
	v_mul_f64_e32 v[36:37], v[4:5], v[36:37]
	v_add_f64_e32 v[28:29], v[30:31], v[28:29]
	v_add_f64_e32 v[26:27], v[26:27], v[38:39]
	s_wait_loadcnt_dscnt 0x400
	v_mul_f64_e32 v[30:31], v[6:7], v[171:172]
	v_mul_f64_e32 v[38:39], v[8:9], v[171:172]
	v_fma_f64 v[32:33], v[4:5], v[34:35], v[32:33]
	v_fma_f64 v[34:35], v[2:3], v[34:35], -v[36:37]
	ds_load_b128 v[2:5], v1 offset:1968
	v_add_f64_e32 v[28:29], v[28:29], v[40:41]
	v_add_f64_e32 v[26:27], v[26:27], v[173:174]
	v_fma_f64 v[30:31], v[8:9], v[169:170], v[30:31]
	v_fma_f64 v[38:39], v[6:7], v[169:170], -v[38:39]
	ds_load_b128 v[6:9], v1 offset:1984
	s_wait_loadcnt_dscnt 0x301
	v_mul_f64_e32 v[36:37], v[2:3], v[12:13]
	v_mul_f64_e32 v[12:13], v[4:5], v[12:13]
	v_add_f64_e32 v[28:29], v[28:29], v[32:33]
	v_add_f64_e32 v[26:27], v[26:27], v[34:35]
	s_wait_loadcnt_dscnt 0x200
	v_mul_f64_e32 v[32:33], v[6:7], v[16:17]
	v_mul_f64_e32 v[16:17], v[8:9], v[16:17]
	v_fma_f64 v[34:35], v[4:5], v[10:11], v[36:37]
	v_fma_f64 v[10:11], v[2:3], v[10:11], -v[12:13]
	ds_load_b128 v[2:5], v1 offset:2000
	v_add_f64_e32 v[12:13], v[26:27], v[38:39]
	v_add_f64_e32 v[26:27], v[28:29], v[30:31]
	s_wait_loadcnt_dscnt 0x100
	v_mul_f64_e32 v[28:29], v[2:3], v[20:21]
	v_mul_f64_e32 v[20:21], v[4:5], v[20:21]
	v_fma_f64 v[8:9], v[8:9], v[14:15], v[32:33]
	v_fma_f64 v[6:7], v[6:7], v[14:15], -v[16:17]
	v_add_f64_e32 v[10:11], v[12:13], v[10:11]
	v_add_f64_e32 v[12:13], v[26:27], v[34:35]
	v_fma_f64 v[4:5], v[4:5], v[18:19], v[28:29]
	v_fma_f64 v[2:3], v[2:3], v[18:19], -v[20:21]
	s_delay_alu instid0(VALU_DEP_4) | instskip(NEXT) | instid1(VALU_DEP_4)
	v_add_f64_e32 v[6:7], v[10:11], v[6:7]
	v_add_f64_e32 v[8:9], v[12:13], v[8:9]
	s_delay_alu instid0(VALU_DEP_2) | instskip(NEXT) | instid1(VALU_DEP_2)
	v_add_f64_e32 v[2:3], v[6:7], v[2:3]
	v_add_f64_e32 v[4:5], v[8:9], v[4:5]
	s_wait_loadcnt 0x0
	s_delay_alu instid0(VALU_DEP_2) | instskip(NEXT) | instid1(VALU_DEP_2)
	v_add_f64_e64 v[2:3], v[22:23], -v[2:3]
	v_add_f64_e64 v[4:5], v[24:25], -v[4:5]
	scratch_store_b128 off, v[2:5], off offset:608
	v_cmpx_lt_u32_e32 36, v0
	s_cbranch_execz .LBB126_331
; %bb.330:
	scratch_load_b128 v[5:8], off, s42
	v_dual_mov_b32 v2, v1 :: v_dual_mov_b32 v3, v1
	v_mov_b32_e32 v4, v1
	scratch_store_b128 off, v[1:4], off offset:592
	s_wait_loadcnt 0x0
	ds_store_b128 v168, v[5:8]
.LBB126_331:
	s_wait_alu 0xfffe
	s_or_b32 exec_lo, exec_lo, s0
	s_wait_storecnt_dscnt 0x0
	s_barrier_signal -1
	s_barrier_wait -1
	global_inv scope:SCOPE_SE
	s_clause 0x7
	scratch_load_b128 v[2:5], off, off offset:608
	scratch_load_b128 v[6:9], off, off offset:624
	scratch_load_b128 v[10:13], off, off offset:640
	scratch_load_b128 v[14:17], off, off offset:656
	scratch_load_b128 v[18:21], off, off offset:672
	scratch_load_b128 v[22:25], off, off offset:688
	scratch_load_b128 v[26:29], off, off offset:704
	scratch_load_b128 v[30:33], off, off offset:720
	ds_load_b128 v[34:37], v1 offset:1600
	ds_load_b128 v[169:172], v1 offset:1616
	s_clause 0x1
	scratch_load_b128 v[38:41], off, off offset:736
	scratch_load_b128 v[173:176], off, off offset:752
	s_mov_b32 s0, exec_lo
	s_wait_loadcnt_dscnt 0x901
	v_mul_f64_e32 v[177:178], v[36:37], v[4:5]
	v_mul_f64_e32 v[4:5], v[34:35], v[4:5]
	s_wait_loadcnt_dscnt 0x800
	v_mul_f64_e32 v[179:180], v[169:170], v[8:9]
	v_mul_f64_e32 v[8:9], v[171:172], v[8:9]
	s_delay_alu instid0(VALU_DEP_4) | instskip(NEXT) | instid1(VALU_DEP_4)
	v_fma_f64 v[177:178], v[34:35], v[2:3], -v[177:178]
	v_fma_f64 v[181:182], v[36:37], v[2:3], v[4:5]
	ds_load_b128 v[2:5], v1 offset:1632
	scratch_load_b128 v[34:37], off, off offset:768
	v_fma_f64 v[179:180], v[171:172], v[6:7], v[179:180]
	v_fma_f64 v[185:186], v[169:170], v[6:7], -v[8:9]
	ds_load_b128 v[6:9], v1 offset:1648
	scratch_load_b128 v[169:172], off, off offset:784
	s_wait_loadcnt_dscnt 0x901
	v_mul_f64_e32 v[183:184], v[2:3], v[12:13]
	v_mul_f64_e32 v[12:13], v[4:5], v[12:13]
	s_wait_loadcnt_dscnt 0x800
	v_mul_f64_e32 v[187:188], v[6:7], v[16:17]
	v_mul_f64_e32 v[16:17], v[8:9], v[16:17]
	v_add_f64_e32 v[177:178], 0, v[177:178]
	v_add_f64_e32 v[181:182], 0, v[181:182]
	v_fma_f64 v[183:184], v[4:5], v[10:11], v[183:184]
	v_fma_f64 v[189:190], v[2:3], v[10:11], -v[12:13]
	ds_load_b128 v[2:5], v1 offset:1664
	scratch_load_b128 v[10:13], off, off offset:800
	v_add_f64_e32 v[177:178], v[177:178], v[185:186]
	v_add_f64_e32 v[179:180], v[181:182], v[179:180]
	v_fma_f64 v[185:186], v[8:9], v[14:15], v[187:188]
	v_fma_f64 v[187:188], v[6:7], v[14:15], -v[16:17]
	ds_load_b128 v[6:9], v1 offset:1680
	scratch_load_b128 v[14:17], off, off offset:816
	s_wait_loadcnt_dscnt 0x901
	v_mul_f64_e32 v[181:182], v[2:3], v[20:21]
	v_mul_f64_e32 v[20:21], v[4:5], v[20:21]
	v_add_f64_e32 v[177:178], v[177:178], v[189:190]
	v_add_f64_e32 v[179:180], v[179:180], v[183:184]
	s_wait_loadcnt_dscnt 0x800
	v_mul_f64_e32 v[183:184], v[6:7], v[24:25]
	v_mul_f64_e32 v[24:25], v[8:9], v[24:25]
	v_fma_f64 v[181:182], v[4:5], v[18:19], v[181:182]
	v_fma_f64 v[189:190], v[2:3], v[18:19], -v[20:21]
	ds_load_b128 v[2:5], v1 offset:1696
	scratch_load_b128 v[18:21], off, off offset:832
	v_add_f64_e32 v[177:178], v[177:178], v[187:188]
	v_add_f64_e32 v[179:180], v[179:180], v[185:186]
	v_fma_f64 v[183:184], v[8:9], v[22:23], v[183:184]
	v_fma_f64 v[187:188], v[6:7], v[22:23], -v[24:25]
	ds_load_b128 v[6:9], v1 offset:1712
	s_wait_loadcnt_dscnt 0x801
	v_mul_f64_e32 v[185:186], v[2:3], v[28:29]
	v_mul_f64_e32 v[28:29], v[4:5], v[28:29]
	scratch_load_b128 v[22:25], off, off offset:848
	v_add_f64_e32 v[177:178], v[177:178], v[189:190]
	v_add_f64_e32 v[179:180], v[179:180], v[181:182]
	s_wait_loadcnt_dscnt 0x800
	v_mul_f64_e32 v[181:182], v[6:7], v[32:33]
	v_mul_f64_e32 v[32:33], v[8:9], v[32:33]
	v_fma_f64 v[185:186], v[4:5], v[26:27], v[185:186]
	v_fma_f64 v[189:190], v[2:3], v[26:27], -v[28:29]
	ds_load_b128 v[2:5], v1 offset:1728
	scratch_load_b128 v[26:29], off, off offset:864
	v_add_f64_e32 v[177:178], v[177:178], v[187:188]
	v_add_f64_e32 v[179:180], v[179:180], v[183:184]
	v_fma_f64 v[181:182], v[8:9], v[30:31], v[181:182]
	v_fma_f64 v[187:188], v[6:7], v[30:31], -v[32:33]
	ds_load_b128 v[6:9], v1 offset:1744
	s_wait_loadcnt_dscnt 0x801
	v_mul_f64_e32 v[183:184], v[2:3], v[40:41]
	v_mul_f64_e32 v[40:41], v[4:5], v[40:41]
	scratch_load_b128 v[30:33], off, off offset:880
	v_add_f64_e32 v[177:178], v[177:178], v[189:190]
	v_add_f64_e32 v[179:180], v[179:180], v[185:186]
	s_wait_loadcnt_dscnt 0x800
	v_mul_f64_e32 v[185:186], v[6:7], v[175:176]
	v_mul_f64_e32 v[175:176], v[8:9], v[175:176]
	v_fma_f64 v[183:184], v[4:5], v[38:39], v[183:184]
	v_fma_f64 v[189:190], v[2:3], v[38:39], -v[40:41]
	ds_load_b128 v[2:5], v1 offset:1760
	scratch_load_b128 v[38:41], off, off offset:896
	v_add_f64_e32 v[177:178], v[177:178], v[187:188]
	v_add_f64_e32 v[179:180], v[179:180], v[181:182]
	v_fma_f64 v[185:186], v[8:9], v[173:174], v[185:186]
	v_fma_f64 v[187:188], v[6:7], v[173:174], -v[175:176]
	ds_load_b128 v[6:9], v1 offset:1776
	scratch_load_b128 v[173:176], off, off offset:912
	s_wait_loadcnt_dscnt 0x901
	v_mul_f64_e32 v[181:182], v[2:3], v[36:37]
	v_mul_f64_e32 v[36:37], v[4:5], v[36:37]
	v_add_f64_e32 v[177:178], v[177:178], v[189:190]
	v_add_f64_e32 v[179:180], v[179:180], v[183:184]
	s_wait_loadcnt_dscnt 0x800
	v_mul_f64_e32 v[183:184], v[6:7], v[171:172]
	v_mul_f64_e32 v[171:172], v[8:9], v[171:172]
	v_fma_f64 v[181:182], v[4:5], v[34:35], v[181:182]
	v_fma_f64 v[189:190], v[2:3], v[34:35], -v[36:37]
	ds_load_b128 v[2:5], v1 offset:1792
	scratch_load_b128 v[34:37], off, off offset:928
	v_add_f64_e32 v[177:178], v[177:178], v[187:188]
	v_add_f64_e32 v[179:180], v[179:180], v[185:186]
	v_fma_f64 v[183:184], v[8:9], v[169:170], v[183:184]
	v_fma_f64 v[187:188], v[6:7], v[169:170], -v[171:172]
	ds_load_b128 v[6:9], v1 offset:1808
	s_wait_loadcnt_dscnt 0x801
	v_mul_f64_e32 v[185:186], v[2:3], v[12:13]
	v_mul_f64_e32 v[12:13], v[4:5], v[12:13]
	scratch_load_b128 v[169:172], off, off offset:944
	v_add_f64_e32 v[177:178], v[177:178], v[189:190]
	v_add_f64_e32 v[179:180], v[179:180], v[181:182]
	s_wait_loadcnt_dscnt 0x800
	v_mul_f64_e32 v[181:182], v[6:7], v[16:17]
	v_mul_f64_e32 v[16:17], v[8:9], v[16:17]
	v_fma_f64 v[185:186], v[4:5], v[10:11], v[185:186]
	v_fma_f64 v[189:190], v[2:3], v[10:11], -v[12:13]
	ds_load_b128 v[2:5], v1 offset:1824
	scratch_load_b128 v[10:13], off, off offset:960
	v_add_f64_e32 v[177:178], v[177:178], v[187:188]
	v_add_f64_e32 v[179:180], v[179:180], v[183:184]
	v_fma_f64 v[181:182], v[8:9], v[14:15], v[181:182]
	v_fma_f64 v[187:188], v[6:7], v[14:15], -v[16:17]
	ds_load_b128 v[6:9], v1 offset:1840
	s_wait_loadcnt_dscnt 0x801
	v_mul_f64_e32 v[183:184], v[2:3], v[20:21]
	v_mul_f64_e32 v[20:21], v[4:5], v[20:21]
	scratch_load_b128 v[14:17], off, off offset:976
	;; [unrolled: 18-line block ×3, first 2 shown]
	v_add_f64_e32 v[177:178], v[177:178], v[189:190]
	v_add_f64_e32 v[179:180], v[179:180], v[183:184]
	s_wait_loadcnt_dscnt 0x800
	v_mul_f64_e32 v[183:184], v[6:7], v[32:33]
	v_mul_f64_e32 v[32:33], v[8:9], v[32:33]
	v_fma_f64 v[181:182], v[4:5], v[26:27], v[181:182]
	v_fma_f64 v[26:27], v[2:3], v[26:27], -v[28:29]
	ds_load_b128 v[2:5], v1 offset:1888
	v_add_f64_e32 v[28:29], v[177:178], v[187:188]
	v_add_f64_e32 v[177:178], v[179:180], v[185:186]
	v_fma_f64 v[183:184], v[8:9], v[30:31], v[183:184]
	v_fma_f64 v[30:31], v[6:7], v[30:31], -v[32:33]
	ds_load_b128 v[6:9], v1 offset:1904
	s_wait_loadcnt_dscnt 0x701
	v_mul_f64_e32 v[179:180], v[2:3], v[40:41]
	v_mul_f64_e32 v[40:41], v[4:5], v[40:41]
	v_add_f64_e32 v[26:27], v[28:29], v[26:27]
	v_add_f64_e32 v[28:29], v[177:178], v[181:182]
	s_delay_alu instid0(VALU_DEP_4) | instskip(NEXT) | instid1(VALU_DEP_4)
	v_fma_f64 v[177:178], v[4:5], v[38:39], v[179:180]
	v_fma_f64 v[38:39], v[2:3], v[38:39], -v[40:41]
	ds_load_b128 v[2:5], v1 offset:1920
	v_add_f64_e32 v[30:31], v[26:27], v[30:31]
	v_add_f64_e32 v[40:41], v[28:29], v[183:184]
	scratch_load_b128 v[26:29], off, off offset:592
	s_wait_loadcnt_dscnt 0x701
	v_mul_f64_e32 v[32:33], v[6:7], v[175:176]
	v_mul_f64_e32 v[175:176], v[8:9], v[175:176]
	v_add_f64_e32 v[30:31], v[30:31], v[38:39]
	v_add_f64_e32 v[38:39], v[40:41], v[177:178]
	s_delay_alu instid0(VALU_DEP_4) | instskip(NEXT) | instid1(VALU_DEP_4)
	v_fma_f64 v[32:33], v[8:9], v[173:174], v[32:33]
	v_fma_f64 v[173:174], v[6:7], v[173:174], -v[175:176]
	ds_load_b128 v[6:9], v1 offset:1936
	s_wait_loadcnt_dscnt 0x601
	v_mul_f64_e32 v[179:180], v[2:3], v[36:37]
	v_mul_f64_e32 v[36:37], v[4:5], v[36:37]
	s_wait_loadcnt_dscnt 0x500
	v_mul_f64_e32 v[40:41], v[6:7], v[171:172]
	v_mul_f64_e32 v[171:172], v[8:9], v[171:172]
	v_add_f64_e32 v[32:33], v[38:39], v[32:33]
	v_add_f64_e32 v[30:31], v[30:31], v[173:174]
	v_fma_f64 v[175:176], v[4:5], v[34:35], v[179:180]
	v_fma_f64 v[34:35], v[2:3], v[34:35], -v[36:37]
	ds_load_b128 v[2:5], v1 offset:1952
	v_fma_f64 v[38:39], v[8:9], v[169:170], v[40:41]
	v_fma_f64 v[40:41], v[6:7], v[169:170], -v[171:172]
	ds_load_b128 v[6:9], v1 offset:1968
	s_wait_loadcnt_dscnt 0x401
	v_mul_f64_e32 v[36:37], v[2:3], v[12:13]
	v_mul_f64_e32 v[12:13], v[4:5], v[12:13]
	v_add_f64_e32 v[32:33], v[32:33], v[175:176]
	v_add_f64_e32 v[30:31], v[30:31], v[34:35]
	s_wait_loadcnt_dscnt 0x300
	v_mul_f64_e32 v[34:35], v[6:7], v[16:17]
	v_mul_f64_e32 v[16:17], v[8:9], v[16:17]
	v_fma_f64 v[36:37], v[4:5], v[10:11], v[36:37]
	v_fma_f64 v[10:11], v[2:3], v[10:11], -v[12:13]
	ds_load_b128 v[2:5], v1 offset:1984
	v_add_f64_e32 v[12:13], v[30:31], v[40:41]
	v_add_f64_e32 v[30:31], v[32:33], v[38:39]
	v_fma_f64 v[34:35], v[8:9], v[14:15], v[34:35]
	v_fma_f64 v[14:15], v[6:7], v[14:15], -v[16:17]
	ds_load_b128 v[6:9], v1 offset:2000
	s_wait_loadcnt_dscnt 0x201
	v_mul_f64_e32 v[32:33], v[2:3], v[20:21]
	v_mul_f64_e32 v[20:21], v[4:5], v[20:21]
	s_wait_loadcnt_dscnt 0x100
	v_mul_f64_e32 v[16:17], v[6:7], v[24:25]
	v_mul_f64_e32 v[24:25], v[8:9], v[24:25]
	v_add_f64_e32 v[10:11], v[12:13], v[10:11]
	v_add_f64_e32 v[12:13], v[30:31], v[36:37]
	v_fma_f64 v[4:5], v[4:5], v[18:19], v[32:33]
	v_fma_f64 v[1:2], v[2:3], v[18:19], -v[20:21]
	v_fma_f64 v[8:9], v[8:9], v[22:23], v[16:17]
	v_fma_f64 v[6:7], v[6:7], v[22:23], -v[24:25]
	v_add_f64_e32 v[10:11], v[10:11], v[14:15]
	v_add_f64_e32 v[12:13], v[12:13], v[34:35]
	s_delay_alu instid0(VALU_DEP_2) | instskip(NEXT) | instid1(VALU_DEP_2)
	v_add_f64_e32 v[1:2], v[10:11], v[1:2]
	v_add_f64_e32 v[3:4], v[12:13], v[4:5]
	s_delay_alu instid0(VALU_DEP_2) | instskip(NEXT) | instid1(VALU_DEP_2)
	v_add_f64_e32 v[1:2], v[1:2], v[6:7]
	v_add_f64_e32 v[3:4], v[3:4], v[8:9]
	s_wait_loadcnt 0x0
	s_delay_alu instid0(VALU_DEP_2) | instskip(NEXT) | instid1(VALU_DEP_2)
	v_add_f64_e64 v[1:2], v[26:27], -v[1:2]
	v_add_f64_e64 v[3:4], v[28:29], -v[3:4]
	scratch_store_b128 off, v[1:4], off offset:592
	v_cmpx_lt_u32_e32 35, v0
	s_cbranch_execz .LBB126_333
; %bb.332:
	scratch_load_b128 v[1:4], off, s43
	v_mov_b32_e32 v5, 0
	s_delay_alu instid0(VALU_DEP_1)
	v_dual_mov_b32 v6, v5 :: v_dual_mov_b32 v7, v5
	v_mov_b32_e32 v8, v5
	scratch_store_b128 off, v[5:8], off offset:576
	s_wait_loadcnt 0x0
	ds_store_b128 v168, v[1:4]
.LBB126_333:
	s_wait_alu 0xfffe
	s_or_b32 exec_lo, exec_lo, s0
	s_wait_storecnt_dscnt 0x0
	s_barrier_signal -1
	s_barrier_wait -1
	global_inv scope:SCOPE_SE
	s_clause 0x7
	scratch_load_b128 v[2:5], off, off offset:592
	scratch_load_b128 v[6:9], off, off offset:608
	;; [unrolled: 1-line block ×8, first 2 shown]
	v_mov_b32_e32 v1, 0
	s_clause 0x1
	scratch_load_b128 v[38:41], off, off offset:720
	scratch_load_b128 v[173:176], off, off offset:736
	s_mov_b32 s0, exec_lo
	ds_load_b128 v[34:37], v1 offset:1584
	ds_load_b128 v[169:172], v1 offset:1600
	s_wait_loadcnt_dscnt 0x901
	v_mul_f64_e32 v[177:178], v[36:37], v[4:5]
	v_mul_f64_e32 v[4:5], v[34:35], v[4:5]
	s_wait_loadcnt_dscnt 0x800
	v_mul_f64_e32 v[179:180], v[169:170], v[8:9]
	v_mul_f64_e32 v[8:9], v[171:172], v[8:9]
	s_delay_alu instid0(VALU_DEP_4) | instskip(NEXT) | instid1(VALU_DEP_4)
	v_fma_f64 v[177:178], v[34:35], v[2:3], -v[177:178]
	v_fma_f64 v[181:182], v[36:37], v[2:3], v[4:5]
	ds_load_b128 v[2:5], v1 offset:1616
	scratch_load_b128 v[34:37], off, off offset:752
	v_fma_f64 v[179:180], v[171:172], v[6:7], v[179:180]
	v_fma_f64 v[185:186], v[169:170], v[6:7], -v[8:9]
	ds_load_b128 v[6:9], v1 offset:1632
	scratch_load_b128 v[169:172], off, off offset:768
	s_wait_loadcnt_dscnt 0x901
	v_mul_f64_e32 v[183:184], v[2:3], v[12:13]
	v_mul_f64_e32 v[12:13], v[4:5], v[12:13]
	s_wait_loadcnt_dscnt 0x800
	v_mul_f64_e32 v[187:188], v[6:7], v[16:17]
	v_mul_f64_e32 v[16:17], v[8:9], v[16:17]
	v_add_f64_e32 v[177:178], 0, v[177:178]
	v_add_f64_e32 v[181:182], 0, v[181:182]
	v_fma_f64 v[183:184], v[4:5], v[10:11], v[183:184]
	v_fma_f64 v[189:190], v[2:3], v[10:11], -v[12:13]
	ds_load_b128 v[2:5], v1 offset:1648
	scratch_load_b128 v[10:13], off, off offset:784
	v_add_f64_e32 v[177:178], v[177:178], v[185:186]
	v_add_f64_e32 v[179:180], v[181:182], v[179:180]
	v_fma_f64 v[185:186], v[8:9], v[14:15], v[187:188]
	v_fma_f64 v[187:188], v[6:7], v[14:15], -v[16:17]
	ds_load_b128 v[6:9], v1 offset:1664
	scratch_load_b128 v[14:17], off, off offset:800
	s_wait_loadcnt_dscnt 0x901
	v_mul_f64_e32 v[181:182], v[2:3], v[20:21]
	v_mul_f64_e32 v[20:21], v[4:5], v[20:21]
	v_add_f64_e32 v[177:178], v[177:178], v[189:190]
	v_add_f64_e32 v[179:180], v[179:180], v[183:184]
	s_wait_loadcnt_dscnt 0x800
	v_mul_f64_e32 v[183:184], v[6:7], v[24:25]
	v_mul_f64_e32 v[24:25], v[8:9], v[24:25]
	v_fma_f64 v[181:182], v[4:5], v[18:19], v[181:182]
	v_fma_f64 v[189:190], v[2:3], v[18:19], -v[20:21]
	ds_load_b128 v[2:5], v1 offset:1680
	scratch_load_b128 v[18:21], off, off offset:816
	v_add_f64_e32 v[177:178], v[177:178], v[187:188]
	v_add_f64_e32 v[179:180], v[179:180], v[185:186]
	v_fma_f64 v[183:184], v[8:9], v[22:23], v[183:184]
	v_fma_f64 v[187:188], v[6:7], v[22:23], -v[24:25]
	ds_load_b128 v[6:9], v1 offset:1696
	s_wait_loadcnt_dscnt 0x801
	v_mul_f64_e32 v[185:186], v[2:3], v[28:29]
	v_mul_f64_e32 v[28:29], v[4:5], v[28:29]
	scratch_load_b128 v[22:25], off, off offset:832
	v_add_f64_e32 v[177:178], v[177:178], v[189:190]
	v_add_f64_e32 v[179:180], v[179:180], v[181:182]
	s_wait_loadcnt_dscnt 0x800
	v_mul_f64_e32 v[181:182], v[6:7], v[32:33]
	v_mul_f64_e32 v[32:33], v[8:9], v[32:33]
	v_fma_f64 v[185:186], v[4:5], v[26:27], v[185:186]
	v_fma_f64 v[189:190], v[2:3], v[26:27], -v[28:29]
	ds_load_b128 v[2:5], v1 offset:1712
	scratch_load_b128 v[26:29], off, off offset:848
	v_add_f64_e32 v[177:178], v[177:178], v[187:188]
	v_add_f64_e32 v[179:180], v[179:180], v[183:184]
	v_fma_f64 v[181:182], v[8:9], v[30:31], v[181:182]
	v_fma_f64 v[187:188], v[6:7], v[30:31], -v[32:33]
	ds_load_b128 v[6:9], v1 offset:1728
	s_wait_loadcnt_dscnt 0x801
	v_mul_f64_e32 v[183:184], v[2:3], v[40:41]
	v_mul_f64_e32 v[40:41], v[4:5], v[40:41]
	scratch_load_b128 v[30:33], off, off offset:864
	v_add_f64_e32 v[177:178], v[177:178], v[189:190]
	v_add_f64_e32 v[179:180], v[179:180], v[185:186]
	s_wait_loadcnt_dscnt 0x800
	v_mul_f64_e32 v[185:186], v[6:7], v[175:176]
	v_mul_f64_e32 v[175:176], v[8:9], v[175:176]
	v_fma_f64 v[183:184], v[4:5], v[38:39], v[183:184]
	v_fma_f64 v[189:190], v[2:3], v[38:39], -v[40:41]
	ds_load_b128 v[2:5], v1 offset:1744
	scratch_load_b128 v[38:41], off, off offset:880
	v_add_f64_e32 v[177:178], v[177:178], v[187:188]
	v_add_f64_e32 v[179:180], v[179:180], v[181:182]
	v_fma_f64 v[185:186], v[8:9], v[173:174], v[185:186]
	v_fma_f64 v[187:188], v[6:7], v[173:174], -v[175:176]
	ds_load_b128 v[6:9], v1 offset:1760
	scratch_load_b128 v[173:176], off, off offset:896
	s_wait_loadcnt_dscnt 0x901
	v_mul_f64_e32 v[181:182], v[2:3], v[36:37]
	v_mul_f64_e32 v[36:37], v[4:5], v[36:37]
	v_add_f64_e32 v[177:178], v[177:178], v[189:190]
	v_add_f64_e32 v[179:180], v[179:180], v[183:184]
	s_wait_loadcnt_dscnt 0x800
	v_mul_f64_e32 v[183:184], v[6:7], v[171:172]
	v_mul_f64_e32 v[171:172], v[8:9], v[171:172]
	v_fma_f64 v[181:182], v[4:5], v[34:35], v[181:182]
	v_fma_f64 v[189:190], v[2:3], v[34:35], -v[36:37]
	ds_load_b128 v[2:5], v1 offset:1776
	scratch_load_b128 v[34:37], off, off offset:912
	v_add_f64_e32 v[177:178], v[177:178], v[187:188]
	v_add_f64_e32 v[179:180], v[179:180], v[185:186]
	v_fma_f64 v[183:184], v[8:9], v[169:170], v[183:184]
	v_fma_f64 v[187:188], v[6:7], v[169:170], -v[171:172]
	ds_load_b128 v[6:9], v1 offset:1792
	s_wait_loadcnt_dscnt 0x801
	v_mul_f64_e32 v[185:186], v[2:3], v[12:13]
	v_mul_f64_e32 v[12:13], v[4:5], v[12:13]
	scratch_load_b128 v[169:172], off, off offset:928
	v_add_f64_e32 v[177:178], v[177:178], v[189:190]
	v_add_f64_e32 v[179:180], v[179:180], v[181:182]
	s_wait_loadcnt_dscnt 0x800
	v_mul_f64_e32 v[181:182], v[6:7], v[16:17]
	v_mul_f64_e32 v[16:17], v[8:9], v[16:17]
	v_fma_f64 v[185:186], v[4:5], v[10:11], v[185:186]
	v_fma_f64 v[189:190], v[2:3], v[10:11], -v[12:13]
	ds_load_b128 v[2:5], v1 offset:1808
	scratch_load_b128 v[10:13], off, off offset:944
	v_add_f64_e32 v[177:178], v[177:178], v[187:188]
	v_add_f64_e32 v[179:180], v[179:180], v[183:184]
	v_fma_f64 v[181:182], v[8:9], v[14:15], v[181:182]
	v_fma_f64 v[187:188], v[6:7], v[14:15], -v[16:17]
	ds_load_b128 v[6:9], v1 offset:1824
	s_wait_loadcnt_dscnt 0x801
	v_mul_f64_e32 v[183:184], v[2:3], v[20:21]
	v_mul_f64_e32 v[20:21], v[4:5], v[20:21]
	scratch_load_b128 v[14:17], off, off offset:960
	;; [unrolled: 18-line block ×3, first 2 shown]
	v_add_f64_e32 v[177:178], v[177:178], v[189:190]
	v_add_f64_e32 v[179:180], v[179:180], v[183:184]
	s_wait_loadcnt_dscnt 0x800
	v_mul_f64_e32 v[183:184], v[6:7], v[32:33]
	v_mul_f64_e32 v[32:33], v[8:9], v[32:33]
	v_fma_f64 v[181:182], v[4:5], v[26:27], v[181:182]
	v_fma_f64 v[189:190], v[2:3], v[26:27], -v[28:29]
	ds_load_b128 v[2:5], v1 offset:1872
	scratch_load_b128 v[26:29], off, off offset:1008
	v_add_f64_e32 v[177:178], v[177:178], v[187:188]
	v_add_f64_e32 v[179:180], v[179:180], v[185:186]
	v_fma_f64 v[183:184], v[8:9], v[30:31], v[183:184]
	v_fma_f64 v[30:31], v[6:7], v[30:31], -v[32:33]
	ds_load_b128 v[6:9], v1 offset:1888
	s_wait_loadcnt_dscnt 0x801
	v_mul_f64_e32 v[185:186], v[2:3], v[40:41]
	v_mul_f64_e32 v[40:41], v[4:5], v[40:41]
	v_add_f64_e32 v[32:33], v[177:178], v[189:190]
	v_add_f64_e32 v[177:178], v[179:180], v[181:182]
	s_wait_loadcnt_dscnt 0x700
	v_mul_f64_e32 v[179:180], v[6:7], v[175:176]
	v_mul_f64_e32 v[175:176], v[8:9], v[175:176]
	v_fma_f64 v[181:182], v[4:5], v[38:39], v[185:186]
	v_fma_f64 v[38:39], v[2:3], v[38:39], -v[40:41]
	ds_load_b128 v[2:5], v1 offset:1904
	v_add_f64_e32 v[30:31], v[32:33], v[30:31]
	v_add_f64_e32 v[32:33], v[177:178], v[183:184]
	v_fma_f64 v[177:178], v[8:9], v[173:174], v[179:180]
	v_fma_f64 v[173:174], v[6:7], v[173:174], -v[175:176]
	ds_load_b128 v[6:9], v1 offset:1920
	s_wait_loadcnt_dscnt 0x500
	v_mul_f64_e32 v[179:180], v[6:7], v[171:172]
	v_mul_f64_e32 v[171:172], v[8:9], v[171:172]
	v_add_f64_e32 v[38:39], v[30:31], v[38:39]
	v_add_f64_e32 v[175:176], v[32:33], v[181:182]
	scratch_load_b128 v[30:33], off, off offset:576
	v_mul_f64_e32 v[40:41], v[2:3], v[36:37]
	v_mul_f64_e32 v[36:37], v[4:5], v[36:37]
	s_delay_alu instid0(VALU_DEP_2) | instskip(NEXT) | instid1(VALU_DEP_2)
	v_fma_f64 v[40:41], v[4:5], v[34:35], v[40:41]
	v_fma_f64 v[34:35], v[2:3], v[34:35], -v[36:37]
	v_add_f64_e32 v[36:37], v[38:39], v[173:174]
	v_add_f64_e32 v[38:39], v[175:176], v[177:178]
	ds_load_b128 v[2:5], v1 offset:1936
	v_fma_f64 v[175:176], v[8:9], v[169:170], v[179:180]
	v_fma_f64 v[169:170], v[6:7], v[169:170], -v[171:172]
	ds_load_b128 v[6:9], v1 offset:1952
	s_wait_loadcnt_dscnt 0x501
	v_mul_f64_e32 v[173:174], v[2:3], v[12:13]
	v_mul_f64_e32 v[12:13], v[4:5], v[12:13]
	v_add_f64_e32 v[34:35], v[36:37], v[34:35]
	v_add_f64_e32 v[36:37], v[38:39], v[40:41]
	s_wait_loadcnt_dscnt 0x400
	v_mul_f64_e32 v[38:39], v[6:7], v[16:17]
	v_mul_f64_e32 v[16:17], v[8:9], v[16:17]
	v_fma_f64 v[40:41], v[4:5], v[10:11], v[173:174]
	v_fma_f64 v[10:11], v[2:3], v[10:11], -v[12:13]
	ds_load_b128 v[2:5], v1 offset:1968
	v_add_f64_e32 v[12:13], v[34:35], v[169:170]
	v_add_f64_e32 v[34:35], v[36:37], v[175:176]
	v_fma_f64 v[38:39], v[8:9], v[14:15], v[38:39]
	v_fma_f64 v[14:15], v[6:7], v[14:15], -v[16:17]
	ds_load_b128 v[6:9], v1 offset:1984
	s_wait_loadcnt_dscnt 0x301
	v_mul_f64_e32 v[36:37], v[2:3], v[20:21]
	v_mul_f64_e32 v[20:21], v[4:5], v[20:21]
	s_wait_loadcnt_dscnt 0x200
	v_mul_f64_e32 v[16:17], v[6:7], v[24:25]
	v_mul_f64_e32 v[24:25], v[8:9], v[24:25]
	v_add_f64_e32 v[10:11], v[12:13], v[10:11]
	v_add_f64_e32 v[12:13], v[34:35], v[40:41]
	v_fma_f64 v[34:35], v[4:5], v[18:19], v[36:37]
	v_fma_f64 v[18:19], v[2:3], v[18:19], -v[20:21]
	ds_load_b128 v[2:5], v1 offset:2000
	v_fma_f64 v[8:9], v[8:9], v[22:23], v[16:17]
	v_fma_f64 v[6:7], v[6:7], v[22:23], -v[24:25]
	s_wait_loadcnt_dscnt 0x100
	v_mul_f64_e32 v[20:21], v[4:5], v[28:29]
	v_add_f64_e32 v[10:11], v[10:11], v[14:15]
	v_add_f64_e32 v[12:13], v[12:13], v[38:39]
	v_mul_f64_e32 v[14:15], v[2:3], v[28:29]
	s_delay_alu instid0(VALU_DEP_4) | instskip(NEXT) | instid1(VALU_DEP_4)
	v_fma_f64 v[2:3], v[2:3], v[26:27], -v[20:21]
	v_add_f64_e32 v[10:11], v[10:11], v[18:19]
	s_delay_alu instid0(VALU_DEP_4) | instskip(NEXT) | instid1(VALU_DEP_4)
	v_add_f64_e32 v[12:13], v[12:13], v[34:35]
	v_fma_f64 v[4:5], v[4:5], v[26:27], v[14:15]
	s_delay_alu instid0(VALU_DEP_3) | instskip(NEXT) | instid1(VALU_DEP_3)
	v_add_f64_e32 v[6:7], v[10:11], v[6:7]
	v_add_f64_e32 v[8:9], v[12:13], v[8:9]
	s_delay_alu instid0(VALU_DEP_2) | instskip(NEXT) | instid1(VALU_DEP_2)
	v_add_f64_e32 v[2:3], v[6:7], v[2:3]
	v_add_f64_e32 v[4:5], v[8:9], v[4:5]
	s_wait_loadcnt 0x0
	s_delay_alu instid0(VALU_DEP_2) | instskip(NEXT) | instid1(VALU_DEP_2)
	v_add_f64_e64 v[2:3], v[30:31], -v[2:3]
	v_add_f64_e64 v[4:5], v[32:33], -v[4:5]
	scratch_store_b128 off, v[2:5], off offset:576
	v_cmpx_lt_u32_e32 34, v0
	s_cbranch_execz .LBB126_335
; %bb.334:
	scratch_load_b128 v[5:8], off, s44
	v_dual_mov_b32 v2, v1 :: v_dual_mov_b32 v3, v1
	v_mov_b32_e32 v4, v1
	scratch_store_b128 off, v[1:4], off offset:560
	s_wait_loadcnt 0x0
	ds_store_b128 v168, v[5:8]
.LBB126_335:
	s_wait_alu 0xfffe
	s_or_b32 exec_lo, exec_lo, s0
	s_wait_storecnt_dscnt 0x0
	s_barrier_signal -1
	s_barrier_wait -1
	global_inv scope:SCOPE_SE
	s_clause 0x7
	scratch_load_b128 v[2:5], off, off offset:576
	scratch_load_b128 v[6:9], off, off offset:592
	;; [unrolled: 1-line block ×8, first 2 shown]
	ds_load_b128 v[34:37], v1 offset:1568
	ds_load_b128 v[169:172], v1 offset:1584
	s_clause 0x1
	scratch_load_b128 v[38:41], off, off offset:704
	scratch_load_b128 v[173:176], off, off offset:720
	s_mov_b32 s0, exec_lo
	s_wait_loadcnt_dscnt 0x901
	v_mul_f64_e32 v[177:178], v[36:37], v[4:5]
	v_mul_f64_e32 v[4:5], v[34:35], v[4:5]
	s_wait_loadcnt_dscnt 0x800
	v_mul_f64_e32 v[179:180], v[169:170], v[8:9]
	v_mul_f64_e32 v[8:9], v[171:172], v[8:9]
	s_delay_alu instid0(VALU_DEP_4) | instskip(NEXT) | instid1(VALU_DEP_4)
	v_fma_f64 v[177:178], v[34:35], v[2:3], -v[177:178]
	v_fma_f64 v[181:182], v[36:37], v[2:3], v[4:5]
	scratch_load_b128 v[34:37], off, off offset:736
	ds_load_b128 v[2:5], v1 offset:1600
	v_fma_f64 v[179:180], v[171:172], v[6:7], v[179:180]
	v_fma_f64 v[185:186], v[169:170], v[6:7], -v[8:9]
	ds_load_b128 v[6:9], v1 offset:1616
	scratch_load_b128 v[169:172], off, off offset:752
	s_wait_loadcnt_dscnt 0x901
	v_mul_f64_e32 v[183:184], v[2:3], v[12:13]
	v_mul_f64_e32 v[12:13], v[4:5], v[12:13]
	s_wait_loadcnt_dscnt 0x800
	v_mul_f64_e32 v[187:188], v[6:7], v[16:17]
	v_mul_f64_e32 v[16:17], v[8:9], v[16:17]
	v_add_f64_e32 v[177:178], 0, v[177:178]
	v_add_f64_e32 v[181:182], 0, v[181:182]
	v_fma_f64 v[183:184], v[4:5], v[10:11], v[183:184]
	v_fma_f64 v[189:190], v[2:3], v[10:11], -v[12:13]
	ds_load_b128 v[2:5], v1 offset:1632
	scratch_load_b128 v[10:13], off, off offset:768
	v_add_f64_e32 v[177:178], v[177:178], v[185:186]
	v_add_f64_e32 v[179:180], v[181:182], v[179:180]
	v_fma_f64 v[185:186], v[8:9], v[14:15], v[187:188]
	v_fma_f64 v[187:188], v[6:7], v[14:15], -v[16:17]
	ds_load_b128 v[6:9], v1 offset:1648
	scratch_load_b128 v[14:17], off, off offset:784
	s_wait_loadcnt_dscnt 0x901
	v_mul_f64_e32 v[181:182], v[2:3], v[20:21]
	v_mul_f64_e32 v[20:21], v[4:5], v[20:21]
	v_add_f64_e32 v[177:178], v[177:178], v[189:190]
	v_add_f64_e32 v[179:180], v[179:180], v[183:184]
	s_wait_loadcnt_dscnt 0x800
	v_mul_f64_e32 v[183:184], v[6:7], v[24:25]
	v_mul_f64_e32 v[24:25], v[8:9], v[24:25]
	v_fma_f64 v[181:182], v[4:5], v[18:19], v[181:182]
	v_fma_f64 v[189:190], v[2:3], v[18:19], -v[20:21]
	ds_load_b128 v[2:5], v1 offset:1664
	scratch_load_b128 v[18:21], off, off offset:800
	v_add_f64_e32 v[177:178], v[177:178], v[187:188]
	v_add_f64_e32 v[179:180], v[179:180], v[185:186]
	v_fma_f64 v[183:184], v[8:9], v[22:23], v[183:184]
	v_fma_f64 v[187:188], v[6:7], v[22:23], -v[24:25]
	ds_load_b128 v[6:9], v1 offset:1680
	s_wait_loadcnt_dscnt 0x801
	v_mul_f64_e32 v[185:186], v[2:3], v[28:29]
	v_mul_f64_e32 v[28:29], v[4:5], v[28:29]
	scratch_load_b128 v[22:25], off, off offset:816
	v_add_f64_e32 v[177:178], v[177:178], v[189:190]
	v_add_f64_e32 v[179:180], v[179:180], v[181:182]
	s_wait_loadcnt_dscnt 0x800
	v_mul_f64_e32 v[181:182], v[6:7], v[32:33]
	v_mul_f64_e32 v[32:33], v[8:9], v[32:33]
	v_fma_f64 v[185:186], v[4:5], v[26:27], v[185:186]
	v_fma_f64 v[189:190], v[2:3], v[26:27], -v[28:29]
	ds_load_b128 v[2:5], v1 offset:1696
	scratch_load_b128 v[26:29], off, off offset:832
	v_add_f64_e32 v[177:178], v[177:178], v[187:188]
	v_add_f64_e32 v[179:180], v[179:180], v[183:184]
	v_fma_f64 v[181:182], v[8:9], v[30:31], v[181:182]
	v_fma_f64 v[187:188], v[6:7], v[30:31], -v[32:33]
	ds_load_b128 v[6:9], v1 offset:1712
	s_wait_loadcnt_dscnt 0x801
	v_mul_f64_e32 v[183:184], v[2:3], v[40:41]
	v_mul_f64_e32 v[40:41], v[4:5], v[40:41]
	scratch_load_b128 v[30:33], off, off offset:848
	v_add_f64_e32 v[177:178], v[177:178], v[189:190]
	v_add_f64_e32 v[179:180], v[179:180], v[185:186]
	s_wait_loadcnt_dscnt 0x800
	v_mul_f64_e32 v[185:186], v[6:7], v[175:176]
	v_mul_f64_e32 v[175:176], v[8:9], v[175:176]
	v_fma_f64 v[183:184], v[4:5], v[38:39], v[183:184]
	v_fma_f64 v[189:190], v[2:3], v[38:39], -v[40:41]
	ds_load_b128 v[2:5], v1 offset:1728
	scratch_load_b128 v[38:41], off, off offset:864
	v_add_f64_e32 v[177:178], v[177:178], v[187:188]
	v_add_f64_e32 v[179:180], v[179:180], v[181:182]
	v_fma_f64 v[185:186], v[8:9], v[173:174], v[185:186]
	v_fma_f64 v[187:188], v[6:7], v[173:174], -v[175:176]
	ds_load_b128 v[6:9], v1 offset:1744
	scratch_load_b128 v[173:176], off, off offset:880
	s_wait_loadcnt_dscnt 0x901
	v_mul_f64_e32 v[181:182], v[2:3], v[36:37]
	v_mul_f64_e32 v[36:37], v[4:5], v[36:37]
	v_add_f64_e32 v[177:178], v[177:178], v[189:190]
	v_add_f64_e32 v[179:180], v[179:180], v[183:184]
	s_wait_loadcnt_dscnt 0x800
	v_mul_f64_e32 v[183:184], v[6:7], v[171:172]
	v_mul_f64_e32 v[171:172], v[8:9], v[171:172]
	v_fma_f64 v[181:182], v[4:5], v[34:35], v[181:182]
	v_fma_f64 v[189:190], v[2:3], v[34:35], -v[36:37]
	scratch_load_b128 v[34:37], off, off offset:896
	ds_load_b128 v[2:5], v1 offset:1760
	v_add_f64_e32 v[177:178], v[177:178], v[187:188]
	v_add_f64_e32 v[179:180], v[179:180], v[185:186]
	v_fma_f64 v[183:184], v[8:9], v[169:170], v[183:184]
	v_fma_f64 v[187:188], v[6:7], v[169:170], -v[171:172]
	ds_load_b128 v[6:9], v1 offset:1776
	s_wait_loadcnt_dscnt 0x801
	v_mul_f64_e32 v[185:186], v[2:3], v[12:13]
	v_mul_f64_e32 v[12:13], v[4:5], v[12:13]
	scratch_load_b128 v[169:172], off, off offset:912
	v_add_f64_e32 v[177:178], v[177:178], v[189:190]
	v_add_f64_e32 v[179:180], v[179:180], v[181:182]
	s_wait_loadcnt_dscnt 0x800
	v_mul_f64_e32 v[181:182], v[6:7], v[16:17]
	v_mul_f64_e32 v[16:17], v[8:9], v[16:17]
	v_fma_f64 v[185:186], v[4:5], v[10:11], v[185:186]
	v_fma_f64 v[189:190], v[2:3], v[10:11], -v[12:13]
	ds_load_b128 v[2:5], v1 offset:1792
	scratch_load_b128 v[10:13], off, off offset:928
	v_add_f64_e32 v[177:178], v[177:178], v[187:188]
	v_add_f64_e32 v[179:180], v[179:180], v[183:184]
	v_fma_f64 v[181:182], v[8:9], v[14:15], v[181:182]
	v_fma_f64 v[187:188], v[6:7], v[14:15], -v[16:17]
	ds_load_b128 v[6:9], v1 offset:1808
	s_wait_loadcnt_dscnt 0x801
	v_mul_f64_e32 v[183:184], v[2:3], v[20:21]
	v_mul_f64_e32 v[20:21], v[4:5], v[20:21]
	scratch_load_b128 v[14:17], off, off offset:944
	v_add_f64_e32 v[177:178], v[177:178], v[189:190]
	v_add_f64_e32 v[179:180], v[179:180], v[185:186]
	s_wait_loadcnt_dscnt 0x800
	v_mul_f64_e32 v[185:186], v[6:7], v[24:25]
	v_mul_f64_e32 v[24:25], v[8:9], v[24:25]
	v_fma_f64 v[183:184], v[4:5], v[18:19], v[183:184]
	v_fma_f64 v[189:190], v[2:3], v[18:19], -v[20:21]
	ds_load_b128 v[2:5], v1 offset:1824
	scratch_load_b128 v[18:21], off, off offset:960
	;; [unrolled: 18-line block ×3, first 2 shown]
	v_add_f64_e32 v[177:178], v[177:178], v[187:188]
	v_add_f64_e32 v[179:180], v[179:180], v[185:186]
	v_fma_f64 v[183:184], v[8:9], v[30:31], v[183:184]
	v_fma_f64 v[187:188], v[6:7], v[30:31], -v[32:33]
	ds_load_b128 v[6:9], v1 offset:1872
	s_wait_loadcnt_dscnt 0x801
	v_mul_f64_e32 v[185:186], v[2:3], v[40:41]
	v_mul_f64_e32 v[40:41], v[4:5], v[40:41]
	scratch_load_b128 v[30:33], off, off offset:1008
	v_add_f64_e32 v[177:178], v[177:178], v[189:190]
	v_add_f64_e32 v[179:180], v[179:180], v[181:182]
	v_fma_f64 v[185:186], v[4:5], v[38:39], v[185:186]
	v_fma_f64 v[38:39], v[2:3], v[38:39], -v[40:41]
	ds_load_b128 v[2:5], v1 offset:1888
	v_add_f64_e32 v[40:41], v[177:178], v[187:188]
	v_add_f64_e32 v[177:178], v[179:180], v[183:184]
	s_wait_loadcnt_dscnt 0x700
	v_mul_f64_e32 v[179:180], v[2:3], v[36:37]
	v_mul_f64_e32 v[36:37], v[4:5], v[36:37]
	s_delay_alu instid0(VALU_DEP_4) | instskip(NEXT) | instid1(VALU_DEP_4)
	v_add_f64_e32 v[38:39], v[40:41], v[38:39]
	v_add_f64_e32 v[40:41], v[177:178], v[185:186]
	s_delay_alu instid0(VALU_DEP_4) | instskip(NEXT) | instid1(VALU_DEP_4)
	v_fma_f64 v[177:178], v[4:5], v[34:35], v[179:180]
	v_fma_f64 v[179:180], v[2:3], v[34:35], -v[36:37]
	scratch_load_b128 v[34:37], off, off offset:560
	v_mul_f64_e32 v[181:182], v[6:7], v[175:176]
	v_mul_f64_e32 v[175:176], v[8:9], v[175:176]
	ds_load_b128 v[2:5], v1 offset:1920
	v_fma_f64 v[181:182], v[8:9], v[173:174], v[181:182]
	v_fma_f64 v[173:174], v[6:7], v[173:174], -v[175:176]
	ds_load_b128 v[6:9], v1 offset:1904
	s_wait_loadcnt_dscnt 0x700
	v_mul_f64_e32 v[175:176], v[6:7], v[171:172]
	v_mul_f64_e32 v[171:172], v[8:9], v[171:172]
	v_add_f64_e32 v[40:41], v[40:41], v[181:182]
	v_add_f64_e32 v[38:39], v[38:39], v[173:174]
	s_wait_loadcnt 0x6
	v_mul_f64_e32 v[173:174], v[2:3], v[12:13]
	v_mul_f64_e32 v[12:13], v[4:5], v[12:13]
	v_fma_f64 v[175:176], v[8:9], v[169:170], v[175:176]
	v_fma_f64 v[169:170], v[6:7], v[169:170], -v[171:172]
	ds_load_b128 v[6:9], v1 offset:1936
	v_add_f64_e32 v[40:41], v[40:41], v[177:178]
	v_add_f64_e32 v[38:39], v[38:39], v[179:180]
	v_fma_f64 v[173:174], v[4:5], v[10:11], v[173:174]
	v_fma_f64 v[10:11], v[2:3], v[10:11], -v[12:13]
	ds_load_b128 v[2:5], v1 offset:1952
	s_wait_loadcnt_dscnt 0x501
	v_mul_f64_e32 v[171:172], v[6:7], v[16:17]
	v_mul_f64_e32 v[16:17], v[8:9], v[16:17]
	v_add_f64_e32 v[12:13], v[38:39], v[169:170]
	v_add_f64_e32 v[38:39], v[40:41], v[175:176]
	s_wait_loadcnt_dscnt 0x400
	v_mul_f64_e32 v[40:41], v[2:3], v[20:21]
	v_mul_f64_e32 v[20:21], v[4:5], v[20:21]
	v_fma_f64 v[169:170], v[8:9], v[14:15], v[171:172]
	v_fma_f64 v[14:15], v[6:7], v[14:15], -v[16:17]
	ds_load_b128 v[6:9], v1 offset:1968
	v_add_f64_e32 v[10:11], v[12:13], v[10:11]
	v_add_f64_e32 v[12:13], v[38:39], v[173:174]
	v_fma_f64 v[38:39], v[4:5], v[18:19], v[40:41]
	v_fma_f64 v[18:19], v[2:3], v[18:19], -v[20:21]
	ds_load_b128 v[2:5], v1 offset:1984
	s_wait_loadcnt_dscnt 0x301
	v_mul_f64_e32 v[16:17], v[6:7], v[24:25]
	v_mul_f64_e32 v[24:25], v[8:9], v[24:25]
	s_wait_loadcnt_dscnt 0x200
	v_mul_f64_e32 v[20:21], v[4:5], v[28:29]
	v_add_f64_e32 v[10:11], v[10:11], v[14:15]
	v_add_f64_e32 v[12:13], v[12:13], v[169:170]
	v_mul_f64_e32 v[14:15], v[2:3], v[28:29]
	v_fma_f64 v[16:17], v[8:9], v[22:23], v[16:17]
	v_fma_f64 v[22:23], v[6:7], v[22:23], -v[24:25]
	ds_load_b128 v[6:9], v1 offset:2000
	v_fma_f64 v[1:2], v[2:3], v[26:27], -v[20:21]
	s_wait_loadcnt_dscnt 0x100
	v_mul_f64_e32 v[24:25], v[8:9], v[32:33]
	v_add_f64_e32 v[10:11], v[10:11], v[18:19]
	v_add_f64_e32 v[12:13], v[12:13], v[38:39]
	v_mul_f64_e32 v[18:19], v[6:7], v[32:33]
	v_fma_f64 v[4:5], v[4:5], v[26:27], v[14:15]
	v_fma_f64 v[6:7], v[6:7], v[30:31], -v[24:25]
	v_add_f64_e32 v[10:11], v[10:11], v[22:23]
	v_add_f64_e32 v[12:13], v[12:13], v[16:17]
	v_fma_f64 v[8:9], v[8:9], v[30:31], v[18:19]
	s_delay_alu instid0(VALU_DEP_3) | instskip(NEXT) | instid1(VALU_DEP_3)
	v_add_f64_e32 v[1:2], v[10:11], v[1:2]
	v_add_f64_e32 v[3:4], v[12:13], v[4:5]
	s_delay_alu instid0(VALU_DEP_2) | instskip(NEXT) | instid1(VALU_DEP_2)
	v_add_f64_e32 v[1:2], v[1:2], v[6:7]
	v_add_f64_e32 v[3:4], v[3:4], v[8:9]
	s_wait_loadcnt 0x0
	s_delay_alu instid0(VALU_DEP_2) | instskip(NEXT) | instid1(VALU_DEP_2)
	v_add_f64_e64 v[1:2], v[34:35], -v[1:2]
	v_add_f64_e64 v[3:4], v[36:37], -v[3:4]
	scratch_store_b128 off, v[1:4], off offset:560
	v_cmpx_lt_u32_e32 33, v0
	s_cbranch_execz .LBB126_337
; %bb.336:
	scratch_load_b128 v[1:4], off, s45
	v_mov_b32_e32 v5, 0
	s_delay_alu instid0(VALU_DEP_1)
	v_dual_mov_b32 v6, v5 :: v_dual_mov_b32 v7, v5
	v_mov_b32_e32 v8, v5
	scratch_store_b128 off, v[5:8], off offset:544
	s_wait_loadcnt 0x0
	ds_store_b128 v168, v[1:4]
.LBB126_337:
	s_wait_alu 0xfffe
	s_or_b32 exec_lo, exec_lo, s0
	s_wait_storecnt_dscnt 0x0
	s_barrier_signal -1
	s_barrier_wait -1
	global_inv scope:SCOPE_SE
	s_clause 0x7
	scratch_load_b128 v[2:5], off, off offset:560
	scratch_load_b128 v[6:9], off, off offset:576
	;; [unrolled: 1-line block ×8, first 2 shown]
	v_mov_b32_e32 v1, 0
	s_clause 0x1
	scratch_load_b128 v[38:41], off, off offset:688
	scratch_load_b128 v[173:176], off, off offset:704
	s_mov_b32 s0, exec_lo
	ds_load_b128 v[34:37], v1 offset:1552
	ds_load_b128 v[169:172], v1 offset:1568
	s_wait_loadcnt_dscnt 0x901
	v_mul_f64_e32 v[177:178], v[36:37], v[4:5]
	v_mul_f64_e32 v[4:5], v[34:35], v[4:5]
	s_wait_loadcnt_dscnt 0x800
	v_mul_f64_e32 v[179:180], v[169:170], v[8:9]
	v_mul_f64_e32 v[8:9], v[171:172], v[8:9]
	s_delay_alu instid0(VALU_DEP_4) | instskip(NEXT) | instid1(VALU_DEP_4)
	v_fma_f64 v[177:178], v[34:35], v[2:3], -v[177:178]
	v_fma_f64 v[181:182], v[36:37], v[2:3], v[4:5]
	ds_load_b128 v[2:5], v1 offset:1584
	scratch_load_b128 v[34:37], off, off offset:720
	v_fma_f64 v[179:180], v[171:172], v[6:7], v[179:180]
	v_fma_f64 v[185:186], v[169:170], v[6:7], -v[8:9]
	ds_load_b128 v[6:9], v1 offset:1600
	scratch_load_b128 v[169:172], off, off offset:736
	s_wait_loadcnt_dscnt 0x901
	v_mul_f64_e32 v[183:184], v[2:3], v[12:13]
	v_mul_f64_e32 v[12:13], v[4:5], v[12:13]
	s_wait_loadcnt_dscnt 0x800
	v_mul_f64_e32 v[187:188], v[6:7], v[16:17]
	v_mul_f64_e32 v[16:17], v[8:9], v[16:17]
	v_add_f64_e32 v[177:178], 0, v[177:178]
	v_add_f64_e32 v[181:182], 0, v[181:182]
	v_fma_f64 v[183:184], v[4:5], v[10:11], v[183:184]
	v_fma_f64 v[189:190], v[2:3], v[10:11], -v[12:13]
	ds_load_b128 v[2:5], v1 offset:1616
	scratch_load_b128 v[10:13], off, off offset:752
	v_add_f64_e32 v[177:178], v[177:178], v[185:186]
	v_add_f64_e32 v[179:180], v[181:182], v[179:180]
	v_fma_f64 v[185:186], v[8:9], v[14:15], v[187:188]
	v_fma_f64 v[187:188], v[6:7], v[14:15], -v[16:17]
	ds_load_b128 v[6:9], v1 offset:1632
	scratch_load_b128 v[14:17], off, off offset:768
	s_wait_loadcnt_dscnt 0x901
	v_mul_f64_e32 v[181:182], v[2:3], v[20:21]
	v_mul_f64_e32 v[20:21], v[4:5], v[20:21]
	v_add_f64_e32 v[177:178], v[177:178], v[189:190]
	v_add_f64_e32 v[179:180], v[179:180], v[183:184]
	s_wait_loadcnt_dscnt 0x800
	v_mul_f64_e32 v[183:184], v[6:7], v[24:25]
	v_mul_f64_e32 v[24:25], v[8:9], v[24:25]
	v_fma_f64 v[181:182], v[4:5], v[18:19], v[181:182]
	v_fma_f64 v[189:190], v[2:3], v[18:19], -v[20:21]
	ds_load_b128 v[2:5], v1 offset:1648
	scratch_load_b128 v[18:21], off, off offset:784
	v_add_f64_e32 v[177:178], v[177:178], v[187:188]
	v_add_f64_e32 v[179:180], v[179:180], v[185:186]
	v_fma_f64 v[183:184], v[8:9], v[22:23], v[183:184]
	v_fma_f64 v[187:188], v[6:7], v[22:23], -v[24:25]
	ds_load_b128 v[6:9], v1 offset:1664
	s_wait_loadcnt_dscnt 0x801
	v_mul_f64_e32 v[185:186], v[2:3], v[28:29]
	v_mul_f64_e32 v[28:29], v[4:5], v[28:29]
	scratch_load_b128 v[22:25], off, off offset:800
	v_add_f64_e32 v[177:178], v[177:178], v[189:190]
	v_add_f64_e32 v[179:180], v[179:180], v[181:182]
	s_wait_loadcnt_dscnt 0x800
	v_mul_f64_e32 v[181:182], v[6:7], v[32:33]
	v_mul_f64_e32 v[32:33], v[8:9], v[32:33]
	v_fma_f64 v[185:186], v[4:5], v[26:27], v[185:186]
	v_fma_f64 v[189:190], v[2:3], v[26:27], -v[28:29]
	ds_load_b128 v[2:5], v1 offset:1680
	scratch_load_b128 v[26:29], off, off offset:816
	v_add_f64_e32 v[177:178], v[177:178], v[187:188]
	v_add_f64_e32 v[179:180], v[179:180], v[183:184]
	v_fma_f64 v[181:182], v[8:9], v[30:31], v[181:182]
	v_fma_f64 v[187:188], v[6:7], v[30:31], -v[32:33]
	ds_load_b128 v[6:9], v1 offset:1696
	s_wait_loadcnt_dscnt 0x801
	v_mul_f64_e32 v[183:184], v[2:3], v[40:41]
	v_mul_f64_e32 v[40:41], v[4:5], v[40:41]
	scratch_load_b128 v[30:33], off, off offset:832
	v_add_f64_e32 v[177:178], v[177:178], v[189:190]
	v_add_f64_e32 v[179:180], v[179:180], v[185:186]
	s_wait_loadcnt_dscnt 0x800
	v_mul_f64_e32 v[185:186], v[6:7], v[175:176]
	v_mul_f64_e32 v[175:176], v[8:9], v[175:176]
	v_fma_f64 v[183:184], v[4:5], v[38:39], v[183:184]
	v_fma_f64 v[189:190], v[2:3], v[38:39], -v[40:41]
	ds_load_b128 v[2:5], v1 offset:1712
	scratch_load_b128 v[38:41], off, off offset:848
	v_add_f64_e32 v[177:178], v[177:178], v[187:188]
	v_add_f64_e32 v[179:180], v[179:180], v[181:182]
	v_fma_f64 v[185:186], v[8:9], v[173:174], v[185:186]
	v_fma_f64 v[187:188], v[6:7], v[173:174], -v[175:176]
	ds_load_b128 v[6:9], v1 offset:1728
	scratch_load_b128 v[173:176], off, off offset:864
	s_wait_loadcnt_dscnt 0x901
	v_mul_f64_e32 v[181:182], v[2:3], v[36:37]
	v_mul_f64_e32 v[36:37], v[4:5], v[36:37]
	v_add_f64_e32 v[177:178], v[177:178], v[189:190]
	v_add_f64_e32 v[179:180], v[179:180], v[183:184]
	s_wait_loadcnt_dscnt 0x800
	v_mul_f64_e32 v[183:184], v[6:7], v[171:172]
	v_mul_f64_e32 v[171:172], v[8:9], v[171:172]
	v_fma_f64 v[181:182], v[4:5], v[34:35], v[181:182]
	v_fma_f64 v[189:190], v[2:3], v[34:35], -v[36:37]
	ds_load_b128 v[2:5], v1 offset:1744
	scratch_load_b128 v[34:37], off, off offset:880
	v_add_f64_e32 v[177:178], v[177:178], v[187:188]
	v_add_f64_e32 v[179:180], v[179:180], v[185:186]
	v_fma_f64 v[183:184], v[8:9], v[169:170], v[183:184]
	v_fma_f64 v[187:188], v[6:7], v[169:170], -v[171:172]
	ds_load_b128 v[6:9], v1 offset:1760
	s_wait_loadcnt_dscnt 0x801
	v_mul_f64_e32 v[185:186], v[2:3], v[12:13]
	v_mul_f64_e32 v[12:13], v[4:5], v[12:13]
	scratch_load_b128 v[169:172], off, off offset:896
	v_add_f64_e32 v[177:178], v[177:178], v[189:190]
	v_add_f64_e32 v[179:180], v[179:180], v[181:182]
	s_wait_loadcnt_dscnt 0x800
	v_mul_f64_e32 v[181:182], v[6:7], v[16:17]
	v_mul_f64_e32 v[16:17], v[8:9], v[16:17]
	v_fma_f64 v[185:186], v[4:5], v[10:11], v[185:186]
	v_fma_f64 v[189:190], v[2:3], v[10:11], -v[12:13]
	ds_load_b128 v[2:5], v1 offset:1776
	scratch_load_b128 v[10:13], off, off offset:912
	v_add_f64_e32 v[177:178], v[177:178], v[187:188]
	v_add_f64_e32 v[179:180], v[179:180], v[183:184]
	v_fma_f64 v[181:182], v[8:9], v[14:15], v[181:182]
	v_fma_f64 v[187:188], v[6:7], v[14:15], -v[16:17]
	ds_load_b128 v[6:9], v1 offset:1792
	s_wait_loadcnt_dscnt 0x801
	v_mul_f64_e32 v[183:184], v[2:3], v[20:21]
	v_mul_f64_e32 v[20:21], v[4:5], v[20:21]
	scratch_load_b128 v[14:17], off, off offset:928
	;; [unrolled: 18-line block ×4, first 2 shown]
	v_add_f64_e32 v[177:178], v[177:178], v[189:190]
	v_add_f64_e32 v[179:180], v[179:180], v[181:182]
	s_wait_loadcnt_dscnt 0x800
	v_mul_f64_e32 v[181:182], v[6:7], v[175:176]
	v_mul_f64_e32 v[175:176], v[8:9], v[175:176]
	v_fma_f64 v[185:186], v[4:5], v[38:39], v[185:186]
	v_fma_f64 v[189:190], v[2:3], v[38:39], -v[40:41]
	ds_load_b128 v[2:5], v1 offset:1872
	scratch_load_b128 v[38:41], off, off offset:1008
	v_add_f64_e32 v[177:178], v[177:178], v[187:188]
	v_add_f64_e32 v[179:180], v[179:180], v[183:184]
	v_fma_f64 v[181:182], v[8:9], v[173:174], v[181:182]
	v_fma_f64 v[173:174], v[6:7], v[173:174], -v[175:176]
	ds_load_b128 v[6:9], v1 offset:1888
	s_wait_loadcnt_dscnt 0x801
	v_mul_f64_e32 v[183:184], v[2:3], v[36:37]
	v_mul_f64_e32 v[36:37], v[4:5], v[36:37]
	v_add_f64_e32 v[175:176], v[177:178], v[189:190]
	v_add_f64_e32 v[177:178], v[179:180], v[185:186]
	s_wait_loadcnt_dscnt 0x700
	v_mul_f64_e32 v[179:180], v[6:7], v[171:172]
	v_mul_f64_e32 v[171:172], v[8:9], v[171:172]
	v_fma_f64 v[183:184], v[4:5], v[34:35], v[183:184]
	v_fma_f64 v[34:35], v[2:3], v[34:35], -v[36:37]
	ds_load_b128 v[2:5], v1 offset:1904
	v_add_f64_e32 v[36:37], v[175:176], v[173:174]
	v_add_f64_e32 v[173:174], v[177:178], v[181:182]
	v_fma_f64 v[177:178], v[8:9], v[169:170], v[179:180]
	v_fma_f64 v[169:170], v[6:7], v[169:170], -v[171:172]
	ds_load_b128 v[6:9], v1 offset:1920
	s_wait_loadcnt_dscnt 0x500
	v_mul_f64_e32 v[179:180], v[6:7], v[16:17]
	v_mul_f64_e32 v[16:17], v[8:9], v[16:17]
	v_add_f64_e32 v[171:172], v[36:37], v[34:35]
	v_add_f64_e32 v[173:174], v[173:174], v[183:184]
	scratch_load_b128 v[34:37], off, off offset:544
	v_mul_f64_e32 v[175:176], v[2:3], v[12:13]
	v_mul_f64_e32 v[12:13], v[4:5], v[12:13]
	s_delay_alu instid0(VALU_DEP_2) | instskip(NEXT) | instid1(VALU_DEP_2)
	v_fma_f64 v[175:176], v[4:5], v[10:11], v[175:176]
	v_fma_f64 v[10:11], v[2:3], v[10:11], -v[12:13]
	v_add_f64_e32 v[12:13], v[171:172], v[169:170]
	v_add_f64_e32 v[169:170], v[173:174], v[177:178]
	ds_load_b128 v[2:5], v1 offset:1936
	v_fma_f64 v[173:174], v[8:9], v[14:15], v[179:180]
	v_fma_f64 v[14:15], v[6:7], v[14:15], -v[16:17]
	ds_load_b128 v[6:9], v1 offset:1952
	s_wait_loadcnt_dscnt 0x501
	v_mul_f64_e32 v[171:172], v[2:3], v[20:21]
	v_mul_f64_e32 v[20:21], v[4:5], v[20:21]
	s_wait_loadcnt_dscnt 0x400
	v_mul_f64_e32 v[16:17], v[6:7], v[24:25]
	v_mul_f64_e32 v[24:25], v[8:9], v[24:25]
	v_add_f64_e32 v[10:11], v[12:13], v[10:11]
	v_add_f64_e32 v[12:13], v[169:170], v[175:176]
	v_fma_f64 v[169:170], v[4:5], v[18:19], v[171:172]
	v_fma_f64 v[18:19], v[2:3], v[18:19], -v[20:21]
	ds_load_b128 v[2:5], v1 offset:1968
	v_fma_f64 v[16:17], v[8:9], v[22:23], v[16:17]
	v_fma_f64 v[22:23], v[6:7], v[22:23], -v[24:25]
	ds_load_b128 v[6:9], v1 offset:1984
	v_add_f64_e32 v[10:11], v[10:11], v[14:15]
	v_add_f64_e32 v[12:13], v[12:13], v[173:174]
	s_wait_loadcnt_dscnt 0x301
	v_mul_f64_e32 v[14:15], v[2:3], v[28:29]
	v_mul_f64_e32 v[20:21], v[4:5], v[28:29]
	s_wait_loadcnt_dscnt 0x200
	v_mul_f64_e32 v[24:25], v[8:9], v[32:33]
	v_add_f64_e32 v[10:11], v[10:11], v[18:19]
	v_add_f64_e32 v[12:13], v[12:13], v[169:170]
	v_mul_f64_e32 v[18:19], v[6:7], v[32:33]
	v_fma_f64 v[14:15], v[4:5], v[26:27], v[14:15]
	v_fma_f64 v[20:21], v[2:3], v[26:27], -v[20:21]
	ds_load_b128 v[2:5], v1 offset:2000
	v_fma_f64 v[6:7], v[6:7], v[30:31], -v[24:25]
	v_add_f64_e32 v[10:11], v[10:11], v[22:23]
	v_add_f64_e32 v[12:13], v[12:13], v[16:17]
	s_wait_loadcnt_dscnt 0x100
	v_mul_f64_e32 v[16:17], v[2:3], v[40:41]
	v_mul_f64_e32 v[22:23], v[4:5], v[40:41]
	v_fma_f64 v[8:9], v[8:9], v[30:31], v[18:19]
	v_add_f64_e32 v[10:11], v[10:11], v[20:21]
	v_add_f64_e32 v[12:13], v[12:13], v[14:15]
	v_fma_f64 v[4:5], v[4:5], v[38:39], v[16:17]
	v_fma_f64 v[2:3], v[2:3], v[38:39], -v[22:23]
	s_delay_alu instid0(VALU_DEP_4) | instskip(NEXT) | instid1(VALU_DEP_4)
	v_add_f64_e32 v[6:7], v[10:11], v[6:7]
	v_add_f64_e32 v[8:9], v[12:13], v[8:9]
	s_delay_alu instid0(VALU_DEP_2) | instskip(NEXT) | instid1(VALU_DEP_2)
	v_add_f64_e32 v[2:3], v[6:7], v[2:3]
	v_add_f64_e32 v[4:5], v[8:9], v[4:5]
	s_wait_loadcnt 0x0
	s_delay_alu instid0(VALU_DEP_2) | instskip(NEXT) | instid1(VALU_DEP_2)
	v_add_f64_e64 v[2:3], v[34:35], -v[2:3]
	v_add_f64_e64 v[4:5], v[36:37], -v[4:5]
	scratch_store_b128 off, v[2:5], off offset:544
	v_cmpx_lt_u32_e32 32, v0
	s_cbranch_execz .LBB126_339
; %bb.338:
	scratch_load_b128 v[5:8], off, s46
	v_dual_mov_b32 v2, v1 :: v_dual_mov_b32 v3, v1
	v_mov_b32_e32 v4, v1
	scratch_store_b128 off, v[1:4], off offset:528
	s_wait_loadcnt 0x0
	ds_store_b128 v168, v[5:8]
.LBB126_339:
	s_wait_alu 0xfffe
	s_or_b32 exec_lo, exec_lo, s0
	s_wait_storecnt_dscnt 0x0
	s_barrier_signal -1
	s_barrier_wait -1
	global_inv scope:SCOPE_SE
	s_clause 0x7
	scratch_load_b128 v[2:5], off, off offset:544
	scratch_load_b128 v[6:9], off, off offset:560
	;; [unrolled: 1-line block ×8, first 2 shown]
	ds_load_b128 v[34:37], v1 offset:1536
	ds_load_b128 v[169:172], v1 offset:1552
	s_clause 0x1
	scratch_load_b128 v[38:41], off, off offset:672
	scratch_load_b128 v[173:176], off, off offset:688
	s_mov_b32 s0, exec_lo
	s_wait_loadcnt_dscnt 0x901
	v_mul_f64_e32 v[177:178], v[36:37], v[4:5]
	v_mul_f64_e32 v[4:5], v[34:35], v[4:5]
	s_wait_loadcnt_dscnt 0x800
	v_mul_f64_e32 v[179:180], v[169:170], v[8:9]
	v_mul_f64_e32 v[8:9], v[171:172], v[8:9]
	s_delay_alu instid0(VALU_DEP_4) | instskip(NEXT) | instid1(VALU_DEP_4)
	v_fma_f64 v[177:178], v[34:35], v[2:3], -v[177:178]
	v_fma_f64 v[181:182], v[36:37], v[2:3], v[4:5]
	ds_load_b128 v[2:5], v1 offset:1568
	scratch_load_b128 v[34:37], off, off offset:704
	v_fma_f64 v[179:180], v[171:172], v[6:7], v[179:180]
	v_fma_f64 v[185:186], v[169:170], v[6:7], -v[8:9]
	ds_load_b128 v[6:9], v1 offset:1584
	scratch_load_b128 v[169:172], off, off offset:720
	s_wait_loadcnt_dscnt 0x901
	v_mul_f64_e32 v[183:184], v[2:3], v[12:13]
	v_mul_f64_e32 v[12:13], v[4:5], v[12:13]
	s_wait_loadcnt_dscnt 0x800
	v_mul_f64_e32 v[187:188], v[6:7], v[16:17]
	v_mul_f64_e32 v[16:17], v[8:9], v[16:17]
	v_add_f64_e32 v[177:178], 0, v[177:178]
	v_add_f64_e32 v[181:182], 0, v[181:182]
	v_fma_f64 v[183:184], v[4:5], v[10:11], v[183:184]
	v_fma_f64 v[189:190], v[2:3], v[10:11], -v[12:13]
	scratch_load_b128 v[10:13], off, off offset:736
	ds_load_b128 v[2:5], v1 offset:1600
	v_add_f64_e32 v[177:178], v[177:178], v[185:186]
	v_add_f64_e32 v[179:180], v[181:182], v[179:180]
	v_fma_f64 v[185:186], v[8:9], v[14:15], v[187:188]
	v_fma_f64 v[187:188], v[6:7], v[14:15], -v[16:17]
	ds_load_b128 v[6:9], v1 offset:1616
	scratch_load_b128 v[14:17], off, off offset:752
	s_wait_loadcnt_dscnt 0x901
	v_mul_f64_e32 v[181:182], v[2:3], v[20:21]
	v_mul_f64_e32 v[20:21], v[4:5], v[20:21]
	v_add_f64_e32 v[177:178], v[177:178], v[189:190]
	v_add_f64_e32 v[179:180], v[179:180], v[183:184]
	s_wait_loadcnt_dscnt 0x800
	v_mul_f64_e32 v[183:184], v[6:7], v[24:25]
	v_mul_f64_e32 v[24:25], v[8:9], v[24:25]
	v_fma_f64 v[181:182], v[4:5], v[18:19], v[181:182]
	v_fma_f64 v[189:190], v[2:3], v[18:19], -v[20:21]
	ds_load_b128 v[2:5], v1 offset:1632
	scratch_load_b128 v[18:21], off, off offset:768
	v_add_f64_e32 v[177:178], v[177:178], v[187:188]
	v_add_f64_e32 v[179:180], v[179:180], v[185:186]
	v_fma_f64 v[183:184], v[8:9], v[22:23], v[183:184]
	v_fma_f64 v[187:188], v[6:7], v[22:23], -v[24:25]
	ds_load_b128 v[6:9], v1 offset:1648
	s_wait_loadcnt_dscnt 0x801
	v_mul_f64_e32 v[185:186], v[2:3], v[28:29]
	v_mul_f64_e32 v[28:29], v[4:5], v[28:29]
	scratch_load_b128 v[22:25], off, off offset:784
	v_add_f64_e32 v[177:178], v[177:178], v[189:190]
	v_add_f64_e32 v[179:180], v[179:180], v[181:182]
	s_wait_loadcnt_dscnt 0x800
	v_mul_f64_e32 v[181:182], v[6:7], v[32:33]
	v_mul_f64_e32 v[32:33], v[8:9], v[32:33]
	v_fma_f64 v[185:186], v[4:5], v[26:27], v[185:186]
	v_fma_f64 v[189:190], v[2:3], v[26:27], -v[28:29]
	ds_load_b128 v[2:5], v1 offset:1664
	scratch_load_b128 v[26:29], off, off offset:800
	v_add_f64_e32 v[177:178], v[177:178], v[187:188]
	v_add_f64_e32 v[179:180], v[179:180], v[183:184]
	v_fma_f64 v[181:182], v[8:9], v[30:31], v[181:182]
	v_fma_f64 v[187:188], v[6:7], v[30:31], -v[32:33]
	ds_load_b128 v[6:9], v1 offset:1680
	s_wait_loadcnt_dscnt 0x801
	v_mul_f64_e32 v[183:184], v[2:3], v[40:41]
	v_mul_f64_e32 v[40:41], v[4:5], v[40:41]
	scratch_load_b128 v[30:33], off, off offset:816
	v_add_f64_e32 v[177:178], v[177:178], v[189:190]
	v_add_f64_e32 v[179:180], v[179:180], v[185:186]
	s_wait_loadcnt_dscnt 0x800
	v_mul_f64_e32 v[185:186], v[6:7], v[175:176]
	v_mul_f64_e32 v[175:176], v[8:9], v[175:176]
	v_fma_f64 v[183:184], v[4:5], v[38:39], v[183:184]
	v_fma_f64 v[189:190], v[2:3], v[38:39], -v[40:41]
	ds_load_b128 v[2:5], v1 offset:1696
	scratch_load_b128 v[38:41], off, off offset:832
	v_add_f64_e32 v[177:178], v[177:178], v[187:188]
	v_add_f64_e32 v[179:180], v[179:180], v[181:182]
	v_fma_f64 v[185:186], v[8:9], v[173:174], v[185:186]
	v_fma_f64 v[187:188], v[6:7], v[173:174], -v[175:176]
	ds_load_b128 v[6:9], v1 offset:1712
	scratch_load_b128 v[173:176], off, off offset:848
	s_wait_loadcnt_dscnt 0x901
	v_mul_f64_e32 v[181:182], v[2:3], v[36:37]
	v_mul_f64_e32 v[36:37], v[4:5], v[36:37]
	v_add_f64_e32 v[177:178], v[177:178], v[189:190]
	v_add_f64_e32 v[179:180], v[179:180], v[183:184]
	s_wait_loadcnt_dscnt 0x800
	v_mul_f64_e32 v[183:184], v[6:7], v[171:172]
	v_mul_f64_e32 v[171:172], v[8:9], v[171:172]
	v_fma_f64 v[181:182], v[4:5], v[34:35], v[181:182]
	v_fma_f64 v[189:190], v[2:3], v[34:35], -v[36:37]
	ds_load_b128 v[2:5], v1 offset:1728
	scratch_load_b128 v[34:37], off, off offset:864
	v_add_f64_e32 v[177:178], v[177:178], v[187:188]
	v_add_f64_e32 v[179:180], v[179:180], v[185:186]
	v_fma_f64 v[183:184], v[8:9], v[169:170], v[183:184]
	v_fma_f64 v[187:188], v[6:7], v[169:170], -v[171:172]
	ds_load_b128 v[6:9], v1 offset:1744
	s_wait_loadcnt_dscnt 0x801
	v_mul_f64_e32 v[185:186], v[2:3], v[12:13]
	v_mul_f64_e32 v[12:13], v[4:5], v[12:13]
	scratch_load_b128 v[169:172], off, off offset:880
	v_add_f64_e32 v[177:178], v[177:178], v[189:190]
	v_add_f64_e32 v[179:180], v[179:180], v[181:182]
	s_wait_loadcnt_dscnt 0x800
	v_mul_f64_e32 v[181:182], v[6:7], v[16:17]
	v_mul_f64_e32 v[16:17], v[8:9], v[16:17]
	v_fma_f64 v[185:186], v[4:5], v[10:11], v[185:186]
	v_fma_f64 v[189:190], v[2:3], v[10:11], -v[12:13]
	scratch_load_b128 v[10:13], off, off offset:896
	ds_load_b128 v[2:5], v1 offset:1760
	v_add_f64_e32 v[177:178], v[177:178], v[187:188]
	v_add_f64_e32 v[179:180], v[179:180], v[183:184]
	v_fma_f64 v[181:182], v[8:9], v[14:15], v[181:182]
	v_fma_f64 v[187:188], v[6:7], v[14:15], -v[16:17]
	ds_load_b128 v[6:9], v1 offset:1776
	s_wait_loadcnt_dscnt 0x801
	v_mul_f64_e32 v[183:184], v[2:3], v[20:21]
	v_mul_f64_e32 v[20:21], v[4:5], v[20:21]
	scratch_load_b128 v[14:17], off, off offset:912
	v_add_f64_e32 v[177:178], v[177:178], v[189:190]
	v_add_f64_e32 v[179:180], v[179:180], v[185:186]
	s_wait_loadcnt_dscnt 0x800
	v_mul_f64_e32 v[185:186], v[6:7], v[24:25]
	v_mul_f64_e32 v[24:25], v[8:9], v[24:25]
	v_fma_f64 v[183:184], v[4:5], v[18:19], v[183:184]
	v_fma_f64 v[189:190], v[2:3], v[18:19], -v[20:21]
	ds_load_b128 v[2:5], v1 offset:1792
	scratch_load_b128 v[18:21], off, off offset:928
	v_add_f64_e32 v[177:178], v[177:178], v[187:188]
	v_add_f64_e32 v[179:180], v[179:180], v[181:182]
	v_fma_f64 v[185:186], v[8:9], v[22:23], v[185:186]
	v_fma_f64 v[187:188], v[6:7], v[22:23], -v[24:25]
	ds_load_b128 v[6:9], v1 offset:1808
	s_wait_loadcnt_dscnt 0x801
	v_mul_f64_e32 v[181:182], v[2:3], v[28:29]
	v_mul_f64_e32 v[28:29], v[4:5], v[28:29]
	scratch_load_b128 v[22:25], off, off offset:944
	v_add_f64_e32 v[177:178], v[177:178], v[189:190]
	v_add_f64_e32 v[179:180], v[179:180], v[183:184]
	s_wait_loadcnt_dscnt 0x800
	v_mul_f64_e32 v[183:184], v[6:7], v[32:33]
	v_mul_f64_e32 v[32:33], v[8:9], v[32:33]
	v_fma_f64 v[181:182], v[4:5], v[26:27], v[181:182]
	v_fma_f64 v[189:190], v[2:3], v[26:27], -v[28:29]
	ds_load_b128 v[2:5], v1 offset:1824
	scratch_load_b128 v[26:29], off, off offset:960
	;; [unrolled: 18-line block ×3, first 2 shown]
	v_add_f64_e32 v[177:178], v[177:178], v[187:188]
	v_add_f64_e32 v[179:180], v[179:180], v[183:184]
	v_fma_f64 v[181:182], v[8:9], v[173:174], v[181:182]
	v_fma_f64 v[187:188], v[6:7], v[173:174], -v[175:176]
	ds_load_b128 v[6:9], v1 offset:1872
	s_wait_loadcnt_dscnt 0x801
	v_mul_f64_e32 v[183:184], v[2:3], v[36:37]
	v_mul_f64_e32 v[36:37], v[4:5], v[36:37]
	scratch_load_b128 v[173:176], off, off offset:1008
	v_add_f64_e32 v[177:178], v[177:178], v[189:190]
	v_add_f64_e32 v[179:180], v[179:180], v[185:186]
	v_fma_f64 v[183:184], v[4:5], v[34:35], v[183:184]
	v_fma_f64 v[34:35], v[2:3], v[34:35], -v[36:37]
	ds_load_b128 v[2:5], v1 offset:1888
	v_add_f64_e32 v[36:37], v[177:178], v[187:188]
	v_add_f64_e32 v[177:178], v[179:180], v[181:182]
	s_wait_loadcnt_dscnt 0x700
	v_mul_f64_e32 v[179:180], v[2:3], v[12:13]
	v_mul_f64_e32 v[12:13], v[4:5], v[12:13]
	s_delay_alu instid0(VALU_DEP_4) | instskip(NEXT) | instid1(VALU_DEP_4)
	v_add_f64_e32 v[34:35], v[36:37], v[34:35]
	v_add_f64_e32 v[36:37], v[177:178], v[183:184]
	s_delay_alu instid0(VALU_DEP_4) | instskip(NEXT) | instid1(VALU_DEP_4)
	v_fma_f64 v[177:178], v[4:5], v[10:11], v[179:180]
	v_fma_f64 v[179:180], v[2:3], v[10:11], -v[12:13]
	scratch_load_b128 v[10:13], off, off offset:528
	v_mul_f64_e32 v[185:186], v[6:7], v[171:172]
	v_mul_f64_e32 v[171:172], v[8:9], v[171:172]
	ds_load_b128 v[2:5], v1 offset:1920
	v_fma_f64 v[181:182], v[8:9], v[169:170], v[185:186]
	v_fma_f64 v[169:170], v[6:7], v[169:170], -v[171:172]
	ds_load_b128 v[6:9], v1 offset:1904
	s_wait_loadcnt_dscnt 0x700
	v_mul_f64_e32 v[171:172], v[6:7], v[16:17]
	v_mul_f64_e32 v[16:17], v[8:9], v[16:17]
	v_add_f64_e32 v[36:37], v[36:37], v[181:182]
	v_add_f64_e32 v[34:35], v[34:35], v[169:170]
	s_wait_loadcnt 0x6
	v_mul_f64_e32 v[169:170], v[2:3], v[20:21]
	v_mul_f64_e32 v[20:21], v[4:5], v[20:21]
	v_fma_f64 v[171:172], v[8:9], v[14:15], v[171:172]
	v_fma_f64 v[14:15], v[6:7], v[14:15], -v[16:17]
	ds_load_b128 v[6:9], v1 offset:1936
	v_add_f64_e32 v[16:17], v[34:35], v[179:180]
	v_add_f64_e32 v[34:35], v[36:37], v[177:178]
	v_fma_f64 v[169:170], v[4:5], v[18:19], v[169:170]
	v_fma_f64 v[18:19], v[2:3], v[18:19], -v[20:21]
	ds_load_b128 v[2:5], v1 offset:1952
	s_wait_loadcnt_dscnt 0x501
	v_mul_f64_e32 v[36:37], v[6:7], v[24:25]
	v_mul_f64_e32 v[24:25], v[8:9], v[24:25]
	s_wait_loadcnt_dscnt 0x400
	v_mul_f64_e32 v[20:21], v[2:3], v[28:29]
	v_mul_f64_e32 v[28:29], v[4:5], v[28:29]
	v_add_f64_e32 v[14:15], v[16:17], v[14:15]
	v_add_f64_e32 v[16:17], v[34:35], v[171:172]
	v_fma_f64 v[34:35], v[8:9], v[22:23], v[36:37]
	v_fma_f64 v[22:23], v[6:7], v[22:23], -v[24:25]
	ds_load_b128 v[6:9], v1 offset:1968
	v_fma_f64 v[20:21], v[4:5], v[26:27], v[20:21]
	v_fma_f64 v[26:27], v[2:3], v[26:27], -v[28:29]
	ds_load_b128 v[2:5], v1 offset:1984
	s_wait_loadcnt_dscnt 0x301
	v_mul_f64_e32 v[24:25], v[8:9], v[32:33]
	v_add_f64_e32 v[14:15], v[14:15], v[18:19]
	v_add_f64_e32 v[16:17], v[16:17], v[169:170]
	v_mul_f64_e32 v[18:19], v[6:7], v[32:33]
	s_wait_loadcnt_dscnt 0x200
	v_mul_f64_e32 v[28:29], v[4:5], v[40:41]
	v_fma_f64 v[24:25], v[6:7], v[30:31], -v[24:25]
	v_add_f64_e32 v[14:15], v[14:15], v[22:23]
	v_add_f64_e32 v[16:17], v[16:17], v[34:35]
	v_mul_f64_e32 v[22:23], v[2:3], v[40:41]
	v_fma_f64 v[18:19], v[8:9], v[30:31], v[18:19]
	ds_load_b128 v[6:9], v1 offset:2000
	v_fma_f64 v[1:2], v[2:3], v[38:39], -v[28:29]
	v_add_f64_e32 v[14:15], v[14:15], v[26:27]
	v_add_f64_e32 v[16:17], v[16:17], v[20:21]
	s_wait_loadcnt_dscnt 0x100
	v_mul_f64_e32 v[20:21], v[6:7], v[175:176]
	v_mul_f64_e32 v[26:27], v[8:9], v[175:176]
	v_fma_f64 v[4:5], v[4:5], v[38:39], v[22:23]
	v_add_f64_e32 v[14:15], v[14:15], v[24:25]
	v_add_f64_e32 v[16:17], v[16:17], v[18:19]
	v_fma_f64 v[8:9], v[8:9], v[173:174], v[20:21]
	v_fma_f64 v[6:7], v[6:7], v[173:174], -v[26:27]
	s_delay_alu instid0(VALU_DEP_4) | instskip(NEXT) | instid1(VALU_DEP_4)
	v_add_f64_e32 v[1:2], v[14:15], v[1:2]
	v_add_f64_e32 v[3:4], v[16:17], v[4:5]
	s_delay_alu instid0(VALU_DEP_2) | instskip(NEXT) | instid1(VALU_DEP_2)
	v_add_f64_e32 v[1:2], v[1:2], v[6:7]
	v_add_f64_e32 v[3:4], v[3:4], v[8:9]
	s_wait_loadcnt 0x0
	s_delay_alu instid0(VALU_DEP_2) | instskip(NEXT) | instid1(VALU_DEP_2)
	v_add_f64_e64 v[1:2], v[10:11], -v[1:2]
	v_add_f64_e64 v[3:4], v[12:13], -v[3:4]
	scratch_store_b128 off, v[1:4], off offset:528
	v_cmpx_lt_u32_e32 31, v0
	s_cbranch_execz .LBB126_341
; %bb.340:
	scratch_load_b128 v[1:4], off, s47
	v_mov_b32_e32 v5, 0
	s_delay_alu instid0(VALU_DEP_1)
	v_dual_mov_b32 v6, v5 :: v_dual_mov_b32 v7, v5
	v_mov_b32_e32 v8, v5
	scratch_store_b128 off, v[5:8], off offset:512
	s_wait_loadcnt 0x0
	ds_store_b128 v168, v[1:4]
.LBB126_341:
	s_wait_alu 0xfffe
	s_or_b32 exec_lo, exec_lo, s0
	s_wait_storecnt_dscnt 0x0
	s_barrier_signal -1
	s_barrier_wait -1
	global_inv scope:SCOPE_SE
	s_clause 0x7
	scratch_load_b128 v[2:5], off, off offset:528
	scratch_load_b128 v[6:9], off, off offset:544
	;; [unrolled: 1-line block ×8, first 2 shown]
	v_mov_b32_e32 v1, 0
	s_clause 0x1
	scratch_load_b128 v[38:41], off, off offset:656
	scratch_load_b128 v[173:176], off, off offset:672
	s_mov_b32 s0, exec_lo
	ds_load_b128 v[34:37], v1 offset:1520
	ds_load_b128 v[169:172], v1 offset:1536
	s_wait_loadcnt_dscnt 0x901
	v_mul_f64_e32 v[177:178], v[36:37], v[4:5]
	v_mul_f64_e32 v[4:5], v[34:35], v[4:5]
	s_wait_loadcnt_dscnt 0x800
	v_mul_f64_e32 v[179:180], v[169:170], v[8:9]
	v_mul_f64_e32 v[8:9], v[171:172], v[8:9]
	s_delay_alu instid0(VALU_DEP_4) | instskip(NEXT) | instid1(VALU_DEP_4)
	v_fma_f64 v[177:178], v[34:35], v[2:3], -v[177:178]
	v_fma_f64 v[181:182], v[36:37], v[2:3], v[4:5]
	ds_load_b128 v[2:5], v1 offset:1552
	scratch_load_b128 v[34:37], off, off offset:688
	v_fma_f64 v[179:180], v[171:172], v[6:7], v[179:180]
	v_fma_f64 v[185:186], v[169:170], v[6:7], -v[8:9]
	ds_load_b128 v[6:9], v1 offset:1568
	scratch_load_b128 v[169:172], off, off offset:704
	s_wait_loadcnt_dscnt 0x901
	v_mul_f64_e32 v[183:184], v[2:3], v[12:13]
	v_mul_f64_e32 v[12:13], v[4:5], v[12:13]
	s_wait_loadcnt_dscnt 0x800
	v_mul_f64_e32 v[187:188], v[6:7], v[16:17]
	v_mul_f64_e32 v[16:17], v[8:9], v[16:17]
	v_add_f64_e32 v[177:178], 0, v[177:178]
	v_add_f64_e32 v[181:182], 0, v[181:182]
	v_fma_f64 v[183:184], v[4:5], v[10:11], v[183:184]
	v_fma_f64 v[189:190], v[2:3], v[10:11], -v[12:13]
	ds_load_b128 v[2:5], v1 offset:1584
	scratch_load_b128 v[10:13], off, off offset:720
	v_add_f64_e32 v[177:178], v[177:178], v[185:186]
	v_add_f64_e32 v[179:180], v[181:182], v[179:180]
	v_fma_f64 v[185:186], v[8:9], v[14:15], v[187:188]
	v_fma_f64 v[187:188], v[6:7], v[14:15], -v[16:17]
	ds_load_b128 v[6:9], v1 offset:1600
	scratch_load_b128 v[14:17], off, off offset:736
	s_wait_loadcnt_dscnt 0x901
	v_mul_f64_e32 v[181:182], v[2:3], v[20:21]
	v_mul_f64_e32 v[20:21], v[4:5], v[20:21]
	v_add_f64_e32 v[177:178], v[177:178], v[189:190]
	v_add_f64_e32 v[179:180], v[179:180], v[183:184]
	s_wait_loadcnt_dscnt 0x800
	v_mul_f64_e32 v[183:184], v[6:7], v[24:25]
	v_mul_f64_e32 v[24:25], v[8:9], v[24:25]
	v_fma_f64 v[181:182], v[4:5], v[18:19], v[181:182]
	v_fma_f64 v[189:190], v[2:3], v[18:19], -v[20:21]
	ds_load_b128 v[2:5], v1 offset:1616
	scratch_load_b128 v[18:21], off, off offset:752
	v_add_f64_e32 v[177:178], v[177:178], v[187:188]
	v_add_f64_e32 v[179:180], v[179:180], v[185:186]
	v_fma_f64 v[183:184], v[8:9], v[22:23], v[183:184]
	v_fma_f64 v[187:188], v[6:7], v[22:23], -v[24:25]
	ds_load_b128 v[6:9], v1 offset:1632
	s_wait_loadcnt_dscnt 0x801
	v_mul_f64_e32 v[185:186], v[2:3], v[28:29]
	v_mul_f64_e32 v[28:29], v[4:5], v[28:29]
	scratch_load_b128 v[22:25], off, off offset:768
	v_add_f64_e32 v[177:178], v[177:178], v[189:190]
	v_add_f64_e32 v[179:180], v[179:180], v[181:182]
	s_wait_loadcnt_dscnt 0x800
	v_mul_f64_e32 v[181:182], v[6:7], v[32:33]
	v_mul_f64_e32 v[32:33], v[8:9], v[32:33]
	v_fma_f64 v[185:186], v[4:5], v[26:27], v[185:186]
	v_fma_f64 v[189:190], v[2:3], v[26:27], -v[28:29]
	ds_load_b128 v[2:5], v1 offset:1648
	scratch_load_b128 v[26:29], off, off offset:784
	v_add_f64_e32 v[177:178], v[177:178], v[187:188]
	v_add_f64_e32 v[179:180], v[179:180], v[183:184]
	v_fma_f64 v[181:182], v[8:9], v[30:31], v[181:182]
	v_fma_f64 v[187:188], v[6:7], v[30:31], -v[32:33]
	ds_load_b128 v[6:9], v1 offset:1664
	s_wait_loadcnt_dscnt 0x801
	v_mul_f64_e32 v[183:184], v[2:3], v[40:41]
	v_mul_f64_e32 v[40:41], v[4:5], v[40:41]
	scratch_load_b128 v[30:33], off, off offset:800
	v_add_f64_e32 v[177:178], v[177:178], v[189:190]
	v_add_f64_e32 v[179:180], v[179:180], v[185:186]
	s_wait_loadcnt_dscnt 0x800
	v_mul_f64_e32 v[185:186], v[6:7], v[175:176]
	v_mul_f64_e32 v[175:176], v[8:9], v[175:176]
	v_fma_f64 v[183:184], v[4:5], v[38:39], v[183:184]
	v_fma_f64 v[189:190], v[2:3], v[38:39], -v[40:41]
	ds_load_b128 v[2:5], v1 offset:1680
	scratch_load_b128 v[38:41], off, off offset:816
	v_add_f64_e32 v[177:178], v[177:178], v[187:188]
	v_add_f64_e32 v[179:180], v[179:180], v[181:182]
	v_fma_f64 v[185:186], v[8:9], v[173:174], v[185:186]
	v_fma_f64 v[187:188], v[6:7], v[173:174], -v[175:176]
	ds_load_b128 v[6:9], v1 offset:1696
	scratch_load_b128 v[173:176], off, off offset:832
	s_wait_loadcnt_dscnt 0x901
	v_mul_f64_e32 v[181:182], v[2:3], v[36:37]
	v_mul_f64_e32 v[36:37], v[4:5], v[36:37]
	v_add_f64_e32 v[177:178], v[177:178], v[189:190]
	v_add_f64_e32 v[179:180], v[179:180], v[183:184]
	s_wait_loadcnt_dscnt 0x800
	v_mul_f64_e32 v[183:184], v[6:7], v[171:172]
	v_mul_f64_e32 v[171:172], v[8:9], v[171:172]
	v_fma_f64 v[181:182], v[4:5], v[34:35], v[181:182]
	v_fma_f64 v[189:190], v[2:3], v[34:35], -v[36:37]
	ds_load_b128 v[2:5], v1 offset:1712
	scratch_load_b128 v[34:37], off, off offset:848
	v_add_f64_e32 v[177:178], v[177:178], v[187:188]
	v_add_f64_e32 v[179:180], v[179:180], v[185:186]
	v_fma_f64 v[183:184], v[8:9], v[169:170], v[183:184]
	v_fma_f64 v[187:188], v[6:7], v[169:170], -v[171:172]
	ds_load_b128 v[6:9], v1 offset:1728
	s_wait_loadcnt_dscnt 0x801
	v_mul_f64_e32 v[185:186], v[2:3], v[12:13]
	v_mul_f64_e32 v[12:13], v[4:5], v[12:13]
	scratch_load_b128 v[169:172], off, off offset:864
	v_add_f64_e32 v[177:178], v[177:178], v[189:190]
	v_add_f64_e32 v[179:180], v[179:180], v[181:182]
	s_wait_loadcnt_dscnt 0x800
	v_mul_f64_e32 v[181:182], v[6:7], v[16:17]
	v_mul_f64_e32 v[16:17], v[8:9], v[16:17]
	v_fma_f64 v[185:186], v[4:5], v[10:11], v[185:186]
	v_fma_f64 v[189:190], v[2:3], v[10:11], -v[12:13]
	ds_load_b128 v[2:5], v1 offset:1744
	scratch_load_b128 v[10:13], off, off offset:880
	v_add_f64_e32 v[177:178], v[177:178], v[187:188]
	v_add_f64_e32 v[179:180], v[179:180], v[183:184]
	v_fma_f64 v[181:182], v[8:9], v[14:15], v[181:182]
	v_fma_f64 v[187:188], v[6:7], v[14:15], -v[16:17]
	ds_load_b128 v[6:9], v1 offset:1760
	s_wait_loadcnt_dscnt 0x801
	v_mul_f64_e32 v[183:184], v[2:3], v[20:21]
	v_mul_f64_e32 v[20:21], v[4:5], v[20:21]
	scratch_load_b128 v[14:17], off, off offset:896
	;; [unrolled: 18-line block ×5, first 2 shown]
	v_add_f64_e32 v[177:178], v[177:178], v[189:190]
	v_add_f64_e32 v[179:180], v[179:180], v[185:186]
	s_wait_loadcnt_dscnt 0x800
	v_mul_f64_e32 v[185:186], v[6:7], v[171:172]
	v_mul_f64_e32 v[171:172], v[8:9], v[171:172]
	v_fma_f64 v[183:184], v[4:5], v[34:35], v[183:184]
	v_fma_f64 v[189:190], v[2:3], v[34:35], -v[36:37]
	ds_load_b128 v[2:5], v1 offset:1872
	scratch_load_b128 v[34:37], off, off offset:1008
	v_add_f64_e32 v[177:178], v[177:178], v[187:188]
	v_add_f64_e32 v[179:180], v[179:180], v[181:182]
	v_fma_f64 v[185:186], v[8:9], v[169:170], v[185:186]
	v_fma_f64 v[169:170], v[6:7], v[169:170], -v[171:172]
	ds_load_b128 v[6:9], v1 offset:1888
	s_wait_loadcnt_dscnt 0x801
	v_mul_f64_e32 v[181:182], v[2:3], v[12:13]
	v_mul_f64_e32 v[12:13], v[4:5], v[12:13]
	v_add_f64_e32 v[171:172], v[177:178], v[189:190]
	v_add_f64_e32 v[177:178], v[179:180], v[183:184]
	s_wait_loadcnt_dscnt 0x700
	v_mul_f64_e32 v[179:180], v[6:7], v[16:17]
	v_mul_f64_e32 v[16:17], v[8:9], v[16:17]
	v_fma_f64 v[181:182], v[4:5], v[10:11], v[181:182]
	v_fma_f64 v[10:11], v[2:3], v[10:11], -v[12:13]
	ds_load_b128 v[2:5], v1 offset:1904
	v_add_f64_e32 v[12:13], v[171:172], v[169:170]
	v_add_f64_e32 v[169:170], v[177:178], v[185:186]
	v_fma_f64 v[177:178], v[8:9], v[14:15], v[179:180]
	v_fma_f64 v[14:15], v[6:7], v[14:15], -v[16:17]
	ds_load_b128 v[6:9], v1 offset:1920
	s_wait_loadcnt_dscnt 0x500
	v_mul_f64_e32 v[179:180], v[6:7], v[24:25]
	v_mul_f64_e32 v[24:25], v[8:9], v[24:25]
	v_add_f64_e32 v[16:17], v[12:13], v[10:11]
	v_add_f64_e32 v[169:170], v[169:170], v[181:182]
	scratch_load_b128 v[10:13], off, off offset:512
	v_mul_f64_e32 v[171:172], v[2:3], v[20:21]
	v_mul_f64_e32 v[20:21], v[4:5], v[20:21]
	v_add_f64_e32 v[14:15], v[16:17], v[14:15]
	v_add_f64_e32 v[16:17], v[169:170], v[177:178]
	v_fma_f64 v[169:170], v[8:9], v[22:23], v[179:180]
	v_fma_f64 v[171:172], v[4:5], v[18:19], v[171:172]
	v_fma_f64 v[18:19], v[2:3], v[18:19], -v[20:21]
	ds_load_b128 v[2:5], v1 offset:1936
	v_fma_f64 v[22:23], v[6:7], v[22:23], -v[24:25]
	ds_load_b128 v[6:9], v1 offset:1952
	s_wait_loadcnt_dscnt 0x501
	v_mul_f64_e32 v[20:21], v[2:3], v[28:29]
	v_mul_f64_e32 v[28:29], v[4:5], v[28:29]
	s_wait_loadcnt_dscnt 0x400
	v_mul_f64_e32 v[24:25], v[8:9], v[32:33]
	v_add_f64_e32 v[16:17], v[16:17], v[171:172]
	v_add_f64_e32 v[14:15], v[14:15], v[18:19]
	v_mul_f64_e32 v[18:19], v[6:7], v[32:33]
	v_fma_f64 v[20:21], v[4:5], v[26:27], v[20:21]
	v_fma_f64 v[26:27], v[2:3], v[26:27], -v[28:29]
	ds_load_b128 v[2:5], v1 offset:1968
	v_fma_f64 v[24:25], v[6:7], v[30:31], -v[24:25]
	v_add_f64_e32 v[16:17], v[16:17], v[169:170]
	v_add_f64_e32 v[14:15], v[14:15], v[22:23]
	v_fma_f64 v[18:19], v[8:9], v[30:31], v[18:19]
	ds_load_b128 v[6:9], v1 offset:1984
	s_wait_loadcnt_dscnt 0x301
	v_mul_f64_e32 v[22:23], v[2:3], v[40:41]
	v_mul_f64_e32 v[28:29], v[4:5], v[40:41]
	v_add_f64_e32 v[16:17], v[16:17], v[20:21]
	v_add_f64_e32 v[14:15], v[14:15], v[26:27]
	s_wait_loadcnt_dscnt 0x200
	v_mul_f64_e32 v[20:21], v[6:7], v[175:176]
	v_mul_f64_e32 v[26:27], v[8:9], v[175:176]
	v_fma_f64 v[22:23], v[4:5], v[38:39], v[22:23]
	v_fma_f64 v[28:29], v[2:3], v[38:39], -v[28:29]
	ds_load_b128 v[2:5], v1 offset:2000
	v_add_f64_e32 v[16:17], v[16:17], v[18:19]
	v_add_f64_e32 v[14:15], v[14:15], v[24:25]
	s_wait_loadcnt_dscnt 0x100
	v_mul_f64_e32 v[18:19], v[2:3], v[36:37]
	v_mul_f64_e32 v[24:25], v[4:5], v[36:37]
	v_fma_f64 v[8:9], v[8:9], v[173:174], v[20:21]
	v_fma_f64 v[6:7], v[6:7], v[173:174], -v[26:27]
	v_add_f64_e32 v[16:17], v[16:17], v[22:23]
	v_add_f64_e32 v[14:15], v[14:15], v[28:29]
	v_fma_f64 v[4:5], v[4:5], v[34:35], v[18:19]
	v_fma_f64 v[2:3], v[2:3], v[34:35], -v[24:25]
	s_delay_alu instid0(VALU_DEP_4) | instskip(NEXT) | instid1(VALU_DEP_4)
	v_add_f64_e32 v[8:9], v[16:17], v[8:9]
	v_add_f64_e32 v[6:7], v[14:15], v[6:7]
	s_delay_alu instid0(VALU_DEP_2) | instskip(NEXT) | instid1(VALU_DEP_2)
	v_add_f64_e32 v[4:5], v[8:9], v[4:5]
	v_add_f64_e32 v[2:3], v[6:7], v[2:3]
	s_wait_loadcnt 0x0
	s_delay_alu instid0(VALU_DEP_2) | instskip(NEXT) | instid1(VALU_DEP_2)
	v_add_f64_e64 v[4:5], v[12:13], -v[4:5]
	v_add_f64_e64 v[2:3], v[10:11], -v[2:3]
	scratch_store_b128 off, v[2:5], off offset:512
	v_cmpx_lt_u32_e32 30, v0
	s_cbranch_execz .LBB126_343
; %bb.342:
	scratch_load_b128 v[5:8], off, s48
	v_dual_mov_b32 v2, v1 :: v_dual_mov_b32 v3, v1
	v_mov_b32_e32 v4, v1
	scratch_store_b128 off, v[1:4], off offset:496
	s_wait_loadcnt 0x0
	ds_store_b128 v168, v[5:8]
.LBB126_343:
	s_wait_alu 0xfffe
	s_or_b32 exec_lo, exec_lo, s0
	s_wait_storecnt_dscnt 0x0
	s_barrier_signal -1
	s_barrier_wait -1
	global_inv scope:SCOPE_SE
	s_clause 0x7
	scratch_load_b128 v[2:5], off, off offset:512
	scratch_load_b128 v[6:9], off, off offset:528
	;; [unrolled: 1-line block ×8, first 2 shown]
	ds_load_b128 v[34:37], v1 offset:1504
	ds_load_b128 v[169:172], v1 offset:1520
	s_clause 0x1
	scratch_load_b128 v[38:41], off, off offset:640
	scratch_load_b128 v[173:176], off, off offset:656
	s_mov_b32 s0, exec_lo
	s_wait_loadcnt_dscnt 0x901
	v_mul_f64_e32 v[177:178], v[36:37], v[4:5]
	v_mul_f64_e32 v[4:5], v[34:35], v[4:5]
	s_wait_loadcnt_dscnt 0x800
	v_mul_f64_e32 v[179:180], v[169:170], v[8:9]
	v_mul_f64_e32 v[8:9], v[171:172], v[8:9]
	s_delay_alu instid0(VALU_DEP_4) | instskip(NEXT) | instid1(VALU_DEP_4)
	v_fma_f64 v[177:178], v[34:35], v[2:3], -v[177:178]
	v_fma_f64 v[181:182], v[36:37], v[2:3], v[4:5]
	ds_load_b128 v[2:5], v1 offset:1536
	scratch_load_b128 v[34:37], off, off offset:672
	v_fma_f64 v[179:180], v[171:172], v[6:7], v[179:180]
	v_fma_f64 v[185:186], v[169:170], v[6:7], -v[8:9]
	ds_load_b128 v[6:9], v1 offset:1552
	scratch_load_b128 v[169:172], off, off offset:688
	s_wait_loadcnt_dscnt 0x901
	v_mul_f64_e32 v[183:184], v[2:3], v[12:13]
	v_mul_f64_e32 v[12:13], v[4:5], v[12:13]
	s_wait_loadcnt_dscnt 0x800
	v_mul_f64_e32 v[187:188], v[6:7], v[16:17]
	v_mul_f64_e32 v[16:17], v[8:9], v[16:17]
	v_add_f64_e32 v[177:178], 0, v[177:178]
	v_add_f64_e32 v[181:182], 0, v[181:182]
	v_fma_f64 v[183:184], v[4:5], v[10:11], v[183:184]
	v_fma_f64 v[189:190], v[2:3], v[10:11], -v[12:13]
	ds_load_b128 v[2:5], v1 offset:1568
	scratch_load_b128 v[10:13], off, off offset:704
	v_add_f64_e32 v[177:178], v[177:178], v[185:186]
	v_add_f64_e32 v[179:180], v[181:182], v[179:180]
	v_fma_f64 v[185:186], v[8:9], v[14:15], v[187:188]
	v_fma_f64 v[187:188], v[6:7], v[14:15], -v[16:17]
	ds_load_b128 v[6:9], v1 offset:1584
	scratch_load_b128 v[14:17], off, off offset:720
	s_wait_loadcnt_dscnt 0x901
	v_mul_f64_e32 v[181:182], v[2:3], v[20:21]
	v_mul_f64_e32 v[20:21], v[4:5], v[20:21]
	v_add_f64_e32 v[177:178], v[177:178], v[189:190]
	v_add_f64_e32 v[179:180], v[179:180], v[183:184]
	s_wait_loadcnt_dscnt 0x800
	v_mul_f64_e32 v[183:184], v[6:7], v[24:25]
	v_mul_f64_e32 v[24:25], v[8:9], v[24:25]
	v_fma_f64 v[181:182], v[4:5], v[18:19], v[181:182]
	v_fma_f64 v[189:190], v[2:3], v[18:19], -v[20:21]
	ds_load_b128 v[2:5], v1 offset:1600
	scratch_load_b128 v[18:21], off, off offset:736
	v_add_f64_e32 v[177:178], v[177:178], v[187:188]
	v_add_f64_e32 v[179:180], v[179:180], v[185:186]
	v_fma_f64 v[183:184], v[8:9], v[22:23], v[183:184]
	v_fma_f64 v[187:188], v[6:7], v[22:23], -v[24:25]
	ds_load_b128 v[6:9], v1 offset:1616
	s_wait_loadcnt_dscnt 0x801
	v_mul_f64_e32 v[185:186], v[2:3], v[28:29]
	v_mul_f64_e32 v[28:29], v[4:5], v[28:29]
	scratch_load_b128 v[22:25], off, off offset:752
	v_add_f64_e32 v[177:178], v[177:178], v[189:190]
	v_add_f64_e32 v[179:180], v[179:180], v[181:182]
	s_wait_loadcnt_dscnt 0x800
	v_mul_f64_e32 v[181:182], v[6:7], v[32:33]
	v_mul_f64_e32 v[32:33], v[8:9], v[32:33]
	v_fma_f64 v[185:186], v[4:5], v[26:27], v[185:186]
	v_fma_f64 v[189:190], v[2:3], v[26:27], -v[28:29]
	ds_load_b128 v[2:5], v1 offset:1632
	scratch_load_b128 v[26:29], off, off offset:768
	v_add_f64_e32 v[177:178], v[177:178], v[187:188]
	v_add_f64_e32 v[179:180], v[179:180], v[183:184]
	v_fma_f64 v[181:182], v[8:9], v[30:31], v[181:182]
	v_fma_f64 v[187:188], v[6:7], v[30:31], -v[32:33]
	ds_load_b128 v[6:9], v1 offset:1648
	s_wait_loadcnt_dscnt 0x801
	v_mul_f64_e32 v[183:184], v[2:3], v[40:41]
	v_mul_f64_e32 v[40:41], v[4:5], v[40:41]
	scratch_load_b128 v[30:33], off, off offset:784
	v_add_f64_e32 v[177:178], v[177:178], v[189:190]
	v_add_f64_e32 v[179:180], v[179:180], v[185:186]
	s_wait_loadcnt_dscnt 0x800
	v_mul_f64_e32 v[185:186], v[6:7], v[175:176]
	v_mul_f64_e32 v[175:176], v[8:9], v[175:176]
	v_fma_f64 v[183:184], v[4:5], v[38:39], v[183:184]
	v_fma_f64 v[189:190], v[2:3], v[38:39], -v[40:41]
	ds_load_b128 v[2:5], v1 offset:1664
	scratch_load_b128 v[38:41], off, off offset:800
	v_add_f64_e32 v[177:178], v[177:178], v[187:188]
	v_add_f64_e32 v[179:180], v[179:180], v[181:182]
	v_fma_f64 v[185:186], v[8:9], v[173:174], v[185:186]
	v_fma_f64 v[187:188], v[6:7], v[173:174], -v[175:176]
	ds_load_b128 v[6:9], v1 offset:1680
	scratch_load_b128 v[173:176], off, off offset:816
	s_wait_loadcnt_dscnt 0x901
	v_mul_f64_e32 v[181:182], v[2:3], v[36:37]
	v_mul_f64_e32 v[36:37], v[4:5], v[36:37]
	v_add_f64_e32 v[177:178], v[177:178], v[189:190]
	v_add_f64_e32 v[179:180], v[179:180], v[183:184]
	s_wait_loadcnt_dscnt 0x800
	v_mul_f64_e32 v[183:184], v[6:7], v[171:172]
	v_mul_f64_e32 v[171:172], v[8:9], v[171:172]
	v_fma_f64 v[181:182], v[4:5], v[34:35], v[181:182]
	v_fma_f64 v[189:190], v[2:3], v[34:35], -v[36:37]
	ds_load_b128 v[2:5], v1 offset:1696
	scratch_load_b128 v[34:37], off, off offset:832
	v_add_f64_e32 v[177:178], v[177:178], v[187:188]
	v_add_f64_e32 v[179:180], v[179:180], v[185:186]
	v_fma_f64 v[183:184], v[8:9], v[169:170], v[183:184]
	v_fma_f64 v[187:188], v[6:7], v[169:170], -v[171:172]
	ds_load_b128 v[6:9], v1 offset:1712
	s_wait_loadcnt_dscnt 0x801
	v_mul_f64_e32 v[185:186], v[2:3], v[12:13]
	v_mul_f64_e32 v[12:13], v[4:5], v[12:13]
	scratch_load_b128 v[169:172], off, off offset:848
	v_add_f64_e32 v[177:178], v[177:178], v[189:190]
	v_add_f64_e32 v[179:180], v[179:180], v[181:182]
	s_wait_loadcnt_dscnt 0x800
	v_mul_f64_e32 v[181:182], v[6:7], v[16:17]
	v_mul_f64_e32 v[16:17], v[8:9], v[16:17]
	v_fma_f64 v[185:186], v[4:5], v[10:11], v[185:186]
	v_fma_f64 v[189:190], v[2:3], v[10:11], -v[12:13]
	ds_load_b128 v[2:5], v1 offset:1728
	scratch_load_b128 v[10:13], off, off offset:864
	v_add_f64_e32 v[177:178], v[177:178], v[187:188]
	v_add_f64_e32 v[179:180], v[179:180], v[183:184]
	v_fma_f64 v[181:182], v[8:9], v[14:15], v[181:182]
	v_fma_f64 v[187:188], v[6:7], v[14:15], -v[16:17]
	ds_load_b128 v[6:9], v1 offset:1744
	s_wait_loadcnt_dscnt 0x801
	v_mul_f64_e32 v[183:184], v[2:3], v[20:21]
	v_mul_f64_e32 v[20:21], v[4:5], v[20:21]
	scratch_load_b128 v[14:17], off, off offset:880
	;; [unrolled: 18-line block ×6, first 2 shown]
	v_add_f64_e32 v[177:178], v[177:178], v[189:190]
	v_add_f64_e32 v[179:180], v[179:180], v[183:184]
	s_wait_loadcnt_dscnt 0x800
	v_mul_f64_e32 v[183:184], v[6:7], v[16:17]
	v_mul_f64_e32 v[16:17], v[8:9], v[16:17]
	v_fma_f64 v[181:182], v[4:5], v[10:11], v[181:182]
	v_fma_f64 v[10:11], v[2:3], v[10:11], -v[12:13]
	ds_load_b128 v[2:5], v1 offset:1888
	v_add_f64_e32 v[12:13], v[177:178], v[187:188]
	v_add_f64_e32 v[177:178], v[179:180], v[185:186]
	v_fma_f64 v[183:184], v[8:9], v[14:15], v[183:184]
	v_fma_f64 v[14:15], v[6:7], v[14:15], -v[16:17]
	ds_load_b128 v[6:9], v1 offset:1904
	s_wait_loadcnt_dscnt 0x701
	v_mul_f64_e32 v[179:180], v[2:3], v[20:21]
	v_mul_f64_e32 v[20:21], v[4:5], v[20:21]
	v_add_f64_e32 v[10:11], v[12:13], v[10:11]
	v_add_f64_e32 v[12:13], v[177:178], v[181:182]
	s_delay_alu instid0(VALU_DEP_4) | instskip(NEXT) | instid1(VALU_DEP_4)
	v_fma_f64 v[177:178], v[4:5], v[18:19], v[179:180]
	v_fma_f64 v[18:19], v[2:3], v[18:19], -v[20:21]
	ds_load_b128 v[2:5], v1 offset:1920
	v_add_f64_e32 v[14:15], v[10:11], v[14:15]
	v_add_f64_e32 v[20:21], v[12:13], v[183:184]
	scratch_load_b128 v[10:13], off, off offset:496
	s_wait_loadcnt_dscnt 0x701
	v_mul_f64_e32 v[16:17], v[6:7], v[24:25]
	v_mul_f64_e32 v[24:25], v[8:9], v[24:25]
	v_add_f64_e32 v[14:15], v[14:15], v[18:19]
	v_add_f64_e32 v[18:19], v[20:21], v[177:178]
	s_delay_alu instid0(VALU_DEP_4) | instskip(NEXT) | instid1(VALU_DEP_4)
	v_fma_f64 v[16:17], v[8:9], v[22:23], v[16:17]
	v_fma_f64 v[22:23], v[6:7], v[22:23], -v[24:25]
	ds_load_b128 v[6:9], v1 offset:1936
	s_wait_loadcnt_dscnt 0x601
	v_mul_f64_e32 v[179:180], v[2:3], v[28:29]
	v_mul_f64_e32 v[28:29], v[4:5], v[28:29]
	s_wait_loadcnt_dscnt 0x500
	v_mul_f64_e32 v[20:21], v[6:7], v[32:33]
	v_mul_f64_e32 v[24:25], v[8:9], v[32:33]
	v_add_f64_e32 v[16:17], v[18:19], v[16:17]
	v_add_f64_e32 v[14:15], v[14:15], v[22:23]
	v_fma_f64 v[32:33], v[4:5], v[26:27], v[179:180]
	v_fma_f64 v[26:27], v[2:3], v[26:27], -v[28:29]
	ds_load_b128 v[2:5], v1 offset:1952
	v_fma_f64 v[20:21], v[8:9], v[30:31], v[20:21]
	v_fma_f64 v[24:25], v[6:7], v[30:31], -v[24:25]
	ds_load_b128 v[6:9], v1 offset:1968
	s_wait_loadcnt_dscnt 0x401
	v_mul_f64_e32 v[18:19], v[2:3], v[40:41]
	v_mul_f64_e32 v[22:23], v[4:5], v[40:41]
	v_add_f64_e32 v[16:17], v[16:17], v[32:33]
	v_add_f64_e32 v[14:15], v[14:15], v[26:27]
	s_wait_loadcnt_dscnt 0x300
	v_mul_f64_e32 v[26:27], v[6:7], v[175:176]
	v_mul_f64_e32 v[28:29], v[8:9], v[175:176]
	v_fma_f64 v[18:19], v[4:5], v[38:39], v[18:19]
	v_fma_f64 v[22:23], v[2:3], v[38:39], -v[22:23]
	ds_load_b128 v[2:5], v1 offset:1984
	v_add_f64_e32 v[16:17], v[16:17], v[20:21]
	v_add_f64_e32 v[14:15], v[14:15], v[24:25]
	v_fma_f64 v[26:27], v[8:9], v[173:174], v[26:27]
	v_fma_f64 v[28:29], v[6:7], v[173:174], -v[28:29]
	ds_load_b128 v[6:9], v1 offset:2000
	s_wait_loadcnt_dscnt 0x201
	v_mul_f64_e32 v[20:21], v[2:3], v[36:37]
	v_mul_f64_e32 v[24:25], v[4:5], v[36:37]
	v_add_f64_e32 v[16:17], v[16:17], v[18:19]
	v_add_f64_e32 v[14:15], v[14:15], v[22:23]
	s_wait_loadcnt_dscnt 0x100
	v_mul_f64_e32 v[18:19], v[6:7], v[171:172]
	v_mul_f64_e32 v[22:23], v[8:9], v[171:172]
	v_fma_f64 v[4:5], v[4:5], v[34:35], v[20:21]
	v_fma_f64 v[1:2], v[2:3], v[34:35], -v[24:25]
	v_add_f64_e32 v[16:17], v[16:17], v[26:27]
	v_add_f64_e32 v[14:15], v[14:15], v[28:29]
	v_fma_f64 v[8:9], v[8:9], v[169:170], v[18:19]
	v_fma_f64 v[6:7], v[6:7], v[169:170], -v[22:23]
	s_delay_alu instid0(VALU_DEP_4) | instskip(NEXT) | instid1(VALU_DEP_4)
	v_add_f64_e32 v[3:4], v[16:17], v[4:5]
	v_add_f64_e32 v[1:2], v[14:15], v[1:2]
	s_delay_alu instid0(VALU_DEP_2) | instskip(NEXT) | instid1(VALU_DEP_2)
	v_add_f64_e32 v[3:4], v[3:4], v[8:9]
	v_add_f64_e32 v[1:2], v[1:2], v[6:7]
	s_wait_loadcnt 0x0
	s_delay_alu instid0(VALU_DEP_2) | instskip(NEXT) | instid1(VALU_DEP_2)
	v_add_f64_e64 v[3:4], v[12:13], -v[3:4]
	v_add_f64_e64 v[1:2], v[10:11], -v[1:2]
	scratch_store_b128 off, v[1:4], off offset:496
	v_cmpx_lt_u32_e32 29, v0
	s_cbranch_execz .LBB126_345
; %bb.344:
	scratch_load_b128 v[1:4], off, s49
	v_mov_b32_e32 v5, 0
	s_delay_alu instid0(VALU_DEP_1)
	v_dual_mov_b32 v6, v5 :: v_dual_mov_b32 v7, v5
	v_mov_b32_e32 v8, v5
	scratch_store_b128 off, v[5:8], off offset:480
	s_wait_loadcnt 0x0
	ds_store_b128 v168, v[1:4]
.LBB126_345:
	s_wait_alu 0xfffe
	s_or_b32 exec_lo, exec_lo, s0
	s_wait_storecnt_dscnt 0x0
	s_barrier_signal -1
	s_barrier_wait -1
	global_inv scope:SCOPE_SE
	s_clause 0x7
	scratch_load_b128 v[2:5], off, off offset:496
	scratch_load_b128 v[6:9], off, off offset:512
	scratch_load_b128 v[10:13], off, off offset:528
	scratch_load_b128 v[14:17], off, off offset:544
	scratch_load_b128 v[18:21], off, off offset:560
	scratch_load_b128 v[22:25], off, off offset:576
	scratch_load_b128 v[26:29], off, off offset:592
	scratch_load_b128 v[30:33], off, off offset:608
	v_mov_b32_e32 v1, 0
	s_clause 0x1
	scratch_load_b128 v[38:41], off, off offset:624
	scratch_load_b128 v[173:176], off, off offset:640
	s_mov_b32 s0, exec_lo
	ds_load_b128 v[34:37], v1 offset:1488
	ds_load_b128 v[169:172], v1 offset:1504
	s_wait_loadcnt_dscnt 0x901
	v_mul_f64_e32 v[177:178], v[36:37], v[4:5]
	v_mul_f64_e32 v[4:5], v[34:35], v[4:5]
	s_wait_loadcnt_dscnt 0x800
	v_mul_f64_e32 v[179:180], v[169:170], v[8:9]
	v_mul_f64_e32 v[8:9], v[171:172], v[8:9]
	s_delay_alu instid0(VALU_DEP_4) | instskip(NEXT) | instid1(VALU_DEP_4)
	v_fma_f64 v[177:178], v[34:35], v[2:3], -v[177:178]
	v_fma_f64 v[181:182], v[36:37], v[2:3], v[4:5]
	ds_load_b128 v[2:5], v1 offset:1520
	scratch_load_b128 v[34:37], off, off offset:656
	v_fma_f64 v[179:180], v[171:172], v[6:7], v[179:180]
	v_fma_f64 v[185:186], v[169:170], v[6:7], -v[8:9]
	ds_load_b128 v[6:9], v1 offset:1536
	scratch_load_b128 v[169:172], off, off offset:672
	s_wait_loadcnt_dscnt 0x901
	v_mul_f64_e32 v[183:184], v[2:3], v[12:13]
	v_mul_f64_e32 v[12:13], v[4:5], v[12:13]
	s_wait_loadcnt_dscnt 0x800
	v_mul_f64_e32 v[187:188], v[6:7], v[16:17]
	v_mul_f64_e32 v[16:17], v[8:9], v[16:17]
	v_add_f64_e32 v[177:178], 0, v[177:178]
	v_add_f64_e32 v[181:182], 0, v[181:182]
	v_fma_f64 v[183:184], v[4:5], v[10:11], v[183:184]
	v_fma_f64 v[189:190], v[2:3], v[10:11], -v[12:13]
	ds_load_b128 v[2:5], v1 offset:1552
	scratch_load_b128 v[10:13], off, off offset:688
	v_add_f64_e32 v[177:178], v[177:178], v[185:186]
	v_add_f64_e32 v[179:180], v[181:182], v[179:180]
	v_fma_f64 v[185:186], v[8:9], v[14:15], v[187:188]
	v_fma_f64 v[187:188], v[6:7], v[14:15], -v[16:17]
	ds_load_b128 v[6:9], v1 offset:1568
	scratch_load_b128 v[14:17], off, off offset:704
	s_wait_loadcnt_dscnt 0x901
	v_mul_f64_e32 v[181:182], v[2:3], v[20:21]
	v_mul_f64_e32 v[20:21], v[4:5], v[20:21]
	v_add_f64_e32 v[177:178], v[177:178], v[189:190]
	v_add_f64_e32 v[179:180], v[179:180], v[183:184]
	s_wait_loadcnt_dscnt 0x800
	v_mul_f64_e32 v[183:184], v[6:7], v[24:25]
	v_mul_f64_e32 v[24:25], v[8:9], v[24:25]
	v_fma_f64 v[181:182], v[4:5], v[18:19], v[181:182]
	v_fma_f64 v[189:190], v[2:3], v[18:19], -v[20:21]
	ds_load_b128 v[2:5], v1 offset:1584
	scratch_load_b128 v[18:21], off, off offset:720
	v_add_f64_e32 v[177:178], v[177:178], v[187:188]
	v_add_f64_e32 v[179:180], v[179:180], v[185:186]
	v_fma_f64 v[183:184], v[8:9], v[22:23], v[183:184]
	v_fma_f64 v[187:188], v[6:7], v[22:23], -v[24:25]
	ds_load_b128 v[6:9], v1 offset:1600
	s_wait_loadcnt_dscnt 0x801
	v_mul_f64_e32 v[185:186], v[2:3], v[28:29]
	v_mul_f64_e32 v[28:29], v[4:5], v[28:29]
	scratch_load_b128 v[22:25], off, off offset:736
	v_add_f64_e32 v[177:178], v[177:178], v[189:190]
	v_add_f64_e32 v[179:180], v[179:180], v[181:182]
	s_wait_loadcnt_dscnt 0x800
	v_mul_f64_e32 v[181:182], v[6:7], v[32:33]
	v_mul_f64_e32 v[32:33], v[8:9], v[32:33]
	v_fma_f64 v[185:186], v[4:5], v[26:27], v[185:186]
	v_fma_f64 v[189:190], v[2:3], v[26:27], -v[28:29]
	ds_load_b128 v[2:5], v1 offset:1616
	scratch_load_b128 v[26:29], off, off offset:752
	v_add_f64_e32 v[177:178], v[177:178], v[187:188]
	v_add_f64_e32 v[179:180], v[179:180], v[183:184]
	v_fma_f64 v[181:182], v[8:9], v[30:31], v[181:182]
	v_fma_f64 v[187:188], v[6:7], v[30:31], -v[32:33]
	ds_load_b128 v[6:9], v1 offset:1632
	s_wait_loadcnt_dscnt 0x801
	v_mul_f64_e32 v[183:184], v[2:3], v[40:41]
	v_mul_f64_e32 v[40:41], v[4:5], v[40:41]
	scratch_load_b128 v[30:33], off, off offset:768
	v_add_f64_e32 v[177:178], v[177:178], v[189:190]
	v_add_f64_e32 v[179:180], v[179:180], v[185:186]
	s_wait_loadcnt_dscnt 0x800
	v_mul_f64_e32 v[185:186], v[6:7], v[175:176]
	v_mul_f64_e32 v[175:176], v[8:9], v[175:176]
	v_fma_f64 v[183:184], v[4:5], v[38:39], v[183:184]
	v_fma_f64 v[189:190], v[2:3], v[38:39], -v[40:41]
	ds_load_b128 v[2:5], v1 offset:1648
	scratch_load_b128 v[38:41], off, off offset:784
	v_add_f64_e32 v[177:178], v[177:178], v[187:188]
	v_add_f64_e32 v[179:180], v[179:180], v[181:182]
	v_fma_f64 v[185:186], v[8:9], v[173:174], v[185:186]
	v_fma_f64 v[187:188], v[6:7], v[173:174], -v[175:176]
	ds_load_b128 v[6:9], v1 offset:1664
	scratch_load_b128 v[173:176], off, off offset:800
	s_wait_loadcnt_dscnt 0x901
	v_mul_f64_e32 v[181:182], v[2:3], v[36:37]
	v_mul_f64_e32 v[36:37], v[4:5], v[36:37]
	v_add_f64_e32 v[177:178], v[177:178], v[189:190]
	v_add_f64_e32 v[179:180], v[179:180], v[183:184]
	s_wait_loadcnt_dscnt 0x800
	v_mul_f64_e32 v[183:184], v[6:7], v[171:172]
	v_mul_f64_e32 v[171:172], v[8:9], v[171:172]
	v_fma_f64 v[181:182], v[4:5], v[34:35], v[181:182]
	v_fma_f64 v[189:190], v[2:3], v[34:35], -v[36:37]
	ds_load_b128 v[2:5], v1 offset:1680
	scratch_load_b128 v[34:37], off, off offset:816
	v_add_f64_e32 v[177:178], v[177:178], v[187:188]
	v_add_f64_e32 v[179:180], v[179:180], v[185:186]
	v_fma_f64 v[183:184], v[8:9], v[169:170], v[183:184]
	v_fma_f64 v[187:188], v[6:7], v[169:170], -v[171:172]
	ds_load_b128 v[6:9], v1 offset:1696
	s_wait_loadcnt_dscnt 0x801
	v_mul_f64_e32 v[185:186], v[2:3], v[12:13]
	v_mul_f64_e32 v[12:13], v[4:5], v[12:13]
	scratch_load_b128 v[169:172], off, off offset:832
	v_add_f64_e32 v[177:178], v[177:178], v[189:190]
	v_add_f64_e32 v[179:180], v[179:180], v[181:182]
	s_wait_loadcnt_dscnt 0x800
	v_mul_f64_e32 v[181:182], v[6:7], v[16:17]
	v_mul_f64_e32 v[16:17], v[8:9], v[16:17]
	v_fma_f64 v[185:186], v[4:5], v[10:11], v[185:186]
	v_fma_f64 v[189:190], v[2:3], v[10:11], -v[12:13]
	ds_load_b128 v[2:5], v1 offset:1712
	scratch_load_b128 v[10:13], off, off offset:848
	v_add_f64_e32 v[177:178], v[177:178], v[187:188]
	v_add_f64_e32 v[179:180], v[179:180], v[183:184]
	v_fma_f64 v[181:182], v[8:9], v[14:15], v[181:182]
	v_fma_f64 v[187:188], v[6:7], v[14:15], -v[16:17]
	ds_load_b128 v[6:9], v1 offset:1728
	s_wait_loadcnt_dscnt 0x801
	v_mul_f64_e32 v[183:184], v[2:3], v[20:21]
	v_mul_f64_e32 v[20:21], v[4:5], v[20:21]
	scratch_load_b128 v[14:17], off, off offset:864
	;; [unrolled: 18-line block ×6, first 2 shown]
	v_add_f64_e32 v[177:178], v[177:178], v[189:190]
	v_add_f64_e32 v[179:180], v[179:180], v[183:184]
	s_wait_loadcnt_dscnt 0x800
	v_mul_f64_e32 v[183:184], v[6:7], v[16:17]
	v_mul_f64_e32 v[16:17], v[8:9], v[16:17]
	v_fma_f64 v[181:182], v[4:5], v[10:11], v[181:182]
	v_fma_f64 v[189:190], v[2:3], v[10:11], -v[12:13]
	ds_load_b128 v[2:5], v1 offset:1872
	scratch_load_b128 v[10:13], off, off offset:1008
	v_add_f64_e32 v[177:178], v[177:178], v[187:188]
	v_add_f64_e32 v[179:180], v[179:180], v[185:186]
	v_fma_f64 v[183:184], v[8:9], v[14:15], v[183:184]
	v_fma_f64 v[14:15], v[6:7], v[14:15], -v[16:17]
	ds_load_b128 v[6:9], v1 offset:1888
	s_wait_loadcnt_dscnt 0x801
	v_mul_f64_e32 v[185:186], v[2:3], v[20:21]
	v_mul_f64_e32 v[20:21], v[4:5], v[20:21]
	v_add_f64_e32 v[16:17], v[177:178], v[189:190]
	v_add_f64_e32 v[177:178], v[179:180], v[181:182]
	s_wait_loadcnt_dscnt 0x700
	v_mul_f64_e32 v[179:180], v[6:7], v[24:25]
	v_mul_f64_e32 v[24:25], v[8:9], v[24:25]
	v_fma_f64 v[181:182], v[4:5], v[18:19], v[185:186]
	v_fma_f64 v[18:19], v[2:3], v[18:19], -v[20:21]
	ds_load_b128 v[2:5], v1 offset:1904
	v_add_f64_e32 v[14:15], v[16:17], v[14:15]
	v_add_f64_e32 v[16:17], v[177:178], v[183:184]
	v_fma_f64 v[177:178], v[8:9], v[22:23], v[179:180]
	v_fma_f64 v[22:23], v[6:7], v[22:23], -v[24:25]
	ds_load_b128 v[6:9], v1 offset:1920
	s_wait_loadcnt_dscnt 0x500
	v_mul_f64_e32 v[179:180], v[6:7], v[32:33]
	v_mul_f64_e32 v[32:33], v[8:9], v[32:33]
	v_add_f64_e32 v[18:19], v[14:15], v[18:19]
	v_add_f64_e32 v[24:25], v[16:17], v[181:182]
	scratch_load_b128 v[14:17], off, off offset:480
	v_mul_f64_e32 v[20:21], v[2:3], v[28:29]
	v_mul_f64_e32 v[28:29], v[4:5], v[28:29]
	v_add_f64_e32 v[18:19], v[18:19], v[22:23]
	v_add_f64_e32 v[22:23], v[24:25], v[177:178]
	s_delay_alu instid0(VALU_DEP_4) | instskip(NEXT) | instid1(VALU_DEP_4)
	v_fma_f64 v[20:21], v[4:5], v[26:27], v[20:21]
	v_fma_f64 v[26:27], v[2:3], v[26:27], -v[28:29]
	ds_load_b128 v[2:5], v1 offset:1936
	s_wait_loadcnt_dscnt 0x500
	v_mul_f64_e32 v[24:25], v[2:3], v[40:41]
	v_mul_f64_e32 v[28:29], v[4:5], v[40:41]
	v_fma_f64 v[40:41], v[8:9], v[30:31], v[179:180]
	v_fma_f64 v[30:31], v[6:7], v[30:31], -v[32:33]
	ds_load_b128 v[6:9], v1 offset:1952
	v_add_f64_e32 v[20:21], v[22:23], v[20:21]
	v_add_f64_e32 v[18:19], v[18:19], v[26:27]
	v_fma_f64 v[24:25], v[4:5], v[38:39], v[24:25]
	v_fma_f64 v[28:29], v[2:3], v[38:39], -v[28:29]
	ds_load_b128 v[2:5], v1 offset:1968
	s_wait_loadcnt_dscnt 0x401
	v_mul_f64_e32 v[22:23], v[6:7], v[175:176]
	v_mul_f64_e32 v[26:27], v[8:9], v[175:176]
	v_add_f64_e32 v[20:21], v[20:21], v[40:41]
	v_add_f64_e32 v[18:19], v[18:19], v[30:31]
	s_wait_loadcnt_dscnt 0x300
	v_mul_f64_e32 v[30:31], v[2:3], v[36:37]
	v_mul_f64_e32 v[32:33], v[4:5], v[36:37]
	v_fma_f64 v[22:23], v[8:9], v[173:174], v[22:23]
	v_fma_f64 v[26:27], v[6:7], v[173:174], -v[26:27]
	ds_load_b128 v[6:9], v1 offset:1984
	v_add_f64_e32 v[20:21], v[20:21], v[24:25]
	v_add_f64_e32 v[18:19], v[18:19], v[28:29]
	v_fma_f64 v[30:31], v[4:5], v[34:35], v[30:31]
	v_fma_f64 v[32:33], v[2:3], v[34:35], -v[32:33]
	ds_load_b128 v[2:5], v1 offset:2000
	s_wait_loadcnt_dscnt 0x201
	v_mul_f64_e32 v[24:25], v[6:7], v[171:172]
	v_mul_f64_e32 v[28:29], v[8:9], v[171:172]
	v_add_f64_e32 v[20:21], v[20:21], v[22:23]
	v_add_f64_e32 v[18:19], v[18:19], v[26:27]
	s_wait_loadcnt_dscnt 0x100
	v_mul_f64_e32 v[22:23], v[2:3], v[12:13]
	v_mul_f64_e32 v[12:13], v[4:5], v[12:13]
	v_fma_f64 v[8:9], v[8:9], v[169:170], v[24:25]
	v_fma_f64 v[6:7], v[6:7], v[169:170], -v[28:29]
	v_add_f64_e32 v[20:21], v[20:21], v[30:31]
	v_add_f64_e32 v[18:19], v[18:19], v[32:33]
	v_fma_f64 v[4:5], v[4:5], v[10:11], v[22:23]
	v_fma_f64 v[2:3], v[2:3], v[10:11], -v[12:13]
	s_delay_alu instid0(VALU_DEP_4) | instskip(NEXT) | instid1(VALU_DEP_4)
	v_add_f64_e32 v[8:9], v[20:21], v[8:9]
	v_add_f64_e32 v[6:7], v[18:19], v[6:7]
	s_delay_alu instid0(VALU_DEP_2) | instskip(NEXT) | instid1(VALU_DEP_2)
	v_add_f64_e32 v[4:5], v[8:9], v[4:5]
	v_add_f64_e32 v[2:3], v[6:7], v[2:3]
	s_wait_loadcnt 0x0
	s_delay_alu instid0(VALU_DEP_2) | instskip(NEXT) | instid1(VALU_DEP_2)
	v_add_f64_e64 v[4:5], v[16:17], -v[4:5]
	v_add_f64_e64 v[2:3], v[14:15], -v[2:3]
	scratch_store_b128 off, v[2:5], off offset:480
	v_cmpx_lt_u32_e32 28, v0
	s_cbranch_execz .LBB126_347
; %bb.346:
	scratch_load_b128 v[5:8], off, s50
	v_dual_mov_b32 v2, v1 :: v_dual_mov_b32 v3, v1
	v_mov_b32_e32 v4, v1
	scratch_store_b128 off, v[1:4], off offset:464
	s_wait_loadcnt 0x0
	ds_store_b128 v168, v[5:8]
.LBB126_347:
	s_wait_alu 0xfffe
	s_or_b32 exec_lo, exec_lo, s0
	s_wait_storecnt_dscnt 0x0
	s_barrier_signal -1
	s_barrier_wait -1
	global_inv scope:SCOPE_SE
	s_clause 0x7
	scratch_load_b128 v[2:5], off, off offset:480
	scratch_load_b128 v[6:9], off, off offset:496
	;; [unrolled: 1-line block ×8, first 2 shown]
	ds_load_b128 v[38:41], v1 offset:1472
	ds_load_b128 v[169:172], v1 offset:1488
	s_clause 0x1
	scratch_load_b128 v[34:37], off, off offset:608
	scratch_load_b128 v[173:176], off, off offset:624
	s_mov_b32 s0, exec_lo
	s_wait_loadcnt_dscnt 0x901
	v_mul_f64_e32 v[177:178], v[40:41], v[4:5]
	v_mul_f64_e32 v[4:5], v[38:39], v[4:5]
	s_wait_loadcnt_dscnt 0x800
	v_mul_f64_e32 v[179:180], v[169:170], v[8:9]
	v_mul_f64_e32 v[8:9], v[171:172], v[8:9]
	s_delay_alu instid0(VALU_DEP_4) | instskip(NEXT) | instid1(VALU_DEP_4)
	v_fma_f64 v[177:178], v[38:39], v[2:3], -v[177:178]
	v_fma_f64 v[181:182], v[40:41], v[2:3], v[4:5]
	ds_load_b128 v[2:5], v1 offset:1504
	scratch_load_b128 v[38:41], off, off offset:640
	v_fma_f64 v[179:180], v[171:172], v[6:7], v[179:180]
	v_fma_f64 v[185:186], v[169:170], v[6:7], -v[8:9]
	ds_load_b128 v[6:9], v1 offset:1520
	scratch_load_b128 v[169:172], off, off offset:656
	s_wait_loadcnt_dscnt 0x901
	v_mul_f64_e32 v[183:184], v[2:3], v[12:13]
	v_mul_f64_e32 v[12:13], v[4:5], v[12:13]
	s_wait_loadcnt_dscnt 0x800
	v_mul_f64_e32 v[187:188], v[6:7], v[16:17]
	v_mul_f64_e32 v[16:17], v[8:9], v[16:17]
	v_add_f64_e32 v[177:178], 0, v[177:178]
	v_add_f64_e32 v[181:182], 0, v[181:182]
	v_fma_f64 v[183:184], v[4:5], v[10:11], v[183:184]
	v_fma_f64 v[189:190], v[2:3], v[10:11], -v[12:13]
	ds_load_b128 v[2:5], v1 offset:1536
	scratch_load_b128 v[10:13], off, off offset:672
	v_add_f64_e32 v[177:178], v[177:178], v[185:186]
	v_add_f64_e32 v[179:180], v[181:182], v[179:180]
	v_fma_f64 v[185:186], v[8:9], v[14:15], v[187:188]
	v_fma_f64 v[187:188], v[6:7], v[14:15], -v[16:17]
	ds_load_b128 v[6:9], v1 offset:1552
	scratch_load_b128 v[14:17], off, off offset:688
	s_wait_loadcnt_dscnt 0x901
	v_mul_f64_e32 v[181:182], v[2:3], v[20:21]
	v_mul_f64_e32 v[20:21], v[4:5], v[20:21]
	v_add_f64_e32 v[177:178], v[177:178], v[189:190]
	v_add_f64_e32 v[179:180], v[179:180], v[183:184]
	s_wait_loadcnt_dscnt 0x800
	v_mul_f64_e32 v[183:184], v[6:7], v[24:25]
	v_mul_f64_e32 v[24:25], v[8:9], v[24:25]
	v_fma_f64 v[181:182], v[4:5], v[18:19], v[181:182]
	v_fma_f64 v[189:190], v[2:3], v[18:19], -v[20:21]
	ds_load_b128 v[2:5], v1 offset:1568
	scratch_load_b128 v[18:21], off, off offset:704
	v_add_f64_e32 v[177:178], v[177:178], v[187:188]
	v_add_f64_e32 v[179:180], v[179:180], v[185:186]
	v_fma_f64 v[183:184], v[8:9], v[22:23], v[183:184]
	v_fma_f64 v[187:188], v[6:7], v[22:23], -v[24:25]
	ds_load_b128 v[6:9], v1 offset:1584
	s_wait_loadcnt_dscnt 0x801
	v_mul_f64_e32 v[185:186], v[2:3], v[28:29]
	v_mul_f64_e32 v[28:29], v[4:5], v[28:29]
	scratch_load_b128 v[22:25], off, off offset:720
	v_add_f64_e32 v[177:178], v[177:178], v[189:190]
	v_add_f64_e32 v[179:180], v[179:180], v[181:182]
	s_wait_loadcnt_dscnt 0x800
	v_mul_f64_e32 v[181:182], v[6:7], v[32:33]
	v_mul_f64_e32 v[32:33], v[8:9], v[32:33]
	v_fma_f64 v[185:186], v[4:5], v[26:27], v[185:186]
	v_fma_f64 v[189:190], v[2:3], v[26:27], -v[28:29]
	ds_load_b128 v[2:5], v1 offset:1600
	scratch_load_b128 v[26:29], off, off offset:736
	v_add_f64_e32 v[177:178], v[177:178], v[187:188]
	v_add_f64_e32 v[179:180], v[179:180], v[183:184]
	v_fma_f64 v[181:182], v[8:9], v[30:31], v[181:182]
	v_fma_f64 v[187:188], v[6:7], v[30:31], -v[32:33]
	ds_load_b128 v[6:9], v1 offset:1616
	s_wait_loadcnt_dscnt 0x801
	v_mul_f64_e32 v[183:184], v[2:3], v[36:37]
	v_mul_f64_e32 v[36:37], v[4:5], v[36:37]
	scratch_load_b128 v[30:33], off, off offset:752
	v_add_f64_e32 v[177:178], v[177:178], v[189:190]
	v_add_f64_e32 v[179:180], v[179:180], v[185:186]
	s_wait_loadcnt_dscnt 0x800
	v_mul_f64_e32 v[185:186], v[6:7], v[175:176]
	v_mul_f64_e32 v[175:176], v[8:9], v[175:176]
	v_fma_f64 v[183:184], v[4:5], v[34:35], v[183:184]
	v_fma_f64 v[189:190], v[2:3], v[34:35], -v[36:37]
	ds_load_b128 v[2:5], v1 offset:1632
	scratch_load_b128 v[34:37], off, off offset:768
	v_add_f64_e32 v[177:178], v[177:178], v[187:188]
	v_add_f64_e32 v[179:180], v[179:180], v[181:182]
	v_fma_f64 v[185:186], v[8:9], v[173:174], v[185:186]
	v_fma_f64 v[187:188], v[6:7], v[173:174], -v[175:176]
	ds_load_b128 v[6:9], v1 offset:1648
	scratch_load_b128 v[173:176], off, off offset:784
	s_wait_loadcnt_dscnt 0x901
	v_mul_f64_e32 v[181:182], v[2:3], v[40:41]
	v_mul_f64_e32 v[40:41], v[4:5], v[40:41]
	v_add_f64_e32 v[177:178], v[177:178], v[189:190]
	v_add_f64_e32 v[179:180], v[179:180], v[183:184]
	s_wait_loadcnt_dscnt 0x800
	v_mul_f64_e32 v[183:184], v[6:7], v[171:172]
	v_mul_f64_e32 v[171:172], v[8:9], v[171:172]
	v_fma_f64 v[181:182], v[4:5], v[38:39], v[181:182]
	v_fma_f64 v[189:190], v[2:3], v[38:39], -v[40:41]
	ds_load_b128 v[2:5], v1 offset:1664
	scratch_load_b128 v[38:41], off, off offset:800
	v_add_f64_e32 v[177:178], v[177:178], v[187:188]
	v_add_f64_e32 v[179:180], v[179:180], v[185:186]
	v_fma_f64 v[183:184], v[8:9], v[169:170], v[183:184]
	v_fma_f64 v[187:188], v[6:7], v[169:170], -v[171:172]
	ds_load_b128 v[6:9], v1 offset:1680
	s_wait_loadcnt_dscnt 0x801
	v_mul_f64_e32 v[185:186], v[2:3], v[12:13]
	v_mul_f64_e32 v[12:13], v[4:5], v[12:13]
	scratch_load_b128 v[169:172], off, off offset:816
	v_add_f64_e32 v[177:178], v[177:178], v[189:190]
	v_add_f64_e32 v[179:180], v[179:180], v[181:182]
	s_wait_loadcnt_dscnt 0x800
	v_mul_f64_e32 v[181:182], v[6:7], v[16:17]
	v_mul_f64_e32 v[16:17], v[8:9], v[16:17]
	v_fma_f64 v[185:186], v[4:5], v[10:11], v[185:186]
	v_fma_f64 v[189:190], v[2:3], v[10:11], -v[12:13]
	ds_load_b128 v[2:5], v1 offset:1696
	scratch_load_b128 v[10:13], off, off offset:832
	v_add_f64_e32 v[177:178], v[177:178], v[187:188]
	v_add_f64_e32 v[179:180], v[179:180], v[183:184]
	v_fma_f64 v[181:182], v[8:9], v[14:15], v[181:182]
	v_fma_f64 v[187:188], v[6:7], v[14:15], -v[16:17]
	ds_load_b128 v[6:9], v1 offset:1712
	s_wait_loadcnt_dscnt 0x801
	v_mul_f64_e32 v[183:184], v[2:3], v[20:21]
	v_mul_f64_e32 v[20:21], v[4:5], v[20:21]
	scratch_load_b128 v[14:17], off, off offset:848
	;; [unrolled: 18-line block ×7, first 2 shown]
	v_add_f64_e32 v[177:178], v[177:178], v[189:190]
	v_add_f64_e32 v[179:180], v[179:180], v[181:182]
	s_wait_loadcnt_dscnt 0x800
	v_mul_f64_e32 v[181:182], v[6:7], v[24:25]
	v_mul_f64_e32 v[24:25], v[8:9], v[24:25]
	v_fma_f64 v[185:186], v[4:5], v[18:19], v[185:186]
	v_fma_f64 v[18:19], v[2:3], v[18:19], -v[20:21]
	ds_load_b128 v[2:5], v1 offset:1888
	v_add_f64_e32 v[20:21], v[177:178], v[187:188]
	v_add_f64_e32 v[177:178], v[179:180], v[183:184]
	v_fma_f64 v[181:182], v[8:9], v[22:23], v[181:182]
	v_fma_f64 v[22:23], v[6:7], v[22:23], -v[24:25]
	ds_load_b128 v[6:9], v1 offset:1904
	s_wait_loadcnt_dscnt 0x701
	v_mul_f64_e32 v[179:180], v[2:3], v[28:29]
	v_mul_f64_e32 v[28:29], v[4:5], v[28:29]
	v_add_f64_e32 v[18:19], v[20:21], v[18:19]
	v_add_f64_e32 v[20:21], v[177:178], v[185:186]
	s_delay_alu instid0(VALU_DEP_4) | instskip(NEXT) | instid1(VALU_DEP_4)
	v_fma_f64 v[177:178], v[4:5], v[26:27], v[179:180]
	v_fma_f64 v[26:27], v[2:3], v[26:27], -v[28:29]
	ds_load_b128 v[2:5], v1 offset:1920
	v_add_f64_e32 v[22:23], v[18:19], v[22:23]
	v_add_f64_e32 v[28:29], v[20:21], v[181:182]
	scratch_load_b128 v[18:21], off, off offset:464
	s_wait_loadcnt_dscnt 0x701
	v_mul_f64_e32 v[24:25], v[6:7], v[32:33]
	v_mul_f64_e32 v[32:33], v[8:9], v[32:33]
	v_add_f64_e32 v[22:23], v[22:23], v[26:27]
	v_add_f64_e32 v[26:27], v[28:29], v[177:178]
	s_delay_alu instid0(VALU_DEP_4) | instskip(NEXT) | instid1(VALU_DEP_4)
	v_fma_f64 v[24:25], v[8:9], v[30:31], v[24:25]
	v_fma_f64 v[30:31], v[6:7], v[30:31], -v[32:33]
	ds_load_b128 v[6:9], v1 offset:1936
	s_wait_loadcnt_dscnt 0x601
	v_mul_f64_e32 v[179:180], v[2:3], v[36:37]
	v_mul_f64_e32 v[36:37], v[4:5], v[36:37]
	s_wait_loadcnt_dscnt 0x500
	v_mul_f64_e32 v[28:29], v[6:7], v[175:176]
	v_mul_f64_e32 v[32:33], v[8:9], v[175:176]
	v_add_f64_e32 v[24:25], v[26:27], v[24:25]
	v_add_f64_e32 v[22:23], v[22:23], v[30:31]
	v_fma_f64 v[175:176], v[4:5], v[34:35], v[179:180]
	v_fma_f64 v[34:35], v[2:3], v[34:35], -v[36:37]
	ds_load_b128 v[2:5], v1 offset:1952
	v_fma_f64 v[28:29], v[8:9], v[173:174], v[28:29]
	v_fma_f64 v[32:33], v[6:7], v[173:174], -v[32:33]
	ds_load_b128 v[6:9], v1 offset:1968
	s_wait_loadcnt_dscnt 0x401
	v_mul_f64_e32 v[26:27], v[2:3], v[40:41]
	v_mul_f64_e32 v[30:31], v[4:5], v[40:41]
	v_add_f64_e32 v[24:25], v[24:25], v[175:176]
	v_add_f64_e32 v[22:23], v[22:23], v[34:35]
	s_wait_loadcnt_dscnt 0x300
	v_mul_f64_e32 v[34:35], v[6:7], v[171:172]
	v_mul_f64_e32 v[36:37], v[8:9], v[171:172]
	v_fma_f64 v[26:27], v[4:5], v[38:39], v[26:27]
	v_fma_f64 v[30:31], v[2:3], v[38:39], -v[30:31]
	ds_load_b128 v[2:5], v1 offset:1984
	v_add_f64_e32 v[24:25], v[24:25], v[28:29]
	v_add_f64_e32 v[22:23], v[22:23], v[32:33]
	v_fma_f64 v[32:33], v[8:9], v[169:170], v[34:35]
	v_fma_f64 v[34:35], v[6:7], v[169:170], -v[36:37]
	ds_load_b128 v[6:9], v1 offset:2000
	s_wait_loadcnt_dscnt 0x201
	v_mul_f64_e32 v[28:29], v[2:3], v[12:13]
	v_mul_f64_e32 v[12:13], v[4:5], v[12:13]
	v_add_f64_e32 v[24:25], v[24:25], v[26:27]
	v_add_f64_e32 v[22:23], v[22:23], v[30:31]
	s_wait_loadcnt_dscnt 0x100
	v_mul_f64_e32 v[26:27], v[6:7], v[16:17]
	v_mul_f64_e32 v[16:17], v[8:9], v[16:17]
	v_fma_f64 v[4:5], v[4:5], v[10:11], v[28:29]
	v_fma_f64 v[1:2], v[2:3], v[10:11], -v[12:13]
	v_add_f64_e32 v[12:13], v[24:25], v[32:33]
	v_add_f64_e32 v[10:11], v[22:23], v[34:35]
	v_fma_f64 v[8:9], v[8:9], v[14:15], v[26:27]
	v_fma_f64 v[6:7], v[6:7], v[14:15], -v[16:17]
	s_delay_alu instid0(VALU_DEP_4) | instskip(NEXT) | instid1(VALU_DEP_4)
	v_add_f64_e32 v[3:4], v[12:13], v[4:5]
	v_add_f64_e32 v[1:2], v[10:11], v[1:2]
	s_delay_alu instid0(VALU_DEP_2) | instskip(NEXT) | instid1(VALU_DEP_2)
	v_add_f64_e32 v[3:4], v[3:4], v[8:9]
	v_add_f64_e32 v[1:2], v[1:2], v[6:7]
	s_wait_loadcnt 0x0
	s_delay_alu instid0(VALU_DEP_2) | instskip(NEXT) | instid1(VALU_DEP_2)
	v_add_f64_e64 v[3:4], v[20:21], -v[3:4]
	v_add_f64_e64 v[1:2], v[18:19], -v[1:2]
	scratch_store_b128 off, v[1:4], off offset:464
	v_cmpx_lt_u32_e32 27, v0
	s_cbranch_execz .LBB126_349
; %bb.348:
	scratch_load_b128 v[1:4], off, s51
	v_mov_b32_e32 v5, 0
	s_delay_alu instid0(VALU_DEP_1)
	v_dual_mov_b32 v6, v5 :: v_dual_mov_b32 v7, v5
	v_mov_b32_e32 v8, v5
	scratch_store_b128 off, v[5:8], off offset:448
	s_wait_loadcnt 0x0
	ds_store_b128 v168, v[1:4]
.LBB126_349:
	s_wait_alu 0xfffe
	s_or_b32 exec_lo, exec_lo, s0
	s_wait_storecnt_dscnt 0x0
	s_barrier_signal -1
	s_barrier_wait -1
	global_inv scope:SCOPE_SE
	s_clause 0x7
	scratch_load_b128 v[2:5], off, off offset:464
	scratch_load_b128 v[6:9], off, off offset:480
	;; [unrolled: 1-line block ×8, first 2 shown]
	v_mov_b32_e32 v1, 0
	s_clause 0x1
	scratch_load_b128 v[34:37], off, off offset:592
	scratch_load_b128 v[173:176], off, off offset:608
	s_mov_b32 s0, exec_lo
	ds_load_b128 v[38:41], v1 offset:1456
	ds_load_b128 v[169:172], v1 offset:1472
	s_wait_loadcnt_dscnt 0x901
	v_mul_f64_e32 v[177:178], v[40:41], v[4:5]
	v_mul_f64_e32 v[4:5], v[38:39], v[4:5]
	s_wait_loadcnt_dscnt 0x800
	v_mul_f64_e32 v[179:180], v[169:170], v[8:9]
	v_mul_f64_e32 v[8:9], v[171:172], v[8:9]
	s_delay_alu instid0(VALU_DEP_4) | instskip(NEXT) | instid1(VALU_DEP_4)
	v_fma_f64 v[177:178], v[38:39], v[2:3], -v[177:178]
	v_fma_f64 v[181:182], v[40:41], v[2:3], v[4:5]
	ds_load_b128 v[2:5], v1 offset:1488
	scratch_load_b128 v[38:41], off, off offset:624
	v_fma_f64 v[179:180], v[171:172], v[6:7], v[179:180]
	v_fma_f64 v[185:186], v[169:170], v[6:7], -v[8:9]
	ds_load_b128 v[6:9], v1 offset:1504
	scratch_load_b128 v[169:172], off, off offset:640
	s_wait_loadcnt_dscnt 0x901
	v_mul_f64_e32 v[183:184], v[2:3], v[12:13]
	v_mul_f64_e32 v[12:13], v[4:5], v[12:13]
	s_wait_loadcnt_dscnt 0x800
	v_mul_f64_e32 v[187:188], v[6:7], v[16:17]
	v_mul_f64_e32 v[16:17], v[8:9], v[16:17]
	v_add_f64_e32 v[177:178], 0, v[177:178]
	v_add_f64_e32 v[181:182], 0, v[181:182]
	v_fma_f64 v[183:184], v[4:5], v[10:11], v[183:184]
	v_fma_f64 v[189:190], v[2:3], v[10:11], -v[12:13]
	ds_load_b128 v[2:5], v1 offset:1520
	scratch_load_b128 v[10:13], off, off offset:656
	v_add_f64_e32 v[177:178], v[177:178], v[185:186]
	v_add_f64_e32 v[179:180], v[181:182], v[179:180]
	v_fma_f64 v[185:186], v[8:9], v[14:15], v[187:188]
	v_fma_f64 v[187:188], v[6:7], v[14:15], -v[16:17]
	ds_load_b128 v[6:9], v1 offset:1536
	scratch_load_b128 v[14:17], off, off offset:672
	s_wait_loadcnt_dscnt 0x901
	v_mul_f64_e32 v[181:182], v[2:3], v[20:21]
	v_mul_f64_e32 v[20:21], v[4:5], v[20:21]
	v_add_f64_e32 v[177:178], v[177:178], v[189:190]
	v_add_f64_e32 v[179:180], v[179:180], v[183:184]
	s_wait_loadcnt_dscnt 0x800
	v_mul_f64_e32 v[183:184], v[6:7], v[24:25]
	v_mul_f64_e32 v[24:25], v[8:9], v[24:25]
	v_fma_f64 v[181:182], v[4:5], v[18:19], v[181:182]
	v_fma_f64 v[189:190], v[2:3], v[18:19], -v[20:21]
	ds_load_b128 v[2:5], v1 offset:1552
	scratch_load_b128 v[18:21], off, off offset:688
	v_add_f64_e32 v[177:178], v[177:178], v[187:188]
	v_add_f64_e32 v[179:180], v[179:180], v[185:186]
	v_fma_f64 v[183:184], v[8:9], v[22:23], v[183:184]
	v_fma_f64 v[187:188], v[6:7], v[22:23], -v[24:25]
	ds_load_b128 v[6:9], v1 offset:1568
	s_wait_loadcnt_dscnt 0x801
	v_mul_f64_e32 v[185:186], v[2:3], v[28:29]
	v_mul_f64_e32 v[28:29], v[4:5], v[28:29]
	scratch_load_b128 v[22:25], off, off offset:704
	v_add_f64_e32 v[177:178], v[177:178], v[189:190]
	v_add_f64_e32 v[179:180], v[179:180], v[181:182]
	s_wait_loadcnt_dscnt 0x800
	v_mul_f64_e32 v[181:182], v[6:7], v[32:33]
	v_mul_f64_e32 v[32:33], v[8:9], v[32:33]
	v_fma_f64 v[185:186], v[4:5], v[26:27], v[185:186]
	v_fma_f64 v[189:190], v[2:3], v[26:27], -v[28:29]
	ds_load_b128 v[2:5], v1 offset:1584
	scratch_load_b128 v[26:29], off, off offset:720
	v_add_f64_e32 v[177:178], v[177:178], v[187:188]
	v_add_f64_e32 v[179:180], v[179:180], v[183:184]
	v_fma_f64 v[181:182], v[8:9], v[30:31], v[181:182]
	v_fma_f64 v[187:188], v[6:7], v[30:31], -v[32:33]
	ds_load_b128 v[6:9], v1 offset:1600
	s_wait_loadcnt_dscnt 0x801
	v_mul_f64_e32 v[183:184], v[2:3], v[36:37]
	v_mul_f64_e32 v[36:37], v[4:5], v[36:37]
	scratch_load_b128 v[30:33], off, off offset:736
	v_add_f64_e32 v[177:178], v[177:178], v[189:190]
	v_add_f64_e32 v[179:180], v[179:180], v[185:186]
	s_wait_loadcnt_dscnt 0x800
	v_mul_f64_e32 v[185:186], v[6:7], v[175:176]
	v_mul_f64_e32 v[175:176], v[8:9], v[175:176]
	v_fma_f64 v[183:184], v[4:5], v[34:35], v[183:184]
	v_fma_f64 v[189:190], v[2:3], v[34:35], -v[36:37]
	ds_load_b128 v[2:5], v1 offset:1616
	scratch_load_b128 v[34:37], off, off offset:752
	v_add_f64_e32 v[177:178], v[177:178], v[187:188]
	v_add_f64_e32 v[179:180], v[179:180], v[181:182]
	v_fma_f64 v[185:186], v[8:9], v[173:174], v[185:186]
	v_fma_f64 v[187:188], v[6:7], v[173:174], -v[175:176]
	ds_load_b128 v[6:9], v1 offset:1632
	scratch_load_b128 v[173:176], off, off offset:768
	s_wait_loadcnt_dscnt 0x901
	v_mul_f64_e32 v[181:182], v[2:3], v[40:41]
	v_mul_f64_e32 v[40:41], v[4:5], v[40:41]
	v_add_f64_e32 v[177:178], v[177:178], v[189:190]
	v_add_f64_e32 v[179:180], v[179:180], v[183:184]
	s_wait_loadcnt_dscnt 0x800
	v_mul_f64_e32 v[183:184], v[6:7], v[171:172]
	v_mul_f64_e32 v[171:172], v[8:9], v[171:172]
	v_fma_f64 v[181:182], v[4:5], v[38:39], v[181:182]
	v_fma_f64 v[189:190], v[2:3], v[38:39], -v[40:41]
	ds_load_b128 v[2:5], v1 offset:1648
	scratch_load_b128 v[38:41], off, off offset:784
	v_add_f64_e32 v[177:178], v[177:178], v[187:188]
	v_add_f64_e32 v[179:180], v[179:180], v[185:186]
	v_fma_f64 v[183:184], v[8:9], v[169:170], v[183:184]
	v_fma_f64 v[187:188], v[6:7], v[169:170], -v[171:172]
	ds_load_b128 v[6:9], v1 offset:1664
	s_wait_loadcnt_dscnt 0x801
	v_mul_f64_e32 v[185:186], v[2:3], v[12:13]
	v_mul_f64_e32 v[12:13], v[4:5], v[12:13]
	scratch_load_b128 v[169:172], off, off offset:800
	v_add_f64_e32 v[177:178], v[177:178], v[189:190]
	v_add_f64_e32 v[179:180], v[179:180], v[181:182]
	s_wait_loadcnt_dscnt 0x800
	v_mul_f64_e32 v[181:182], v[6:7], v[16:17]
	v_mul_f64_e32 v[16:17], v[8:9], v[16:17]
	v_fma_f64 v[185:186], v[4:5], v[10:11], v[185:186]
	v_fma_f64 v[189:190], v[2:3], v[10:11], -v[12:13]
	ds_load_b128 v[2:5], v1 offset:1680
	scratch_load_b128 v[10:13], off, off offset:816
	v_add_f64_e32 v[177:178], v[177:178], v[187:188]
	v_add_f64_e32 v[179:180], v[179:180], v[183:184]
	v_fma_f64 v[181:182], v[8:9], v[14:15], v[181:182]
	v_fma_f64 v[187:188], v[6:7], v[14:15], -v[16:17]
	ds_load_b128 v[6:9], v1 offset:1696
	s_wait_loadcnt_dscnt 0x801
	v_mul_f64_e32 v[183:184], v[2:3], v[20:21]
	v_mul_f64_e32 v[20:21], v[4:5], v[20:21]
	scratch_load_b128 v[14:17], off, off offset:832
	;; [unrolled: 18-line block ×7, first 2 shown]
	v_add_f64_e32 v[177:178], v[177:178], v[189:190]
	v_add_f64_e32 v[179:180], v[179:180], v[181:182]
	s_wait_loadcnt_dscnt 0x800
	v_mul_f64_e32 v[181:182], v[6:7], v[24:25]
	v_mul_f64_e32 v[24:25], v[8:9], v[24:25]
	v_fma_f64 v[185:186], v[4:5], v[18:19], v[185:186]
	v_fma_f64 v[189:190], v[2:3], v[18:19], -v[20:21]
	ds_load_b128 v[2:5], v1 offset:1872
	scratch_load_b128 v[18:21], off, off offset:1008
	v_add_f64_e32 v[177:178], v[177:178], v[187:188]
	v_add_f64_e32 v[179:180], v[179:180], v[183:184]
	v_fma_f64 v[181:182], v[8:9], v[22:23], v[181:182]
	v_fma_f64 v[22:23], v[6:7], v[22:23], -v[24:25]
	ds_load_b128 v[6:9], v1 offset:1888
	s_wait_loadcnt_dscnt 0x801
	v_mul_f64_e32 v[183:184], v[2:3], v[28:29]
	v_mul_f64_e32 v[28:29], v[4:5], v[28:29]
	v_add_f64_e32 v[24:25], v[177:178], v[189:190]
	v_add_f64_e32 v[177:178], v[179:180], v[185:186]
	s_wait_loadcnt_dscnt 0x700
	v_mul_f64_e32 v[179:180], v[6:7], v[32:33]
	v_mul_f64_e32 v[32:33], v[8:9], v[32:33]
	v_fma_f64 v[183:184], v[4:5], v[26:27], v[183:184]
	v_fma_f64 v[26:27], v[2:3], v[26:27], -v[28:29]
	ds_load_b128 v[2:5], v1 offset:1904
	v_add_f64_e32 v[22:23], v[24:25], v[22:23]
	v_add_f64_e32 v[24:25], v[177:178], v[181:182]
	v_fma_f64 v[177:178], v[8:9], v[30:31], v[179:180]
	v_fma_f64 v[30:31], v[6:7], v[30:31], -v[32:33]
	ds_load_b128 v[6:9], v1 offset:1920
	s_wait_loadcnt_dscnt 0x500
	v_mul_f64_e32 v[179:180], v[6:7], v[175:176]
	v_mul_f64_e32 v[175:176], v[8:9], v[175:176]
	v_add_f64_e32 v[26:27], v[22:23], v[26:27]
	v_add_f64_e32 v[32:33], v[24:25], v[183:184]
	scratch_load_b128 v[22:25], off, off offset:448
	v_mul_f64_e32 v[28:29], v[2:3], v[36:37]
	v_mul_f64_e32 v[36:37], v[4:5], v[36:37]
	v_add_f64_e32 v[26:27], v[26:27], v[30:31]
	v_add_f64_e32 v[30:31], v[32:33], v[177:178]
	s_delay_alu instid0(VALU_DEP_4) | instskip(NEXT) | instid1(VALU_DEP_4)
	v_fma_f64 v[28:29], v[4:5], v[34:35], v[28:29]
	v_fma_f64 v[34:35], v[2:3], v[34:35], -v[36:37]
	ds_load_b128 v[2:5], v1 offset:1936
	s_wait_loadcnt_dscnt 0x500
	v_mul_f64_e32 v[32:33], v[2:3], v[40:41]
	v_mul_f64_e32 v[36:37], v[4:5], v[40:41]
	v_fma_f64 v[40:41], v[8:9], v[173:174], v[179:180]
	v_fma_f64 v[173:174], v[6:7], v[173:174], -v[175:176]
	ds_load_b128 v[6:9], v1 offset:1952
	v_add_f64_e32 v[28:29], v[30:31], v[28:29]
	v_add_f64_e32 v[26:27], v[26:27], v[34:35]
	v_fma_f64 v[32:33], v[4:5], v[38:39], v[32:33]
	v_fma_f64 v[36:37], v[2:3], v[38:39], -v[36:37]
	ds_load_b128 v[2:5], v1 offset:1968
	s_wait_loadcnt_dscnt 0x401
	v_mul_f64_e32 v[30:31], v[6:7], v[171:172]
	v_mul_f64_e32 v[34:35], v[8:9], v[171:172]
	v_add_f64_e32 v[28:29], v[28:29], v[40:41]
	v_add_f64_e32 v[26:27], v[26:27], v[173:174]
	s_wait_loadcnt_dscnt 0x300
	v_mul_f64_e32 v[38:39], v[2:3], v[12:13]
	v_mul_f64_e32 v[12:13], v[4:5], v[12:13]
	v_fma_f64 v[30:31], v[8:9], v[169:170], v[30:31]
	v_fma_f64 v[34:35], v[6:7], v[169:170], -v[34:35]
	ds_load_b128 v[6:9], v1 offset:1984
	v_add_f64_e32 v[28:29], v[28:29], v[32:33]
	v_add_f64_e32 v[26:27], v[26:27], v[36:37]
	v_fma_f64 v[36:37], v[4:5], v[10:11], v[38:39]
	v_fma_f64 v[10:11], v[2:3], v[10:11], -v[12:13]
	ds_load_b128 v[2:5], v1 offset:2000
	s_wait_loadcnt_dscnt 0x201
	v_mul_f64_e32 v[32:33], v[6:7], v[16:17]
	v_mul_f64_e32 v[16:17], v[8:9], v[16:17]
	v_add_f64_e32 v[12:13], v[26:27], v[34:35]
	v_add_f64_e32 v[26:27], v[28:29], v[30:31]
	s_wait_loadcnt_dscnt 0x100
	v_mul_f64_e32 v[28:29], v[2:3], v[20:21]
	v_mul_f64_e32 v[20:21], v[4:5], v[20:21]
	v_fma_f64 v[8:9], v[8:9], v[14:15], v[32:33]
	v_fma_f64 v[6:7], v[6:7], v[14:15], -v[16:17]
	v_add_f64_e32 v[10:11], v[12:13], v[10:11]
	v_add_f64_e32 v[12:13], v[26:27], v[36:37]
	v_fma_f64 v[4:5], v[4:5], v[18:19], v[28:29]
	v_fma_f64 v[2:3], v[2:3], v[18:19], -v[20:21]
	s_delay_alu instid0(VALU_DEP_4) | instskip(NEXT) | instid1(VALU_DEP_4)
	v_add_f64_e32 v[6:7], v[10:11], v[6:7]
	v_add_f64_e32 v[8:9], v[12:13], v[8:9]
	s_delay_alu instid0(VALU_DEP_2) | instskip(NEXT) | instid1(VALU_DEP_2)
	v_add_f64_e32 v[2:3], v[6:7], v[2:3]
	v_add_f64_e32 v[4:5], v[8:9], v[4:5]
	s_wait_loadcnt 0x0
	s_delay_alu instid0(VALU_DEP_2) | instskip(NEXT) | instid1(VALU_DEP_2)
	v_add_f64_e64 v[2:3], v[22:23], -v[2:3]
	v_add_f64_e64 v[4:5], v[24:25], -v[4:5]
	scratch_store_b128 off, v[2:5], off offset:448
	v_cmpx_lt_u32_e32 26, v0
	s_cbranch_execz .LBB126_351
; %bb.350:
	scratch_load_b128 v[5:8], off, s52
	v_dual_mov_b32 v2, v1 :: v_dual_mov_b32 v3, v1
	v_mov_b32_e32 v4, v1
	scratch_store_b128 off, v[1:4], off offset:432
	s_wait_loadcnt 0x0
	ds_store_b128 v168, v[5:8]
.LBB126_351:
	s_wait_alu 0xfffe
	s_or_b32 exec_lo, exec_lo, s0
	s_wait_storecnt_dscnt 0x0
	s_barrier_signal -1
	s_barrier_wait -1
	global_inv scope:SCOPE_SE
	s_clause 0x7
	scratch_load_b128 v[2:5], off, off offset:448
	scratch_load_b128 v[6:9], off, off offset:464
	scratch_load_b128 v[10:13], off, off offset:480
	scratch_load_b128 v[14:17], off, off offset:496
	scratch_load_b128 v[18:21], off, off offset:512
	scratch_load_b128 v[22:25], off, off offset:528
	scratch_load_b128 v[26:29], off, off offset:544
	scratch_load_b128 v[30:33], off, off offset:560
	ds_load_b128 v[38:41], v1 offset:1440
	ds_load_b128 v[169:172], v1 offset:1456
	s_clause 0x1
	scratch_load_b128 v[34:37], off, off offset:576
	scratch_load_b128 v[173:176], off, off offset:592
	s_mov_b32 s0, exec_lo
	s_wait_loadcnt_dscnt 0x901
	v_mul_f64_e32 v[177:178], v[40:41], v[4:5]
	v_mul_f64_e32 v[4:5], v[38:39], v[4:5]
	s_wait_loadcnt_dscnt 0x800
	v_mul_f64_e32 v[179:180], v[169:170], v[8:9]
	v_mul_f64_e32 v[8:9], v[171:172], v[8:9]
	s_delay_alu instid0(VALU_DEP_4) | instskip(NEXT) | instid1(VALU_DEP_4)
	v_fma_f64 v[177:178], v[38:39], v[2:3], -v[177:178]
	v_fma_f64 v[181:182], v[40:41], v[2:3], v[4:5]
	ds_load_b128 v[2:5], v1 offset:1472
	scratch_load_b128 v[38:41], off, off offset:608
	v_fma_f64 v[179:180], v[171:172], v[6:7], v[179:180]
	v_fma_f64 v[185:186], v[169:170], v[6:7], -v[8:9]
	ds_load_b128 v[6:9], v1 offset:1488
	scratch_load_b128 v[169:172], off, off offset:624
	s_wait_loadcnt_dscnt 0x901
	v_mul_f64_e32 v[183:184], v[2:3], v[12:13]
	v_mul_f64_e32 v[12:13], v[4:5], v[12:13]
	s_wait_loadcnt_dscnt 0x800
	v_mul_f64_e32 v[187:188], v[6:7], v[16:17]
	v_mul_f64_e32 v[16:17], v[8:9], v[16:17]
	v_add_f64_e32 v[177:178], 0, v[177:178]
	v_add_f64_e32 v[181:182], 0, v[181:182]
	v_fma_f64 v[183:184], v[4:5], v[10:11], v[183:184]
	v_fma_f64 v[189:190], v[2:3], v[10:11], -v[12:13]
	ds_load_b128 v[2:5], v1 offset:1504
	scratch_load_b128 v[10:13], off, off offset:640
	v_add_f64_e32 v[177:178], v[177:178], v[185:186]
	v_add_f64_e32 v[179:180], v[181:182], v[179:180]
	v_fma_f64 v[185:186], v[8:9], v[14:15], v[187:188]
	v_fma_f64 v[187:188], v[6:7], v[14:15], -v[16:17]
	ds_load_b128 v[6:9], v1 offset:1520
	scratch_load_b128 v[14:17], off, off offset:656
	s_wait_loadcnt_dscnt 0x901
	v_mul_f64_e32 v[181:182], v[2:3], v[20:21]
	v_mul_f64_e32 v[20:21], v[4:5], v[20:21]
	v_add_f64_e32 v[177:178], v[177:178], v[189:190]
	v_add_f64_e32 v[179:180], v[179:180], v[183:184]
	s_wait_loadcnt_dscnt 0x800
	v_mul_f64_e32 v[183:184], v[6:7], v[24:25]
	v_mul_f64_e32 v[24:25], v[8:9], v[24:25]
	v_fma_f64 v[181:182], v[4:5], v[18:19], v[181:182]
	v_fma_f64 v[189:190], v[2:3], v[18:19], -v[20:21]
	ds_load_b128 v[2:5], v1 offset:1536
	scratch_load_b128 v[18:21], off, off offset:672
	v_add_f64_e32 v[177:178], v[177:178], v[187:188]
	v_add_f64_e32 v[179:180], v[179:180], v[185:186]
	v_fma_f64 v[183:184], v[8:9], v[22:23], v[183:184]
	v_fma_f64 v[187:188], v[6:7], v[22:23], -v[24:25]
	ds_load_b128 v[6:9], v1 offset:1552
	s_wait_loadcnt_dscnt 0x801
	v_mul_f64_e32 v[185:186], v[2:3], v[28:29]
	v_mul_f64_e32 v[28:29], v[4:5], v[28:29]
	scratch_load_b128 v[22:25], off, off offset:688
	v_add_f64_e32 v[177:178], v[177:178], v[189:190]
	v_add_f64_e32 v[179:180], v[179:180], v[181:182]
	s_wait_loadcnt_dscnt 0x800
	v_mul_f64_e32 v[181:182], v[6:7], v[32:33]
	v_mul_f64_e32 v[32:33], v[8:9], v[32:33]
	v_fma_f64 v[185:186], v[4:5], v[26:27], v[185:186]
	v_fma_f64 v[189:190], v[2:3], v[26:27], -v[28:29]
	ds_load_b128 v[2:5], v1 offset:1568
	scratch_load_b128 v[26:29], off, off offset:704
	v_add_f64_e32 v[177:178], v[177:178], v[187:188]
	v_add_f64_e32 v[179:180], v[179:180], v[183:184]
	v_fma_f64 v[181:182], v[8:9], v[30:31], v[181:182]
	v_fma_f64 v[187:188], v[6:7], v[30:31], -v[32:33]
	ds_load_b128 v[6:9], v1 offset:1584
	s_wait_loadcnt_dscnt 0x801
	v_mul_f64_e32 v[183:184], v[2:3], v[36:37]
	v_mul_f64_e32 v[36:37], v[4:5], v[36:37]
	scratch_load_b128 v[30:33], off, off offset:720
	v_add_f64_e32 v[177:178], v[177:178], v[189:190]
	v_add_f64_e32 v[179:180], v[179:180], v[185:186]
	s_wait_loadcnt_dscnt 0x800
	v_mul_f64_e32 v[185:186], v[6:7], v[175:176]
	v_mul_f64_e32 v[175:176], v[8:9], v[175:176]
	v_fma_f64 v[183:184], v[4:5], v[34:35], v[183:184]
	v_fma_f64 v[189:190], v[2:3], v[34:35], -v[36:37]
	ds_load_b128 v[2:5], v1 offset:1600
	scratch_load_b128 v[34:37], off, off offset:736
	v_add_f64_e32 v[177:178], v[177:178], v[187:188]
	v_add_f64_e32 v[179:180], v[179:180], v[181:182]
	v_fma_f64 v[185:186], v[8:9], v[173:174], v[185:186]
	v_fma_f64 v[187:188], v[6:7], v[173:174], -v[175:176]
	ds_load_b128 v[6:9], v1 offset:1616
	scratch_load_b128 v[173:176], off, off offset:752
	s_wait_loadcnt_dscnt 0x901
	v_mul_f64_e32 v[181:182], v[2:3], v[40:41]
	v_mul_f64_e32 v[40:41], v[4:5], v[40:41]
	v_add_f64_e32 v[177:178], v[177:178], v[189:190]
	v_add_f64_e32 v[179:180], v[179:180], v[183:184]
	s_wait_loadcnt_dscnt 0x800
	v_mul_f64_e32 v[183:184], v[6:7], v[171:172]
	v_mul_f64_e32 v[171:172], v[8:9], v[171:172]
	v_fma_f64 v[181:182], v[4:5], v[38:39], v[181:182]
	v_fma_f64 v[189:190], v[2:3], v[38:39], -v[40:41]
	ds_load_b128 v[2:5], v1 offset:1632
	scratch_load_b128 v[38:41], off, off offset:768
	v_add_f64_e32 v[177:178], v[177:178], v[187:188]
	v_add_f64_e32 v[179:180], v[179:180], v[185:186]
	v_fma_f64 v[183:184], v[8:9], v[169:170], v[183:184]
	v_fma_f64 v[187:188], v[6:7], v[169:170], -v[171:172]
	ds_load_b128 v[6:9], v1 offset:1648
	s_wait_loadcnt_dscnt 0x801
	v_mul_f64_e32 v[185:186], v[2:3], v[12:13]
	v_mul_f64_e32 v[12:13], v[4:5], v[12:13]
	scratch_load_b128 v[169:172], off, off offset:784
	v_add_f64_e32 v[177:178], v[177:178], v[189:190]
	v_add_f64_e32 v[179:180], v[179:180], v[181:182]
	s_wait_loadcnt_dscnt 0x800
	v_mul_f64_e32 v[181:182], v[6:7], v[16:17]
	v_mul_f64_e32 v[16:17], v[8:9], v[16:17]
	v_fma_f64 v[185:186], v[4:5], v[10:11], v[185:186]
	v_fma_f64 v[189:190], v[2:3], v[10:11], -v[12:13]
	ds_load_b128 v[2:5], v1 offset:1664
	scratch_load_b128 v[10:13], off, off offset:800
	v_add_f64_e32 v[177:178], v[177:178], v[187:188]
	v_add_f64_e32 v[179:180], v[179:180], v[183:184]
	v_fma_f64 v[181:182], v[8:9], v[14:15], v[181:182]
	v_fma_f64 v[187:188], v[6:7], v[14:15], -v[16:17]
	ds_load_b128 v[6:9], v1 offset:1680
	s_wait_loadcnt_dscnt 0x801
	v_mul_f64_e32 v[183:184], v[2:3], v[20:21]
	v_mul_f64_e32 v[20:21], v[4:5], v[20:21]
	scratch_load_b128 v[14:17], off, off offset:816
	v_add_f64_e32 v[177:178], v[177:178], v[189:190]
	v_add_f64_e32 v[179:180], v[179:180], v[185:186]
	s_wait_loadcnt_dscnt 0x800
	v_mul_f64_e32 v[185:186], v[6:7], v[24:25]
	v_mul_f64_e32 v[24:25], v[8:9], v[24:25]
	v_fma_f64 v[183:184], v[4:5], v[18:19], v[183:184]
	v_fma_f64 v[189:190], v[2:3], v[18:19], -v[20:21]
	ds_load_b128 v[2:5], v1 offset:1696
	scratch_load_b128 v[18:21], off, off offset:832
	v_add_f64_e32 v[177:178], v[177:178], v[187:188]
	v_add_f64_e32 v[179:180], v[179:180], v[181:182]
	v_fma_f64 v[185:186], v[8:9], v[22:23], v[185:186]
	v_fma_f64 v[187:188], v[6:7], v[22:23], -v[24:25]
	ds_load_b128 v[6:9], v1 offset:1712
	s_wait_loadcnt_dscnt 0x801
	v_mul_f64_e32 v[181:182], v[2:3], v[28:29]
	v_mul_f64_e32 v[28:29], v[4:5], v[28:29]
	scratch_load_b128 v[22:25], off, off offset:848
	v_add_f64_e32 v[177:178], v[177:178], v[189:190]
	v_add_f64_e32 v[179:180], v[179:180], v[183:184]
	s_wait_loadcnt_dscnt 0x800
	v_mul_f64_e32 v[183:184], v[6:7], v[32:33]
	v_mul_f64_e32 v[32:33], v[8:9], v[32:33]
	v_fma_f64 v[181:182], v[4:5], v[26:27], v[181:182]
	v_fma_f64 v[189:190], v[2:3], v[26:27], -v[28:29]
	ds_load_b128 v[2:5], v1 offset:1728
	scratch_load_b128 v[26:29], off, off offset:864
	v_add_f64_e32 v[177:178], v[177:178], v[187:188]
	v_add_f64_e32 v[179:180], v[179:180], v[185:186]
	v_fma_f64 v[183:184], v[8:9], v[30:31], v[183:184]
	v_fma_f64 v[187:188], v[6:7], v[30:31], -v[32:33]
	ds_load_b128 v[6:9], v1 offset:1744
	s_wait_loadcnt_dscnt 0x801
	v_mul_f64_e32 v[185:186], v[2:3], v[36:37]
	v_mul_f64_e32 v[36:37], v[4:5], v[36:37]
	scratch_load_b128 v[30:33], off, off offset:880
	v_add_f64_e32 v[177:178], v[177:178], v[189:190]
	v_add_f64_e32 v[179:180], v[179:180], v[181:182]
	s_wait_loadcnt_dscnt 0x800
	v_mul_f64_e32 v[181:182], v[6:7], v[175:176]
	v_mul_f64_e32 v[175:176], v[8:9], v[175:176]
	v_fma_f64 v[185:186], v[4:5], v[34:35], v[185:186]
	v_fma_f64 v[189:190], v[2:3], v[34:35], -v[36:37]
	ds_load_b128 v[2:5], v1 offset:1760
	scratch_load_b128 v[34:37], off, off offset:896
	v_add_f64_e32 v[177:178], v[177:178], v[187:188]
	v_add_f64_e32 v[179:180], v[179:180], v[183:184]
	v_fma_f64 v[181:182], v[8:9], v[173:174], v[181:182]
	v_fma_f64 v[187:188], v[6:7], v[173:174], -v[175:176]
	ds_load_b128 v[6:9], v1 offset:1776
	s_wait_loadcnt_dscnt 0x801
	v_mul_f64_e32 v[183:184], v[2:3], v[40:41]
	v_mul_f64_e32 v[40:41], v[4:5], v[40:41]
	scratch_load_b128 v[173:176], off, off offset:912
	v_add_f64_e32 v[177:178], v[177:178], v[189:190]
	v_add_f64_e32 v[179:180], v[179:180], v[185:186]
	s_wait_loadcnt_dscnt 0x800
	v_mul_f64_e32 v[185:186], v[6:7], v[171:172]
	v_mul_f64_e32 v[171:172], v[8:9], v[171:172]
	v_fma_f64 v[183:184], v[4:5], v[38:39], v[183:184]
	v_fma_f64 v[189:190], v[2:3], v[38:39], -v[40:41]
	ds_load_b128 v[2:5], v1 offset:1792
	scratch_load_b128 v[38:41], off, off offset:928
	v_add_f64_e32 v[177:178], v[177:178], v[187:188]
	v_add_f64_e32 v[179:180], v[179:180], v[181:182]
	v_fma_f64 v[185:186], v[8:9], v[169:170], v[185:186]
	v_fma_f64 v[187:188], v[6:7], v[169:170], -v[171:172]
	ds_load_b128 v[6:9], v1 offset:1808
	s_wait_loadcnt_dscnt 0x801
	v_mul_f64_e32 v[181:182], v[2:3], v[12:13]
	v_mul_f64_e32 v[12:13], v[4:5], v[12:13]
	scratch_load_b128 v[169:172], off, off offset:944
	v_add_f64_e32 v[177:178], v[177:178], v[189:190]
	v_add_f64_e32 v[179:180], v[179:180], v[183:184]
	s_wait_loadcnt_dscnt 0x800
	v_mul_f64_e32 v[183:184], v[6:7], v[16:17]
	v_mul_f64_e32 v[16:17], v[8:9], v[16:17]
	v_fma_f64 v[181:182], v[4:5], v[10:11], v[181:182]
	v_fma_f64 v[189:190], v[2:3], v[10:11], -v[12:13]
	ds_load_b128 v[2:5], v1 offset:1824
	scratch_load_b128 v[10:13], off, off offset:960
	v_add_f64_e32 v[177:178], v[177:178], v[187:188]
	v_add_f64_e32 v[179:180], v[179:180], v[185:186]
	v_fma_f64 v[183:184], v[8:9], v[14:15], v[183:184]
	v_fma_f64 v[187:188], v[6:7], v[14:15], -v[16:17]
	ds_load_b128 v[6:9], v1 offset:1840
	s_wait_loadcnt_dscnt 0x801
	v_mul_f64_e32 v[185:186], v[2:3], v[20:21]
	v_mul_f64_e32 v[20:21], v[4:5], v[20:21]
	scratch_load_b128 v[14:17], off, off offset:976
	v_add_f64_e32 v[177:178], v[177:178], v[189:190]
	v_add_f64_e32 v[179:180], v[179:180], v[181:182]
	s_wait_loadcnt_dscnt 0x800
	v_mul_f64_e32 v[181:182], v[6:7], v[24:25]
	v_mul_f64_e32 v[24:25], v[8:9], v[24:25]
	v_fma_f64 v[185:186], v[4:5], v[18:19], v[185:186]
	v_fma_f64 v[189:190], v[2:3], v[18:19], -v[20:21]
	ds_load_b128 v[2:5], v1 offset:1856
	scratch_load_b128 v[18:21], off, off offset:992
	v_add_f64_e32 v[177:178], v[177:178], v[187:188]
	v_add_f64_e32 v[179:180], v[179:180], v[183:184]
	v_fma_f64 v[181:182], v[8:9], v[22:23], v[181:182]
	v_fma_f64 v[187:188], v[6:7], v[22:23], -v[24:25]
	ds_load_b128 v[6:9], v1 offset:1872
	s_wait_loadcnt_dscnt 0x801
	v_mul_f64_e32 v[183:184], v[2:3], v[28:29]
	v_mul_f64_e32 v[28:29], v[4:5], v[28:29]
	scratch_load_b128 v[22:25], off, off offset:1008
	v_add_f64_e32 v[177:178], v[177:178], v[189:190]
	v_add_f64_e32 v[179:180], v[179:180], v[185:186]
	s_wait_loadcnt_dscnt 0x800
	v_mul_f64_e32 v[185:186], v[6:7], v[32:33]
	v_mul_f64_e32 v[32:33], v[8:9], v[32:33]
	v_fma_f64 v[183:184], v[4:5], v[26:27], v[183:184]
	v_fma_f64 v[26:27], v[2:3], v[26:27], -v[28:29]
	ds_load_b128 v[2:5], v1 offset:1888
	v_add_f64_e32 v[28:29], v[177:178], v[187:188]
	v_add_f64_e32 v[177:178], v[179:180], v[181:182]
	v_fma_f64 v[181:182], v[8:9], v[30:31], v[185:186]
	v_fma_f64 v[30:31], v[6:7], v[30:31], -v[32:33]
	ds_load_b128 v[6:9], v1 offset:1904
	s_wait_loadcnt_dscnt 0x701
	v_mul_f64_e32 v[179:180], v[2:3], v[36:37]
	v_mul_f64_e32 v[36:37], v[4:5], v[36:37]
	v_add_f64_e32 v[26:27], v[28:29], v[26:27]
	v_add_f64_e32 v[28:29], v[177:178], v[183:184]
	s_delay_alu instid0(VALU_DEP_4) | instskip(NEXT) | instid1(VALU_DEP_4)
	v_fma_f64 v[177:178], v[4:5], v[34:35], v[179:180]
	v_fma_f64 v[34:35], v[2:3], v[34:35], -v[36:37]
	ds_load_b128 v[2:5], v1 offset:1920
	v_add_f64_e32 v[30:31], v[26:27], v[30:31]
	v_add_f64_e32 v[36:37], v[28:29], v[181:182]
	scratch_load_b128 v[26:29], off, off offset:432
	s_wait_loadcnt_dscnt 0x701
	v_mul_f64_e32 v[32:33], v[6:7], v[175:176]
	v_mul_f64_e32 v[175:176], v[8:9], v[175:176]
	v_add_f64_e32 v[30:31], v[30:31], v[34:35]
	v_add_f64_e32 v[34:35], v[36:37], v[177:178]
	s_delay_alu instid0(VALU_DEP_4) | instskip(NEXT) | instid1(VALU_DEP_4)
	v_fma_f64 v[32:33], v[8:9], v[173:174], v[32:33]
	v_fma_f64 v[173:174], v[6:7], v[173:174], -v[175:176]
	ds_load_b128 v[6:9], v1 offset:1936
	s_wait_loadcnt_dscnt 0x601
	v_mul_f64_e32 v[179:180], v[2:3], v[40:41]
	v_mul_f64_e32 v[40:41], v[4:5], v[40:41]
	s_wait_loadcnt_dscnt 0x500
	v_mul_f64_e32 v[36:37], v[6:7], v[171:172]
	v_mul_f64_e32 v[171:172], v[8:9], v[171:172]
	v_add_f64_e32 v[32:33], v[34:35], v[32:33]
	v_add_f64_e32 v[30:31], v[30:31], v[173:174]
	v_fma_f64 v[175:176], v[4:5], v[38:39], v[179:180]
	v_fma_f64 v[38:39], v[2:3], v[38:39], -v[40:41]
	ds_load_b128 v[2:5], v1 offset:1952
	v_fma_f64 v[36:37], v[8:9], v[169:170], v[36:37]
	v_fma_f64 v[40:41], v[6:7], v[169:170], -v[171:172]
	ds_load_b128 v[6:9], v1 offset:1968
	s_wait_loadcnt_dscnt 0x401
	v_mul_f64_e32 v[34:35], v[2:3], v[12:13]
	v_mul_f64_e32 v[12:13], v[4:5], v[12:13]
	v_add_f64_e32 v[32:33], v[32:33], v[175:176]
	v_add_f64_e32 v[30:31], v[30:31], v[38:39]
	s_wait_loadcnt_dscnt 0x300
	v_mul_f64_e32 v[38:39], v[6:7], v[16:17]
	v_mul_f64_e32 v[16:17], v[8:9], v[16:17]
	v_fma_f64 v[34:35], v[4:5], v[10:11], v[34:35]
	v_fma_f64 v[10:11], v[2:3], v[10:11], -v[12:13]
	ds_load_b128 v[2:5], v1 offset:1984
	v_add_f64_e32 v[12:13], v[30:31], v[40:41]
	v_add_f64_e32 v[30:31], v[32:33], v[36:37]
	v_fma_f64 v[36:37], v[8:9], v[14:15], v[38:39]
	v_fma_f64 v[14:15], v[6:7], v[14:15], -v[16:17]
	ds_load_b128 v[6:9], v1 offset:2000
	s_wait_loadcnt_dscnt 0x201
	v_mul_f64_e32 v[32:33], v[2:3], v[20:21]
	v_mul_f64_e32 v[20:21], v[4:5], v[20:21]
	s_wait_loadcnt_dscnt 0x100
	v_mul_f64_e32 v[16:17], v[6:7], v[24:25]
	v_mul_f64_e32 v[24:25], v[8:9], v[24:25]
	v_add_f64_e32 v[10:11], v[12:13], v[10:11]
	v_add_f64_e32 v[12:13], v[30:31], v[34:35]
	v_fma_f64 v[4:5], v[4:5], v[18:19], v[32:33]
	v_fma_f64 v[1:2], v[2:3], v[18:19], -v[20:21]
	v_fma_f64 v[8:9], v[8:9], v[22:23], v[16:17]
	v_fma_f64 v[6:7], v[6:7], v[22:23], -v[24:25]
	v_add_f64_e32 v[10:11], v[10:11], v[14:15]
	v_add_f64_e32 v[12:13], v[12:13], v[36:37]
	s_delay_alu instid0(VALU_DEP_2) | instskip(NEXT) | instid1(VALU_DEP_2)
	v_add_f64_e32 v[1:2], v[10:11], v[1:2]
	v_add_f64_e32 v[3:4], v[12:13], v[4:5]
	s_delay_alu instid0(VALU_DEP_2) | instskip(NEXT) | instid1(VALU_DEP_2)
	v_add_f64_e32 v[1:2], v[1:2], v[6:7]
	v_add_f64_e32 v[3:4], v[3:4], v[8:9]
	s_wait_loadcnt 0x0
	s_delay_alu instid0(VALU_DEP_2) | instskip(NEXT) | instid1(VALU_DEP_2)
	v_add_f64_e64 v[1:2], v[26:27], -v[1:2]
	v_add_f64_e64 v[3:4], v[28:29], -v[3:4]
	scratch_store_b128 off, v[1:4], off offset:432
	v_cmpx_lt_u32_e32 25, v0
	s_cbranch_execz .LBB126_353
; %bb.352:
	scratch_load_b128 v[1:4], off, s53
	v_mov_b32_e32 v5, 0
	s_delay_alu instid0(VALU_DEP_1)
	v_dual_mov_b32 v6, v5 :: v_dual_mov_b32 v7, v5
	v_mov_b32_e32 v8, v5
	scratch_store_b128 off, v[5:8], off offset:416
	s_wait_loadcnt 0x0
	ds_store_b128 v168, v[1:4]
.LBB126_353:
	s_wait_alu 0xfffe
	s_or_b32 exec_lo, exec_lo, s0
	s_wait_storecnt_dscnt 0x0
	s_barrier_signal -1
	s_barrier_wait -1
	global_inv scope:SCOPE_SE
	s_clause 0x7
	scratch_load_b128 v[2:5], off, off offset:432
	scratch_load_b128 v[6:9], off, off offset:448
	;; [unrolled: 1-line block ×8, first 2 shown]
	v_mov_b32_e32 v1, 0
	s_clause 0x1
	scratch_load_b128 v[34:37], off, off offset:560
	scratch_load_b128 v[173:176], off, off offset:576
	s_mov_b32 s0, exec_lo
	ds_load_b128 v[38:41], v1 offset:1424
	ds_load_b128 v[169:172], v1 offset:1440
	s_wait_loadcnt_dscnt 0x901
	v_mul_f64_e32 v[177:178], v[40:41], v[4:5]
	v_mul_f64_e32 v[4:5], v[38:39], v[4:5]
	s_wait_loadcnt_dscnt 0x800
	v_mul_f64_e32 v[179:180], v[169:170], v[8:9]
	v_mul_f64_e32 v[8:9], v[171:172], v[8:9]
	s_delay_alu instid0(VALU_DEP_4) | instskip(NEXT) | instid1(VALU_DEP_4)
	v_fma_f64 v[177:178], v[38:39], v[2:3], -v[177:178]
	v_fma_f64 v[181:182], v[40:41], v[2:3], v[4:5]
	ds_load_b128 v[2:5], v1 offset:1456
	scratch_load_b128 v[38:41], off, off offset:592
	v_fma_f64 v[179:180], v[171:172], v[6:7], v[179:180]
	v_fma_f64 v[185:186], v[169:170], v[6:7], -v[8:9]
	ds_load_b128 v[6:9], v1 offset:1472
	scratch_load_b128 v[169:172], off, off offset:608
	s_wait_loadcnt_dscnt 0x901
	v_mul_f64_e32 v[183:184], v[2:3], v[12:13]
	v_mul_f64_e32 v[12:13], v[4:5], v[12:13]
	s_wait_loadcnt_dscnt 0x800
	v_mul_f64_e32 v[187:188], v[6:7], v[16:17]
	v_mul_f64_e32 v[16:17], v[8:9], v[16:17]
	v_add_f64_e32 v[177:178], 0, v[177:178]
	v_add_f64_e32 v[181:182], 0, v[181:182]
	v_fma_f64 v[183:184], v[4:5], v[10:11], v[183:184]
	v_fma_f64 v[189:190], v[2:3], v[10:11], -v[12:13]
	ds_load_b128 v[2:5], v1 offset:1488
	scratch_load_b128 v[10:13], off, off offset:624
	v_add_f64_e32 v[177:178], v[177:178], v[185:186]
	v_add_f64_e32 v[179:180], v[181:182], v[179:180]
	v_fma_f64 v[185:186], v[8:9], v[14:15], v[187:188]
	v_fma_f64 v[187:188], v[6:7], v[14:15], -v[16:17]
	ds_load_b128 v[6:9], v1 offset:1504
	scratch_load_b128 v[14:17], off, off offset:640
	s_wait_loadcnt_dscnt 0x901
	v_mul_f64_e32 v[181:182], v[2:3], v[20:21]
	v_mul_f64_e32 v[20:21], v[4:5], v[20:21]
	v_add_f64_e32 v[177:178], v[177:178], v[189:190]
	v_add_f64_e32 v[179:180], v[179:180], v[183:184]
	s_wait_loadcnt_dscnt 0x800
	v_mul_f64_e32 v[183:184], v[6:7], v[24:25]
	v_mul_f64_e32 v[24:25], v[8:9], v[24:25]
	v_fma_f64 v[181:182], v[4:5], v[18:19], v[181:182]
	v_fma_f64 v[189:190], v[2:3], v[18:19], -v[20:21]
	ds_load_b128 v[2:5], v1 offset:1520
	scratch_load_b128 v[18:21], off, off offset:656
	v_add_f64_e32 v[177:178], v[177:178], v[187:188]
	v_add_f64_e32 v[179:180], v[179:180], v[185:186]
	v_fma_f64 v[183:184], v[8:9], v[22:23], v[183:184]
	v_fma_f64 v[187:188], v[6:7], v[22:23], -v[24:25]
	ds_load_b128 v[6:9], v1 offset:1536
	s_wait_loadcnt_dscnt 0x801
	v_mul_f64_e32 v[185:186], v[2:3], v[28:29]
	v_mul_f64_e32 v[28:29], v[4:5], v[28:29]
	scratch_load_b128 v[22:25], off, off offset:672
	v_add_f64_e32 v[177:178], v[177:178], v[189:190]
	v_add_f64_e32 v[179:180], v[179:180], v[181:182]
	s_wait_loadcnt_dscnt 0x800
	v_mul_f64_e32 v[181:182], v[6:7], v[32:33]
	v_mul_f64_e32 v[32:33], v[8:9], v[32:33]
	v_fma_f64 v[185:186], v[4:5], v[26:27], v[185:186]
	v_fma_f64 v[189:190], v[2:3], v[26:27], -v[28:29]
	ds_load_b128 v[2:5], v1 offset:1552
	scratch_load_b128 v[26:29], off, off offset:688
	v_add_f64_e32 v[177:178], v[177:178], v[187:188]
	v_add_f64_e32 v[179:180], v[179:180], v[183:184]
	v_fma_f64 v[181:182], v[8:9], v[30:31], v[181:182]
	v_fma_f64 v[187:188], v[6:7], v[30:31], -v[32:33]
	ds_load_b128 v[6:9], v1 offset:1568
	s_wait_loadcnt_dscnt 0x801
	v_mul_f64_e32 v[183:184], v[2:3], v[36:37]
	v_mul_f64_e32 v[36:37], v[4:5], v[36:37]
	scratch_load_b128 v[30:33], off, off offset:704
	v_add_f64_e32 v[177:178], v[177:178], v[189:190]
	v_add_f64_e32 v[179:180], v[179:180], v[185:186]
	s_wait_loadcnt_dscnt 0x800
	v_mul_f64_e32 v[185:186], v[6:7], v[175:176]
	v_mul_f64_e32 v[175:176], v[8:9], v[175:176]
	v_fma_f64 v[183:184], v[4:5], v[34:35], v[183:184]
	v_fma_f64 v[189:190], v[2:3], v[34:35], -v[36:37]
	ds_load_b128 v[2:5], v1 offset:1584
	scratch_load_b128 v[34:37], off, off offset:720
	v_add_f64_e32 v[177:178], v[177:178], v[187:188]
	v_add_f64_e32 v[179:180], v[179:180], v[181:182]
	v_fma_f64 v[185:186], v[8:9], v[173:174], v[185:186]
	v_fma_f64 v[187:188], v[6:7], v[173:174], -v[175:176]
	ds_load_b128 v[6:9], v1 offset:1600
	scratch_load_b128 v[173:176], off, off offset:736
	s_wait_loadcnt_dscnt 0x901
	v_mul_f64_e32 v[181:182], v[2:3], v[40:41]
	v_mul_f64_e32 v[40:41], v[4:5], v[40:41]
	v_add_f64_e32 v[177:178], v[177:178], v[189:190]
	v_add_f64_e32 v[179:180], v[179:180], v[183:184]
	s_wait_loadcnt_dscnt 0x800
	v_mul_f64_e32 v[183:184], v[6:7], v[171:172]
	v_mul_f64_e32 v[171:172], v[8:9], v[171:172]
	v_fma_f64 v[181:182], v[4:5], v[38:39], v[181:182]
	v_fma_f64 v[189:190], v[2:3], v[38:39], -v[40:41]
	ds_load_b128 v[2:5], v1 offset:1616
	scratch_load_b128 v[38:41], off, off offset:752
	v_add_f64_e32 v[177:178], v[177:178], v[187:188]
	v_add_f64_e32 v[179:180], v[179:180], v[185:186]
	v_fma_f64 v[183:184], v[8:9], v[169:170], v[183:184]
	v_fma_f64 v[187:188], v[6:7], v[169:170], -v[171:172]
	ds_load_b128 v[6:9], v1 offset:1632
	s_wait_loadcnt_dscnt 0x801
	v_mul_f64_e32 v[185:186], v[2:3], v[12:13]
	v_mul_f64_e32 v[12:13], v[4:5], v[12:13]
	scratch_load_b128 v[169:172], off, off offset:768
	v_add_f64_e32 v[177:178], v[177:178], v[189:190]
	v_add_f64_e32 v[179:180], v[179:180], v[181:182]
	s_wait_loadcnt_dscnt 0x800
	v_mul_f64_e32 v[181:182], v[6:7], v[16:17]
	v_mul_f64_e32 v[16:17], v[8:9], v[16:17]
	v_fma_f64 v[185:186], v[4:5], v[10:11], v[185:186]
	v_fma_f64 v[189:190], v[2:3], v[10:11], -v[12:13]
	ds_load_b128 v[2:5], v1 offset:1648
	scratch_load_b128 v[10:13], off, off offset:784
	v_add_f64_e32 v[177:178], v[177:178], v[187:188]
	v_add_f64_e32 v[179:180], v[179:180], v[183:184]
	v_fma_f64 v[181:182], v[8:9], v[14:15], v[181:182]
	v_fma_f64 v[187:188], v[6:7], v[14:15], -v[16:17]
	ds_load_b128 v[6:9], v1 offset:1664
	s_wait_loadcnt_dscnt 0x801
	v_mul_f64_e32 v[183:184], v[2:3], v[20:21]
	v_mul_f64_e32 v[20:21], v[4:5], v[20:21]
	scratch_load_b128 v[14:17], off, off offset:800
	;; [unrolled: 18-line block ×8, first 2 shown]
	v_add_f64_e32 v[177:178], v[177:178], v[189:190]
	v_add_f64_e32 v[179:180], v[179:180], v[185:186]
	s_wait_loadcnt_dscnt 0x800
	v_mul_f64_e32 v[185:186], v[6:7], v[32:33]
	v_mul_f64_e32 v[32:33], v[8:9], v[32:33]
	v_fma_f64 v[183:184], v[4:5], v[26:27], v[183:184]
	v_fma_f64 v[189:190], v[2:3], v[26:27], -v[28:29]
	ds_load_b128 v[2:5], v1 offset:1872
	scratch_load_b128 v[26:29], off, off offset:1008
	v_add_f64_e32 v[177:178], v[177:178], v[187:188]
	v_add_f64_e32 v[179:180], v[179:180], v[181:182]
	v_fma_f64 v[185:186], v[8:9], v[30:31], v[185:186]
	v_fma_f64 v[30:31], v[6:7], v[30:31], -v[32:33]
	ds_load_b128 v[6:9], v1 offset:1888
	s_wait_loadcnt_dscnt 0x801
	v_mul_f64_e32 v[181:182], v[2:3], v[36:37]
	v_mul_f64_e32 v[36:37], v[4:5], v[36:37]
	v_add_f64_e32 v[32:33], v[177:178], v[189:190]
	v_add_f64_e32 v[177:178], v[179:180], v[183:184]
	s_wait_loadcnt_dscnt 0x700
	v_mul_f64_e32 v[179:180], v[6:7], v[175:176]
	v_mul_f64_e32 v[175:176], v[8:9], v[175:176]
	v_fma_f64 v[181:182], v[4:5], v[34:35], v[181:182]
	v_fma_f64 v[34:35], v[2:3], v[34:35], -v[36:37]
	ds_load_b128 v[2:5], v1 offset:1904
	v_add_f64_e32 v[30:31], v[32:33], v[30:31]
	v_add_f64_e32 v[32:33], v[177:178], v[185:186]
	v_fma_f64 v[177:178], v[8:9], v[173:174], v[179:180]
	v_fma_f64 v[173:174], v[6:7], v[173:174], -v[175:176]
	ds_load_b128 v[6:9], v1 offset:1920
	s_wait_loadcnt_dscnt 0x500
	v_mul_f64_e32 v[179:180], v[6:7], v[171:172]
	v_mul_f64_e32 v[171:172], v[8:9], v[171:172]
	v_add_f64_e32 v[34:35], v[30:31], v[34:35]
	v_add_f64_e32 v[175:176], v[32:33], v[181:182]
	scratch_load_b128 v[30:33], off, off offset:416
	v_mul_f64_e32 v[36:37], v[2:3], v[40:41]
	v_mul_f64_e32 v[40:41], v[4:5], v[40:41]
	v_add_f64_e32 v[34:35], v[34:35], v[173:174]
	s_delay_alu instid0(VALU_DEP_3) | instskip(NEXT) | instid1(VALU_DEP_3)
	v_fma_f64 v[36:37], v[4:5], v[38:39], v[36:37]
	v_fma_f64 v[38:39], v[2:3], v[38:39], -v[40:41]
	v_add_f64_e32 v[40:41], v[175:176], v[177:178]
	ds_load_b128 v[2:5], v1 offset:1936
	v_fma_f64 v[175:176], v[8:9], v[169:170], v[179:180]
	v_fma_f64 v[169:170], v[6:7], v[169:170], -v[171:172]
	ds_load_b128 v[6:9], v1 offset:1952
	s_wait_loadcnt_dscnt 0x501
	v_mul_f64_e32 v[173:174], v[2:3], v[12:13]
	v_mul_f64_e32 v[12:13], v[4:5], v[12:13]
	v_add_f64_e32 v[34:35], v[34:35], v[38:39]
	v_add_f64_e32 v[36:37], v[40:41], v[36:37]
	s_wait_loadcnt_dscnt 0x400
	v_mul_f64_e32 v[38:39], v[6:7], v[16:17]
	v_mul_f64_e32 v[16:17], v[8:9], v[16:17]
	v_fma_f64 v[40:41], v[4:5], v[10:11], v[173:174]
	v_fma_f64 v[10:11], v[2:3], v[10:11], -v[12:13]
	ds_load_b128 v[2:5], v1 offset:1968
	v_add_f64_e32 v[12:13], v[34:35], v[169:170]
	v_add_f64_e32 v[34:35], v[36:37], v[175:176]
	v_fma_f64 v[38:39], v[8:9], v[14:15], v[38:39]
	v_fma_f64 v[14:15], v[6:7], v[14:15], -v[16:17]
	ds_load_b128 v[6:9], v1 offset:1984
	s_wait_loadcnt_dscnt 0x301
	v_mul_f64_e32 v[36:37], v[2:3], v[20:21]
	v_mul_f64_e32 v[20:21], v[4:5], v[20:21]
	s_wait_loadcnt_dscnt 0x200
	v_mul_f64_e32 v[16:17], v[6:7], v[24:25]
	v_mul_f64_e32 v[24:25], v[8:9], v[24:25]
	v_add_f64_e32 v[10:11], v[12:13], v[10:11]
	v_add_f64_e32 v[12:13], v[34:35], v[40:41]
	v_fma_f64 v[34:35], v[4:5], v[18:19], v[36:37]
	v_fma_f64 v[18:19], v[2:3], v[18:19], -v[20:21]
	ds_load_b128 v[2:5], v1 offset:2000
	v_fma_f64 v[8:9], v[8:9], v[22:23], v[16:17]
	v_fma_f64 v[6:7], v[6:7], v[22:23], -v[24:25]
	s_wait_loadcnt_dscnt 0x100
	v_mul_f64_e32 v[20:21], v[4:5], v[28:29]
	v_add_f64_e32 v[10:11], v[10:11], v[14:15]
	v_add_f64_e32 v[12:13], v[12:13], v[38:39]
	v_mul_f64_e32 v[14:15], v[2:3], v[28:29]
	s_delay_alu instid0(VALU_DEP_4) | instskip(NEXT) | instid1(VALU_DEP_4)
	v_fma_f64 v[2:3], v[2:3], v[26:27], -v[20:21]
	v_add_f64_e32 v[10:11], v[10:11], v[18:19]
	s_delay_alu instid0(VALU_DEP_4) | instskip(NEXT) | instid1(VALU_DEP_4)
	v_add_f64_e32 v[12:13], v[12:13], v[34:35]
	v_fma_f64 v[4:5], v[4:5], v[26:27], v[14:15]
	s_delay_alu instid0(VALU_DEP_3) | instskip(NEXT) | instid1(VALU_DEP_3)
	v_add_f64_e32 v[6:7], v[10:11], v[6:7]
	v_add_f64_e32 v[8:9], v[12:13], v[8:9]
	s_delay_alu instid0(VALU_DEP_2) | instskip(NEXT) | instid1(VALU_DEP_2)
	v_add_f64_e32 v[2:3], v[6:7], v[2:3]
	v_add_f64_e32 v[4:5], v[8:9], v[4:5]
	s_wait_loadcnt 0x0
	s_delay_alu instid0(VALU_DEP_2) | instskip(NEXT) | instid1(VALU_DEP_2)
	v_add_f64_e64 v[2:3], v[30:31], -v[2:3]
	v_add_f64_e64 v[4:5], v[32:33], -v[4:5]
	scratch_store_b128 off, v[2:5], off offset:416
	v_cmpx_lt_u32_e32 24, v0
	s_cbranch_execz .LBB126_355
; %bb.354:
	scratch_load_b128 v[5:8], off, s54
	v_dual_mov_b32 v2, v1 :: v_dual_mov_b32 v3, v1
	v_mov_b32_e32 v4, v1
	scratch_store_b128 off, v[1:4], off offset:400
	s_wait_loadcnt 0x0
	ds_store_b128 v168, v[5:8]
.LBB126_355:
	s_wait_alu 0xfffe
	s_or_b32 exec_lo, exec_lo, s0
	s_wait_storecnt_dscnt 0x0
	s_barrier_signal -1
	s_barrier_wait -1
	global_inv scope:SCOPE_SE
	s_clause 0x7
	scratch_load_b128 v[2:5], off, off offset:416
	scratch_load_b128 v[6:9], off, off offset:432
	scratch_load_b128 v[10:13], off, off offset:448
	scratch_load_b128 v[14:17], off, off offset:464
	scratch_load_b128 v[18:21], off, off offset:480
	scratch_load_b128 v[22:25], off, off offset:496
	scratch_load_b128 v[26:29], off, off offset:512
	scratch_load_b128 v[30:33], off, off offset:528
	ds_load_b128 v[38:41], v1 offset:1408
	ds_load_b128 v[169:172], v1 offset:1424
	s_clause 0x1
	scratch_load_b128 v[34:37], off, off offset:544
	scratch_load_b128 v[173:176], off, off offset:560
	s_mov_b32 s0, exec_lo
	s_wait_loadcnt_dscnt 0x901
	v_mul_f64_e32 v[177:178], v[40:41], v[4:5]
	v_mul_f64_e32 v[4:5], v[38:39], v[4:5]
	s_wait_loadcnt_dscnt 0x800
	v_mul_f64_e32 v[179:180], v[169:170], v[8:9]
	v_mul_f64_e32 v[8:9], v[171:172], v[8:9]
	s_delay_alu instid0(VALU_DEP_4) | instskip(NEXT) | instid1(VALU_DEP_4)
	v_fma_f64 v[177:178], v[38:39], v[2:3], -v[177:178]
	v_fma_f64 v[181:182], v[40:41], v[2:3], v[4:5]
	ds_load_b128 v[2:5], v1 offset:1440
	scratch_load_b128 v[38:41], off, off offset:576
	v_fma_f64 v[179:180], v[171:172], v[6:7], v[179:180]
	v_fma_f64 v[185:186], v[169:170], v[6:7], -v[8:9]
	ds_load_b128 v[6:9], v1 offset:1456
	scratch_load_b128 v[169:172], off, off offset:592
	s_wait_loadcnt_dscnt 0x901
	v_mul_f64_e32 v[183:184], v[2:3], v[12:13]
	v_mul_f64_e32 v[12:13], v[4:5], v[12:13]
	s_wait_loadcnt_dscnt 0x800
	v_mul_f64_e32 v[187:188], v[6:7], v[16:17]
	v_mul_f64_e32 v[16:17], v[8:9], v[16:17]
	v_add_f64_e32 v[177:178], 0, v[177:178]
	v_add_f64_e32 v[181:182], 0, v[181:182]
	v_fma_f64 v[183:184], v[4:5], v[10:11], v[183:184]
	v_fma_f64 v[189:190], v[2:3], v[10:11], -v[12:13]
	ds_load_b128 v[2:5], v1 offset:1472
	scratch_load_b128 v[10:13], off, off offset:608
	v_add_f64_e32 v[177:178], v[177:178], v[185:186]
	v_add_f64_e32 v[179:180], v[181:182], v[179:180]
	v_fma_f64 v[185:186], v[8:9], v[14:15], v[187:188]
	v_fma_f64 v[187:188], v[6:7], v[14:15], -v[16:17]
	ds_load_b128 v[6:9], v1 offset:1488
	scratch_load_b128 v[14:17], off, off offset:624
	s_wait_loadcnt_dscnt 0x901
	v_mul_f64_e32 v[181:182], v[2:3], v[20:21]
	v_mul_f64_e32 v[20:21], v[4:5], v[20:21]
	v_add_f64_e32 v[177:178], v[177:178], v[189:190]
	v_add_f64_e32 v[179:180], v[179:180], v[183:184]
	s_wait_loadcnt_dscnt 0x800
	v_mul_f64_e32 v[183:184], v[6:7], v[24:25]
	v_mul_f64_e32 v[24:25], v[8:9], v[24:25]
	v_fma_f64 v[181:182], v[4:5], v[18:19], v[181:182]
	v_fma_f64 v[189:190], v[2:3], v[18:19], -v[20:21]
	ds_load_b128 v[2:5], v1 offset:1504
	scratch_load_b128 v[18:21], off, off offset:640
	v_add_f64_e32 v[177:178], v[177:178], v[187:188]
	v_add_f64_e32 v[179:180], v[179:180], v[185:186]
	v_fma_f64 v[183:184], v[8:9], v[22:23], v[183:184]
	v_fma_f64 v[187:188], v[6:7], v[22:23], -v[24:25]
	ds_load_b128 v[6:9], v1 offset:1520
	s_wait_loadcnt_dscnt 0x801
	v_mul_f64_e32 v[185:186], v[2:3], v[28:29]
	v_mul_f64_e32 v[28:29], v[4:5], v[28:29]
	scratch_load_b128 v[22:25], off, off offset:656
	v_add_f64_e32 v[177:178], v[177:178], v[189:190]
	v_add_f64_e32 v[179:180], v[179:180], v[181:182]
	s_wait_loadcnt_dscnt 0x800
	v_mul_f64_e32 v[181:182], v[6:7], v[32:33]
	v_mul_f64_e32 v[32:33], v[8:9], v[32:33]
	v_fma_f64 v[185:186], v[4:5], v[26:27], v[185:186]
	v_fma_f64 v[189:190], v[2:3], v[26:27], -v[28:29]
	ds_load_b128 v[2:5], v1 offset:1536
	scratch_load_b128 v[26:29], off, off offset:672
	v_add_f64_e32 v[177:178], v[177:178], v[187:188]
	v_add_f64_e32 v[179:180], v[179:180], v[183:184]
	v_fma_f64 v[181:182], v[8:9], v[30:31], v[181:182]
	v_fma_f64 v[187:188], v[6:7], v[30:31], -v[32:33]
	ds_load_b128 v[6:9], v1 offset:1552
	s_wait_loadcnt_dscnt 0x801
	v_mul_f64_e32 v[183:184], v[2:3], v[36:37]
	v_mul_f64_e32 v[36:37], v[4:5], v[36:37]
	scratch_load_b128 v[30:33], off, off offset:688
	v_add_f64_e32 v[177:178], v[177:178], v[189:190]
	v_add_f64_e32 v[179:180], v[179:180], v[185:186]
	s_wait_loadcnt_dscnt 0x800
	v_mul_f64_e32 v[185:186], v[6:7], v[175:176]
	v_mul_f64_e32 v[175:176], v[8:9], v[175:176]
	v_fma_f64 v[183:184], v[4:5], v[34:35], v[183:184]
	v_fma_f64 v[189:190], v[2:3], v[34:35], -v[36:37]
	ds_load_b128 v[2:5], v1 offset:1568
	scratch_load_b128 v[34:37], off, off offset:704
	v_add_f64_e32 v[177:178], v[177:178], v[187:188]
	v_add_f64_e32 v[179:180], v[179:180], v[181:182]
	v_fma_f64 v[185:186], v[8:9], v[173:174], v[185:186]
	v_fma_f64 v[187:188], v[6:7], v[173:174], -v[175:176]
	ds_load_b128 v[6:9], v1 offset:1584
	scratch_load_b128 v[173:176], off, off offset:720
	s_wait_loadcnt_dscnt 0x901
	v_mul_f64_e32 v[181:182], v[2:3], v[40:41]
	v_mul_f64_e32 v[40:41], v[4:5], v[40:41]
	v_add_f64_e32 v[177:178], v[177:178], v[189:190]
	v_add_f64_e32 v[179:180], v[179:180], v[183:184]
	s_wait_loadcnt_dscnt 0x800
	v_mul_f64_e32 v[183:184], v[6:7], v[171:172]
	v_mul_f64_e32 v[171:172], v[8:9], v[171:172]
	v_fma_f64 v[181:182], v[4:5], v[38:39], v[181:182]
	v_fma_f64 v[189:190], v[2:3], v[38:39], -v[40:41]
	ds_load_b128 v[2:5], v1 offset:1600
	scratch_load_b128 v[38:41], off, off offset:736
	v_add_f64_e32 v[177:178], v[177:178], v[187:188]
	v_add_f64_e32 v[179:180], v[179:180], v[185:186]
	v_fma_f64 v[183:184], v[8:9], v[169:170], v[183:184]
	v_fma_f64 v[187:188], v[6:7], v[169:170], -v[171:172]
	ds_load_b128 v[6:9], v1 offset:1616
	s_wait_loadcnt_dscnt 0x801
	v_mul_f64_e32 v[185:186], v[2:3], v[12:13]
	v_mul_f64_e32 v[12:13], v[4:5], v[12:13]
	scratch_load_b128 v[169:172], off, off offset:752
	v_add_f64_e32 v[177:178], v[177:178], v[189:190]
	v_add_f64_e32 v[179:180], v[179:180], v[181:182]
	s_wait_loadcnt_dscnt 0x800
	v_mul_f64_e32 v[181:182], v[6:7], v[16:17]
	v_mul_f64_e32 v[16:17], v[8:9], v[16:17]
	v_fma_f64 v[185:186], v[4:5], v[10:11], v[185:186]
	v_fma_f64 v[189:190], v[2:3], v[10:11], -v[12:13]
	ds_load_b128 v[2:5], v1 offset:1632
	scratch_load_b128 v[10:13], off, off offset:768
	v_add_f64_e32 v[177:178], v[177:178], v[187:188]
	v_add_f64_e32 v[179:180], v[179:180], v[183:184]
	v_fma_f64 v[181:182], v[8:9], v[14:15], v[181:182]
	v_fma_f64 v[187:188], v[6:7], v[14:15], -v[16:17]
	ds_load_b128 v[6:9], v1 offset:1648
	s_wait_loadcnt_dscnt 0x801
	v_mul_f64_e32 v[183:184], v[2:3], v[20:21]
	v_mul_f64_e32 v[20:21], v[4:5], v[20:21]
	scratch_load_b128 v[14:17], off, off offset:784
	;; [unrolled: 18-line block ×9, first 2 shown]
	v_add_f64_e32 v[177:178], v[177:178], v[189:190]
	v_add_f64_e32 v[179:180], v[179:180], v[183:184]
	s_wait_loadcnt_dscnt 0x800
	v_mul_f64_e32 v[183:184], v[6:7], v[175:176]
	v_mul_f64_e32 v[175:176], v[8:9], v[175:176]
	v_fma_f64 v[181:182], v[4:5], v[34:35], v[181:182]
	v_fma_f64 v[34:35], v[2:3], v[34:35], -v[36:37]
	ds_load_b128 v[2:5], v1 offset:1888
	v_add_f64_e32 v[36:37], v[177:178], v[187:188]
	v_add_f64_e32 v[177:178], v[179:180], v[185:186]
	v_fma_f64 v[183:184], v[8:9], v[173:174], v[183:184]
	v_fma_f64 v[173:174], v[6:7], v[173:174], -v[175:176]
	ds_load_b128 v[6:9], v1 offset:1904
	s_wait_loadcnt_dscnt 0x701
	v_mul_f64_e32 v[179:180], v[2:3], v[40:41]
	v_mul_f64_e32 v[40:41], v[4:5], v[40:41]
	v_add_f64_e32 v[34:35], v[36:37], v[34:35]
	v_add_f64_e32 v[36:37], v[177:178], v[181:182]
	s_delay_alu instid0(VALU_DEP_4) | instskip(NEXT) | instid1(VALU_DEP_4)
	v_fma_f64 v[177:178], v[4:5], v[38:39], v[179:180]
	v_fma_f64 v[38:39], v[2:3], v[38:39], -v[40:41]
	ds_load_b128 v[2:5], v1 offset:1920
	v_add_f64_e32 v[40:41], v[34:35], v[173:174]
	v_add_f64_e32 v[173:174], v[36:37], v[183:184]
	scratch_load_b128 v[34:37], off, off offset:400
	s_wait_loadcnt_dscnt 0x701
	v_mul_f64_e32 v[175:176], v[6:7], v[171:172]
	v_mul_f64_e32 v[171:172], v[8:9], v[171:172]
	v_add_f64_e32 v[38:39], v[40:41], v[38:39]
	v_add_f64_e32 v[40:41], v[173:174], v[177:178]
	s_delay_alu instid0(VALU_DEP_4) | instskip(NEXT) | instid1(VALU_DEP_4)
	v_fma_f64 v[175:176], v[8:9], v[169:170], v[175:176]
	v_fma_f64 v[169:170], v[6:7], v[169:170], -v[171:172]
	ds_load_b128 v[6:9], v1 offset:1936
	s_wait_loadcnt_dscnt 0x601
	v_mul_f64_e32 v[179:180], v[2:3], v[12:13]
	v_mul_f64_e32 v[12:13], v[4:5], v[12:13]
	s_wait_loadcnt_dscnt 0x500
	v_mul_f64_e32 v[171:172], v[6:7], v[16:17]
	v_mul_f64_e32 v[16:17], v[8:9], v[16:17]
	s_delay_alu instid0(VALU_DEP_4) | instskip(NEXT) | instid1(VALU_DEP_4)
	v_fma_f64 v[173:174], v[4:5], v[10:11], v[179:180]
	v_fma_f64 v[10:11], v[2:3], v[10:11], -v[12:13]
	v_add_f64_e32 v[12:13], v[38:39], v[169:170]
	v_add_f64_e32 v[38:39], v[40:41], v[175:176]
	ds_load_b128 v[2:5], v1 offset:1952
	v_fma_f64 v[169:170], v[8:9], v[14:15], v[171:172]
	v_fma_f64 v[14:15], v[6:7], v[14:15], -v[16:17]
	ds_load_b128 v[6:9], v1 offset:1968
	s_wait_loadcnt_dscnt 0x401
	v_mul_f64_e32 v[40:41], v[2:3], v[20:21]
	v_mul_f64_e32 v[20:21], v[4:5], v[20:21]
	v_add_f64_e32 v[10:11], v[12:13], v[10:11]
	v_add_f64_e32 v[12:13], v[38:39], v[173:174]
	s_wait_loadcnt_dscnt 0x300
	v_mul_f64_e32 v[16:17], v[6:7], v[24:25]
	v_mul_f64_e32 v[24:25], v[8:9], v[24:25]
	v_fma_f64 v[38:39], v[4:5], v[18:19], v[40:41]
	v_fma_f64 v[18:19], v[2:3], v[18:19], -v[20:21]
	ds_load_b128 v[2:5], v1 offset:1984
	v_add_f64_e32 v[10:11], v[10:11], v[14:15]
	v_add_f64_e32 v[12:13], v[12:13], v[169:170]
	v_fma_f64 v[16:17], v[8:9], v[22:23], v[16:17]
	v_fma_f64 v[22:23], v[6:7], v[22:23], -v[24:25]
	ds_load_b128 v[6:9], v1 offset:2000
	s_wait_loadcnt_dscnt 0x201
	v_mul_f64_e32 v[14:15], v[2:3], v[28:29]
	v_mul_f64_e32 v[20:21], v[4:5], v[28:29]
	s_wait_loadcnt_dscnt 0x100
	v_mul_f64_e32 v[24:25], v[8:9], v[32:33]
	v_add_f64_e32 v[10:11], v[10:11], v[18:19]
	v_add_f64_e32 v[12:13], v[12:13], v[38:39]
	v_mul_f64_e32 v[18:19], v[6:7], v[32:33]
	v_fma_f64 v[4:5], v[4:5], v[26:27], v[14:15]
	v_fma_f64 v[1:2], v[2:3], v[26:27], -v[20:21]
	v_fma_f64 v[6:7], v[6:7], v[30:31], -v[24:25]
	v_add_f64_e32 v[10:11], v[10:11], v[22:23]
	v_add_f64_e32 v[12:13], v[12:13], v[16:17]
	v_fma_f64 v[8:9], v[8:9], v[30:31], v[18:19]
	s_delay_alu instid0(VALU_DEP_3) | instskip(NEXT) | instid1(VALU_DEP_3)
	v_add_f64_e32 v[1:2], v[10:11], v[1:2]
	v_add_f64_e32 v[3:4], v[12:13], v[4:5]
	s_delay_alu instid0(VALU_DEP_2) | instskip(NEXT) | instid1(VALU_DEP_2)
	v_add_f64_e32 v[1:2], v[1:2], v[6:7]
	v_add_f64_e32 v[3:4], v[3:4], v[8:9]
	s_wait_loadcnt 0x0
	s_delay_alu instid0(VALU_DEP_2) | instskip(NEXT) | instid1(VALU_DEP_2)
	v_add_f64_e64 v[1:2], v[34:35], -v[1:2]
	v_add_f64_e64 v[3:4], v[36:37], -v[3:4]
	scratch_store_b128 off, v[1:4], off offset:400
	v_cmpx_lt_u32_e32 23, v0
	s_cbranch_execz .LBB126_357
; %bb.356:
	scratch_load_b128 v[1:4], off, s55
	v_mov_b32_e32 v5, 0
	s_delay_alu instid0(VALU_DEP_1)
	v_dual_mov_b32 v6, v5 :: v_dual_mov_b32 v7, v5
	v_mov_b32_e32 v8, v5
	scratch_store_b128 off, v[5:8], off offset:384
	s_wait_loadcnt 0x0
	ds_store_b128 v168, v[1:4]
.LBB126_357:
	s_wait_alu 0xfffe
	s_or_b32 exec_lo, exec_lo, s0
	s_wait_storecnt_dscnt 0x0
	s_barrier_signal -1
	s_barrier_wait -1
	global_inv scope:SCOPE_SE
	s_clause 0x7
	scratch_load_b128 v[2:5], off, off offset:400
	scratch_load_b128 v[6:9], off, off offset:416
	;; [unrolled: 1-line block ×8, first 2 shown]
	v_mov_b32_e32 v1, 0
	s_clause 0x1
	scratch_load_b128 v[34:37], off, off offset:528
	scratch_load_b128 v[173:176], off, off offset:544
	s_mov_b32 s0, exec_lo
	ds_load_b128 v[38:41], v1 offset:1392
	ds_load_b128 v[169:172], v1 offset:1408
	s_wait_loadcnt_dscnt 0x901
	v_mul_f64_e32 v[177:178], v[40:41], v[4:5]
	v_mul_f64_e32 v[4:5], v[38:39], v[4:5]
	s_wait_loadcnt_dscnt 0x800
	v_mul_f64_e32 v[179:180], v[169:170], v[8:9]
	v_mul_f64_e32 v[8:9], v[171:172], v[8:9]
	s_delay_alu instid0(VALU_DEP_4) | instskip(NEXT) | instid1(VALU_DEP_4)
	v_fma_f64 v[177:178], v[38:39], v[2:3], -v[177:178]
	v_fma_f64 v[181:182], v[40:41], v[2:3], v[4:5]
	ds_load_b128 v[2:5], v1 offset:1424
	scratch_load_b128 v[38:41], off, off offset:560
	v_fma_f64 v[179:180], v[171:172], v[6:7], v[179:180]
	v_fma_f64 v[185:186], v[169:170], v[6:7], -v[8:9]
	ds_load_b128 v[6:9], v1 offset:1440
	scratch_load_b128 v[169:172], off, off offset:576
	s_wait_loadcnt_dscnt 0x901
	v_mul_f64_e32 v[183:184], v[2:3], v[12:13]
	v_mul_f64_e32 v[12:13], v[4:5], v[12:13]
	s_wait_loadcnt_dscnt 0x800
	v_mul_f64_e32 v[187:188], v[6:7], v[16:17]
	v_mul_f64_e32 v[16:17], v[8:9], v[16:17]
	v_add_f64_e32 v[177:178], 0, v[177:178]
	v_add_f64_e32 v[181:182], 0, v[181:182]
	v_fma_f64 v[183:184], v[4:5], v[10:11], v[183:184]
	v_fma_f64 v[189:190], v[2:3], v[10:11], -v[12:13]
	ds_load_b128 v[2:5], v1 offset:1456
	scratch_load_b128 v[10:13], off, off offset:592
	v_add_f64_e32 v[177:178], v[177:178], v[185:186]
	v_add_f64_e32 v[179:180], v[181:182], v[179:180]
	v_fma_f64 v[185:186], v[8:9], v[14:15], v[187:188]
	v_fma_f64 v[187:188], v[6:7], v[14:15], -v[16:17]
	ds_load_b128 v[6:9], v1 offset:1472
	scratch_load_b128 v[14:17], off, off offset:608
	s_wait_loadcnt_dscnt 0x901
	v_mul_f64_e32 v[181:182], v[2:3], v[20:21]
	v_mul_f64_e32 v[20:21], v[4:5], v[20:21]
	v_add_f64_e32 v[177:178], v[177:178], v[189:190]
	v_add_f64_e32 v[179:180], v[179:180], v[183:184]
	s_wait_loadcnt_dscnt 0x800
	v_mul_f64_e32 v[183:184], v[6:7], v[24:25]
	v_mul_f64_e32 v[24:25], v[8:9], v[24:25]
	v_fma_f64 v[181:182], v[4:5], v[18:19], v[181:182]
	v_fma_f64 v[189:190], v[2:3], v[18:19], -v[20:21]
	ds_load_b128 v[2:5], v1 offset:1488
	scratch_load_b128 v[18:21], off, off offset:624
	v_add_f64_e32 v[177:178], v[177:178], v[187:188]
	v_add_f64_e32 v[179:180], v[179:180], v[185:186]
	v_fma_f64 v[183:184], v[8:9], v[22:23], v[183:184]
	v_fma_f64 v[187:188], v[6:7], v[22:23], -v[24:25]
	ds_load_b128 v[6:9], v1 offset:1504
	s_wait_loadcnt_dscnt 0x801
	v_mul_f64_e32 v[185:186], v[2:3], v[28:29]
	v_mul_f64_e32 v[28:29], v[4:5], v[28:29]
	scratch_load_b128 v[22:25], off, off offset:640
	v_add_f64_e32 v[177:178], v[177:178], v[189:190]
	v_add_f64_e32 v[179:180], v[179:180], v[181:182]
	s_wait_loadcnt_dscnt 0x800
	v_mul_f64_e32 v[181:182], v[6:7], v[32:33]
	v_mul_f64_e32 v[32:33], v[8:9], v[32:33]
	v_fma_f64 v[185:186], v[4:5], v[26:27], v[185:186]
	v_fma_f64 v[189:190], v[2:3], v[26:27], -v[28:29]
	ds_load_b128 v[2:5], v1 offset:1520
	scratch_load_b128 v[26:29], off, off offset:656
	v_add_f64_e32 v[177:178], v[177:178], v[187:188]
	v_add_f64_e32 v[179:180], v[179:180], v[183:184]
	v_fma_f64 v[181:182], v[8:9], v[30:31], v[181:182]
	v_fma_f64 v[187:188], v[6:7], v[30:31], -v[32:33]
	ds_load_b128 v[6:9], v1 offset:1536
	s_wait_loadcnt_dscnt 0x801
	v_mul_f64_e32 v[183:184], v[2:3], v[36:37]
	v_mul_f64_e32 v[36:37], v[4:5], v[36:37]
	scratch_load_b128 v[30:33], off, off offset:672
	v_add_f64_e32 v[177:178], v[177:178], v[189:190]
	v_add_f64_e32 v[179:180], v[179:180], v[185:186]
	s_wait_loadcnt_dscnt 0x800
	v_mul_f64_e32 v[185:186], v[6:7], v[175:176]
	v_mul_f64_e32 v[175:176], v[8:9], v[175:176]
	v_fma_f64 v[183:184], v[4:5], v[34:35], v[183:184]
	v_fma_f64 v[189:190], v[2:3], v[34:35], -v[36:37]
	ds_load_b128 v[2:5], v1 offset:1552
	scratch_load_b128 v[34:37], off, off offset:688
	v_add_f64_e32 v[177:178], v[177:178], v[187:188]
	v_add_f64_e32 v[179:180], v[179:180], v[181:182]
	v_fma_f64 v[185:186], v[8:9], v[173:174], v[185:186]
	v_fma_f64 v[187:188], v[6:7], v[173:174], -v[175:176]
	ds_load_b128 v[6:9], v1 offset:1568
	scratch_load_b128 v[173:176], off, off offset:704
	s_wait_loadcnt_dscnt 0x901
	v_mul_f64_e32 v[181:182], v[2:3], v[40:41]
	v_mul_f64_e32 v[40:41], v[4:5], v[40:41]
	v_add_f64_e32 v[177:178], v[177:178], v[189:190]
	v_add_f64_e32 v[179:180], v[179:180], v[183:184]
	s_wait_loadcnt_dscnt 0x800
	v_mul_f64_e32 v[183:184], v[6:7], v[171:172]
	v_mul_f64_e32 v[171:172], v[8:9], v[171:172]
	v_fma_f64 v[181:182], v[4:5], v[38:39], v[181:182]
	v_fma_f64 v[189:190], v[2:3], v[38:39], -v[40:41]
	ds_load_b128 v[2:5], v1 offset:1584
	scratch_load_b128 v[38:41], off, off offset:720
	v_add_f64_e32 v[177:178], v[177:178], v[187:188]
	v_add_f64_e32 v[179:180], v[179:180], v[185:186]
	v_fma_f64 v[183:184], v[8:9], v[169:170], v[183:184]
	v_fma_f64 v[187:188], v[6:7], v[169:170], -v[171:172]
	ds_load_b128 v[6:9], v1 offset:1600
	s_wait_loadcnt_dscnt 0x801
	v_mul_f64_e32 v[185:186], v[2:3], v[12:13]
	v_mul_f64_e32 v[12:13], v[4:5], v[12:13]
	scratch_load_b128 v[169:172], off, off offset:736
	v_add_f64_e32 v[177:178], v[177:178], v[189:190]
	v_add_f64_e32 v[179:180], v[179:180], v[181:182]
	s_wait_loadcnt_dscnt 0x800
	v_mul_f64_e32 v[181:182], v[6:7], v[16:17]
	v_mul_f64_e32 v[16:17], v[8:9], v[16:17]
	v_fma_f64 v[185:186], v[4:5], v[10:11], v[185:186]
	v_fma_f64 v[189:190], v[2:3], v[10:11], -v[12:13]
	ds_load_b128 v[2:5], v1 offset:1616
	scratch_load_b128 v[10:13], off, off offset:752
	v_add_f64_e32 v[177:178], v[177:178], v[187:188]
	v_add_f64_e32 v[179:180], v[179:180], v[183:184]
	v_fma_f64 v[181:182], v[8:9], v[14:15], v[181:182]
	v_fma_f64 v[187:188], v[6:7], v[14:15], -v[16:17]
	ds_load_b128 v[6:9], v1 offset:1632
	s_wait_loadcnt_dscnt 0x801
	v_mul_f64_e32 v[183:184], v[2:3], v[20:21]
	v_mul_f64_e32 v[20:21], v[4:5], v[20:21]
	scratch_load_b128 v[14:17], off, off offset:768
	v_add_f64_e32 v[177:178], v[177:178], v[189:190]
	v_add_f64_e32 v[179:180], v[179:180], v[185:186]
	s_wait_loadcnt_dscnt 0x800
	v_mul_f64_e32 v[185:186], v[6:7], v[24:25]
	v_mul_f64_e32 v[24:25], v[8:9], v[24:25]
	v_fma_f64 v[183:184], v[4:5], v[18:19], v[183:184]
	v_fma_f64 v[189:190], v[2:3], v[18:19], -v[20:21]
	ds_load_b128 v[2:5], v1 offset:1648
	scratch_load_b128 v[18:21], off, off offset:784
	v_add_f64_e32 v[177:178], v[177:178], v[187:188]
	v_add_f64_e32 v[179:180], v[179:180], v[181:182]
	v_fma_f64 v[185:186], v[8:9], v[22:23], v[185:186]
	v_fma_f64 v[187:188], v[6:7], v[22:23], -v[24:25]
	ds_load_b128 v[6:9], v1 offset:1664
	s_wait_loadcnt_dscnt 0x801
	v_mul_f64_e32 v[181:182], v[2:3], v[28:29]
	v_mul_f64_e32 v[28:29], v[4:5], v[28:29]
	scratch_load_b128 v[22:25], off, off offset:800
	v_add_f64_e32 v[177:178], v[177:178], v[189:190]
	v_add_f64_e32 v[179:180], v[179:180], v[183:184]
	s_wait_loadcnt_dscnt 0x800
	v_mul_f64_e32 v[183:184], v[6:7], v[32:33]
	v_mul_f64_e32 v[32:33], v[8:9], v[32:33]
	v_fma_f64 v[181:182], v[4:5], v[26:27], v[181:182]
	v_fma_f64 v[189:190], v[2:3], v[26:27], -v[28:29]
	ds_load_b128 v[2:5], v1 offset:1680
	scratch_load_b128 v[26:29], off, off offset:816
	v_add_f64_e32 v[177:178], v[177:178], v[187:188]
	v_add_f64_e32 v[179:180], v[179:180], v[185:186]
	v_fma_f64 v[183:184], v[8:9], v[30:31], v[183:184]
	v_fma_f64 v[187:188], v[6:7], v[30:31], -v[32:33]
	ds_load_b128 v[6:9], v1 offset:1696
	s_wait_loadcnt_dscnt 0x801
	v_mul_f64_e32 v[185:186], v[2:3], v[36:37]
	v_mul_f64_e32 v[36:37], v[4:5], v[36:37]
	scratch_load_b128 v[30:33], off, off offset:832
	v_add_f64_e32 v[177:178], v[177:178], v[189:190]
	v_add_f64_e32 v[179:180], v[179:180], v[181:182]
	s_wait_loadcnt_dscnt 0x800
	v_mul_f64_e32 v[181:182], v[6:7], v[175:176]
	v_mul_f64_e32 v[175:176], v[8:9], v[175:176]
	v_fma_f64 v[185:186], v[4:5], v[34:35], v[185:186]
	v_fma_f64 v[189:190], v[2:3], v[34:35], -v[36:37]
	ds_load_b128 v[2:5], v1 offset:1712
	scratch_load_b128 v[34:37], off, off offset:848
	v_add_f64_e32 v[177:178], v[177:178], v[187:188]
	v_add_f64_e32 v[179:180], v[179:180], v[183:184]
	v_fma_f64 v[181:182], v[8:9], v[173:174], v[181:182]
	v_fma_f64 v[187:188], v[6:7], v[173:174], -v[175:176]
	ds_load_b128 v[6:9], v1 offset:1728
	s_wait_loadcnt_dscnt 0x801
	v_mul_f64_e32 v[183:184], v[2:3], v[40:41]
	v_mul_f64_e32 v[40:41], v[4:5], v[40:41]
	scratch_load_b128 v[173:176], off, off offset:864
	v_add_f64_e32 v[177:178], v[177:178], v[189:190]
	v_add_f64_e32 v[179:180], v[179:180], v[185:186]
	s_wait_loadcnt_dscnt 0x800
	v_mul_f64_e32 v[185:186], v[6:7], v[171:172]
	v_mul_f64_e32 v[171:172], v[8:9], v[171:172]
	v_fma_f64 v[183:184], v[4:5], v[38:39], v[183:184]
	v_fma_f64 v[189:190], v[2:3], v[38:39], -v[40:41]
	ds_load_b128 v[2:5], v1 offset:1744
	scratch_load_b128 v[38:41], off, off offset:880
	v_add_f64_e32 v[177:178], v[177:178], v[187:188]
	v_add_f64_e32 v[179:180], v[179:180], v[181:182]
	v_fma_f64 v[185:186], v[8:9], v[169:170], v[185:186]
	v_fma_f64 v[187:188], v[6:7], v[169:170], -v[171:172]
	ds_load_b128 v[6:9], v1 offset:1760
	s_wait_loadcnt_dscnt 0x801
	v_mul_f64_e32 v[181:182], v[2:3], v[12:13]
	v_mul_f64_e32 v[12:13], v[4:5], v[12:13]
	scratch_load_b128 v[169:172], off, off offset:896
	v_add_f64_e32 v[177:178], v[177:178], v[189:190]
	v_add_f64_e32 v[179:180], v[179:180], v[183:184]
	s_wait_loadcnt_dscnt 0x800
	v_mul_f64_e32 v[183:184], v[6:7], v[16:17]
	v_mul_f64_e32 v[16:17], v[8:9], v[16:17]
	v_fma_f64 v[181:182], v[4:5], v[10:11], v[181:182]
	v_fma_f64 v[189:190], v[2:3], v[10:11], -v[12:13]
	ds_load_b128 v[2:5], v1 offset:1776
	scratch_load_b128 v[10:13], off, off offset:912
	v_add_f64_e32 v[177:178], v[177:178], v[187:188]
	v_add_f64_e32 v[179:180], v[179:180], v[185:186]
	v_fma_f64 v[183:184], v[8:9], v[14:15], v[183:184]
	v_fma_f64 v[187:188], v[6:7], v[14:15], -v[16:17]
	ds_load_b128 v[6:9], v1 offset:1792
	s_wait_loadcnt_dscnt 0x801
	v_mul_f64_e32 v[185:186], v[2:3], v[20:21]
	v_mul_f64_e32 v[20:21], v[4:5], v[20:21]
	scratch_load_b128 v[14:17], off, off offset:928
	v_add_f64_e32 v[177:178], v[177:178], v[189:190]
	v_add_f64_e32 v[179:180], v[179:180], v[181:182]
	s_wait_loadcnt_dscnt 0x800
	v_mul_f64_e32 v[181:182], v[6:7], v[24:25]
	v_mul_f64_e32 v[24:25], v[8:9], v[24:25]
	v_fma_f64 v[185:186], v[4:5], v[18:19], v[185:186]
	v_fma_f64 v[189:190], v[2:3], v[18:19], -v[20:21]
	ds_load_b128 v[2:5], v1 offset:1808
	scratch_load_b128 v[18:21], off, off offset:944
	v_add_f64_e32 v[177:178], v[177:178], v[187:188]
	v_add_f64_e32 v[179:180], v[179:180], v[183:184]
	v_fma_f64 v[181:182], v[8:9], v[22:23], v[181:182]
	v_fma_f64 v[187:188], v[6:7], v[22:23], -v[24:25]
	ds_load_b128 v[6:9], v1 offset:1824
	s_wait_loadcnt_dscnt 0x801
	v_mul_f64_e32 v[183:184], v[2:3], v[28:29]
	v_mul_f64_e32 v[28:29], v[4:5], v[28:29]
	scratch_load_b128 v[22:25], off, off offset:960
	v_add_f64_e32 v[177:178], v[177:178], v[189:190]
	v_add_f64_e32 v[179:180], v[179:180], v[185:186]
	s_wait_loadcnt_dscnt 0x800
	v_mul_f64_e32 v[185:186], v[6:7], v[32:33]
	v_mul_f64_e32 v[32:33], v[8:9], v[32:33]
	v_fma_f64 v[183:184], v[4:5], v[26:27], v[183:184]
	v_fma_f64 v[189:190], v[2:3], v[26:27], -v[28:29]
	ds_load_b128 v[2:5], v1 offset:1840
	scratch_load_b128 v[26:29], off, off offset:976
	v_add_f64_e32 v[177:178], v[177:178], v[187:188]
	v_add_f64_e32 v[179:180], v[179:180], v[181:182]
	v_fma_f64 v[185:186], v[8:9], v[30:31], v[185:186]
	v_fma_f64 v[187:188], v[6:7], v[30:31], -v[32:33]
	ds_load_b128 v[6:9], v1 offset:1856
	s_wait_loadcnt_dscnt 0x801
	v_mul_f64_e32 v[181:182], v[2:3], v[36:37]
	v_mul_f64_e32 v[36:37], v[4:5], v[36:37]
	scratch_load_b128 v[30:33], off, off offset:992
	v_add_f64_e32 v[177:178], v[177:178], v[189:190]
	v_add_f64_e32 v[179:180], v[179:180], v[183:184]
	s_wait_loadcnt_dscnt 0x800
	v_mul_f64_e32 v[183:184], v[6:7], v[175:176]
	v_mul_f64_e32 v[175:176], v[8:9], v[175:176]
	v_fma_f64 v[181:182], v[4:5], v[34:35], v[181:182]
	v_fma_f64 v[189:190], v[2:3], v[34:35], -v[36:37]
	ds_load_b128 v[2:5], v1 offset:1872
	scratch_load_b128 v[34:37], off, off offset:1008
	v_add_f64_e32 v[177:178], v[177:178], v[187:188]
	v_add_f64_e32 v[179:180], v[179:180], v[185:186]
	v_fma_f64 v[183:184], v[8:9], v[173:174], v[183:184]
	v_fma_f64 v[173:174], v[6:7], v[173:174], -v[175:176]
	ds_load_b128 v[6:9], v1 offset:1888
	s_wait_loadcnt_dscnt 0x801
	v_mul_f64_e32 v[185:186], v[2:3], v[40:41]
	v_mul_f64_e32 v[40:41], v[4:5], v[40:41]
	v_add_f64_e32 v[175:176], v[177:178], v[189:190]
	v_add_f64_e32 v[177:178], v[179:180], v[181:182]
	s_wait_loadcnt_dscnt 0x700
	v_mul_f64_e32 v[179:180], v[6:7], v[171:172]
	v_mul_f64_e32 v[171:172], v[8:9], v[171:172]
	v_fma_f64 v[181:182], v[4:5], v[38:39], v[185:186]
	v_fma_f64 v[38:39], v[2:3], v[38:39], -v[40:41]
	ds_load_b128 v[2:5], v1 offset:1904
	v_add_f64_e32 v[40:41], v[175:176], v[173:174]
	v_add_f64_e32 v[173:174], v[177:178], v[183:184]
	v_fma_f64 v[177:178], v[8:9], v[169:170], v[179:180]
	v_fma_f64 v[169:170], v[6:7], v[169:170], -v[171:172]
	ds_load_b128 v[6:9], v1 offset:1920
	s_wait_loadcnt_dscnt 0x500
	v_mul_f64_e32 v[179:180], v[6:7], v[16:17]
	v_mul_f64_e32 v[16:17], v[8:9], v[16:17]
	v_add_f64_e32 v[171:172], v[40:41], v[38:39]
	v_add_f64_e32 v[173:174], v[173:174], v[181:182]
	scratch_load_b128 v[38:41], off, off offset:384
	v_mul_f64_e32 v[175:176], v[2:3], v[12:13]
	v_mul_f64_e32 v[12:13], v[4:5], v[12:13]
	s_delay_alu instid0(VALU_DEP_2) | instskip(NEXT) | instid1(VALU_DEP_2)
	v_fma_f64 v[175:176], v[4:5], v[10:11], v[175:176]
	v_fma_f64 v[10:11], v[2:3], v[10:11], -v[12:13]
	v_add_f64_e32 v[12:13], v[171:172], v[169:170]
	v_add_f64_e32 v[169:170], v[173:174], v[177:178]
	ds_load_b128 v[2:5], v1 offset:1936
	v_fma_f64 v[173:174], v[8:9], v[14:15], v[179:180]
	v_fma_f64 v[14:15], v[6:7], v[14:15], -v[16:17]
	ds_load_b128 v[6:9], v1 offset:1952
	s_wait_loadcnt_dscnt 0x501
	v_mul_f64_e32 v[171:172], v[2:3], v[20:21]
	v_mul_f64_e32 v[20:21], v[4:5], v[20:21]
	s_wait_loadcnt_dscnt 0x400
	v_mul_f64_e32 v[16:17], v[6:7], v[24:25]
	v_mul_f64_e32 v[24:25], v[8:9], v[24:25]
	v_add_f64_e32 v[10:11], v[12:13], v[10:11]
	v_add_f64_e32 v[12:13], v[169:170], v[175:176]
	v_fma_f64 v[169:170], v[4:5], v[18:19], v[171:172]
	v_fma_f64 v[18:19], v[2:3], v[18:19], -v[20:21]
	ds_load_b128 v[2:5], v1 offset:1968
	v_fma_f64 v[16:17], v[8:9], v[22:23], v[16:17]
	v_fma_f64 v[22:23], v[6:7], v[22:23], -v[24:25]
	ds_load_b128 v[6:9], v1 offset:1984
	v_add_f64_e32 v[10:11], v[10:11], v[14:15]
	v_add_f64_e32 v[12:13], v[12:13], v[173:174]
	s_wait_loadcnt_dscnt 0x301
	v_mul_f64_e32 v[14:15], v[2:3], v[28:29]
	v_mul_f64_e32 v[20:21], v[4:5], v[28:29]
	s_wait_loadcnt_dscnt 0x200
	v_mul_f64_e32 v[24:25], v[8:9], v[32:33]
	v_add_f64_e32 v[10:11], v[10:11], v[18:19]
	v_add_f64_e32 v[12:13], v[12:13], v[169:170]
	v_mul_f64_e32 v[18:19], v[6:7], v[32:33]
	v_fma_f64 v[14:15], v[4:5], v[26:27], v[14:15]
	v_fma_f64 v[20:21], v[2:3], v[26:27], -v[20:21]
	ds_load_b128 v[2:5], v1 offset:2000
	v_fma_f64 v[6:7], v[6:7], v[30:31], -v[24:25]
	v_add_f64_e32 v[10:11], v[10:11], v[22:23]
	v_add_f64_e32 v[12:13], v[12:13], v[16:17]
	s_wait_loadcnt_dscnt 0x100
	v_mul_f64_e32 v[16:17], v[2:3], v[36:37]
	v_mul_f64_e32 v[22:23], v[4:5], v[36:37]
	v_fma_f64 v[8:9], v[8:9], v[30:31], v[18:19]
	v_add_f64_e32 v[10:11], v[10:11], v[20:21]
	v_add_f64_e32 v[12:13], v[12:13], v[14:15]
	v_fma_f64 v[4:5], v[4:5], v[34:35], v[16:17]
	v_fma_f64 v[2:3], v[2:3], v[34:35], -v[22:23]
	s_delay_alu instid0(VALU_DEP_4) | instskip(NEXT) | instid1(VALU_DEP_4)
	v_add_f64_e32 v[6:7], v[10:11], v[6:7]
	v_add_f64_e32 v[8:9], v[12:13], v[8:9]
	s_delay_alu instid0(VALU_DEP_2) | instskip(NEXT) | instid1(VALU_DEP_2)
	v_add_f64_e32 v[2:3], v[6:7], v[2:3]
	v_add_f64_e32 v[4:5], v[8:9], v[4:5]
	s_wait_loadcnt 0x0
	s_delay_alu instid0(VALU_DEP_2) | instskip(NEXT) | instid1(VALU_DEP_2)
	v_add_f64_e64 v[2:3], v[38:39], -v[2:3]
	v_add_f64_e64 v[4:5], v[40:41], -v[4:5]
	scratch_store_b128 off, v[2:5], off offset:384
	v_cmpx_lt_u32_e32 22, v0
	s_cbranch_execz .LBB126_359
; %bb.358:
	scratch_load_b128 v[5:8], off, s56
	v_dual_mov_b32 v2, v1 :: v_dual_mov_b32 v3, v1
	v_mov_b32_e32 v4, v1
	scratch_store_b128 off, v[1:4], off offset:368
	s_wait_loadcnt 0x0
	ds_store_b128 v168, v[5:8]
.LBB126_359:
	s_wait_alu 0xfffe
	s_or_b32 exec_lo, exec_lo, s0
	s_wait_storecnt_dscnt 0x0
	s_barrier_signal -1
	s_barrier_wait -1
	global_inv scope:SCOPE_SE
	s_clause 0x7
	scratch_load_b128 v[2:5], off, off offset:384
	scratch_load_b128 v[6:9], off, off offset:400
	;; [unrolled: 1-line block ×8, first 2 shown]
	ds_load_b128 v[38:41], v1 offset:1376
	ds_load_b128 v[169:172], v1 offset:1392
	s_clause 0x1
	scratch_load_b128 v[34:37], off, off offset:512
	scratch_load_b128 v[173:176], off, off offset:528
	s_mov_b32 s0, exec_lo
	s_wait_loadcnt_dscnt 0x901
	v_mul_f64_e32 v[177:178], v[40:41], v[4:5]
	v_mul_f64_e32 v[4:5], v[38:39], v[4:5]
	s_wait_loadcnt_dscnt 0x800
	v_mul_f64_e32 v[179:180], v[169:170], v[8:9]
	v_mul_f64_e32 v[8:9], v[171:172], v[8:9]
	s_delay_alu instid0(VALU_DEP_4) | instskip(NEXT) | instid1(VALU_DEP_4)
	v_fma_f64 v[177:178], v[38:39], v[2:3], -v[177:178]
	v_fma_f64 v[181:182], v[40:41], v[2:3], v[4:5]
	ds_load_b128 v[2:5], v1 offset:1408
	scratch_load_b128 v[38:41], off, off offset:544
	v_fma_f64 v[179:180], v[171:172], v[6:7], v[179:180]
	v_fma_f64 v[185:186], v[169:170], v[6:7], -v[8:9]
	ds_load_b128 v[6:9], v1 offset:1424
	scratch_load_b128 v[169:172], off, off offset:560
	s_wait_loadcnt_dscnt 0x901
	v_mul_f64_e32 v[183:184], v[2:3], v[12:13]
	v_mul_f64_e32 v[12:13], v[4:5], v[12:13]
	s_wait_loadcnt_dscnt 0x800
	v_mul_f64_e32 v[187:188], v[6:7], v[16:17]
	v_mul_f64_e32 v[16:17], v[8:9], v[16:17]
	v_add_f64_e32 v[177:178], 0, v[177:178]
	v_add_f64_e32 v[181:182], 0, v[181:182]
	v_fma_f64 v[183:184], v[4:5], v[10:11], v[183:184]
	v_fma_f64 v[189:190], v[2:3], v[10:11], -v[12:13]
	ds_load_b128 v[2:5], v1 offset:1440
	scratch_load_b128 v[10:13], off, off offset:576
	v_add_f64_e32 v[177:178], v[177:178], v[185:186]
	v_add_f64_e32 v[179:180], v[181:182], v[179:180]
	v_fma_f64 v[185:186], v[8:9], v[14:15], v[187:188]
	v_fma_f64 v[187:188], v[6:7], v[14:15], -v[16:17]
	ds_load_b128 v[6:9], v1 offset:1456
	scratch_load_b128 v[14:17], off, off offset:592
	s_wait_loadcnt_dscnt 0x901
	v_mul_f64_e32 v[181:182], v[2:3], v[20:21]
	v_mul_f64_e32 v[20:21], v[4:5], v[20:21]
	v_add_f64_e32 v[177:178], v[177:178], v[189:190]
	v_add_f64_e32 v[179:180], v[179:180], v[183:184]
	s_wait_loadcnt_dscnt 0x800
	v_mul_f64_e32 v[183:184], v[6:7], v[24:25]
	v_mul_f64_e32 v[24:25], v[8:9], v[24:25]
	v_fma_f64 v[181:182], v[4:5], v[18:19], v[181:182]
	v_fma_f64 v[189:190], v[2:3], v[18:19], -v[20:21]
	ds_load_b128 v[2:5], v1 offset:1472
	scratch_load_b128 v[18:21], off, off offset:608
	v_add_f64_e32 v[177:178], v[177:178], v[187:188]
	v_add_f64_e32 v[179:180], v[179:180], v[185:186]
	v_fma_f64 v[183:184], v[8:9], v[22:23], v[183:184]
	v_fma_f64 v[187:188], v[6:7], v[22:23], -v[24:25]
	ds_load_b128 v[6:9], v1 offset:1488
	s_wait_loadcnt_dscnt 0x801
	v_mul_f64_e32 v[185:186], v[2:3], v[28:29]
	v_mul_f64_e32 v[28:29], v[4:5], v[28:29]
	scratch_load_b128 v[22:25], off, off offset:624
	v_add_f64_e32 v[177:178], v[177:178], v[189:190]
	v_add_f64_e32 v[179:180], v[179:180], v[181:182]
	s_wait_loadcnt_dscnt 0x800
	v_mul_f64_e32 v[181:182], v[6:7], v[32:33]
	v_mul_f64_e32 v[32:33], v[8:9], v[32:33]
	v_fma_f64 v[185:186], v[4:5], v[26:27], v[185:186]
	v_fma_f64 v[189:190], v[2:3], v[26:27], -v[28:29]
	ds_load_b128 v[2:5], v1 offset:1504
	scratch_load_b128 v[26:29], off, off offset:640
	v_add_f64_e32 v[177:178], v[177:178], v[187:188]
	v_add_f64_e32 v[179:180], v[179:180], v[183:184]
	v_fma_f64 v[181:182], v[8:9], v[30:31], v[181:182]
	v_fma_f64 v[187:188], v[6:7], v[30:31], -v[32:33]
	ds_load_b128 v[6:9], v1 offset:1520
	s_wait_loadcnt_dscnt 0x801
	v_mul_f64_e32 v[183:184], v[2:3], v[36:37]
	v_mul_f64_e32 v[36:37], v[4:5], v[36:37]
	scratch_load_b128 v[30:33], off, off offset:656
	v_add_f64_e32 v[177:178], v[177:178], v[189:190]
	v_add_f64_e32 v[179:180], v[179:180], v[185:186]
	s_wait_loadcnt_dscnt 0x800
	v_mul_f64_e32 v[185:186], v[6:7], v[175:176]
	v_mul_f64_e32 v[175:176], v[8:9], v[175:176]
	v_fma_f64 v[183:184], v[4:5], v[34:35], v[183:184]
	v_fma_f64 v[189:190], v[2:3], v[34:35], -v[36:37]
	ds_load_b128 v[2:5], v1 offset:1536
	scratch_load_b128 v[34:37], off, off offset:672
	v_add_f64_e32 v[177:178], v[177:178], v[187:188]
	v_add_f64_e32 v[179:180], v[179:180], v[181:182]
	v_fma_f64 v[185:186], v[8:9], v[173:174], v[185:186]
	v_fma_f64 v[187:188], v[6:7], v[173:174], -v[175:176]
	ds_load_b128 v[6:9], v1 offset:1552
	scratch_load_b128 v[173:176], off, off offset:688
	s_wait_loadcnt_dscnt 0x901
	v_mul_f64_e32 v[181:182], v[2:3], v[40:41]
	v_mul_f64_e32 v[40:41], v[4:5], v[40:41]
	v_add_f64_e32 v[177:178], v[177:178], v[189:190]
	v_add_f64_e32 v[179:180], v[179:180], v[183:184]
	s_wait_loadcnt_dscnt 0x800
	v_mul_f64_e32 v[183:184], v[6:7], v[171:172]
	v_mul_f64_e32 v[171:172], v[8:9], v[171:172]
	v_fma_f64 v[181:182], v[4:5], v[38:39], v[181:182]
	v_fma_f64 v[189:190], v[2:3], v[38:39], -v[40:41]
	ds_load_b128 v[2:5], v1 offset:1568
	scratch_load_b128 v[38:41], off, off offset:704
	v_add_f64_e32 v[177:178], v[177:178], v[187:188]
	v_add_f64_e32 v[179:180], v[179:180], v[185:186]
	v_fma_f64 v[183:184], v[8:9], v[169:170], v[183:184]
	v_fma_f64 v[187:188], v[6:7], v[169:170], -v[171:172]
	ds_load_b128 v[6:9], v1 offset:1584
	s_wait_loadcnt_dscnt 0x801
	v_mul_f64_e32 v[185:186], v[2:3], v[12:13]
	v_mul_f64_e32 v[12:13], v[4:5], v[12:13]
	scratch_load_b128 v[169:172], off, off offset:720
	v_add_f64_e32 v[177:178], v[177:178], v[189:190]
	v_add_f64_e32 v[179:180], v[179:180], v[181:182]
	s_wait_loadcnt_dscnt 0x800
	v_mul_f64_e32 v[181:182], v[6:7], v[16:17]
	v_mul_f64_e32 v[16:17], v[8:9], v[16:17]
	v_fma_f64 v[185:186], v[4:5], v[10:11], v[185:186]
	v_fma_f64 v[189:190], v[2:3], v[10:11], -v[12:13]
	scratch_load_b128 v[10:13], off, off offset:736
	ds_load_b128 v[2:5], v1 offset:1600
	v_add_f64_e32 v[177:178], v[177:178], v[187:188]
	v_add_f64_e32 v[179:180], v[179:180], v[183:184]
	v_fma_f64 v[181:182], v[8:9], v[14:15], v[181:182]
	v_fma_f64 v[187:188], v[6:7], v[14:15], -v[16:17]
	ds_load_b128 v[6:9], v1 offset:1616
	s_wait_loadcnt_dscnt 0x801
	v_mul_f64_e32 v[183:184], v[2:3], v[20:21]
	v_mul_f64_e32 v[20:21], v[4:5], v[20:21]
	scratch_load_b128 v[14:17], off, off offset:752
	v_add_f64_e32 v[177:178], v[177:178], v[189:190]
	v_add_f64_e32 v[179:180], v[179:180], v[185:186]
	s_wait_loadcnt_dscnt 0x800
	v_mul_f64_e32 v[185:186], v[6:7], v[24:25]
	v_mul_f64_e32 v[24:25], v[8:9], v[24:25]
	v_fma_f64 v[183:184], v[4:5], v[18:19], v[183:184]
	v_fma_f64 v[189:190], v[2:3], v[18:19], -v[20:21]
	ds_load_b128 v[2:5], v1 offset:1632
	scratch_load_b128 v[18:21], off, off offset:768
	v_add_f64_e32 v[177:178], v[177:178], v[187:188]
	v_add_f64_e32 v[179:180], v[179:180], v[181:182]
	v_fma_f64 v[185:186], v[8:9], v[22:23], v[185:186]
	v_fma_f64 v[187:188], v[6:7], v[22:23], -v[24:25]
	ds_load_b128 v[6:9], v1 offset:1648
	s_wait_loadcnt_dscnt 0x801
	v_mul_f64_e32 v[181:182], v[2:3], v[28:29]
	v_mul_f64_e32 v[28:29], v[4:5], v[28:29]
	scratch_load_b128 v[22:25], off, off offset:784
	v_add_f64_e32 v[177:178], v[177:178], v[189:190]
	v_add_f64_e32 v[179:180], v[179:180], v[183:184]
	s_wait_loadcnt_dscnt 0x800
	v_mul_f64_e32 v[183:184], v[6:7], v[32:33]
	v_mul_f64_e32 v[32:33], v[8:9], v[32:33]
	v_fma_f64 v[181:182], v[4:5], v[26:27], v[181:182]
	v_fma_f64 v[189:190], v[2:3], v[26:27], -v[28:29]
	ds_load_b128 v[2:5], v1 offset:1664
	scratch_load_b128 v[26:29], off, off offset:800
	;; [unrolled: 18-line block ×4, first 2 shown]
	v_add_f64_e32 v[177:178], v[177:178], v[187:188]
	v_add_f64_e32 v[179:180], v[179:180], v[181:182]
	v_fma_f64 v[185:186], v[8:9], v[169:170], v[185:186]
	v_fma_f64 v[187:188], v[6:7], v[169:170], -v[171:172]
	ds_load_b128 v[6:9], v1 offset:1744
	s_wait_loadcnt_dscnt 0x801
	v_mul_f64_e32 v[181:182], v[2:3], v[12:13]
	v_mul_f64_e32 v[12:13], v[4:5], v[12:13]
	scratch_load_b128 v[169:172], off, off offset:880
	v_add_f64_e32 v[177:178], v[177:178], v[189:190]
	v_add_f64_e32 v[179:180], v[179:180], v[183:184]
	s_wait_loadcnt_dscnt 0x800
	v_mul_f64_e32 v[183:184], v[6:7], v[16:17]
	v_mul_f64_e32 v[16:17], v[8:9], v[16:17]
	v_fma_f64 v[181:182], v[4:5], v[10:11], v[181:182]
	v_fma_f64 v[189:190], v[2:3], v[10:11], -v[12:13]
	scratch_load_b128 v[10:13], off, off offset:896
	ds_load_b128 v[2:5], v1 offset:1760
	v_add_f64_e32 v[177:178], v[177:178], v[187:188]
	v_add_f64_e32 v[179:180], v[179:180], v[185:186]
	v_fma_f64 v[183:184], v[8:9], v[14:15], v[183:184]
	v_fma_f64 v[187:188], v[6:7], v[14:15], -v[16:17]
	ds_load_b128 v[6:9], v1 offset:1776
	s_wait_loadcnt_dscnt 0x801
	v_mul_f64_e32 v[185:186], v[2:3], v[20:21]
	v_mul_f64_e32 v[20:21], v[4:5], v[20:21]
	scratch_load_b128 v[14:17], off, off offset:912
	v_add_f64_e32 v[177:178], v[177:178], v[189:190]
	v_add_f64_e32 v[179:180], v[179:180], v[181:182]
	s_wait_loadcnt_dscnt 0x800
	v_mul_f64_e32 v[181:182], v[6:7], v[24:25]
	v_mul_f64_e32 v[24:25], v[8:9], v[24:25]
	v_fma_f64 v[185:186], v[4:5], v[18:19], v[185:186]
	v_fma_f64 v[189:190], v[2:3], v[18:19], -v[20:21]
	ds_load_b128 v[2:5], v1 offset:1792
	scratch_load_b128 v[18:21], off, off offset:928
	v_add_f64_e32 v[177:178], v[177:178], v[187:188]
	v_add_f64_e32 v[179:180], v[179:180], v[183:184]
	v_fma_f64 v[181:182], v[8:9], v[22:23], v[181:182]
	v_fma_f64 v[187:188], v[6:7], v[22:23], -v[24:25]
	ds_load_b128 v[6:9], v1 offset:1808
	s_wait_loadcnt_dscnt 0x801
	v_mul_f64_e32 v[183:184], v[2:3], v[28:29]
	v_mul_f64_e32 v[28:29], v[4:5], v[28:29]
	scratch_load_b128 v[22:25], off, off offset:944
	v_add_f64_e32 v[177:178], v[177:178], v[189:190]
	v_add_f64_e32 v[179:180], v[179:180], v[185:186]
	s_wait_loadcnt_dscnt 0x800
	v_mul_f64_e32 v[185:186], v[6:7], v[32:33]
	v_mul_f64_e32 v[32:33], v[8:9], v[32:33]
	v_fma_f64 v[183:184], v[4:5], v[26:27], v[183:184]
	v_fma_f64 v[189:190], v[2:3], v[26:27], -v[28:29]
	ds_load_b128 v[2:5], v1 offset:1824
	scratch_load_b128 v[26:29], off, off offset:960
	;; [unrolled: 18-line block ×3, first 2 shown]
	v_add_f64_e32 v[177:178], v[177:178], v[187:188]
	v_add_f64_e32 v[179:180], v[179:180], v[185:186]
	v_fma_f64 v[183:184], v[8:9], v[173:174], v[183:184]
	v_fma_f64 v[187:188], v[6:7], v[173:174], -v[175:176]
	ds_load_b128 v[6:9], v1 offset:1872
	s_wait_loadcnt_dscnt 0x801
	v_mul_f64_e32 v[185:186], v[2:3], v[40:41]
	v_mul_f64_e32 v[40:41], v[4:5], v[40:41]
	scratch_load_b128 v[173:176], off, off offset:1008
	v_add_f64_e32 v[177:178], v[177:178], v[189:190]
	v_add_f64_e32 v[179:180], v[179:180], v[181:182]
	v_fma_f64 v[185:186], v[4:5], v[38:39], v[185:186]
	v_fma_f64 v[38:39], v[2:3], v[38:39], -v[40:41]
	ds_load_b128 v[2:5], v1 offset:1888
	v_add_f64_e32 v[40:41], v[177:178], v[187:188]
	v_add_f64_e32 v[177:178], v[179:180], v[183:184]
	s_wait_loadcnt_dscnt 0x700
	v_mul_f64_e32 v[179:180], v[2:3], v[12:13]
	v_mul_f64_e32 v[12:13], v[4:5], v[12:13]
	s_delay_alu instid0(VALU_DEP_4) | instskip(NEXT) | instid1(VALU_DEP_4)
	v_add_f64_e32 v[38:39], v[40:41], v[38:39]
	v_add_f64_e32 v[40:41], v[177:178], v[185:186]
	s_delay_alu instid0(VALU_DEP_4) | instskip(NEXT) | instid1(VALU_DEP_4)
	v_fma_f64 v[177:178], v[4:5], v[10:11], v[179:180]
	v_fma_f64 v[179:180], v[2:3], v[10:11], -v[12:13]
	scratch_load_b128 v[10:13], off, off offset:368
	v_mul_f64_e32 v[181:182], v[6:7], v[171:172]
	v_mul_f64_e32 v[171:172], v[8:9], v[171:172]
	ds_load_b128 v[2:5], v1 offset:1920
	v_fma_f64 v[181:182], v[8:9], v[169:170], v[181:182]
	v_fma_f64 v[169:170], v[6:7], v[169:170], -v[171:172]
	ds_load_b128 v[6:9], v1 offset:1904
	s_wait_loadcnt_dscnt 0x700
	v_mul_f64_e32 v[171:172], v[6:7], v[16:17]
	v_mul_f64_e32 v[16:17], v[8:9], v[16:17]
	v_add_f64_e32 v[40:41], v[40:41], v[181:182]
	v_add_f64_e32 v[38:39], v[38:39], v[169:170]
	s_wait_loadcnt 0x6
	v_mul_f64_e32 v[169:170], v[2:3], v[20:21]
	v_mul_f64_e32 v[20:21], v[4:5], v[20:21]
	v_fma_f64 v[171:172], v[8:9], v[14:15], v[171:172]
	v_fma_f64 v[14:15], v[6:7], v[14:15], -v[16:17]
	ds_load_b128 v[6:9], v1 offset:1936
	v_add_f64_e32 v[16:17], v[38:39], v[179:180]
	v_add_f64_e32 v[38:39], v[40:41], v[177:178]
	v_fma_f64 v[169:170], v[4:5], v[18:19], v[169:170]
	v_fma_f64 v[18:19], v[2:3], v[18:19], -v[20:21]
	ds_load_b128 v[2:5], v1 offset:1952
	s_wait_loadcnt_dscnt 0x501
	v_mul_f64_e32 v[40:41], v[6:7], v[24:25]
	v_mul_f64_e32 v[24:25], v[8:9], v[24:25]
	s_wait_loadcnt_dscnt 0x400
	v_mul_f64_e32 v[20:21], v[2:3], v[28:29]
	v_mul_f64_e32 v[28:29], v[4:5], v[28:29]
	v_add_f64_e32 v[14:15], v[16:17], v[14:15]
	v_add_f64_e32 v[16:17], v[38:39], v[171:172]
	v_fma_f64 v[38:39], v[8:9], v[22:23], v[40:41]
	v_fma_f64 v[22:23], v[6:7], v[22:23], -v[24:25]
	ds_load_b128 v[6:9], v1 offset:1968
	v_fma_f64 v[20:21], v[4:5], v[26:27], v[20:21]
	v_fma_f64 v[26:27], v[2:3], v[26:27], -v[28:29]
	ds_load_b128 v[2:5], v1 offset:1984
	s_wait_loadcnt_dscnt 0x301
	v_mul_f64_e32 v[24:25], v[8:9], v[32:33]
	v_add_f64_e32 v[14:15], v[14:15], v[18:19]
	v_add_f64_e32 v[16:17], v[16:17], v[169:170]
	v_mul_f64_e32 v[18:19], v[6:7], v[32:33]
	s_wait_loadcnt_dscnt 0x200
	v_mul_f64_e32 v[28:29], v[4:5], v[36:37]
	v_fma_f64 v[24:25], v[6:7], v[30:31], -v[24:25]
	v_add_f64_e32 v[14:15], v[14:15], v[22:23]
	v_add_f64_e32 v[16:17], v[16:17], v[38:39]
	v_mul_f64_e32 v[22:23], v[2:3], v[36:37]
	v_fma_f64 v[18:19], v[8:9], v[30:31], v[18:19]
	ds_load_b128 v[6:9], v1 offset:2000
	v_fma_f64 v[1:2], v[2:3], v[34:35], -v[28:29]
	v_add_f64_e32 v[14:15], v[14:15], v[26:27]
	v_add_f64_e32 v[16:17], v[16:17], v[20:21]
	s_wait_loadcnt_dscnt 0x100
	v_mul_f64_e32 v[20:21], v[6:7], v[175:176]
	v_mul_f64_e32 v[26:27], v[8:9], v[175:176]
	v_fma_f64 v[4:5], v[4:5], v[34:35], v[22:23]
	v_add_f64_e32 v[14:15], v[14:15], v[24:25]
	v_add_f64_e32 v[16:17], v[16:17], v[18:19]
	v_fma_f64 v[8:9], v[8:9], v[173:174], v[20:21]
	v_fma_f64 v[6:7], v[6:7], v[173:174], -v[26:27]
	s_delay_alu instid0(VALU_DEP_4) | instskip(NEXT) | instid1(VALU_DEP_4)
	v_add_f64_e32 v[1:2], v[14:15], v[1:2]
	v_add_f64_e32 v[3:4], v[16:17], v[4:5]
	s_delay_alu instid0(VALU_DEP_2) | instskip(NEXT) | instid1(VALU_DEP_2)
	v_add_f64_e32 v[1:2], v[1:2], v[6:7]
	v_add_f64_e32 v[3:4], v[3:4], v[8:9]
	s_wait_loadcnt 0x0
	s_delay_alu instid0(VALU_DEP_2) | instskip(NEXT) | instid1(VALU_DEP_2)
	v_add_f64_e64 v[1:2], v[10:11], -v[1:2]
	v_add_f64_e64 v[3:4], v[12:13], -v[3:4]
	scratch_store_b128 off, v[1:4], off offset:368
	v_cmpx_lt_u32_e32 21, v0
	s_cbranch_execz .LBB126_361
; %bb.360:
	scratch_load_b128 v[1:4], off, s57
	v_mov_b32_e32 v5, 0
	s_delay_alu instid0(VALU_DEP_1)
	v_dual_mov_b32 v6, v5 :: v_dual_mov_b32 v7, v5
	v_mov_b32_e32 v8, v5
	scratch_store_b128 off, v[5:8], off offset:352
	s_wait_loadcnt 0x0
	ds_store_b128 v168, v[1:4]
.LBB126_361:
	s_wait_alu 0xfffe
	s_or_b32 exec_lo, exec_lo, s0
	s_wait_storecnt_dscnt 0x0
	s_barrier_signal -1
	s_barrier_wait -1
	global_inv scope:SCOPE_SE
	s_clause 0x7
	scratch_load_b128 v[2:5], off, off offset:368
	scratch_load_b128 v[6:9], off, off offset:384
	;; [unrolled: 1-line block ×8, first 2 shown]
	v_mov_b32_e32 v1, 0
	s_clause 0x1
	scratch_load_b128 v[34:37], off, off offset:496
	scratch_load_b128 v[173:176], off, off offset:512
	s_mov_b32 s0, exec_lo
	ds_load_b128 v[38:41], v1 offset:1360
	ds_load_b128 v[169:172], v1 offset:1376
	s_wait_loadcnt_dscnt 0x901
	v_mul_f64_e32 v[177:178], v[40:41], v[4:5]
	v_mul_f64_e32 v[4:5], v[38:39], v[4:5]
	s_wait_loadcnt_dscnt 0x800
	v_mul_f64_e32 v[179:180], v[169:170], v[8:9]
	v_mul_f64_e32 v[8:9], v[171:172], v[8:9]
	s_delay_alu instid0(VALU_DEP_4) | instskip(NEXT) | instid1(VALU_DEP_4)
	v_fma_f64 v[177:178], v[38:39], v[2:3], -v[177:178]
	v_fma_f64 v[181:182], v[40:41], v[2:3], v[4:5]
	ds_load_b128 v[2:5], v1 offset:1392
	scratch_load_b128 v[38:41], off, off offset:528
	v_fma_f64 v[179:180], v[171:172], v[6:7], v[179:180]
	v_fma_f64 v[185:186], v[169:170], v[6:7], -v[8:9]
	ds_load_b128 v[6:9], v1 offset:1408
	scratch_load_b128 v[169:172], off, off offset:544
	s_wait_loadcnt_dscnt 0x901
	v_mul_f64_e32 v[183:184], v[2:3], v[12:13]
	v_mul_f64_e32 v[12:13], v[4:5], v[12:13]
	s_wait_loadcnt_dscnt 0x800
	v_mul_f64_e32 v[187:188], v[6:7], v[16:17]
	v_mul_f64_e32 v[16:17], v[8:9], v[16:17]
	v_add_f64_e32 v[177:178], 0, v[177:178]
	v_add_f64_e32 v[181:182], 0, v[181:182]
	v_fma_f64 v[183:184], v[4:5], v[10:11], v[183:184]
	v_fma_f64 v[189:190], v[2:3], v[10:11], -v[12:13]
	ds_load_b128 v[2:5], v1 offset:1424
	scratch_load_b128 v[10:13], off, off offset:560
	v_add_f64_e32 v[177:178], v[177:178], v[185:186]
	v_add_f64_e32 v[179:180], v[181:182], v[179:180]
	v_fma_f64 v[185:186], v[8:9], v[14:15], v[187:188]
	v_fma_f64 v[187:188], v[6:7], v[14:15], -v[16:17]
	ds_load_b128 v[6:9], v1 offset:1440
	scratch_load_b128 v[14:17], off, off offset:576
	s_wait_loadcnt_dscnt 0x901
	v_mul_f64_e32 v[181:182], v[2:3], v[20:21]
	v_mul_f64_e32 v[20:21], v[4:5], v[20:21]
	v_add_f64_e32 v[177:178], v[177:178], v[189:190]
	v_add_f64_e32 v[179:180], v[179:180], v[183:184]
	s_wait_loadcnt_dscnt 0x800
	v_mul_f64_e32 v[183:184], v[6:7], v[24:25]
	v_mul_f64_e32 v[24:25], v[8:9], v[24:25]
	v_fma_f64 v[181:182], v[4:5], v[18:19], v[181:182]
	v_fma_f64 v[189:190], v[2:3], v[18:19], -v[20:21]
	ds_load_b128 v[2:5], v1 offset:1456
	scratch_load_b128 v[18:21], off, off offset:592
	v_add_f64_e32 v[177:178], v[177:178], v[187:188]
	v_add_f64_e32 v[179:180], v[179:180], v[185:186]
	v_fma_f64 v[183:184], v[8:9], v[22:23], v[183:184]
	v_fma_f64 v[187:188], v[6:7], v[22:23], -v[24:25]
	ds_load_b128 v[6:9], v1 offset:1472
	s_wait_loadcnt_dscnt 0x801
	v_mul_f64_e32 v[185:186], v[2:3], v[28:29]
	v_mul_f64_e32 v[28:29], v[4:5], v[28:29]
	scratch_load_b128 v[22:25], off, off offset:608
	v_add_f64_e32 v[177:178], v[177:178], v[189:190]
	v_add_f64_e32 v[179:180], v[179:180], v[181:182]
	s_wait_loadcnt_dscnt 0x800
	v_mul_f64_e32 v[181:182], v[6:7], v[32:33]
	v_mul_f64_e32 v[32:33], v[8:9], v[32:33]
	v_fma_f64 v[185:186], v[4:5], v[26:27], v[185:186]
	v_fma_f64 v[189:190], v[2:3], v[26:27], -v[28:29]
	ds_load_b128 v[2:5], v1 offset:1488
	scratch_load_b128 v[26:29], off, off offset:624
	v_add_f64_e32 v[177:178], v[177:178], v[187:188]
	v_add_f64_e32 v[179:180], v[179:180], v[183:184]
	v_fma_f64 v[181:182], v[8:9], v[30:31], v[181:182]
	v_fma_f64 v[187:188], v[6:7], v[30:31], -v[32:33]
	ds_load_b128 v[6:9], v1 offset:1504
	s_wait_loadcnt_dscnt 0x801
	v_mul_f64_e32 v[183:184], v[2:3], v[36:37]
	v_mul_f64_e32 v[36:37], v[4:5], v[36:37]
	scratch_load_b128 v[30:33], off, off offset:640
	v_add_f64_e32 v[177:178], v[177:178], v[189:190]
	v_add_f64_e32 v[179:180], v[179:180], v[185:186]
	s_wait_loadcnt_dscnt 0x800
	v_mul_f64_e32 v[185:186], v[6:7], v[175:176]
	v_mul_f64_e32 v[175:176], v[8:9], v[175:176]
	v_fma_f64 v[183:184], v[4:5], v[34:35], v[183:184]
	v_fma_f64 v[189:190], v[2:3], v[34:35], -v[36:37]
	ds_load_b128 v[2:5], v1 offset:1520
	scratch_load_b128 v[34:37], off, off offset:656
	v_add_f64_e32 v[177:178], v[177:178], v[187:188]
	v_add_f64_e32 v[179:180], v[179:180], v[181:182]
	v_fma_f64 v[185:186], v[8:9], v[173:174], v[185:186]
	v_fma_f64 v[187:188], v[6:7], v[173:174], -v[175:176]
	ds_load_b128 v[6:9], v1 offset:1536
	scratch_load_b128 v[173:176], off, off offset:672
	s_wait_loadcnt_dscnt 0x901
	v_mul_f64_e32 v[181:182], v[2:3], v[40:41]
	v_mul_f64_e32 v[40:41], v[4:5], v[40:41]
	v_add_f64_e32 v[177:178], v[177:178], v[189:190]
	v_add_f64_e32 v[179:180], v[179:180], v[183:184]
	s_wait_loadcnt_dscnt 0x800
	v_mul_f64_e32 v[183:184], v[6:7], v[171:172]
	v_mul_f64_e32 v[171:172], v[8:9], v[171:172]
	v_fma_f64 v[181:182], v[4:5], v[38:39], v[181:182]
	v_fma_f64 v[189:190], v[2:3], v[38:39], -v[40:41]
	ds_load_b128 v[2:5], v1 offset:1552
	scratch_load_b128 v[38:41], off, off offset:688
	v_add_f64_e32 v[177:178], v[177:178], v[187:188]
	v_add_f64_e32 v[179:180], v[179:180], v[185:186]
	v_fma_f64 v[183:184], v[8:9], v[169:170], v[183:184]
	v_fma_f64 v[187:188], v[6:7], v[169:170], -v[171:172]
	ds_load_b128 v[6:9], v1 offset:1568
	s_wait_loadcnt_dscnt 0x801
	v_mul_f64_e32 v[185:186], v[2:3], v[12:13]
	v_mul_f64_e32 v[12:13], v[4:5], v[12:13]
	scratch_load_b128 v[169:172], off, off offset:704
	v_add_f64_e32 v[177:178], v[177:178], v[189:190]
	v_add_f64_e32 v[179:180], v[179:180], v[181:182]
	s_wait_loadcnt_dscnt 0x800
	v_mul_f64_e32 v[181:182], v[6:7], v[16:17]
	v_mul_f64_e32 v[16:17], v[8:9], v[16:17]
	v_fma_f64 v[185:186], v[4:5], v[10:11], v[185:186]
	v_fma_f64 v[189:190], v[2:3], v[10:11], -v[12:13]
	ds_load_b128 v[2:5], v1 offset:1584
	scratch_load_b128 v[10:13], off, off offset:720
	v_add_f64_e32 v[177:178], v[177:178], v[187:188]
	v_add_f64_e32 v[179:180], v[179:180], v[183:184]
	v_fma_f64 v[181:182], v[8:9], v[14:15], v[181:182]
	v_fma_f64 v[187:188], v[6:7], v[14:15], -v[16:17]
	ds_load_b128 v[6:9], v1 offset:1600
	s_wait_loadcnt_dscnt 0x801
	v_mul_f64_e32 v[183:184], v[2:3], v[20:21]
	v_mul_f64_e32 v[20:21], v[4:5], v[20:21]
	scratch_load_b128 v[14:17], off, off offset:736
	;; [unrolled: 18-line block ×10, first 2 shown]
	v_add_f64_e32 v[177:178], v[177:178], v[189:190]
	v_add_f64_e32 v[179:180], v[179:180], v[181:182]
	s_wait_loadcnt_dscnt 0x800
	v_mul_f64_e32 v[181:182], v[6:7], v[171:172]
	v_mul_f64_e32 v[171:172], v[8:9], v[171:172]
	v_fma_f64 v[185:186], v[4:5], v[38:39], v[185:186]
	v_fma_f64 v[189:190], v[2:3], v[38:39], -v[40:41]
	ds_load_b128 v[2:5], v1 offset:1872
	scratch_load_b128 v[38:41], off, off offset:1008
	v_add_f64_e32 v[177:178], v[177:178], v[187:188]
	v_add_f64_e32 v[179:180], v[179:180], v[183:184]
	v_fma_f64 v[181:182], v[8:9], v[169:170], v[181:182]
	v_fma_f64 v[169:170], v[6:7], v[169:170], -v[171:172]
	ds_load_b128 v[6:9], v1 offset:1888
	s_wait_loadcnt_dscnt 0x801
	v_mul_f64_e32 v[183:184], v[2:3], v[12:13]
	v_mul_f64_e32 v[12:13], v[4:5], v[12:13]
	v_add_f64_e32 v[171:172], v[177:178], v[189:190]
	v_add_f64_e32 v[177:178], v[179:180], v[185:186]
	s_wait_loadcnt_dscnt 0x700
	v_mul_f64_e32 v[179:180], v[6:7], v[16:17]
	v_mul_f64_e32 v[16:17], v[8:9], v[16:17]
	v_fma_f64 v[183:184], v[4:5], v[10:11], v[183:184]
	v_fma_f64 v[10:11], v[2:3], v[10:11], -v[12:13]
	ds_load_b128 v[2:5], v1 offset:1904
	v_add_f64_e32 v[12:13], v[171:172], v[169:170]
	v_add_f64_e32 v[169:170], v[177:178], v[181:182]
	v_fma_f64 v[177:178], v[8:9], v[14:15], v[179:180]
	v_fma_f64 v[14:15], v[6:7], v[14:15], -v[16:17]
	ds_load_b128 v[6:9], v1 offset:1920
	s_wait_loadcnt_dscnt 0x500
	v_mul_f64_e32 v[179:180], v[6:7], v[24:25]
	v_mul_f64_e32 v[24:25], v[8:9], v[24:25]
	v_add_f64_e32 v[16:17], v[12:13], v[10:11]
	v_add_f64_e32 v[169:170], v[169:170], v[183:184]
	scratch_load_b128 v[10:13], off, off offset:352
	v_mul_f64_e32 v[171:172], v[2:3], v[20:21]
	v_mul_f64_e32 v[20:21], v[4:5], v[20:21]
	v_add_f64_e32 v[14:15], v[16:17], v[14:15]
	v_add_f64_e32 v[16:17], v[169:170], v[177:178]
	v_fma_f64 v[169:170], v[8:9], v[22:23], v[179:180]
	v_fma_f64 v[171:172], v[4:5], v[18:19], v[171:172]
	v_fma_f64 v[18:19], v[2:3], v[18:19], -v[20:21]
	ds_load_b128 v[2:5], v1 offset:1936
	v_fma_f64 v[22:23], v[6:7], v[22:23], -v[24:25]
	ds_load_b128 v[6:9], v1 offset:1952
	s_wait_loadcnt_dscnt 0x501
	v_mul_f64_e32 v[20:21], v[2:3], v[28:29]
	v_mul_f64_e32 v[28:29], v[4:5], v[28:29]
	s_wait_loadcnt_dscnt 0x400
	v_mul_f64_e32 v[24:25], v[8:9], v[32:33]
	v_add_f64_e32 v[16:17], v[16:17], v[171:172]
	v_add_f64_e32 v[14:15], v[14:15], v[18:19]
	v_mul_f64_e32 v[18:19], v[6:7], v[32:33]
	v_fma_f64 v[20:21], v[4:5], v[26:27], v[20:21]
	v_fma_f64 v[26:27], v[2:3], v[26:27], -v[28:29]
	ds_load_b128 v[2:5], v1 offset:1968
	v_fma_f64 v[24:25], v[6:7], v[30:31], -v[24:25]
	v_add_f64_e32 v[16:17], v[16:17], v[169:170]
	v_add_f64_e32 v[14:15], v[14:15], v[22:23]
	v_fma_f64 v[18:19], v[8:9], v[30:31], v[18:19]
	ds_load_b128 v[6:9], v1 offset:1984
	s_wait_loadcnt_dscnt 0x301
	v_mul_f64_e32 v[22:23], v[2:3], v[36:37]
	v_mul_f64_e32 v[28:29], v[4:5], v[36:37]
	v_add_f64_e32 v[16:17], v[16:17], v[20:21]
	v_add_f64_e32 v[14:15], v[14:15], v[26:27]
	s_wait_loadcnt_dscnt 0x200
	v_mul_f64_e32 v[20:21], v[6:7], v[175:176]
	v_mul_f64_e32 v[26:27], v[8:9], v[175:176]
	v_fma_f64 v[22:23], v[4:5], v[34:35], v[22:23]
	v_fma_f64 v[28:29], v[2:3], v[34:35], -v[28:29]
	ds_load_b128 v[2:5], v1 offset:2000
	v_add_f64_e32 v[16:17], v[16:17], v[18:19]
	v_add_f64_e32 v[14:15], v[14:15], v[24:25]
	s_wait_loadcnt_dscnt 0x100
	v_mul_f64_e32 v[18:19], v[2:3], v[40:41]
	v_mul_f64_e32 v[24:25], v[4:5], v[40:41]
	v_fma_f64 v[8:9], v[8:9], v[173:174], v[20:21]
	v_fma_f64 v[6:7], v[6:7], v[173:174], -v[26:27]
	v_add_f64_e32 v[16:17], v[16:17], v[22:23]
	v_add_f64_e32 v[14:15], v[14:15], v[28:29]
	v_fma_f64 v[4:5], v[4:5], v[38:39], v[18:19]
	v_fma_f64 v[2:3], v[2:3], v[38:39], -v[24:25]
	s_delay_alu instid0(VALU_DEP_4) | instskip(NEXT) | instid1(VALU_DEP_4)
	v_add_f64_e32 v[8:9], v[16:17], v[8:9]
	v_add_f64_e32 v[6:7], v[14:15], v[6:7]
	s_delay_alu instid0(VALU_DEP_2) | instskip(NEXT) | instid1(VALU_DEP_2)
	v_add_f64_e32 v[4:5], v[8:9], v[4:5]
	v_add_f64_e32 v[2:3], v[6:7], v[2:3]
	s_wait_loadcnt 0x0
	s_delay_alu instid0(VALU_DEP_2) | instskip(NEXT) | instid1(VALU_DEP_2)
	v_add_f64_e64 v[4:5], v[12:13], -v[4:5]
	v_add_f64_e64 v[2:3], v[10:11], -v[2:3]
	scratch_store_b128 off, v[2:5], off offset:352
	v_cmpx_lt_u32_e32 20, v0
	s_cbranch_execz .LBB126_363
; %bb.362:
	scratch_load_b128 v[5:8], off, s58
	v_dual_mov_b32 v2, v1 :: v_dual_mov_b32 v3, v1
	v_mov_b32_e32 v4, v1
	scratch_store_b128 off, v[1:4], off offset:336
	s_wait_loadcnt 0x0
	ds_store_b128 v168, v[5:8]
.LBB126_363:
	s_wait_alu 0xfffe
	s_or_b32 exec_lo, exec_lo, s0
	s_wait_storecnt_dscnt 0x0
	s_barrier_signal -1
	s_barrier_wait -1
	global_inv scope:SCOPE_SE
	s_clause 0x7
	scratch_load_b128 v[2:5], off, off offset:352
	scratch_load_b128 v[6:9], off, off offset:368
	;; [unrolled: 1-line block ×8, first 2 shown]
	ds_load_b128 v[38:41], v1 offset:1344
	ds_load_b128 v[169:172], v1 offset:1360
	s_clause 0x1
	scratch_load_b128 v[34:37], off, off offset:480
	scratch_load_b128 v[173:176], off, off offset:496
	s_mov_b32 s0, exec_lo
	s_wait_loadcnt_dscnt 0x901
	v_mul_f64_e32 v[177:178], v[40:41], v[4:5]
	v_mul_f64_e32 v[4:5], v[38:39], v[4:5]
	s_wait_loadcnt_dscnt 0x800
	v_mul_f64_e32 v[179:180], v[169:170], v[8:9]
	v_mul_f64_e32 v[8:9], v[171:172], v[8:9]
	s_delay_alu instid0(VALU_DEP_4) | instskip(NEXT) | instid1(VALU_DEP_4)
	v_fma_f64 v[177:178], v[38:39], v[2:3], -v[177:178]
	v_fma_f64 v[181:182], v[40:41], v[2:3], v[4:5]
	ds_load_b128 v[2:5], v1 offset:1376
	scratch_load_b128 v[38:41], off, off offset:512
	v_fma_f64 v[179:180], v[171:172], v[6:7], v[179:180]
	v_fma_f64 v[185:186], v[169:170], v[6:7], -v[8:9]
	ds_load_b128 v[6:9], v1 offset:1392
	scratch_load_b128 v[169:172], off, off offset:528
	s_wait_loadcnt_dscnt 0x901
	v_mul_f64_e32 v[183:184], v[2:3], v[12:13]
	v_mul_f64_e32 v[12:13], v[4:5], v[12:13]
	s_wait_loadcnt_dscnt 0x800
	v_mul_f64_e32 v[187:188], v[6:7], v[16:17]
	v_mul_f64_e32 v[16:17], v[8:9], v[16:17]
	v_add_f64_e32 v[177:178], 0, v[177:178]
	v_add_f64_e32 v[181:182], 0, v[181:182]
	v_fma_f64 v[183:184], v[4:5], v[10:11], v[183:184]
	v_fma_f64 v[189:190], v[2:3], v[10:11], -v[12:13]
	ds_load_b128 v[2:5], v1 offset:1408
	scratch_load_b128 v[10:13], off, off offset:544
	v_add_f64_e32 v[177:178], v[177:178], v[185:186]
	v_add_f64_e32 v[179:180], v[181:182], v[179:180]
	v_fma_f64 v[185:186], v[8:9], v[14:15], v[187:188]
	v_fma_f64 v[187:188], v[6:7], v[14:15], -v[16:17]
	ds_load_b128 v[6:9], v1 offset:1424
	scratch_load_b128 v[14:17], off, off offset:560
	s_wait_loadcnt_dscnt 0x901
	v_mul_f64_e32 v[181:182], v[2:3], v[20:21]
	v_mul_f64_e32 v[20:21], v[4:5], v[20:21]
	v_add_f64_e32 v[177:178], v[177:178], v[189:190]
	v_add_f64_e32 v[179:180], v[179:180], v[183:184]
	s_wait_loadcnt_dscnt 0x800
	v_mul_f64_e32 v[183:184], v[6:7], v[24:25]
	v_mul_f64_e32 v[24:25], v[8:9], v[24:25]
	v_fma_f64 v[181:182], v[4:5], v[18:19], v[181:182]
	v_fma_f64 v[189:190], v[2:3], v[18:19], -v[20:21]
	ds_load_b128 v[2:5], v1 offset:1440
	scratch_load_b128 v[18:21], off, off offset:576
	v_add_f64_e32 v[177:178], v[177:178], v[187:188]
	v_add_f64_e32 v[179:180], v[179:180], v[185:186]
	v_fma_f64 v[183:184], v[8:9], v[22:23], v[183:184]
	v_fma_f64 v[187:188], v[6:7], v[22:23], -v[24:25]
	ds_load_b128 v[6:9], v1 offset:1456
	s_wait_loadcnt_dscnt 0x801
	v_mul_f64_e32 v[185:186], v[2:3], v[28:29]
	v_mul_f64_e32 v[28:29], v[4:5], v[28:29]
	scratch_load_b128 v[22:25], off, off offset:592
	v_add_f64_e32 v[177:178], v[177:178], v[189:190]
	v_add_f64_e32 v[179:180], v[179:180], v[181:182]
	s_wait_loadcnt_dscnt 0x800
	v_mul_f64_e32 v[181:182], v[6:7], v[32:33]
	v_mul_f64_e32 v[32:33], v[8:9], v[32:33]
	v_fma_f64 v[185:186], v[4:5], v[26:27], v[185:186]
	v_fma_f64 v[189:190], v[2:3], v[26:27], -v[28:29]
	ds_load_b128 v[2:5], v1 offset:1472
	scratch_load_b128 v[26:29], off, off offset:608
	v_add_f64_e32 v[177:178], v[177:178], v[187:188]
	v_add_f64_e32 v[179:180], v[179:180], v[183:184]
	v_fma_f64 v[181:182], v[8:9], v[30:31], v[181:182]
	v_fma_f64 v[187:188], v[6:7], v[30:31], -v[32:33]
	ds_load_b128 v[6:9], v1 offset:1488
	s_wait_loadcnt_dscnt 0x801
	v_mul_f64_e32 v[183:184], v[2:3], v[36:37]
	v_mul_f64_e32 v[36:37], v[4:5], v[36:37]
	scratch_load_b128 v[30:33], off, off offset:624
	v_add_f64_e32 v[177:178], v[177:178], v[189:190]
	v_add_f64_e32 v[179:180], v[179:180], v[185:186]
	s_wait_loadcnt_dscnt 0x800
	v_mul_f64_e32 v[185:186], v[6:7], v[175:176]
	v_mul_f64_e32 v[175:176], v[8:9], v[175:176]
	v_fma_f64 v[183:184], v[4:5], v[34:35], v[183:184]
	v_fma_f64 v[189:190], v[2:3], v[34:35], -v[36:37]
	ds_load_b128 v[2:5], v1 offset:1504
	scratch_load_b128 v[34:37], off, off offset:640
	v_add_f64_e32 v[177:178], v[177:178], v[187:188]
	v_add_f64_e32 v[179:180], v[179:180], v[181:182]
	v_fma_f64 v[185:186], v[8:9], v[173:174], v[185:186]
	v_fma_f64 v[187:188], v[6:7], v[173:174], -v[175:176]
	ds_load_b128 v[6:9], v1 offset:1520
	scratch_load_b128 v[173:176], off, off offset:656
	s_wait_loadcnt_dscnt 0x901
	v_mul_f64_e32 v[181:182], v[2:3], v[40:41]
	v_mul_f64_e32 v[40:41], v[4:5], v[40:41]
	v_add_f64_e32 v[177:178], v[177:178], v[189:190]
	v_add_f64_e32 v[179:180], v[179:180], v[183:184]
	s_wait_loadcnt_dscnt 0x800
	v_mul_f64_e32 v[183:184], v[6:7], v[171:172]
	v_mul_f64_e32 v[171:172], v[8:9], v[171:172]
	v_fma_f64 v[181:182], v[4:5], v[38:39], v[181:182]
	v_fma_f64 v[189:190], v[2:3], v[38:39], -v[40:41]
	ds_load_b128 v[2:5], v1 offset:1536
	scratch_load_b128 v[38:41], off, off offset:672
	v_add_f64_e32 v[177:178], v[177:178], v[187:188]
	v_add_f64_e32 v[179:180], v[179:180], v[185:186]
	v_fma_f64 v[183:184], v[8:9], v[169:170], v[183:184]
	v_fma_f64 v[187:188], v[6:7], v[169:170], -v[171:172]
	ds_load_b128 v[6:9], v1 offset:1552
	s_wait_loadcnt_dscnt 0x801
	v_mul_f64_e32 v[185:186], v[2:3], v[12:13]
	v_mul_f64_e32 v[12:13], v[4:5], v[12:13]
	scratch_load_b128 v[169:172], off, off offset:688
	v_add_f64_e32 v[177:178], v[177:178], v[189:190]
	v_add_f64_e32 v[179:180], v[179:180], v[181:182]
	s_wait_loadcnt_dscnt 0x800
	v_mul_f64_e32 v[181:182], v[6:7], v[16:17]
	v_mul_f64_e32 v[16:17], v[8:9], v[16:17]
	v_fma_f64 v[185:186], v[4:5], v[10:11], v[185:186]
	v_fma_f64 v[189:190], v[2:3], v[10:11], -v[12:13]
	ds_load_b128 v[2:5], v1 offset:1568
	scratch_load_b128 v[10:13], off, off offset:704
	v_add_f64_e32 v[177:178], v[177:178], v[187:188]
	v_add_f64_e32 v[179:180], v[179:180], v[183:184]
	v_fma_f64 v[181:182], v[8:9], v[14:15], v[181:182]
	v_fma_f64 v[187:188], v[6:7], v[14:15], -v[16:17]
	ds_load_b128 v[6:9], v1 offset:1584
	s_wait_loadcnt_dscnt 0x801
	v_mul_f64_e32 v[183:184], v[2:3], v[20:21]
	v_mul_f64_e32 v[20:21], v[4:5], v[20:21]
	scratch_load_b128 v[14:17], off, off offset:720
	;; [unrolled: 18-line block ×11, first 2 shown]
	v_add_f64_e32 v[177:178], v[177:178], v[189:190]
	v_add_f64_e32 v[179:180], v[179:180], v[185:186]
	s_wait_loadcnt_dscnt 0x800
	v_mul_f64_e32 v[185:186], v[6:7], v[16:17]
	v_mul_f64_e32 v[16:17], v[8:9], v[16:17]
	v_fma_f64 v[183:184], v[4:5], v[10:11], v[183:184]
	v_fma_f64 v[10:11], v[2:3], v[10:11], -v[12:13]
	ds_load_b128 v[2:5], v1 offset:1888
	v_add_f64_e32 v[12:13], v[177:178], v[187:188]
	v_add_f64_e32 v[177:178], v[179:180], v[181:182]
	v_fma_f64 v[181:182], v[8:9], v[14:15], v[185:186]
	v_fma_f64 v[14:15], v[6:7], v[14:15], -v[16:17]
	ds_load_b128 v[6:9], v1 offset:1904
	s_wait_loadcnt_dscnt 0x701
	v_mul_f64_e32 v[179:180], v[2:3], v[20:21]
	v_mul_f64_e32 v[20:21], v[4:5], v[20:21]
	v_add_f64_e32 v[10:11], v[12:13], v[10:11]
	v_add_f64_e32 v[12:13], v[177:178], v[183:184]
	s_delay_alu instid0(VALU_DEP_4) | instskip(NEXT) | instid1(VALU_DEP_4)
	v_fma_f64 v[177:178], v[4:5], v[18:19], v[179:180]
	v_fma_f64 v[18:19], v[2:3], v[18:19], -v[20:21]
	ds_load_b128 v[2:5], v1 offset:1920
	v_add_f64_e32 v[14:15], v[10:11], v[14:15]
	v_add_f64_e32 v[20:21], v[12:13], v[181:182]
	scratch_load_b128 v[10:13], off, off offset:336
	s_wait_loadcnt_dscnt 0x701
	v_mul_f64_e32 v[16:17], v[6:7], v[24:25]
	v_mul_f64_e32 v[24:25], v[8:9], v[24:25]
	v_add_f64_e32 v[14:15], v[14:15], v[18:19]
	v_add_f64_e32 v[18:19], v[20:21], v[177:178]
	s_delay_alu instid0(VALU_DEP_4) | instskip(NEXT) | instid1(VALU_DEP_4)
	v_fma_f64 v[16:17], v[8:9], v[22:23], v[16:17]
	v_fma_f64 v[22:23], v[6:7], v[22:23], -v[24:25]
	ds_load_b128 v[6:9], v1 offset:1936
	s_wait_loadcnt_dscnt 0x601
	v_mul_f64_e32 v[179:180], v[2:3], v[28:29]
	v_mul_f64_e32 v[28:29], v[4:5], v[28:29]
	s_wait_loadcnt_dscnt 0x500
	v_mul_f64_e32 v[20:21], v[6:7], v[32:33]
	v_mul_f64_e32 v[24:25], v[8:9], v[32:33]
	v_add_f64_e32 v[16:17], v[18:19], v[16:17]
	v_add_f64_e32 v[14:15], v[14:15], v[22:23]
	v_fma_f64 v[32:33], v[4:5], v[26:27], v[179:180]
	v_fma_f64 v[26:27], v[2:3], v[26:27], -v[28:29]
	ds_load_b128 v[2:5], v1 offset:1952
	v_fma_f64 v[20:21], v[8:9], v[30:31], v[20:21]
	v_fma_f64 v[24:25], v[6:7], v[30:31], -v[24:25]
	ds_load_b128 v[6:9], v1 offset:1968
	s_wait_loadcnt_dscnt 0x401
	v_mul_f64_e32 v[18:19], v[2:3], v[36:37]
	v_mul_f64_e32 v[22:23], v[4:5], v[36:37]
	v_add_f64_e32 v[16:17], v[16:17], v[32:33]
	v_add_f64_e32 v[14:15], v[14:15], v[26:27]
	s_wait_loadcnt_dscnt 0x300
	v_mul_f64_e32 v[26:27], v[6:7], v[175:176]
	v_mul_f64_e32 v[28:29], v[8:9], v[175:176]
	v_fma_f64 v[18:19], v[4:5], v[34:35], v[18:19]
	v_fma_f64 v[22:23], v[2:3], v[34:35], -v[22:23]
	ds_load_b128 v[2:5], v1 offset:1984
	v_add_f64_e32 v[16:17], v[16:17], v[20:21]
	v_add_f64_e32 v[14:15], v[14:15], v[24:25]
	v_fma_f64 v[26:27], v[8:9], v[173:174], v[26:27]
	v_fma_f64 v[28:29], v[6:7], v[173:174], -v[28:29]
	ds_load_b128 v[6:9], v1 offset:2000
	s_wait_loadcnt_dscnt 0x201
	v_mul_f64_e32 v[20:21], v[2:3], v[40:41]
	v_mul_f64_e32 v[24:25], v[4:5], v[40:41]
	v_add_f64_e32 v[16:17], v[16:17], v[18:19]
	v_add_f64_e32 v[14:15], v[14:15], v[22:23]
	s_wait_loadcnt_dscnt 0x100
	v_mul_f64_e32 v[18:19], v[6:7], v[171:172]
	v_mul_f64_e32 v[22:23], v[8:9], v[171:172]
	v_fma_f64 v[4:5], v[4:5], v[38:39], v[20:21]
	v_fma_f64 v[1:2], v[2:3], v[38:39], -v[24:25]
	v_add_f64_e32 v[16:17], v[16:17], v[26:27]
	v_add_f64_e32 v[14:15], v[14:15], v[28:29]
	v_fma_f64 v[8:9], v[8:9], v[169:170], v[18:19]
	v_fma_f64 v[6:7], v[6:7], v[169:170], -v[22:23]
	s_delay_alu instid0(VALU_DEP_4) | instskip(NEXT) | instid1(VALU_DEP_4)
	v_add_f64_e32 v[3:4], v[16:17], v[4:5]
	v_add_f64_e32 v[1:2], v[14:15], v[1:2]
	s_delay_alu instid0(VALU_DEP_2) | instskip(NEXT) | instid1(VALU_DEP_2)
	v_add_f64_e32 v[3:4], v[3:4], v[8:9]
	v_add_f64_e32 v[1:2], v[1:2], v[6:7]
	s_wait_loadcnt 0x0
	s_delay_alu instid0(VALU_DEP_2) | instskip(NEXT) | instid1(VALU_DEP_2)
	v_add_f64_e64 v[3:4], v[12:13], -v[3:4]
	v_add_f64_e64 v[1:2], v[10:11], -v[1:2]
	scratch_store_b128 off, v[1:4], off offset:336
	v_cmpx_lt_u32_e32 19, v0
	s_cbranch_execz .LBB126_365
; %bb.364:
	scratch_load_b128 v[1:4], off, s59
	v_mov_b32_e32 v5, 0
	s_delay_alu instid0(VALU_DEP_1)
	v_dual_mov_b32 v6, v5 :: v_dual_mov_b32 v7, v5
	v_mov_b32_e32 v8, v5
	scratch_store_b128 off, v[5:8], off offset:320
	s_wait_loadcnt 0x0
	ds_store_b128 v168, v[1:4]
.LBB126_365:
	s_wait_alu 0xfffe
	s_or_b32 exec_lo, exec_lo, s0
	s_wait_storecnt_dscnt 0x0
	s_barrier_signal -1
	s_barrier_wait -1
	global_inv scope:SCOPE_SE
	s_clause 0x7
	scratch_load_b128 v[2:5], off, off offset:336
	scratch_load_b128 v[6:9], off, off offset:352
	;; [unrolled: 1-line block ×8, first 2 shown]
	v_mov_b32_e32 v1, 0
	s_clause 0x1
	scratch_load_b128 v[34:37], off, off offset:464
	scratch_load_b128 v[173:176], off, off offset:480
	s_mov_b32 s0, exec_lo
	ds_load_b128 v[38:41], v1 offset:1328
	ds_load_b128 v[169:172], v1 offset:1344
	s_wait_loadcnt_dscnt 0x901
	v_mul_f64_e32 v[177:178], v[40:41], v[4:5]
	v_mul_f64_e32 v[4:5], v[38:39], v[4:5]
	s_wait_loadcnt_dscnt 0x800
	v_mul_f64_e32 v[179:180], v[169:170], v[8:9]
	v_mul_f64_e32 v[8:9], v[171:172], v[8:9]
	s_delay_alu instid0(VALU_DEP_4) | instskip(NEXT) | instid1(VALU_DEP_4)
	v_fma_f64 v[177:178], v[38:39], v[2:3], -v[177:178]
	v_fma_f64 v[181:182], v[40:41], v[2:3], v[4:5]
	ds_load_b128 v[2:5], v1 offset:1360
	scratch_load_b128 v[38:41], off, off offset:496
	v_fma_f64 v[179:180], v[171:172], v[6:7], v[179:180]
	v_fma_f64 v[185:186], v[169:170], v[6:7], -v[8:9]
	ds_load_b128 v[6:9], v1 offset:1376
	scratch_load_b128 v[169:172], off, off offset:512
	s_wait_loadcnt_dscnt 0x901
	v_mul_f64_e32 v[183:184], v[2:3], v[12:13]
	v_mul_f64_e32 v[12:13], v[4:5], v[12:13]
	s_wait_loadcnt_dscnt 0x800
	v_mul_f64_e32 v[187:188], v[6:7], v[16:17]
	v_mul_f64_e32 v[16:17], v[8:9], v[16:17]
	v_add_f64_e32 v[177:178], 0, v[177:178]
	v_add_f64_e32 v[181:182], 0, v[181:182]
	v_fma_f64 v[183:184], v[4:5], v[10:11], v[183:184]
	v_fma_f64 v[189:190], v[2:3], v[10:11], -v[12:13]
	ds_load_b128 v[2:5], v1 offset:1392
	scratch_load_b128 v[10:13], off, off offset:528
	v_add_f64_e32 v[177:178], v[177:178], v[185:186]
	v_add_f64_e32 v[179:180], v[181:182], v[179:180]
	v_fma_f64 v[185:186], v[8:9], v[14:15], v[187:188]
	v_fma_f64 v[187:188], v[6:7], v[14:15], -v[16:17]
	ds_load_b128 v[6:9], v1 offset:1408
	scratch_load_b128 v[14:17], off, off offset:544
	s_wait_loadcnt_dscnt 0x901
	v_mul_f64_e32 v[181:182], v[2:3], v[20:21]
	v_mul_f64_e32 v[20:21], v[4:5], v[20:21]
	v_add_f64_e32 v[177:178], v[177:178], v[189:190]
	v_add_f64_e32 v[179:180], v[179:180], v[183:184]
	s_wait_loadcnt_dscnt 0x800
	v_mul_f64_e32 v[183:184], v[6:7], v[24:25]
	v_mul_f64_e32 v[24:25], v[8:9], v[24:25]
	v_fma_f64 v[181:182], v[4:5], v[18:19], v[181:182]
	v_fma_f64 v[189:190], v[2:3], v[18:19], -v[20:21]
	ds_load_b128 v[2:5], v1 offset:1424
	scratch_load_b128 v[18:21], off, off offset:560
	v_add_f64_e32 v[177:178], v[177:178], v[187:188]
	v_add_f64_e32 v[179:180], v[179:180], v[185:186]
	v_fma_f64 v[183:184], v[8:9], v[22:23], v[183:184]
	v_fma_f64 v[187:188], v[6:7], v[22:23], -v[24:25]
	ds_load_b128 v[6:9], v1 offset:1440
	s_wait_loadcnt_dscnt 0x801
	v_mul_f64_e32 v[185:186], v[2:3], v[28:29]
	v_mul_f64_e32 v[28:29], v[4:5], v[28:29]
	scratch_load_b128 v[22:25], off, off offset:576
	v_add_f64_e32 v[177:178], v[177:178], v[189:190]
	v_add_f64_e32 v[179:180], v[179:180], v[181:182]
	s_wait_loadcnt_dscnt 0x800
	v_mul_f64_e32 v[181:182], v[6:7], v[32:33]
	v_mul_f64_e32 v[32:33], v[8:9], v[32:33]
	v_fma_f64 v[185:186], v[4:5], v[26:27], v[185:186]
	v_fma_f64 v[189:190], v[2:3], v[26:27], -v[28:29]
	ds_load_b128 v[2:5], v1 offset:1456
	scratch_load_b128 v[26:29], off, off offset:592
	v_add_f64_e32 v[177:178], v[177:178], v[187:188]
	v_add_f64_e32 v[179:180], v[179:180], v[183:184]
	v_fma_f64 v[181:182], v[8:9], v[30:31], v[181:182]
	v_fma_f64 v[187:188], v[6:7], v[30:31], -v[32:33]
	ds_load_b128 v[6:9], v1 offset:1472
	s_wait_loadcnt_dscnt 0x801
	v_mul_f64_e32 v[183:184], v[2:3], v[36:37]
	v_mul_f64_e32 v[36:37], v[4:5], v[36:37]
	scratch_load_b128 v[30:33], off, off offset:608
	v_add_f64_e32 v[177:178], v[177:178], v[189:190]
	v_add_f64_e32 v[179:180], v[179:180], v[185:186]
	s_wait_loadcnt_dscnt 0x800
	v_mul_f64_e32 v[185:186], v[6:7], v[175:176]
	v_mul_f64_e32 v[175:176], v[8:9], v[175:176]
	v_fma_f64 v[183:184], v[4:5], v[34:35], v[183:184]
	v_fma_f64 v[189:190], v[2:3], v[34:35], -v[36:37]
	ds_load_b128 v[2:5], v1 offset:1488
	scratch_load_b128 v[34:37], off, off offset:624
	v_add_f64_e32 v[177:178], v[177:178], v[187:188]
	v_add_f64_e32 v[179:180], v[179:180], v[181:182]
	v_fma_f64 v[185:186], v[8:9], v[173:174], v[185:186]
	v_fma_f64 v[187:188], v[6:7], v[173:174], -v[175:176]
	ds_load_b128 v[6:9], v1 offset:1504
	scratch_load_b128 v[173:176], off, off offset:640
	s_wait_loadcnt_dscnt 0x901
	v_mul_f64_e32 v[181:182], v[2:3], v[40:41]
	v_mul_f64_e32 v[40:41], v[4:5], v[40:41]
	v_add_f64_e32 v[177:178], v[177:178], v[189:190]
	v_add_f64_e32 v[179:180], v[179:180], v[183:184]
	s_wait_loadcnt_dscnt 0x800
	v_mul_f64_e32 v[183:184], v[6:7], v[171:172]
	v_mul_f64_e32 v[171:172], v[8:9], v[171:172]
	v_fma_f64 v[181:182], v[4:5], v[38:39], v[181:182]
	v_fma_f64 v[189:190], v[2:3], v[38:39], -v[40:41]
	ds_load_b128 v[2:5], v1 offset:1520
	scratch_load_b128 v[38:41], off, off offset:656
	v_add_f64_e32 v[177:178], v[177:178], v[187:188]
	v_add_f64_e32 v[179:180], v[179:180], v[185:186]
	v_fma_f64 v[183:184], v[8:9], v[169:170], v[183:184]
	v_fma_f64 v[187:188], v[6:7], v[169:170], -v[171:172]
	ds_load_b128 v[6:9], v1 offset:1536
	s_wait_loadcnt_dscnt 0x801
	v_mul_f64_e32 v[185:186], v[2:3], v[12:13]
	v_mul_f64_e32 v[12:13], v[4:5], v[12:13]
	scratch_load_b128 v[169:172], off, off offset:672
	v_add_f64_e32 v[177:178], v[177:178], v[189:190]
	v_add_f64_e32 v[179:180], v[179:180], v[181:182]
	s_wait_loadcnt_dscnt 0x800
	v_mul_f64_e32 v[181:182], v[6:7], v[16:17]
	v_mul_f64_e32 v[16:17], v[8:9], v[16:17]
	v_fma_f64 v[185:186], v[4:5], v[10:11], v[185:186]
	v_fma_f64 v[189:190], v[2:3], v[10:11], -v[12:13]
	ds_load_b128 v[2:5], v1 offset:1552
	scratch_load_b128 v[10:13], off, off offset:688
	v_add_f64_e32 v[177:178], v[177:178], v[187:188]
	v_add_f64_e32 v[179:180], v[179:180], v[183:184]
	v_fma_f64 v[181:182], v[8:9], v[14:15], v[181:182]
	v_fma_f64 v[187:188], v[6:7], v[14:15], -v[16:17]
	ds_load_b128 v[6:9], v1 offset:1568
	s_wait_loadcnt_dscnt 0x801
	v_mul_f64_e32 v[183:184], v[2:3], v[20:21]
	v_mul_f64_e32 v[20:21], v[4:5], v[20:21]
	scratch_load_b128 v[14:17], off, off offset:704
	;; [unrolled: 18-line block ×11, first 2 shown]
	v_add_f64_e32 v[177:178], v[177:178], v[189:190]
	v_add_f64_e32 v[179:180], v[179:180], v[185:186]
	s_wait_loadcnt_dscnt 0x800
	v_mul_f64_e32 v[185:186], v[6:7], v[16:17]
	v_mul_f64_e32 v[16:17], v[8:9], v[16:17]
	v_fma_f64 v[183:184], v[4:5], v[10:11], v[183:184]
	v_fma_f64 v[189:190], v[2:3], v[10:11], -v[12:13]
	ds_load_b128 v[2:5], v1 offset:1872
	scratch_load_b128 v[10:13], off, off offset:1008
	v_add_f64_e32 v[177:178], v[177:178], v[187:188]
	v_add_f64_e32 v[179:180], v[179:180], v[181:182]
	v_fma_f64 v[185:186], v[8:9], v[14:15], v[185:186]
	v_fma_f64 v[14:15], v[6:7], v[14:15], -v[16:17]
	ds_load_b128 v[6:9], v1 offset:1888
	s_wait_loadcnt_dscnt 0x801
	v_mul_f64_e32 v[181:182], v[2:3], v[20:21]
	v_mul_f64_e32 v[20:21], v[4:5], v[20:21]
	v_add_f64_e32 v[16:17], v[177:178], v[189:190]
	v_add_f64_e32 v[177:178], v[179:180], v[183:184]
	s_wait_loadcnt_dscnt 0x700
	v_mul_f64_e32 v[179:180], v[6:7], v[24:25]
	v_mul_f64_e32 v[24:25], v[8:9], v[24:25]
	v_fma_f64 v[181:182], v[4:5], v[18:19], v[181:182]
	v_fma_f64 v[18:19], v[2:3], v[18:19], -v[20:21]
	ds_load_b128 v[2:5], v1 offset:1904
	v_add_f64_e32 v[14:15], v[16:17], v[14:15]
	v_add_f64_e32 v[16:17], v[177:178], v[185:186]
	v_fma_f64 v[177:178], v[8:9], v[22:23], v[179:180]
	v_fma_f64 v[22:23], v[6:7], v[22:23], -v[24:25]
	ds_load_b128 v[6:9], v1 offset:1920
	s_wait_loadcnt_dscnt 0x500
	v_mul_f64_e32 v[179:180], v[6:7], v[32:33]
	v_mul_f64_e32 v[32:33], v[8:9], v[32:33]
	v_add_f64_e32 v[18:19], v[14:15], v[18:19]
	v_add_f64_e32 v[24:25], v[16:17], v[181:182]
	scratch_load_b128 v[14:17], off, off offset:320
	v_mul_f64_e32 v[20:21], v[2:3], v[28:29]
	v_mul_f64_e32 v[28:29], v[4:5], v[28:29]
	v_add_f64_e32 v[18:19], v[18:19], v[22:23]
	v_add_f64_e32 v[22:23], v[24:25], v[177:178]
	s_delay_alu instid0(VALU_DEP_4) | instskip(NEXT) | instid1(VALU_DEP_4)
	v_fma_f64 v[20:21], v[4:5], v[26:27], v[20:21]
	v_fma_f64 v[26:27], v[2:3], v[26:27], -v[28:29]
	ds_load_b128 v[2:5], v1 offset:1936
	s_wait_loadcnt_dscnt 0x500
	v_mul_f64_e32 v[24:25], v[2:3], v[36:37]
	v_mul_f64_e32 v[28:29], v[4:5], v[36:37]
	v_fma_f64 v[36:37], v[8:9], v[30:31], v[179:180]
	v_fma_f64 v[30:31], v[6:7], v[30:31], -v[32:33]
	ds_load_b128 v[6:9], v1 offset:1952
	v_add_f64_e32 v[20:21], v[22:23], v[20:21]
	v_add_f64_e32 v[18:19], v[18:19], v[26:27]
	v_fma_f64 v[24:25], v[4:5], v[34:35], v[24:25]
	v_fma_f64 v[28:29], v[2:3], v[34:35], -v[28:29]
	ds_load_b128 v[2:5], v1 offset:1968
	s_wait_loadcnt_dscnt 0x401
	v_mul_f64_e32 v[22:23], v[6:7], v[175:176]
	v_mul_f64_e32 v[26:27], v[8:9], v[175:176]
	v_add_f64_e32 v[20:21], v[20:21], v[36:37]
	v_add_f64_e32 v[18:19], v[18:19], v[30:31]
	s_wait_loadcnt_dscnt 0x300
	v_mul_f64_e32 v[30:31], v[2:3], v[40:41]
	v_mul_f64_e32 v[32:33], v[4:5], v[40:41]
	v_fma_f64 v[22:23], v[8:9], v[173:174], v[22:23]
	v_fma_f64 v[26:27], v[6:7], v[173:174], -v[26:27]
	ds_load_b128 v[6:9], v1 offset:1984
	v_add_f64_e32 v[20:21], v[20:21], v[24:25]
	v_add_f64_e32 v[18:19], v[18:19], v[28:29]
	v_fma_f64 v[30:31], v[4:5], v[38:39], v[30:31]
	v_fma_f64 v[32:33], v[2:3], v[38:39], -v[32:33]
	ds_load_b128 v[2:5], v1 offset:2000
	s_wait_loadcnt_dscnt 0x201
	v_mul_f64_e32 v[24:25], v[6:7], v[171:172]
	v_mul_f64_e32 v[28:29], v[8:9], v[171:172]
	v_add_f64_e32 v[20:21], v[20:21], v[22:23]
	v_add_f64_e32 v[18:19], v[18:19], v[26:27]
	s_wait_loadcnt_dscnt 0x100
	v_mul_f64_e32 v[22:23], v[2:3], v[12:13]
	v_mul_f64_e32 v[12:13], v[4:5], v[12:13]
	v_fma_f64 v[8:9], v[8:9], v[169:170], v[24:25]
	v_fma_f64 v[6:7], v[6:7], v[169:170], -v[28:29]
	v_add_f64_e32 v[20:21], v[20:21], v[30:31]
	v_add_f64_e32 v[18:19], v[18:19], v[32:33]
	v_fma_f64 v[4:5], v[4:5], v[10:11], v[22:23]
	v_fma_f64 v[2:3], v[2:3], v[10:11], -v[12:13]
	s_delay_alu instid0(VALU_DEP_4) | instskip(NEXT) | instid1(VALU_DEP_4)
	v_add_f64_e32 v[8:9], v[20:21], v[8:9]
	v_add_f64_e32 v[6:7], v[18:19], v[6:7]
	s_delay_alu instid0(VALU_DEP_2) | instskip(NEXT) | instid1(VALU_DEP_2)
	v_add_f64_e32 v[4:5], v[8:9], v[4:5]
	v_add_f64_e32 v[2:3], v[6:7], v[2:3]
	s_wait_loadcnt 0x0
	s_delay_alu instid0(VALU_DEP_2) | instskip(NEXT) | instid1(VALU_DEP_2)
	v_add_f64_e64 v[4:5], v[16:17], -v[4:5]
	v_add_f64_e64 v[2:3], v[14:15], -v[2:3]
	scratch_store_b128 off, v[2:5], off offset:320
	v_cmpx_lt_u32_e32 18, v0
	s_cbranch_execz .LBB126_367
; %bb.366:
	scratch_load_b128 v[5:8], off, s60
	v_dual_mov_b32 v2, v1 :: v_dual_mov_b32 v3, v1
	v_mov_b32_e32 v4, v1
	scratch_store_b128 off, v[1:4], off offset:304
	s_wait_loadcnt 0x0
	ds_store_b128 v168, v[5:8]
.LBB126_367:
	s_wait_alu 0xfffe
	s_or_b32 exec_lo, exec_lo, s0
	s_wait_storecnt_dscnt 0x0
	s_barrier_signal -1
	s_barrier_wait -1
	global_inv scope:SCOPE_SE
	s_clause 0x7
	scratch_load_b128 v[2:5], off, off offset:320
	scratch_load_b128 v[6:9], off, off offset:336
	;; [unrolled: 1-line block ×8, first 2 shown]
	ds_load_b128 v[38:41], v1 offset:1312
	ds_load_b128 v[169:172], v1 offset:1328
	s_clause 0x1
	scratch_load_b128 v[34:37], off, off offset:448
	scratch_load_b128 v[173:176], off, off offset:464
	s_mov_b32 s0, exec_lo
	s_wait_loadcnt_dscnt 0x901
	v_mul_f64_e32 v[177:178], v[40:41], v[4:5]
	v_mul_f64_e32 v[4:5], v[38:39], v[4:5]
	s_wait_loadcnt_dscnt 0x800
	v_mul_f64_e32 v[179:180], v[169:170], v[8:9]
	v_mul_f64_e32 v[8:9], v[171:172], v[8:9]
	s_delay_alu instid0(VALU_DEP_4) | instskip(NEXT) | instid1(VALU_DEP_4)
	v_fma_f64 v[177:178], v[38:39], v[2:3], -v[177:178]
	v_fma_f64 v[181:182], v[40:41], v[2:3], v[4:5]
	ds_load_b128 v[2:5], v1 offset:1344
	scratch_load_b128 v[38:41], off, off offset:480
	v_fma_f64 v[179:180], v[171:172], v[6:7], v[179:180]
	v_fma_f64 v[185:186], v[169:170], v[6:7], -v[8:9]
	ds_load_b128 v[6:9], v1 offset:1360
	scratch_load_b128 v[169:172], off, off offset:496
	s_wait_loadcnt_dscnt 0x901
	v_mul_f64_e32 v[183:184], v[2:3], v[12:13]
	v_mul_f64_e32 v[12:13], v[4:5], v[12:13]
	s_wait_loadcnt_dscnt 0x800
	v_mul_f64_e32 v[187:188], v[6:7], v[16:17]
	v_mul_f64_e32 v[16:17], v[8:9], v[16:17]
	v_add_f64_e32 v[177:178], 0, v[177:178]
	v_add_f64_e32 v[181:182], 0, v[181:182]
	v_fma_f64 v[183:184], v[4:5], v[10:11], v[183:184]
	v_fma_f64 v[189:190], v[2:3], v[10:11], -v[12:13]
	ds_load_b128 v[2:5], v1 offset:1376
	scratch_load_b128 v[10:13], off, off offset:512
	v_add_f64_e32 v[177:178], v[177:178], v[185:186]
	v_add_f64_e32 v[179:180], v[181:182], v[179:180]
	v_fma_f64 v[185:186], v[8:9], v[14:15], v[187:188]
	v_fma_f64 v[187:188], v[6:7], v[14:15], -v[16:17]
	ds_load_b128 v[6:9], v1 offset:1392
	scratch_load_b128 v[14:17], off, off offset:528
	s_wait_loadcnt_dscnt 0x901
	v_mul_f64_e32 v[181:182], v[2:3], v[20:21]
	v_mul_f64_e32 v[20:21], v[4:5], v[20:21]
	v_add_f64_e32 v[177:178], v[177:178], v[189:190]
	v_add_f64_e32 v[179:180], v[179:180], v[183:184]
	s_wait_loadcnt_dscnt 0x800
	v_mul_f64_e32 v[183:184], v[6:7], v[24:25]
	v_mul_f64_e32 v[24:25], v[8:9], v[24:25]
	v_fma_f64 v[181:182], v[4:5], v[18:19], v[181:182]
	v_fma_f64 v[189:190], v[2:3], v[18:19], -v[20:21]
	ds_load_b128 v[2:5], v1 offset:1408
	scratch_load_b128 v[18:21], off, off offset:544
	v_add_f64_e32 v[177:178], v[177:178], v[187:188]
	v_add_f64_e32 v[179:180], v[179:180], v[185:186]
	v_fma_f64 v[183:184], v[8:9], v[22:23], v[183:184]
	v_fma_f64 v[187:188], v[6:7], v[22:23], -v[24:25]
	ds_load_b128 v[6:9], v1 offset:1424
	s_wait_loadcnt_dscnt 0x801
	v_mul_f64_e32 v[185:186], v[2:3], v[28:29]
	v_mul_f64_e32 v[28:29], v[4:5], v[28:29]
	scratch_load_b128 v[22:25], off, off offset:560
	v_add_f64_e32 v[177:178], v[177:178], v[189:190]
	v_add_f64_e32 v[179:180], v[179:180], v[181:182]
	s_wait_loadcnt_dscnt 0x800
	v_mul_f64_e32 v[181:182], v[6:7], v[32:33]
	v_mul_f64_e32 v[32:33], v[8:9], v[32:33]
	v_fma_f64 v[185:186], v[4:5], v[26:27], v[185:186]
	v_fma_f64 v[189:190], v[2:3], v[26:27], -v[28:29]
	ds_load_b128 v[2:5], v1 offset:1440
	scratch_load_b128 v[26:29], off, off offset:576
	v_add_f64_e32 v[177:178], v[177:178], v[187:188]
	v_add_f64_e32 v[179:180], v[179:180], v[183:184]
	v_fma_f64 v[181:182], v[8:9], v[30:31], v[181:182]
	v_fma_f64 v[187:188], v[6:7], v[30:31], -v[32:33]
	ds_load_b128 v[6:9], v1 offset:1456
	s_wait_loadcnt_dscnt 0x801
	v_mul_f64_e32 v[183:184], v[2:3], v[36:37]
	v_mul_f64_e32 v[36:37], v[4:5], v[36:37]
	scratch_load_b128 v[30:33], off, off offset:592
	v_add_f64_e32 v[177:178], v[177:178], v[189:190]
	v_add_f64_e32 v[179:180], v[179:180], v[185:186]
	s_wait_loadcnt_dscnt 0x800
	v_mul_f64_e32 v[185:186], v[6:7], v[175:176]
	v_mul_f64_e32 v[175:176], v[8:9], v[175:176]
	v_fma_f64 v[183:184], v[4:5], v[34:35], v[183:184]
	v_fma_f64 v[189:190], v[2:3], v[34:35], -v[36:37]
	ds_load_b128 v[2:5], v1 offset:1472
	scratch_load_b128 v[34:37], off, off offset:608
	v_add_f64_e32 v[177:178], v[177:178], v[187:188]
	v_add_f64_e32 v[179:180], v[179:180], v[181:182]
	v_fma_f64 v[185:186], v[8:9], v[173:174], v[185:186]
	v_fma_f64 v[187:188], v[6:7], v[173:174], -v[175:176]
	ds_load_b128 v[6:9], v1 offset:1488
	scratch_load_b128 v[173:176], off, off offset:624
	s_wait_loadcnt_dscnt 0x901
	v_mul_f64_e32 v[181:182], v[2:3], v[40:41]
	v_mul_f64_e32 v[40:41], v[4:5], v[40:41]
	v_add_f64_e32 v[177:178], v[177:178], v[189:190]
	v_add_f64_e32 v[179:180], v[179:180], v[183:184]
	s_wait_loadcnt_dscnt 0x800
	v_mul_f64_e32 v[183:184], v[6:7], v[171:172]
	v_mul_f64_e32 v[171:172], v[8:9], v[171:172]
	v_fma_f64 v[181:182], v[4:5], v[38:39], v[181:182]
	v_fma_f64 v[189:190], v[2:3], v[38:39], -v[40:41]
	ds_load_b128 v[2:5], v1 offset:1504
	scratch_load_b128 v[38:41], off, off offset:640
	v_add_f64_e32 v[177:178], v[177:178], v[187:188]
	v_add_f64_e32 v[179:180], v[179:180], v[185:186]
	v_fma_f64 v[183:184], v[8:9], v[169:170], v[183:184]
	v_fma_f64 v[187:188], v[6:7], v[169:170], -v[171:172]
	ds_load_b128 v[6:9], v1 offset:1520
	s_wait_loadcnt_dscnt 0x801
	v_mul_f64_e32 v[185:186], v[2:3], v[12:13]
	v_mul_f64_e32 v[12:13], v[4:5], v[12:13]
	scratch_load_b128 v[169:172], off, off offset:656
	v_add_f64_e32 v[177:178], v[177:178], v[189:190]
	v_add_f64_e32 v[179:180], v[179:180], v[181:182]
	s_wait_loadcnt_dscnt 0x800
	v_mul_f64_e32 v[181:182], v[6:7], v[16:17]
	v_mul_f64_e32 v[16:17], v[8:9], v[16:17]
	v_fma_f64 v[185:186], v[4:5], v[10:11], v[185:186]
	v_fma_f64 v[189:190], v[2:3], v[10:11], -v[12:13]
	ds_load_b128 v[2:5], v1 offset:1536
	scratch_load_b128 v[10:13], off, off offset:672
	v_add_f64_e32 v[177:178], v[177:178], v[187:188]
	v_add_f64_e32 v[179:180], v[179:180], v[183:184]
	v_fma_f64 v[181:182], v[8:9], v[14:15], v[181:182]
	v_fma_f64 v[187:188], v[6:7], v[14:15], -v[16:17]
	ds_load_b128 v[6:9], v1 offset:1552
	s_wait_loadcnt_dscnt 0x801
	v_mul_f64_e32 v[183:184], v[2:3], v[20:21]
	v_mul_f64_e32 v[20:21], v[4:5], v[20:21]
	scratch_load_b128 v[14:17], off, off offset:688
	;; [unrolled: 18-line block ×12, first 2 shown]
	v_add_f64_e32 v[177:178], v[177:178], v[189:190]
	v_add_f64_e32 v[179:180], v[179:180], v[183:184]
	s_wait_loadcnt_dscnt 0x800
	v_mul_f64_e32 v[183:184], v[6:7], v[24:25]
	v_mul_f64_e32 v[24:25], v[8:9], v[24:25]
	v_fma_f64 v[181:182], v[4:5], v[18:19], v[181:182]
	v_fma_f64 v[18:19], v[2:3], v[18:19], -v[20:21]
	ds_load_b128 v[2:5], v1 offset:1888
	v_add_f64_e32 v[20:21], v[177:178], v[187:188]
	v_add_f64_e32 v[177:178], v[179:180], v[185:186]
	v_fma_f64 v[183:184], v[8:9], v[22:23], v[183:184]
	v_fma_f64 v[22:23], v[6:7], v[22:23], -v[24:25]
	ds_load_b128 v[6:9], v1 offset:1904
	s_wait_loadcnt_dscnt 0x701
	v_mul_f64_e32 v[179:180], v[2:3], v[28:29]
	v_mul_f64_e32 v[28:29], v[4:5], v[28:29]
	v_add_f64_e32 v[18:19], v[20:21], v[18:19]
	v_add_f64_e32 v[20:21], v[177:178], v[181:182]
	s_delay_alu instid0(VALU_DEP_4) | instskip(NEXT) | instid1(VALU_DEP_4)
	v_fma_f64 v[177:178], v[4:5], v[26:27], v[179:180]
	v_fma_f64 v[26:27], v[2:3], v[26:27], -v[28:29]
	ds_load_b128 v[2:5], v1 offset:1920
	v_add_f64_e32 v[22:23], v[18:19], v[22:23]
	v_add_f64_e32 v[28:29], v[20:21], v[183:184]
	scratch_load_b128 v[18:21], off, off offset:304
	s_wait_loadcnt_dscnt 0x701
	v_mul_f64_e32 v[24:25], v[6:7], v[32:33]
	v_mul_f64_e32 v[32:33], v[8:9], v[32:33]
	v_add_f64_e32 v[22:23], v[22:23], v[26:27]
	v_add_f64_e32 v[26:27], v[28:29], v[177:178]
	s_delay_alu instid0(VALU_DEP_4) | instskip(NEXT) | instid1(VALU_DEP_4)
	v_fma_f64 v[24:25], v[8:9], v[30:31], v[24:25]
	v_fma_f64 v[30:31], v[6:7], v[30:31], -v[32:33]
	ds_load_b128 v[6:9], v1 offset:1936
	s_wait_loadcnt_dscnt 0x601
	v_mul_f64_e32 v[179:180], v[2:3], v[36:37]
	v_mul_f64_e32 v[36:37], v[4:5], v[36:37]
	s_wait_loadcnt_dscnt 0x500
	v_mul_f64_e32 v[28:29], v[6:7], v[175:176]
	v_mul_f64_e32 v[32:33], v[8:9], v[175:176]
	v_add_f64_e32 v[24:25], v[26:27], v[24:25]
	v_add_f64_e32 v[22:23], v[22:23], v[30:31]
	v_fma_f64 v[175:176], v[4:5], v[34:35], v[179:180]
	v_fma_f64 v[34:35], v[2:3], v[34:35], -v[36:37]
	ds_load_b128 v[2:5], v1 offset:1952
	v_fma_f64 v[28:29], v[8:9], v[173:174], v[28:29]
	v_fma_f64 v[32:33], v[6:7], v[173:174], -v[32:33]
	ds_load_b128 v[6:9], v1 offset:1968
	s_wait_loadcnt_dscnt 0x401
	v_mul_f64_e32 v[26:27], v[2:3], v[40:41]
	v_mul_f64_e32 v[30:31], v[4:5], v[40:41]
	v_add_f64_e32 v[24:25], v[24:25], v[175:176]
	v_add_f64_e32 v[22:23], v[22:23], v[34:35]
	s_wait_loadcnt_dscnt 0x300
	v_mul_f64_e32 v[34:35], v[6:7], v[171:172]
	v_mul_f64_e32 v[36:37], v[8:9], v[171:172]
	v_fma_f64 v[26:27], v[4:5], v[38:39], v[26:27]
	v_fma_f64 v[30:31], v[2:3], v[38:39], -v[30:31]
	ds_load_b128 v[2:5], v1 offset:1984
	v_add_f64_e32 v[24:25], v[24:25], v[28:29]
	v_add_f64_e32 v[22:23], v[22:23], v[32:33]
	v_fma_f64 v[32:33], v[8:9], v[169:170], v[34:35]
	v_fma_f64 v[34:35], v[6:7], v[169:170], -v[36:37]
	ds_load_b128 v[6:9], v1 offset:2000
	s_wait_loadcnt_dscnt 0x201
	v_mul_f64_e32 v[28:29], v[2:3], v[12:13]
	v_mul_f64_e32 v[12:13], v[4:5], v[12:13]
	v_add_f64_e32 v[24:25], v[24:25], v[26:27]
	v_add_f64_e32 v[22:23], v[22:23], v[30:31]
	s_wait_loadcnt_dscnt 0x100
	v_mul_f64_e32 v[26:27], v[6:7], v[16:17]
	v_mul_f64_e32 v[16:17], v[8:9], v[16:17]
	v_fma_f64 v[4:5], v[4:5], v[10:11], v[28:29]
	v_fma_f64 v[1:2], v[2:3], v[10:11], -v[12:13]
	v_add_f64_e32 v[12:13], v[24:25], v[32:33]
	v_add_f64_e32 v[10:11], v[22:23], v[34:35]
	v_fma_f64 v[8:9], v[8:9], v[14:15], v[26:27]
	v_fma_f64 v[6:7], v[6:7], v[14:15], -v[16:17]
	s_delay_alu instid0(VALU_DEP_4) | instskip(NEXT) | instid1(VALU_DEP_4)
	v_add_f64_e32 v[3:4], v[12:13], v[4:5]
	v_add_f64_e32 v[1:2], v[10:11], v[1:2]
	s_delay_alu instid0(VALU_DEP_2) | instskip(NEXT) | instid1(VALU_DEP_2)
	v_add_f64_e32 v[3:4], v[3:4], v[8:9]
	v_add_f64_e32 v[1:2], v[1:2], v[6:7]
	s_wait_loadcnt 0x0
	s_delay_alu instid0(VALU_DEP_2) | instskip(NEXT) | instid1(VALU_DEP_2)
	v_add_f64_e64 v[3:4], v[20:21], -v[3:4]
	v_add_f64_e64 v[1:2], v[18:19], -v[1:2]
	scratch_store_b128 off, v[1:4], off offset:304
	v_cmpx_lt_u32_e32 17, v0
	s_cbranch_execz .LBB126_369
; %bb.368:
	scratch_load_b128 v[1:4], off, s61
	v_mov_b32_e32 v5, 0
	s_delay_alu instid0(VALU_DEP_1)
	v_dual_mov_b32 v6, v5 :: v_dual_mov_b32 v7, v5
	v_mov_b32_e32 v8, v5
	scratch_store_b128 off, v[5:8], off offset:288
	s_wait_loadcnt 0x0
	ds_store_b128 v168, v[1:4]
.LBB126_369:
	s_wait_alu 0xfffe
	s_or_b32 exec_lo, exec_lo, s0
	s_wait_storecnt_dscnt 0x0
	s_barrier_signal -1
	s_barrier_wait -1
	global_inv scope:SCOPE_SE
	s_clause 0x7
	scratch_load_b128 v[2:5], off, off offset:304
	scratch_load_b128 v[6:9], off, off offset:320
	;; [unrolled: 1-line block ×8, first 2 shown]
	v_mov_b32_e32 v1, 0
	s_clause 0x1
	scratch_load_b128 v[34:37], off, off offset:432
	scratch_load_b128 v[173:176], off, off offset:448
	s_mov_b32 s0, exec_lo
	ds_load_b128 v[38:41], v1 offset:1296
	ds_load_b128 v[169:172], v1 offset:1312
	s_wait_loadcnt_dscnt 0x901
	v_mul_f64_e32 v[177:178], v[40:41], v[4:5]
	v_mul_f64_e32 v[4:5], v[38:39], v[4:5]
	s_wait_loadcnt_dscnt 0x800
	v_mul_f64_e32 v[179:180], v[169:170], v[8:9]
	v_mul_f64_e32 v[8:9], v[171:172], v[8:9]
	s_delay_alu instid0(VALU_DEP_4) | instskip(NEXT) | instid1(VALU_DEP_4)
	v_fma_f64 v[177:178], v[38:39], v[2:3], -v[177:178]
	v_fma_f64 v[181:182], v[40:41], v[2:3], v[4:5]
	ds_load_b128 v[2:5], v1 offset:1328
	scratch_load_b128 v[38:41], off, off offset:464
	v_fma_f64 v[179:180], v[171:172], v[6:7], v[179:180]
	v_fma_f64 v[185:186], v[169:170], v[6:7], -v[8:9]
	ds_load_b128 v[6:9], v1 offset:1344
	scratch_load_b128 v[169:172], off, off offset:480
	s_wait_loadcnt_dscnt 0x901
	v_mul_f64_e32 v[183:184], v[2:3], v[12:13]
	v_mul_f64_e32 v[12:13], v[4:5], v[12:13]
	s_wait_loadcnt_dscnt 0x800
	v_mul_f64_e32 v[187:188], v[6:7], v[16:17]
	v_mul_f64_e32 v[16:17], v[8:9], v[16:17]
	v_add_f64_e32 v[177:178], 0, v[177:178]
	v_add_f64_e32 v[181:182], 0, v[181:182]
	v_fma_f64 v[183:184], v[4:5], v[10:11], v[183:184]
	v_fma_f64 v[189:190], v[2:3], v[10:11], -v[12:13]
	ds_load_b128 v[2:5], v1 offset:1360
	scratch_load_b128 v[10:13], off, off offset:496
	v_add_f64_e32 v[177:178], v[177:178], v[185:186]
	v_add_f64_e32 v[179:180], v[181:182], v[179:180]
	v_fma_f64 v[185:186], v[8:9], v[14:15], v[187:188]
	v_fma_f64 v[187:188], v[6:7], v[14:15], -v[16:17]
	ds_load_b128 v[6:9], v1 offset:1376
	scratch_load_b128 v[14:17], off, off offset:512
	s_wait_loadcnt_dscnt 0x901
	v_mul_f64_e32 v[181:182], v[2:3], v[20:21]
	v_mul_f64_e32 v[20:21], v[4:5], v[20:21]
	v_add_f64_e32 v[177:178], v[177:178], v[189:190]
	v_add_f64_e32 v[179:180], v[179:180], v[183:184]
	s_wait_loadcnt_dscnt 0x800
	v_mul_f64_e32 v[183:184], v[6:7], v[24:25]
	v_mul_f64_e32 v[24:25], v[8:9], v[24:25]
	v_fma_f64 v[181:182], v[4:5], v[18:19], v[181:182]
	v_fma_f64 v[189:190], v[2:3], v[18:19], -v[20:21]
	ds_load_b128 v[2:5], v1 offset:1392
	scratch_load_b128 v[18:21], off, off offset:528
	v_add_f64_e32 v[177:178], v[177:178], v[187:188]
	v_add_f64_e32 v[179:180], v[179:180], v[185:186]
	v_fma_f64 v[183:184], v[8:9], v[22:23], v[183:184]
	v_fma_f64 v[187:188], v[6:7], v[22:23], -v[24:25]
	ds_load_b128 v[6:9], v1 offset:1408
	s_wait_loadcnt_dscnt 0x801
	v_mul_f64_e32 v[185:186], v[2:3], v[28:29]
	v_mul_f64_e32 v[28:29], v[4:5], v[28:29]
	scratch_load_b128 v[22:25], off, off offset:544
	v_add_f64_e32 v[177:178], v[177:178], v[189:190]
	v_add_f64_e32 v[179:180], v[179:180], v[181:182]
	s_wait_loadcnt_dscnt 0x800
	v_mul_f64_e32 v[181:182], v[6:7], v[32:33]
	v_mul_f64_e32 v[32:33], v[8:9], v[32:33]
	v_fma_f64 v[185:186], v[4:5], v[26:27], v[185:186]
	v_fma_f64 v[189:190], v[2:3], v[26:27], -v[28:29]
	ds_load_b128 v[2:5], v1 offset:1424
	scratch_load_b128 v[26:29], off, off offset:560
	v_add_f64_e32 v[177:178], v[177:178], v[187:188]
	v_add_f64_e32 v[179:180], v[179:180], v[183:184]
	v_fma_f64 v[181:182], v[8:9], v[30:31], v[181:182]
	v_fma_f64 v[187:188], v[6:7], v[30:31], -v[32:33]
	ds_load_b128 v[6:9], v1 offset:1440
	s_wait_loadcnt_dscnt 0x801
	v_mul_f64_e32 v[183:184], v[2:3], v[36:37]
	v_mul_f64_e32 v[36:37], v[4:5], v[36:37]
	scratch_load_b128 v[30:33], off, off offset:576
	v_add_f64_e32 v[177:178], v[177:178], v[189:190]
	v_add_f64_e32 v[179:180], v[179:180], v[185:186]
	s_wait_loadcnt_dscnt 0x800
	v_mul_f64_e32 v[185:186], v[6:7], v[175:176]
	v_mul_f64_e32 v[175:176], v[8:9], v[175:176]
	v_fma_f64 v[183:184], v[4:5], v[34:35], v[183:184]
	v_fma_f64 v[189:190], v[2:3], v[34:35], -v[36:37]
	ds_load_b128 v[2:5], v1 offset:1456
	scratch_load_b128 v[34:37], off, off offset:592
	v_add_f64_e32 v[177:178], v[177:178], v[187:188]
	v_add_f64_e32 v[179:180], v[179:180], v[181:182]
	v_fma_f64 v[185:186], v[8:9], v[173:174], v[185:186]
	v_fma_f64 v[187:188], v[6:7], v[173:174], -v[175:176]
	ds_load_b128 v[6:9], v1 offset:1472
	scratch_load_b128 v[173:176], off, off offset:608
	s_wait_loadcnt_dscnt 0x901
	v_mul_f64_e32 v[181:182], v[2:3], v[40:41]
	v_mul_f64_e32 v[40:41], v[4:5], v[40:41]
	v_add_f64_e32 v[177:178], v[177:178], v[189:190]
	v_add_f64_e32 v[179:180], v[179:180], v[183:184]
	s_wait_loadcnt_dscnt 0x800
	v_mul_f64_e32 v[183:184], v[6:7], v[171:172]
	v_mul_f64_e32 v[171:172], v[8:9], v[171:172]
	v_fma_f64 v[181:182], v[4:5], v[38:39], v[181:182]
	v_fma_f64 v[189:190], v[2:3], v[38:39], -v[40:41]
	ds_load_b128 v[2:5], v1 offset:1488
	scratch_load_b128 v[38:41], off, off offset:624
	v_add_f64_e32 v[177:178], v[177:178], v[187:188]
	v_add_f64_e32 v[179:180], v[179:180], v[185:186]
	v_fma_f64 v[183:184], v[8:9], v[169:170], v[183:184]
	v_fma_f64 v[187:188], v[6:7], v[169:170], -v[171:172]
	ds_load_b128 v[6:9], v1 offset:1504
	s_wait_loadcnt_dscnt 0x801
	v_mul_f64_e32 v[185:186], v[2:3], v[12:13]
	v_mul_f64_e32 v[12:13], v[4:5], v[12:13]
	scratch_load_b128 v[169:172], off, off offset:640
	v_add_f64_e32 v[177:178], v[177:178], v[189:190]
	v_add_f64_e32 v[179:180], v[179:180], v[181:182]
	s_wait_loadcnt_dscnt 0x800
	v_mul_f64_e32 v[181:182], v[6:7], v[16:17]
	v_mul_f64_e32 v[16:17], v[8:9], v[16:17]
	v_fma_f64 v[185:186], v[4:5], v[10:11], v[185:186]
	v_fma_f64 v[189:190], v[2:3], v[10:11], -v[12:13]
	ds_load_b128 v[2:5], v1 offset:1520
	scratch_load_b128 v[10:13], off, off offset:656
	v_add_f64_e32 v[177:178], v[177:178], v[187:188]
	v_add_f64_e32 v[179:180], v[179:180], v[183:184]
	v_fma_f64 v[181:182], v[8:9], v[14:15], v[181:182]
	v_fma_f64 v[187:188], v[6:7], v[14:15], -v[16:17]
	ds_load_b128 v[6:9], v1 offset:1536
	s_wait_loadcnt_dscnt 0x801
	v_mul_f64_e32 v[183:184], v[2:3], v[20:21]
	v_mul_f64_e32 v[20:21], v[4:5], v[20:21]
	scratch_load_b128 v[14:17], off, off offset:672
	;; [unrolled: 18-line block ×12, first 2 shown]
	v_add_f64_e32 v[177:178], v[177:178], v[189:190]
	v_add_f64_e32 v[179:180], v[179:180], v[183:184]
	s_wait_loadcnt_dscnt 0x800
	v_mul_f64_e32 v[183:184], v[6:7], v[24:25]
	v_mul_f64_e32 v[24:25], v[8:9], v[24:25]
	v_fma_f64 v[181:182], v[4:5], v[18:19], v[181:182]
	v_fma_f64 v[189:190], v[2:3], v[18:19], -v[20:21]
	ds_load_b128 v[2:5], v1 offset:1872
	scratch_load_b128 v[18:21], off, off offset:1008
	v_add_f64_e32 v[177:178], v[177:178], v[187:188]
	v_add_f64_e32 v[179:180], v[179:180], v[185:186]
	v_fma_f64 v[183:184], v[8:9], v[22:23], v[183:184]
	v_fma_f64 v[22:23], v[6:7], v[22:23], -v[24:25]
	ds_load_b128 v[6:9], v1 offset:1888
	s_wait_loadcnt_dscnt 0x801
	v_mul_f64_e32 v[185:186], v[2:3], v[28:29]
	v_mul_f64_e32 v[28:29], v[4:5], v[28:29]
	v_add_f64_e32 v[24:25], v[177:178], v[189:190]
	v_add_f64_e32 v[177:178], v[179:180], v[181:182]
	s_wait_loadcnt_dscnt 0x700
	v_mul_f64_e32 v[179:180], v[6:7], v[32:33]
	v_mul_f64_e32 v[32:33], v[8:9], v[32:33]
	v_fma_f64 v[181:182], v[4:5], v[26:27], v[185:186]
	v_fma_f64 v[26:27], v[2:3], v[26:27], -v[28:29]
	ds_load_b128 v[2:5], v1 offset:1904
	v_add_f64_e32 v[22:23], v[24:25], v[22:23]
	v_add_f64_e32 v[24:25], v[177:178], v[183:184]
	v_fma_f64 v[177:178], v[8:9], v[30:31], v[179:180]
	v_fma_f64 v[30:31], v[6:7], v[30:31], -v[32:33]
	ds_load_b128 v[6:9], v1 offset:1920
	s_wait_loadcnt_dscnt 0x500
	v_mul_f64_e32 v[179:180], v[6:7], v[175:176]
	v_mul_f64_e32 v[175:176], v[8:9], v[175:176]
	v_add_f64_e32 v[26:27], v[22:23], v[26:27]
	v_add_f64_e32 v[32:33], v[24:25], v[181:182]
	scratch_load_b128 v[22:25], off, off offset:288
	v_mul_f64_e32 v[28:29], v[2:3], v[36:37]
	v_mul_f64_e32 v[36:37], v[4:5], v[36:37]
	v_add_f64_e32 v[26:27], v[26:27], v[30:31]
	v_add_f64_e32 v[30:31], v[32:33], v[177:178]
	s_delay_alu instid0(VALU_DEP_4) | instskip(NEXT) | instid1(VALU_DEP_4)
	v_fma_f64 v[28:29], v[4:5], v[34:35], v[28:29]
	v_fma_f64 v[34:35], v[2:3], v[34:35], -v[36:37]
	ds_load_b128 v[2:5], v1 offset:1936
	s_wait_loadcnt_dscnt 0x500
	v_mul_f64_e32 v[32:33], v[2:3], v[40:41]
	v_mul_f64_e32 v[36:37], v[4:5], v[40:41]
	v_fma_f64 v[40:41], v[8:9], v[173:174], v[179:180]
	v_fma_f64 v[173:174], v[6:7], v[173:174], -v[175:176]
	ds_load_b128 v[6:9], v1 offset:1952
	v_add_f64_e32 v[28:29], v[30:31], v[28:29]
	v_add_f64_e32 v[26:27], v[26:27], v[34:35]
	v_fma_f64 v[32:33], v[4:5], v[38:39], v[32:33]
	v_fma_f64 v[36:37], v[2:3], v[38:39], -v[36:37]
	ds_load_b128 v[2:5], v1 offset:1968
	s_wait_loadcnt_dscnt 0x401
	v_mul_f64_e32 v[30:31], v[6:7], v[171:172]
	v_mul_f64_e32 v[34:35], v[8:9], v[171:172]
	v_add_f64_e32 v[28:29], v[28:29], v[40:41]
	v_add_f64_e32 v[26:27], v[26:27], v[173:174]
	s_wait_loadcnt_dscnt 0x300
	v_mul_f64_e32 v[38:39], v[2:3], v[12:13]
	v_mul_f64_e32 v[12:13], v[4:5], v[12:13]
	v_fma_f64 v[30:31], v[8:9], v[169:170], v[30:31]
	v_fma_f64 v[34:35], v[6:7], v[169:170], -v[34:35]
	ds_load_b128 v[6:9], v1 offset:1984
	v_add_f64_e32 v[28:29], v[28:29], v[32:33]
	v_add_f64_e32 v[26:27], v[26:27], v[36:37]
	v_fma_f64 v[36:37], v[4:5], v[10:11], v[38:39]
	v_fma_f64 v[10:11], v[2:3], v[10:11], -v[12:13]
	ds_load_b128 v[2:5], v1 offset:2000
	s_wait_loadcnt_dscnt 0x201
	v_mul_f64_e32 v[32:33], v[6:7], v[16:17]
	v_mul_f64_e32 v[16:17], v[8:9], v[16:17]
	v_add_f64_e32 v[12:13], v[26:27], v[34:35]
	v_add_f64_e32 v[26:27], v[28:29], v[30:31]
	s_wait_loadcnt_dscnt 0x100
	v_mul_f64_e32 v[28:29], v[2:3], v[20:21]
	v_mul_f64_e32 v[20:21], v[4:5], v[20:21]
	v_fma_f64 v[8:9], v[8:9], v[14:15], v[32:33]
	v_fma_f64 v[6:7], v[6:7], v[14:15], -v[16:17]
	v_add_f64_e32 v[10:11], v[12:13], v[10:11]
	v_add_f64_e32 v[12:13], v[26:27], v[36:37]
	v_fma_f64 v[4:5], v[4:5], v[18:19], v[28:29]
	v_fma_f64 v[2:3], v[2:3], v[18:19], -v[20:21]
	s_delay_alu instid0(VALU_DEP_4) | instskip(NEXT) | instid1(VALU_DEP_4)
	v_add_f64_e32 v[6:7], v[10:11], v[6:7]
	v_add_f64_e32 v[8:9], v[12:13], v[8:9]
	s_delay_alu instid0(VALU_DEP_2) | instskip(NEXT) | instid1(VALU_DEP_2)
	v_add_f64_e32 v[2:3], v[6:7], v[2:3]
	v_add_f64_e32 v[4:5], v[8:9], v[4:5]
	s_wait_loadcnt 0x0
	s_delay_alu instid0(VALU_DEP_2) | instskip(NEXT) | instid1(VALU_DEP_2)
	v_add_f64_e64 v[2:3], v[22:23], -v[2:3]
	v_add_f64_e64 v[4:5], v[24:25], -v[4:5]
	scratch_store_b128 off, v[2:5], off offset:288
	v_cmpx_lt_u32_e32 16, v0
	s_cbranch_execz .LBB126_371
; %bb.370:
	scratch_load_b128 v[5:8], off, s62
	v_dual_mov_b32 v2, v1 :: v_dual_mov_b32 v3, v1
	v_mov_b32_e32 v4, v1
	scratch_store_b128 off, v[1:4], off offset:272
	s_wait_loadcnt 0x0
	ds_store_b128 v168, v[5:8]
.LBB126_371:
	s_wait_alu 0xfffe
	s_or_b32 exec_lo, exec_lo, s0
	s_wait_storecnt_dscnt 0x0
	s_barrier_signal -1
	s_barrier_wait -1
	global_inv scope:SCOPE_SE
	s_clause 0x7
	scratch_load_b128 v[2:5], off, off offset:288
	scratch_load_b128 v[6:9], off, off offset:304
	;; [unrolled: 1-line block ×8, first 2 shown]
	ds_load_b128 v[38:41], v1 offset:1280
	ds_load_b128 v[169:172], v1 offset:1296
	s_clause 0x1
	scratch_load_b128 v[34:37], off, off offset:416
	scratch_load_b128 v[173:176], off, off offset:432
	s_mov_b32 s0, exec_lo
	s_wait_loadcnt_dscnt 0x901
	v_mul_f64_e32 v[177:178], v[40:41], v[4:5]
	v_mul_f64_e32 v[4:5], v[38:39], v[4:5]
	s_wait_loadcnt_dscnt 0x800
	v_mul_f64_e32 v[179:180], v[169:170], v[8:9]
	v_mul_f64_e32 v[8:9], v[171:172], v[8:9]
	s_delay_alu instid0(VALU_DEP_4) | instskip(NEXT) | instid1(VALU_DEP_4)
	v_fma_f64 v[177:178], v[38:39], v[2:3], -v[177:178]
	v_fma_f64 v[181:182], v[40:41], v[2:3], v[4:5]
	ds_load_b128 v[2:5], v1 offset:1312
	scratch_load_b128 v[38:41], off, off offset:448
	v_fma_f64 v[179:180], v[171:172], v[6:7], v[179:180]
	v_fma_f64 v[185:186], v[169:170], v[6:7], -v[8:9]
	ds_load_b128 v[6:9], v1 offset:1328
	scratch_load_b128 v[169:172], off, off offset:464
	s_wait_loadcnt_dscnt 0x901
	v_mul_f64_e32 v[183:184], v[2:3], v[12:13]
	v_mul_f64_e32 v[12:13], v[4:5], v[12:13]
	s_wait_loadcnt_dscnt 0x800
	v_mul_f64_e32 v[187:188], v[6:7], v[16:17]
	v_mul_f64_e32 v[16:17], v[8:9], v[16:17]
	v_add_f64_e32 v[177:178], 0, v[177:178]
	v_add_f64_e32 v[181:182], 0, v[181:182]
	v_fma_f64 v[183:184], v[4:5], v[10:11], v[183:184]
	v_fma_f64 v[189:190], v[2:3], v[10:11], -v[12:13]
	ds_load_b128 v[2:5], v1 offset:1344
	scratch_load_b128 v[10:13], off, off offset:480
	v_add_f64_e32 v[177:178], v[177:178], v[185:186]
	v_add_f64_e32 v[179:180], v[181:182], v[179:180]
	v_fma_f64 v[185:186], v[8:9], v[14:15], v[187:188]
	v_fma_f64 v[187:188], v[6:7], v[14:15], -v[16:17]
	ds_load_b128 v[6:9], v1 offset:1360
	scratch_load_b128 v[14:17], off, off offset:496
	s_wait_loadcnt_dscnt 0x901
	v_mul_f64_e32 v[181:182], v[2:3], v[20:21]
	v_mul_f64_e32 v[20:21], v[4:5], v[20:21]
	v_add_f64_e32 v[177:178], v[177:178], v[189:190]
	v_add_f64_e32 v[179:180], v[179:180], v[183:184]
	s_wait_loadcnt_dscnt 0x800
	v_mul_f64_e32 v[183:184], v[6:7], v[24:25]
	v_mul_f64_e32 v[24:25], v[8:9], v[24:25]
	v_fma_f64 v[181:182], v[4:5], v[18:19], v[181:182]
	v_fma_f64 v[189:190], v[2:3], v[18:19], -v[20:21]
	ds_load_b128 v[2:5], v1 offset:1376
	scratch_load_b128 v[18:21], off, off offset:512
	v_add_f64_e32 v[177:178], v[177:178], v[187:188]
	v_add_f64_e32 v[179:180], v[179:180], v[185:186]
	v_fma_f64 v[183:184], v[8:9], v[22:23], v[183:184]
	v_fma_f64 v[187:188], v[6:7], v[22:23], -v[24:25]
	ds_load_b128 v[6:9], v1 offset:1392
	s_wait_loadcnt_dscnt 0x801
	v_mul_f64_e32 v[185:186], v[2:3], v[28:29]
	v_mul_f64_e32 v[28:29], v[4:5], v[28:29]
	scratch_load_b128 v[22:25], off, off offset:528
	v_add_f64_e32 v[177:178], v[177:178], v[189:190]
	v_add_f64_e32 v[179:180], v[179:180], v[181:182]
	s_wait_loadcnt_dscnt 0x800
	v_mul_f64_e32 v[181:182], v[6:7], v[32:33]
	v_mul_f64_e32 v[32:33], v[8:9], v[32:33]
	v_fma_f64 v[185:186], v[4:5], v[26:27], v[185:186]
	v_fma_f64 v[189:190], v[2:3], v[26:27], -v[28:29]
	ds_load_b128 v[2:5], v1 offset:1408
	scratch_load_b128 v[26:29], off, off offset:544
	v_add_f64_e32 v[177:178], v[177:178], v[187:188]
	v_add_f64_e32 v[179:180], v[179:180], v[183:184]
	v_fma_f64 v[181:182], v[8:9], v[30:31], v[181:182]
	v_fma_f64 v[187:188], v[6:7], v[30:31], -v[32:33]
	ds_load_b128 v[6:9], v1 offset:1424
	s_wait_loadcnt_dscnt 0x801
	v_mul_f64_e32 v[183:184], v[2:3], v[36:37]
	v_mul_f64_e32 v[36:37], v[4:5], v[36:37]
	scratch_load_b128 v[30:33], off, off offset:560
	v_add_f64_e32 v[177:178], v[177:178], v[189:190]
	v_add_f64_e32 v[179:180], v[179:180], v[185:186]
	s_wait_loadcnt_dscnt 0x800
	v_mul_f64_e32 v[185:186], v[6:7], v[175:176]
	v_mul_f64_e32 v[175:176], v[8:9], v[175:176]
	v_fma_f64 v[183:184], v[4:5], v[34:35], v[183:184]
	v_fma_f64 v[189:190], v[2:3], v[34:35], -v[36:37]
	ds_load_b128 v[2:5], v1 offset:1440
	scratch_load_b128 v[34:37], off, off offset:576
	v_add_f64_e32 v[177:178], v[177:178], v[187:188]
	v_add_f64_e32 v[179:180], v[179:180], v[181:182]
	v_fma_f64 v[185:186], v[8:9], v[173:174], v[185:186]
	v_fma_f64 v[187:188], v[6:7], v[173:174], -v[175:176]
	ds_load_b128 v[6:9], v1 offset:1456
	scratch_load_b128 v[173:176], off, off offset:592
	s_wait_loadcnt_dscnt 0x901
	v_mul_f64_e32 v[181:182], v[2:3], v[40:41]
	v_mul_f64_e32 v[40:41], v[4:5], v[40:41]
	v_add_f64_e32 v[177:178], v[177:178], v[189:190]
	v_add_f64_e32 v[179:180], v[179:180], v[183:184]
	s_wait_loadcnt_dscnt 0x800
	v_mul_f64_e32 v[183:184], v[6:7], v[171:172]
	v_mul_f64_e32 v[171:172], v[8:9], v[171:172]
	v_fma_f64 v[181:182], v[4:5], v[38:39], v[181:182]
	v_fma_f64 v[189:190], v[2:3], v[38:39], -v[40:41]
	ds_load_b128 v[2:5], v1 offset:1472
	scratch_load_b128 v[38:41], off, off offset:608
	v_add_f64_e32 v[177:178], v[177:178], v[187:188]
	v_add_f64_e32 v[179:180], v[179:180], v[185:186]
	v_fma_f64 v[183:184], v[8:9], v[169:170], v[183:184]
	v_fma_f64 v[187:188], v[6:7], v[169:170], -v[171:172]
	ds_load_b128 v[6:9], v1 offset:1488
	s_wait_loadcnt_dscnt 0x801
	v_mul_f64_e32 v[185:186], v[2:3], v[12:13]
	v_mul_f64_e32 v[12:13], v[4:5], v[12:13]
	scratch_load_b128 v[169:172], off, off offset:624
	v_add_f64_e32 v[177:178], v[177:178], v[189:190]
	v_add_f64_e32 v[179:180], v[179:180], v[181:182]
	s_wait_loadcnt_dscnt 0x800
	v_mul_f64_e32 v[181:182], v[6:7], v[16:17]
	v_mul_f64_e32 v[16:17], v[8:9], v[16:17]
	v_fma_f64 v[185:186], v[4:5], v[10:11], v[185:186]
	v_fma_f64 v[189:190], v[2:3], v[10:11], -v[12:13]
	ds_load_b128 v[2:5], v1 offset:1504
	scratch_load_b128 v[10:13], off, off offset:640
	v_add_f64_e32 v[177:178], v[177:178], v[187:188]
	v_add_f64_e32 v[179:180], v[179:180], v[183:184]
	v_fma_f64 v[181:182], v[8:9], v[14:15], v[181:182]
	v_fma_f64 v[187:188], v[6:7], v[14:15], -v[16:17]
	ds_load_b128 v[6:9], v1 offset:1520
	s_wait_loadcnt_dscnt 0x801
	v_mul_f64_e32 v[183:184], v[2:3], v[20:21]
	v_mul_f64_e32 v[20:21], v[4:5], v[20:21]
	scratch_load_b128 v[14:17], off, off offset:656
	;; [unrolled: 18-line block ×13, first 2 shown]
	v_add_f64_e32 v[177:178], v[177:178], v[189:190]
	v_add_f64_e32 v[179:180], v[179:180], v[181:182]
	s_wait_loadcnt_dscnt 0x800
	v_mul_f64_e32 v[181:182], v[6:7], v[32:33]
	v_mul_f64_e32 v[32:33], v[8:9], v[32:33]
	v_fma_f64 v[185:186], v[4:5], v[26:27], v[185:186]
	v_fma_f64 v[26:27], v[2:3], v[26:27], -v[28:29]
	ds_load_b128 v[2:5], v1 offset:1888
	v_add_f64_e32 v[28:29], v[177:178], v[187:188]
	v_add_f64_e32 v[177:178], v[179:180], v[183:184]
	v_fma_f64 v[181:182], v[8:9], v[30:31], v[181:182]
	v_fma_f64 v[30:31], v[6:7], v[30:31], -v[32:33]
	ds_load_b128 v[6:9], v1 offset:1904
	s_wait_loadcnt_dscnt 0x701
	v_mul_f64_e32 v[179:180], v[2:3], v[36:37]
	v_mul_f64_e32 v[36:37], v[4:5], v[36:37]
	v_add_f64_e32 v[26:27], v[28:29], v[26:27]
	v_add_f64_e32 v[28:29], v[177:178], v[185:186]
	s_delay_alu instid0(VALU_DEP_4) | instskip(NEXT) | instid1(VALU_DEP_4)
	v_fma_f64 v[177:178], v[4:5], v[34:35], v[179:180]
	v_fma_f64 v[34:35], v[2:3], v[34:35], -v[36:37]
	ds_load_b128 v[2:5], v1 offset:1920
	v_add_f64_e32 v[30:31], v[26:27], v[30:31]
	v_add_f64_e32 v[36:37], v[28:29], v[181:182]
	scratch_load_b128 v[26:29], off, off offset:272
	s_wait_loadcnt_dscnt 0x701
	v_mul_f64_e32 v[32:33], v[6:7], v[175:176]
	v_mul_f64_e32 v[175:176], v[8:9], v[175:176]
	v_add_f64_e32 v[30:31], v[30:31], v[34:35]
	v_add_f64_e32 v[34:35], v[36:37], v[177:178]
	s_delay_alu instid0(VALU_DEP_4) | instskip(NEXT) | instid1(VALU_DEP_4)
	v_fma_f64 v[32:33], v[8:9], v[173:174], v[32:33]
	v_fma_f64 v[173:174], v[6:7], v[173:174], -v[175:176]
	ds_load_b128 v[6:9], v1 offset:1936
	s_wait_loadcnt_dscnt 0x601
	v_mul_f64_e32 v[179:180], v[2:3], v[40:41]
	v_mul_f64_e32 v[40:41], v[4:5], v[40:41]
	s_wait_loadcnt_dscnt 0x500
	v_mul_f64_e32 v[36:37], v[6:7], v[171:172]
	v_mul_f64_e32 v[171:172], v[8:9], v[171:172]
	v_add_f64_e32 v[32:33], v[34:35], v[32:33]
	v_add_f64_e32 v[30:31], v[30:31], v[173:174]
	v_fma_f64 v[175:176], v[4:5], v[38:39], v[179:180]
	v_fma_f64 v[38:39], v[2:3], v[38:39], -v[40:41]
	ds_load_b128 v[2:5], v1 offset:1952
	v_fma_f64 v[36:37], v[8:9], v[169:170], v[36:37]
	v_fma_f64 v[40:41], v[6:7], v[169:170], -v[171:172]
	ds_load_b128 v[6:9], v1 offset:1968
	s_wait_loadcnt_dscnt 0x401
	v_mul_f64_e32 v[34:35], v[2:3], v[12:13]
	v_mul_f64_e32 v[12:13], v[4:5], v[12:13]
	v_add_f64_e32 v[32:33], v[32:33], v[175:176]
	v_add_f64_e32 v[30:31], v[30:31], v[38:39]
	s_wait_loadcnt_dscnt 0x300
	v_mul_f64_e32 v[38:39], v[6:7], v[16:17]
	v_mul_f64_e32 v[16:17], v[8:9], v[16:17]
	v_fma_f64 v[34:35], v[4:5], v[10:11], v[34:35]
	v_fma_f64 v[10:11], v[2:3], v[10:11], -v[12:13]
	ds_load_b128 v[2:5], v1 offset:1984
	v_add_f64_e32 v[12:13], v[30:31], v[40:41]
	v_add_f64_e32 v[30:31], v[32:33], v[36:37]
	v_fma_f64 v[36:37], v[8:9], v[14:15], v[38:39]
	v_fma_f64 v[14:15], v[6:7], v[14:15], -v[16:17]
	ds_load_b128 v[6:9], v1 offset:2000
	s_wait_loadcnt_dscnt 0x201
	v_mul_f64_e32 v[32:33], v[2:3], v[20:21]
	v_mul_f64_e32 v[20:21], v[4:5], v[20:21]
	s_wait_loadcnt_dscnt 0x100
	v_mul_f64_e32 v[16:17], v[6:7], v[24:25]
	v_mul_f64_e32 v[24:25], v[8:9], v[24:25]
	v_add_f64_e32 v[10:11], v[12:13], v[10:11]
	v_add_f64_e32 v[12:13], v[30:31], v[34:35]
	v_fma_f64 v[4:5], v[4:5], v[18:19], v[32:33]
	v_fma_f64 v[1:2], v[2:3], v[18:19], -v[20:21]
	v_fma_f64 v[8:9], v[8:9], v[22:23], v[16:17]
	v_fma_f64 v[6:7], v[6:7], v[22:23], -v[24:25]
	v_add_f64_e32 v[10:11], v[10:11], v[14:15]
	v_add_f64_e32 v[12:13], v[12:13], v[36:37]
	s_delay_alu instid0(VALU_DEP_2) | instskip(NEXT) | instid1(VALU_DEP_2)
	v_add_f64_e32 v[1:2], v[10:11], v[1:2]
	v_add_f64_e32 v[3:4], v[12:13], v[4:5]
	s_delay_alu instid0(VALU_DEP_2) | instskip(NEXT) | instid1(VALU_DEP_2)
	v_add_f64_e32 v[1:2], v[1:2], v[6:7]
	v_add_f64_e32 v[3:4], v[3:4], v[8:9]
	s_wait_loadcnt 0x0
	s_delay_alu instid0(VALU_DEP_2) | instskip(NEXT) | instid1(VALU_DEP_2)
	v_add_f64_e64 v[1:2], v[26:27], -v[1:2]
	v_add_f64_e64 v[3:4], v[28:29], -v[3:4]
	scratch_store_b128 off, v[1:4], off offset:272
	v_cmpx_lt_u32_e32 15, v0
	s_cbranch_execz .LBB126_373
; %bb.372:
	scratch_load_b128 v[1:4], off, s63
	v_mov_b32_e32 v5, 0
	s_delay_alu instid0(VALU_DEP_1)
	v_dual_mov_b32 v6, v5 :: v_dual_mov_b32 v7, v5
	v_mov_b32_e32 v8, v5
	scratch_store_b128 off, v[5:8], off offset:256
	s_wait_loadcnt 0x0
	ds_store_b128 v168, v[1:4]
.LBB126_373:
	s_wait_alu 0xfffe
	s_or_b32 exec_lo, exec_lo, s0
	s_wait_storecnt_dscnt 0x0
	s_barrier_signal -1
	s_barrier_wait -1
	global_inv scope:SCOPE_SE
	s_clause 0x7
	scratch_load_b128 v[2:5], off, off offset:272
	scratch_load_b128 v[6:9], off, off offset:288
	;; [unrolled: 1-line block ×8, first 2 shown]
	v_mov_b32_e32 v1, 0
	s_clause 0x1
	scratch_load_b128 v[34:37], off, off offset:400
	scratch_load_b128 v[173:176], off, off offset:416
	s_mov_b32 s0, exec_lo
	ds_load_b128 v[38:41], v1 offset:1264
	ds_load_b128 v[169:172], v1 offset:1280
	s_wait_loadcnt_dscnt 0x901
	v_mul_f64_e32 v[177:178], v[40:41], v[4:5]
	v_mul_f64_e32 v[4:5], v[38:39], v[4:5]
	s_wait_loadcnt_dscnt 0x800
	v_mul_f64_e32 v[179:180], v[169:170], v[8:9]
	v_mul_f64_e32 v[8:9], v[171:172], v[8:9]
	s_delay_alu instid0(VALU_DEP_4) | instskip(NEXT) | instid1(VALU_DEP_4)
	v_fma_f64 v[177:178], v[38:39], v[2:3], -v[177:178]
	v_fma_f64 v[181:182], v[40:41], v[2:3], v[4:5]
	ds_load_b128 v[2:5], v1 offset:1296
	scratch_load_b128 v[38:41], off, off offset:432
	v_fma_f64 v[179:180], v[171:172], v[6:7], v[179:180]
	v_fma_f64 v[185:186], v[169:170], v[6:7], -v[8:9]
	ds_load_b128 v[6:9], v1 offset:1312
	scratch_load_b128 v[169:172], off, off offset:448
	s_wait_loadcnt_dscnt 0x901
	v_mul_f64_e32 v[183:184], v[2:3], v[12:13]
	v_mul_f64_e32 v[12:13], v[4:5], v[12:13]
	s_wait_loadcnt_dscnt 0x800
	v_mul_f64_e32 v[187:188], v[6:7], v[16:17]
	v_mul_f64_e32 v[16:17], v[8:9], v[16:17]
	v_add_f64_e32 v[177:178], 0, v[177:178]
	v_add_f64_e32 v[181:182], 0, v[181:182]
	v_fma_f64 v[183:184], v[4:5], v[10:11], v[183:184]
	v_fma_f64 v[189:190], v[2:3], v[10:11], -v[12:13]
	ds_load_b128 v[2:5], v1 offset:1328
	scratch_load_b128 v[10:13], off, off offset:464
	v_add_f64_e32 v[177:178], v[177:178], v[185:186]
	v_add_f64_e32 v[179:180], v[181:182], v[179:180]
	v_fma_f64 v[185:186], v[8:9], v[14:15], v[187:188]
	v_fma_f64 v[187:188], v[6:7], v[14:15], -v[16:17]
	ds_load_b128 v[6:9], v1 offset:1344
	scratch_load_b128 v[14:17], off, off offset:480
	s_wait_loadcnt_dscnt 0x901
	v_mul_f64_e32 v[181:182], v[2:3], v[20:21]
	v_mul_f64_e32 v[20:21], v[4:5], v[20:21]
	v_add_f64_e32 v[177:178], v[177:178], v[189:190]
	v_add_f64_e32 v[179:180], v[179:180], v[183:184]
	s_wait_loadcnt_dscnt 0x800
	v_mul_f64_e32 v[183:184], v[6:7], v[24:25]
	v_mul_f64_e32 v[24:25], v[8:9], v[24:25]
	v_fma_f64 v[181:182], v[4:5], v[18:19], v[181:182]
	v_fma_f64 v[189:190], v[2:3], v[18:19], -v[20:21]
	ds_load_b128 v[2:5], v1 offset:1360
	scratch_load_b128 v[18:21], off, off offset:496
	v_add_f64_e32 v[177:178], v[177:178], v[187:188]
	v_add_f64_e32 v[179:180], v[179:180], v[185:186]
	v_fma_f64 v[183:184], v[8:9], v[22:23], v[183:184]
	v_fma_f64 v[187:188], v[6:7], v[22:23], -v[24:25]
	ds_load_b128 v[6:9], v1 offset:1376
	s_wait_loadcnt_dscnt 0x801
	v_mul_f64_e32 v[185:186], v[2:3], v[28:29]
	v_mul_f64_e32 v[28:29], v[4:5], v[28:29]
	scratch_load_b128 v[22:25], off, off offset:512
	v_add_f64_e32 v[177:178], v[177:178], v[189:190]
	v_add_f64_e32 v[179:180], v[179:180], v[181:182]
	s_wait_loadcnt_dscnt 0x800
	v_mul_f64_e32 v[181:182], v[6:7], v[32:33]
	v_mul_f64_e32 v[32:33], v[8:9], v[32:33]
	v_fma_f64 v[185:186], v[4:5], v[26:27], v[185:186]
	v_fma_f64 v[189:190], v[2:3], v[26:27], -v[28:29]
	ds_load_b128 v[2:5], v1 offset:1392
	scratch_load_b128 v[26:29], off, off offset:528
	v_add_f64_e32 v[177:178], v[177:178], v[187:188]
	v_add_f64_e32 v[179:180], v[179:180], v[183:184]
	v_fma_f64 v[181:182], v[8:9], v[30:31], v[181:182]
	v_fma_f64 v[187:188], v[6:7], v[30:31], -v[32:33]
	ds_load_b128 v[6:9], v1 offset:1408
	s_wait_loadcnt_dscnt 0x801
	v_mul_f64_e32 v[183:184], v[2:3], v[36:37]
	v_mul_f64_e32 v[36:37], v[4:5], v[36:37]
	scratch_load_b128 v[30:33], off, off offset:544
	v_add_f64_e32 v[177:178], v[177:178], v[189:190]
	v_add_f64_e32 v[179:180], v[179:180], v[185:186]
	s_wait_loadcnt_dscnt 0x800
	v_mul_f64_e32 v[185:186], v[6:7], v[175:176]
	v_mul_f64_e32 v[175:176], v[8:9], v[175:176]
	v_fma_f64 v[183:184], v[4:5], v[34:35], v[183:184]
	v_fma_f64 v[189:190], v[2:3], v[34:35], -v[36:37]
	ds_load_b128 v[2:5], v1 offset:1424
	scratch_load_b128 v[34:37], off, off offset:560
	v_add_f64_e32 v[177:178], v[177:178], v[187:188]
	v_add_f64_e32 v[179:180], v[179:180], v[181:182]
	v_fma_f64 v[185:186], v[8:9], v[173:174], v[185:186]
	v_fma_f64 v[187:188], v[6:7], v[173:174], -v[175:176]
	ds_load_b128 v[6:9], v1 offset:1440
	scratch_load_b128 v[173:176], off, off offset:576
	s_wait_loadcnt_dscnt 0x901
	v_mul_f64_e32 v[181:182], v[2:3], v[40:41]
	v_mul_f64_e32 v[40:41], v[4:5], v[40:41]
	v_add_f64_e32 v[177:178], v[177:178], v[189:190]
	v_add_f64_e32 v[179:180], v[179:180], v[183:184]
	s_wait_loadcnt_dscnt 0x800
	v_mul_f64_e32 v[183:184], v[6:7], v[171:172]
	v_mul_f64_e32 v[171:172], v[8:9], v[171:172]
	v_fma_f64 v[181:182], v[4:5], v[38:39], v[181:182]
	v_fma_f64 v[189:190], v[2:3], v[38:39], -v[40:41]
	ds_load_b128 v[2:5], v1 offset:1456
	scratch_load_b128 v[38:41], off, off offset:592
	v_add_f64_e32 v[177:178], v[177:178], v[187:188]
	v_add_f64_e32 v[179:180], v[179:180], v[185:186]
	v_fma_f64 v[183:184], v[8:9], v[169:170], v[183:184]
	v_fma_f64 v[187:188], v[6:7], v[169:170], -v[171:172]
	ds_load_b128 v[6:9], v1 offset:1472
	s_wait_loadcnt_dscnt 0x801
	v_mul_f64_e32 v[185:186], v[2:3], v[12:13]
	v_mul_f64_e32 v[12:13], v[4:5], v[12:13]
	scratch_load_b128 v[169:172], off, off offset:608
	v_add_f64_e32 v[177:178], v[177:178], v[189:190]
	v_add_f64_e32 v[179:180], v[179:180], v[181:182]
	s_wait_loadcnt_dscnt 0x800
	v_mul_f64_e32 v[181:182], v[6:7], v[16:17]
	v_mul_f64_e32 v[16:17], v[8:9], v[16:17]
	v_fma_f64 v[185:186], v[4:5], v[10:11], v[185:186]
	v_fma_f64 v[189:190], v[2:3], v[10:11], -v[12:13]
	ds_load_b128 v[2:5], v1 offset:1488
	scratch_load_b128 v[10:13], off, off offset:624
	v_add_f64_e32 v[177:178], v[177:178], v[187:188]
	v_add_f64_e32 v[179:180], v[179:180], v[183:184]
	v_fma_f64 v[181:182], v[8:9], v[14:15], v[181:182]
	v_fma_f64 v[187:188], v[6:7], v[14:15], -v[16:17]
	ds_load_b128 v[6:9], v1 offset:1504
	s_wait_loadcnt_dscnt 0x801
	v_mul_f64_e32 v[183:184], v[2:3], v[20:21]
	v_mul_f64_e32 v[20:21], v[4:5], v[20:21]
	scratch_load_b128 v[14:17], off, off offset:640
	;; [unrolled: 18-line block ×13, first 2 shown]
	v_add_f64_e32 v[177:178], v[177:178], v[189:190]
	v_add_f64_e32 v[179:180], v[179:180], v[181:182]
	s_wait_loadcnt_dscnt 0x800
	v_mul_f64_e32 v[181:182], v[6:7], v[32:33]
	v_mul_f64_e32 v[32:33], v[8:9], v[32:33]
	v_fma_f64 v[185:186], v[4:5], v[26:27], v[185:186]
	v_fma_f64 v[189:190], v[2:3], v[26:27], -v[28:29]
	ds_load_b128 v[2:5], v1 offset:1872
	scratch_load_b128 v[26:29], off, off offset:1008
	v_add_f64_e32 v[177:178], v[177:178], v[187:188]
	v_add_f64_e32 v[179:180], v[179:180], v[183:184]
	v_fma_f64 v[181:182], v[8:9], v[30:31], v[181:182]
	v_fma_f64 v[30:31], v[6:7], v[30:31], -v[32:33]
	ds_load_b128 v[6:9], v1 offset:1888
	s_wait_loadcnt_dscnt 0x801
	v_mul_f64_e32 v[183:184], v[2:3], v[36:37]
	v_mul_f64_e32 v[36:37], v[4:5], v[36:37]
	v_add_f64_e32 v[32:33], v[177:178], v[189:190]
	v_add_f64_e32 v[177:178], v[179:180], v[185:186]
	s_wait_loadcnt_dscnt 0x700
	v_mul_f64_e32 v[179:180], v[6:7], v[175:176]
	v_mul_f64_e32 v[175:176], v[8:9], v[175:176]
	v_fma_f64 v[183:184], v[4:5], v[34:35], v[183:184]
	v_fma_f64 v[34:35], v[2:3], v[34:35], -v[36:37]
	ds_load_b128 v[2:5], v1 offset:1904
	v_add_f64_e32 v[30:31], v[32:33], v[30:31]
	v_add_f64_e32 v[32:33], v[177:178], v[181:182]
	v_fma_f64 v[177:178], v[8:9], v[173:174], v[179:180]
	v_fma_f64 v[173:174], v[6:7], v[173:174], -v[175:176]
	ds_load_b128 v[6:9], v1 offset:1920
	s_wait_loadcnt_dscnt 0x500
	v_mul_f64_e32 v[179:180], v[6:7], v[171:172]
	v_mul_f64_e32 v[171:172], v[8:9], v[171:172]
	v_add_f64_e32 v[34:35], v[30:31], v[34:35]
	v_add_f64_e32 v[175:176], v[32:33], v[183:184]
	scratch_load_b128 v[30:33], off, off offset:256
	v_mul_f64_e32 v[36:37], v[2:3], v[40:41]
	v_mul_f64_e32 v[40:41], v[4:5], v[40:41]
	v_add_f64_e32 v[34:35], v[34:35], v[173:174]
	s_delay_alu instid0(VALU_DEP_3) | instskip(NEXT) | instid1(VALU_DEP_3)
	v_fma_f64 v[36:37], v[4:5], v[38:39], v[36:37]
	v_fma_f64 v[38:39], v[2:3], v[38:39], -v[40:41]
	v_add_f64_e32 v[40:41], v[175:176], v[177:178]
	ds_load_b128 v[2:5], v1 offset:1936
	v_fma_f64 v[175:176], v[8:9], v[169:170], v[179:180]
	v_fma_f64 v[169:170], v[6:7], v[169:170], -v[171:172]
	ds_load_b128 v[6:9], v1 offset:1952
	s_wait_loadcnt_dscnt 0x501
	v_mul_f64_e32 v[173:174], v[2:3], v[12:13]
	v_mul_f64_e32 v[12:13], v[4:5], v[12:13]
	v_add_f64_e32 v[34:35], v[34:35], v[38:39]
	v_add_f64_e32 v[36:37], v[40:41], v[36:37]
	s_wait_loadcnt_dscnt 0x400
	v_mul_f64_e32 v[38:39], v[6:7], v[16:17]
	v_mul_f64_e32 v[16:17], v[8:9], v[16:17]
	v_fma_f64 v[40:41], v[4:5], v[10:11], v[173:174]
	v_fma_f64 v[10:11], v[2:3], v[10:11], -v[12:13]
	ds_load_b128 v[2:5], v1 offset:1968
	v_add_f64_e32 v[12:13], v[34:35], v[169:170]
	v_add_f64_e32 v[34:35], v[36:37], v[175:176]
	v_fma_f64 v[38:39], v[8:9], v[14:15], v[38:39]
	v_fma_f64 v[14:15], v[6:7], v[14:15], -v[16:17]
	ds_load_b128 v[6:9], v1 offset:1984
	s_wait_loadcnt_dscnt 0x301
	v_mul_f64_e32 v[36:37], v[2:3], v[20:21]
	v_mul_f64_e32 v[20:21], v[4:5], v[20:21]
	s_wait_loadcnt_dscnt 0x200
	v_mul_f64_e32 v[16:17], v[6:7], v[24:25]
	v_mul_f64_e32 v[24:25], v[8:9], v[24:25]
	v_add_f64_e32 v[10:11], v[12:13], v[10:11]
	v_add_f64_e32 v[12:13], v[34:35], v[40:41]
	v_fma_f64 v[34:35], v[4:5], v[18:19], v[36:37]
	v_fma_f64 v[18:19], v[2:3], v[18:19], -v[20:21]
	ds_load_b128 v[2:5], v1 offset:2000
	v_fma_f64 v[8:9], v[8:9], v[22:23], v[16:17]
	v_fma_f64 v[6:7], v[6:7], v[22:23], -v[24:25]
	s_wait_loadcnt_dscnt 0x100
	v_mul_f64_e32 v[20:21], v[4:5], v[28:29]
	v_add_f64_e32 v[10:11], v[10:11], v[14:15]
	v_add_f64_e32 v[12:13], v[12:13], v[38:39]
	v_mul_f64_e32 v[14:15], v[2:3], v[28:29]
	s_delay_alu instid0(VALU_DEP_4) | instskip(NEXT) | instid1(VALU_DEP_4)
	v_fma_f64 v[2:3], v[2:3], v[26:27], -v[20:21]
	v_add_f64_e32 v[10:11], v[10:11], v[18:19]
	s_delay_alu instid0(VALU_DEP_4) | instskip(NEXT) | instid1(VALU_DEP_4)
	v_add_f64_e32 v[12:13], v[12:13], v[34:35]
	v_fma_f64 v[4:5], v[4:5], v[26:27], v[14:15]
	s_delay_alu instid0(VALU_DEP_3) | instskip(NEXT) | instid1(VALU_DEP_3)
	v_add_f64_e32 v[6:7], v[10:11], v[6:7]
	v_add_f64_e32 v[8:9], v[12:13], v[8:9]
	s_delay_alu instid0(VALU_DEP_2) | instskip(NEXT) | instid1(VALU_DEP_2)
	v_add_f64_e32 v[2:3], v[6:7], v[2:3]
	v_add_f64_e32 v[4:5], v[8:9], v[4:5]
	s_wait_loadcnt 0x0
	s_delay_alu instid0(VALU_DEP_2) | instskip(NEXT) | instid1(VALU_DEP_2)
	v_add_f64_e64 v[2:3], v[30:31], -v[2:3]
	v_add_f64_e64 v[4:5], v[32:33], -v[4:5]
	scratch_store_b128 off, v[2:5], off offset:256
	v_cmpx_lt_u32_e32 14, v0
	s_cbranch_execz .LBB126_375
; %bb.374:
	scratch_load_b128 v[5:8], off, s64
	v_dual_mov_b32 v2, v1 :: v_dual_mov_b32 v3, v1
	v_mov_b32_e32 v4, v1
	scratch_store_b128 off, v[1:4], off offset:240
	s_wait_loadcnt 0x0
	ds_store_b128 v168, v[5:8]
.LBB126_375:
	s_wait_alu 0xfffe
	s_or_b32 exec_lo, exec_lo, s0
	s_wait_storecnt_dscnt 0x0
	s_barrier_signal -1
	s_barrier_wait -1
	global_inv scope:SCOPE_SE
	s_clause 0x7
	scratch_load_b128 v[2:5], off, off offset:256
	scratch_load_b128 v[6:9], off, off offset:272
	;; [unrolled: 1-line block ×8, first 2 shown]
	ds_load_b128 v[38:41], v1 offset:1248
	ds_load_b128 v[169:172], v1 offset:1264
	s_clause 0x1
	scratch_load_b128 v[34:37], off, off offset:384
	scratch_load_b128 v[173:176], off, off offset:400
	s_mov_b32 s0, exec_lo
	s_wait_loadcnt_dscnt 0x901
	v_mul_f64_e32 v[177:178], v[40:41], v[4:5]
	v_mul_f64_e32 v[4:5], v[38:39], v[4:5]
	s_wait_loadcnt_dscnt 0x800
	v_mul_f64_e32 v[179:180], v[169:170], v[8:9]
	v_mul_f64_e32 v[8:9], v[171:172], v[8:9]
	s_delay_alu instid0(VALU_DEP_4) | instskip(NEXT) | instid1(VALU_DEP_4)
	v_fma_f64 v[177:178], v[38:39], v[2:3], -v[177:178]
	v_fma_f64 v[181:182], v[40:41], v[2:3], v[4:5]
	ds_load_b128 v[2:5], v1 offset:1280
	scratch_load_b128 v[38:41], off, off offset:416
	v_fma_f64 v[179:180], v[171:172], v[6:7], v[179:180]
	v_fma_f64 v[185:186], v[169:170], v[6:7], -v[8:9]
	ds_load_b128 v[6:9], v1 offset:1296
	scratch_load_b128 v[169:172], off, off offset:432
	s_wait_loadcnt_dscnt 0x901
	v_mul_f64_e32 v[183:184], v[2:3], v[12:13]
	v_mul_f64_e32 v[12:13], v[4:5], v[12:13]
	s_wait_loadcnt_dscnt 0x800
	v_mul_f64_e32 v[187:188], v[6:7], v[16:17]
	v_mul_f64_e32 v[16:17], v[8:9], v[16:17]
	v_add_f64_e32 v[177:178], 0, v[177:178]
	v_add_f64_e32 v[181:182], 0, v[181:182]
	v_fma_f64 v[183:184], v[4:5], v[10:11], v[183:184]
	v_fma_f64 v[189:190], v[2:3], v[10:11], -v[12:13]
	ds_load_b128 v[2:5], v1 offset:1312
	scratch_load_b128 v[10:13], off, off offset:448
	v_add_f64_e32 v[177:178], v[177:178], v[185:186]
	v_add_f64_e32 v[179:180], v[181:182], v[179:180]
	v_fma_f64 v[185:186], v[8:9], v[14:15], v[187:188]
	v_fma_f64 v[187:188], v[6:7], v[14:15], -v[16:17]
	ds_load_b128 v[6:9], v1 offset:1328
	scratch_load_b128 v[14:17], off, off offset:464
	s_wait_loadcnt_dscnt 0x901
	v_mul_f64_e32 v[181:182], v[2:3], v[20:21]
	v_mul_f64_e32 v[20:21], v[4:5], v[20:21]
	v_add_f64_e32 v[177:178], v[177:178], v[189:190]
	v_add_f64_e32 v[179:180], v[179:180], v[183:184]
	s_wait_loadcnt_dscnt 0x800
	v_mul_f64_e32 v[183:184], v[6:7], v[24:25]
	v_mul_f64_e32 v[24:25], v[8:9], v[24:25]
	v_fma_f64 v[181:182], v[4:5], v[18:19], v[181:182]
	v_fma_f64 v[189:190], v[2:3], v[18:19], -v[20:21]
	ds_load_b128 v[2:5], v1 offset:1344
	scratch_load_b128 v[18:21], off, off offset:480
	v_add_f64_e32 v[177:178], v[177:178], v[187:188]
	v_add_f64_e32 v[179:180], v[179:180], v[185:186]
	v_fma_f64 v[183:184], v[8:9], v[22:23], v[183:184]
	v_fma_f64 v[187:188], v[6:7], v[22:23], -v[24:25]
	ds_load_b128 v[6:9], v1 offset:1360
	s_wait_loadcnt_dscnt 0x801
	v_mul_f64_e32 v[185:186], v[2:3], v[28:29]
	v_mul_f64_e32 v[28:29], v[4:5], v[28:29]
	scratch_load_b128 v[22:25], off, off offset:496
	v_add_f64_e32 v[177:178], v[177:178], v[189:190]
	v_add_f64_e32 v[179:180], v[179:180], v[181:182]
	s_wait_loadcnt_dscnt 0x800
	v_mul_f64_e32 v[181:182], v[6:7], v[32:33]
	v_mul_f64_e32 v[32:33], v[8:9], v[32:33]
	v_fma_f64 v[185:186], v[4:5], v[26:27], v[185:186]
	v_fma_f64 v[189:190], v[2:3], v[26:27], -v[28:29]
	ds_load_b128 v[2:5], v1 offset:1376
	scratch_load_b128 v[26:29], off, off offset:512
	v_add_f64_e32 v[177:178], v[177:178], v[187:188]
	v_add_f64_e32 v[179:180], v[179:180], v[183:184]
	v_fma_f64 v[181:182], v[8:9], v[30:31], v[181:182]
	v_fma_f64 v[187:188], v[6:7], v[30:31], -v[32:33]
	ds_load_b128 v[6:9], v1 offset:1392
	s_wait_loadcnt_dscnt 0x801
	v_mul_f64_e32 v[183:184], v[2:3], v[36:37]
	v_mul_f64_e32 v[36:37], v[4:5], v[36:37]
	scratch_load_b128 v[30:33], off, off offset:528
	v_add_f64_e32 v[177:178], v[177:178], v[189:190]
	v_add_f64_e32 v[179:180], v[179:180], v[185:186]
	s_wait_loadcnt_dscnt 0x800
	v_mul_f64_e32 v[185:186], v[6:7], v[175:176]
	v_mul_f64_e32 v[175:176], v[8:9], v[175:176]
	v_fma_f64 v[183:184], v[4:5], v[34:35], v[183:184]
	v_fma_f64 v[189:190], v[2:3], v[34:35], -v[36:37]
	ds_load_b128 v[2:5], v1 offset:1408
	scratch_load_b128 v[34:37], off, off offset:544
	v_add_f64_e32 v[177:178], v[177:178], v[187:188]
	v_add_f64_e32 v[179:180], v[179:180], v[181:182]
	v_fma_f64 v[185:186], v[8:9], v[173:174], v[185:186]
	v_fma_f64 v[187:188], v[6:7], v[173:174], -v[175:176]
	ds_load_b128 v[6:9], v1 offset:1424
	scratch_load_b128 v[173:176], off, off offset:560
	s_wait_loadcnt_dscnt 0x901
	v_mul_f64_e32 v[181:182], v[2:3], v[40:41]
	v_mul_f64_e32 v[40:41], v[4:5], v[40:41]
	v_add_f64_e32 v[177:178], v[177:178], v[189:190]
	v_add_f64_e32 v[179:180], v[179:180], v[183:184]
	s_wait_loadcnt_dscnt 0x800
	v_mul_f64_e32 v[183:184], v[6:7], v[171:172]
	v_mul_f64_e32 v[171:172], v[8:9], v[171:172]
	v_fma_f64 v[181:182], v[4:5], v[38:39], v[181:182]
	v_fma_f64 v[189:190], v[2:3], v[38:39], -v[40:41]
	ds_load_b128 v[2:5], v1 offset:1440
	scratch_load_b128 v[38:41], off, off offset:576
	v_add_f64_e32 v[177:178], v[177:178], v[187:188]
	v_add_f64_e32 v[179:180], v[179:180], v[185:186]
	v_fma_f64 v[183:184], v[8:9], v[169:170], v[183:184]
	v_fma_f64 v[187:188], v[6:7], v[169:170], -v[171:172]
	ds_load_b128 v[6:9], v1 offset:1456
	s_wait_loadcnt_dscnt 0x801
	v_mul_f64_e32 v[185:186], v[2:3], v[12:13]
	v_mul_f64_e32 v[12:13], v[4:5], v[12:13]
	scratch_load_b128 v[169:172], off, off offset:592
	v_add_f64_e32 v[177:178], v[177:178], v[189:190]
	v_add_f64_e32 v[179:180], v[179:180], v[181:182]
	s_wait_loadcnt_dscnt 0x800
	v_mul_f64_e32 v[181:182], v[6:7], v[16:17]
	v_mul_f64_e32 v[16:17], v[8:9], v[16:17]
	v_fma_f64 v[185:186], v[4:5], v[10:11], v[185:186]
	v_fma_f64 v[189:190], v[2:3], v[10:11], -v[12:13]
	ds_load_b128 v[2:5], v1 offset:1472
	scratch_load_b128 v[10:13], off, off offset:608
	v_add_f64_e32 v[177:178], v[177:178], v[187:188]
	v_add_f64_e32 v[179:180], v[179:180], v[183:184]
	v_fma_f64 v[181:182], v[8:9], v[14:15], v[181:182]
	v_fma_f64 v[187:188], v[6:7], v[14:15], -v[16:17]
	ds_load_b128 v[6:9], v1 offset:1488
	s_wait_loadcnt_dscnt 0x801
	v_mul_f64_e32 v[183:184], v[2:3], v[20:21]
	v_mul_f64_e32 v[20:21], v[4:5], v[20:21]
	scratch_load_b128 v[14:17], off, off offset:624
	;; [unrolled: 18-line block ×14, first 2 shown]
	v_add_f64_e32 v[177:178], v[177:178], v[189:190]
	v_add_f64_e32 v[179:180], v[179:180], v[185:186]
	s_wait_loadcnt_dscnt 0x800
	v_mul_f64_e32 v[185:186], v[6:7], v[175:176]
	v_mul_f64_e32 v[175:176], v[8:9], v[175:176]
	v_fma_f64 v[183:184], v[4:5], v[34:35], v[183:184]
	v_fma_f64 v[34:35], v[2:3], v[34:35], -v[36:37]
	ds_load_b128 v[2:5], v1 offset:1888
	v_add_f64_e32 v[36:37], v[177:178], v[187:188]
	v_add_f64_e32 v[177:178], v[179:180], v[181:182]
	v_fma_f64 v[181:182], v[8:9], v[173:174], v[185:186]
	v_fma_f64 v[173:174], v[6:7], v[173:174], -v[175:176]
	ds_load_b128 v[6:9], v1 offset:1904
	s_wait_loadcnt_dscnt 0x701
	v_mul_f64_e32 v[179:180], v[2:3], v[40:41]
	v_mul_f64_e32 v[40:41], v[4:5], v[40:41]
	v_add_f64_e32 v[34:35], v[36:37], v[34:35]
	v_add_f64_e32 v[36:37], v[177:178], v[183:184]
	s_delay_alu instid0(VALU_DEP_4) | instskip(NEXT) | instid1(VALU_DEP_4)
	v_fma_f64 v[177:178], v[4:5], v[38:39], v[179:180]
	v_fma_f64 v[38:39], v[2:3], v[38:39], -v[40:41]
	ds_load_b128 v[2:5], v1 offset:1920
	v_add_f64_e32 v[40:41], v[34:35], v[173:174]
	v_add_f64_e32 v[173:174], v[36:37], v[181:182]
	scratch_load_b128 v[34:37], off, off offset:240
	s_wait_loadcnt_dscnt 0x701
	v_mul_f64_e32 v[175:176], v[6:7], v[171:172]
	v_mul_f64_e32 v[171:172], v[8:9], v[171:172]
	v_add_f64_e32 v[38:39], v[40:41], v[38:39]
	v_add_f64_e32 v[40:41], v[173:174], v[177:178]
	s_delay_alu instid0(VALU_DEP_4) | instskip(NEXT) | instid1(VALU_DEP_4)
	v_fma_f64 v[175:176], v[8:9], v[169:170], v[175:176]
	v_fma_f64 v[169:170], v[6:7], v[169:170], -v[171:172]
	ds_load_b128 v[6:9], v1 offset:1936
	s_wait_loadcnt_dscnt 0x601
	v_mul_f64_e32 v[179:180], v[2:3], v[12:13]
	v_mul_f64_e32 v[12:13], v[4:5], v[12:13]
	s_wait_loadcnt_dscnt 0x500
	v_mul_f64_e32 v[171:172], v[6:7], v[16:17]
	v_mul_f64_e32 v[16:17], v[8:9], v[16:17]
	s_delay_alu instid0(VALU_DEP_4) | instskip(NEXT) | instid1(VALU_DEP_4)
	v_fma_f64 v[173:174], v[4:5], v[10:11], v[179:180]
	v_fma_f64 v[10:11], v[2:3], v[10:11], -v[12:13]
	v_add_f64_e32 v[12:13], v[38:39], v[169:170]
	v_add_f64_e32 v[38:39], v[40:41], v[175:176]
	ds_load_b128 v[2:5], v1 offset:1952
	v_fma_f64 v[169:170], v[8:9], v[14:15], v[171:172]
	v_fma_f64 v[14:15], v[6:7], v[14:15], -v[16:17]
	ds_load_b128 v[6:9], v1 offset:1968
	s_wait_loadcnt_dscnt 0x401
	v_mul_f64_e32 v[40:41], v[2:3], v[20:21]
	v_mul_f64_e32 v[20:21], v[4:5], v[20:21]
	v_add_f64_e32 v[10:11], v[12:13], v[10:11]
	v_add_f64_e32 v[12:13], v[38:39], v[173:174]
	s_wait_loadcnt_dscnt 0x300
	v_mul_f64_e32 v[16:17], v[6:7], v[24:25]
	v_mul_f64_e32 v[24:25], v[8:9], v[24:25]
	v_fma_f64 v[38:39], v[4:5], v[18:19], v[40:41]
	v_fma_f64 v[18:19], v[2:3], v[18:19], -v[20:21]
	ds_load_b128 v[2:5], v1 offset:1984
	v_add_f64_e32 v[10:11], v[10:11], v[14:15]
	v_add_f64_e32 v[12:13], v[12:13], v[169:170]
	v_fma_f64 v[16:17], v[8:9], v[22:23], v[16:17]
	v_fma_f64 v[22:23], v[6:7], v[22:23], -v[24:25]
	ds_load_b128 v[6:9], v1 offset:2000
	s_wait_loadcnt_dscnt 0x201
	v_mul_f64_e32 v[14:15], v[2:3], v[28:29]
	v_mul_f64_e32 v[20:21], v[4:5], v[28:29]
	s_wait_loadcnt_dscnt 0x100
	v_mul_f64_e32 v[24:25], v[8:9], v[32:33]
	v_add_f64_e32 v[10:11], v[10:11], v[18:19]
	v_add_f64_e32 v[12:13], v[12:13], v[38:39]
	v_mul_f64_e32 v[18:19], v[6:7], v[32:33]
	v_fma_f64 v[4:5], v[4:5], v[26:27], v[14:15]
	v_fma_f64 v[1:2], v[2:3], v[26:27], -v[20:21]
	v_fma_f64 v[6:7], v[6:7], v[30:31], -v[24:25]
	v_add_f64_e32 v[10:11], v[10:11], v[22:23]
	v_add_f64_e32 v[12:13], v[12:13], v[16:17]
	v_fma_f64 v[8:9], v[8:9], v[30:31], v[18:19]
	s_delay_alu instid0(VALU_DEP_3) | instskip(NEXT) | instid1(VALU_DEP_3)
	v_add_f64_e32 v[1:2], v[10:11], v[1:2]
	v_add_f64_e32 v[3:4], v[12:13], v[4:5]
	s_delay_alu instid0(VALU_DEP_2) | instskip(NEXT) | instid1(VALU_DEP_2)
	v_add_f64_e32 v[1:2], v[1:2], v[6:7]
	v_add_f64_e32 v[3:4], v[3:4], v[8:9]
	s_wait_loadcnt 0x0
	s_delay_alu instid0(VALU_DEP_2) | instskip(NEXT) | instid1(VALU_DEP_2)
	v_add_f64_e64 v[1:2], v[34:35], -v[1:2]
	v_add_f64_e64 v[3:4], v[36:37], -v[3:4]
	scratch_store_b128 off, v[1:4], off offset:240
	v_cmpx_lt_u32_e32 13, v0
	s_cbranch_execz .LBB126_377
; %bb.376:
	scratch_load_b128 v[1:4], off, s65
	v_mov_b32_e32 v5, 0
	s_delay_alu instid0(VALU_DEP_1)
	v_dual_mov_b32 v6, v5 :: v_dual_mov_b32 v7, v5
	v_mov_b32_e32 v8, v5
	scratch_store_b128 off, v[5:8], off offset:224
	s_wait_loadcnt 0x0
	ds_store_b128 v168, v[1:4]
.LBB126_377:
	s_wait_alu 0xfffe
	s_or_b32 exec_lo, exec_lo, s0
	s_wait_storecnt_dscnt 0x0
	s_barrier_signal -1
	s_barrier_wait -1
	global_inv scope:SCOPE_SE
	s_clause 0x7
	scratch_load_b128 v[2:5], off, off offset:240
	scratch_load_b128 v[6:9], off, off offset:256
	;; [unrolled: 1-line block ×8, first 2 shown]
	v_mov_b32_e32 v1, 0
	s_clause 0x1
	scratch_load_b128 v[34:37], off, off offset:368
	scratch_load_b128 v[173:176], off, off offset:384
	s_mov_b32 s0, exec_lo
	ds_load_b128 v[38:41], v1 offset:1232
	ds_load_b128 v[169:172], v1 offset:1248
	s_wait_loadcnt_dscnt 0x901
	v_mul_f64_e32 v[177:178], v[40:41], v[4:5]
	v_mul_f64_e32 v[4:5], v[38:39], v[4:5]
	s_wait_loadcnt_dscnt 0x800
	v_mul_f64_e32 v[179:180], v[169:170], v[8:9]
	v_mul_f64_e32 v[8:9], v[171:172], v[8:9]
	s_delay_alu instid0(VALU_DEP_4) | instskip(NEXT) | instid1(VALU_DEP_4)
	v_fma_f64 v[177:178], v[38:39], v[2:3], -v[177:178]
	v_fma_f64 v[181:182], v[40:41], v[2:3], v[4:5]
	ds_load_b128 v[2:5], v1 offset:1264
	scratch_load_b128 v[38:41], off, off offset:400
	v_fma_f64 v[179:180], v[171:172], v[6:7], v[179:180]
	v_fma_f64 v[185:186], v[169:170], v[6:7], -v[8:9]
	ds_load_b128 v[6:9], v1 offset:1280
	scratch_load_b128 v[169:172], off, off offset:416
	s_wait_loadcnt_dscnt 0x901
	v_mul_f64_e32 v[183:184], v[2:3], v[12:13]
	v_mul_f64_e32 v[12:13], v[4:5], v[12:13]
	s_wait_loadcnt_dscnt 0x800
	v_mul_f64_e32 v[187:188], v[6:7], v[16:17]
	v_mul_f64_e32 v[16:17], v[8:9], v[16:17]
	v_add_f64_e32 v[177:178], 0, v[177:178]
	v_add_f64_e32 v[181:182], 0, v[181:182]
	v_fma_f64 v[183:184], v[4:5], v[10:11], v[183:184]
	v_fma_f64 v[189:190], v[2:3], v[10:11], -v[12:13]
	ds_load_b128 v[2:5], v1 offset:1296
	scratch_load_b128 v[10:13], off, off offset:432
	v_add_f64_e32 v[177:178], v[177:178], v[185:186]
	v_add_f64_e32 v[179:180], v[181:182], v[179:180]
	v_fma_f64 v[185:186], v[8:9], v[14:15], v[187:188]
	v_fma_f64 v[187:188], v[6:7], v[14:15], -v[16:17]
	ds_load_b128 v[6:9], v1 offset:1312
	scratch_load_b128 v[14:17], off, off offset:448
	s_wait_loadcnt_dscnt 0x901
	v_mul_f64_e32 v[181:182], v[2:3], v[20:21]
	v_mul_f64_e32 v[20:21], v[4:5], v[20:21]
	v_add_f64_e32 v[177:178], v[177:178], v[189:190]
	v_add_f64_e32 v[179:180], v[179:180], v[183:184]
	s_wait_loadcnt_dscnt 0x800
	v_mul_f64_e32 v[183:184], v[6:7], v[24:25]
	v_mul_f64_e32 v[24:25], v[8:9], v[24:25]
	v_fma_f64 v[181:182], v[4:5], v[18:19], v[181:182]
	v_fma_f64 v[189:190], v[2:3], v[18:19], -v[20:21]
	ds_load_b128 v[2:5], v1 offset:1328
	scratch_load_b128 v[18:21], off, off offset:464
	v_add_f64_e32 v[177:178], v[177:178], v[187:188]
	v_add_f64_e32 v[179:180], v[179:180], v[185:186]
	v_fma_f64 v[183:184], v[8:9], v[22:23], v[183:184]
	v_fma_f64 v[187:188], v[6:7], v[22:23], -v[24:25]
	ds_load_b128 v[6:9], v1 offset:1344
	s_wait_loadcnt_dscnt 0x801
	v_mul_f64_e32 v[185:186], v[2:3], v[28:29]
	v_mul_f64_e32 v[28:29], v[4:5], v[28:29]
	scratch_load_b128 v[22:25], off, off offset:480
	v_add_f64_e32 v[177:178], v[177:178], v[189:190]
	v_add_f64_e32 v[179:180], v[179:180], v[181:182]
	s_wait_loadcnt_dscnt 0x800
	v_mul_f64_e32 v[181:182], v[6:7], v[32:33]
	v_mul_f64_e32 v[32:33], v[8:9], v[32:33]
	v_fma_f64 v[185:186], v[4:5], v[26:27], v[185:186]
	v_fma_f64 v[189:190], v[2:3], v[26:27], -v[28:29]
	ds_load_b128 v[2:5], v1 offset:1360
	scratch_load_b128 v[26:29], off, off offset:496
	v_add_f64_e32 v[177:178], v[177:178], v[187:188]
	v_add_f64_e32 v[179:180], v[179:180], v[183:184]
	v_fma_f64 v[181:182], v[8:9], v[30:31], v[181:182]
	v_fma_f64 v[187:188], v[6:7], v[30:31], -v[32:33]
	ds_load_b128 v[6:9], v1 offset:1376
	s_wait_loadcnt_dscnt 0x801
	v_mul_f64_e32 v[183:184], v[2:3], v[36:37]
	v_mul_f64_e32 v[36:37], v[4:5], v[36:37]
	scratch_load_b128 v[30:33], off, off offset:512
	v_add_f64_e32 v[177:178], v[177:178], v[189:190]
	v_add_f64_e32 v[179:180], v[179:180], v[185:186]
	s_wait_loadcnt_dscnt 0x800
	v_mul_f64_e32 v[185:186], v[6:7], v[175:176]
	v_mul_f64_e32 v[175:176], v[8:9], v[175:176]
	v_fma_f64 v[183:184], v[4:5], v[34:35], v[183:184]
	v_fma_f64 v[189:190], v[2:3], v[34:35], -v[36:37]
	ds_load_b128 v[2:5], v1 offset:1392
	scratch_load_b128 v[34:37], off, off offset:528
	v_add_f64_e32 v[177:178], v[177:178], v[187:188]
	v_add_f64_e32 v[179:180], v[179:180], v[181:182]
	v_fma_f64 v[185:186], v[8:9], v[173:174], v[185:186]
	v_fma_f64 v[187:188], v[6:7], v[173:174], -v[175:176]
	ds_load_b128 v[6:9], v1 offset:1408
	scratch_load_b128 v[173:176], off, off offset:544
	s_wait_loadcnt_dscnt 0x901
	v_mul_f64_e32 v[181:182], v[2:3], v[40:41]
	v_mul_f64_e32 v[40:41], v[4:5], v[40:41]
	v_add_f64_e32 v[177:178], v[177:178], v[189:190]
	v_add_f64_e32 v[179:180], v[179:180], v[183:184]
	s_wait_loadcnt_dscnt 0x800
	v_mul_f64_e32 v[183:184], v[6:7], v[171:172]
	v_mul_f64_e32 v[171:172], v[8:9], v[171:172]
	v_fma_f64 v[181:182], v[4:5], v[38:39], v[181:182]
	v_fma_f64 v[189:190], v[2:3], v[38:39], -v[40:41]
	ds_load_b128 v[2:5], v1 offset:1424
	scratch_load_b128 v[38:41], off, off offset:560
	v_add_f64_e32 v[177:178], v[177:178], v[187:188]
	v_add_f64_e32 v[179:180], v[179:180], v[185:186]
	v_fma_f64 v[183:184], v[8:9], v[169:170], v[183:184]
	v_fma_f64 v[187:188], v[6:7], v[169:170], -v[171:172]
	ds_load_b128 v[6:9], v1 offset:1440
	s_wait_loadcnt_dscnt 0x801
	v_mul_f64_e32 v[185:186], v[2:3], v[12:13]
	v_mul_f64_e32 v[12:13], v[4:5], v[12:13]
	scratch_load_b128 v[169:172], off, off offset:576
	v_add_f64_e32 v[177:178], v[177:178], v[189:190]
	v_add_f64_e32 v[179:180], v[179:180], v[181:182]
	s_wait_loadcnt_dscnt 0x800
	v_mul_f64_e32 v[181:182], v[6:7], v[16:17]
	v_mul_f64_e32 v[16:17], v[8:9], v[16:17]
	v_fma_f64 v[185:186], v[4:5], v[10:11], v[185:186]
	v_fma_f64 v[189:190], v[2:3], v[10:11], -v[12:13]
	ds_load_b128 v[2:5], v1 offset:1456
	scratch_load_b128 v[10:13], off, off offset:592
	v_add_f64_e32 v[177:178], v[177:178], v[187:188]
	v_add_f64_e32 v[179:180], v[179:180], v[183:184]
	v_fma_f64 v[181:182], v[8:9], v[14:15], v[181:182]
	v_fma_f64 v[187:188], v[6:7], v[14:15], -v[16:17]
	ds_load_b128 v[6:9], v1 offset:1472
	s_wait_loadcnt_dscnt 0x801
	v_mul_f64_e32 v[183:184], v[2:3], v[20:21]
	v_mul_f64_e32 v[20:21], v[4:5], v[20:21]
	scratch_load_b128 v[14:17], off, off offset:608
	;; [unrolled: 18-line block ×14, first 2 shown]
	v_add_f64_e32 v[177:178], v[177:178], v[189:190]
	v_add_f64_e32 v[179:180], v[179:180], v[185:186]
	s_wait_loadcnt_dscnt 0x800
	v_mul_f64_e32 v[185:186], v[6:7], v[175:176]
	v_mul_f64_e32 v[175:176], v[8:9], v[175:176]
	v_fma_f64 v[183:184], v[4:5], v[34:35], v[183:184]
	v_fma_f64 v[189:190], v[2:3], v[34:35], -v[36:37]
	ds_load_b128 v[2:5], v1 offset:1872
	scratch_load_b128 v[34:37], off, off offset:1008
	v_add_f64_e32 v[177:178], v[177:178], v[187:188]
	v_add_f64_e32 v[179:180], v[179:180], v[181:182]
	v_fma_f64 v[185:186], v[8:9], v[173:174], v[185:186]
	v_fma_f64 v[173:174], v[6:7], v[173:174], -v[175:176]
	ds_load_b128 v[6:9], v1 offset:1888
	s_wait_loadcnt_dscnt 0x801
	v_mul_f64_e32 v[181:182], v[2:3], v[40:41]
	v_mul_f64_e32 v[40:41], v[4:5], v[40:41]
	v_add_f64_e32 v[175:176], v[177:178], v[189:190]
	v_add_f64_e32 v[177:178], v[179:180], v[183:184]
	s_wait_loadcnt_dscnt 0x700
	v_mul_f64_e32 v[179:180], v[6:7], v[171:172]
	v_mul_f64_e32 v[171:172], v[8:9], v[171:172]
	v_fma_f64 v[181:182], v[4:5], v[38:39], v[181:182]
	v_fma_f64 v[38:39], v[2:3], v[38:39], -v[40:41]
	ds_load_b128 v[2:5], v1 offset:1904
	v_add_f64_e32 v[40:41], v[175:176], v[173:174]
	v_add_f64_e32 v[173:174], v[177:178], v[185:186]
	v_fma_f64 v[177:178], v[8:9], v[169:170], v[179:180]
	v_fma_f64 v[169:170], v[6:7], v[169:170], -v[171:172]
	ds_load_b128 v[6:9], v1 offset:1920
	s_wait_loadcnt_dscnt 0x500
	v_mul_f64_e32 v[179:180], v[6:7], v[16:17]
	v_mul_f64_e32 v[16:17], v[8:9], v[16:17]
	v_add_f64_e32 v[171:172], v[40:41], v[38:39]
	v_add_f64_e32 v[173:174], v[173:174], v[181:182]
	scratch_load_b128 v[38:41], off, off offset:224
	v_mul_f64_e32 v[175:176], v[2:3], v[12:13]
	v_mul_f64_e32 v[12:13], v[4:5], v[12:13]
	s_delay_alu instid0(VALU_DEP_2) | instskip(NEXT) | instid1(VALU_DEP_2)
	v_fma_f64 v[175:176], v[4:5], v[10:11], v[175:176]
	v_fma_f64 v[10:11], v[2:3], v[10:11], -v[12:13]
	v_add_f64_e32 v[12:13], v[171:172], v[169:170]
	v_add_f64_e32 v[169:170], v[173:174], v[177:178]
	ds_load_b128 v[2:5], v1 offset:1936
	v_fma_f64 v[173:174], v[8:9], v[14:15], v[179:180]
	v_fma_f64 v[14:15], v[6:7], v[14:15], -v[16:17]
	ds_load_b128 v[6:9], v1 offset:1952
	s_wait_loadcnt_dscnt 0x501
	v_mul_f64_e32 v[171:172], v[2:3], v[20:21]
	v_mul_f64_e32 v[20:21], v[4:5], v[20:21]
	s_wait_loadcnt_dscnt 0x400
	v_mul_f64_e32 v[16:17], v[6:7], v[24:25]
	v_mul_f64_e32 v[24:25], v[8:9], v[24:25]
	v_add_f64_e32 v[10:11], v[12:13], v[10:11]
	v_add_f64_e32 v[12:13], v[169:170], v[175:176]
	v_fma_f64 v[169:170], v[4:5], v[18:19], v[171:172]
	v_fma_f64 v[18:19], v[2:3], v[18:19], -v[20:21]
	ds_load_b128 v[2:5], v1 offset:1968
	v_fma_f64 v[16:17], v[8:9], v[22:23], v[16:17]
	v_fma_f64 v[22:23], v[6:7], v[22:23], -v[24:25]
	ds_load_b128 v[6:9], v1 offset:1984
	v_add_f64_e32 v[10:11], v[10:11], v[14:15]
	v_add_f64_e32 v[12:13], v[12:13], v[173:174]
	s_wait_loadcnt_dscnt 0x301
	v_mul_f64_e32 v[14:15], v[2:3], v[28:29]
	v_mul_f64_e32 v[20:21], v[4:5], v[28:29]
	s_wait_loadcnt_dscnt 0x200
	v_mul_f64_e32 v[24:25], v[8:9], v[32:33]
	v_add_f64_e32 v[10:11], v[10:11], v[18:19]
	v_add_f64_e32 v[12:13], v[12:13], v[169:170]
	v_mul_f64_e32 v[18:19], v[6:7], v[32:33]
	v_fma_f64 v[14:15], v[4:5], v[26:27], v[14:15]
	v_fma_f64 v[20:21], v[2:3], v[26:27], -v[20:21]
	ds_load_b128 v[2:5], v1 offset:2000
	v_fma_f64 v[6:7], v[6:7], v[30:31], -v[24:25]
	v_add_f64_e32 v[10:11], v[10:11], v[22:23]
	v_add_f64_e32 v[12:13], v[12:13], v[16:17]
	s_wait_loadcnt_dscnt 0x100
	v_mul_f64_e32 v[16:17], v[2:3], v[36:37]
	v_mul_f64_e32 v[22:23], v[4:5], v[36:37]
	v_fma_f64 v[8:9], v[8:9], v[30:31], v[18:19]
	v_add_f64_e32 v[10:11], v[10:11], v[20:21]
	v_add_f64_e32 v[12:13], v[12:13], v[14:15]
	v_fma_f64 v[4:5], v[4:5], v[34:35], v[16:17]
	v_fma_f64 v[2:3], v[2:3], v[34:35], -v[22:23]
	s_delay_alu instid0(VALU_DEP_4) | instskip(NEXT) | instid1(VALU_DEP_4)
	v_add_f64_e32 v[6:7], v[10:11], v[6:7]
	v_add_f64_e32 v[8:9], v[12:13], v[8:9]
	s_delay_alu instid0(VALU_DEP_2) | instskip(NEXT) | instid1(VALU_DEP_2)
	v_add_f64_e32 v[2:3], v[6:7], v[2:3]
	v_add_f64_e32 v[4:5], v[8:9], v[4:5]
	s_wait_loadcnt 0x0
	s_delay_alu instid0(VALU_DEP_2) | instskip(NEXT) | instid1(VALU_DEP_2)
	v_add_f64_e64 v[2:3], v[38:39], -v[2:3]
	v_add_f64_e64 v[4:5], v[40:41], -v[4:5]
	scratch_store_b128 off, v[2:5], off offset:224
	v_cmpx_lt_u32_e32 12, v0
	s_cbranch_execz .LBB126_379
; %bb.378:
	scratch_load_b128 v[5:8], off, s66
	v_dual_mov_b32 v2, v1 :: v_dual_mov_b32 v3, v1
	v_mov_b32_e32 v4, v1
	scratch_store_b128 off, v[1:4], off offset:208
	s_wait_loadcnt 0x0
	ds_store_b128 v168, v[5:8]
.LBB126_379:
	s_wait_alu 0xfffe
	s_or_b32 exec_lo, exec_lo, s0
	s_wait_storecnt_dscnt 0x0
	s_barrier_signal -1
	s_barrier_wait -1
	global_inv scope:SCOPE_SE
	s_clause 0x7
	scratch_load_b128 v[2:5], off, off offset:224
	scratch_load_b128 v[6:9], off, off offset:240
	;; [unrolled: 1-line block ×8, first 2 shown]
	ds_load_b128 v[38:41], v1 offset:1216
	ds_load_b128 v[169:172], v1 offset:1232
	s_clause 0x1
	scratch_load_b128 v[34:37], off, off offset:352
	scratch_load_b128 v[173:176], off, off offset:368
	s_mov_b32 s0, exec_lo
	s_wait_loadcnt_dscnt 0x901
	v_mul_f64_e32 v[177:178], v[40:41], v[4:5]
	v_mul_f64_e32 v[4:5], v[38:39], v[4:5]
	s_wait_loadcnt_dscnt 0x800
	v_mul_f64_e32 v[179:180], v[169:170], v[8:9]
	v_mul_f64_e32 v[8:9], v[171:172], v[8:9]
	s_delay_alu instid0(VALU_DEP_4) | instskip(NEXT) | instid1(VALU_DEP_4)
	v_fma_f64 v[177:178], v[38:39], v[2:3], -v[177:178]
	v_fma_f64 v[181:182], v[40:41], v[2:3], v[4:5]
	ds_load_b128 v[2:5], v1 offset:1248
	scratch_load_b128 v[38:41], off, off offset:384
	v_fma_f64 v[179:180], v[171:172], v[6:7], v[179:180]
	v_fma_f64 v[185:186], v[169:170], v[6:7], -v[8:9]
	ds_load_b128 v[6:9], v1 offset:1264
	scratch_load_b128 v[169:172], off, off offset:400
	s_wait_loadcnt_dscnt 0x901
	v_mul_f64_e32 v[183:184], v[2:3], v[12:13]
	v_mul_f64_e32 v[12:13], v[4:5], v[12:13]
	s_wait_loadcnt_dscnt 0x800
	v_mul_f64_e32 v[187:188], v[6:7], v[16:17]
	v_mul_f64_e32 v[16:17], v[8:9], v[16:17]
	v_add_f64_e32 v[177:178], 0, v[177:178]
	v_add_f64_e32 v[181:182], 0, v[181:182]
	v_fma_f64 v[183:184], v[4:5], v[10:11], v[183:184]
	v_fma_f64 v[189:190], v[2:3], v[10:11], -v[12:13]
	ds_load_b128 v[2:5], v1 offset:1280
	scratch_load_b128 v[10:13], off, off offset:416
	v_add_f64_e32 v[177:178], v[177:178], v[185:186]
	v_add_f64_e32 v[179:180], v[181:182], v[179:180]
	v_fma_f64 v[185:186], v[8:9], v[14:15], v[187:188]
	v_fma_f64 v[187:188], v[6:7], v[14:15], -v[16:17]
	ds_load_b128 v[6:9], v1 offset:1296
	scratch_load_b128 v[14:17], off, off offset:432
	s_wait_loadcnt_dscnt 0x901
	v_mul_f64_e32 v[181:182], v[2:3], v[20:21]
	v_mul_f64_e32 v[20:21], v[4:5], v[20:21]
	v_add_f64_e32 v[177:178], v[177:178], v[189:190]
	v_add_f64_e32 v[179:180], v[179:180], v[183:184]
	s_wait_loadcnt_dscnt 0x800
	v_mul_f64_e32 v[183:184], v[6:7], v[24:25]
	v_mul_f64_e32 v[24:25], v[8:9], v[24:25]
	v_fma_f64 v[181:182], v[4:5], v[18:19], v[181:182]
	v_fma_f64 v[189:190], v[2:3], v[18:19], -v[20:21]
	ds_load_b128 v[2:5], v1 offset:1312
	scratch_load_b128 v[18:21], off, off offset:448
	v_add_f64_e32 v[177:178], v[177:178], v[187:188]
	v_add_f64_e32 v[179:180], v[179:180], v[185:186]
	v_fma_f64 v[183:184], v[8:9], v[22:23], v[183:184]
	v_fma_f64 v[187:188], v[6:7], v[22:23], -v[24:25]
	ds_load_b128 v[6:9], v1 offset:1328
	s_wait_loadcnt_dscnt 0x801
	v_mul_f64_e32 v[185:186], v[2:3], v[28:29]
	v_mul_f64_e32 v[28:29], v[4:5], v[28:29]
	scratch_load_b128 v[22:25], off, off offset:464
	v_add_f64_e32 v[177:178], v[177:178], v[189:190]
	v_add_f64_e32 v[179:180], v[179:180], v[181:182]
	s_wait_loadcnt_dscnt 0x800
	v_mul_f64_e32 v[181:182], v[6:7], v[32:33]
	v_mul_f64_e32 v[32:33], v[8:9], v[32:33]
	v_fma_f64 v[185:186], v[4:5], v[26:27], v[185:186]
	v_fma_f64 v[189:190], v[2:3], v[26:27], -v[28:29]
	ds_load_b128 v[2:5], v1 offset:1344
	scratch_load_b128 v[26:29], off, off offset:480
	v_add_f64_e32 v[177:178], v[177:178], v[187:188]
	v_add_f64_e32 v[179:180], v[179:180], v[183:184]
	v_fma_f64 v[181:182], v[8:9], v[30:31], v[181:182]
	v_fma_f64 v[187:188], v[6:7], v[30:31], -v[32:33]
	ds_load_b128 v[6:9], v1 offset:1360
	s_wait_loadcnt_dscnt 0x801
	v_mul_f64_e32 v[183:184], v[2:3], v[36:37]
	v_mul_f64_e32 v[36:37], v[4:5], v[36:37]
	scratch_load_b128 v[30:33], off, off offset:496
	v_add_f64_e32 v[177:178], v[177:178], v[189:190]
	v_add_f64_e32 v[179:180], v[179:180], v[185:186]
	s_wait_loadcnt_dscnt 0x800
	v_mul_f64_e32 v[185:186], v[6:7], v[175:176]
	v_mul_f64_e32 v[175:176], v[8:9], v[175:176]
	v_fma_f64 v[183:184], v[4:5], v[34:35], v[183:184]
	v_fma_f64 v[189:190], v[2:3], v[34:35], -v[36:37]
	ds_load_b128 v[2:5], v1 offset:1376
	scratch_load_b128 v[34:37], off, off offset:512
	v_add_f64_e32 v[177:178], v[177:178], v[187:188]
	v_add_f64_e32 v[179:180], v[179:180], v[181:182]
	v_fma_f64 v[185:186], v[8:9], v[173:174], v[185:186]
	v_fma_f64 v[187:188], v[6:7], v[173:174], -v[175:176]
	ds_load_b128 v[6:9], v1 offset:1392
	scratch_load_b128 v[173:176], off, off offset:528
	s_wait_loadcnt_dscnt 0x901
	v_mul_f64_e32 v[181:182], v[2:3], v[40:41]
	v_mul_f64_e32 v[40:41], v[4:5], v[40:41]
	v_add_f64_e32 v[177:178], v[177:178], v[189:190]
	v_add_f64_e32 v[179:180], v[179:180], v[183:184]
	s_wait_loadcnt_dscnt 0x800
	v_mul_f64_e32 v[183:184], v[6:7], v[171:172]
	v_mul_f64_e32 v[171:172], v[8:9], v[171:172]
	v_fma_f64 v[181:182], v[4:5], v[38:39], v[181:182]
	v_fma_f64 v[189:190], v[2:3], v[38:39], -v[40:41]
	ds_load_b128 v[2:5], v1 offset:1408
	scratch_load_b128 v[38:41], off, off offset:544
	v_add_f64_e32 v[177:178], v[177:178], v[187:188]
	v_add_f64_e32 v[179:180], v[179:180], v[185:186]
	v_fma_f64 v[183:184], v[8:9], v[169:170], v[183:184]
	v_fma_f64 v[187:188], v[6:7], v[169:170], -v[171:172]
	ds_load_b128 v[6:9], v1 offset:1424
	s_wait_loadcnt_dscnt 0x801
	v_mul_f64_e32 v[185:186], v[2:3], v[12:13]
	v_mul_f64_e32 v[12:13], v[4:5], v[12:13]
	scratch_load_b128 v[169:172], off, off offset:560
	v_add_f64_e32 v[177:178], v[177:178], v[189:190]
	v_add_f64_e32 v[179:180], v[179:180], v[181:182]
	s_wait_loadcnt_dscnt 0x800
	v_mul_f64_e32 v[181:182], v[6:7], v[16:17]
	v_mul_f64_e32 v[16:17], v[8:9], v[16:17]
	v_fma_f64 v[185:186], v[4:5], v[10:11], v[185:186]
	v_fma_f64 v[189:190], v[2:3], v[10:11], -v[12:13]
	ds_load_b128 v[2:5], v1 offset:1440
	scratch_load_b128 v[10:13], off, off offset:576
	v_add_f64_e32 v[177:178], v[177:178], v[187:188]
	v_add_f64_e32 v[179:180], v[179:180], v[183:184]
	v_fma_f64 v[181:182], v[8:9], v[14:15], v[181:182]
	v_fma_f64 v[187:188], v[6:7], v[14:15], -v[16:17]
	ds_load_b128 v[6:9], v1 offset:1456
	s_wait_loadcnt_dscnt 0x801
	v_mul_f64_e32 v[183:184], v[2:3], v[20:21]
	v_mul_f64_e32 v[20:21], v[4:5], v[20:21]
	scratch_load_b128 v[14:17], off, off offset:592
	;; [unrolled: 18-line block ×6, first 2 shown]
	v_add_f64_e32 v[177:178], v[177:178], v[189:190]
	v_add_f64_e32 v[179:180], v[179:180], v[183:184]
	s_wait_loadcnt_dscnt 0x800
	v_mul_f64_e32 v[183:184], v[6:7], v[16:17]
	v_mul_f64_e32 v[16:17], v[8:9], v[16:17]
	v_fma_f64 v[181:182], v[4:5], v[10:11], v[181:182]
	v_fma_f64 v[189:190], v[2:3], v[10:11], -v[12:13]
	scratch_load_b128 v[10:13], off, off offset:736
	ds_load_b128 v[2:5], v1 offset:1600
	v_add_f64_e32 v[177:178], v[177:178], v[187:188]
	v_add_f64_e32 v[179:180], v[179:180], v[185:186]
	v_fma_f64 v[183:184], v[8:9], v[14:15], v[183:184]
	v_fma_f64 v[187:188], v[6:7], v[14:15], -v[16:17]
	ds_load_b128 v[6:9], v1 offset:1616
	s_wait_loadcnt_dscnt 0x801
	v_mul_f64_e32 v[185:186], v[2:3], v[20:21]
	v_mul_f64_e32 v[20:21], v[4:5], v[20:21]
	scratch_load_b128 v[14:17], off, off offset:752
	v_add_f64_e32 v[177:178], v[177:178], v[189:190]
	v_add_f64_e32 v[179:180], v[179:180], v[181:182]
	s_wait_loadcnt_dscnt 0x800
	v_mul_f64_e32 v[181:182], v[6:7], v[24:25]
	v_mul_f64_e32 v[24:25], v[8:9], v[24:25]
	v_fma_f64 v[185:186], v[4:5], v[18:19], v[185:186]
	v_fma_f64 v[189:190], v[2:3], v[18:19], -v[20:21]
	ds_load_b128 v[2:5], v1 offset:1632
	scratch_load_b128 v[18:21], off, off offset:768
	v_add_f64_e32 v[177:178], v[177:178], v[187:188]
	v_add_f64_e32 v[179:180], v[179:180], v[183:184]
	v_fma_f64 v[181:182], v[8:9], v[22:23], v[181:182]
	v_fma_f64 v[187:188], v[6:7], v[22:23], -v[24:25]
	ds_load_b128 v[6:9], v1 offset:1648
	s_wait_loadcnt_dscnt 0x801
	v_mul_f64_e32 v[183:184], v[2:3], v[28:29]
	v_mul_f64_e32 v[28:29], v[4:5], v[28:29]
	scratch_load_b128 v[22:25], off, off offset:784
	v_add_f64_e32 v[177:178], v[177:178], v[189:190]
	v_add_f64_e32 v[179:180], v[179:180], v[185:186]
	s_wait_loadcnt_dscnt 0x800
	v_mul_f64_e32 v[185:186], v[6:7], v[32:33]
	v_mul_f64_e32 v[32:33], v[8:9], v[32:33]
	v_fma_f64 v[183:184], v[4:5], v[26:27], v[183:184]
	v_fma_f64 v[189:190], v[2:3], v[26:27], -v[28:29]
	ds_load_b128 v[2:5], v1 offset:1664
	scratch_load_b128 v[26:29], off, off offset:800
	;; [unrolled: 18-line block ×4, first 2 shown]
	v_add_f64_e32 v[177:178], v[177:178], v[187:188]
	v_add_f64_e32 v[179:180], v[179:180], v[183:184]
	v_fma_f64 v[181:182], v[8:9], v[169:170], v[181:182]
	v_fma_f64 v[187:188], v[6:7], v[169:170], -v[171:172]
	ds_load_b128 v[6:9], v1 offset:1744
	s_wait_loadcnt_dscnt 0x801
	v_mul_f64_e32 v[183:184], v[2:3], v[12:13]
	v_mul_f64_e32 v[12:13], v[4:5], v[12:13]
	scratch_load_b128 v[169:172], off, off offset:880
	v_add_f64_e32 v[177:178], v[177:178], v[189:190]
	v_add_f64_e32 v[179:180], v[179:180], v[185:186]
	s_wait_loadcnt_dscnt 0x800
	v_mul_f64_e32 v[185:186], v[6:7], v[16:17]
	v_mul_f64_e32 v[16:17], v[8:9], v[16:17]
	v_fma_f64 v[183:184], v[4:5], v[10:11], v[183:184]
	v_fma_f64 v[189:190], v[2:3], v[10:11], -v[12:13]
	scratch_load_b128 v[10:13], off, off offset:896
	ds_load_b128 v[2:5], v1 offset:1760
	v_add_f64_e32 v[177:178], v[177:178], v[187:188]
	v_add_f64_e32 v[179:180], v[179:180], v[181:182]
	v_fma_f64 v[185:186], v[8:9], v[14:15], v[185:186]
	v_fma_f64 v[187:188], v[6:7], v[14:15], -v[16:17]
	ds_load_b128 v[6:9], v1 offset:1776
	s_wait_loadcnt_dscnt 0x801
	v_mul_f64_e32 v[181:182], v[2:3], v[20:21]
	v_mul_f64_e32 v[20:21], v[4:5], v[20:21]
	scratch_load_b128 v[14:17], off, off offset:912
	v_add_f64_e32 v[177:178], v[177:178], v[189:190]
	v_add_f64_e32 v[179:180], v[179:180], v[183:184]
	s_wait_loadcnt_dscnt 0x800
	v_mul_f64_e32 v[183:184], v[6:7], v[24:25]
	v_mul_f64_e32 v[24:25], v[8:9], v[24:25]
	v_fma_f64 v[181:182], v[4:5], v[18:19], v[181:182]
	v_fma_f64 v[189:190], v[2:3], v[18:19], -v[20:21]
	ds_load_b128 v[2:5], v1 offset:1792
	scratch_load_b128 v[18:21], off, off offset:928
	v_add_f64_e32 v[177:178], v[177:178], v[187:188]
	v_add_f64_e32 v[179:180], v[179:180], v[185:186]
	v_fma_f64 v[183:184], v[8:9], v[22:23], v[183:184]
	v_fma_f64 v[187:188], v[6:7], v[22:23], -v[24:25]
	ds_load_b128 v[6:9], v1 offset:1808
	s_wait_loadcnt_dscnt 0x801
	v_mul_f64_e32 v[185:186], v[2:3], v[28:29]
	v_mul_f64_e32 v[28:29], v[4:5], v[28:29]
	scratch_load_b128 v[22:25], off, off offset:944
	v_add_f64_e32 v[177:178], v[177:178], v[189:190]
	v_add_f64_e32 v[179:180], v[179:180], v[181:182]
	s_wait_loadcnt_dscnt 0x800
	v_mul_f64_e32 v[181:182], v[6:7], v[32:33]
	v_mul_f64_e32 v[32:33], v[8:9], v[32:33]
	v_fma_f64 v[185:186], v[4:5], v[26:27], v[185:186]
	v_fma_f64 v[189:190], v[2:3], v[26:27], -v[28:29]
	ds_load_b128 v[2:5], v1 offset:1824
	scratch_load_b128 v[26:29], off, off offset:960
	;; [unrolled: 18-line block ×3, first 2 shown]
	v_add_f64_e32 v[177:178], v[177:178], v[187:188]
	v_add_f64_e32 v[179:180], v[179:180], v[181:182]
	v_fma_f64 v[185:186], v[8:9], v[173:174], v[185:186]
	v_fma_f64 v[187:188], v[6:7], v[173:174], -v[175:176]
	ds_load_b128 v[6:9], v1 offset:1872
	s_wait_loadcnt_dscnt 0x801
	v_mul_f64_e32 v[181:182], v[2:3], v[40:41]
	v_mul_f64_e32 v[40:41], v[4:5], v[40:41]
	scratch_load_b128 v[173:176], off, off offset:1008
	v_add_f64_e32 v[177:178], v[177:178], v[189:190]
	v_add_f64_e32 v[179:180], v[179:180], v[183:184]
	v_fma_f64 v[181:182], v[4:5], v[38:39], v[181:182]
	v_fma_f64 v[38:39], v[2:3], v[38:39], -v[40:41]
	ds_load_b128 v[2:5], v1 offset:1888
	v_add_f64_e32 v[40:41], v[177:178], v[187:188]
	v_add_f64_e32 v[177:178], v[179:180], v[185:186]
	s_wait_loadcnt_dscnt 0x700
	v_mul_f64_e32 v[179:180], v[2:3], v[12:13]
	v_mul_f64_e32 v[12:13], v[4:5], v[12:13]
	s_delay_alu instid0(VALU_DEP_4) | instskip(NEXT) | instid1(VALU_DEP_4)
	v_add_f64_e32 v[38:39], v[40:41], v[38:39]
	v_add_f64_e32 v[40:41], v[177:178], v[181:182]
	s_delay_alu instid0(VALU_DEP_4) | instskip(NEXT) | instid1(VALU_DEP_4)
	v_fma_f64 v[177:178], v[4:5], v[10:11], v[179:180]
	v_fma_f64 v[179:180], v[2:3], v[10:11], -v[12:13]
	scratch_load_b128 v[10:13], off, off offset:208
	v_mul_f64_e32 v[183:184], v[6:7], v[171:172]
	v_mul_f64_e32 v[171:172], v[8:9], v[171:172]
	ds_load_b128 v[2:5], v1 offset:1920
	v_fma_f64 v[183:184], v[8:9], v[169:170], v[183:184]
	v_fma_f64 v[169:170], v[6:7], v[169:170], -v[171:172]
	ds_load_b128 v[6:9], v1 offset:1904
	s_wait_loadcnt_dscnt 0x700
	v_mul_f64_e32 v[171:172], v[6:7], v[16:17]
	v_mul_f64_e32 v[16:17], v[8:9], v[16:17]
	v_add_f64_e32 v[40:41], v[40:41], v[183:184]
	v_add_f64_e32 v[38:39], v[38:39], v[169:170]
	s_wait_loadcnt 0x6
	v_mul_f64_e32 v[169:170], v[2:3], v[20:21]
	v_mul_f64_e32 v[20:21], v[4:5], v[20:21]
	v_fma_f64 v[171:172], v[8:9], v[14:15], v[171:172]
	v_fma_f64 v[14:15], v[6:7], v[14:15], -v[16:17]
	ds_load_b128 v[6:9], v1 offset:1936
	v_add_f64_e32 v[16:17], v[38:39], v[179:180]
	v_add_f64_e32 v[38:39], v[40:41], v[177:178]
	v_fma_f64 v[169:170], v[4:5], v[18:19], v[169:170]
	v_fma_f64 v[18:19], v[2:3], v[18:19], -v[20:21]
	ds_load_b128 v[2:5], v1 offset:1952
	s_wait_loadcnt_dscnt 0x501
	v_mul_f64_e32 v[40:41], v[6:7], v[24:25]
	v_mul_f64_e32 v[24:25], v[8:9], v[24:25]
	s_wait_loadcnt_dscnt 0x400
	v_mul_f64_e32 v[20:21], v[2:3], v[28:29]
	v_mul_f64_e32 v[28:29], v[4:5], v[28:29]
	v_add_f64_e32 v[14:15], v[16:17], v[14:15]
	v_add_f64_e32 v[16:17], v[38:39], v[171:172]
	v_fma_f64 v[38:39], v[8:9], v[22:23], v[40:41]
	v_fma_f64 v[22:23], v[6:7], v[22:23], -v[24:25]
	ds_load_b128 v[6:9], v1 offset:1968
	v_fma_f64 v[20:21], v[4:5], v[26:27], v[20:21]
	v_fma_f64 v[26:27], v[2:3], v[26:27], -v[28:29]
	ds_load_b128 v[2:5], v1 offset:1984
	s_wait_loadcnt_dscnt 0x301
	v_mul_f64_e32 v[24:25], v[8:9], v[32:33]
	v_add_f64_e32 v[14:15], v[14:15], v[18:19]
	v_add_f64_e32 v[16:17], v[16:17], v[169:170]
	v_mul_f64_e32 v[18:19], v[6:7], v[32:33]
	s_wait_loadcnt_dscnt 0x200
	v_mul_f64_e32 v[28:29], v[4:5], v[36:37]
	v_fma_f64 v[24:25], v[6:7], v[30:31], -v[24:25]
	v_add_f64_e32 v[14:15], v[14:15], v[22:23]
	v_add_f64_e32 v[16:17], v[16:17], v[38:39]
	v_mul_f64_e32 v[22:23], v[2:3], v[36:37]
	v_fma_f64 v[18:19], v[8:9], v[30:31], v[18:19]
	ds_load_b128 v[6:9], v1 offset:2000
	v_fma_f64 v[1:2], v[2:3], v[34:35], -v[28:29]
	v_add_f64_e32 v[14:15], v[14:15], v[26:27]
	v_add_f64_e32 v[16:17], v[16:17], v[20:21]
	s_wait_loadcnt_dscnt 0x100
	v_mul_f64_e32 v[20:21], v[6:7], v[175:176]
	v_mul_f64_e32 v[26:27], v[8:9], v[175:176]
	v_fma_f64 v[4:5], v[4:5], v[34:35], v[22:23]
	v_add_f64_e32 v[14:15], v[14:15], v[24:25]
	v_add_f64_e32 v[16:17], v[16:17], v[18:19]
	v_fma_f64 v[8:9], v[8:9], v[173:174], v[20:21]
	v_fma_f64 v[6:7], v[6:7], v[173:174], -v[26:27]
	s_delay_alu instid0(VALU_DEP_4) | instskip(NEXT) | instid1(VALU_DEP_4)
	v_add_f64_e32 v[1:2], v[14:15], v[1:2]
	v_add_f64_e32 v[3:4], v[16:17], v[4:5]
	s_delay_alu instid0(VALU_DEP_2) | instskip(NEXT) | instid1(VALU_DEP_2)
	v_add_f64_e32 v[1:2], v[1:2], v[6:7]
	v_add_f64_e32 v[3:4], v[3:4], v[8:9]
	s_wait_loadcnt 0x0
	s_delay_alu instid0(VALU_DEP_2) | instskip(NEXT) | instid1(VALU_DEP_2)
	v_add_f64_e64 v[1:2], v[10:11], -v[1:2]
	v_add_f64_e64 v[3:4], v[12:13], -v[3:4]
	scratch_store_b128 off, v[1:4], off offset:208
	v_cmpx_lt_u32_e32 11, v0
	s_cbranch_execz .LBB126_381
; %bb.380:
	scratch_load_b128 v[1:4], off, s67
	v_mov_b32_e32 v5, 0
	s_delay_alu instid0(VALU_DEP_1)
	v_dual_mov_b32 v6, v5 :: v_dual_mov_b32 v7, v5
	v_mov_b32_e32 v8, v5
	scratch_store_b128 off, v[5:8], off offset:192
	s_wait_loadcnt 0x0
	ds_store_b128 v168, v[1:4]
.LBB126_381:
	s_wait_alu 0xfffe
	s_or_b32 exec_lo, exec_lo, s0
	s_wait_storecnt_dscnt 0x0
	s_barrier_signal -1
	s_barrier_wait -1
	global_inv scope:SCOPE_SE
	s_clause 0x7
	scratch_load_b128 v[2:5], off, off offset:208
	scratch_load_b128 v[6:9], off, off offset:224
	scratch_load_b128 v[10:13], off, off offset:240
	scratch_load_b128 v[14:17], off, off offset:256
	scratch_load_b128 v[18:21], off, off offset:272
	scratch_load_b128 v[22:25], off, off offset:288
	scratch_load_b128 v[26:29], off, off offset:304
	scratch_load_b128 v[30:33], off, off offset:320
	v_mov_b32_e32 v1, 0
	s_clause 0x1
	scratch_load_b128 v[34:37], off, off offset:336
	scratch_load_b128 v[173:176], off, off offset:352
	s_mov_b32 s0, exec_lo
	ds_load_b128 v[38:41], v1 offset:1200
	ds_load_b128 v[169:172], v1 offset:1216
	s_wait_loadcnt_dscnt 0x901
	v_mul_f64_e32 v[177:178], v[40:41], v[4:5]
	v_mul_f64_e32 v[4:5], v[38:39], v[4:5]
	s_wait_loadcnt_dscnt 0x800
	v_mul_f64_e32 v[179:180], v[169:170], v[8:9]
	v_mul_f64_e32 v[8:9], v[171:172], v[8:9]
	s_delay_alu instid0(VALU_DEP_4) | instskip(NEXT) | instid1(VALU_DEP_4)
	v_fma_f64 v[177:178], v[38:39], v[2:3], -v[177:178]
	v_fma_f64 v[181:182], v[40:41], v[2:3], v[4:5]
	ds_load_b128 v[2:5], v1 offset:1232
	scratch_load_b128 v[38:41], off, off offset:368
	v_fma_f64 v[179:180], v[171:172], v[6:7], v[179:180]
	v_fma_f64 v[185:186], v[169:170], v[6:7], -v[8:9]
	ds_load_b128 v[6:9], v1 offset:1248
	scratch_load_b128 v[169:172], off, off offset:384
	s_wait_loadcnt_dscnt 0x901
	v_mul_f64_e32 v[183:184], v[2:3], v[12:13]
	v_mul_f64_e32 v[12:13], v[4:5], v[12:13]
	s_wait_loadcnt_dscnt 0x800
	v_mul_f64_e32 v[187:188], v[6:7], v[16:17]
	v_mul_f64_e32 v[16:17], v[8:9], v[16:17]
	v_add_f64_e32 v[177:178], 0, v[177:178]
	v_add_f64_e32 v[181:182], 0, v[181:182]
	v_fma_f64 v[183:184], v[4:5], v[10:11], v[183:184]
	v_fma_f64 v[189:190], v[2:3], v[10:11], -v[12:13]
	ds_load_b128 v[2:5], v1 offset:1264
	scratch_load_b128 v[10:13], off, off offset:400
	v_add_f64_e32 v[177:178], v[177:178], v[185:186]
	v_add_f64_e32 v[179:180], v[181:182], v[179:180]
	v_fma_f64 v[185:186], v[8:9], v[14:15], v[187:188]
	v_fma_f64 v[187:188], v[6:7], v[14:15], -v[16:17]
	ds_load_b128 v[6:9], v1 offset:1280
	scratch_load_b128 v[14:17], off, off offset:416
	s_wait_loadcnt_dscnt 0x901
	v_mul_f64_e32 v[181:182], v[2:3], v[20:21]
	v_mul_f64_e32 v[20:21], v[4:5], v[20:21]
	v_add_f64_e32 v[177:178], v[177:178], v[189:190]
	v_add_f64_e32 v[179:180], v[179:180], v[183:184]
	s_wait_loadcnt_dscnt 0x800
	v_mul_f64_e32 v[183:184], v[6:7], v[24:25]
	v_mul_f64_e32 v[24:25], v[8:9], v[24:25]
	v_fma_f64 v[181:182], v[4:5], v[18:19], v[181:182]
	v_fma_f64 v[189:190], v[2:3], v[18:19], -v[20:21]
	ds_load_b128 v[2:5], v1 offset:1296
	scratch_load_b128 v[18:21], off, off offset:432
	v_add_f64_e32 v[177:178], v[177:178], v[187:188]
	v_add_f64_e32 v[179:180], v[179:180], v[185:186]
	v_fma_f64 v[183:184], v[8:9], v[22:23], v[183:184]
	v_fma_f64 v[187:188], v[6:7], v[22:23], -v[24:25]
	ds_load_b128 v[6:9], v1 offset:1312
	s_wait_loadcnt_dscnt 0x801
	v_mul_f64_e32 v[185:186], v[2:3], v[28:29]
	v_mul_f64_e32 v[28:29], v[4:5], v[28:29]
	scratch_load_b128 v[22:25], off, off offset:448
	v_add_f64_e32 v[177:178], v[177:178], v[189:190]
	v_add_f64_e32 v[179:180], v[179:180], v[181:182]
	s_wait_loadcnt_dscnt 0x800
	v_mul_f64_e32 v[181:182], v[6:7], v[32:33]
	v_mul_f64_e32 v[32:33], v[8:9], v[32:33]
	v_fma_f64 v[185:186], v[4:5], v[26:27], v[185:186]
	v_fma_f64 v[189:190], v[2:3], v[26:27], -v[28:29]
	ds_load_b128 v[2:5], v1 offset:1328
	scratch_load_b128 v[26:29], off, off offset:464
	v_add_f64_e32 v[177:178], v[177:178], v[187:188]
	v_add_f64_e32 v[179:180], v[179:180], v[183:184]
	v_fma_f64 v[181:182], v[8:9], v[30:31], v[181:182]
	v_fma_f64 v[187:188], v[6:7], v[30:31], -v[32:33]
	ds_load_b128 v[6:9], v1 offset:1344
	s_wait_loadcnt_dscnt 0x801
	v_mul_f64_e32 v[183:184], v[2:3], v[36:37]
	v_mul_f64_e32 v[36:37], v[4:5], v[36:37]
	scratch_load_b128 v[30:33], off, off offset:480
	v_add_f64_e32 v[177:178], v[177:178], v[189:190]
	v_add_f64_e32 v[179:180], v[179:180], v[185:186]
	s_wait_loadcnt_dscnt 0x800
	v_mul_f64_e32 v[185:186], v[6:7], v[175:176]
	v_mul_f64_e32 v[175:176], v[8:9], v[175:176]
	v_fma_f64 v[183:184], v[4:5], v[34:35], v[183:184]
	v_fma_f64 v[189:190], v[2:3], v[34:35], -v[36:37]
	ds_load_b128 v[2:5], v1 offset:1360
	scratch_load_b128 v[34:37], off, off offset:496
	v_add_f64_e32 v[177:178], v[177:178], v[187:188]
	v_add_f64_e32 v[179:180], v[179:180], v[181:182]
	v_fma_f64 v[185:186], v[8:9], v[173:174], v[185:186]
	v_fma_f64 v[187:188], v[6:7], v[173:174], -v[175:176]
	ds_load_b128 v[6:9], v1 offset:1376
	scratch_load_b128 v[173:176], off, off offset:512
	s_wait_loadcnt_dscnt 0x901
	v_mul_f64_e32 v[181:182], v[2:3], v[40:41]
	v_mul_f64_e32 v[40:41], v[4:5], v[40:41]
	v_add_f64_e32 v[177:178], v[177:178], v[189:190]
	v_add_f64_e32 v[179:180], v[179:180], v[183:184]
	s_wait_loadcnt_dscnt 0x800
	v_mul_f64_e32 v[183:184], v[6:7], v[171:172]
	v_mul_f64_e32 v[171:172], v[8:9], v[171:172]
	v_fma_f64 v[181:182], v[4:5], v[38:39], v[181:182]
	v_fma_f64 v[189:190], v[2:3], v[38:39], -v[40:41]
	ds_load_b128 v[2:5], v1 offset:1392
	scratch_load_b128 v[38:41], off, off offset:528
	v_add_f64_e32 v[177:178], v[177:178], v[187:188]
	v_add_f64_e32 v[179:180], v[179:180], v[185:186]
	v_fma_f64 v[183:184], v[8:9], v[169:170], v[183:184]
	v_fma_f64 v[187:188], v[6:7], v[169:170], -v[171:172]
	ds_load_b128 v[6:9], v1 offset:1408
	s_wait_loadcnt_dscnt 0x801
	v_mul_f64_e32 v[185:186], v[2:3], v[12:13]
	v_mul_f64_e32 v[12:13], v[4:5], v[12:13]
	scratch_load_b128 v[169:172], off, off offset:544
	v_add_f64_e32 v[177:178], v[177:178], v[189:190]
	v_add_f64_e32 v[179:180], v[179:180], v[181:182]
	s_wait_loadcnt_dscnt 0x800
	v_mul_f64_e32 v[181:182], v[6:7], v[16:17]
	v_mul_f64_e32 v[16:17], v[8:9], v[16:17]
	v_fma_f64 v[185:186], v[4:5], v[10:11], v[185:186]
	v_fma_f64 v[189:190], v[2:3], v[10:11], -v[12:13]
	ds_load_b128 v[2:5], v1 offset:1424
	scratch_load_b128 v[10:13], off, off offset:560
	v_add_f64_e32 v[177:178], v[177:178], v[187:188]
	v_add_f64_e32 v[179:180], v[179:180], v[183:184]
	v_fma_f64 v[181:182], v[8:9], v[14:15], v[181:182]
	v_fma_f64 v[187:188], v[6:7], v[14:15], -v[16:17]
	ds_load_b128 v[6:9], v1 offset:1440
	s_wait_loadcnt_dscnt 0x801
	v_mul_f64_e32 v[183:184], v[2:3], v[20:21]
	v_mul_f64_e32 v[20:21], v[4:5], v[20:21]
	scratch_load_b128 v[14:17], off, off offset:576
	v_add_f64_e32 v[177:178], v[177:178], v[189:190]
	v_add_f64_e32 v[179:180], v[179:180], v[185:186]
	s_wait_loadcnt_dscnt 0x800
	v_mul_f64_e32 v[185:186], v[6:7], v[24:25]
	v_mul_f64_e32 v[24:25], v[8:9], v[24:25]
	v_fma_f64 v[183:184], v[4:5], v[18:19], v[183:184]
	v_fma_f64 v[189:190], v[2:3], v[18:19], -v[20:21]
	ds_load_b128 v[2:5], v1 offset:1456
	scratch_load_b128 v[18:21], off, off offset:592
	v_add_f64_e32 v[177:178], v[177:178], v[187:188]
	v_add_f64_e32 v[179:180], v[179:180], v[181:182]
	v_fma_f64 v[185:186], v[8:9], v[22:23], v[185:186]
	v_fma_f64 v[187:188], v[6:7], v[22:23], -v[24:25]
	ds_load_b128 v[6:9], v1 offset:1472
	s_wait_loadcnt_dscnt 0x801
	v_mul_f64_e32 v[181:182], v[2:3], v[28:29]
	v_mul_f64_e32 v[28:29], v[4:5], v[28:29]
	scratch_load_b128 v[22:25], off, off offset:608
	v_add_f64_e32 v[177:178], v[177:178], v[189:190]
	v_add_f64_e32 v[179:180], v[179:180], v[183:184]
	s_wait_loadcnt_dscnt 0x800
	v_mul_f64_e32 v[183:184], v[6:7], v[32:33]
	v_mul_f64_e32 v[32:33], v[8:9], v[32:33]
	v_fma_f64 v[181:182], v[4:5], v[26:27], v[181:182]
	v_fma_f64 v[189:190], v[2:3], v[26:27], -v[28:29]
	ds_load_b128 v[2:5], v1 offset:1488
	scratch_load_b128 v[26:29], off, off offset:624
	v_add_f64_e32 v[177:178], v[177:178], v[187:188]
	v_add_f64_e32 v[179:180], v[179:180], v[185:186]
	v_fma_f64 v[183:184], v[8:9], v[30:31], v[183:184]
	v_fma_f64 v[187:188], v[6:7], v[30:31], -v[32:33]
	ds_load_b128 v[6:9], v1 offset:1504
	s_wait_loadcnt_dscnt 0x801
	v_mul_f64_e32 v[185:186], v[2:3], v[36:37]
	v_mul_f64_e32 v[36:37], v[4:5], v[36:37]
	scratch_load_b128 v[30:33], off, off offset:640
	v_add_f64_e32 v[177:178], v[177:178], v[189:190]
	v_add_f64_e32 v[179:180], v[179:180], v[181:182]
	s_wait_loadcnt_dscnt 0x800
	v_mul_f64_e32 v[181:182], v[6:7], v[175:176]
	v_mul_f64_e32 v[175:176], v[8:9], v[175:176]
	v_fma_f64 v[185:186], v[4:5], v[34:35], v[185:186]
	v_fma_f64 v[189:190], v[2:3], v[34:35], -v[36:37]
	ds_load_b128 v[2:5], v1 offset:1520
	scratch_load_b128 v[34:37], off, off offset:656
	v_add_f64_e32 v[177:178], v[177:178], v[187:188]
	v_add_f64_e32 v[179:180], v[179:180], v[183:184]
	v_fma_f64 v[181:182], v[8:9], v[173:174], v[181:182]
	v_fma_f64 v[187:188], v[6:7], v[173:174], -v[175:176]
	ds_load_b128 v[6:9], v1 offset:1536
	s_wait_loadcnt_dscnt 0x801
	v_mul_f64_e32 v[183:184], v[2:3], v[40:41]
	v_mul_f64_e32 v[40:41], v[4:5], v[40:41]
	scratch_load_b128 v[173:176], off, off offset:672
	v_add_f64_e32 v[177:178], v[177:178], v[189:190]
	v_add_f64_e32 v[179:180], v[179:180], v[185:186]
	s_wait_loadcnt_dscnt 0x800
	v_mul_f64_e32 v[185:186], v[6:7], v[171:172]
	v_mul_f64_e32 v[171:172], v[8:9], v[171:172]
	v_fma_f64 v[183:184], v[4:5], v[38:39], v[183:184]
	v_fma_f64 v[189:190], v[2:3], v[38:39], -v[40:41]
	ds_load_b128 v[2:5], v1 offset:1552
	scratch_load_b128 v[38:41], off, off offset:688
	v_add_f64_e32 v[177:178], v[177:178], v[187:188]
	v_add_f64_e32 v[179:180], v[179:180], v[181:182]
	v_fma_f64 v[185:186], v[8:9], v[169:170], v[185:186]
	v_fma_f64 v[187:188], v[6:7], v[169:170], -v[171:172]
	ds_load_b128 v[6:9], v1 offset:1568
	s_wait_loadcnt_dscnt 0x801
	v_mul_f64_e32 v[181:182], v[2:3], v[12:13]
	v_mul_f64_e32 v[12:13], v[4:5], v[12:13]
	scratch_load_b128 v[169:172], off, off offset:704
	v_add_f64_e32 v[177:178], v[177:178], v[189:190]
	v_add_f64_e32 v[179:180], v[179:180], v[183:184]
	s_wait_loadcnt_dscnt 0x800
	v_mul_f64_e32 v[183:184], v[6:7], v[16:17]
	v_mul_f64_e32 v[16:17], v[8:9], v[16:17]
	v_fma_f64 v[181:182], v[4:5], v[10:11], v[181:182]
	v_fma_f64 v[189:190], v[2:3], v[10:11], -v[12:13]
	ds_load_b128 v[2:5], v1 offset:1584
	scratch_load_b128 v[10:13], off, off offset:720
	v_add_f64_e32 v[177:178], v[177:178], v[187:188]
	v_add_f64_e32 v[179:180], v[179:180], v[185:186]
	v_fma_f64 v[183:184], v[8:9], v[14:15], v[183:184]
	v_fma_f64 v[187:188], v[6:7], v[14:15], -v[16:17]
	ds_load_b128 v[6:9], v1 offset:1600
	s_wait_loadcnt_dscnt 0x801
	v_mul_f64_e32 v[185:186], v[2:3], v[20:21]
	v_mul_f64_e32 v[20:21], v[4:5], v[20:21]
	scratch_load_b128 v[14:17], off, off offset:736
	v_add_f64_e32 v[177:178], v[177:178], v[189:190]
	v_add_f64_e32 v[179:180], v[179:180], v[181:182]
	s_wait_loadcnt_dscnt 0x800
	v_mul_f64_e32 v[181:182], v[6:7], v[24:25]
	v_mul_f64_e32 v[24:25], v[8:9], v[24:25]
	v_fma_f64 v[185:186], v[4:5], v[18:19], v[185:186]
	v_fma_f64 v[189:190], v[2:3], v[18:19], -v[20:21]
	ds_load_b128 v[2:5], v1 offset:1616
	scratch_load_b128 v[18:21], off, off offset:752
	v_add_f64_e32 v[177:178], v[177:178], v[187:188]
	v_add_f64_e32 v[179:180], v[179:180], v[183:184]
	v_fma_f64 v[181:182], v[8:9], v[22:23], v[181:182]
	v_fma_f64 v[187:188], v[6:7], v[22:23], -v[24:25]
	ds_load_b128 v[6:9], v1 offset:1632
	s_wait_loadcnt_dscnt 0x801
	v_mul_f64_e32 v[183:184], v[2:3], v[28:29]
	v_mul_f64_e32 v[28:29], v[4:5], v[28:29]
	scratch_load_b128 v[22:25], off, off offset:768
	v_add_f64_e32 v[177:178], v[177:178], v[189:190]
	v_add_f64_e32 v[179:180], v[179:180], v[185:186]
	s_wait_loadcnt_dscnt 0x800
	v_mul_f64_e32 v[185:186], v[6:7], v[32:33]
	v_mul_f64_e32 v[32:33], v[8:9], v[32:33]
	v_fma_f64 v[183:184], v[4:5], v[26:27], v[183:184]
	v_fma_f64 v[189:190], v[2:3], v[26:27], -v[28:29]
	ds_load_b128 v[2:5], v1 offset:1648
	scratch_load_b128 v[26:29], off, off offset:784
	v_add_f64_e32 v[177:178], v[177:178], v[187:188]
	v_add_f64_e32 v[179:180], v[179:180], v[181:182]
	v_fma_f64 v[185:186], v[8:9], v[30:31], v[185:186]
	v_fma_f64 v[187:188], v[6:7], v[30:31], -v[32:33]
	ds_load_b128 v[6:9], v1 offset:1664
	s_wait_loadcnt_dscnt 0x801
	v_mul_f64_e32 v[181:182], v[2:3], v[36:37]
	v_mul_f64_e32 v[36:37], v[4:5], v[36:37]
	scratch_load_b128 v[30:33], off, off offset:800
	v_add_f64_e32 v[177:178], v[177:178], v[189:190]
	v_add_f64_e32 v[179:180], v[179:180], v[183:184]
	s_wait_loadcnt_dscnt 0x800
	v_mul_f64_e32 v[183:184], v[6:7], v[175:176]
	v_mul_f64_e32 v[175:176], v[8:9], v[175:176]
	v_fma_f64 v[181:182], v[4:5], v[34:35], v[181:182]
	v_fma_f64 v[189:190], v[2:3], v[34:35], -v[36:37]
	ds_load_b128 v[2:5], v1 offset:1680
	scratch_load_b128 v[34:37], off, off offset:816
	v_add_f64_e32 v[177:178], v[177:178], v[187:188]
	v_add_f64_e32 v[179:180], v[179:180], v[185:186]
	v_fma_f64 v[183:184], v[8:9], v[173:174], v[183:184]
	v_fma_f64 v[187:188], v[6:7], v[173:174], -v[175:176]
	ds_load_b128 v[6:9], v1 offset:1696
	s_wait_loadcnt_dscnt 0x801
	v_mul_f64_e32 v[185:186], v[2:3], v[40:41]
	v_mul_f64_e32 v[40:41], v[4:5], v[40:41]
	scratch_load_b128 v[173:176], off, off offset:832
	v_add_f64_e32 v[177:178], v[177:178], v[189:190]
	v_add_f64_e32 v[179:180], v[179:180], v[181:182]
	s_wait_loadcnt_dscnt 0x800
	v_mul_f64_e32 v[181:182], v[6:7], v[171:172]
	v_mul_f64_e32 v[171:172], v[8:9], v[171:172]
	v_fma_f64 v[185:186], v[4:5], v[38:39], v[185:186]
	v_fma_f64 v[189:190], v[2:3], v[38:39], -v[40:41]
	ds_load_b128 v[2:5], v1 offset:1712
	scratch_load_b128 v[38:41], off, off offset:848
	v_add_f64_e32 v[177:178], v[177:178], v[187:188]
	v_add_f64_e32 v[179:180], v[179:180], v[183:184]
	v_fma_f64 v[181:182], v[8:9], v[169:170], v[181:182]
	v_fma_f64 v[187:188], v[6:7], v[169:170], -v[171:172]
	ds_load_b128 v[6:9], v1 offset:1728
	s_wait_loadcnt_dscnt 0x801
	v_mul_f64_e32 v[183:184], v[2:3], v[12:13]
	v_mul_f64_e32 v[12:13], v[4:5], v[12:13]
	scratch_load_b128 v[169:172], off, off offset:864
	v_add_f64_e32 v[177:178], v[177:178], v[189:190]
	v_add_f64_e32 v[179:180], v[179:180], v[185:186]
	s_wait_loadcnt_dscnt 0x800
	v_mul_f64_e32 v[185:186], v[6:7], v[16:17]
	v_mul_f64_e32 v[16:17], v[8:9], v[16:17]
	v_fma_f64 v[183:184], v[4:5], v[10:11], v[183:184]
	v_fma_f64 v[189:190], v[2:3], v[10:11], -v[12:13]
	ds_load_b128 v[2:5], v1 offset:1744
	scratch_load_b128 v[10:13], off, off offset:880
	v_add_f64_e32 v[177:178], v[177:178], v[187:188]
	v_add_f64_e32 v[179:180], v[179:180], v[181:182]
	v_fma_f64 v[185:186], v[8:9], v[14:15], v[185:186]
	v_fma_f64 v[187:188], v[6:7], v[14:15], -v[16:17]
	ds_load_b128 v[6:9], v1 offset:1760
	s_wait_loadcnt_dscnt 0x801
	v_mul_f64_e32 v[181:182], v[2:3], v[20:21]
	v_mul_f64_e32 v[20:21], v[4:5], v[20:21]
	scratch_load_b128 v[14:17], off, off offset:896
	v_add_f64_e32 v[177:178], v[177:178], v[189:190]
	v_add_f64_e32 v[179:180], v[179:180], v[183:184]
	s_wait_loadcnt_dscnt 0x800
	v_mul_f64_e32 v[183:184], v[6:7], v[24:25]
	v_mul_f64_e32 v[24:25], v[8:9], v[24:25]
	v_fma_f64 v[181:182], v[4:5], v[18:19], v[181:182]
	v_fma_f64 v[189:190], v[2:3], v[18:19], -v[20:21]
	ds_load_b128 v[2:5], v1 offset:1776
	scratch_load_b128 v[18:21], off, off offset:912
	v_add_f64_e32 v[177:178], v[177:178], v[187:188]
	v_add_f64_e32 v[179:180], v[179:180], v[185:186]
	v_fma_f64 v[183:184], v[8:9], v[22:23], v[183:184]
	v_fma_f64 v[187:188], v[6:7], v[22:23], -v[24:25]
	ds_load_b128 v[6:9], v1 offset:1792
	s_wait_loadcnt_dscnt 0x801
	v_mul_f64_e32 v[185:186], v[2:3], v[28:29]
	v_mul_f64_e32 v[28:29], v[4:5], v[28:29]
	scratch_load_b128 v[22:25], off, off offset:928
	v_add_f64_e32 v[177:178], v[177:178], v[189:190]
	v_add_f64_e32 v[179:180], v[179:180], v[181:182]
	s_wait_loadcnt_dscnt 0x800
	v_mul_f64_e32 v[181:182], v[6:7], v[32:33]
	v_mul_f64_e32 v[32:33], v[8:9], v[32:33]
	v_fma_f64 v[185:186], v[4:5], v[26:27], v[185:186]
	v_fma_f64 v[189:190], v[2:3], v[26:27], -v[28:29]
	ds_load_b128 v[2:5], v1 offset:1808
	scratch_load_b128 v[26:29], off, off offset:944
	v_add_f64_e32 v[177:178], v[177:178], v[187:188]
	v_add_f64_e32 v[179:180], v[179:180], v[183:184]
	v_fma_f64 v[181:182], v[8:9], v[30:31], v[181:182]
	v_fma_f64 v[187:188], v[6:7], v[30:31], -v[32:33]
	ds_load_b128 v[6:9], v1 offset:1824
	s_wait_loadcnt_dscnt 0x801
	v_mul_f64_e32 v[183:184], v[2:3], v[36:37]
	v_mul_f64_e32 v[36:37], v[4:5], v[36:37]
	scratch_load_b128 v[30:33], off, off offset:960
	v_add_f64_e32 v[177:178], v[177:178], v[189:190]
	v_add_f64_e32 v[179:180], v[179:180], v[185:186]
	s_wait_loadcnt_dscnt 0x800
	v_mul_f64_e32 v[185:186], v[6:7], v[175:176]
	v_mul_f64_e32 v[175:176], v[8:9], v[175:176]
	v_fma_f64 v[183:184], v[4:5], v[34:35], v[183:184]
	v_fma_f64 v[189:190], v[2:3], v[34:35], -v[36:37]
	ds_load_b128 v[2:5], v1 offset:1840
	scratch_load_b128 v[34:37], off, off offset:976
	v_add_f64_e32 v[177:178], v[177:178], v[187:188]
	v_add_f64_e32 v[179:180], v[179:180], v[181:182]
	v_fma_f64 v[185:186], v[8:9], v[173:174], v[185:186]
	v_fma_f64 v[187:188], v[6:7], v[173:174], -v[175:176]
	ds_load_b128 v[6:9], v1 offset:1856
	s_wait_loadcnt_dscnt 0x801
	v_mul_f64_e32 v[181:182], v[2:3], v[40:41]
	v_mul_f64_e32 v[40:41], v[4:5], v[40:41]
	scratch_load_b128 v[173:176], off, off offset:992
	v_add_f64_e32 v[177:178], v[177:178], v[189:190]
	v_add_f64_e32 v[179:180], v[179:180], v[183:184]
	s_wait_loadcnt_dscnt 0x800
	v_mul_f64_e32 v[183:184], v[6:7], v[171:172]
	v_mul_f64_e32 v[171:172], v[8:9], v[171:172]
	v_fma_f64 v[181:182], v[4:5], v[38:39], v[181:182]
	v_fma_f64 v[189:190], v[2:3], v[38:39], -v[40:41]
	ds_load_b128 v[2:5], v1 offset:1872
	scratch_load_b128 v[38:41], off, off offset:1008
	v_add_f64_e32 v[177:178], v[177:178], v[187:188]
	v_add_f64_e32 v[179:180], v[179:180], v[185:186]
	v_fma_f64 v[183:184], v[8:9], v[169:170], v[183:184]
	v_fma_f64 v[169:170], v[6:7], v[169:170], -v[171:172]
	ds_load_b128 v[6:9], v1 offset:1888
	s_wait_loadcnt_dscnt 0x801
	v_mul_f64_e32 v[185:186], v[2:3], v[12:13]
	v_mul_f64_e32 v[12:13], v[4:5], v[12:13]
	v_add_f64_e32 v[171:172], v[177:178], v[189:190]
	v_add_f64_e32 v[177:178], v[179:180], v[181:182]
	s_wait_loadcnt_dscnt 0x700
	v_mul_f64_e32 v[179:180], v[6:7], v[16:17]
	v_mul_f64_e32 v[16:17], v[8:9], v[16:17]
	v_fma_f64 v[181:182], v[4:5], v[10:11], v[185:186]
	v_fma_f64 v[10:11], v[2:3], v[10:11], -v[12:13]
	ds_load_b128 v[2:5], v1 offset:1904
	v_add_f64_e32 v[12:13], v[171:172], v[169:170]
	v_add_f64_e32 v[169:170], v[177:178], v[183:184]
	v_fma_f64 v[177:178], v[8:9], v[14:15], v[179:180]
	v_fma_f64 v[14:15], v[6:7], v[14:15], -v[16:17]
	ds_load_b128 v[6:9], v1 offset:1920
	s_wait_loadcnt_dscnt 0x500
	v_mul_f64_e32 v[179:180], v[6:7], v[24:25]
	v_mul_f64_e32 v[24:25], v[8:9], v[24:25]
	v_add_f64_e32 v[16:17], v[12:13], v[10:11]
	v_add_f64_e32 v[169:170], v[169:170], v[181:182]
	scratch_load_b128 v[10:13], off, off offset:192
	v_mul_f64_e32 v[171:172], v[2:3], v[20:21]
	v_mul_f64_e32 v[20:21], v[4:5], v[20:21]
	v_add_f64_e32 v[14:15], v[16:17], v[14:15]
	v_add_f64_e32 v[16:17], v[169:170], v[177:178]
	v_fma_f64 v[169:170], v[8:9], v[22:23], v[179:180]
	v_fma_f64 v[171:172], v[4:5], v[18:19], v[171:172]
	v_fma_f64 v[18:19], v[2:3], v[18:19], -v[20:21]
	ds_load_b128 v[2:5], v1 offset:1936
	v_fma_f64 v[22:23], v[6:7], v[22:23], -v[24:25]
	ds_load_b128 v[6:9], v1 offset:1952
	s_wait_loadcnt_dscnt 0x501
	v_mul_f64_e32 v[20:21], v[2:3], v[28:29]
	v_mul_f64_e32 v[28:29], v[4:5], v[28:29]
	s_wait_loadcnt_dscnt 0x400
	v_mul_f64_e32 v[24:25], v[8:9], v[32:33]
	v_add_f64_e32 v[16:17], v[16:17], v[171:172]
	v_add_f64_e32 v[14:15], v[14:15], v[18:19]
	v_mul_f64_e32 v[18:19], v[6:7], v[32:33]
	v_fma_f64 v[20:21], v[4:5], v[26:27], v[20:21]
	v_fma_f64 v[26:27], v[2:3], v[26:27], -v[28:29]
	ds_load_b128 v[2:5], v1 offset:1968
	v_fma_f64 v[24:25], v[6:7], v[30:31], -v[24:25]
	v_add_f64_e32 v[16:17], v[16:17], v[169:170]
	v_add_f64_e32 v[14:15], v[14:15], v[22:23]
	v_fma_f64 v[18:19], v[8:9], v[30:31], v[18:19]
	ds_load_b128 v[6:9], v1 offset:1984
	s_wait_loadcnt_dscnt 0x301
	v_mul_f64_e32 v[22:23], v[2:3], v[36:37]
	v_mul_f64_e32 v[28:29], v[4:5], v[36:37]
	v_add_f64_e32 v[16:17], v[16:17], v[20:21]
	v_add_f64_e32 v[14:15], v[14:15], v[26:27]
	s_wait_loadcnt_dscnt 0x200
	v_mul_f64_e32 v[20:21], v[6:7], v[175:176]
	v_mul_f64_e32 v[26:27], v[8:9], v[175:176]
	v_fma_f64 v[22:23], v[4:5], v[34:35], v[22:23]
	v_fma_f64 v[28:29], v[2:3], v[34:35], -v[28:29]
	ds_load_b128 v[2:5], v1 offset:2000
	v_add_f64_e32 v[16:17], v[16:17], v[18:19]
	v_add_f64_e32 v[14:15], v[14:15], v[24:25]
	s_wait_loadcnt_dscnt 0x100
	v_mul_f64_e32 v[18:19], v[2:3], v[40:41]
	v_mul_f64_e32 v[24:25], v[4:5], v[40:41]
	v_fma_f64 v[8:9], v[8:9], v[173:174], v[20:21]
	v_fma_f64 v[6:7], v[6:7], v[173:174], -v[26:27]
	v_add_f64_e32 v[16:17], v[16:17], v[22:23]
	v_add_f64_e32 v[14:15], v[14:15], v[28:29]
	v_fma_f64 v[4:5], v[4:5], v[38:39], v[18:19]
	v_fma_f64 v[2:3], v[2:3], v[38:39], -v[24:25]
	s_delay_alu instid0(VALU_DEP_4) | instskip(NEXT) | instid1(VALU_DEP_4)
	v_add_f64_e32 v[8:9], v[16:17], v[8:9]
	v_add_f64_e32 v[6:7], v[14:15], v[6:7]
	s_delay_alu instid0(VALU_DEP_2) | instskip(NEXT) | instid1(VALU_DEP_2)
	v_add_f64_e32 v[4:5], v[8:9], v[4:5]
	v_add_f64_e32 v[2:3], v[6:7], v[2:3]
	s_wait_loadcnt 0x0
	s_delay_alu instid0(VALU_DEP_2) | instskip(NEXT) | instid1(VALU_DEP_2)
	v_add_f64_e64 v[4:5], v[12:13], -v[4:5]
	v_add_f64_e64 v[2:3], v[10:11], -v[2:3]
	scratch_store_b128 off, v[2:5], off offset:192
	v_cmpx_lt_u32_e32 10, v0
	s_cbranch_execz .LBB126_383
; %bb.382:
	scratch_load_b128 v[5:8], off, s68
	v_dual_mov_b32 v2, v1 :: v_dual_mov_b32 v3, v1
	v_mov_b32_e32 v4, v1
	scratch_store_b128 off, v[1:4], off offset:176
	s_wait_loadcnt 0x0
	ds_store_b128 v168, v[5:8]
.LBB126_383:
	s_wait_alu 0xfffe
	s_or_b32 exec_lo, exec_lo, s0
	s_wait_storecnt_dscnt 0x0
	s_barrier_signal -1
	s_barrier_wait -1
	global_inv scope:SCOPE_SE
	s_clause 0x7
	scratch_load_b128 v[2:5], off, off offset:192
	scratch_load_b128 v[6:9], off, off offset:208
	;; [unrolled: 1-line block ×8, first 2 shown]
	ds_load_b128 v[38:41], v1 offset:1184
	ds_load_b128 v[169:172], v1 offset:1200
	s_clause 0x1
	scratch_load_b128 v[34:37], off, off offset:320
	scratch_load_b128 v[173:176], off, off offset:336
	s_mov_b32 s0, exec_lo
	s_wait_loadcnt_dscnt 0x901
	v_mul_f64_e32 v[177:178], v[40:41], v[4:5]
	v_mul_f64_e32 v[4:5], v[38:39], v[4:5]
	s_wait_loadcnt_dscnt 0x800
	v_mul_f64_e32 v[179:180], v[169:170], v[8:9]
	v_mul_f64_e32 v[8:9], v[171:172], v[8:9]
	s_delay_alu instid0(VALU_DEP_4) | instskip(NEXT) | instid1(VALU_DEP_4)
	v_fma_f64 v[177:178], v[38:39], v[2:3], -v[177:178]
	v_fma_f64 v[181:182], v[40:41], v[2:3], v[4:5]
	ds_load_b128 v[2:5], v1 offset:1216
	scratch_load_b128 v[38:41], off, off offset:352
	v_fma_f64 v[179:180], v[171:172], v[6:7], v[179:180]
	v_fma_f64 v[185:186], v[169:170], v[6:7], -v[8:9]
	ds_load_b128 v[6:9], v1 offset:1232
	scratch_load_b128 v[169:172], off, off offset:368
	s_wait_loadcnt_dscnt 0x901
	v_mul_f64_e32 v[183:184], v[2:3], v[12:13]
	v_mul_f64_e32 v[12:13], v[4:5], v[12:13]
	s_wait_loadcnt_dscnt 0x800
	v_mul_f64_e32 v[187:188], v[6:7], v[16:17]
	v_mul_f64_e32 v[16:17], v[8:9], v[16:17]
	v_add_f64_e32 v[177:178], 0, v[177:178]
	v_add_f64_e32 v[181:182], 0, v[181:182]
	v_fma_f64 v[183:184], v[4:5], v[10:11], v[183:184]
	v_fma_f64 v[189:190], v[2:3], v[10:11], -v[12:13]
	ds_load_b128 v[2:5], v1 offset:1248
	scratch_load_b128 v[10:13], off, off offset:384
	v_add_f64_e32 v[177:178], v[177:178], v[185:186]
	v_add_f64_e32 v[179:180], v[181:182], v[179:180]
	v_fma_f64 v[185:186], v[8:9], v[14:15], v[187:188]
	v_fma_f64 v[187:188], v[6:7], v[14:15], -v[16:17]
	ds_load_b128 v[6:9], v1 offset:1264
	scratch_load_b128 v[14:17], off, off offset:400
	s_wait_loadcnt_dscnt 0x901
	v_mul_f64_e32 v[181:182], v[2:3], v[20:21]
	v_mul_f64_e32 v[20:21], v[4:5], v[20:21]
	v_add_f64_e32 v[177:178], v[177:178], v[189:190]
	v_add_f64_e32 v[179:180], v[179:180], v[183:184]
	s_wait_loadcnt_dscnt 0x800
	v_mul_f64_e32 v[183:184], v[6:7], v[24:25]
	v_mul_f64_e32 v[24:25], v[8:9], v[24:25]
	v_fma_f64 v[181:182], v[4:5], v[18:19], v[181:182]
	v_fma_f64 v[189:190], v[2:3], v[18:19], -v[20:21]
	ds_load_b128 v[2:5], v1 offset:1280
	scratch_load_b128 v[18:21], off, off offset:416
	v_add_f64_e32 v[177:178], v[177:178], v[187:188]
	v_add_f64_e32 v[179:180], v[179:180], v[185:186]
	v_fma_f64 v[183:184], v[8:9], v[22:23], v[183:184]
	v_fma_f64 v[187:188], v[6:7], v[22:23], -v[24:25]
	ds_load_b128 v[6:9], v1 offset:1296
	s_wait_loadcnt_dscnt 0x801
	v_mul_f64_e32 v[185:186], v[2:3], v[28:29]
	v_mul_f64_e32 v[28:29], v[4:5], v[28:29]
	scratch_load_b128 v[22:25], off, off offset:432
	v_add_f64_e32 v[177:178], v[177:178], v[189:190]
	v_add_f64_e32 v[179:180], v[179:180], v[181:182]
	s_wait_loadcnt_dscnt 0x800
	v_mul_f64_e32 v[181:182], v[6:7], v[32:33]
	v_mul_f64_e32 v[32:33], v[8:9], v[32:33]
	v_fma_f64 v[185:186], v[4:5], v[26:27], v[185:186]
	v_fma_f64 v[189:190], v[2:3], v[26:27], -v[28:29]
	ds_load_b128 v[2:5], v1 offset:1312
	scratch_load_b128 v[26:29], off, off offset:448
	v_add_f64_e32 v[177:178], v[177:178], v[187:188]
	v_add_f64_e32 v[179:180], v[179:180], v[183:184]
	v_fma_f64 v[181:182], v[8:9], v[30:31], v[181:182]
	v_fma_f64 v[187:188], v[6:7], v[30:31], -v[32:33]
	ds_load_b128 v[6:9], v1 offset:1328
	s_wait_loadcnt_dscnt 0x801
	v_mul_f64_e32 v[183:184], v[2:3], v[36:37]
	v_mul_f64_e32 v[36:37], v[4:5], v[36:37]
	scratch_load_b128 v[30:33], off, off offset:464
	v_add_f64_e32 v[177:178], v[177:178], v[189:190]
	v_add_f64_e32 v[179:180], v[179:180], v[185:186]
	s_wait_loadcnt_dscnt 0x800
	v_mul_f64_e32 v[185:186], v[6:7], v[175:176]
	v_mul_f64_e32 v[175:176], v[8:9], v[175:176]
	v_fma_f64 v[183:184], v[4:5], v[34:35], v[183:184]
	v_fma_f64 v[189:190], v[2:3], v[34:35], -v[36:37]
	ds_load_b128 v[2:5], v1 offset:1344
	scratch_load_b128 v[34:37], off, off offset:480
	v_add_f64_e32 v[177:178], v[177:178], v[187:188]
	v_add_f64_e32 v[179:180], v[179:180], v[181:182]
	v_fma_f64 v[185:186], v[8:9], v[173:174], v[185:186]
	v_fma_f64 v[187:188], v[6:7], v[173:174], -v[175:176]
	ds_load_b128 v[6:9], v1 offset:1360
	scratch_load_b128 v[173:176], off, off offset:496
	s_wait_loadcnt_dscnt 0x901
	v_mul_f64_e32 v[181:182], v[2:3], v[40:41]
	v_mul_f64_e32 v[40:41], v[4:5], v[40:41]
	v_add_f64_e32 v[177:178], v[177:178], v[189:190]
	v_add_f64_e32 v[179:180], v[179:180], v[183:184]
	s_wait_loadcnt_dscnt 0x800
	v_mul_f64_e32 v[183:184], v[6:7], v[171:172]
	v_mul_f64_e32 v[171:172], v[8:9], v[171:172]
	v_fma_f64 v[181:182], v[4:5], v[38:39], v[181:182]
	v_fma_f64 v[189:190], v[2:3], v[38:39], -v[40:41]
	ds_load_b128 v[2:5], v1 offset:1376
	scratch_load_b128 v[38:41], off, off offset:512
	v_add_f64_e32 v[177:178], v[177:178], v[187:188]
	v_add_f64_e32 v[179:180], v[179:180], v[185:186]
	v_fma_f64 v[183:184], v[8:9], v[169:170], v[183:184]
	v_fma_f64 v[187:188], v[6:7], v[169:170], -v[171:172]
	ds_load_b128 v[6:9], v1 offset:1392
	s_wait_loadcnt_dscnt 0x801
	v_mul_f64_e32 v[185:186], v[2:3], v[12:13]
	v_mul_f64_e32 v[12:13], v[4:5], v[12:13]
	scratch_load_b128 v[169:172], off, off offset:528
	v_add_f64_e32 v[177:178], v[177:178], v[189:190]
	v_add_f64_e32 v[179:180], v[179:180], v[181:182]
	s_wait_loadcnt_dscnt 0x800
	v_mul_f64_e32 v[181:182], v[6:7], v[16:17]
	v_mul_f64_e32 v[16:17], v[8:9], v[16:17]
	v_fma_f64 v[185:186], v[4:5], v[10:11], v[185:186]
	v_fma_f64 v[189:190], v[2:3], v[10:11], -v[12:13]
	ds_load_b128 v[2:5], v1 offset:1408
	scratch_load_b128 v[10:13], off, off offset:544
	v_add_f64_e32 v[177:178], v[177:178], v[187:188]
	v_add_f64_e32 v[179:180], v[179:180], v[183:184]
	v_fma_f64 v[181:182], v[8:9], v[14:15], v[181:182]
	v_fma_f64 v[187:188], v[6:7], v[14:15], -v[16:17]
	ds_load_b128 v[6:9], v1 offset:1424
	s_wait_loadcnt_dscnt 0x801
	v_mul_f64_e32 v[183:184], v[2:3], v[20:21]
	v_mul_f64_e32 v[20:21], v[4:5], v[20:21]
	scratch_load_b128 v[14:17], off, off offset:560
	;; [unrolled: 18-line block ×16, first 2 shown]
	v_add_f64_e32 v[177:178], v[177:178], v[189:190]
	v_add_f64_e32 v[179:180], v[179:180], v[181:182]
	s_wait_loadcnt_dscnt 0x800
	v_mul_f64_e32 v[181:182], v[6:7], v[16:17]
	v_mul_f64_e32 v[16:17], v[8:9], v[16:17]
	v_fma_f64 v[185:186], v[4:5], v[10:11], v[185:186]
	v_fma_f64 v[10:11], v[2:3], v[10:11], -v[12:13]
	ds_load_b128 v[2:5], v1 offset:1888
	v_add_f64_e32 v[12:13], v[177:178], v[187:188]
	v_add_f64_e32 v[177:178], v[179:180], v[183:184]
	v_fma_f64 v[181:182], v[8:9], v[14:15], v[181:182]
	v_fma_f64 v[14:15], v[6:7], v[14:15], -v[16:17]
	ds_load_b128 v[6:9], v1 offset:1904
	s_wait_loadcnt_dscnt 0x701
	v_mul_f64_e32 v[179:180], v[2:3], v[20:21]
	v_mul_f64_e32 v[20:21], v[4:5], v[20:21]
	v_add_f64_e32 v[10:11], v[12:13], v[10:11]
	v_add_f64_e32 v[12:13], v[177:178], v[185:186]
	s_delay_alu instid0(VALU_DEP_4) | instskip(NEXT) | instid1(VALU_DEP_4)
	v_fma_f64 v[177:178], v[4:5], v[18:19], v[179:180]
	v_fma_f64 v[18:19], v[2:3], v[18:19], -v[20:21]
	ds_load_b128 v[2:5], v1 offset:1920
	v_add_f64_e32 v[14:15], v[10:11], v[14:15]
	v_add_f64_e32 v[20:21], v[12:13], v[181:182]
	scratch_load_b128 v[10:13], off, off offset:176
	s_wait_loadcnt_dscnt 0x701
	v_mul_f64_e32 v[16:17], v[6:7], v[24:25]
	v_mul_f64_e32 v[24:25], v[8:9], v[24:25]
	v_add_f64_e32 v[14:15], v[14:15], v[18:19]
	v_add_f64_e32 v[18:19], v[20:21], v[177:178]
	s_delay_alu instid0(VALU_DEP_4) | instskip(NEXT) | instid1(VALU_DEP_4)
	v_fma_f64 v[16:17], v[8:9], v[22:23], v[16:17]
	v_fma_f64 v[22:23], v[6:7], v[22:23], -v[24:25]
	ds_load_b128 v[6:9], v1 offset:1936
	s_wait_loadcnt_dscnt 0x601
	v_mul_f64_e32 v[179:180], v[2:3], v[28:29]
	v_mul_f64_e32 v[28:29], v[4:5], v[28:29]
	s_wait_loadcnt_dscnt 0x500
	v_mul_f64_e32 v[20:21], v[6:7], v[32:33]
	v_mul_f64_e32 v[24:25], v[8:9], v[32:33]
	v_add_f64_e32 v[16:17], v[18:19], v[16:17]
	v_add_f64_e32 v[14:15], v[14:15], v[22:23]
	v_fma_f64 v[32:33], v[4:5], v[26:27], v[179:180]
	v_fma_f64 v[26:27], v[2:3], v[26:27], -v[28:29]
	ds_load_b128 v[2:5], v1 offset:1952
	v_fma_f64 v[20:21], v[8:9], v[30:31], v[20:21]
	v_fma_f64 v[24:25], v[6:7], v[30:31], -v[24:25]
	ds_load_b128 v[6:9], v1 offset:1968
	s_wait_loadcnt_dscnt 0x401
	v_mul_f64_e32 v[18:19], v[2:3], v[36:37]
	v_mul_f64_e32 v[22:23], v[4:5], v[36:37]
	v_add_f64_e32 v[16:17], v[16:17], v[32:33]
	v_add_f64_e32 v[14:15], v[14:15], v[26:27]
	s_wait_loadcnt_dscnt 0x300
	v_mul_f64_e32 v[26:27], v[6:7], v[175:176]
	v_mul_f64_e32 v[28:29], v[8:9], v[175:176]
	v_fma_f64 v[18:19], v[4:5], v[34:35], v[18:19]
	v_fma_f64 v[22:23], v[2:3], v[34:35], -v[22:23]
	ds_load_b128 v[2:5], v1 offset:1984
	v_add_f64_e32 v[16:17], v[16:17], v[20:21]
	v_add_f64_e32 v[14:15], v[14:15], v[24:25]
	v_fma_f64 v[26:27], v[8:9], v[173:174], v[26:27]
	v_fma_f64 v[28:29], v[6:7], v[173:174], -v[28:29]
	ds_load_b128 v[6:9], v1 offset:2000
	s_wait_loadcnt_dscnt 0x201
	v_mul_f64_e32 v[20:21], v[2:3], v[40:41]
	v_mul_f64_e32 v[24:25], v[4:5], v[40:41]
	v_add_f64_e32 v[16:17], v[16:17], v[18:19]
	v_add_f64_e32 v[14:15], v[14:15], v[22:23]
	s_wait_loadcnt_dscnt 0x100
	v_mul_f64_e32 v[18:19], v[6:7], v[171:172]
	v_mul_f64_e32 v[22:23], v[8:9], v[171:172]
	v_fma_f64 v[4:5], v[4:5], v[38:39], v[20:21]
	v_fma_f64 v[1:2], v[2:3], v[38:39], -v[24:25]
	v_add_f64_e32 v[16:17], v[16:17], v[26:27]
	v_add_f64_e32 v[14:15], v[14:15], v[28:29]
	v_fma_f64 v[8:9], v[8:9], v[169:170], v[18:19]
	v_fma_f64 v[6:7], v[6:7], v[169:170], -v[22:23]
	s_delay_alu instid0(VALU_DEP_4) | instskip(NEXT) | instid1(VALU_DEP_4)
	v_add_f64_e32 v[3:4], v[16:17], v[4:5]
	v_add_f64_e32 v[1:2], v[14:15], v[1:2]
	s_delay_alu instid0(VALU_DEP_2) | instskip(NEXT) | instid1(VALU_DEP_2)
	v_add_f64_e32 v[3:4], v[3:4], v[8:9]
	v_add_f64_e32 v[1:2], v[1:2], v[6:7]
	s_wait_loadcnt 0x0
	s_delay_alu instid0(VALU_DEP_2) | instskip(NEXT) | instid1(VALU_DEP_2)
	v_add_f64_e64 v[3:4], v[12:13], -v[3:4]
	v_add_f64_e64 v[1:2], v[10:11], -v[1:2]
	scratch_store_b128 off, v[1:4], off offset:176
	v_cmpx_lt_u32_e32 9, v0
	s_cbranch_execz .LBB126_385
; %bb.384:
	scratch_load_b128 v[1:4], off, s69
	v_mov_b32_e32 v5, 0
	s_delay_alu instid0(VALU_DEP_1)
	v_dual_mov_b32 v6, v5 :: v_dual_mov_b32 v7, v5
	v_mov_b32_e32 v8, v5
	scratch_store_b128 off, v[5:8], off offset:160
	s_wait_loadcnt 0x0
	ds_store_b128 v168, v[1:4]
.LBB126_385:
	s_wait_alu 0xfffe
	s_or_b32 exec_lo, exec_lo, s0
	s_wait_storecnt_dscnt 0x0
	s_barrier_signal -1
	s_barrier_wait -1
	global_inv scope:SCOPE_SE
	s_clause 0x7
	scratch_load_b128 v[2:5], off, off offset:176
	scratch_load_b128 v[6:9], off, off offset:192
	;; [unrolled: 1-line block ×8, first 2 shown]
	v_mov_b32_e32 v1, 0
	s_clause 0x1
	scratch_load_b128 v[34:37], off, off offset:304
	scratch_load_b128 v[173:176], off, off offset:320
	s_mov_b32 s0, exec_lo
	ds_load_b128 v[38:41], v1 offset:1168
	ds_load_b128 v[169:172], v1 offset:1184
	s_wait_loadcnt_dscnt 0x901
	v_mul_f64_e32 v[177:178], v[40:41], v[4:5]
	v_mul_f64_e32 v[4:5], v[38:39], v[4:5]
	s_wait_loadcnt_dscnt 0x800
	v_mul_f64_e32 v[179:180], v[169:170], v[8:9]
	v_mul_f64_e32 v[8:9], v[171:172], v[8:9]
	s_delay_alu instid0(VALU_DEP_4) | instskip(NEXT) | instid1(VALU_DEP_4)
	v_fma_f64 v[177:178], v[38:39], v[2:3], -v[177:178]
	v_fma_f64 v[181:182], v[40:41], v[2:3], v[4:5]
	ds_load_b128 v[2:5], v1 offset:1200
	scratch_load_b128 v[38:41], off, off offset:336
	v_fma_f64 v[179:180], v[171:172], v[6:7], v[179:180]
	v_fma_f64 v[185:186], v[169:170], v[6:7], -v[8:9]
	ds_load_b128 v[6:9], v1 offset:1216
	scratch_load_b128 v[169:172], off, off offset:352
	s_wait_loadcnt_dscnt 0x901
	v_mul_f64_e32 v[183:184], v[2:3], v[12:13]
	v_mul_f64_e32 v[12:13], v[4:5], v[12:13]
	s_wait_loadcnt_dscnt 0x800
	v_mul_f64_e32 v[187:188], v[6:7], v[16:17]
	v_mul_f64_e32 v[16:17], v[8:9], v[16:17]
	v_add_f64_e32 v[177:178], 0, v[177:178]
	v_add_f64_e32 v[181:182], 0, v[181:182]
	v_fma_f64 v[183:184], v[4:5], v[10:11], v[183:184]
	v_fma_f64 v[189:190], v[2:3], v[10:11], -v[12:13]
	ds_load_b128 v[2:5], v1 offset:1232
	scratch_load_b128 v[10:13], off, off offset:368
	v_add_f64_e32 v[177:178], v[177:178], v[185:186]
	v_add_f64_e32 v[179:180], v[181:182], v[179:180]
	v_fma_f64 v[185:186], v[8:9], v[14:15], v[187:188]
	v_fma_f64 v[187:188], v[6:7], v[14:15], -v[16:17]
	ds_load_b128 v[6:9], v1 offset:1248
	scratch_load_b128 v[14:17], off, off offset:384
	s_wait_loadcnt_dscnt 0x901
	v_mul_f64_e32 v[181:182], v[2:3], v[20:21]
	v_mul_f64_e32 v[20:21], v[4:5], v[20:21]
	v_add_f64_e32 v[177:178], v[177:178], v[189:190]
	v_add_f64_e32 v[179:180], v[179:180], v[183:184]
	s_wait_loadcnt_dscnt 0x800
	v_mul_f64_e32 v[183:184], v[6:7], v[24:25]
	v_mul_f64_e32 v[24:25], v[8:9], v[24:25]
	v_fma_f64 v[181:182], v[4:5], v[18:19], v[181:182]
	v_fma_f64 v[189:190], v[2:3], v[18:19], -v[20:21]
	ds_load_b128 v[2:5], v1 offset:1264
	scratch_load_b128 v[18:21], off, off offset:400
	v_add_f64_e32 v[177:178], v[177:178], v[187:188]
	v_add_f64_e32 v[179:180], v[179:180], v[185:186]
	v_fma_f64 v[183:184], v[8:9], v[22:23], v[183:184]
	v_fma_f64 v[187:188], v[6:7], v[22:23], -v[24:25]
	ds_load_b128 v[6:9], v1 offset:1280
	s_wait_loadcnt_dscnt 0x801
	v_mul_f64_e32 v[185:186], v[2:3], v[28:29]
	v_mul_f64_e32 v[28:29], v[4:5], v[28:29]
	scratch_load_b128 v[22:25], off, off offset:416
	v_add_f64_e32 v[177:178], v[177:178], v[189:190]
	v_add_f64_e32 v[179:180], v[179:180], v[181:182]
	s_wait_loadcnt_dscnt 0x800
	v_mul_f64_e32 v[181:182], v[6:7], v[32:33]
	v_mul_f64_e32 v[32:33], v[8:9], v[32:33]
	v_fma_f64 v[185:186], v[4:5], v[26:27], v[185:186]
	v_fma_f64 v[189:190], v[2:3], v[26:27], -v[28:29]
	ds_load_b128 v[2:5], v1 offset:1296
	scratch_load_b128 v[26:29], off, off offset:432
	v_add_f64_e32 v[177:178], v[177:178], v[187:188]
	v_add_f64_e32 v[179:180], v[179:180], v[183:184]
	v_fma_f64 v[181:182], v[8:9], v[30:31], v[181:182]
	v_fma_f64 v[187:188], v[6:7], v[30:31], -v[32:33]
	ds_load_b128 v[6:9], v1 offset:1312
	s_wait_loadcnt_dscnt 0x801
	v_mul_f64_e32 v[183:184], v[2:3], v[36:37]
	v_mul_f64_e32 v[36:37], v[4:5], v[36:37]
	scratch_load_b128 v[30:33], off, off offset:448
	v_add_f64_e32 v[177:178], v[177:178], v[189:190]
	v_add_f64_e32 v[179:180], v[179:180], v[185:186]
	s_wait_loadcnt_dscnt 0x800
	v_mul_f64_e32 v[185:186], v[6:7], v[175:176]
	v_mul_f64_e32 v[175:176], v[8:9], v[175:176]
	v_fma_f64 v[183:184], v[4:5], v[34:35], v[183:184]
	v_fma_f64 v[189:190], v[2:3], v[34:35], -v[36:37]
	ds_load_b128 v[2:5], v1 offset:1328
	scratch_load_b128 v[34:37], off, off offset:464
	v_add_f64_e32 v[177:178], v[177:178], v[187:188]
	v_add_f64_e32 v[179:180], v[179:180], v[181:182]
	v_fma_f64 v[185:186], v[8:9], v[173:174], v[185:186]
	v_fma_f64 v[187:188], v[6:7], v[173:174], -v[175:176]
	ds_load_b128 v[6:9], v1 offset:1344
	scratch_load_b128 v[173:176], off, off offset:480
	s_wait_loadcnt_dscnt 0x901
	v_mul_f64_e32 v[181:182], v[2:3], v[40:41]
	v_mul_f64_e32 v[40:41], v[4:5], v[40:41]
	v_add_f64_e32 v[177:178], v[177:178], v[189:190]
	v_add_f64_e32 v[179:180], v[179:180], v[183:184]
	s_wait_loadcnt_dscnt 0x800
	v_mul_f64_e32 v[183:184], v[6:7], v[171:172]
	v_mul_f64_e32 v[171:172], v[8:9], v[171:172]
	v_fma_f64 v[181:182], v[4:5], v[38:39], v[181:182]
	v_fma_f64 v[189:190], v[2:3], v[38:39], -v[40:41]
	ds_load_b128 v[2:5], v1 offset:1360
	scratch_load_b128 v[38:41], off, off offset:496
	v_add_f64_e32 v[177:178], v[177:178], v[187:188]
	v_add_f64_e32 v[179:180], v[179:180], v[185:186]
	v_fma_f64 v[183:184], v[8:9], v[169:170], v[183:184]
	v_fma_f64 v[187:188], v[6:7], v[169:170], -v[171:172]
	ds_load_b128 v[6:9], v1 offset:1376
	s_wait_loadcnt_dscnt 0x801
	v_mul_f64_e32 v[185:186], v[2:3], v[12:13]
	v_mul_f64_e32 v[12:13], v[4:5], v[12:13]
	scratch_load_b128 v[169:172], off, off offset:512
	v_add_f64_e32 v[177:178], v[177:178], v[189:190]
	v_add_f64_e32 v[179:180], v[179:180], v[181:182]
	s_wait_loadcnt_dscnt 0x800
	v_mul_f64_e32 v[181:182], v[6:7], v[16:17]
	v_mul_f64_e32 v[16:17], v[8:9], v[16:17]
	v_fma_f64 v[185:186], v[4:5], v[10:11], v[185:186]
	v_fma_f64 v[189:190], v[2:3], v[10:11], -v[12:13]
	ds_load_b128 v[2:5], v1 offset:1392
	scratch_load_b128 v[10:13], off, off offset:528
	v_add_f64_e32 v[177:178], v[177:178], v[187:188]
	v_add_f64_e32 v[179:180], v[179:180], v[183:184]
	v_fma_f64 v[181:182], v[8:9], v[14:15], v[181:182]
	v_fma_f64 v[187:188], v[6:7], v[14:15], -v[16:17]
	ds_load_b128 v[6:9], v1 offset:1408
	s_wait_loadcnt_dscnt 0x801
	v_mul_f64_e32 v[183:184], v[2:3], v[20:21]
	v_mul_f64_e32 v[20:21], v[4:5], v[20:21]
	scratch_load_b128 v[14:17], off, off offset:544
	v_add_f64_e32 v[177:178], v[177:178], v[189:190]
	v_add_f64_e32 v[179:180], v[179:180], v[185:186]
	s_wait_loadcnt_dscnt 0x800
	v_mul_f64_e32 v[185:186], v[6:7], v[24:25]
	v_mul_f64_e32 v[24:25], v[8:9], v[24:25]
	v_fma_f64 v[183:184], v[4:5], v[18:19], v[183:184]
	v_fma_f64 v[189:190], v[2:3], v[18:19], -v[20:21]
	ds_load_b128 v[2:5], v1 offset:1424
	scratch_load_b128 v[18:21], off, off offset:560
	v_add_f64_e32 v[177:178], v[177:178], v[187:188]
	v_add_f64_e32 v[179:180], v[179:180], v[181:182]
	v_fma_f64 v[185:186], v[8:9], v[22:23], v[185:186]
	v_fma_f64 v[187:188], v[6:7], v[22:23], -v[24:25]
	ds_load_b128 v[6:9], v1 offset:1440
	s_wait_loadcnt_dscnt 0x801
	v_mul_f64_e32 v[181:182], v[2:3], v[28:29]
	v_mul_f64_e32 v[28:29], v[4:5], v[28:29]
	scratch_load_b128 v[22:25], off, off offset:576
	v_add_f64_e32 v[177:178], v[177:178], v[189:190]
	v_add_f64_e32 v[179:180], v[179:180], v[183:184]
	s_wait_loadcnt_dscnt 0x800
	v_mul_f64_e32 v[183:184], v[6:7], v[32:33]
	v_mul_f64_e32 v[32:33], v[8:9], v[32:33]
	v_fma_f64 v[181:182], v[4:5], v[26:27], v[181:182]
	v_fma_f64 v[189:190], v[2:3], v[26:27], -v[28:29]
	ds_load_b128 v[2:5], v1 offset:1456
	scratch_load_b128 v[26:29], off, off offset:592
	v_add_f64_e32 v[177:178], v[177:178], v[187:188]
	v_add_f64_e32 v[179:180], v[179:180], v[185:186]
	v_fma_f64 v[183:184], v[8:9], v[30:31], v[183:184]
	v_fma_f64 v[187:188], v[6:7], v[30:31], -v[32:33]
	ds_load_b128 v[6:9], v1 offset:1472
	s_wait_loadcnt_dscnt 0x801
	v_mul_f64_e32 v[185:186], v[2:3], v[36:37]
	v_mul_f64_e32 v[36:37], v[4:5], v[36:37]
	scratch_load_b128 v[30:33], off, off offset:608
	v_add_f64_e32 v[177:178], v[177:178], v[189:190]
	v_add_f64_e32 v[179:180], v[179:180], v[181:182]
	s_wait_loadcnt_dscnt 0x800
	v_mul_f64_e32 v[181:182], v[6:7], v[175:176]
	v_mul_f64_e32 v[175:176], v[8:9], v[175:176]
	v_fma_f64 v[185:186], v[4:5], v[34:35], v[185:186]
	v_fma_f64 v[189:190], v[2:3], v[34:35], -v[36:37]
	ds_load_b128 v[2:5], v1 offset:1488
	scratch_load_b128 v[34:37], off, off offset:624
	v_add_f64_e32 v[177:178], v[177:178], v[187:188]
	v_add_f64_e32 v[179:180], v[179:180], v[183:184]
	v_fma_f64 v[181:182], v[8:9], v[173:174], v[181:182]
	v_fma_f64 v[187:188], v[6:7], v[173:174], -v[175:176]
	ds_load_b128 v[6:9], v1 offset:1504
	s_wait_loadcnt_dscnt 0x801
	v_mul_f64_e32 v[183:184], v[2:3], v[40:41]
	v_mul_f64_e32 v[40:41], v[4:5], v[40:41]
	scratch_load_b128 v[173:176], off, off offset:640
	v_add_f64_e32 v[177:178], v[177:178], v[189:190]
	v_add_f64_e32 v[179:180], v[179:180], v[185:186]
	s_wait_loadcnt_dscnt 0x800
	v_mul_f64_e32 v[185:186], v[6:7], v[171:172]
	v_mul_f64_e32 v[171:172], v[8:9], v[171:172]
	v_fma_f64 v[183:184], v[4:5], v[38:39], v[183:184]
	v_fma_f64 v[189:190], v[2:3], v[38:39], -v[40:41]
	ds_load_b128 v[2:5], v1 offset:1520
	scratch_load_b128 v[38:41], off, off offset:656
	v_add_f64_e32 v[177:178], v[177:178], v[187:188]
	v_add_f64_e32 v[179:180], v[179:180], v[181:182]
	v_fma_f64 v[185:186], v[8:9], v[169:170], v[185:186]
	v_fma_f64 v[187:188], v[6:7], v[169:170], -v[171:172]
	ds_load_b128 v[6:9], v1 offset:1536
	s_wait_loadcnt_dscnt 0x801
	v_mul_f64_e32 v[181:182], v[2:3], v[12:13]
	v_mul_f64_e32 v[12:13], v[4:5], v[12:13]
	scratch_load_b128 v[169:172], off, off offset:672
	v_add_f64_e32 v[177:178], v[177:178], v[189:190]
	v_add_f64_e32 v[179:180], v[179:180], v[183:184]
	s_wait_loadcnt_dscnt 0x800
	v_mul_f64_e32 v[183:184], v[6:7], v[16:17]
	v_mul_f64_e32 v[16:17], v[8:9], v[16:17]
	v_fma_f64 v[181:182], v[4:5], v[10:11], v[181:182]
	v_fma_f64 v[189:190], v[2:3], v[10:11], -v[12:13]
	ds_load_b128 v[2:5], v1 offset:1552
	scratch_load_b128 v[10:13], off, off offset:688
	v_add_f64_e32 v[177:178], v[177:178], v[187:188]
	v_add_f64_e32 v[179:180], v[179:180], v[185:186]
	v_fma_f64 v[183:184], v[8:9], v[14:15], v[183:184]
	v_fma_f64 v[187:188], v[6:7], v[14:15], -v[16:17]
	ds_load_b128 v[6:9], v1 offset:1568
	s_wait_loadcnt_dscnt 0x801
	v_mul_f64_e32 v[185:186], v[2:3], v[20:21]
	v_mul_f64_e32 v[20:21], v[4:5], v[20:21]
	scratch_load_b128 v[14:17], off, off offset:704
	v_add_f64_e32 v[177:178], v[177:178], v[189:190]
	v_add_f64_e32 v[179:180], v[179:180], v[181:182]
	s_wait_loadcnt_dscnt 0x800
	v_mul_f64_e32 v[181:182], v[6:7], v[24:25]
	v_mul_f64_e32 v[24:25], v[8:9], v[24:25]
	v_fma_f64 v[185:186], v[4:5], v[18:19], v[185:186]
	v_fma_f64 v[189:190], v[2:3], v[18:19], -v[20:21]
	ds_load_b128 v[2:5], v1 offset:1584
	scratch_load_b128 v[18:21], off, off offset:720
	v_add_f64_e32 v[177:178], v[177:178], v[187:188]
	v_add_f64_e32 v[179:180], v[179:180], v[183:184]
	v_fma_f64 v[181:182], v[8:9], v[22:23], v[181:182]
	v_fma_f64 v[187:188], v[6:7], v[22:23], -v[24:25]
	ds_load_b128 v[6:9], v1 offset:1600
	s_wait_loadcnt_dscnt 0x801
	v_mul_f64_e32 v[183:184], v[2:3], v[28:29]
	v_mul_f64_e32 v[28:29], v[4:5], v[28:29]
	scratch_load_b128 v[22:25], off, off offset:736
	v_add_f64_e32 v[177:178], v[177:178], v[189:190]
	v_add_f64_e32 v[179:180], v[179:180], v[185:186]
	s_wait_loadcnt_dscnt 0x800
	v_mul_f64_e32 v[185:186], v[6:7], v[32:33]
	v_mul_f64_e32 v[32:33], v[8:9], v[32:33]
	v_fma_f64 v[183:184], v[4:5], v[26:27], v[183:184]
	v_fma_f64 v[189:190], v[2:3], v[26:27], -v[28:29]
	ds_load_b128 v[2:5], v1 offset:1616
	scratch_load_b128 v[26:29], off, off offset:752
	v_add_f64_e32 v[177:178], v[177:178], v[187:188]
	v_add_f64_e32 v[179:180], v[179:180], v[181:182]
	v_fma_f64 v[185:186], v[8:9], v[30:31], v[185:186]
	v_fma_f64 v[187:188], v[6:7], v[30:31], -v[32:33]
	ds_load_b128 v[6:9], v1 offset:1632
	s_wait_loadcnt_dscnt 0x801
	v_mul_f64_e32 v[181:182], v[2:3], v[36:37]
	v_mul_f64_e32 v[36:37], v[4:5], v[36:37]
	scratch_load_b128 v[30:33], off, off offset:768
	v_add_f64_e32 v[177:178], v[177:178], v[189:190]
	v_add_f64_e32 v[179:180], v[179:180], v[183:184]
	s_wait_loadcnt_dscnt 0x800
	v_mul_f64_e32 v[183:184], v[6:7], v[175:176]
	v_mul_f64_e32 v[175:176], v[8:9], v[175:176]
	v_fma_f64 v[181:182], v[4:5], v[34:35], v[181:182]
	v_fma_f64 v[189:190], v[2:3], v[34:35], -v[36:37]
	ds_load_b128 v[2:5], v1 offset:1648
	scratch_load_b128 v[34:37], off, off offset:784
	v_add_f64_e32 v[177:178], v[177:178], v[187:188]
	v_add_f64_e32 v[179:180], v[179:180], v[185:186]
	v_fma_f64 v[183:184], v[8:9], v[173:174], v[183:184]
	v_fma_f64 v[187:188], v[6:7], v[173:174], -v[175:176]
	ds_load_b128 v[6:9], v1 offset:1664
	s_wait_loadcnt_dscnt 0x801
	v_mul_f64_e32 v[185:186], v[2:3], v[40:41]
	v_mul_f64_e32 v[40:41], v[4:5], v[40:41]
	scratch_load_b128 v[173:176], off, off offset:800
	v_add_f64_e32 v[177:178], v[177:178], v[189:190]
	v_add_f64_e32 v[179:180], v[179:180], v[181:182]
	s_wait_loadcnt_dscnt 0x800
	v_mul_f64_e32 v[181:182], v[6:7], v[171:172]
	v_mul_f64_e32 v[171:172], v[8:9], v[171:172]
	v_fma_f64 v[185:186], v[4:5], v[38:39], v[185:186]
	v_fma_f64 v[189:190], v[2:3], v[38:39], -v[40:41]
	ds_load_b128 v[2:5], v1 offset:1680
	scratch_load_b128 v[38:41], off, off offset:816
	v_add_f64_e32 v[177:178], v[177:178], v[187:188]
	v_add_f64_e32 v[179:180], v[179:180], v[183:184]
	v_fma_f64 v[181:182], v[8:9], v[169:170], v[181:182]
	v_fma_f64 v[187:188], v[6:7], v[169:170], -v[171:172]
	ds_load_b128 v[6:9], v1 offset:1696
	s_wait_loadcnt_dscnt 0x801
	v_mul_f64_e32 v[183:184], v[2:3], v[12:13]
	v_mul_f64_e32 v[12:13], v[4:5], v[12:13]
	scratch_load_b128 v[169:172], off, off offset:832
	v_add_f64_e32 v[177:178], v[177:178], v[189:190]
	v_add_f64_e32 v[179:180], v[179:180], v[185:186]
	s_wait_loadcnt_dscnt 0x800
	v_mul_f64_e32 v[185:186], v[6:7], v[16:17]
	v_mul_f64_e32 v[16:17], v[8:9], v[16:17]
	v_fma_f64 v[183:184], v[4:5], v[10:11], v[183:184]
	v_fma_f64 v[189:190], v[2:3], v[10:11], -v[12:13]
	ds_load_b128 v[2:5], v1 offset:1712
	scratch_load_b128 v[10:13], off, off offset:848
	v_add_f64_e32 v[177:178], v[177:178], v[187:188]
	v_add_f64_e32 v[179:180], v[179:180], v[181:182]
	v_fma_f64 v[185:186], v[8:9], v[14:15], v[185:186]
	v_fma_f64 v[187:188], v[6:7], v[14:15], -v[16:17]
	ds_load_b128 v[6:9], v1 offset:1728
	s_wait_loadcnt_dscnt 0x801
	v_mul_f64_e32 v[181:182], v[2:3], v[20:21]
	v_mul_f64_e32 v[20:21], v[4:5], v[20:21]
	scratch_load_b128 v[14:17], off, off offset:864
	v_add_f64_e32 v[177:178], v[177:178], v[189:190]
	v_add_f64_e32 v[179:180], v[179:180], v[183:184]
	s_wait_loadcnt_dscnt 0x800
	v_mul_f64_e32 v[183:184], v[6:7], v[24:25]
	v_mul_f64_e32 v[24:25], v[8:9], v[24:25]
	v_fma_f64 v[181:182], v[4:5], v[18:19], v[181:182]
	v_fma_f64 v[189:190], v[2:3], v[18:19], -v[20:21]
	ds_load_b128 v[2:5], v1 offset:1744
	scratch_load_b128 v[18:21], off, off offset:880
	v_add_f64_e32 v[177:178], v[177:178], v[187:188]
	v_add_f64_e32 v[179:180], v[179:180], v[185:186]
	v_fma_f64 v[183:184], v[8:9], v[22:23], v[183:184]
	v_fma_f64 v[187:188], v[6:7], v[22:23], -v[24:25]
	ds_load_b128 v[6:9], v1 offset:1760
	s_wait_loadcnt_dscnt 0x801
	v_mul_f64_e32 v[185:186], v[2:3], v[28:29]
	v_mul_f64_e32 v[28:29], v[4:5], v[28:29]
	scratch_load_b128 v[22:25], off, off offset:896
	v_add_f64_e32 v[177:178], v[177:178], v[189:190]
	v_add_f64_e32 v[179:180], v[179:180], v[181:182]
	s_wait_loadcnt_dscnt 0x800
	v_mul_f64_e32 v[181:182], v[6:7], v[32:33]
	v_mul_f64_e32 v[32:33], v[8:9], v[32:33]
	v_fma_f64 v[185:186], v[4:5], v[26:27], v[185:186]
	v_fma_f64 v[189:190], v[2:3], v[26:27], -v[28:29]
	ds_load_b128 v[2:5], v1 offset:1776
	scratch_load_b128 v[26:29], off, off offset:912
	v_add_f64_e32 v[177:178], v[177:178], v[187:188]
	v_add_f64_e32 v[179:180], v[179:180], v[183:184]
	v_fma_f64 v[181:182], v[8:9], v[30:31], v[181:182]
	v_fma_f64 v[187:188], v[6:7], v[30:31], -v[32:33]
	ds_load_b128 v[6:9], v1 offset:1792
	s_wait_loadcnt_dscnt 0x801
	v_mul_f64_e32 v[183:184], v[2:3], v[36:37]
	v_mul_f64_e32 v[36:37], v[4:5], v[36:37]
	scratch_load_b128 v[30:33], off, off offset:928
	v_add_f64_e32 v[177:178], v[177:178], v[189:190]
	v_add_f64_e32 v[179:180], v[179:180], v[185:186]
	s_wait_loadcnt_dscnt 0x800
	v_mul_f64_e32 v[185:186], v[6:7], v[175:176]
	v_mul_f64_e32 v[175:176], v[8:9], v[175:176]
	v_fma_f64 v[183:184], v[4:5], v[34:35], v[183:184]
	v_fma_f64 v[189:190], v[2:3], v[34:35], -v[36:37]
	ds_load_b128 v[2:5], v1 offset:1808
	scratch_load_b128 v[34:37], off, off offset:944
	v_add_f64_e32 v[177:178], v[177:178], v[187:188]
	v_add_f64_e32 v[179:180], v[179:180], v[181:182]
	v_fma_f64 v[185:186], v[8:9], v[173:174], v[185:186]
	v_fma_f64 v[187:188], v[6:7], v[173:174], -v[175:176]
	ds_load_b128 v[6:9], v1 offset:1824
	s_wait_loadcnt_dscnt 0x801
	v_mul_f64_e32 v[181:182], v[2:3], v[40:41]
	v_mul_f64_e32 v[40:41], v[4:5], v[40:41]
	scratch_load_b128 v[173:176], off, off offset:960
	v_add_f64_e32 v[177:178], v[177:178], v[189:190]
	v_add_f64_e32 v[179:180], v[179:180], v[183:184]
	s_wait_loadcnt_dscnt 0x800
	v_mul_f64_e32 v[183:184], v[6:7], v[171:172]
	v_mul_f64_e32 v[171:172], v[8:9], v[171:172]
	v_fma_f64 v[181:182], v[4:5], v[38:39], v[181:182]
	v_fma_f64 v[189:190], v[2:3], v[38:39], -v[40:41]
	ds_load_b128 v[2:5], v1 offset:1840
	scratch_load_b128 v[38:41], off, off offset:976
	v_add_f64_e32 v[177:178], v[177:178], v[187:188]
	v_add_f64_e32 v[179:180], v[179:180], v[185:186]
	v_fma_f64 v[183:184], v[8:9], v[169:170], v[183:184]
	v_fma_f64 v[187:188], v[6:7], v[169:170], -v[171:172]
	ds_load_b128 v[6:9], v1 offset:1856
	s_wait_loadcnt_dscnt 0x801
	v_mul_f64_e32 v[185:186], v[2:3], v[12:13]
	v_mul_f64_e32 v[12:13], v[4:5], v[12:13]
	scratch_load_b128 v[169:172], off, off offset:992
	v_add_f64_e32 v[177:178], v[177:178], v[189:190]
	v_add_f64_e32 v[179:180], v[179:180], v[181:182]
	s_wait_loadcnt_dscnt 0x800
	v_mul_f64_e32 v[181:182], v[6:7], v[16:17]
	v_mul_f64_e32 v[16:17], v[8:9], v[16:17]
	v_fma_f64 v[185:186], v[4:5], v[10:11], v[185:186]
	v_fma_f64 v[189:190], v[2:3], v[10:11], -v[12:13]
	ds_load_b128 v[2:5], v1 offset:1872
	scratch_load_b128 v[10:13], off, off offset:1008
	v_add_f64_e32 v[177:178], v[177:178], v[187:188]
	v_add_f64_e32 v[179:180], v[179:180], v[183:184]
	v_fma_f64 v[181:182], v[8:9], v[14:15], v[181:182]
	v_fma_f64 v[14:15], v[6:7], v[14:15], -v[16:17]
	ds_load_b128 v[6:9], v1 offset:1888
	s_wait_loadcnt_dscnt 0x801
	v_mul_f64_e32 v[183:184], v[2:3], v[20:21]
	v_mul_f64_e32 v[20:21], v[4:5], v[20:21]
	v_add_f64_e32 v[16:17], v[177:178], v[189:190]
	v_add_f64_e32 v[177:178], v[179:180], v[185:186]
	s_wait_loadcnt_dscnt 0x700
	v_mul_f64_e32 v[179:180], v[6:7], v[24:25]
	v_mul_f64_e32 v[24:25], v[8:9], v[24:25]
	v_fma_f64 v[183:184], v[4:5], v[18:19], v[183:184]
	v_fma_f64 v[18:19], v[2:3], v[18:19], -v[20:21]
	ds_load_b128 v[2:5], v1 offset:1904
	v_add_f64_e32 v[14:15], v[16:17], v[14:15]
	v_add_f64_e32 v[16:17], v[177:178], v[181:182]
	v_fma_f64 v[177:178], v[8:9], v[22:23], v[179:180]
	v_fma_f64 v[22:23], v[6:7], v[22:23], -v[24:25]
	ds_load_b128 v[6:9], v1 offset:1920
	s_wait_loadcnt_dscnt 0x500
	v_mul_f64_e32 v[179:180], v[6:7], v[32:33]
	v_mul_f64_e32 v[32:33], v[8:9], v[32:33]
	v_add_f64_e32 v[18:19], v[14:15], v[18:19]
	v_add_f64_e32 v[24:25], v[16:17], v[183:184]
	scratch_load_b128 v[14:17], off, off offset:160
	v_mul_f64_e32 v[20:21], v[2:3], v[28:29]
	v_mul_f64_e32 v[28:29], v[4:5], v[28:29]
	v_add_f64_e32 v[18:19], v[18:19], v[22:23]
	v_add_f64_e32 v[22:23], v[24:25], v[177:178]
	s_delay_alu instid0(VALU_DEP_4) | instskip(NEXT) | instid1(VALU_DEP_4)
	v_fma_f64 v[20:21], v[4:5], v[26:27], v[20:21]
	v_fma_f64 v[26:27], v[2:3], v[26:27], -v[28:29]
	ds_load_b128 v[2:5], v1 offset:1936
	s_wait_loadcnt_dscnt 0x500
	v_mul_f64_e32 v[24:25], v[2:3], v[36:37]
	v_mul_f64_e32 v[28:29], v[4:5], v[36:37]
	v_fma_f64 v[36:37], v[8:9], v[30:31], v[179:180]
	v_fma_f64 v[30:31], v[6:7], v[30:31], -v[32:33]
	ds_load_b128 v[6:9], v1 offset:1952
	v_add_f64_e32 v[20:21], v[22:23], v[20:21]
	v_add_f64_e32 v[18:19], v[18:19], v[26:27]
	v_fma_f64 v[24:25], v[4:5], v[34:35], v[24:25]
	v_fma_f64 v[28:29], v[2:3], v[34:35], -v[28:29]
	ds_load_b128 v[2:5], v1 offset:1968
	s_wait_loadcnt_dscnt 0x401
	v_mul_f64_e32 v[22:23], v[6:7], v[175:176]
	v_mul_f64_e32 v[26:27], v[8:9], v[175:176]
	v_add_f64_e32 v[20:21], v[20:21], v[36:37]
	v_add_f64_e32 v[18:19], v[18:19], v[30:31]
	s_wait_loadcnt_dscnt 0x300
	v_mul_f64_e32 v[30:31], v[2:3], v[40:41]
	v_mul_f64_e32 v[32:33], v[4:5], v[40:41]
	v_fma_f64 v[22:23], v[8:9], v[173:174], v[22:23]
	v_fma_f64 v[26:27], v[6:7], v[173:174], -v[26:27]
	ds_load_b128 v[6:9], v1 offset:1984
	v_add_f64_e32 v[20:21], v[20:21], v[24:25]
	v_add_f64_e32 v[18:19], v[18:19], v[28:29]
	v_fma_f64 v[30:31], v[4:5], v[38:39], v[30:31]
	v_fma_f64 v[32:33], v[2:3], v[38:39], -v[32:33]
	ds_load_b128 v[2:5], v1 offset:2000
	s_wait_loadcnt_dscnt 0x201
	v_mul_f64_e32 v[24:25], v[6:7], v[171:172]
	v_mul_f64_e32 v[28:29], v[8:9], v[171:172]
	v_add_f64_e32 v[20:21], v[20:21], v[22:23]
	v_add_f64_e32 v[18:19], v[18:19], v[26:27]
	s_wait_loadcnt_dscnt 0x100
	v_mul_f64_e32 v[22:23], v[2:3], v[12:13]
	v_mul_f64_e32 v[12:13], v[4:5], v[12:13]
	v_fma_f64 v[8:9], v[8:9], v[169:170], v[24:25]
	v_fma_f64 v[6:7], v[6:7], v[169:170], -v[28:29]
	v_add_f64_e32 v[20:21], v[20:21], v[30:31]
	v_add_f64_e32 v[18:19], v[18:19], v[32:33]
	v_fma_f64 v[4:5], v[4:5], v[10:11], v[22:23]
	v_fma_f64 v[2:3], v[2:3], v[10:11], -v[12:13]
	s_delay_alu instid0(VALU_DEP_4) | instskip(NEXT) | instid1(VALU_DEP_4)
	v_add_f64_e32 v[8:9], v[20:21], v[8:9]
	v_add_f64_e32 v[6:7], v[18:19], v[6:7]
	s_delay_alu instid0(VALU_DEP_2) | instskip(NEXT) | instid1(VALU_DEP_2)
	v_add_f64_e32 v[4:5], v[8:9], v[4:5]
	v_add_f64_e32 v[2:3], v[6:7], v[2:3]
	s_wait_loadcnt 0x0
	s_delay_alu instid0(VALU_DEP_2) | instskip(NEXT) | instid1(VALU_DEP_2)
	v_add_f64_e64 v[4:5], v[16:17], -v[4:5]
	v_add_f64_e64 v[2:3], v[14:15], -v[2:3]
	scratch_store_b128 off, v[2:5], off offset:160
	v_cmpx_lt_u32_e32 8, v0
	s_cbranch_execz .LBB126_387
; %bb.386:
	scratch_load_b128 v[5:8], off, s70
	v_dual_mov_b32 v2, v1 :: v_dual_mov_b32 v3, v1
	v_mov_b32_e32 v4, v1
	scratch_store_b128 off, v[1:4], off offset:144
	s_wait_loadcnt 0x0
	ds_store_b128 v168, v[5:8]
.LBB126_387:
	s_wait_alu 0xfffe
	s_or_b32 exec_lo, exec_lo, s0
	s_wait_storecnt_dscnt 0x0
	s_barrier_signal -1
	s_barrier_wait -1
	global_inv scope:SCOPE_SE
	s_clause 0x7
	scratch_load_b128 v[2:5], off, off offset:160
	scratch_load_b128 v[6:9], off, off offset:176
	;; [unrolled: 1-line block ×8, first 2 shown]
	ds_load_b128 v[38:41], v1 offset:1152
	ds_load_b128 v[169:172], v1 offset:1168
	s_clause 0x1
	scratch_load_b128 v[34:37], off, off offset:288
	scratch_load_b128 v[173:176], off, off offset:304
	s_mov_b32 s0, exec_lo
	s_wait_loadcnt_dscnt 0x901
	v_mul_f64_e32 v[177:178], v[40:41], v[4:5]
	v_mul_f64_e32 v[4:5], v[38:39], v[4:5]
	s_wait_loadcnt_dscnt 0x800
	v_mul_f64_e32 v[179:180], v[169:170], v[8:9]
	v_mul_f64_e32 v[8:9], v[171:172], v[8:9]
	s_delay_alu instid0(VALU_DEP_4) | instskip(NEXT) | instid1(VALU_DEP_4)
	v_fma_f64 v[177:178], v[38:39], v[2:3], -v[177:178]
	v_fma_f64 v[181:182], v[40:41], v[2:3], v[4:5]
	ds_load_b128 v[2:5], v1 offset:1184
	scratch_load_b128 v[38:41], off, off offset:320
	v_fma_f64 v[179:180], v[171:172], v[6:7], v[179:180]
	v_fma_f64 v[185:186], v[169:170], v[6:7], -v[8:9]
	ds_load_b128 v[6:9], v1 offset:1200
	scratch_load_b128 v[169:172], off, off offset:336
	s_wait_loadcnt_dscnt 0x901
	v_mul_f64_e32 v[183:184], v[2:3], v[12:13]
	v_mul_f64_e32 v[12:13], v[4:5], v[12:13]
	s_wait_loadcnt_dscnt 0x800
	v_mul_f64_e32 v[187:188], v[6:7], v[16:17]
	v_mul_f64_e32 v[16:17], v[8:9], v[16:17]
	v_add_f64_e32 v[177:178], 0, v[177:178]
	v_add_f64_e32 v[181:182], 0, v[181:182]
	v_fma_f64 v[183:184], v[4:5], v[10:11], v[183:184]
	v_fma_f64 v[189:190], v[2:3], v[10:11], -v[12:13]
	ds_load_b128 v[2:5], v1 offset:1216
	scratch_load_b128 v[10:13], off, off offset:352
	v_add_f64_e32 v[177:178], v[177:178], v[185:186]
	v_add_f64_e32 v[179:180], v[181:182], v[179:180]
	v_fma_f64 v[185:186], v[8:9], v[14:15], v[187:188]
	v_fma_f64 v[187:188], v[6:7], v[14:15], -v[16:17]
	ds_load_b128 v[6:9], v1 offset:1232
	scratch_load_b128 v[14:17], off, off offset:368
	s_wait_loadcnt_dscnt 0x901
	v_mul_f64_e32 v[181:182], v[2:3], v[20:21]
	v_mul_f64_e32 v[20:21], v[4:5], v[20:21]
	v_add_f64_e32 v[177:178], v[177:178], v[189:190]
	v_add_f64_e32 v[179:180], v[179:180], v[183:184]
	s_wait_loadcnt_dscnt 0x800
	v_mul_f64_e32 v[183:184], v[6:7], v[24:25]
	v_mul_f64_e32 v[24:25], v[8:9], v[24:25]
	v_fma_f64 v[181:182], v[4:5], v[18:19], v[181:182]
	v_fma_f64 v[189:190], v[2:3], v[18:19], -v[20:21]
	ds_load_b128 v[2:5], v1 offset:1248
	scratch_load_b128 v[18:21], off, off offset:384
	v_add_f64_e32 v[177:178], v[177:178], v[187:188]
	v_add_f64_e32 v[179:180], v[179:180], v[185:186]
	v_fma_f64 v[183:184], v[8:9], v[22:23], v[183:184]
	v_fma_f64 v[187:188], v[6:7], v[22:23], -v[24:25]
	ds_load_b128 v[6:9], v1 offset:1264
	s_wait_loadcnt_dscnt 0x801
	v_mul_f64_e32 v[185:186], v[2:3], v[28:29]
	v_mul_f64_e32 v[28:29], v[4:5], v[28:29]
	scratch_load_b128 v[22:25], off, off offset:400
	v_add_f64_e32 v[177:178], v[177:178], v[189:190]
	v_add_f64_e32 v[179:180], v[179:180], v[181:182]
	s_wait_loadcnt_dscnt 0x800
	v_mul_f64_e32 v[181:182], v[6:7], v[32:33]
	v_mul_f64_e32 v[32:33], v[8:9], v[32:33]
	v_fma_f64 v[185:186], v[4:5], v[26:27], v[185:186]
	v_fma_f64 v[189:190], v[2:3], v[26:27], -v[28:29]
	ds_load_b128 v[2:5], v1 offset:1280
	scratch_load_b128 v[26:29], off, off offset:416
	v_add_f64_e32 v[177:178], v[177:178], v[187:188]
	v_add_f64_e32 v[179:180], v[179:180], v[183:184]
	v_fma_f64 v[181:182], v[8:9], v[30:31], v[181:182]
	v_fma_f64 v[187:188], v[6:7], v[30:31], -v[32:33]
	ds_load_b128 v[6:9], v1 offset:1296
	s_wait_loadcnt_dscnt 0x801
	v_mul_f64_e32 v[183:184], v[2:3], v[36:37]
	v_mul_f64_e32 v[36:37], v[4:5], v[36:37]
	scratch_load_b128 v[30:33], off, off offset:432
	v_add_f64_e32 v[177:178], v[177:178], v[189:190]
	v_add_f64_e32 v[179:180], v[179:180], v[185:186]
	s_wait_loadcnt_dscnt 0x800
	v_mul_f64_e32 v[185:186], v[6:7], v[175:176]
	v_mul_f64_e32 v[175:176], v[8:9], v[175:176]
	v_fma_f64 v[183:184], v[4:5], v[34:35], v[183:184]
	v_fma_f64 v[189:190], v[2:3], v[34:35], -v[36:37]
	ds_load_b128 v[2:5], v1 offset:1312
	scratch_load_b128 v[34:37], off, off offset:448
	v_add_f64_e32 v[177:178], v[177:178], v[187:188]
	v_add_f64_e32 v[179:180], v[179:180], v[181:182]
	v_fma_f64 v[185:186], v[8:9], v[173:174], v[185:186]
	v_fma_f64 v[187:188], v[6:7], v[173:174], -v[175:176]
	ds_load_b128 v[6:9], v1 offset:1328
	scratch_load_b128 v[173:176], off, off offset:464
	s_wait_loadcnt_dscnt 0x901
	v_mul_f64_e32 v[181:182], v[2:3], v[40:41]
	v_mul_f64_e32 v[40:41], v[4:5], v[40:41]
	v_add_f64_e32 v[177:178], v[177:178], v[189:190]
	v_add_f64_e32 v[179:180], v[179:180], v[183:184]
	s_wait_loadcnt_dscnt 0x800
	v_mul_f64_e32 v[183:184], v[6:7], v[171:172]
	v_mul_f64_e32 v[171:172], v[8:9], v[171:172]
	v_fma_f64 v[181:182], v[4:5], v[38:39], v[181:182]
	v_fma_f64 v[189:190], v[2:3], v[38:39], -v[40:41]
	ds_load_b128 v[2:5], v1 offset:1344
	scratch_load_b128 v[38:41], off, off offset:480
	v_add_f64_e32 v[177:178], v[177:178], v[187:188]
	v_add_f64_e32 v[179:180], v[179:180], v[185:186]
	v_fma_f64 v[183:184], v[8:9], v[169:170], v[183:184]
	v_fma_f64 v[187:188], v[6:7], v[169:170], -v[171:172]
	ds_load_b128 v[6:9], v1 offset:1360
	s_wait_loadcnt_dscnt 0x801
	v_mul_f64_e32 v[185:186], v[2:3], v[12:13]
	v_mul_f64_e32 v[12:13], v[4:5], v[12:13]
	scratch_load_b128 v[169:172], off, off offset:496
	v_add_f64_e32 v[177:178], v[177:178], v[189:190]
	v_add_f64_e32 v[179:180], v[179:180], v[181:182]
	s_wait_loadcnt_dscnt 0x800
	v_mul_f64_e32 v[181:182], v[6:7], v[16:17]
	v_mul_f64_e32 v[16:17], v[8:9], v[16:17]
	v_fma_f64 v[185:186], v[4:5], v[10:11], v[185:186]
	v_fma_f64 v[189:190], v[2:3], v[10:11], -v[12:13]
	ds_load_b128 v[2:5], v1 offset:1376
	scratch_load_b128 v[10:13], off, off offset:512
	v_add_f64_e32 v[177:178], v[177:178], v[187:188]
	v_add_f64_e32 v[179:180], v[179:180], v[183:184]
	v_fma_f64 v[181:182], v[8:9], v[14:15], v[181:182]
	v_fma_f64 v[187:188], v[6:7], v[14:15], -v[16:17]
	ds_load_b128 v[6:9], v1 offset:1392
	s_wait_loadcnt_dscnt 0x801
	v_mul_f64_e32 v[183:184], v[2:3], v[20:21]
	v_mul_f64_e32 v[20:21], v[4:5], v[20:21]
	scratch_load_b128 v[14:17], off, off offset:528
	;; [unrolled: 18-line block ×17, first 2 shown]
	v_add_f64_e32 v[177:178], v[177:178], v[189:190]
	v_add_f64_e32 v[179:180], v[179:180], v[185:186]
	s_wait_loadcnt_dscnt 0x800
	v_mul_f64_e32 v[185:186], v[6:7], v[24:25]
	v_mul_f64_e32 v[24:25], v[8:9], v[24:25]
	v_fma_f64 v[183:184], v[4:5], v[18:19], v[183:184]
	v_fma_f64 v[18:19], v[2:3], v[18:19], -v[20:21]
	ds_load_b128 v[2:5], v1 offset:1888
	v_add_f64_e32 v[20:21], v[177:178], v[187:188]
	v_add_f64_e32 v[177:178], v[179:180], v[181:182]
	v_fma_f64 v[181:182], v[8:9], v[22:23], v[185:186]
	v_fma_f64 v[22:23], v[6:7], v[22:23], -v[24:25]
	ds_load_b128 v[6:9], v1 offset:1904
	s_wait_loadcnt_dscnt 0x701
	v_mul_f64_e32 v[179:180], v[2:3], v[28:29]
	v_mul_f64_e32 v[28:29], v[4:5], v[28:29]
	v_add_f64_e32 v[18:19], v[20:21], v[18:19]
	v_add_f64_e32 v[20:21], v[177:178], v[183:184]
	s_delay_alu instid0(VALU_DEP_4) | instskip(NEXT) | instid1(VALU_DEP_4)
	v_fma_f64 v[177:178], v[4:5], v[26:27], v[179:180]
	v_fma_f64 v[26:27], v[2:3], v[26:27], -v[28:29]
	ds_load_b128 v[2:5], v1 offset:1920
	v_add_f64_e32 v[22:23], v[18:19], v[22:23]
	v_add_f64_e32 v[28:29], v[20:21], v[181:182]
	scratch_load_b128 v[18:21], off, off offset:144
	s_wait_loadcnt_dscnt 0x701
	v_mul_f64_e32 v[24:25], v[6:7], v[32:33]
	v_mul_f64_e32 v[32:33], v[8:9], v[32:33]
	v_add_f64_e32 v[22:23], v[22:23], v[26:27]
	v_add_f64_e32 v[26:27], v[28:29], v[177:178]
	s_delay_alu instid0(VALU_DEP_4) | instskip(NEXT) | instid1(VALU_DEP_4)
	v_fma_f64 v[24:25], v[8:9], v[30:31], v[24:25]
	v_fma_f64 v[30:31], v[6:7], v[30:31], -v[32:33]
	ds_load_b128 v[6:9], v1 offset:1936
	s_wait_loadcnt_dscnt 0x601
	v_mul_f64_e32 v[179:180], v[2:3], v[36:37]
	v_mul_f64_e32 v[36:37], v[4:5], v[36:37]
	s_wait_loadcnt_dscnt 0x500
	v_mul_f64_e32 v[28:29], v[6:7], v[175:176]
	v_mul_f64_e32 v[32:33], v[8:9], v[175:176]
	v_add_f64_e32 v[24:25], v[26:27], v[24:25]
	v_add_f64_e32 v[22:23], v[22:23], v[30:31]
	v_fma_f64 v[175:176], v[4:5], v[34:35], v[179:180]
	v_fma_f64 v[34:35], v[2:3], v[34:35], -v[36:37]
	ds_load_b128 v[2:5], v1 offset:1952
	v_fma_f64 v[28:29], v[8:9], v[173:174], v[28:29]
	v_fma_f64 v[32:33], v[6:7], v[173:174], -v[32:33]
	ds_load_b128 v[6:9], v1 offset:1968
	s_wait_loadcnt_dscnt 0x401
	v_mul_f64_e32 v[26:27], v[2:3], v[40:41]
	v_mul_f64_e32 v[30:31], v[4:5], v[40:41]
	v_add_f64_e32 v[24:25], v[24:25], v[175:176]
	v_add_f64_e32 v[22:23], v[22:23], v[34:35]
	s_wait_loadcnt_dscnt 0x300
	v_mul_f64_e32 v[34:35], v[6:7], v[171:172]
	v_mul_f64_e32 v[36:37], v[8:9], v[171:172]
	v_fma_f64 v[26:27], v[4:5], v[38:39], v[26:27]
	v_fma_f64 v[30:31], v[2:3], v[38:39], -v[30:31]
	ds_load_b128 v[2:5], v1 offset:1984
	v_add_f64_e32 v[24:25], v[24:25], v[28:29]
	v_add_f64_e32 v[22:23], v[22:23], v[32:33]
	v_fma_f64 v[32:33], v[8:9], v[169:170], v[34:35]
	v_fma_f64 v[34:35], v[6:7], v[169:170], -v[36:37]
	ds_load_b128 v[6:9], v1 offset:2000
	s_wait_loadcnt_dscnt 0x201
	v_mul_f64_e32 v[28:29], v[2:3], v[12:13]
	v_mul_f64_e32 v[12:13], v[4:5], v[12:13]
	v_add_f64_e32 v[24:25], v[24:25], v[26:27]
	v_add_f64_e32 v[22:23], v[22:23], v[30:31]
	s_wait_loadcnt_dscnt 0x100
	v_mul_f64_e32 v[26:27], v[6:7], v[16:17]
	v_mul_f64_e32 v[16:17], v[8:9], v[16:17]
	v_fma_f64 v[4:5], v[4:5], v[10:11], v[28:29]
	v_fma_f64 v[1:2], v[2:3], v[10:11], -v[12:13]
	v_add_f64_e32 v[12:13], v[24:25], v[32:33]
	v_add_f64_e32 v[10:11], v[22:23], v[34:35]
	v_fma_f64 v[8:9], v[8:9], v[14:15], v[26:27]
	v_fma_f64 v[6:7], v[6:7], v[14:15], -v[16:17]
	s_delay_alu instid0(VALU_DEP_4) | instskip(NEXT) | instid1(VALU_DEP_4)
	v_add_f64_e32 v[3:4], v[12:13], v[4:5]
	v_add_f64_e32 v[1:2], v[10:11], v[1:2]
	s_delay_alu instid0(VALU_DEP_2) | instskip(NEXT) | instid1(VALU_DEP_2)
	v_add_f64_e32 v[3:4], v[3:4], v[8:9]
	v_add_f64_e32 v[1:2], v[1:2], v[6:7]
	s_wait_loadcnt 0x0
	s_delay_alu instid0(VALU_DEP_2) | instskip(NEXT) | instid1(VALU_DEP_2)
	v_add_f64_e64 v[3:4], v[20:21], -v[3:4]
	v_add_f64_e64 v[1:2], v[18:19], -v[1:2]
	scratch_store_b128 off, v[1:4], off offset:144
	v_cmpx_lt_u32_e32 7, v0
	s_cbranch_execz .LBB126_389
; %bb.388:
	scratch_load_b128 v[1:4], off, s71
	v_mov_b32_e32 v5, 0
	s_delay_alu instid0(VALU_DEP_1)
	v_dual_mov_b32 v6, v5 :: v_dual_mov_b32 v7, v5
	v_mov_b32_e32 v8, v5
	scratch_store_b128 off, v[5:8], off offset:128
	s_wait_loadcnt 0x0
	ds_store_b128 v168, v[1:4]
.LBB126_389:
	s_wait_alu 0xfffe
	s_or_b32 exec_lo, exec_lo, s0
	s_wait_storecnt_dscnt 0x0
	s_barrier_signal -1
	s_barrier_wait -1
	global_inv scope:SCOPE_SE
	s_clause 0x7
	scratch_load_b128 v[2:5], off, off offset:144
	scratch_load_b128 v[6:9], off, off offset:160
	;; [unrolled: 1-line block ×8, first 2 shown]
	v_mov_b32_e32 v1, 0
	s_clause 0x1
	scratch_load_b128 v[34:37], off, off offset:272
	scratch_load_b128 v[173:176], off, off offset:288
	s_mov_b32 s0, exec_lo
	ds_load_b128 v[38:41], v1 offset:1136
	ds_load_b128 v[169:172], v1 offset:1152
	s_wait_loadcnt_dscnt 0x901
	v_mul_f64_e32 v[177:178], v[40:41], v[4:5]
	v_mul_f64_e32 v[4:5], v[38:39], v[4:5]
	s_wait_loadcnt_dscnt 0x800
	v_mul_f64_e32 v[179:180], v[169:170], v[8:9]
	v_mul_f64_e32 v[8:9], v[171:172], v[8:9]
	s_delay_alu instid0(VALU_DEP_4) | instskip(NEXT) | instid1(VALU_DEP_4)
	v_fma_f64 v[177:178], v[38:39], v[2:3], -v[177:178]
	v_fma_f64 v[181:182], v[40:41], v[2:3], v[4:5]
	ds_load_b128 v[2:5], v1 offset:1168
	scratch_load_b128 v[38:41], off, off offset:304
	v_fma_f64 v[179:180], v[171:172], v[6:7], v[179:180]
	v_fma_f64 v[185:186], v[169:170], v[6:7], -v[8:9]
	ds_load_b128 v[6:9], v1 offset:1184
	scratch_load_b128 v[169:172], off, off offset:320
	s_wait_loadcnt_dscnt 0x901
	v_mul_f64_e32 v[183:184], v[2:3], v[12:13]
	v_mul_f64_e32 v[12:13], v[4:5], v[12:13]
	s_wait_loadcnt_dscnt 0x800
	v_mul_f64_e32 v[187:188], v[6:7], v[16:17]
	v_mul_f64_e32 v[16:17], v[8:9], v[16:17]
	v_add_f64_e32 v[177:178], 0, v[177:178]
	v_add_f64_e32 v[181:182], 0, v[181:182]
	v_fma_f64 v[183:184], v[4:5], v[10:11], v[183:184]
	v_fma_f64 v[189:190], v[2:3], v[10:11], -v[12:13]
	ds_load_b128 v[2:5], v1 offset:1200
	scratch_load_b128 v[10:13], off, off offset:336
	v_add_f64_e32 v[177:178], v[177:178], v[185:186]
	v_add_f64_e32 v[179:180], v[181:182], v[179:180]
	v_fma_f64 v[185:186], v[8:9], v[14:15], v[187:188]
	v_fma_f64 v[187:188], v[6:7], v[14:15], -v[16:17]
	ds_load_b128 v[6:9], v1 offset:1216
	scratch_load_b128 v[14:17], off, off offset:352
	s_wait_loadcnt_dscnt 0x901
	v_mul_f64_e32 v[181:182], v[2:3], v[20:21]
	v_mul_f64_e32 v[20:21], v[4:5], v[20:21]
	v_add_f64_e32 v[177:178], v[177:178], v[189:190]
	v_add_f64_e32 v[179:180], v[179:180], v[183:184]
	s_wait_loadcnt_dscnt 0x800
	v_mul_f64_e32 v[183:184], v[6:7], v[24:25]
	v_mul_f64_e32 v[24:25], v[8:9], v[24:25]
	v_fma_f64 v[181:182], v[4:5], v[18:19], v[181:182]
	v_fma_f64 v[189:190], v[2:3], v[18:19], -v[20:21]
	ds_load_b128 v[2:5], v1 offset:1232
	scratch_load_b128 v[18:21], off, off offset:368
	v_add_f64_e32 v[177:178], v[177:178], v[187:188]
	v_add_f64_e32 v[179:180], v[179:180], v[185:186]
	v_fma_f64 v[183:184], v[8:9], v[22:23], v[183:184]
	v_fma_f64 v[187:188], v[6:7], v[22:23], -v[24:25]
	ds_load_b128 v[6:9], v1 offset:1248
	s_wait_loadcnt_dscnt 0x801
	v_mul_f64_e32 v[185:186], v[2:3], v[28:29]
	v_mul_f64_e32 v[28:29], v[4:5], v[28:29]
	scratch_load_b128 v[22:25], off, off offset:384
	v_add_f64_e32 v[177:178], v[177:178], v[189:190]
	v_add_f64_e32 v[179:180], v[179:180], v[181:182]
	s_wait_loadcnt_dscnt 0x800
	v_mul_f64_e32 v[181:182], v[6:7], v[32:33]
	v_mul_f64_e32 v[32:33], v[8:9], v[32:33]
	v_fma_f64 v[185:186], v[4:5], v[26:27], v[185:186]
	v_fma_f64 v[189:190], v[2:3], v[26:27], -v[28:29]
	ds_load_b128 v[2:5], v1 offset:1264
	scratch_load_b128 v[26:29], off, off offset:400
	v_add_f64_e32 v[177:178], v[177:178], v[187:188]
	v_add_f64_e32 v[179:180], v[179:180], v[183:184]
	v_fma_f64 v[181:182], v[8:9], v[30:31], v[181:182]
	v_fma_f64 v[187:188], v[6:7], v[30:31], -v[32:33]
	ds_load_b128 v[6:9], v1 offset:1280
	s_wait_loadcnt_dscnt 0x801
	v_mul_f64_e32 v[183:184], v[2:3], v[36:37]
	v_mul_f64_e32 v[36:37], v[4:5], v[36:37]
	scratch_load_b128 v[30:33], off, off offset:416
	v_add_f64_e32 v[177:178], v[177:178], v[189:190]
	v_add_f64_e32 v[179:180], v[179:180], v[185:186]
	s_wait_loadcnt_dscnt 0x800
	v_mul_f64_e32 v[185:186], v[6:7], v[175:176]
	v_mul_f64_e32 v[175:176], v[8:9], v[175:176]
	v_fma_f64 v[183:184], v[4:5], v[34:35], v[183:184]
	v_fma_f64 v[189:190], v[2:3], v[34:35], -v[36:37]
	ds_load_b128 v[2:5], v1 offset:1296
	scratch_load_b128 v[34:37], off, off offset:432
	v_add_f64_e32 v[177:178], v[177:178], v[187:188]
	v_add_f64_e32 v[179:180], v[179:180], v[181:182]
	v_fma_f64 v[185:186], v[8:9], v[173:174], v[185:186]
	v_fma_f64 v[187:188], v[6:7], v[173:174], -v[175:176]
	ds_load_b128 v[6:9], v1 offset:1312
	scratch_load_b128 v[173:176], off, off offset:448
	s_wait_loadcnt_dscnt 0x901
	v_mul_f64_e32 v[181:182], v[2:3], v[40:41]
	v_mul_f64_e32 v[40:41], v[4:5], v[40:41]
	v_add_f64_e32 v[177:178], v[177:178], v[189:190]
	v_add_f64_e32 v[179:180], v[179:180], v[183:184]
	s_wait_loadcnt_dscnt 0x800
	v_mul_f64_e32 v[183:184], v[6:7], v[171:172]
	v_mul_f64_e32 v[171:172], v[8:9], v[171:172]
	v_fma_f64 v[181:182], v[4:5], v[38:39], v[181:182]
	v_fma_f64 v[189:190], v[2:3], v[38:39], -v[40:41]
	ds_load_b128 v[2:5], v1 offset:1328
	scratch_load_b128 v[38:41], off, off offset:464
	v_add_f64_e32 v[177:178], v[177:178], v[187:188]
	v_add_f64_e32 v[179:180], v[179:180], v[185:186]
	v_fma_f64 v[183:184], v[8:9], v[169:170], v[183:184]
	v_fma_f64 v[187:188], v[6:7], v[169:170], -v[171:172]
	ds_load_b128 v[6:9], v1 offset:1344
	s_wait_loadcnt_dscnt 0x801
	v_mul_f64_e32 v[185:186], v[2:3], v[12:13]
	v_mul_f64_e32 v[12:13], v[4:5], v[12:13]
	scratch_load_b128 v[169:172], off, off offset:480
	v_add_f64_e32 v[177:178], v[177:178], v[189:190]
	v_add_f64_e32 v[179:180], v[179:180], v[181:182]
	s_wait_loadcnt_dscnt 0x800
	v_mul_f64_e32 v[181:182], v[6:7], v[16:17]
	v_mul_f64_e32 v[16:17], v[8:9], v[16:17]
	v_fma_f64 v[185:186], v[4:5], v[10:11], v[185:186]
	v_fma_f64 v[189:190], v[2:3], v[10:11], -v[12:13]
	ds_load_b128 v[2:5], v1 offset:1360
	scratch_load_b128 v[10:13], off, off offset:496
	v_add_f64_e32 v[177:178], v[177:178], v[187:188]
	v_add_f64_e32 v[179:180], v[179:180], v[183:184]
	v_fma_f64 v[181:182], v[8:9], v[14:15], v[181:182]
	v_fma_f64 v[187:188], v[6:7], v[14:15], -v[16:17]
	ds_load_b128 v[6:9], v1 offset:1376
	s_wait_loadcnt_dscnt 0x801
	v_mul_f64_e32 v[183:184], v[2:3], v[20:21]
	v_mul_f64_e32 v[20:21], v[4:5], v[20:21]
	scratch_load_b128 v[14:17], off, off offset:512
	;; [unrolled: 18-line block ×17, first 2 shown]
	v_add_f64_e32 v[177:178], v[177:178], v[189:190]
	v_add_f64_e32 v[179:180], v[179:180], v[185:186]
	s_wait_loadcnt_dscnt 0x800
	v_mul_f64_e32 v[185:186], v[6:7], v[24:25]
	v_mul_f64_e32 v[24:25], v[8:9], v[24:25]
	v_fma_f64 v[183:184], v[4:5], v[18:19], v[183:184]
	v_fma_f64 v[189:190], v[2:3], v[18:19], -v[20:21]
	ds_load_b128 v[2:5], v1 offset:1872
	scratch_load_b128 v[18:21], off, off offset:1008
	v_add_f64_e32 v[177:178], v[177:178], v[187:188]
	v_add_f64_e32 v[179:180], v[179:180], v[181:182]
	v_fma_f64 v[185:186], v[8:9], v[22:23], v[185:186]
	v_fma_f64 v[22:23], v[6:7], v[22:23], -v[24:25]
	ds_load_b128 v[6:9], v1 offset:1888
	s_wait_loadcnt_dscnt 0x801
	v_mul_f64_e32 v[181:182], v[2:3], v[28:29]
	v_mul_f64_e32 v[28:29], v[4:5], v[28:29]
	v_add_f64_e32 v[24:25], v[177:178], v[189:190]
	v_add_f64_e32 v[177:178], v[179:180], v[183:184]
	s_wait_loadcnt_dscnt 0x700
	v_mul_f64_e32 v[179:180], v[6:7], v[32:33]
	v_mul_f64_e32 v[32:33], v[8:9], v[32:33]
	v_fma_f64 v[181:182], v[4:5], v[26:27], v[181:182]
	v_fma_f64 v[26:27], v[2:3], v[26:27], -v[28:29]
	ds_load_b128 v[2:5], v1 offset:1904
	v_add_f64_e32 v[22:23], v[24:25], v[22:23]
	v_add_f64_e32 v[24:25], v[177:178], v[185:186]
	v_fma_f64 v[177:178], v[8:9], v[30:31], v[179:180]
	v_fma_f64 v[30:31], v[6:7], v[30:31], -v[32:33]
	ds_load_b128 v[6:9], v1 offset:1920
	s_wait_loadcnt_dscnt 0x500
	v_mul_f64_e32 v[179:180], v[6:7], v[175:176]
	v_mul_f64_e32 v[175:176], v[8:9], v[175:176]
	v_add_f64_e32 v[26:27], v[22:23], v[26:27]
	v_add_f64_e32 v[32:33], v[24:25], v[181:182]
	scratch_load_b128 v[22:25], off, off offset:128
	v_mul_f64_e32 v[28:29], v[2:3], v[36:37]
	v_mul_f64_e32 v[36:37], v[4:5], v[36:37]
	v_add_f64_e32 v[26:27], v[26:27], v[30:31]
	v_add_f64_e32 v[30:31], v[32:33], v[177:178]
	s_delay_alu instid0(VALU_DEP_4) | instskip(NEXT) | instid1(VALU_DEP_4)
	v_fma_f64 v[28:29], v[4:5], v[34:35], v[28:29]
	v_fma_f64 v[34:35], v[2:3], v[34:35], -v[36:37]
	ds_load_b128 v[2:5], v1 offset:1936
	s_wait_loadcnt_dscnt 0x500
	v_mul_f64_e32 v[32:33], v[2:3], v[40:41]
	v_mul_f64_e32 v[36:37], v[4:5], v[40:41]
	v_fma_f64 v[40:41], v[8:9], v[173:174], v[179:180]
	v_fma_f64 v[173:174], v[6:7], v[173:174], -v[175:176]
	ds_load_b128 v[6:9], v1 offset:1952
	v_add_f64_e32 v[28:29], v[30:31], v[28:29]
	v_add_f64_e32 v[26:27], v[26:27], v[34:35]
	v_fma_f64 v[32:33], v[4:5], v[38:39], v[32:33]
	v_fma_f64 v[36:37], v[2:3], v[38:39], -v[36:37]
	ds_load_b128 v[2:5], v1 offset:1968
	s_wait_loadcnt_dscnt 0x401
	v_mul_f64_e32 v[30:31], v[6:7], v[171:172]
	v_mul_f64_e32 v[34:35], v[8:9], v[171:172]
	v_add_f64_e32 v[28:29], v[28:29], v[40:41]
	v_add_f64_e32 v[26:27], v[26:27], v[173:174]
	s_wait_loadcnt_dscnt 0x300
	v_mul_f64_e32 v[38:39], v[2:3], v[12:13]
	v_mul_f64_e32 v[12:13], v[4:5], v[12:13]
	v_fma_f64 v[30:31], v[8:9], v[169:170], v[30:31]
	v_fma_f64 v[34:35], v[6:7], v[169:170], -v[34:35]
	ds_load_b128 v[6:9], v1 offset:1984
	v_add_f64_e32 v[28:29], v[28:29], v[32:33]
	v_add_f64_e32 v[26:27], v[26:27], v[36:37]
	v_fma_f64 v[36:37], v[4:5], v[10:11], v[38:39]
	v_fma_f64 v[10:11], v[2:3], v[10:11], -v[12:13]
	ds_load_b128 v[2:5], v1 offset:2000
	s_wait_loadcnt_dscnt 0x201
	v_mul_f64_e32 v[32:33], v[6:7], v[16:17]
	v_mul_f64_e32 v[16:17], v[8:9], v[16:17]
	v_add_f64_e32 v[12:13], v[26:27], v[34:35]
	v_add_f64_e32 v[26:27], v[28:29], v[30:31]
	s_wait_loadcnt_dscnt 0x100
	v_mul_f64_e32 v[28:29], v[2:3], v[20:21]
	v_mul_f64_e32 v[20:21], v[4:5], v[20:21]
	v_fma_f64 v[8:9], v[8:9], v[14:15], v[32:33]
	v_fma_f64 v[6:7], v[6:7], v[14:15], -v[16:17]
	v_add_f64_e32 v[10:11], v[12:13], v[10:11]
	v_add_f64_e32 v[12:13], v[26:27], v[36:37]
	v_fma_f64 v[4:5], v[4:5], v[18:19], v[28:29]
	v_fma_f64 v[2:3], v[2:3], v[18:19], -v[20:21]
	s_delay_alu instid0(VALU_DEP_4) | instskip(NEXT) | instid1(VALU_DEP_4)
	v_add_f64_e32 v[6:7], v[10:11], v[6:7]
	v_add_f64_e32 v[8:9], v[12:13], v[8:9]
	s_delay_alu instid0(VALU_DEP_2) | instskip(NEXT) | instid1(VALU_DEP_2)
	v_add_f64_e32 v[2:3], v[6:7], v[2:3]
	v_add_f64_e32 v[4:5], v[8:9], v[4:5]
	s_wait_loadcnt 0x0
	s_delay_alu instid0(VALU_DEP_2) | instskip(NEXT) | instid1(VALU_DEP_2)
	v_add_f64_e64 v[2:3], v[22:23], -v[2:3]
	v_add_f64_e64 v[4:5], v[24:25], -v[4:5]
	scratch_store_b128 off, v[2:5], off offset:128
	v_cmpx_lt_u32_e32 6, v0
	s_cbranch_execz .LBB126_391
; %bb.390:
	scratch_load_b128 v[5:8], off, s72
	v_dual_mov_b32 v2, v1 :: v_dual_mov_b32 v3, v1
	v_mov_b32_e32 v4, v1
	scratch_store_b128 off, v[1:4], off offset:112
	s_wait_loadcnt 0x0
	ds_store_b128 v168, v[5:8]
.LBB126_391:
	s_wait_alu 0xfffe
	s_or_b32 exec_lo, exec_lo, s0
	s_wait_storecnt_dscnt 0x0
	s_barrier_signal -1
	s_barrier_wait -1
	global_inv scope:SCOPE_SE
	s_clause 0x7
	scratch_load_b128 v[2:5], off, off offset:128
	scratch_load_b128 v[6:9], off, off offset:144
	;; [unrolled: 1-line block ×8, first 2 shown]
	ds_load_b128 v[38:41], v1 offset:1120
	ds_load_b128 v[169:172], v1 offset:1136
	s_clause 0x1
	scratch_load_b128 v[34:37], off, off offset:256
	scratch_load_b128 v[173:176], off, off offset:272
	s_mov_b32 s0, exec_lo
	s_wait_loadcnt_dscnt 0x901
	v_mul_f64_e32 v[177:178], v[40:41], v[4:5]
	v_mul_f64_e32 v[4:5], v[38:39], v[4:5]
	s_wait_loadcnt_dscnt 0x800
	v_mul_f64_e32 v[179:180], v[169:170], v[8:9]
	v_mul_f64_e32 v[8:9], v[171:172], v[8:9]
	s_delay_alu instid0(VALU_DEP_4) | instskip(NEXT) | instid1(VALU_DEP_4)
	v_fma_f64 v[177:178], v[38:39], v[2:3], -v[177:178]
	v_fma_f64 v[181:182], v[40:41], v[2:3], v[4:5]
	ds_load_b128 v[2:5], v1 offset:1152
	scratch_load_b128 v[38:41], off, off offset:288
	v_fma_f64 v[179:180], v[171:172], v[6:7], v[179:180]
	v_fma_f64 v[185:186], v[169:170], v[6:7], -v[8:9]
	ds_load_b128 v[6:9], v1 offset:1168
	scratch_load_b128 v[169:172], off, off offset:304
	s_wait_loadcnt_dscnt 0x901
	v_mul_f64_e32 v[183:184], v[2:3], v[12:13]
	v_mul_f64_e32 v[12:13], v[4:5], v[12:13]
	s_wait_loadcnt_dscnt 0x800
	v_mul_f64_e32 v[187:188], v[6:7], v[16:17]
	v_mul_f64_e32 v[16:17], v[8:9], v[16:17]
	v_add_f64_e32 v[177:178], 0, v[177:178]
	v_add_f64_e32 v[181:182], 0, v[181:182]
	v_fma_f64 v[183:184], v[4:5], v[10:11], v[183:184]
	v_fma_f64 v[189:190], v[2:3], v[10:11], -v[12:13]
	ds_load_b128 v[2:5], v1 offset:1184
	scratch_load_b128 v[10:13], off, off offset:320
	v_add_f64_e32 v[177:178], v[177:178], v[185:186]
	v_add_f64_e32 v[179:180], v[181:182], v[179:180]
	v_fma_f64 v[185:186], v[8:9], v[14:15], v[187:188]
	v_fma_f64 v[187:188], v[6:7], v[14:15], -v[16:17]
	ds_load_b128 v[6:9], v1 offset:1200
	scratch_load_b128 v[14:17], off, off offset:336
	s_wait_loadcnt_dscnt 0x901
	v_mul_f64_e32 v[181:182], v[2:3], v[20:21]
	v_mul_f64_e32 v[20:21], v[4:5], v[20:21]
	v_add_f64_e32 v[177:178], v[177:178], v[189:190]
	v_add_f64_e32 v[179:180], v[179:180], v[183:184]
	s_wait_loadcnt_dscnt 0x800
	v_mul_f64_e32 v[183:184], v[6:7], v[24:25]
	v_mul_f64_e32 v[24:25], v[8:9], v[24:25]
	v_fma_f64 v[181:182], v[4:5], v[18:19], v[181:182]
	v_fma_f64 v[189:190], v[2:3], v[18:19], -v[20:21]
	ds_load_b128 v[2:5], v1 offset:1216
	scratch_load_b128 v[18:21], off, off offset:352
	v_add_f64_e32 v[177:178], v[177:178], v[187:188]
	v_add_f64_e32 v[179:180], v[179:180], v[185:186]
	v_fma_f64 v[183:184], v[8:9], v[22:23], v[183:184]
	v_fma_f64 v[187:188], v[6:7], v[22:23], -v[24:25]
	ds_load_b128 v[6:9], v1 offset:1232
	s_wait_loadcnt_dscnt 0x801
	v_mul_f64_e32 v[185:186], v[2:3], v[28:29]
	v_mul_f64_e32 v[28:29], v[4:5], v[28:29]
	scratch_load_b128 v[22:25], off, off offset:368
	v_add_f64_e32 v[177:178], v[177:178], v[189:190]
	v_add_f64_e32 v[179:180], v[179:180], v[181:182]
	s_wait_loadcnt_dscnt 0x800
	v_mul_f64_e32 v[181:182], v[6:7], v[32:33]
	v_mul_f64_e32 v[32:33], v[8:9], v[32:33]
	v_fma_f64 v[185:186], v[4:5], v[26:27], v[185:186]
	v_fma_f64 v[189:190], v[2:3], v[26:27], -v[28:29]
	ds_load_b128 v[2:5], v1 offset:1248
	scratch_load_b128 v[26:29], off, off offset:384
	v_add_f64_e32 v[177:178], v[177:178], v[187:188]
	v_add_f64_e32 v[179:180], v[179:180], v[183:184]
	v_fma_f64 v[181:182], v[8:9], v[30:31], v[181:182]
	v_fma_f64 v[187:188], v[6:7], v[30:31], -v[32:33]
	ds_load_b128 v[6:9], v1 offset:1264
	s_wait_loadcnt_dscnt 0x801
	v_mul_f64_e32 v[183:184], v[2:3], v[36:37]
	v_mul_f64_e32 v[36:37], v[4:5], v[36:37]
	scratch_load_b128 v[30:33], off, off offset:400
	v_add_f64_e32 v[177:178], v[177:178], v[189:190]
	v_add_f64_e32 v[179:180], v[179:180], v[185:186]
	s_wait_loadcnt_dscnt 0x800
	v_mul_f64_e32 v[185:186], v[6:7], v[175:176]
	v_mul_f64_e32 v[175:176], v[8:9], v[175:176]
	v_fma_f64 v[183:184], v[4:5], v[34:35], v[183:184]
	v_fma_f64 v[189:190], v[2:3], v[34:35], -v[36:37]
	ds_load_b128 v[2:5], v1 offset:1280
	scratch_load_b128 v[34:37], off, off offset:416
	v_add_f64_e32 v[177:178], v[177:178], v[187:188]
	v_add_f64_e32 v[179:180], v[179:180], v[181:182]
	v_fma_f64 v[185:186], v[8:9], v[173:174], v[185:186]
	v_fma_f64 v[187:188], v[6:7], v[173:174], -v[175:176]
	ds_load_b128 v[6:9], v1 offset:1296
	scratch_load_b128 v[173:176], off, off offset:432
	s_wait_loadcnt_dscnt 0x901
	v_mul_f64_e32 v[181:182], v[2:3], v[40:41]
	v_mul_f64_e32 v[40:41], v[4:5], v[40:41]
	v_add_f64_e32 v[177:178], v[177:178], v[189:190]
	v_add_f64_e32 v[179:180], v[179:180], v[183:184]
	s_wait_loadcnt_dscnt 0x800
	v_mul_f64_e32 v[183:184], v[6:7], v[171:172]
	v_mul_f64_e32 v[171:172], v[8:9], v[171:172]
	v_fma_f64 v[181:182], v[4:5], v[38:39], v[181:182]
	v_fma_f64 v[189:190], v[2:3], v[38:39], -v[40:41]
	ds_load_b128 v[2:5], v1 offset:1312
	scratch_load_b128 v[38:41], off, off offset:448
	v_add_f64_e32 v[177:178], v[177:178], v[187:188]
	v_add_f64_e32 v[179:180], v[179:180], v[185:186]
	v_fma_f64 v[183:184], v[8:9], v[169:170], v[183:184]
	v_fma_f64 v[187:188], v[6:7], v[169:170], -v[171:172]
	ds_load_b128 v[6:9], v1 offset:1328
	s_wait_loadcnt_dscnt 0x801
	v_mul_f64_e32 v[185:186], v[2:3], v[12:13]
	v_mul_f64_e32 v[12:13], v[4:5], v[12:13]
	scratch_load_b128 v[169:172], off, off offset:464
	v_add_f64_e32 v[177:178], v[177:178], v[189:190]
	v_add_f64_e32 v[179:180], v[179:180], v[181:182]
	s_wait_loadcnt_dscnt 0x800
	v_mul_f64_e32 v[181:182], v[6:7], v[16:17]
	v_mul_f64_e32 v[16:17], v[8:9], v[16:17]
	v_fma_f64 v[185:186], v[4:5], v[10:11], v[185:186]
	v_fma_f64 v[189:190], v[2:3], v[10:11], -v[12:13]
	ds_load_b128 v[2:5], v1 offset:1344
	scratch_load_b128 v[10:13], off, off offset:480
	v_add_f64_e32 v[177:178], v[177:178], v[187:188]
	v_add_f64_e32 v[179:180], v[179:180], v[183:184]
	v_fma_f64 v[181:182], v[8:9], v[14:15], v[181:182]
	v_fma_f64 v[187:188], v[6:7], v[14:15], -v[16:17]
	ds_load_b128 v[6:9], v1 offset:1360
	s_wait_loadcnt_dscnt 0x801
	v_mul_f64_e32 v[183:184], v[2:3], v[20:21]
	v_mul_f64_e32 v[20:21], v[4:5], v[20:21]
	scratch_load_b128 v[14:17], off, off offset:496
	;; [unrolled: 18-line block ×18, first 2 shown]
	v_add_f64_e32 v[177:178], v[177:178], v[189:190]
	v_add_f64_e32 v[179:180], v[179:180], v[183:184]
	s_wait_loadcnt_dscnt 0x800
	v_mul_f64_e32 v[183:184], v[6:7], v[32:33]
	v_mul_f64_e32 v[32:33], v[8:9], v[32:33]
	v_fma_f64 v[181:182], v[4:5], v[26:27], v[181:182]
	v_fma_f64 v[26:27], v[2:3], v[26:27], -v[28:29]
	ds_load_b128 v[2:5], v1 offset:1888
	v_add_f64_e32 v[28:29], v[177:178], v[187:188]
	v_add_f64_e32 v[177:178], v[179:180], v[185:186]
	v_fma_f64 v[183:184], v[8:9], v[30:31], v[183:184]
	v_fma_f64 v[30:31], v[6:7], v[30:31], -v[32:33]
	ds_load_b128 v[6:9], v1 offset:1904
	s_wait_loadcnt_dscnt 0x701
	v_mul_f64_e32 v[179:180], v[2:3], v[36:37]
	v_mul_f64_e32 v[36:37], v[4:5], v[36:37]
	v_add_f64_e32 v[26:27], v[28:29], v[26:27]
	v_add_f64_e32 v[28:29], v[177:178], v[181:182]
	s_delay_alu instid0(VALU_DEP_4) | instskip(NEXT) | instid1(VALU_DEP_4)
	v_fma_f64 v[177:178], v[4:5], v[34:35], v[179:180]
	v_fma_f64 v[34:35], v[2:3], v[34:35], -v[36:37]
	ds_load_b128 v[2:5], v1 offset:1920
	v_add_f64_e32 v[30:31], v[26:27], v[30:31]
	v_add_f64_e32 v[36:37], v[28:29], v[183:184]
	scratch_load_b128 v[26:29], off, off offset:112
	s_wait_loadcnt_dscnt 0x701
	v_mul_f64_e32 v[32:33], v[6:7], v[175:176]
	v_mul_f64_e32 v[175:176], v[8:9], v[175:176]
	v_add_f64_e32 v[30:31], v[30:31], v[34:35]
	v_add_f64_e32 v[34:35], v[36:37], v[177:178]
	s_delay_alu instid0(VALU_DEP_4) | instskip(NEXT) | instid1(VALU_DEP_4)
	v_fma_f64 v[32:33], v[8:9], v[173:174], v[32:33]
	v_fma_f64 v[173:174], v[6:7], v[173:174], -v[175:176]
	ds_load_b128 v[6:9], v1 offset:1936
	s_wait_loadcnt_dscnt 0x601
	v_mul_f64_e32 v[179:180], v[2:3], v[40:41]
	v_mul_f64_e32 v[40:41], v[4:5], v[40:41]
	s_wait_loadcnt_dscnt 0x500
	v_mul_f64_e32 v[36:37], v[6:7], v[171:172]
	v_mul_f64_e32 v[171:172], v[8:9], v[171:172]
	v_add_f64_e32 v[32:33], v[34:35], v[32:33]
	v_add_f64_e32 v[30:31], v[30:31], v[173:174]
	v_fma_f64 v[175:176], v[4:5], v[38:39], v[179:180]
	v_fma_f64 v[38:39], v[2:3], v[38:39], -v[40:41]
	ds_load_b128 v[2:5], v1 offset:1952
	v_fma_f64 v[36:37], v[8:9], v[169:170], v[36:37]
	v_fma_f64 v[40:41], v[6:7], v[169:170], -v[171:172]
	ds_load_b128 v[6:9], v1 offset:1968
	s_wait_loadcnt_dscnt 0x401
	v_mul_f64_e32 v[34:35], v[2:3], v[12:13]
	v_mul_f64_e32 v[12:13], v[4:5], v[12:13]
	v_add_f64_e32 v[32:33], v[32:33], v[175:176]
	v_add_f64_e32 v[30:31], v[30:31], v[38:39]
	s_wait_loadcnt_dscnt 0x300
	v_mul_f64_e32 v[38:39], v[6:7], v[16:17]
	v_mul_f64_e32 v[16:17], v[8:9], v[16:17]
	v_fma_f64 v[34:35], v[4:5], v[10:11], v[34:35]
	v_fma_f64 v[10:11], v[2:3], v[10:11], -v[12:13]
	ds_load_b128 v[2:5], v1 offset:1984
	v_add_f64_e32 v[12:13], v[30:31], v[40:41]
	v_add_f64_e32 v[30:31], v[32:33], v[36:37]
	v_fma_f64 v[36:37], v[8:9], v[14:15], v[38:39]
	v_fma_f64 v[14:15], v[6:7], v[14:15], -v[16:17]
	ds_load_b128 v[6:9], v1 offset:2000
	s_wait_loadcnt_dscnt 0x201
	v_mul_f64_e32 v[32:33], v[2:3], v[20:21]
	v_mul_f64_e32 v[20:21], v[4:5], v[20:21]
	s_wait_loadcnt_dscnt 0x100
	v_mul_f64_e32 v[16:17], v[6:7], v[24:25]
	v_mul_f64_e32 v[24:25], v[8:9], v[24:25]
	v_add_f64_e32 v[10:11], v[12:13], v[10:11]
	v_add_f64_e32 v[12:13], v[30:31], v[34:35]
	v_fma_f64 v[4:5], v[4:5], v[18:19], v[32:33]
	v_fma_f64 v[1:2], v[2:3], v[18:19], -v[20:21]
	v_fma_f64 v[8:9], v[8:9], v[22:23], v[16:17]
	v_fma_f64 v[6:7], v[6:7], v[22:23], -v[24:25]
	v_add_f64_e32 v[10:11], v[10:11], v[14:15]
	v_add_f64_e32 v[12:13], v[12:13], v[36:37]
	s_delay_alu instid0(VALU_DEP_2) | instskip(NEXT) | instid1(VALU_DEP_2)
	v_add_f64_e32 v[1:2], v[10:11], v[1:2]
	v_add_f64_e32 v[3:4], v[12:13], v[4:5]
	s_delay_alu instid0(VALU_DEP_2) | instskip(NEXT) | instid1(VALU_DEP_2)
	v_add_f64_e32 v[1:2], v[1:2], v[6:7]
	v_add_f64_e32 v[3:4], v[3:4], v[8:9]
	s_wait_loadcnt 0x0
	s_delay_alu instid0(VALU_DEP_2) | instskip(NEXT) | instid1(VALU_DEP_2)
	v_add_f64_e64 v[1:2], v[26:27], -v[1:2]
	v_add_f64_e64 v[3:4], v[28:29], -v[3:4]
	scratch_store_b128 off, v[1:4], off offset:112
	v_cmpx_lt_u32_e32 5, v0
	s_cbranch_execz .LBB126_393
; %bb.392:
	scratch_load_b128 v[1:4], off, s73
	v_mov_b32_e32 v5, 0
	s_delay_alu instid0(VALU_DEP_1)
	v_dual_mov_b32 v6, v5 :: v_dual_mov_b32 v7, v5
	v_mov_b32_e32 v8, v5
	scratch_store_b128 off, v[5:8], off offset:96
	s_wait_loadcnt 0x0
	ds_store_b128 v168, v[1:4]
.LBB126_393:
	s_wait_alu 0xfffe
	s_or_b32 exec_lo, exec_lo, s0
	s_wait_storecnt_dscnt 0x0
	s_barrier_signal -1
	s_barrier_wait -1
	global_inv scope:SCOPE_SE
	s_clause 0x7
	scratch_load_b128 v[2:5], off, off offset:112
	scratch_load_b128 v[6:9], off, off offset:128
	scratch_load_b128 v[10:13], off, off offset:144
	scratch_load_b128 v[14:17], off, off offset:160
	scratch_load_b128 v[18:21], off, off offset:176
	scratch_load_b128 v[22:25], off, off offset:192
	scratch_load_b128 v[26:29], off, off offset:208
	scratch_load_b128 v[30:33], off, off offset:224
	v_mov_b32_e32 v1, 0
	s_clause 0x1
	scratch_load_b128 v[34:37], off, off offset:240
	scratch_load_b128 v[173:176], off, off offset:256
	s_mov_b32 s0, exec_lo
	ds_load_b128 v[38:41], v1 offset:1104
	ds_load_b128 v[169:172], v1 offset:1120
	s_wait_loadcnt_dscnt 0x901
	v_mul_f64_e32 v[177:178], v[40:41], v[4:5]
	v_mul_f64_e32 v[4:5], v[38:39], v[4:5]
	s_wait_loadcnt_dscnt 0x800
	v_mul_f64_e32 v[179:180], v[169:170], v[8:9]
	v_mul_f64_e32 v[8:9], v[171:172], v[8:9]
	s_delay_alu instid0(VALU_DEP_4) | instskip(NEXT) | instid1(VALU_DEP_4)
	v_fma_f64 v[177:178], v[38:39], v[2:3], -v[177:178]
	v_fma_f64 v[181:182], v[40:41], v[2:3], v[4:5]
	ds_load_b128 v[2:5], v1 offset:1136
	scratch_load_b128 v[38:41], off, off offset:272
	v_fma_f64 v[179:180], v[171:172], v[6:7], v[179:180]
	v_fma_f64 v[185:186], v[169:170], v[6:7], -v[8:9]
	ds_load_b128 v[6:9], v1 offset:1152
	scratch_load_b128 v[169:172], off, off offset:288
	s_wait_loadcnt_dscnt 0x901
	v_mul_f64_e32 v[183:184], v[2:3], v[12:13]
	v_mul_f64_e32 v[12:13], v[4:5], v[12:13]
	s_wait_loadcnt_dscnt 0x800
	v_mul_f64_e32 v[187:188], v[6:7], v[16:17]
	v_mul_f64_e32 v[16:17], v[8:9], v[16:17]
	v_add_f64_e32 v[177:178], 0, v[177:178]
	v_add_f64_e32 v[181:182], 0, v[181:182]
	v_fma_f64 v[183:184], v[4:5], v[10:11], v[183:184]
	v_fma_f64 v[189:190], v[2:3], v[10:11], -v[12:13]
	ds_load_b128 v[2:5], v1 offset:1168
	scratch_load_b128 v[10:13], off, off offset:304
	v_add_f64_e32 v[177:178], v[177:178], v[185:186]
	v_add_f64_e32 v[179:180], v[181:182], v[179:180]
	v_fma_f64 v[185:186], v[8:9], v[14:15], v[187:188]
	v_fma_f64 v[187:188], v[6:7], v[14:15], -v[16:17]
	ds_load_b128 v[6:9], v1 offset:1184
	scratch_load_b128 v[14:17], off, off offset:320
	s_wait_loadcnt_dscnt 0x901
	v_mul_f64_e32 v[181:182], v[2:3], v[20:21]
	v_mul_f64_e32 v[20:21], v[4:5], v[20:21]
	v_add_f64_e32 v[177:178], v[177:178], v[189:190]
	v_add_f64_e32 v[179:180], v[179:180], v[183:184]
	s_wait_loadcnt_dscnt 0x800
	v_mul_f64_e32 v[183:184], v[6:7], v[24:25]
	v_mul_f64_e32 v[24:25], v[8:9], v[24:25]
	v_fma_f64 v[181:182], v[4:5], v[18:19], v[181:182]
	v_fma_f64 v[189:190], v[2:3], v[18:19], -v[20:21]
	ds_load_b128 v[2:5], v1 offset:1200
	scratch_load_b128 v[18:21], off, off offset:336
	v_add_f64_e32 v[177:178], v[177:178], v[187:188]
	v_add_f64_e32 v[179:180], v[179:180], v[185:186]
	v_fma_f64 v[183:184], v[8:9], v[22:23], v[183:184]
	v_fma_f64 v[187:188], v[6:7], v[22:23], -v[24:25]
	ds_load_b128 v[6:9], v1 offset:1216
	s_wait_loadcnt_dscnt 0x801
	v_mul_f64_e32 v[185:186], v[2:3], v[28:29]
	v_mul_f64_e32 v[28:29], v[4:5], v[28:29]
	scratch_load_b128 v[22:25], off, off offset:352
	v_add_f64_e32 v[177:178], v[177:178], v[189:190]
	v_add_f64_e32 v[179:180], v[179:180], v[181:182]
	s_wait_loadcnt_dscnt 0x800
	v_mul_f64_e32 v[181:182], v[6:7], v[32:33]
	v_mul_f64_e32 v[32:33], v[8:9], v[32:33]
	v_fma_f64 v[185:186], v[4:5], v[26:27], v[185:186]
	v_fma_f64 v[189:190], v[2:3], v[26:27], -v[28:29]
	ds_load_b128 v[2:5], v1 offset:1232
	scratch_load_b128 v[26:29], off, off offset:368
	v_add_f64_e32 v[177:178], v[177:178], v[187:188]
	v_add_f64_e32 v[179:180], v[179:180], v[183:184]
	v_fma_f64 v[181:182], v[8:9], v[30:31], v[181:182]
	v_fma_f64 v[187:188], v[6:7], v[30:31], -v[32:33]
	ds_load_b128 v[6:9], v1 offset:1248
	s_wait_loadcnt_dscnt 0x801
	v_mul_f64_e32 v[183:184], v[2:3], v[36:37]
	v_mul_f64_e32 v[36:37], v[4:5], v[36:37]
	scratch_load_b128 v[30:33], off, off offset:384
	v_add_f64_e32 v[177:178], v[177:178], v[189:190]
	v_add_f64_e32 v[179:180], v[179:180], v[185:186]
	s_wait_loadcnt_dscnt 0x800
	v_mul_f64_e32 v[185:186], v[6:7], v[175:176]
	v_mul_f64_e32 v[175:176], v[8:9], v[175:176]
	v_fma_f64 v[183:184], v[4:5], v[34:35], v[183:184]
	v_fma_f64 v[189:190], v[2:3], v[34:35], -v[36:37]
	ds_load_b128 v[2:5], v1 offset:1264
	scratch_load_b128 v[34:37], off, off offset:400
	v_add_f64_e32 v[177:178], v[177:178], v[187:188]
	v_add_f64_e32 v[179:180], v[179:180], v[181:182]
	v_fma_f64 v[185:186], v[8:9], v[173:174], v[185:186]
	v_fma_f64 v[187:188], v[6:7], v[173:174], -v[175:176]
	ds_load_b128 v[6:9], v1 offset:1280
	scratch_load_b128 v[173:176], off, off offset:416
	s_wait_loadcnt_dscnt 0x901
	v_mul_f64_e32 v[181:182], v[2:3], v[40:41]
	v_mul_f64_e32 v[40:41], v[4:5], v[40:41]
	v_add_f64_e32 v[177:178], v[177:178], v[189:190]
	v_add_f64_e32 v[179:180], v[179:180], v[183:184]
	s_wait_loadcnt_dscnt 0x800
	v_mul_f64_e32 v[183:184], v[6:7], v[171:172]
	v_mul_f64_e32 v[171:172], v[8:9], v[171:172]
	v_fma_f64 v[181:182], v[4:5], v[38:39], v[181:182]
	v_fma_f64 v[189:190], v[2:3], v[38:39], -v[40:41]
	ds_load_b128 v[2:5], v1 offset:1296
	scratch_load_b128 v[38:41], off, off offset:432
	v_add_f64_e32 v[177:178], v[177:178], v[187:188]
	v_add_f64_e32 v[179:180], v[179:180], v[185:186]
	v_fma_f64 v[183:184], v[8:9], v[169:170], v[183:184]
	v_fma_f64 v[187:188], v[6:7], v[169:170], -v[171:172]
	ds_load_b128 v[6:9], v1 offset:1312
	s_wait_loadcnt_dscnt 0x801
	v_mul_f64_e32 v[185:186], v[2:3], v[12:13]
	v_mul_f64_e32 v[12:13], v[4:5], v[12:13]
	scratch_load_b128 v[169:172], off, off offset:448
	v_add_f64_e32 v[177:178], v[177:178], v[189:190]
	v_add_f64_e32 v[179:180], v[179:180], v[181:182]
	s_wait_loadcnt_dscnt 0x800
	v_mul_f64_e32 v[181:182], v[6:7], v[16:17]
	v_mul_f64_e32 v[16:17], v[8:9], v[16:17]
	v_fma_f64 v[185:186], v[4:5], v[10:11], v[185:186]
	v_fma_f64 v[189:190], v[2:3], v[10:11], -v[12:13]
	ds_load_b128 v[2:5], v1 offset:1328
	scratch_load_b128 v[10:13], off, off offset:464
	v_add_f64_e32 v[177:178], v[177:178], v[187:188]
	v_add_f64_e32 v[179:180], v[179:180], v[183:184]
	v_fma_f64 v[181:182], v[8:9], v[14:15], v[181:182]
	v_fma_f64 v[187:188], v[6:7], v[14:15], -v[16:17]
	ds_load_b128 v[6:9], v1 offset:1344
	s_wait_loadcnt_dscnt 0x801
	v_mul_f64_e32 v[183:184], v[2:3], v[20:21]
	v_mul_f64_e32 v[20:21], v[4:5], v[20:21]
	scratch_load_b128 v[14:17], off, off offset:480
	;; [unrolled: 18-line block ×18, first 2 shown]
	v_add_f64_e32 v[177:178], v[177:178], v[189:190]
	v_add_f64_e32 v[179:180], v[179:180], v[183:184]
	s_wait_loadcnt_dscnt 0x800
	v_mul_f64_e32 v[183:184], v[6:7], v[32:33]
	v_mul_f64_e32 v[32:33], v[8:9], v[32:33]
	v_fma_f64 v[181:182], v[4:5], v[26:27], v[181:182]
	v_fma_f64 v[189:190], v[2:3], v[26:27], -v[28:29]
	ds_load_b128 v[2:5], v1 offset:1872
	scratch_load_b128 v[26:29], off, off offset:1008
	v_add_f64_e32 v[177:178], v[177:178], v[187:188]
	v_add_f64_e32 v[179:180], v[179:180], v[185:186]
	v_fma_f64 v[183:184], v[8:9], v[30:31], v[183:184]
	v_fma_f64 v[30:31], v[6:7], v[30:31], -v[32:33]
	ds_load_b128 v[6:9], v1 offset:1888
	s_wait_loadcnt_dscnt 0x801
	v_mul_f64_e32 v[185:186], v[2:3], v[36:37]
	v_mul_f64_e32 v[36:37], v[4:5], v[36:37]
	v_add_f64_e32 v[32:33], v[177:178], v[189:190]
	v_add_f64_e32 v[177:178], v[179:180], v[181:182]
	s_wait_loadcnt_dscnt 0x700
	v_mul_f64_e32 v[179:180], v[6:7], v[175:176]
	v_mul_f64_e32 v[175:176], v[8:9], v[175:176]
	v_fma_f64 v[181:182], v[4:5], v[34:35], v[185:186]
	v_fma_f64 v[34:35], v[2:3], v[34:35], -v[36:37]
	ds_load_b128 v[2:5], v1 offset:1904
	v_add_f64_e32 v[30:31], v[32:33], v[30:31]
	v_add_f64_e32 v[32:33], v[177:178], v[183:184]
	v_fma_f64 v[177:178], v[8:9], v[173:174], v[179:180]
	v_fma_f64 v[173:174], v[6:7], v[173:174], -v[175:176]
	ds_load_b128 v[6:9], v1 offset:1920
	s_wait_loadcnt_dscnt 0x500
	v_mul_f64_e32 v[179:180], v[6:7], v[171:172]
	v_mul_f64_e32 v[171:172], v[8:9], v[171:172]
	v_add_f64_e32 v[34:35], v[30:31], v[34:35]
	v_add_f64_e32 v[175:176], v[32:33], v[181:182]
	scratch_load_b128 v[30:33], off, off offset:96
	v_mul_f64_e32 v[36:37], v[2:3], v[40:41]
	v_mul_f64_e32 v[40:41], v[4:5], v[40:41]
	v_add_f64_e32 v[34:35], v[34:35], v[173:174]
	s_delay_alu instid0(VALU_DEP_3) | instskip(NEXT) | instid1(VALU_DEP_3)
	v_fma_f64 v[36:37], v[4:5], v[38:39], v[36:37]
	v_fma_f64 v[38:39], v[2:3], v[38:39], -v[40:41]
	v_add_f64_e32 v[40:41], v[175:176], v[177:178]
	ds_load_b128 v[2:5], v1 offset:1936
	v_fma_f64 v[175:176], v[8:9], v[169:170], v[179:180]
	v_fma_f64 v[169:170], v[6:7], v[169:170], -v[171:172]
	ds_load_b128 v[6:9], v1 offset:1952
	s_wait_loadcnt_dscnt 0x501
	v_mul_f64_e32 v[173:174], v[2:3], v[12:13]
	v_mul_f64_e32 v[12:13], v[4:5], v[12:13]
	v_add_f64_e32 v[34:35], v[34:35], v[38:39]
	v_add_f64_e32 v[36:37], v[40:41], v[36:37]
	s_wait_loadcnt_dscnt 0x400
	v_mul_f64_e32 v[38:39], v[6:7], v[16:17]
	v_mul_f64_e32 v[16:17], v[8:9], v[16:17]
	v_fma_f64 v[40:41], v[4:5], v[10:11], v[173:174]
	v_fma_f64 v[10:11], v[2:3], v[10:11], -v[12:13]
	ds_load_b128 v[2:5], v1 offset:1968
	v_add_f64_e32 v[12:13], v[34:35], v[169:170]
	v_add_f64_e32 v[34:35], v[36:37], v[175:176]
	v_fma_f64 v[38:39], v[8:9], v[14:15], v[38:39]
	v_fma_f64 v[14:15], v[6:7], v[14:15], -v[16:17]
	ds_load_b128 v[6:9], v1 offset:1984
	s_wait_loadcnt_dscnt 0x301
	v_mul_f64_e32 v[36:37], v[2:3], v[20:21]
	v_mul_f64_e32 v[20:21], v[4:5], v[20:21]
	s_wait_loadcnt_dscnt 0x200
	v_mul_f64_e32 v[16:17], v[6:7], v[24:25]
	v_mul_f64_e32 v[24:25], v[8:9], v[24:25]
	v_add_f64_e32 v[10:11], v[12:13], v[10:11]
	v_add_f64_e32 v[12:13], v[34:35], v[40:41]
	v_fma_f64 v[34:35], v[4:5], v[18:19], v[36:37]
	v_fma_f64 v[18:19], v[2:3], v[18:19], -v[20:21]
	ds_load_b128 v[2:5], v1 offset:2000
	v_fma_f64 v[8:9], v[8:9], v[22:23], v[16:17]
	v_fma_f64 v[6:7], v[6:7], v[22:23], -v[24:25]
	s_wait_loadcnt_dscnt 0x100
	v_mul_f64_e32 v[20:21], v[4:5], v[28:29]
	v_add_f64_e32 v[10:11], v[10:11], v[14:15]
	v_add_f64_e32 v[12:13], v[12:13], v[38:39]
	v_mul_f64_e32 v[14:15], v[2:3], v[28:29]
	s_delay_alu instid0(VALU_DEP_4) | instskip(NEXT) | instid1(VALU_DEP_4)
	v_fma_f64 v[2:3], v[2:3], v[26:27], -v[20:21]
	v_add_f64_e32 v[10:11], v[10:11], v[18:19]
	s_delay_alu instid0(VALU_DEP_4) | instskip(NEXT) | instid1(VALU_DEP_4)
	v_add_f64_e32 v[12:13], v[12:13], v[34:35]
	v_fma_f64 v[4:5], v[4:5], v[26:27], v[14:15]
	s_delay_alu instid0(VALU_DEP_3) | instskip(NEXT) | instid1(VALU_DEP_3)
	v_add_f64_e32 v[6:7], v[10:11], v[6:7]
	v_add_f64_e32 v[8:9], v[12:13], v[8:9]
	s_delay_alu instid0(VALU_DEP_2) | instskip(NEXT) | instid1(VALU_DEP_2)
	v_add_f64_e32 v[2:3], v[6:7], v[2:3]
	v_add_f64_e32 v[4:5], v[8:9], v[4:5]
	s_wait_loadcnt 0x0
	s_delay_alu instid0(VALU_DEP_2) | instskip(NEXT) | instid1(VALU_DEP_2)
	v_add_f64_e64 v[2:3], v[30:31], -v[2:3]
	v_add_f64_e64 v[4:5], v[32:33], -v[4:5]
	scratch_store_b128 off, v[2:5], off offset:96
	v_cmpx_lt_u32_e32 4, v0
	s_cbranch_execz .LBB126_395
; %bb.394:
	scratch_load_b128 v[5:8], off, s4
	v_dual_mov_b32 v2, v1 :: v_dual_mov_b32 v3, v1
	v_mov_b32_e32 v4, v1
	scratch_store_b128 off, v[1:4], off offset:80
	s_wait_loadcnt 0x0
	ds_store_b128 v168, v[5:8]
.LBB126_395:
	s_wait_alu 0xfffe
	s_or_b32 exec_lo, exec_lo, s0
	s_wait_storecnt_dscnt 0x0
	s_barrier_signal -1
	s_barrier_wait -1
	global_inv scope:SCOPE_SE
	s_clause 0x7
	scratch_load_b128 v[2:5], off, off offset:96
	scratch_load_b128 v[6:9], off, off offset:112
	;; [unrolled: 1-line block ×8, first 2 shown]
	ds_load_b128 v[38:41], v1 offset:1088
	ds_load_b128 v[169:172], v1 offset:1104
	s_clause 0x1
	scratch_load_b128 v[34:37], off, off offset:224
	scratch_load_b128 v[173:176], off, off offset:240
	s_mov_b32 s0, exec_lo
	s_wait_loadcnt_dscnt 0x901
	v_mul_f64_e32 v[177:178], v[40:41], v[4:5]
	v_mul_f64_e32 v[4:5], v[38:39], v[4:5]
	s_wait_loadcnt_dscnt 0x800
	v_mul_f64_e32 v[179:180], v[169:170], v[8:9]
	v_mul_f64_e32 v[8:9], v[171:172], v[8:9]
	s_delay_alu instid0(VALU_DEP_4) | instskip(NEXT) | instid1(VALU_DEP_4)
	v_fma_f64 v[177:178], v[38:39], v[2:3], -v[177:178]
	v_fma_f64 v[181:182], v[40:41], v[2:3], v[4:5]
	ds_load_b128 v[2:5], v1 offset:1120
	scratch_load_b128 v[38:41], off, off offset:256
	v_fma_f64 v[179:180], v[171:172], v[6:7], v[179:180]
	v_fma_f64 v[185:186], v[169:170], v[6:7], -v[8:9]
	ds_load_b128 v[6:9], v1 offset:1136
	scratch_load_b128 v[169:172], off, off offset:272
	s_wait_loadcnt_dscnt 0x901
	v_mul_f64_e32 v[183:184], v[2:3], v[12:13]
	v_mul_f64_e32 v[12:13], v[4:5], v[12:13]
	s_wait_loadcnt_dscnt 0x800
	v_mul_f64_e32 v[187:188], v[6:7], v[16:17]
	v_mul_f64_e32 v[16:17], v[8:9], v[16:17]
	v_add_f64_e32 v[177:178], 0, v[177:178]
	v_add_f64_e32 v[181:182], 0, v[181:182]
	v_fma_f64 v[183:184], v[4:5], v[10:11], v[183:184]
	v_fma_f64 v[189:190], v[2:3], v[10:11], -v[12:13]
	ds_load_b128 v[2:5], v1 offset:1152
	scratch_load_b128 v[10:13], off, off offset:288
	v_add_f64_e32 v[177:178], v[177:178], v[185:186]
	v_add_f64_e32 v[179:180], v[181:182], v[179:180]
	v_fma_f64 v[185:186], v[8:9], v[14:15], v[187:188]
	v_fma_f64 v[187:188], v[6:7], v[14:15], -v[16:17]
	ds_load_b128 v[6:9], v1 offset:1168
	scratch_load_b128 v[14:17], off, off offset:304
	s_wait_loadcnt_dscnt 0x901
	v_mul_f64_e32 v[181:182], v[2:3], v[20:21]
	v_mul_f64_e32 v[20:21], v[4:5], v[20:21]
	v_add_f64_e32 v[177:178], v[177:178], v[189:190]
	v_add_f64_e32 v[179:180], v[179:180], v[183:184]
	s_wait_loadcnt_dscnt 0x800
	v_mul_f64_e32 v[183:184], v[6:7], v[24:25]
	v_mul_f64_e32 v[24:25], v[8:9], v[24:25]
	v_fma_f64 v[181:182], v[4:5], v[18:19], v[181:182]
	v_fma_f64 v[189:190], v[2:3], v[18:19], -v[20:21]
	ds_load_b128 v[2:5], v1 offset:1184
	scratch_load_b128 v[18:21], off, off offset:320
	v_add_f64_e32 v[177:178], v[177:178], v[187:188]
	v_add_f64_e32 v[179:180], v[179:180], v[185:186]
	v_fma_f64 v[183:184], v[8:9], v[22:23], v[183:184]
	v_fma_f64 v[187:188], v[6:7], v[22:23], -v[24:25]
	ds_load_b128 v[6:9], v1 offset:1200
	s_wait_loadcnt_dscnt 0x801
	v_mul_f64_e32 v[185:186], v[2:3], v[28:29]
	v_mul_f64_e32 v[28:29], v[4:5], v[28:29]
	scratch_load_b128 v[22:25], off, off offset:336
	v_add_f64_e32 v[177:178], v[177:178], v[189:190]
	v_add_f64_e32 v[179:180], v[179:180], v[181:182]
	s_wait_loadcnt_dscnt 0x800
	v_mul_f64_e32 v[181:182], v[6:7], v[32:33]
	v_mul_f64_e32 v[32:33], v[8:9], v[32:33]
	v_fma_f64 v[185:186], v[4:5], v[26:27], v[185:186]
	v_fma_f64 v[189:190], v[2:3], v[26:27], -v[28:29]
	ds_load_b128 v[2:5], v1 offset:1216
	scratch_load_b128 v[26:29], off, off offset:352
	v_add_f64_e32 v[177:178], v[177:178], v[187:188]
	v_add_f64_e32 v[179:180], v[179:180], v[183:184]
	v_fma_f64 v[181:182], v[8:9], v[30:31], v[181:182]
	v_fma_f64 v[187:188], v[6:7], v[30:31], -v[32:33]
	ds_load_b128 v[6:9], v1 offset:1232
	s_wait_loadcnt_dscnt 0x801
	v_mul_f64_e32 v[183:184], v[2:3], v[36:37]
	v_mul_f64_e32 v[36:37], v[4:5], v[36:37]
	scratch_load_b128 v[30:33], off, off offset:368
	v_add_f64_e32 v[177:178], v[177:178], v[189:190]
	v_add_f64_e32 v[179:180], v[179:180], v[185:186]
	s_wait_loadcnt_dscnt 0x800
	v_mul_f64_e32 v[185:186], v[6:7], v[175:176]
	v_mul_f64_e32 v[175:176], v[8:9], v[175:176]
	v_fma_f64 v[183:184], v[4:5], v[34:35], v[183:184]
	v_fma_f64 v[189:190], v[2:3], v[34:35], -v[36:37]
	ds_load_b128 v[2:5], v1 offset:1248
	scratch_load_b128 v[34:37], off, off offset:384
	v_add_f64_e32 v[177:178], v[177:178], v[187:188]
	v_add_f64_e32 v[179:180], v[179:180], v[181:182]
	v_fma_f64 v[185:186], v[8:9], v[173:174], v[185:186]
	v_fma_f64 v[187:188], v[6:7], v[173:174], -v[175:176]
	ds_load_b128 v[6:9], v1 offset:1264
	scratch_load_b128 v[173:176], off, off offset:400
	s_wait_loadcnt_dscnt 0x901
	v_mul_f64_e32 v[181:182], v[2:3], v[40:41]
	v_mul_f64_e32 v[40:41], v[4:5], v[40:41]
	v_add_f64_e32 v[177:178], v[177:178], v[189:190]
	v_add_f64_e32 v[179:180], v[179:180], v[183:184]
	s_wait_loadcnt_dscnt 0x800
	v_mul_f64_e32 v[183:184], v[6:7], v[171:172]
	v_mul_f64_e32 v[171:172], v[8:9], v[171:172]
	v_fma_f64 v[181:182], v[4:5], v[38:39], v[181:182]
	v_fma_f64 v[189:190], v[2:3], v[38:39], -v[40:41]
	ds_load_b128 v[2:5], v1 offset:1280
	scratch_load_b128 v[38:41], off, off offset:416
	v_add_f64_e32 v[177:178], v[177:178], v[187:188]
	v_add_f64_e32 v[179:180], v[179:180], v[185:186]
	v_fma_f64 v[183:184], v[8:9], v[169:170], v[183:184]
	v_fma_f64 v[187:188], v[6:7], v[169:170], -v[171:172]
	ds_load_b128 v[6:9], v1 offset:1296
	s_wait_loadcnt_dscnt 0x801
	v_mul_f64_e32 v[185:186], v[2:3], v[12:13]
	v_mul_f64_e32 v[12:13], v[4:5], v[12:13]
	scratch_load_b128 v[169:172], off, off offset:432
	v_add_f64_e32 v[177:178], v[177:178], v[189:190]
	v_add_f64_e32 v[179:180], v[179:180], v[181:182]
	s_wait_loadcnt_dscnt 0x800
	v_mul_f64_e32 v[181:182], v[6:7], v[16:17]
	v_mul_f64_e32 v[16:17], v[8:9], v[16:17]
	v_fma_f64 v[185:186], v[4:5], v[10:11], v[185:186]
	v_fma_f64 v[189:190], v[2:3], v[10:11], -v[12:13]
	ds_load_b128 v[2:5], v1 offset:1312
	scratch_load_b128 v[10:13], off, off offset:448
	v_add_f64_e32 v[177:178], v[177:178], v[187:188]
	v_add_f64_e32 v[179:180], v[179:180], v[183:184]
	v_fma_f64 v[181:182], v[8:9], v[14:15], v[181:182]
	v_fma_f64 v[187:188], v[6:7], v[14:15], -v[16:17]
	ds_load_b128 v[6:9], v1 offset:1328
	s_wait_loadcnt_dscnt 0x801
	v_mul_f64_e32 v[183:184], v[2:3], v[20:21]
	v_mul_f64_e32 v[20:21], v[4:5], v[20:21]
	scratch_load_b128 v[14:17], off, off offset:464
	;; [unrolled: 18-line block ×19, first 2 shown]
	v_add_f64_e32 v[177:178], v[177:178], v[189:190]
	v_add_f64_e32 v[179:180], v[179:180], v[181:182]
	s_wait_loadcnt_dscnt 0x800
	v_mul_f64_e32 v[181:182], v[6:7], v[175:176]
	v_mul_f64_e32 v[175:176], v[8:9], v[175:176]
	v_fma_f64 v[185:186], v[4:5], v[34:35], v[185:186]
	v_fma_f64 v[34:35], v[2:3], v[34:35], -v[36:37]
	ds_load_b128 v[2:5], v1 offset:1888
	v_add_f64_e32 v[36:37], v[177:178], v[187:188]
	v_add_f64_e32 v[177:178], v[179:180], v[183:184]
	v_fma_f64 v[181:182], v[8:9], v[173:174], v[181:182]
	v_fma_f64 v[173:174], v[6:7], v[173:174], -v[175:176]
	ds_load_b128 v[6:9], v1 offset:1904
	s_wait_loadcnt_dscnt 0x701
	v_mul_f64_e32 v[179:180], v[2:3], v[40:41]
	v_mul_f64_e32 v[40:41], v[4:5], v[40:41]
	v_add_f64_e32 v[34:35], v[36:37], v[34:35]
	v_add_f64_e32 v[36:37], v[177:178], v[185:186]
	s_delay_alu instid0(VALU_DEP_4) | instskip(NEXT) | instid1(VALU_DEP_4)
	v_fma_f64 v[177:178], v[4:5], v[38:39], v[179:180]
	v_fma_f64 v[38:39], v[2:3], v[38:39], -v[40:41]
	ds_load_b128 v[2:5], v1 offset:1920
	v_add_f64_e32 v[40:41], v[34:35], v[173:174]
	v_add_f64_e32 v[173:174], v[36:37], v[181:182]
	scratch_load_b128 v[34:37], off, off offset:80
	s_wait_loadcnt_dscnt 0x701
	v_mul_f64_e32 v[175:176], v[6:7], v[171:172]
	v_mul_f64_e32 v[171:172], v[8:9], v[171:172]
	v_add_f64_e32 v[38:39], v[40:41], v[38:39]
	v_add_f64_e32 v[40:41], v[173:174], v[177:178]
	s_delay_alu instid0(VALU_DEP_4) | instskip(NEXT) | instid1(VALU_DEP_4)
	v_fma_f64 v[175:176], v[8:9], v[169:170], v[175:176]
	v_fma_f64 v[169:170], v[6:7], v[169:170], -v[171:172]
	ds_load_b128 v[6:9], v1 offset:1936
	s_wait_loadcnt_dscnt 0x601
	v_mul_f64_e32 v[179:180], v[2:3], v[12:13]
	v_mul_f64_e32 v[12:13], v[4:5], v[12:13]
	s_wait_loadcnt_dscnt 0x500
	v_mul_f64_e32 v[171:172], v[6:7], v[16:17]
	v_mul_f64_e32 v[16:17], v[8:9], v[16:17]
	s_delay_alu instid0(VALU_DEP_4) | instskip(NEXT) | instid1(VALU_DEP_4)
	v_fma_f64 v[173:174], v[4:5], v[10:11], v[179:180]
	v_fma_f64 v[10:11], v[2:3], v[10:11], -v[12:13]
	v_add_f64_e32 v[12:13], v[38:39], v[169:170]
	v_add_f64_e32 v[38:39], v[40:41], v[175:176]
	ds_load_b128 v[2:5], v1 offset:1952
	v_fma_f64 v[169:170], v[8:9], v[14:15], v[171:172]
	v_fma_f64 v[14:15], v[6:7], v[14:15], -v[16:17]
	ds_load_b128 v[6:9], v1 offset:1968
	s_wait_loadcnt_dscnt 0x401
	v_mul_f64_e32 v[40:41], v[2:3], v[20:21]
	v_mul_f64_e32 v[20:21], v[4:5], v[20:21]
	v_add_f64_e32 v[10:11], v[12:13], v[10:11]
	v_add_f64_e32 v[12:13], v[38:39], v[173:174]
	s_wait_loadcnt_dscnt 0x300
	v_mul_f64_e32 v[16:17], v[6:7], v[24:25]
	v_mul_f64_e32 v[24:25], v[8:9], v[24:25]
	v_fma_f64 v[38:39], v[4:5], v[18:19], v[40:41]
	v_fma_f64 v[18:19], v[2:3], v[18:19], -v[20:21]
	ds_load_b128 v[2:5], v1 offset:1984
	v_add_f64_e32 v[10:11], v[10:11], v[14:15]
	v_add_f64_e32 v[12:13], v[12:13], v[169:170]
	v_fma_f64 v[16:17], v[8:9], v[22:23], v[16:17]
	v_fma_f64 v[22:23], v[6:7], v[22:23], -v[24:25]
	ds_load_b128 v[6:9], v1 offset:2000
	s_wait_loadcnt_dscnt 0x201
	v_mul_f64_e32 v[14:15], v[2:3], v[28:29]
	v_mul_f64_e32 v[20:21], v[4:5], v[28:29]
	s_wait_loadcnt_dscnt 0x100
	v_mul_f64_e32 v[24:25], v[8:9], v[32:33]
	v_add_f64_e32 v[10:11], v[10:11], v[18:19]
	v_add_f64_e32 v[12:13], v[12:13], v[38:39]
	v_mul_f64_e32 v[18:19], v[6:7], v[32:33]
	v_fma_f64 v[4:5], v[4:5], v[26:27], v[14:15]
	v_fma_f64 v[1:2], v[2:3], v[26:27], -v[20:21]
	v_fma_f64 v[6:7], v[6:7], v[30:31], -v[24:25]
	v_add_f64_e32 v[10:11], v[10:11], v[22:23]
	v_add_f64_e32 v[12:13], v[12:13], v[16:17]
	v_fma_f64 v[8:9], v[8:9], v[30:31], v[18:19]
	s_delay_alu instid0(VALU_DEP_3) | instskip(NEXT) | instid1(VALU_DEP_3)
	v_add_f64_e32 v[1:2], v[10:11], v[1:2]
	v_add_f64_e32 v[3:4], v[12:13], v[4:5]
	s_delay_alu instid0(VALU_DEP_2) | instskip(NEXT) | instid1(VALU_DEP_2)
	v_add_f64_e32 v[1:2], v[1:2], v[6:7]
	v_add_f64_e32 v[3:4], v[3:4], v[8:9]
	s_wait_loadcnt 0x0
	s_delay_alu instid0(VALU_DEP_2) | instskip(NEXT) | instid1(VALU_DEP_2)
	v_add_f64_e64 v[1:2], v[34:35], -v[1:2]
	v_add_f64_e64 v[3:4], v[36:37], -v[3:4]
	scratch_store_b128 off, v[1:4], off offset:80
	v_cmpx_lt_u32_e32 3, v0
	s_cbranch_execz .LBB126_397
; %bb.396:
	scratch_load_b128 v[1:4], off, s12
	v_mov_b32_e32 v5, 0
	s_delay_alu instid0(VALU_DEP_1)
	v_dual_mov_b32 v6, v5 :: v_dual_mov_b32 v7, v5
	v_mov_b32_e32 v8, v5
	scratch_store_b128 off, v[5:8], off offset:64
	s_wait_loadcnt 0x0
	ds_store_b128 v168, v[1:4]
.LBB126_397:
	s_wait_alu 0xfffe
	s_or_b32 exec_lo, exec_lo, s0
	s_wait_storecnt_dscnt 0x0
	s_barrier_signal -1
	s_barrier_wait -1
	global_inv scope:SCOPE_SE
	s_clause 0x7
	scratch_load_b128 v[2:5], off, off offset:80
	scratch_load_b128 v[6:9], off, off offset:96
	;; [unrolled: 1-line block ×8, first 2 shown]
	v_mov_b32_e32 v1, 0
	s_clause 0x1
	scratch_load_b128 v[34:37], off, off offset:208
	scratch_load_b128 v[173:176], off, off offset:224
	s_mov_b32 s0, exec_lo
	ds_load_b128 v[38:41], v1 offset:1072
	ds_load_b128 v[169:172], v1 offset:1088
	s_wait_loadcnt_dscnt 0x901
	v_mul_f64_e32 v[177:178], v[40:41], v[4:5]
	v_mul_f64_e32 v[4:5], v[38:39], v[4:5]
	s_wait_loadcnt_dscnt 0x800
	v_mul_f64_e32 v[179:180], v[169:170], v[8:9]
	v_mul_f64_e32 v[8:9], v[171:172], v[8:9]
	s_delay_alu instid0(VALU_DEP_4) | instskip(NEXT) | instid1(VALU_DEP_4)
	v_fma_f64 v[177:178], v[38:39], v[2:3], -v[177:178]
	v_fma_f64 v[181:182], v[40:41], v[2:3], v[4:5]
	ds_load_b128 v[2:5], v1 offset:1104
	scratch_load_b128 v[38:41], off, off offset:240
	v_fma_f64 v[179:180], v[171:172], v[6:7], v[179:180]
	v_fma_f64 v[185:186], v[169:170], v[6:7], -v[8:9]
	ds_load_b128 v[6:9], v1 offset:1120
	scratch_load_b128 v[169:172], off, off offset:256
	s_wait_loadcnt_dscnt 0x901
	v_mul_f64_e32 v[183:184], v[2:3], v[12:13]
	v_mul_f64_e32 v[12:13], v[4:5], v[12:13]
	s_wait_loadcnt_dscnt 0x800
	v_mul_f64_e32 v[187:188], v[6:7], v[16:17]
	v_mul_f64_e32 v[16:17], v[8:9], v[16:17]
	v_add_f64_e32 v[177:178], 0, v[177:178]
	v_add_f64_e32 v[181:182], 0, v[181:182]
	v_fma_f64 v[183:184], v[4:5], v[10:11], v[183:184]
	v_fma_f64 v[189:190], v[2:3], v[10:11], -v[12:13]
	ds_load_b128 v[2:5], v1 offset:1136
	scratch_load_b128 v[10:13], off, off offset:272
	v_add_f64_e32 v[177:178], v[177:178], v[185:186]
	v_add_f64_e32 v[179:180], v[181:182], v[179:180]
	v_fma_f64 v[185:186], v[8:9], v[14:15], v[187:188]
	v_fma_f64 v[187:188], v[6:7], v[14:15], -v[16:17]
	ds_load_b128 v[6:9], v1 offset:1152
	scratch_load_b128 v[14:17], off, off offset:288
	s_wait_loadcnt_dscnt 0x901
	v_mul_f64_e32 v[181:182], v[2:3], v[20:21]
	v_mul_f64_e32 v[20:21], v[4:5], v[20:21]
	v_add_f64_e32 v[177:178], v[177:178], v[189:190]
	v_add_f64_e32 v[179:180], v[179:180], v[183:184]
	s_wait_loadcnt_dscnt 0x800
	v_mul_f64_e32 v[183:184], v[6:7], v[24:25]
	v_mul_f64_e32 v[24:25], v[8:9], v[24:25]
	v_fma_f64 v[181:182], v[4:5], v[18:19], v[181:182]
	v_fma_f64 v[189:190], v[2:3], v[18:19], -v[20:21]
	ds_load_b128 v[2:5], v1 offset:1168
	scratch_load_b128 v[18:21], off, off offset:304
	v_add_f64_e32 v[177:178], v[177:178], v[187:188]
	v_add_f64_e32 v[179:180], v[179:180], v[185:186]
	v_fma_f64 v[183:184], v[8:9], v[22:23], v[183:184]
	v_fma_f64 v[187:188], v[6:7], v[22:23], -v[24:25]
	ds_load_b128 v[6:9], v1 offset:1184
	s_wait_loadcnt_dscnt 0x801
	v_mul_f64_e32 v[185:186], v[2:3], v[28:29]
	v_mul_f64_e32 v[28:29], v[4:5], v[28:29]
	scratch_load_b128 v[22:25], off, off offset:320
	v_add_f64_e32 v[177:178], v[177:178], v[189:190]
	v_add_f64_e32 v[179:180], v[179:180], v[181:182]
	s_wait_loadcnt_dscnt 0x800
	v_mul_f64_e32 v[181:182], v[6:7], v[32:33]
	v_mul_f64_e32 v[32:33], v[8:9], v[32:33]
	v_fma_f64 v[185:186], v[4:5], v[26:27], v[185:186]
	v_fma_f64 v[189:190], v[2:3], v[26:27], -v[28:29]
	ds_load_b128 v[2:5], v1 offset:1200
	scratch_load_b128 v[26:29], off, off offset:336
	v_add_f64_e32 v[177:178], v[177:178], v[187:188]
	v_add_f64_e32 v[179:180], v[179:180], v[183:184]
	v_fma_f64 v[181:182], v[8:9], v[30:31], v[181:182]
	v_fma_f64 v[187:188], v[6:7], v[30:31], -v[32:33]
	ds_load_b128 v[6:9], v1 offset:1216
	s_wait_loadcnt_dscnt 0x801
	v_mul_f64_e32 v[183:184], v[2:3], v[36:37]
	v_mul_f64_e32 v[36:37], v[4:5], v[36:37]
	scratch_load_b128 v[30:33], off, off offset:352
	v_add_f64_e32 v[177:178], v[177:178], v[189:190]
	v_add_f64_e32 v[179:180], v[179:180], v[185:186]
	s_wait_loadcnt_dscnt 0x800
	v_mul_f64_e32 v[185:186], v[6:7], v[175:176]
	v_mul_f64_e32 v[175:176], v[8:9], v[175:176]
	v_fma_f64 v[183:184], v[4:5], v[34:35], v[183:184]
	v_fma_f64 v[189:190], v[2:3], v[34:35], -v[36:37]
	ds_load_b128 v[2:5], v1 offset:1232
	scratch_load_b128 v[34:37], off, off offset:368
	v_add_f64_e32 v[177:178], v[177:178], v[187:188]
	v_add_f64_e32 v[179:180], v[179:180], v[181:182]
	v_fma_f64 v[185:186], v[8:9], v[173:174], v[185:186]
	v_fma_f64 v[187:188], v[6:7], v[173:174], -v[175:176]
	ds_load_b128 v[6:9], v1 offset:1248
	scratch_load_b128 v[173:176], off, off offset:384
	s_wait_loadcnt_dscnt 0x901
	v_mul_f64_e32 v[181:182], v[2:3], v[40:41]
	v_mul_f64_e32 v[40:41], v[4:5], v[40:41]
	v_add_f64_e32 v[177:178], v[177:178], v[189:190]
	v_add_f64_e32 v[179:180], v[179:180], v[183:184]
	s_wait_loadcnt_dscnt 0x800
	v_mul_f64_e32 v[183:184], v[6:7], v[171:172]
	v_mul_f64_e32 v[171:172], v[8:9], v[171:172]
	v_fma_f64 v[181:182], v[4:5], v[38:39], v[181:182]
	v_fma_f64 v[189:190], v[2:3], v[38:39], -v[40:41]
	ds_load_b128 v[2:5], v1 offset:1264
	scratch_load_b128 v[38:41], off, off offset:400
	v_add_f64_e32 v[177:178], v[177:178], v[187:188]
	v_add_f64_e32 v[179:180], v[179:180], v[185:186]
	v_fma_f64 v[183:184], v[8:9], v[169:170], v[183:184]
	v_fma_f64 v[187:188], v[6:7], v[169:170], -v[171:172]
	ds_load_b128 v[6:9], v1 offset:1280
	s_wait_loadcnt_dscnt 0x801
	v_mul_f64_e32 v[185:186], v[2:3], v[12:13]
	v_mul_f64_e32 v[12:13], v[4:5], v[12:13]
	scratch_load_b128 v[169:172], off, off offset:416
	v_add_f64_e32 v[177:178], v[177:178], v[189:190]
	v_add_f64_e32 v[179:180], v[179:180], v[181:182]
	s_wait_loadcnt_dscnt 0x800
	v_mul_f64_e32 v[181:182], v[6:7], v[16:17]
	v_mul_f64_e32 v[16:17], v[8:9], v[16:17]
	v_fma_f64 v[185:186], v[4:5], v[10:11], v[185:186]
	v_fma_f64 v[189:190], v[2:3], v[10:11], -v[12:13]
	ds_load_b128 v[2:5], v1 offset:1296
	scratch_load_b128 v[10:13], off, off offset:432
	v_add_f64_e32 v[177:178], v[177:178], v[187:188]
	v_add_f64_e32 v[179:180], v[179:180], v[183:184]
	v_fma_f64 v[181:182], v[8:9], v[14:15], v[181:182]
	v_fma_f64 v[187:188], v[6:7], v[14:15], -v[16:17]
	ds_load_b128 v[6:9], v1 offset:1312
	s_wait_loadcnt_dscnt 0x801
	v_mul_f64_e32 v[183:184], v[2:3], v[20:21]
	v_mul_f64_e32 v[20:21], v[4:5], v[20:21]
	scratch_load_b128 v[14:17], off, off offset:448
	;; [unrolled: 18-line block ×19, first 2 shown]
	v_add_f64_e32 v[177:178], v[177:178], v[189:190]
	v_add_f64_e32 v[179:180], v[179:180], v[181:182]
	s_wait_loadcnt_dscnt 0x800
	v_mul_f64_e32 v[181:182], v[6:7], v[175:176]
	v_mul_f64_e32 v[175:176], v[8:9], v[175:176]
	v_fma_f64 v[185:186], v[4:5], v[34:35], v[185:186]
	v_fma_f64 v[189:190], v[2:3], v[34:35], -v[36:37]
	ds_load_b128 v[2:5], v1 offset:1872
	scratch_load_b128 v[34:37], off, off offset:1008
	v_add_f64_e32 v[177:178], v[177:178], v[187:188]
	v_add_f64_e32 v[179:180], v[179:180], v[183:184]
	v_fma_f64 v[181:182], v[8:9], v[173:174], v[181:182]
	v_fma_f64 v[173:174], v[6:7], v[173:174], -v[175:176]
	ds_load_b128 v[6:9], v1 offset:1888
	s_wait_loadcnt_dscnt 0x801
	v_mul_f64_e32 v[183:184], v[2:3], v[40:41]
	v_mul_f64_e32 v[40:41], v[4:5], v[40:41]
	v_add_f64_e32 v[175:176], v[177:178], v[189:190]
	v_add_f64_e32 v[177:178], v[179:180], v[185:186]
	s_wait_loadcnt_dscnt 0x700
	v_mul_f64_e32 v[179:180], v[6:7], v[171:172]
	v_mul_f64_e32 v[171:172], v[8:9], v[171:172]
	v_fma_f64 v[183:184], v[4:5], v[38:39], v[183:184]
	v_fma_f64 v[38:39], v[2:3], v[38:39], -v[40:41]
	ds_load_b128 v[2:5], v1 offset:1904
	v_add_f64_e32 v[40:41], v[175:176], v[173:174]
	v_add_f64_e32 v[173:174], v[177:178], v[181:182]
	v_fma_f64 v[177:178], v[8:9], v[169:170], v[179:180]
	v_fma_f64 v[169:170], v[6:7], v[169:170], -v[171:172]
	ds_load_b128 v[6:9], v1 offset:1920
	s_wait_loadcnt_dscnt 0x500
	v_mul_f64_e32 v[179:180], v[6:7], v[16:17]
	v_mul_f64_e32 v[16:17], v[8:9], v[16:17]
	v_add_f64_e32 v[171:172], v[40:41], v[38:39]
	v_add_f64_e32 v[173:174], v[173:174], v[183:184]
	scratch_load_b128 v[38:41], off, off offset:64
	v_mul_f64_e32 v[175:176], v[2:3], v[12:13]
	v_mul_f64_e32 v[12:13], v[4:5], v[12:13]
	s_delay_alu instid0(VALU_DEP_2) | instskip(NEXT) | instid1(VALU_DEP_2)
	v_fma_f64 v[175:176], v[4:5], v[10:11], v[175:176]
	v_fma_f64 v[10:11], v[2:3], v[10:11], -v[12:13]
	v_add_f64_e32 v[12:13], v[171:172], v[169:170]
	v_add_f64_e32 v[169:170], v[173:174], v[177:178]
	ds_load_b128 v[2:5], v1 offset:1936
	v_fma_f64 v[173:174], v[8:9], v[14:15], v[179:180]
	v_fma_f64 v[14:15], v[6:7], v[14:15], -v[16:17]
	ds_load_b128 v[6:9], v1 offset:1952
	s_wait_loadcnt_dscnt 0x501
	v_mul_f64_e32 v[171:172], v[2:3], v[20:21]
	v_mul_f64_e32 v[20:21], v[4:5], v[20:21]
	s_wait_loadcnt_dscnt 0x400
	v_mul_f64_e32 v[16:17], v[6:7], v[24:25]
	v_mul_f64_e32 v[24:25], v[8:9], v[24:25]
	v_add_f64_e32 v[10:11], v[12:13], v[10:11]
	v_add_f64_e32 v[12:13], v[169:170], v[175:176]
	v_fma_f64 v[169:170], v[4:5], v[18:19], v[171:172]
	v_fma_f64 v[18:19], v[2:3], v[18:19], -v[20:21]
	ds_load_b128 v[2:5], v1 offset:1968
	v_fma_f64 v[16:17], v[8:9], v[22:23], v[16:17]
	v_fma_f64 v[22:23], v[6:7], v[22:23], -v[24:25]
	ds_load_b128 v[6:9], v1 offset:1984
	v_add_f64_e32 v[10:11], v[10:11], v[14:15]
	v_add_f64_e32 v[12:13], v[12:13], v[173:174]
	s_wait_loadcnt_dscnt 0x301
	v_mul_f64_e32 v[14:15], v[2:3], v[28:29]
	v_mul_f64_e32 v[20:21], v[4:5], v[28:29]
	s_wait_loadcnt_dscnt 0x200
	v_mul_f64_e32 v[24:25], v[8:9], v[32:33]
	v_add_f64_e32 v[10:11], v[10:11], v[18:19]
	v_add_f64_e32 v[12:13], v[12:13], v[169:170]
	v_mul_f64_e32 v[18:19], v[6:7], v[32:33]
	v_fma_f64 v[14:15], v[4:5], v[26:27], v[14:15]
	v_fma_f64 v[20:21], v[2:3], v[26:27], -v[20:21]
	ds_load_b128 v[2:5], v1 offset:2000
	v_fma_f64 v[6:7], v[6:7], v[30:31], -v[24:25]
	v_add_f64_e32 v[10:11], v[10:11], v[22:23]
	v_add_f64_e32 v[12:13], v[12:13], v[16:17]
	s_wait_loadcnt_dscnt 0x100
	v_mul_f64_e32 v[16:17], v[2:3], v[36:37]
	v_mul_f64_e32 v[22:23], v[4:5], v[36:37]
	v_fma_f64 v[8:9], v[8:9], v[30:31], v[18:19]
	v_add_f64_e32 v[10:11], v[10:11], v[20:21]
	v_add_f64_e32 v[12:13], v[12:13], v[14:15]
	v_fma_f64 v[4:5], v[4:5], v[34:35], v[16:17]
	v_fma_f64 v[2:3], v[2:3], v[34:35], -v[22:23]
	s_delay_alu instid0(VALU_DEP_4) | instskip(NEXT) | instid1(VALU_DEP_4)
	v_add_f64_e32 v[6:7], v[10:11], v[6:7]
	v_add_f64_e32 v[8:9], v[12:13], v[8:9]
	s_delay_alu instid0(VALU_DEP_2) | instskip(NEXT) | instid1(VALU_DEP_2)
	v_add_f64_e32 v[2:3], v[6:7], v[2:3]
	v_add_f64_e32 v[4:5], v[8:9], v[4:5]
	s_wait_loadcnt 0x0
	s_delay_alu instid0(VALU_DEP_2) | instskip(NEXT) | instid1(VALU_DEP_2)
	v_add_f64_e64 v[2:3], v[38:39], -v[2:3]
	v_add_f64_e64 v[4:5], v[40:41], -v[4:5]
	scratch_store_b128 off, v[2:5], off offset:64
	v_cmpx_lt_u32_e32 2, v0
	s_cbranch_execz .LBB126_399
; %bb.398:
	scratch_load_b128 v[5:8], off, s15
	v_dual_mov_b32 v2, v1 :: v_dual_mov_b32 v3, v1
	v_mov_b32_e32 v4, v1
	scratch_store_b128 off, v[1:4], off offset:48
	s_wait_loadcnt 0x0
	ds_store_b128 v168, v[5:8]
.LBB126_399:
	s_wait_alu 0xfffe
	s_or_b32 exec_lo, exec_lo, s0
	s_wait_storecnt_dscnt 0x0
	s_barrier_signal -1
	s_barrier_wait -1
	global_inv scope:SCOPE_SE
	s_clause 0x7
	scratch_load_b128 v[2:5], off, off offset:64
	scratch_load_b128 v[6:9], off, off offset:80
	scratch_load_b128 v[10:13], off, off offset:96
	scratch_load_b128 v[14:17], off, off offset:112
	scratch_load_b128 v[18:21], off, off offset:128
	scratch_load_b128 v[22:25], off, off offset:144
	scratch_load_b128 v[26:29], off, off offset:160
	scratch_load_b128 v[30:33], off, off offset:176
	ds_load_b128 v[38:41], v1 offset:1056
	ds_load_b128 v[169:172], v1 offset:1072
	s_clause 0x1
	scratch_load_b128 v[34:37], off, off offset:192
	scratch_load_b128 v[173:176], off, off offset:208
	s_mov_b32 s0, exec_lo
	s_wait_loadcnt_dscnt 0x901
	v_mul_f64_e32 v[177:178], v[40:41], v[4:5]
	v_mul_f64_e32 v[4:5], v[38:39], v[4:5]
	s_wait_loadcnt_dscnt 0x800
	v_mul_f64_e32 v[179:180], v[169:170], v[8:9]
	v_mul_f64_e32 v[8:9], v[171:172], v[8:9]
	s_delay_alu instid0(VALU_DEP_4) | instskip(NEXT) | instid1(VALU_DEP_4)
	v_fma_f64 v[177:178], v[38:39], v[2:3], -v[177:178]
	v_fma_f64 v[181:182], v[40:41], v[2:3], v[4:5]
	ds_load_b128 v[2:5], v1 offset:1088
	scratch_load_b128 v[38:41], off, off offset:224
	v_fma_f64 v[179:180], v[171:172], v[6:7], v[179:180]
	v_fma_f64 v[185:186], v[169:170], v[6:7], -v[8:9]
	ds_load_b128 v[6:9], v1 offset:1104
	scratch_load_b128 v[169:172], off, off offset:240
	s_wait_loadcnt_dscnt 0x901
	v_mul_f64_e32 v[183:184], v[2:3], v[12:13]
	v_mul_f64_e32 v[12:13], v[4:5], v[12:13]
	s_wait_loadcnt_dscnt 0x800
	v_mul_f64_e32 v[187:188], v[6:7], v[16:17]
	v_mul_f64_e32 v[16:17], v[8:9], v[16:17]
	v_add_f64_e32 v[177:178], 0, v[177:178]
	v_add_f64_e32 v[181:182], 0, v[181:182]
	v_fma_f64 v[183:184], v[4:5], v[10:11], v[183:184]
	v_fma_f64 v[189:190], v[2:3], v[10:11], -v[12:13]
	ds_load_b128 v[2:5], v1 offset:1120
	scratch_load_b128 v[10:13], off, off offset:256
	v_add_f64_e32 v[177:178], v[177:178], v[185:186]
	v_add_f64_e32 v[179:180], v[181:182], v[179:180]
	v_fma_f64 v[185:186], v[8:9], v[14:15], v[187:188]
	v_fma_f64 v[187:188], v[6:7], v[14:15], -v[16:17]
	ds_load_b128 v[6:9], v1 offset:1136
	scratch_load_b128 v[14:17], off, off offset:272
	s_wait_loadcnt_dscnt 0x901
	v_mul_f64_e32 v[181:182], v[2:3], v[20:21]
	v_mul_f64_e32 v[20:21], v[4:5], v[20:21]
	v_add_f64_e32 v[177:178], v[177:178], v[189:190]
	v_add_f64_e32 v[179:180], v[179:180], v[183:184]
	s_wait_loadcnt_dscnt 0x800
	v_mul_f64_e32 v[183:184], v[6:7], v[24:25]
	v_mul_f64_e32 v[24:25], v[8:9], v[24:25]
	v_fma_f64 v[181:182], v[4:5], v[18:19], v[181:182]
	v_fma_f64 v[189:190], v[2:3], v[18:19], -v[20:21]
	ds_load_b128 v[2:5], v1 offset:1152
	scratch_load_b128 v[18:21], off, off offset:288
	v_add_f64_e32 v[177:178], v[177:178], v[187:188]
	v_add_f64_e32 v[179:180], v[179:180], v[185:186]
	v_fma_f64 v[183:184], v[8:9], v[22:23], v[183:184]
	v_fma_f64 v[187:188], v[6:7], v[22:23], -v[24:25]
	ds_load_b128 v[6:9], v1 offset:1168
	s_wait_loadcnt_dscnt 0x801
	v_mul_f64_e32 v[185:186], v[2:3], v[28:29]
	v_mul_f64_e32 v[28:29], v[4:5], v[28:29]
	scratch_load_b128 v[22:25], off, off offset:304
	v_add_f64_e32 v[177:178], v[177:178], v[189:190]
	v_add_f64_e32 v[179:180], v[179:180], v[181:182]
	s_wait_loadcnt_dscnt 0x800
	v_mul_f64_e32 v[181:182], v[6:7], v[32:33]
	v_mul_f64_e32 v[32:33], v[8:9], v[32:33]
	v_fma_f64 v[185:186], v[4:5], v[26:27], v[185:186]
	v_fma_f64 v[189:190], v[2:3], v[26:27], -v[28:29]
	ds_load_b128 v[2:5], v1 offset:1184
	scratch_load_b128 v[26:29], off, off offset:320
	v_add_f64_e32 v[177:178], v[177:178], v[187:188]
	v_add_f64_e32 v[179:180], v[179:180], v[183:184]
	v_fma_f64 v[181:182], v[8:9], v[30:31], v[181:182]
	v_fma_f64 v[187:188], v[6:7], v[30:31], -v[32:33]
	ds_load_b128 v[6:9], v1 offset:1200
	s_wait_loadcnt_dscnt 0x801
	v_mul_f64_e32 v[183:184], v[2:3], v[36:37]
	v_mul_f64_e32 v[36:37], v[4:5], v[36:37]
	scratch_load_b128 v[30:33], off, off offset:336
	v_add_f64_e32 v[177:178], v[177:178], v[189:190]
	v_add_f64_e32 v[179:180], v[179:180], v[185:186]
	s_wait_loadcnt_dscnt 0x800
	v_mul_f64_e32 v[185:186], v[6:7], v[175:176]
	v_mul_f64_e32 v[175:176], v[8:9], v[175:176]
	v_fma_f64 v[183:184], v[4:5], v[34:35], v[183:184]
	v_fma_f64 v[189:190], v[2:3], v[34:35], -v[36:37]
	ds_load_b128 v[2:5], v1 offset:1216
	scratch_load_b128 v[34:37], off, off offset:352
	v_add_f64_e32 v[177:178], v[177:178], v[187:188]
	v_add_f64_e32 v[179:180], v[179:180], v[181:182]
	v_fma_f64 v[185:186], v[8:9], v[173:174], v[185:186]
	v_fma_f64 v[187:188], v[6:7], v[173:174], -v[175:176]
	ds_load_b128 v[6:9], v1 offset:1232
	scratch_load_b128 v[173:176], off, off offset:368
	s_wait_loadcnt_dscnt 0x901
	v_mul_f64_e32 v[181:182], v[2:3], v[40:41]
	v_mul_f64_e32 v[40:41], v[4:5], v[40:41]
	v_add_f64_e32 v[177:178], v[177:178], v[189:190]
	v_add_f64_e32 v[179:180], v[179:180], v[183:184]
	s_wait_loadcnt_dscnt 0x800
	v_mul_f64_e32 v[183:184], v[6:7], v[171:172]
	v_mul_f64_e32 v[171:172], v[8:9], v[171:172]
	v_fma_f64 v[181:182], v[4:5], v[38:39], v[181:182]
	v_fma_f64 v[189:190], v[2:3], v[38:39], -v[40:41]
	ds_load_b128 v[2:5], v1 offset:1248
	scratch_load_b128 v[38:41], off, off offset:384
	v_add_f64_e32 v[177:178], v[177:178], v[187:188]
	v_add_f64_e32 v[179:180], v[179:180], v[185:186]
	v_fma_f64 v[183:184], v[8:9], v[169:170], v[183:184]
	v_fma_f64 v[187:188], v[6:7], v[169:170], -v[171:172]
	ds_load_b128 v[6:9], v1 offset:1264
	s_wait_loadcnt_dscnt 0x801
	v_mul_f64_e32 v[185:186], v[2:3], v[12:13]
	v_mul_f64_e32 v[12:13], v[4:5], v[12:13]
	scratch_load_b128 v[169:172], off, off offset:400
	v_add_f64_e32 v[177:178], v[177:178], v[189:190]
	v_add_f64_e32 v[179:180], v[179:180], v[181:182]
	s_wait_loadcnt_dscnt 0x800
	v_mul_f64_e32 v[181:182], v[6:7], v[16:17]
	v_mul_f64_e32 v[16:17], v[8:9], v[16:17]
	v_fma_f64 v[185:186], v[4:5], v[10:11], v[185:186]
	v_fma_f64 v[189:190], v[2:3], v[10:11], -v[12:13]
	ds_load_b128 v[2:5], v1 offset:1280
	scratch_load_b128 v[10:13], off, off offset:416
	v_add_f64_e32 v[177:178], v[177:178], v[187:188]
	v_add_f64_e32 v[179:180], v[179:180], v[183:184]
	v_fma_f64 v[181:182], v[8:9], v[14:15], v[181:182]
	v_fma_f64 v[187:188], v[6:7], v[14:15], -v[16:17]
	ds_load_b128 v[6:9], v1 offset:1296
	s_wait_loadcnt_dscnt 0x801
	v_mul_f64_e32 v[183:184], v[2:3], v[20:21]
	v_mul_f64_e32 v[20:21], v[4:5], v[20:21]
	scratch_load_b128 v[14:17], off, off offset:432
	;; [unrolled: 18-line block ×11, first 2 shown]
	v_add_f64_e32 v[177:178], v[177:178], v[189:190]
	v_add_f64_e32 v[179:180], v[179:180], v[185:186]
	s_wait_loadcnt_dscnt 0x800
	v_mul_f64_e32 v[185:186], v[6:7], v[16:17]
	v_mul_f64_e32 v[16:17], v[8:9], v[16:17]
	v_fma_f64 v[183:184], v[4:5], v[10:11], v[183:184]
	v_fma_f64 v[189:190], v[2:3], v[10:11], -v[12:13]
	scratch_load_b128 v[10:13], off, off offset:736
	ds_load_b128 v[2:5], v1 offset:1600
	v_add_f64_e32 v[177:178], v[177:178], v[187:188]
	v_add_f64_e32 v[179:180], v[179:180], v[181:182]
	v_fma_f64 v[185:186], v[8:9], v[14:15], v[185:186]
	v_fma_f64 v[187:188], v[6:7], v[14:15], -v[16:17]
	ds_load_b128 v[6:9], v1 offset:1616
	s_wait_loadcnt_dscnt 0x801
	v_mul_f64_e32 v[181:182], v[2:3], v[20:21]
	v_mul_f64_e32 v[20:21], v[4:5], v[20:21]
	scratch_load_b128 v[14:17], off, off offset:752
	v_add_f64_e32 v[177:178], v[177:178], v[189:190]
	v_add_f64_e32 v[179:180], v[179:180], v[183:184]
	s_wait_loadcnt_dscnt 0x800
	v_mul_f64_e32 v[183:184], v[6:7], v[24:25]
	v_mul_f64_e32 v[24:25], v[8:9], v[24:25]
	v_fma_f64 v[181:182], v[4:5], v[18:19], v[181:182]
	v_fma_f64 v[189:190], v[2:3], v[18:19], -v[20:21]
	ds_load_b128 v[2:5], v1 offset:1632
	scratch_load_b128 v[18:21], off, off offset:768
	v_add_f64_e32 v[177:178], v[177:178], v[187:188]
	v_add_f64_e32 v[179:180], v[179:180], v[185:186]
	v_fma_f64 v[183:184], v[8:9], v[22:23], v[183:184]
	v_fma_f64 v[187:188], v[6:7], v[22:23], -v[24:25]
	ds_load_b128 v[6:9], v1 offset:1648
	s_wait_loadcnt_dscnt 0x801
	v_mul_f64_e32 v[185:186], v[2:3], v[28:29]
	v_mul_f64_e32 v[28:29], v[4:5], v[28:29]
	scratch_load_b128 v[22:25], off, off offset:784
	v_add_f64_e32 v[177:178], v[177:178], v[189:190]
	v_add_f64_e32 v[179:180], v[179:180], v[181:182]
	s_wait_loadcnt_dscnt 0x800
	v_mul_f64_e32 v[181:182], v[6:7], v[32:33]
	v_mul_f64_e32 v[32:33], v[8:9], v[32:33]
	v_fma_f64 v[185:186], v[4:5], v[26:27], v[185:186]
	v_fma_f64 v[189:190], v[2:3], v[26:27], -v[28:29]
	ds_load_b128 v[2:5], v1 offset:1664
	scratch_load_b128 v[26:29], off, off offset:800
	;; [unrolled: 18-line block ×4, first 2 shown]
	v_add_f64_e32 v[177:178], v[177:178], v[187:188]
	v_add_f64_e32 v[179:180], v[179:180], v[185:186]
	v_fma_f64 v[183:184], v[8:9], v[169:170], v[183:184]
	v_fma_f64 v[187:188], v[6:7], v[169:170], -v[171:172]
	ds_load_b128 v[6:9], v1 offset:1744
	s_wait_loadcnt_dscnt 0x801
	v_mul_f64_e32 v[185:186], v[2:3], v[12:13]
	v_mul_f64_e32 v[12:13], v[4:5], v[12:13]
	scratch_load_b128 v[169:172], off, off offset:880
	v_add_f64_e32 v[177:178], v[177:178], v[189:190]
	v_add_f64_e32 v[179:180], v[179:180], v[181:182]
	s_wait_loadcnt_dscnt 0x800
	v_mul_f64_e32 v[181:182], v[6:7], v[16:17]
	v_mul_f64_e32 v[16:17], v[8:9], v[16:17]
	v_fma_f64 v[185:186], v[4:5], v[10:11], v[185:186]
	v_fma_f64 v[189:190], v[2:3], v[10:11], -v[12:13]
	scratch_load_b128 v[10:13], off, off offset:896
	ds_load_b128 v[2:5], v1 offset:1760
	v_add_f64_e32 v[177:178], v[177:178], v[187:188]
	v_add_f64_e32 v[179:180], v[179:180], v[183:184]
	v_fma_f64 v[181:182], v[8:9], v[14:15], v[181:182]
	v_fma_f64 v[187:188], v[6:7], v[14:15], -v[16:17]
	ds_load_b128 v[6:9], v1 offset:1776
	s_wait_loadcnt_dscnt 0x801
	v_mul_f64_e32 v[183:184], v[2:3], v[20:21]
	v_mul_f64_e32 v[20:21], v[4:5], v[20:21]
	scratch_load_b128 v[14:17], off, off offset:912
	v_add_f64_e32 v[177:178], v[177:178], v[189:190]
	v_add_f64_e32 v[179:180], v[179:180], v[185:186]
	s_wait_loadcnt_dscnt 0x800
	v_mul_f64_e32 v[185:186], v[6:7], v[24:25]
	v_mul_f64_e32 v[24:25], v[8:9], v[24:25]
	v_fma_f64 v[183:184], v[4:5], v[18:19], v[183:184]
	v_fma_f64 v[189:190], v[2:3], v[18:19], -v[20:21]
	ds_load_b128 v[2:5], v1 offset:1792
	scratch_load_b128 v[18:21], off, off offset:928
	v_add_f64_e32 v[177:178], v[177:178], v[187:188]
	v_add_f64_e32 v[179:180], v[179:180], v[181:182]
	v_fma_f64 v[185:186], v[8:9], v[22:23], v[185:186]
	v_fma_f64 v[187:188], v[6:7], v[22:23], -v[24:25]
	ds_load_b128 v[6:9], v1 offset:1808
	s_wait_loadcnt_dscnt 0x801
	v_mul_f64_e32 v[181:182], v[2:3], v[28:29]
	v_mul_f64_e32 v[28:29], v[4:5], v[28:29]
	scratch_load_b128 v[22:25], off, off offset:944
	v_add_f64_e32 v[177:178], v[177:178], v[189:190]
	v_add_f64_e32 v[179:180], v[179:180], v[183:184]
	s_wait_loadcnt_dscnt 0x800
	v_mul_f64_e32 v[183:184], v[6:7], v[32:33]
	v_mul_f64_e32 v[32:33], v[8:9], v[32:33]
	v_fma_f64 v[181:182], v[4:5], v[26:27], v[181:182]
	v_fma_f64 v[189:190], v[2:3], v[26:27], -v[28:29]
	ds_load_b128 v[2:5], v1 offset:1824
	scratch_load_b128 v[26:29], off, off offset:960
	;; [unrolled: 18-line block ×3, first 2 shown]
	v_add_f64_e32 v[177:178], v[177:178], v[187:188]
	v_add_f64_e32 v[179:180], v[179:180], v[183:184]
	v_fma_f64 v[181:182], v[8:9], v[173:174], v[181:182]
	v_fma_f64 v[187:188], v[6:7], v[173:174], -v[175:176]
	ds_load_b128 v[6:9], v1 offset:1872
	s_wait_loadcnt_dscnt 0x801
	v_mul_f64_e32 v[183:184], v[2:3], v[40:41]
	v_mul_f64_e32 v[40:41], v[4:5], v[40:41]
	scratch_load_b128 v[173:176], off, off offset:1008
	v_add_f64_e32 v[177:178], v[177:178], v[189:190]
	v_add_f64_e32 v[179:180], v[179:180], v[185:186]
	v_fma_f64 v[183:184], v[4:5], v[38:39], v[183:184]
	v_fma_f64 v[38:39], v[2:3], v[38:39], -v[40:41]
	ds_load_b128 v[2:5], v1 offset:1888
	v_add_f64_e32 v[40:41], v[177:178], v[187:188]
	v_add_f64_e32 v[177:178], v[179:180], v[181:182]
	s_wait_loadcnt_dscnt 0x700
	v_mul_f64_e32 v[179:180], v[2:3], v[12:13]
	v_mul_f64_e32 v[12:13], v[4:5], v[12:13]
	s_delay_alu instid0(VALU_DEP_4) | instskip(NEXT) | instid1(VALU_DEP_4)
	v_add_f64_e32 v[38:39], v[40:41], v[38:39]
	v_add_f64_e32 v[40:41], v[177:178], v[183:184]
	s_delay_alu instid0(VALU_DEP_4) | instskip(NEXT) | instid1(VALU_DEP_4)
	v_fma_f64 v[177:178], v[4:5], v[10:11], v[179:180]
	v_fma_f64 v[179:180], v[2:3], v[10:11], -v[12:13]
	scratch_load_b128 v[10:13], off, off offset:48
	v_mul_f64_e32 v[185:186], v[6:7], v[171:172]
	v_mul_f64_e32 v[171:172], v[8:9], v[171:172]
	ds_load_b128 v[2:5], v1 offset:1920
	v_fma_f64 v[181:182], v[8:9], v[169:170], v[185:186]
	v_fma_f64 v[169:170], v[6:7], v[169:170], -v[171:172]
	ds_load_b128 v[6:9], v1 offset:1904
	s_wait_loadcnt_dscnt 0x700
	v_mul_f64_e32 v[171:172], v[6:7], v[16:17]
	v_mul_f64_e32 v[16:17], v[8:9], v[16:17]
	v_add_f64_e32 v[40:41], v[40:41], v[181:182]
	v_add_f64_e32 v[38:39], v[38:39], v[169:170]
	s_wait_loadcnt 0x6
	v_mul_f64_e32 v[169:170], v[2:3], v[20:21]
	v_mul_f64_e32 v[20:21], v[4:5], v[20:21]
	v_fma_f64 v[171:172], v[8:9], v[14:15], v[171:172]
	v_fma_f64 v[14:15], v[6:7], v[14:15], -v[16:17]
	ds_load_b128 v[6:9], v1 offset:1936
	v_add_f64_e32 v[16:17], v[38:39], v[179:180]
	v_add_f64_e32 v[38:39], v[40:41], v[177:178]
	v_fma_f64 v[169:170], v[4:5], v[18:19], v[169:170]
	v_fma_f64 v[18:19], v[2:3], v[18:19], -v[20:21]
	ds_load_b128 v[2:5], v1 offset:1952
	s_wait_loadcnt_dscnt 0x501
	v_mul_f64_e32 v[40:41], v[6:7], v[24:25]
	v_mul_f64_e32 v[24:25], v[8:9], v[24:25]
	s_wait_loadcnt_dscnt 0x400
	v_mul_f64_e32 v[20:21], v[2:3], v[28:29]
	v_mul_f64_e32 v[28:29], v[4:5], v[28:29]
	v_add_f64_e32 v[14:15], v[16:17], v[14:15]
	v_add_f64_e32 v[16:17], v[38:39], v[171:172]
	v_fma_f64 v[38:39], v[8:9], v[22:23], v[40:41]
	v_fma_f64 v[22:23], v[6:7], v[22:23], -v[24:25]
	ds_load_b128 v[6:9], v1 offset:1968
	v_fma_f64 v[20:21], v[4:5], v[26:27], v[20:21]
	v_fma_f64 v[26:27], v[2:3], v[26:27], -v[28:29]
	ds_load_b128 v[2:5], v1 offset:1984
	s_wait_loadcnt_dscnt 0x301
	v_mul_f64_e32 v[24:25], v[8:9], v[32:33]
	v_add_f64_e32 v[14:15], v[14:15], v[18:19]
	v_add_f64_e32 v[16:17], v[16:17], v[169:170]
	v_mul_f64_e32 v[18:19], v[6:7], v[32:33]
	s_wait_loadcnt_dscnt 0x200
	v_mul_f64_e32 v[28:29], v[4:5], v[36:37]
	v_fma_f64 v[24:25], v[6:7], v[30:31], -v[24:25]
	v_add_f64_e32 v[14:15], v[14:15], v[22:23]
	v_add_f64_e32 v[16:17], v[16:17], v[38:39]
	v_mul_f64_e32 v[22:23], v[2:3], v[36:37]
	v_fma_f64 v[18:19], v[8:9], v[30:31], v[18:19]
	ds_load_b128 v[6:9], v1 offset:2000
	v_fma_f64 v[1:2], v[2:3], v[34:35], -v[28:29]
	v_add_f64_e32 v[14:15], v[14:15], v[26:27]
	v_add_f64_e32 v[16:17], v[16:17], v[20:21]
	s_wait_loadcnt_dscnt 0x100
	v_mul_f64_e32 v[20:21], v[6:7], v[175:176]
	v_mul_f64_e32 v[26:27], v[8:9], v[175:176]
	v_fma_f64 v[4:5], v[4:5], v[34:35], v[22:23]
	v_add_f64_e32 v[14:15], v[14:15], v[24:25]
	v_add_f64_e32 v[16:17], v[16:17], v[18:19]
	v_fma_f64 v[8:9], v[8:9], v[173:174], v[20:21]
	v_fma_f64 v[6:7], v[6:7], v[173:174], -v[26:27]
	s_delay_alu instid0(VALU_DEP_4) | instskip(NEXT) | instid1(VALU_DEP_4)
	v_add_f64_e32 v[1:2], v[14:15], v[1:2]
	v_add_f64_e32 v[3:4], v[16:17], v[4:5]
	s_delay_alu instid0(VALU_DEP_2) | instskip(NEXT) | instid1(VALU_DEP_2)
	v_add_f64_e32 v[1:2], v[1:2], v[6:7]
	v_add_f64_e32 v[3:4], v[3:4], v[8:9]
	s_wait_loadcnt 0x0
	s_delay_alu instid0(VALU_DEP_2) | instskip(NEXT) | instid1(VALU_DEP_2)
	v_add_f64_e64 v[1:2], v[10:11], -v[1:2]
	v_add_f64_e64 v[3:4], v[12:13], -v[3:4]
	scratch_store_b128 off, v[1:4], off offset:48
	v_cmpx_lt_u32_e32 1, v0
	s_cbranch_execz .LBB126_401
; %bb.400:
	scratch_load_b128 v[1:4], off, s17
	v_mov_b32_e32 v5, 0
	s_delay_alu instid0(VALU_DEP_1)
	v_dual_mov_b32 v6, v5 :: v_dual_mov_b32 v7, v5
	v_mov_b32_e32 v8, v5
	scratch_store_b128 off, v[5:8], off offset:32
	s_wait_loadcnt 0x0
	ds_store_b128 v168, v[1:4]
.LBB126_401:
	s_wait_alu 0xfffe
	s_or_b32 exec_lo, exec_lo, s0
	s_wait_storecnt_dscnt 0x0
	s_barrier_signal -1
	s_barrier_wait -1
	global_inv scope:SCOPE_SE
	s_clause 0x7
	scratch_load_b128 v[2:5], off, off offset:48
	scratch_load_b128 v[6:9], off, off offset:64
	;; [unrolled: 1-line block ×8, first 2 shown]
	v_mov_b32_e32 v1, 0
	s_clause 0x1
	scratch_load_b128 v[34:37], off, off offset:176
	scratch_load_b128 v[173:176], off, off offset:192
	s_mov_b32 s0, exec_lo
	ds_load_b128 v[38:41], v1 offset:1040
	ds_load_b128 v[169:172], v1 offset:1056
	s_wait_loadcnt_dscnt 0x901
	v_mul_f64_e32 v[177:178], v[40:41], v[4:5]
	v_mul_f64_e32 v[4:5], v[38:39], v[4:5]
	s_wait_loadcnt_dscnt 0x800
	v_mul_f64_e32 v[179:180], v[169:170], v[8:9]
	v_mul_f64_e32 v[8:9], v[171:172], v[8:9]
	s_delay_alu instid0(VALU_DEP_4) | instskip(NEXT) | instid1(VALU_DEP_4)
	v_fma_f64 v[177:178], v[38:39], v[2:3], -v[177:178]
	v_fma_f64 v[181:182], v[40:41], v[2:3], v[4:5]
	ds_load_b128 v[2:5], v1 offset:1072
	scratch_load_b128 v[38:41], off, off offset:208
	v_fma_f64 v[179:180], v[171:172], v[6:7], v[179:180]
	v_fma_f64 v[185:186], v[169:170], v[6:7], -v[8:9]
	ds_load_b128 v[6:9], v1 offset:1088
	scratch_load_b128 v[169:172], off, off offset:224
	s_wait_loadcnt_dscnt 0x901
	v_mul_f64_e32 v[183:184], v[2:3], v[12:13]
	v_mul_f64_e32 v[12:13], v[4:5], v[12:13]
	s_wait_loadcnt_dscnt 0x800
	v_mul_f64_e32 v[187:188], v[6:7], v[16:17]
	v_mul_f64_e32 v[16:17], v[8:9], v[16:17]
	v_add_f64_e32 v[177:178], 0, v[177:178]
	v_add_f64_e32 v[181:182], 0, v[181:182]
	v_fma_f64 v[183:184], v[4:5], v[10:11], v[183:184]
	v_fma_f64 v[189:190], v[2:3], v[10:11], -v[12:13]
	ds_load_b128 v[2:5], v1 offset:1104
	scratch_load_b128 v[10:13], off, off offset:240
	v_add_f64_e32 v[177:178], v[177:178], v[185:186]
	v_add_f64_e32 v[179:180], v[181:182], v[179:180]
	v_fma_f64 v[185:186], v[8:9], v[14:15], v[187:188]
	v_fma_f64 v[187:188], v[6:7], v[14:15], -v[16:17]
	ds_load_b128 v[6:9], v1 offset:1120
	scratch_load_b128 v[14:17], off, off offset:256
	s_wait_loadcnt_dscnt 0x901
	v_mul_f64_e32 v[181:182], v[2:3], v[20:21]
	v_mul_f64_e32 v[20:21], v[4:5], v[20:21]
	v_add_f64_e32 v[177:178], v[177:178], v[189:190]
	v_add_f64_e32 v[179:180], v[179:180], v[183:184]
	s_wait_loadcnt_dscnt 0x800
	v_mul_f64_e32 v[183:184], v[6:7], v[24:25]
	v_mul_f64_e32 v[24:25], v[8:9], v[24:25]
	v_fma_f64 v[181:182], v[4:5], v[18:19], v[181:182]
	v_fma_f64 v[189:190], v[2:3], v[18:19], -v[20:21]
	ds_load_b128 v[2:5], v1 offset:1136
	scratch_load_b128 v[18:21], off, off offset:272
	v_add_f64_e32 v[177:178], v[177:178], v[187:188]
	v_add_f64_e32 v[179:180], v[179:180], v[185:186]
	v_fma_f64 v[183:184], v[8:9], v[22:23], v[183:184]
	v_fma_f64 v[187:188], v[6:7], v[22:23], -v[24:25]
	ds_load_b128 v[6:9], v1 offset:1152
	s_wait_loadcnt_dscnt 0x801
	v_mul_f64_e32 v[185:186], v[2:3], v[28:29]
	v_mul_f64_e32 v[28:29], v[4:5], v[28:29]
	scratch_load_b128 v[22:25], off, off offset:288
	v_add_f64_e32 v[177:178], v[177:178], v[189:190]
	v_add_f64_e32 v[179:180], v[179:180], v[181:182]
	s_wait_loadcnt_dscnt 0x800
	v_mul_f64_e32 v[181:182], v[6:7], v[32:33]
	v_mul_f64_e32 v[32:33], v[8:9], v[32:33]
	v_fma_f64 v[185:186], v[4:5], v[26:27], v[185:186]
	v_fma_f64 v[189:190], v[2:3], v[26:27], -v[28:29]
	ds_load_b128 v[2:5], v1 offset:1168
	scratch_load_b128 v[26:29], off, off offset:304
	v_add_f64_e32 v[177:178], v[177:178], v[187:188]
	v_add_f64_e32 v[179:180], v[179:180], v[183:184]
	v_fma_f64 v[181:182], v[8:9], v[30:31], v[181:182]
	v_fma_f64 v[187:188], v[6:7], v[30:31], -v[32:33]
	ds_load_b128 v[6:9], v1 offset:1184
	s_wait_loadcnt_dscnt 0x801
	v_mul_f64_e32 v[183:184], v[2:3], v[36:37]
	v_mul_f64_e32 v[36:37], v[4:5], v[36:37]
	scratch_load_b128 v[30:33], off, off offset:320
	v_add_f64_e32 v[177:178], v[177:178], v[189:190]
	v_add_f64_e32 v[179:180], v[179:180], v[185:186]
	s_wait_loadcnt_dscnt 0x800
	v_mul_f64_e32 v[185:186], v[6:7], v[175:176]
	v_mul_f64_e32 v[175:176], v[8:9], v[175:176]
	v_fma_f64 v[183:184], v[4:5], v[34:35], v[183:184]
	v_fma_f64 v[189:190], v[2:3], v[34:35], -v[36:37]
	ds_load_b128 v[2:5], v1 offset:1200
	scratch_load_b128 v[34:37], off, off offset:336
	v_add_f64_e32 v[177:178], v[177:178], v[187:188]
	v_add_f64_e32 v[179:180], v[179:180], v[181:182]
	v_fma_f64 v[185:186], v[8:9], v[173:174], v[185:186]
	v_fma_f64 v[187:188], v[6:7], v[173:174], -v[175:176]
	ds_load_b128 v[6:9], v1 offset:1216
	scratch_load_b128 v[173:176], off, off offset:352
	s_wait_loadcnt_dscnt 0x901
	v_mul_f64_e32 v[181:182], v[2:3], v[40:41]
	v_mul_f64_e32 v[40:41], v[4:5], v[40:41]
	v_add_f64_e32 v[177:178], v[177:178], v[189:190]
	v_add_f64_e32 v[179:180], v[179:180], v[183:184]
	s_wait_loadcnt_dscnt 0x800
	v_mul_f64_e32 v[183:184], v[6:7], v[171:172]
	v_mul_f64_e32 v[171:172], v[8:9], v[171:172]
	v_fma_f64 v[181:182], v[4:5], v[38:39], v[181:182]
	v_fma_f64 v[189:190], v[2:3], v[38:39], -v[40:41]
	ds_load_b128 v[2:5], v1 offset:1232
	scratch_load_b128 v[38:41], off, off offset:368
	v_add_f64_e32 v[177:178], v[177:178], v[187:188]
	v_add_f64_e32 v[179:180], v[179:180], v[185:186]
	v_fma_f64 v[183:184], v[8:9], v[169:170], v[183:184]
	v_fma_f64 v[187:188], v[6:7], v[169:170], -v[171:172]
	ds_load_b128 v[6:9], v1 offset:1248
	s_wait_loadcnt_dscnt 0x801
	v_mul_f64_e32 v[185:186], v[2:3], v[12:13]
	v_mul_f64_e32 v[12:13], v[4:5], v[12:13]
	scratch_load_b128 v[169:172], off, off offset:384
	v_add_f64_e32 v[177:178], v[177:178], v[189:190]
	v_add_f64_e32 v[179:180], v[179:180], v[181:182]
	s_wait_loadcnt_dscnt 0x800
	v_mul_f64_e32 v[181:182], v[6:7], v[16:17]
	v_mul_f64_e32 v[16:17], v[8:9], v[16:17]
	v_fma_f64 v[185:186], v[4:5], v[10:11], v[185:186]
	v_fma_f64 v[189:190], v[2:3], v[10:11], -v[12:13]
	ds_load_b128 v[2:5], v1 offset:1264
	scratch_load_b128 v[10:13], off, off offset:400
	v_add_f64_e32 v[177:178], v[177:178], v[187:188]
	v_add_f64_e32 v[179:180], v[179:180], v[183:184]
	v_fma_f64 v[181:182], v[8:9], v[14:15], v[181:182]
	v_fma_f64 v[187:188], v[6:7], v[14:15], -v[16:17]
	ds_load_b128 v[6:9], v1 offset:1280
	s_wait_loadcnt_dscnt 0x801
	v_mul_f64_e32 v[183:184], v[2:3], v[20:21]
	v_mul_f64_e32 v[20:21], v[4:5], v[20:21]
	scratch_load_b128 v[14:17], off, off offset:416
	;; [unrolled: 18-line block ×20, first 2 shown]
	v_add_f64_e32 v[177:178], v[177:178], v[189:190]
	v_add_f64_e32 v[179:180], v[179:180], v[185:186]
	s_wait_loadcnt_dscnt 0x800
	v_mul_f64_e32 v[185:186], v[6:7], v[171:172]
	v_mul_f64_e32 v[171:172], v[8:9], v[171:172]
	v_fma_f64 v[183:184], v[4:5], v[38:39], v[183:184]
	v_fma_f64 v[189:190], v[2:3], v[38:39], -v[40:41]
	ds_load_b128 v[2:5], v1 offset:1872
	scratch_load_b128 v[38:41], off, off offset:1008
	v_add_f64_e32 v[177:178], v[177:178], v[187:188]
	v_add_f64_e32 v[179:180], v[179:180], v[181:182]
	v_fma_f64 v[185:186], v[8:9], v[169:170], v[185:186]
	v_fma_f64 v[169:170], v[6:7], v[169:170], -v[171:172]
	ds_load_b128 v[6:9], v1 offset:1888
	s_wait_loadcnt_dscnt 0x801
	v_mul_f64_e32 v[181:182], v[2:3], v[12:13]
	v_mul_f64_e32 v[12:13], v[4:5], v[12:13]
	v_add_f64_e32 v[171:172], v[177:178], v[189:190]
	v_add_f64_e32 v[177:178], v[179:180], v[183:184]
	s_wait_loadcnt_dscnt 0x700
	v_mul_f64_e32 v[179:180], v[6:7], v[16:17]
	v_mul_f64_e32 v[16:17], v[8:9], v[16:17]
	v_fma_f64 v[181:182], v[4:5], v[10:11], v[181:182]
	v_fma_f64 v[10:11], v[2:3], v[10:11], -v[12:13]
	ds_load_b128 v[2:5], v1 offset:1904
	v_add_f64_e32 v[12:13], v[171:172], v[169:170]
	v_add_f64_e32 v[169:170], v[177:178], v[185:186]
	v_fma_f64 v[177:178], v[8:9], v[14:15], v[179:180]
	v_fma_f64 v[14:15], v[6:7], v[14:15], -v[16:17]
	ds_load_b128 v[6:9], v1 offset:1920
	s_wait_loadcnt_dscnt 0x500
	v_mul_f64_e32 v[179:180], v[6:7], v[24:25]
	v_mul_f64_e32 v[24:25], v[8:9], v[24:25]
	v_add_f64_e32 v[16:17], v[12:13], v[10:11]
	v_add_f64_e32 v[169:170], v[169:170], v[181:182]
	scratch_load_b128 v[10:13], off, off offset:32
	v_mul_f64_e32 v[171:172], v[2:3], v[20:21]
	v_mul_f64_e32 v[20:21], v[4:5], v[20:21]
	v_add_f64_e32 v[14:15], v[16:17], v[14:15]
	v_add_f64_e32 v[16:17], v[169:170], v[177:178]
	v_fma_f64 v[169:170], v[8:9], v[22:23], v[179:180]
	v_fma_f64 v[171:172], v[4:5], v[18:19], v[171:172]
	v_fma_f64 v[18:19], v[2:3], v[18:19], -v[20:21]
	ds_load_b128 v[2:5], v1 offset:1936
	v_fma_f64 v[22:23], v[6:7], v[22:23], -v[24:25]
	ds_load_b128 v[6:9], v1 offset:1952
	s_wait_loadcnt_dscnt 0x501
	v_mul_f64_e32 v[20:21], v[2:3], v[28:29]
	v_mul_f64_e32 v[28:29], v[4:5], v[28:29]
	s_wait_loadcnt_dscnt 0x400
	v_mul_f64_e32 v[24:25], v[8:9], v[32:33]
	v_add_f64_e32 v[16:17], v[16:17], v[171:172]
	v_add_f64_e32 v[14:15], v[14:15], v[18:19]
	v_mul_f64_e32 v[18:19], v[6:7], v[32:33]
	v_fma_f64 v[20:21], v[4:5], v[26:27], v[20:21]
	v_fma_f64 v[26:27], v[2:3], v[26:27], -v[28:29]
	ds_load_b128 v[2:5], v1 offset:1968
	v_fma_f64 v[24:25], v[6:7], v[30:31], -v[24:25]
	v_add_f64_e32 v[16:17], v[16:17], v[169:170]
	v_add_f64_e32 v[14:15], v[14:15], v[22:23]
	v_fma_f64 v[18:19], v[8:9], v[30:31], v[18:19]
	ds_load_b128 v[6:9], v1 offset:1984
	s_wait_loadcnt_dscnt 0x301
	v_mul_f64_e32 v[22:23], v[2:3], v[36:37]
	v_mul_f64_e32 v[28:29], v[4:5], v[36:37]
	v_add_f64_e32 v[16:17], v[16:17], v[20:21]
	v_add_f64_e32 v[14:15], v[14:15], v[26:27]
	s_wait_loadcnt_dscnt 0x200
	v_mul_f64_e32 v[20:21], v[6:7], v[175:176]
	v_mul_f64_e32 v[26:27], v[8:9], v[175:176]
	v_fma_f64 v[22:23], v[4:5], v[34:35], v[22:23]
	v_fma_f64 v[28:29], v[2:3], v[34:35], -v[28:29]
	ds_load_b128 v[2:5], v1 offset:2000
	v_add_f64_e32 v[16:17], v[16:17], v[18:19]
	v_add_f64_e32 v[14:15], v[14:15], v[24:25]
	s_wait_loadcnt_dscnt 0x100
	v_mul_f64_e32 v[18:19], v[2:3], v[40:41]
	v_mul_f64_e32 v[24:25], v[4:5], v[40:41]
	v_fma_f64 v[8:9], v[8:9], v[173:174], v[20:21]
	v_fma_f64 v[6:7], v[6:7], v[173:174], -v[26:27]
	v_add_f64_e32 v[16:17], v[16:17], v[22:23]
	v_add_f64_e32 v[14:15], v[14:15], v[28:29]
	v_fma_f64 v[4:5], v[4:5], v[38:39], v[18:19]
	v_fma_f64 v[2:3], v[2:3], v[38:39], -v[24:25]
	s_delay_alu instid0(VALU_DEP_4) | instskip(NEXT) | instid1(VALU_DEP_4)
	v_add_f64_e32 v[8:9], v[16:17], v[8:9]
	v_add_f64_e32 v[6:7], v[14:15], v[6:7]
	s_delay_alu instid0(VALU_DEP_2) | instskip(NEXT) | instid1(VALU_DEP_2)
	v_add_f64_e32 v[4:5], v[8:9], v[4:5]
	v_add_f64_e32 v[2:3], v[6:7], v[2:3]
	s_wait_loadcnt 0x0
	s_delay_alu instid0(VALU_DEP_2) | instskip(NEXT) | instid1(VALU_DEP_2)
	v_add_f64_e64 v[4:5], v[12:13], -v[4:5]
	v_add_f64_e64 v[2:3], v[10:11], -v[2:3]
	scratch_store_b128 off, v[2:5], off offset:32
	v_cmpx_ne_u32_e32 0, v0
	s_cbranch_execz .LBB126_403
; %bb.402:
	scratch_load_b128 v[5:8], off, off offset:16
	v_dual_mov_b32 v2, v1 :: v_dual_mov_b32 v3, v1
	v_mov_b32_e32 v4, v1
	scratch_store_b128 off, v[1:4], off offset:16
	s_wait_loadcnt 0x0
	ds_store_b128 v168, v[5:8]
.LBB126_403:
	s_wait_alu 0xfffe
	s_or_b32 exec_lo, exec_lo, s0
	s_wait_storecnt_dscnt 0x0
	s_barrier_signal -1
	s_barrier_wait -1
	global_inv scope:SCOPE_SE
	s_clause 0x7
	scratch_load_b128 v[2:5], off, off offset:32
	scratch_load_b128 v[6:9], off, off offset:48
	;; [unrolled: 1-line block ×8, first 2 shown]
	ds_load_b128 v[38:41], v1 offset:1024
	ds_load_b128 v[168:171], v1 offset:1040
	s_clause 0x1
	scratch_load_b128 v[34:37], off, off offset:160
	scratch_load_b128 v[172:175], off, off offset:176
	s_and_b32 vcc_lo, exec_lo, s14
	s_wait_loadcnt_dscnt 0x901
	v_mul_f64_e32 v[176:177], v[40:41], v[4:5]
	v_mul_f64_e32 v[4:5], v[38:39], v[4:5]
	s_wait_loadcnt_dscnt 0x800
	v_mul_f64_e32 v[178:179], v[168:169], v[8:9]
	v_mul_f64_e32 v[8:9], v[170:171], v[8:9]
	s_delay_alu instid0(VALU_DEP_4) | instskip(NEXT) | instid1(VALU_DEP_4)
	v_fma_f64 v[176:177], v[38:39], v[2:3], -v[176:177]
	v_fma_f64 v[180:181], v[40:41], v[2:3], v[4:5]
	ds_load_b128 v[2:5], v1 offset:1056
	scratch_load_b128 v[38:41], off, off offset:192
	v_fma_f64 v[178:179], v[170:171], v[6:7], v[178:179]
	v_fma_f64 v[184:185], v[168:169], v[6:7], -v[8:9]
	ds_load_b128 v[6:9], v1 offset:1072
	scratch_load_b128 v[168:171], off, off offset:208
	s_wait_loadcnt_dscnt 0x901
	v_mul_f64_e32 v[182:183], v[2:3], v[12:13]
	v_mul_f64_e32 v[12:13], v[4:5], v[12:13]
	s_wait_loadcnt_dscnt 0x800
	v_mul_f64_e32 v[186:187], v[6:7], v[16:17]
	v_mul_f64_e32 v[16:17], v[8:9], v[16:17]
	v_add_f64_e32 v[176:177], 0, v[176:177]
	v_add_f64_e32 v[180:181], 0, v[180:181]
	v_fma_f64 v[182:183], v[4:5], v[10:11], v[182:183]
	v_fma_f64 v[188:189], v[2:3], v[10:11], -v[12:13]
	ds_load_b128 v[2:5], v1 offset:1088
	scratch_load_b128 v[10:13], off, off offset:224
	v_add_f64_e32 v[176:177], v[176:177], v[184:185]
	v_add_f64_e32 v[178:179], v[180:181], v[178:179]
	v_fma_f64 v[184:185], v[8:9], v[14:15], v[186:187]
	v_fma_f64 v[186:187], v[6:7], v[14:15], -v[16:17]
	ds_load_b128 v[6:9], v1 offset:1104
	scratch_load_b128 v[14:17], off, off offset:240
	s_wait_loadcnt_dscnt 0x901
	v_mul_f64_e32 v[180:181], v[2:3], v[20:21]
	v_mul_f64_e32 v[20:21], v[4:5], v[20:21]
	v_add_f64_e32 v[176:177], v[176:177], v[188:189]
	v_add_f64_e32 v[178:179], v[178:179], v[182:183]
	s_wait_loadcnt_dscnt 0x800
	v_mul_f64_e32 v[182:183], v[6:7], v[24:25]
	v_mul_f64_e32 v[24:25], v[8:9], v[24:25]
	v_fma_f64 v[180:181], v[4:5], v[18:19], v[180:181]
	v_fma_f64 v[188:189], v[2:3], v[18:19], -v[20:21]
	ds_load_b128 v[2:5], v1 offset:1120
	scratch_load_b128 v[18:21], off, off offset:256
	v_add_f64_e32 v[176:177], v[176:177], v[186:187]
	v_add_f64_e32 v[178:179], v[178:179], v[184:185]
	v_fma_f64 v[182:183], v[8:9], v[22:23], v[182:183]
	v_fma_f64 v[186:187], v[6:7], v[22:23], -v[24:25]
	ds_load_b128 v[6:9], v1 offset:1136
	s_wait_loadcnt_dscnt 0x801
	v_mul_f64_e32 v[184:185], v[2:3], v[28:29]
	v_mul_f64_e32 v[28:29], v[4:5], v[28:29]
	scratch_load_b128 v[22:25], off, off offset:272
	v_add_f64_e32 v[176:177], v[176:177], v[188:189]
	v_add_f64_e32 v[178:179], v[178:179], v[180:181]
	s_wait_loadcnt_dscnt 0x800
	v_mul_f64_e32 v[180:181], v[6:7], v[32:33]
	v_mul_f64_e32 v[32:33], v[8:9], v[32:33]
	v_fma_f64 v[184:185], v[4:5], v[26:27], v[184:185]
	v_fma_f64 v[188:189], v[2:3], v[26:27], -v[28:29]
	ds_load_b128 v[2:5], v1 offset:1152
	scratch_load_b128 v[26:29], off, off offset:288
	v_add_f64_e32 v[176:177], v[176:177], v[186:187]
	v_add_f64_e32 v[178:179], v[178:179], v[182:183]
	v_fma_f64 v[180:181], v[8:9], v[30:31], v[180:181]
	v_fma_f64 v[186:187], v[6:7], v[30:31], -v[32:33]
	ds_load_b128 v[6:9], v1 offset:1168
	s_wait_loadcnt_dscnt 0x801
	v_mul_f64_e32 v[182:183], v[2:3], v[36:37]
	v_mul_f64_e32 v[36:37], v[4:5], v[36:37]
	scratch_load_b128 v[30:33], off, off offset:304
	v_add_f64_e32 v[176:177], v[176:177], v[188:189]
	v_add_f64_e32 v[178:179], v[178:179], v[184:185]
	s_wait_loadcnt_dscnt 0x800
	v_mul_f64_e32 v[184:185], v[6:7], v[174:175]
	v_mul_f64_e32 v[174:175], v[8:9], v[174:175]
	v_fma_f64 v[182:183], v[4:5], v[34:35], v[182:183]
	v_fma_f64 v[188:189], v[2:3], v[34:35], -v[36:37]
	ds_load_b128 v[2:5], v1 offset:1184
	scratch_load_b128 v[34:37], off, off offset:320
	v_add_f64_e32 v[176:177], v[176:177], v[186:187]
	v_add_f64_e32 v[178:179], v[178:179], v[180:181]
	v_fma_f64 v[184:185], v[8:9], v[172:173], v[184:185]
	v_fma_f64 v[186:187], v[6:7], v[172:173], -v[174:175]
	ds_load_b128 v[6:9], v1 offset:1200
	scratch_load_b128 v[172:175], off, off offset:336
	s_wait_loadcnt_dscnt 0x901
	v_mul_f64_e32 v[180:181], v[2:3], v[40:41]
	v_mul_f64_e32 v[40:41], v[4:5], v[40:41]
	v_add_f64_e32 v[176:177], v[176:177], v[188:189]
	v_add_f64_e32 v[178:179], v[178:179], v[182:183]
	s_wait_loadcnt_dscnt 0x800
	v_mul_f64_e32 v[182:183], v[6:7], v[170:171]
	v_mul_f64_e32 v[170:171], v[8:9], v[170:171]
	v_fma_f64 v[180:181], v[4:5], v[38:39], v[180:181]
	v_fma_f64 v[188:189], v[2:3], v[38:39], -v[40:41]
	ds_load_b128 v[2:5], v1 offset:1216
	scratch_load_b128 v[38:41], off, off offset:352
	v_add_f64_e32 v[176:177], v[176:177], v[186:187]
	v_add_f64_e32 v[178:179], v[178:179], v[184:185]
	v_fma_f64 v[182:183], v[8:9], v[168:169], v[182:183]
	v_fma_f64 v[186:187], v[6:7], v[168:169], -v[170:171]
	ds_load_b128 v[6:9], v1 offset:1232
	s_wait_loadcnt_dscnt 0x801
	v_mul_f64_e32 v[184:185], v[2:3], v[12:13]
	v_mul_f64_e32 v[12:13], v[4:5], v[12:13]
	scratch_load_b128 v[168:171], off, off offset:368
	v_add_f64_e32 v[176:177], v[176:177], v[188:189]
	v_add_f64_e32 v[178:179], v[178:179], v[180:181]
	s_wait_loadcnt_dscnt 0x800
	v_mul_f64_e32 v[180:181], v[6:7], v[16:17]
	v_mul_f64_e32 v[16:17], v[8:9], v[16:17]
	v_fma_f64 v[184:185], v[4:5], v[10:11], v[184:185]
	v_fma_f64 v[188:189], v[2:3], v[10:11], -v[12:13]
	ds_load_b128 v[2:5], v1 offset:1248
	scratch_load_b128 v[10:13], off, off offset:384
	v_add_f64_e32 v[176:177], v[176:177], v[186:187]
	v_add_f64_e32 v[178:179], v[178:179], v[182:183]
	v_fma_f64 v[180:181], v[8:9], v[14:15], v[180:181]
	v_fma_f64 v[186:187], v[6:7], v[14:15], -v[16:17]
	ds_load_b128 v[6:9], v1 offset:1264
	s_wait_loadcnt_dscnt 0x801
	v_mul_f64_e32 v[182:183], v[2:3], v[20:21]
	v_mul_f64_e32 v[20:21], v[4:5], v[20:21]
	scratch_load_b128 v[14:17], off, off offset:400
	;; [unrolled: 18-line block ×21, first 2 shown]
	v_add_f64_e32 v[176:177], v[176:177], v[188:189]
	v_add_f64_e32 v[178:179], v[178:179], v[182:183]
	s_wait_loadcnt_dscnt 0x800
	v_mul_f64_e32 v[182:183], v[6:7], v[16:17]
	v_mul_f64_e32 v[16:17], v[8:9], v[16:17]
	v_fma_f64 v[180:181], v[4:5], v[10:11], v[180:181]
	v_fma_f64 v[10:11], v[2:3], v[10:11], -v[12:13]
	ds_load_b128 v[2:5], v1 offset:1888
	v_add_f64_e32 v[12:13], v[176:177], v[186:187]
	v_add_f64_e32 v[176:177], v[178:179], v[184:185]
	v_fma_f64 v[182:183], v[8:9], v[14:15], v[182:183]
	v_fma_f64 v[14:15], v[6:7], v[14:15], -v[16:17]
	ds_load_b128 v[6:9], v1 offset:1904
	s_wait_loadcnt_dscnt 0x701
	v_mul_f64_e32 v[178:179], v[2:3], v[20:21]
	v_mul_f64_e32 v[20:21], v[4:5], v[20:21]
	v_add_f64_e32 v[10:11], v[12:13], v[10:11]
	v_add_f64_e32 v[12:13], v[176:177], v[180:181]
	s_delay_alu instid0(VALU_DEP_4) | instskip(NEXT) | instid1(VALU_DEP_4)
	v_fma_f64 v[176:177], v[4:5], v[18:19], v[178:179]
	v_fma_f64 v[18:19], v[2:3], v[18:19], -v[20:21]
	ds_load_b128 v[2:5], v1 offset:1920
	v_add_f64_e32 v[14:15], v[10:11], v[14:15]
	v_add_f64_e32 v[20:21], v[12:13], v[182:183]
	scratch_load_b128 v[10:13], off, off offset:16
	s_wait_loadcnt_dscnt 0x701
	v_mul_f64_e32 v[16:17], v[6:7], v[24:25]
	v_mul_f64_e32 v[24:25], v[8:9], v[24:25]
	v_add_f64_e32 v[14:15], v[14:15], v[18:19]
	v_add_f64_e32 v[18:19], v[20:21], v[176:177]
	s_delay_alu instid0(VALU_DEP_4) | instskip(NEXT) | instid1(VALU_DEP_4)
	v_fma_f64 v[16:17], v[8:9], v[22:23], v[16:17]
	v_fma_f64 v[22:23], v[6:7], v[22:23], -v[24:25]
	ds_load_b128 v[6:9], v1 offset:1936
	s_wait_loadcnt_dscnt 0x601
	v_mul_f64_e32 v[178:179], v[2:3], v[28:29]
	v_mul_f64_e32 v[28:29], v[4:5], v[28:29]
	s_wait_loadcnt_dscnt 0x500
	v_mul_f64_e32 v[20:21], v[6:7], v[32:33]
	v_mul_f64_e32 v[24:25], v[8:9], v[32:33]
	v_add_f64_e32 v[16:17], v[18:19], v[16:17]
	v_add_f64_e32 v[14:15], v[14:15], v[22:23]
	v_fma_f64 v[32:33], v[4:5], v[26:27], v[178:179]
	v_fma_f64 v[26:27], v[2:3], v[26:27], -v[28:29]
	ds_load_b128 v[2:5], v1 offset:1952
	v_fma_f64 v[20:21], v[8:9], v[30:31], v[20:21]
	v_fma_f64 v[24:25], v[6:7], v[30:31], -v[24:25]
	ds_load_b128 v[6:9], v1 offset:1968
	s_wait_loadcnt_dscnt 0x401
	v_mul_f64_e32 v[18:19], v[2:3], v[36:37]
	v_mul_f64_e32 v[22:23], v[4:5], v[36:37]
	v_add_f64_e32 v[16:17], v[16:17], v[32:33]
	v_add_f64_e32 v[14:15], v[14:15], v[26:27]
	s_wait_loadcnt_dscnt 0x300
	v_mul_f64_e32 v[26:27], v[6:7], v[174:175]
	v_mul_f64_e32 v[28:29], v[8:9], v[174:175]
	v_fma_f64 v[18:19], v[4:5], v[34:35], v[18:19]
	v_fma_f64 v[22:23], v[2:3], v[34:35], -v[22:23]
	ds_load_b128 v[2:5], v1 offset:1984
	v_add_f64_e32 v[16:17], v[16:17], v[20:21]
	v_add_f64_e32 v[14:15], v[14:15], v[24:25]
	v_fma_f64 v[26:27], v[8:9], v[172:173], v[26:27]
	v_fma_f64 v[28:29], v[6:7], v[172:173], -v[28:29]
	ds_load_b128 v[6:9], v1 offset:2000
	s_wait_loadcnt_dscnt 0x201
	v_mul_f64_e32 v[20:21], v[2:3], v[40:41]
	v_mul_f64_e32 v[24:25], v[4:5], v[40:41]
	s_wait_loadcnt_dscnt 0x100
	v_mul_f64_e32 v[0:1], v[6:7], v[170:171]
	v_add_f64_e32 v[16:17], v[16:17], v[18:19]
	v_add_f64_e32 v[14:15], v[14:15], v[22:23]
	v_mul_f64_e32 v[18:19], v[8:9], v[170:171]
	v_fma_f64 v[4:5], v[4:5], v[38:39], v[20:21]
	v_fma_f64 v[2:3], v[2:3], v[38:39], -v[24:25]
	v_fma_f64 v[0:1], v[8:9], v[168:169], v[0:1]
	v_add_f64_e32 v[16:17], v[16:17], v[26:27]
	v_add_f64_e32 v[14:15], v[14:15], v[28:29]
	v_fma_f64 v[6:7], v[6:7], v[168:169], -v[18:19]
	s_delay_alu instid0(VALU_DEP_3) | instskip(NEXT) | instid1(VALU_DEP_3)
	v_add_f64_e32 v[4:5], v[16:17], v[4:5]
	v_add_f64_e32 v[2:3], v[14:15], v[2:3]
	s_delay_alu instid0(VALU_DEP_2) | instskip(NEXT) | instid1(VALU_DEP_2)
	v_add_f64_e32 v[4:5], v[4:5], v[0:1]
	v_add_f64_e32 v[2:3], v[2:3], v[6:7]
	s_wait_loadcnt 0x0
	s_delay_alu instid0(VALU_DEP_1) | instskip(NEXT) | instid1(VALU_DEP_3)
	v_add_f64_e64 v[0:1], v[10:11], -v[2:3]
	v_add_f64_e64 v[2:3], v[12:13], -v[4:5]
	scratch_store_b128 off, v[0:3], off offset:16
	s_wait_alu 0xfffe
	s_cbranch_vccz .LBB126_528
; %bb.404:
	v_mov_b32_e32 v0, 0
	global_load_b32 v1, v0, s[8:9] offset:244
	s_wait_loadcnt 0x0
	v_cmp_ne_u32_e32 vcc_lo, 62, v1
	s_cbranch_vccz .LBB126_406
; %bb.405:
	v_lshlrev_b32_e32 v1, 4, v1
	s_delay_alu instid0(VALU_DEP_1)
	v_add_nc_u32_e32 v9, 16, v1
	s_clause 0x1
	scratch_load_b128 v[1:4], v9, off offset:-16
	scratch_load_b128 v[5:8], off, s13
	s_wait_loadcnt 0x1
	scratch_store_b128 off, v[1:4], s13
	s_wait_loadcnt 0x0
	scratch_store_b128 v9, v[5:8], off offset:-16
.LBB126_406:
	global_load_b32 v0, v0, s[8:9] offset:240
	s_wait_loadcnt 0x0
	v_cmp_eq_u32_e32 vcc_lo, 61, v0
	s_cbranch_vccnz .LBB126_408
; %bb.407:
	v_lshlrev_b32_e32 v0, 4, v0
	s_delay_alu instid0(VALU_DEP_1)
	v_add_nc_u32_e32 v8, 16, v0
	s_clause 0x1
	scratch_load_b128 v[0:3], v8, off offset:-16
	scratch_load_b128 v[4:7], off, s16
	s_wait_loadcnt 0x1
	scratch_store_b128 off, v[0:3], s16
	s_wait_loadcnt 0x0
	scratch_store_b128 v8, v[4:7], off offset:-16
.LBB126_408:
	v_mov_b32_e32 v0, 0
	global_load_b32 v1, v0, s[8:9] offset:236
	s_wait_loadcnt 0x0
	v_cmp_eq_u32_e32 vcc_lo, 60, v1
	s_cbranch_vccnz .LBB126_410
; %bb.409:
	v_lshlrev_b32_e32 v1, 4, v1
	s_delay_alu instid0(VALU_DEP_1)
	v_add_nc_u32_e32 v9, 16, v1
	s_clause 0x1
	scratch_load_b128 v[1:4], v9, off offset:-16
	scratch_load_b128 v[5:8], off, s18
	s_wait_loadcnt 0x1
	scratch_store_b128 off, v[1:4], s18
	s_wait_loadcnt 0x0
	scratch_store_b128 v9, v[5:8], off offset:-16
.LBB126_410:
	global_load_b32 v0, v0, s[8:9] offset:232
	s_wait_loadcnt 0x0
	v_cmp_eq_u32_e32 vcc_lo, 59, v0
	s_cbranch_vccnz .LBB126_412
; %bb.411:
	v_lshlrev_b32_e32 v0, 4, v0
	s_delay_alu instid0(VALU_DEP_1)
	v_add_nc_u32_e32 v8, 16, v0
	s_clause 0x1
	scratch_load_b128 v[0:3], v8, off offset:-16
	scratch_load_b128 v[4:7], off, s19
	s_wait_loadcnt 0x1
	scratch_store_b128 off, v[0:3], s19
	s_wait_loadcnt 0x0
	scratch_store_b128 v8, v[4:7], off offset:-16
.LBB126_412:
	v_mov_b32_e32 v0, 0
	global_load_b32 v1, v0, s[8:9] offset:228
	s_wait_loadcnt 0x0
	v_cmp_eq_u32_e32 vcc_lo, 58, v1
	s_cbranch_vccnz .LBB126_414
; %bb.413:
	v_lshlrev_b32_e32 v1, 4, v1
	s_delay_alu instid0(VALU_DEP_1)
	v_add_nc_u32_e32 v9, 16, v1
	s_clause 0x1
	scratch_load_b128 v[1:4], v9, off offset:-16
	scratch_load_b128 v[5:8], off, s20
	s_wait_loadcnt 0x1
	scratch_store_b128 off, v[1:4], s20
	s_wait_loadcnt 0x0
	scratch_store_b128 v9, v[5:8], off offset:-16
.LBB126_414:
	;; [unrolled: 33-line block ×30, first 2 shown]
	global_load_b32 v0, v0, s[8:9]
	s_wait_loadcnt 0x0
	v_cmp_eq_u32_e32 vcc_lo, 1, v0
	s_cbranch_vccnz .LBB126_528
; %bb.527:
	v_lshlrev_b32_e32 v0, 4, v0
	s_delay_alu instid0(VALU_DEP_1)
	v_add_nc_u32_e32 v8, 16, v0
	scratch_load_b128 v[0:3], v8, off offset:-16
	scratch_load_b128 v[4:7], off, off offset:16
	s_wait_loadcnt 0x1
	scratch_store_b128 off, v[0:3], off offset:16
	s_wait_loadcnt 0x0
	scratch_store_b128 v8, v[4:7], off offset:-16
.LBB126_528:
	scratch_load_b128 v[0:3], off, off offset:16
	s_wait_loadcnt 0x0
	flat_store_b128 v[42:43], v[0:3]
	scratch_load_b128 v[0:3], off, s17
	s_wait_loadcnt 0x0
	flat_store_b128 v[44:45], v[0:3]
	scratch_load_b128 v[0:3], off, s15
	;; [unrolled: 3-line block ×62, first 2 shown]
	s_wait_loadcnt 0x0
	flat_store_b128 v[166:167], v[0:3]
	s_nop 0
	s_sendmsg sendmsg(MSG_DEALLOC_VGPRS)
	s_endpgm
	.section	.rodata,"a",@progbits
	.p2align	6, 0x0
	.amdhsa_kernel _ZN9rocsolver6v33100L18getri_kernel_smallILi63E19rocblas_complex_numIdEPKPS3_EEvT1_iilPiilS8_bb
		.amdhsa_group_segment_fixed_size 2024
		.amdhsa_private_segment_fixed_size 1040
		.amdhsa_kernarg_size 60
		.amdhsa_user_sgpr_count 2
		.amdhsa_user_sgpr_dispatch_ptr 0
		.amdhsa_user_sgpr_queue_ptr 0
		.amdhsa_user_sgpr_kernarg_segment_ptr 1
		.amdhsa_user_sgpr_dispatch_id 0
		.amdhsa_user_sgpr_private_segment_size 0
		.amdhsa_wavefront_size32 1
		.amdhsa_uses_dynamic_stack 0
		.amdhsa_enable_private_segment 1
		.amdhsa_system_sgpr_workgroup_id_x 1
		.amdhsa_system_sgpr_workgroup_id_y 0
		.amdhsa_system_sgpr_workgroup_id_z 0
		.amdhsa_system_sgpr_workgroup_info 0
		.amdhsa_system_vgpr_workitem_id 0
		.amdhsa_next_free_vgpr 191
		.amdhsa_next_free_sgpr 102
		.amdhsa_reserve_vcc 1
		.amdhsa_float_round_mode_32 0
		.amdhsa_float_round_mode_16_64 0
		.amdhsa_float_denorm_mode_32 3
		.amdhsa_float_denorm_mode_16_64 3
		.amdhsa_fp16_overflow 0
		.amdhsa_workgroup_processor_mode 1
		.amdhsa_memory_ordered 1
		.amdhsa_forward_progress 1
		.amdhsa_inst_pref_size 255
		.amdhsa_round_robin_scheduling 0
		.amdhsa_exception_fp_ieee_invalid_op 0
		.amdhsa_exception_fp_denorm_src 0
		.amdhsa_exception_fp_ieee_div_zero 0
		.amdhsa_exception_fp_ieee_overflow 0
		.amdhsa_exception_fp_ieee_underflow 0
		.amdhsa_exception_fp_ieee_inexact 0
		.amdhsa_exception_int_div_zero 0
	.end_amdhsa_kernel
	.section	.text._ZN9rocsolver6v33100L18getri_kernel_smallILi63E19rocblas_complex_numIdEPKPS3_EEvT1_iilPiilS8_bb,"axG",@progbits,_ZN9rocsolver6v33100L18getri_kernel_smallILi63E19rocblas_complex_numIdEPKPS3_EEvT1_iilPiilS8_bb,comdat
.Lfunc_end126:
	.size	_ZN9rocsolver6v33100L18getri_kernel_smallILi63E19rocblas_complex_numIdEPKPS3_EEvT1_iilPiilS8_bb, .Lfunc_end126-_ZN9rocsolver6v33100L18getri_kernel_smallILi63E19rocblas_complex_numIdEPKPS3_EEvT1_iilPiilS8_bb
                                        ; -- End function
	.set _ZN9rocsolver6v33100L18getri_kernel_smallILi63E19rocblas_complex_numIdEPKPS3_EEvT1_iilPiilS8_bb.num_vgpr, 191
	.set _ZN9rocsolver6v33100L18getri_kernel_smallILi63E19rocblas_complex_numIdEPKPS3_EEvT1_iilPiilS8_bb.num_agpr, 0
	.set _ZN9rocsolver6v33100L18getri_kernel_smallILi63E19rocblas_complex_numIdEPKPS3_EEvT1_iilPiilS8_bb.numbered_sgpr, 102
	.set _ZN9rocsolver6v33100L18getri_kernel_smallILi63E19rocblas_complex_numIdEPKPS3_EEvT1_iilPiilS8_bb.num_named_barrier, 0
	.set _ZN9rocsolver6v33100L18getri_kernel_smallILi63E19rocblas_complex_numIdEPKPS3_EEvT1_iilPiilS8_bb.private_seg_size, 1040
	.set _ZN9rocsolver6v33100L18getri_kernel_smallILi63E19rocblas_complex_numIdEPKPS3_EEvT1_iilPiilS8_bb.uses_vcc, 1
	.set _ZN9rocsolver6v33100L18getri_kernel_smallILi63E19rocblas_complex_numIdEPKPS3_EEvT1_iilPiilS8_bb.uses_flat_scratch, 1
	.set _ZN9rocsolver6v33100L18getri_kernel_smallILi63E19rocblas_complex_numIdEPKPS3_EEvT1_iilPiilS8_bb.has_dyn_sized_stack, 0
	.set _ZN9rocsolver6v33100L18getri_kernel_smallILi63E19rocblas_complex_numIdEPKPS3_EEvT1_iilPiilS8_bb.has_recursion, 0
	.set _ZN9rocsolver6v33100L18getri_kernel_smallILi63E19rocblas_complex_numIdEPKPS3_EEvT1_iilPiilS8_bb.has_indirect_call, 0
	.section	.AMDGPU.csdata,"",@progbits
; Kernel info:
; codeLenInByte = 152300
; TotalNumSgprs: 104
; NumVgprs: 191
; ScratchSize: 1040
; MemoryBound: 0
; FloatMode: 240
; IeeeMode: 1
; LDSByteSize: 2024 bytes/workgroup (compile time only)
; SGPRBlocks: 0
; VGPRBlocks: 23
; NumSGPRsForWavesPerEU: 104
; NumVGPRsForWavesPerEU: 191
; Occupancy: 8
; WaveLimiterHint : 1
; COMPUTE_PGM_RSRC2:SCRATCH_EN: 1
; COMPUTE_PGM_RSRC2:USER_SGPR: 2
; COMPUTE_PGM_RSRC2:TRAP_HANDLER: 0
; COMPUTE_PGM_RSRC2:TGID_X_EN: 1
; COMPUTE_PGM_RSRC2:TGID_Y_EN: 0
; COMPUTE_PGM_RSRC2:TGID_Z_EN: 0
; COMPUTE_PGM_RSRC2:TIDIG_COMP_CNT: 0
	.section	.text._ZN9rocsolver6v33100L18getri_kernel_smallILi64E19rocblas_complex_numIdEPKPS3_EEvT1_iilPiilS8_bb,"axG",@progbits,_ZN9rocsolver6v33100L18getri_kernel_smallILi64E19rocblas_complex_numIdEPKPS3_EEvT1_iilPiilS8_bb,comdat
	.globl	_ZN9rocsolver6v33100L18getri_kernel_smallILi64E19rocblas_complex_numIdEPKPS3_EEvT1_iilPiilS8_bb ; -- Begin function _ZN9rocsolver6v33100L18getri_kernel_smallILi64E19rocblas_complex_numIdEPKPS3_EEvT1_iilPiilS8_bb
	.p2align	8
	.type	_ZN9rocsolver6v33100L18getri_kernel_smallILi64E19rocblas_complex_numIdEPKPS3_EEvT1_iilPiilS8_bb,@function
_ZN9rocsolver6v33100L18getri_kernel_smallILi64E19rocblas_complex_numIdEPKPS3_EEvT1_iilPiilS8_bb: ; @_ZN9rocsolver6v33100L18getri_kernel_smallILi64E19rocblas_complex_numIdEPKPS3_EEvT1_iilPiilS8_bb
; %bb.0:
	s_mov_b32 s2, exec_lo
	v_cmpx_gt_u32_e32 64, v0
	s_cbranch_execz .LBB127_282
; %bb.1:
	s_clause 0x1
	s_load_b32 s15, s[0:1], 0x38
	s_load_b64 s[2:3], s[0:1], 0x0
	s_mov_b32 s10, ttmp9
	s_load_b128 s[4:7], s[0:1], 0x28
	s_wait_kmcnt 0x0
	s_bitcmp1_b32 s15, 8
	s_cselect_b32 s14, -1, 0
	s_ashr_i32 s11, ttmp9, 31
	s_delay_alu instid0(SALU_CYCLE_1) | instskip(NEXT) | instid1(SALU_CYCLE_1)
	s_lshl_b64 s[8:9], s[10:11], 3
	s_add_nc_u64 s[2:3], s[2:3], s[8:9]
                                        ; implicit-def: $sgpr8_sgpr9
	s_load_b64 s[12:13], s[2:3], 0x0
	s_bfe_u32 s2, s15, 0x10008
	s_delay_alu instid0(SALU_CYCLE_1)
	s_cmp_eq_u32 s2, 0
	s_cbranch_scc1 .LBB127_3
; %bb.2:
	s_load_b96 s[16:18], s[0:1], 0x18
	s_mul_u64 s[2:3], s[4:5], s[10:11]
	s_delay_alu instid0(SALU_CYCLE_1)
	s_lshl_b64 s[2:3], s[2:3], 2
	s_wait_kmcnt 0x0
	s_ashr_i32 s5, s18, 31
	s_mov_b32 s4, s18
	s_add_nc_u64 s[2:3], s[16:17], s[2:3]
	s_lshl_b64 s[4:5], s[4:5], 2
	s_delay_alu instid0(SALU_CYCLE_1)
	s_add_nc_u64 s[8:9], s[2:3], s[4:5]
.LBB127_3:
	s_clause 0x1
	s_load_b64 s[2:3], s[0:1], 0x8
	s_load_b32 s75, s[0:1], 0x38
	v_lshlrev_b32_e32 v13, 4, v0
	s_movk_i32 s16, 0xb0
	s_movk_i32 s18, 0xc0
	;; [unrolled: 1-line block ×17, first 2 shown]
	s_wait_kmcnt 0x0
	s_ashr_i32 s1, s2, 31
	s_mov_b32 s0, s2
	s_ashr_i32 s5, s3, 31
	s_lshl_b64 s[0:1], s[0:1], 4
	s_mov_b32 s4, s3
	s_add_nc_u64 s[0:1], s[12:13], s[0:1]
	s_lshl_b64 s[4:5], s[4:5], 4
	v_add_co_u32 v46, s2, s0, v13
	s_delay_alu instid0(VALU_DEP_1) | instskip(SKIP_1) | instid1(VALU_DEP_3)
	v_add_co_ci_u32_e64 v47, null, s1, 0, s2
	v_add3_u32 v5, s3, s3, v0
	v_add_co_u32 v48, vcc_lo, v46, s4
	flat_load_b128 v[1:4], v[46:47]
	v_add_co_ci_u32_e64 v49, null, s5, v47, vcc_lo
	v_ashrrev_i32_e32 v6, 31, v5
	s_movk_i32 s2, 0x70
	s_movk_i32 s5, 0x90
	s_movk_i32 s13, 0xa0
	s_movk_i32 s35, 0x1c0
	v_lshlrev_b64_e32 v[6:7], 4, v[5:6]
	v_add_nc_u32_e32 v5, s3, v5
	s_movk_i32 s36, 0x1d0
	s_movk_i32 s37, 0x1e0
	s_movk_i32 s38, 0x1f0
	s_movk_i32 s39, 0x200
	v_add_co_u32 v50, vcc_lo, s0, v6
	s_wait_alu 0xfffd
	v_add_co_ci_u32_e64 v51, null, s1, v7, vcc_lo
	v_ashrrev_i32_e32 v6, 31, v5
	s_movk_i32 s40, 0x210
	s_movk_i32 s41, 0x220
	s_movk_i32 s42, 0x230
	s_movk_i32 s43, 0x240
	v_lshlrev_b64_e32 v[6:7], 4, v[5:6]
	v_add_nc_u32_e32 v5, s3, v5
	s_movk_i32 s76, 0x250
	s_movk_i32 s77, 0x260
	s_movk_i32 s78, 0x270
	s_movk_i32 s79, 0x280
	v_add_co_u32 v52, vcc_lo, s0, v6
	s_wait_alu 0xfffd
	;; [unrolled: 14-line block ×4, first 2 shown]
	v_add_co_ci_u32_e64 v57, null, s1, v7, vcc_lo
	v_ashrrev_i32_e32 v6, 31, v5
	s_movk_i32 s96, 0x390
	s_movk_i32 s97, 0x3a0
	;; [unrolled: 1-line block ×4, first 2 shown]
	v_lshlrev_b64_e32 v[6:7], 4, v[5:6]
	v_add_nc_u32_e32 v5, s3, v5
	s_movk_i32 s100, 0x3d0
	s_movk_i32 s101, 0x3e0
	;; [unrolled: 1-line block ×3, first 2 shown]
	s_wait_alu 0xfffe
	s_add_co_i32 s72, s2, 16
	v_add_co_u32 v58, vcc_lo, s0, v6
	s_wait_alu 0xfffd
	v_add_co_ci_u32_e64 v59, null, s1, v7, vcc_lo
	v_ashrrev_i32_e32 v6, 31, v5
	s_add_co_i32 s70, s5, 16
	s_add_co_i32 s69, s13, 16
	s_add_co_i32 s68, s16, 16
	s_add_co_i32 s67, s18, 16
	v_lshlrev_b64_e32 v[6:7], 4, v[5:6]
	v_add_nc_u32_e32 v5, s3, v5
	s_add_co_i32 s66, s19, 16
	s_add_co_i32 s65, s20, 16
	s_add_co_i32 s64, s21, 16
	s_add_co_i32 s63, s22, 16
	v_add_co_u32 v60, vcc_lo, s0, v6
	s_wait_alu 0xfffd
	v_add_co_ci_u32_e64 v61, null, s1, v7, vcc_lo
	v_ashrrev_i32_e32 v6, 31, v5
	s_add_co_i32 s62, s23, 16
	s_add_co_i32 s61, s24, 16
	s_add_co_i32 s60, s25, 16
	s_add_co_i32 s59, s26, 16
	v_lshlrev_b64_e32 v[6:7], 4, v[5:6]
	v_add_nc_u32_e32 v5, s3, v5
	s_add_co_i32 s58, s27, 16
	s_add_co_i32 s57, s28, 16
	s_add_co_i32 s56, s29, 16
	;; [unrolled: 14-line block ×7, first 2 shown]
	s_mov_b32 s17, 32
	v_add_co_u32 v72, vcc_lo, s0, v6
	s_wait_alu 0xfffd
	v_add_co_ci_u32_e64 v73, null, s1, v7, vcc_lo
	v_ashrrev_i32_e32 v6, 31, v5
	s_mov_b32 s15, 48
	s_mov_b32 s12, 64
	s_movk_i32 s4, 0x50
	s_delay_alu instid0(VALU_DEP_1) | instskip(SKIP_1) | instid1(VALU_DEP_2)
	v_lshlrev_b64_e32 v[6:7], 4, v[5:6]
	v_add_nc_u32_e32 v5, s3, v5
	v_add_co_u32 v74, vcc_lo, s0, v6
	s_wait_alu 0xfffd
	s_delay_alu instid0(VALU_DEP_3) | instskip(NEXT) | instid1(VALU_DEP_3)
	v_add_co_ci_u32_e64 v75, null, s1, v7, vcc_lo
	v_ashrrev_i32_e32 v6, 31, v5
	s_delay_alu instid0(VALU_DEP_1) | instskip(SKIP_1) | instid1(VALU_DEP_2)
	v_lshlrev_b64_e32 v[6:7], 4, v[5:6]
	v_add_nc_u32_e32 v5, s3, v5
	v_add_co_u32 v76, vcc_lo, s0, v6
	s_wait_alu 0xfffd
	s_delay_alu instid0(VALU_DEP_3) | instskip(NEXT) | instid1(VALU_DEP_3)
	v_add_co_ci_u32_e64 v77, null, s1, v7, vcc_lo
	v_ashrrev_i32_e32 v6, 31, v5
	;; [unrolled: 8-line block ×9, first 2 shown]
	s_wait_loadcnt_dscnt 0x0
	scratch_store_b128 off, v[1:4], off offset:16
	flat_load_b128 v[1:4], v[48:49]
	v_lshlrev_b64_e32 v[6:7], 4, v[5:6]
	v_add_nc_u32_e32 v5, s3, v5
	s_delay_alu instid0(VALU_DEP_2) | instskip(SKIP_1) | instid1(VALU_DEP_3)
	v_add_co_u32 v92, vcc_lo, s0, v6
	s_wait_alu 0xfffd
	v_add_co_ci_u32_e64 v93, null, s1, v7, vcc_lo
	s_delay_alu instid0(VALU_DEP_3) | instskip(NEXT) | instid1(VALU_DEP_1)
	v_ashrrev_i32_e32 v6, 31, v5
	v_lshlrev_b64_e32 v[6:7], 4, v[5:6]
	v_add_nc_u32_e32 v5, s3, v5
	s_delay_alu instid0(VALU_DEP_2) | instskip(SKIP_1) | instid1(VALU_DEP_3)
	v_add_co_u32 v94, vcc_lo, s0, v6
	s_wait_alu 0xfffd
	v_add_co_ci_u32_e64 v95, null, s1, v7, vcc_lo
	s_delay_alu instid0(VALU_DEP_3) | instskip(NEXT) | instid1(VALU_DEP_1)
	v_ashrrev_i32_e32 v6, 31, v5
	;; [unrolled: 8-line block ×21, first 2 shown]
	v_lshlrev_b64_e32 v[6:7], 4, v[5:6]
	v_add_nc_u32_e32 v5, s3, v5
	s_wait_loadcnt_dscnt 0x0
	scratch_store_b128 off, v[1:4], off offset:32
	flat_load_b128 v[1:4], v[50:51]
	v_add_co_u32 v134, vcc_lo, s0, v6
	s_wait_alu 0xfffd
	v_add_co_ci_u32_e64 v135, null, s1, v7, vcc_lo
	v_ashrrev_i32_e32 v6, 31, v5
	s_delay_alu instid0(VALU_DEP_1) | instskip(SKIP_1) | instid1(VALU_DEP_2)
	v_lshlrev_b64_e32 v[6:7], 4, v[5:6]
	v_add_nc_u32_e32 v5, s3, v5
	v_add_co_u32 v136, vcc_lo, s0, v6
	s_wait_alu 0xfffd
	s_delay_alu instid0(VALU_DEP_3) | instskip(NEXT) | instid1(VALU_DEP_3)
	v_add_co_ci_u32_e64 v137, null, s1, v7, vcc_lo
	v_ashrrev_i32_e32 v6, 31, v5
	s_delay_alu instid0(VALU_DEP_1) | instskip(SKIP_1) | instid1(VALU_DEP_2)
	v_lshlrev_b64_e32 v[6:7], 4, v[5:6]
	v_add_nc_u32_e32 v5, s3, v5
	v_add_co_u32 v138, vcc_lo, s0, v6
	s_wait_alu 0xfffd
	s_delay_alu instid0(VALU_DEP_3) | instskip(NEXT) | instid1(VALU_DEP_3)
	;; [unrolled: 8-line block ×17, first 2 shown]
	v_add_co_ci_u32_e64 v169, null, s1, v7, vcc_lo
	v_ashrrev_i32_e32 v6, 31, v5
	s_delay_alu instid0(VALU_DEP_1) | instskip(SKIP_4) | instid1(VALU_DEP_2)
	v_lshlrev_b64_e32 v[6:7], 4, v[5:6]
	v_add_nc_u32_e32 v5, s3, v5
	s_movk_i32 s3, 0x80
	s_wait_alu 0xfffe
	s_add_co_i32 s71, s3, 16
	v_add_co_u32 v170, vcc_lo, s0, v6
	s_wait_alu 0xfffd
	v_add_co_ci_u32_e64 v171, null, s1, v7, vcc_lo
	v_ashrrev_i32_e32 v6, 31, v5
	s_delay_alu instid0(VALU_DEP_1) | instskip(NEXT) | instid1(VALU_DEP_1)
	v_lshlrev_b64_e32 v[5:6], 4, v[5:6]
	v_add_co_u32 v172, vcc_lo, s0, v5
	s_wait_alu 0xfffd
	s_delay_alu instid0(VALU_DEP_2)
	v_add_co_ci_u32_e64 v173, null, s1, v6, vcc_lo
	s_movk_i32 s0, 0x50
	s_movk_i32 s1, 0x60
	s_wait_alu 0xfffe
	s_add_co_i32 s74, s0, 16
	s_add_co_i32 s73, s1, 16
	s_bitcmp0_b32 s75, 0
	s_mov_b32 s1, -1
	s_wait_loadcnt_dscnt 0x0
	scratch_store_b128 off, v[1:4], off offset:48
	flat_load_b128 v[1:4], v[52:53]
	s_wait_loadcnt_dscnt 0x0
	scratch_store_b128 off, v[1:4], off offset:64
	flat_load_b128 v[1:4], v[54:55]
	;; [unrolled: 3-line block ×61, first 2 shown]
	s_wait_loadcnt_dscnt 0x0
	scratch_store_b128 off, v[1:4], off offset:1024
	s_cbranch_scc1 .LBB127_280
; %bb.4:
	v_cmp_eq_u32_e64 s0, 0, v0
	s_and_saveexec_b32 s1, s0
; %bb.5:
	v_mov_b32_e32 v1, 0
	ds_store_b32 v1, v1 offset:2048
; %bb.6:
	s_wait_alu 0xfffe
	s_or_b32 exec_lo, exec_lo, s1
	s_wait_storecnt_dscnt 0x0
	s_barrier_signal -1
	s_barrier_wait -1
	global_inv scope:SCOPE_SE
	scratch_load_b128 v[1:4], v13, off offset:16
	s_wait_loadcnt 0x0
	v_cmp_eq_f64_e32 vcc_lo, 0, v[1:2]
	v_cmp_eq_f64_e64 s1, 0, v[3:4]
	s_and_b32 s1, vcc_lo, s1
	s_wait_alu 0xfffe
	s_and_saveexec_b32 s2, s1
	s_cbranch_execz .LBB127_10
; %bb.7:
	v_mov_b32_e32 v1, 0
	s_mov_b32 s3, 0
	ds_load_b32 v2, v1 offset:2048
	s_wait_dscnt 0x0
	v_readfirstlane_b32 s1, v2
	v_add_nc_u32_e32 v2, 1, v0
	s_cmp_eq_u32 s1, 0
	s_delay_alu instid0(VALU_DEP_1) | instskip(SKIP_1) | instid1(SALU_CYCLE_1)
	v_cmp_gt_i32_e32 vcc_lo, s1, v2
	s_cselect_b32 s75, -1, 0
	s_or_b32 s75, s75, vcc_lo
	s_delay_alu instid0(SALU_CYCLE_1)
	s_and_b32 exec_lo, exec_lo, s75
	s_cbranch_execz .LBB127_10
; %bb.8:
	v_mov_b32_e32 v3, s1
.LBB127_9:                              ; =>This Inner Loop Header: Depth=1
	ds_cmpstore_rtn_b32 v3, v1, v2, v3 offset:2048
	s_wait_dscnt 0x0
	v_cmp_ne_u32_e32 vcc_lo, 0, v3
	v_cmp_le_i32_e64 s1, v3, v2
	s_and_b32 s1, vcc_lo, s1
	s_wait_alu 0xfffe
	s_and_b32 s1, exec_lo, s1
	s_wait_alu 0xfffe
	s_or_b32 s3, s1, s3
	s_wait_alu 0xfffe
	s_and_not1_b32 exec_lo, exec_lo, s3
	s_cbranch_execnz .LBB127_9
.LBB127_10:
	s_wait_alu 0xfffe
	s_or_b32 exec_lo, exec_lo, s2
	v_mov_b32_e32 v1, 0
	s_barrier_signal -1
	s_barrier_wait -1
	global_inv scope:SCOPE_SE
	ds_load_b32 v2, v1 offset:2048
	s_and_saveexec_b32 s1, s0
	s_cbranch_execz .LBB127_12
; %bb.11:
	s_lshl_b64 s[2:3], s[10:11], 2
	s_wait_alu 0xfffe
	s_add_nc_u64 s[2:3], s[6:7], s[2:3]
	s_wait_dscnt 0x0
	global_store_b32 v1, v2, s[2:3]
.LBB127_12:
	s_wait_alu 0xfffe
	s_or_b32 exec_lo, exec_lo, s1
	s_wait_dscnt 0x0
	v_cmp_ne_u32_e32 vcc_lo, 0, v2
	s_mov_b32 s1, 0
	s_cbranch_vccnz .LBB127_280
; %bb.13:
	v_add_nc_u32_e32 v14, 16, v13
                                        ; implicit-def: $vgpr1_vgpr2
                                        ; implicit-def: $vgpr9_vgpr10
	scratch_load_b128 v[5:8], v14, off
	s_wait_loadcnt 0x0
	v_cmp_ngt_f64_e64 s1, |v[5:6]|, |v[7:8]|
	s_wait_alu 0xfffe
	s_and_saveexec_b32 s2, s1
	s_wait_alu 0xfffe
	s_xor_b32 s1, exec_lo, s2
	s_cbranch_execz .LBB127_15
; %bb.14:
	v_div_scale_f64 v[1:2], null, v[7:8], v[7:8], v[5:6]
	v_div_scale_f64 v[11:12], vcc_lo, v[5:6], v[7:8], v[5:6]
	s_delay_alu instid0(VALU_DEP_2) | instskip(NEXT) | instid1(TRANS32_DEP_1)
	v_rcp_f64_e32 v[3:4], v[1:2]
	v_fma_f64 v[9:10], -v[1:2], v[3:4], 1.0
	s_delay_alu instid0(VALU_DEP_1) | instskip(NEXT) | instid1(VALU_DEP_1)
	v_fma_f64 v[3:4], v[3:4], v[9:10], v[3:4]
	v_fma_f64 v[9:10], -v[1:2], v[3:4], 1.0
	s_delay_alu instid0(VALU_DEP_1) | instskip(NEXT) | instid1(VALU_DEP_1)
	v_fma_f64 v[3:4], v[3:4], v[9:10], v[3:4]
	v_mul_f64_e32 v[9:10], v[11:12], v[3:4]
	s_delay_alu instid0(VALU_DEP_1) | instskip(SKIP_1) | instid1(VALU_DEP_1)
	v_fma_f64 v[1:2], -v[1:2], v[9:10], v[11:12]
	s_wait_alu 0xfffd
	v_div_fmas_f64 v[1:2], v[1:2], v[3:4], v[9:10]
	s_delay_alu instid0(VALU_DEP_1) | instskip(NEXT) | instid1(VALU_DEP_1)
	v_div_fixup_f64 v[1:2], v[1:2], v[7:8], v[5:6]
	v_fma_f64 v[3:4], v[5:6], v[1:2], v[7:8]
	s_delay_alu instid0(VALU_DEP_1) | instskip(SKIP_1) | instid1(VALU_DEP_2)
	v_div_scale_f64 v[5:6], null, v[3:4], v[3:4], 1.0
	v_div_scale_f64 v[11:12], vcc_lo, 1.0, v[3:4], 1.0
	v_rcp_f64_e32 v[7:8], v[5:6]
	s_delay_alu instid0(TRANS32_DEP_1) | instskip(NEXT) | instid1(VALU_DEP_1)
	v_fma_f64 v[9:10], -v[5:6], v[7:8], 1.0
	v_fma_f64 v[7:8], v[7:8], v[9:10], v[7:8]
	s_delay_alu instid0(VALU_DEP_1) | instskip(NEXT) | instid1(VALU_DEP_1)
	v_fma_f64 v[9:10], -v[5:6], v[7:8], 1.0
	v_fma_f64 v[7:8], v[7:8], v[9:10], v[7:8]
	s_delay_alu instid0(VALU_DEP_1) | instskip(NEXT) | instid1(VALU_DEP_1)
	v_mul_f64_e32 v[9:10], v[11:12], v[7:8]
	v_fma_f64 v[5:6], -v[5:6], v[9:10], v[11:12]
	s_wait_alu 0xfffd
	s_delay_alu instid0(VALU_DEP_1) | instskip(NEXT) | instid1(VALU_DEP_1)
	v_div_fmas_f64 v[5:6], v[5:6], v[7:8], v[9:10]
	v_div_fixup_f64 v[3:4], v[5:6], v[3:4], 1.0
                                        ; implicit-def: $vgpr5_vgpr6
	s_delay_alu instid0(VALU_DEP_1) | instskip(SKIP_1) | instid1(VALU_DEP_2)
	v_mul_f64_e32 v[1:2], v[1:2], v[3:4]
	v_xor_b32_e32 v4, 0x80000000, v4
	v_xor_b32_e32 v10, 0x80000000, v2
	s_delay_alu instid0(VALU_DEP_3)
	v_mov_b32_e32 v9, v1
.LBB127_15:
	s_wait_alu 0xfffe
	s_and_not1_saveexec_b32 s1, s1
	s_cbranch_execz .LBB127_17
; %bb.16:
	v_div_scale_f64 v[1:2], null, v[5:6], v[5:6], v[7:8]
	v_div_scale_f64 v[11:12], vcc_lo, v[7:8], v[5:6], v[7:8]
	s_delay_alu instid0(VALU_DEP_2) | instskip(NEXT) | instid1(TRANS32_DEP_1)
	v_rcp_f64_e32 v[3:4], v[1:2]
	v_fma_f64 v[9:10], -v[1:2], v[3:4], 1.0
	s_delay_alu instid0(VALU_DEP_1) | instskip(NEXT) | instid1(VALU_DEP_1)
	v_fma_f64 v[3:4], v[3:4], v[9:10], v[3:4]
	v_fma_f64 v[9:10], -v[1:2], v[3:4], 1.0
	s_delay_alu instid0(VALU_DEP_1) | instskip(NEXT) | instid1(VALU_DEP_1)
	v_fma_f64 v[3:4], v[3:4], v[9:10], v[3:4]
	v_mul_f64_e32 v[9:10], v[11:12], v[3:4]
	s_delay_alu instid0(VALU_DEP_1) | instskip(SKIP_1) | instid1(VALU_DEP_1)
	v_fma_f64 v[1:2], -v[1:2], v[9:10], v[11:12]
	s_wait_alu 0xfffd
	v_div_fmas_f64 v[1:2], v[1:2], v[3:4], v[9:10]
	s_delay_alu instid0(VALU_DEP_1) | instskip(NEXT) | instid1(VALU_DEP_1)
	v_div_fixup_f64 v[3:4], v[1:2], v[5:6], v[7:8]
	v_fma_f64 v[1:2], v[7:8], v[3:4], v[5:6]
	s_delay_alu instid0(VALU_DEP_1) | instskip(NEXT) | instid1(VALU_DEP_1)
	v_div_scale_f64 v[5:6], null, v[1:2], v[1:2], 1.0
	v_rcp_f64_e32 v[7:8], v[5:6]
	s_delay_alu instid0(TRANS32_DEP_1) | instskip(NEXT) | instid1(VALU_DEP_1)
	v_fma_f64 v[9:10], -v[5:6], v[7:8], 1.0
	v_fma_f64 v[7:8], v[7:8], v[9:10], v[7:8]
	s_delay_alu instid0(VALU_DEP_1) | instskip(NEXT) | instid1(VALU_DEP_1)
	v_fma_f64 v[9:10], -v[5:6], v[7:8], 1.0
	v_fma_f64 v[7:8], v[7:8], v[9:10], v[7:8]
	v_div_scale_f64 v[9:10], vcc_lo, 1.0, v[1:2], 1.0
	s_delay_alu instid0(VALU_DEP_1) | instskip(NEXT) | instid1(VALU_DEP_1)
	v_mul_f64_e32 v[11:12], v[9:10], v[7:8]
	v_fma_f64 v[5:6], -v[5:6], v[11:12], v[9:10]
	s_wait_alu 0xfffd
	s_delay_alu instid0(VALU_DEP_1) | instskip(NEXT) | instid1(VALU_DEP_1)
	v_div_fmas_f64 v[5:6], v[5:6], v[7:8], v[11:12]
	v_div_fixup_f64 v[1:2], v[5:6], v[1:2], 1.0
	s_delay_alu instid0(VALU_DEP_1)
	v_mul_f64_e64 v[3:4], v[3:4], -v[1:2]
	v_xor_b32_e32 v10, 0x80000000, v2
	v_mov_b32_e32 v9, v1
.LBB127_17:
	s_wait_alu 0xfffe
	s_or_b32 exec_lo, exec_lo, s1
	scratch_store_b128 v14, v[1:4], off
	scratch_load_b128 v[15:18], off, s17
	v_xor_b32_e32 v12, 0x80000000, v4
	v_mov_b32_e32 v11, v3
	v_or_b32_e32 v5, 0x400, v13
	ds_store_b128 v13, v[9:12]
	s_wait_loadcnt 0x0
	ds_store_b128 v13, v[15:18] offset:1024
	s_wait_storecnt_dscnt 0x0
	s_barrier_signal -1
	s_barrier_wait -1
	global_inv scope:SCOPE_SE
	s_and_saveexec_b32 s1, s0
	s_cbranch_execz .LBB127_19
; %bb.18:
	scratch_load_b128 v[1:4], v14, off
	ds_load_b128 v[6:9], v5
	v_mov_b32_e32 v10, 0
	ds_load_b128 v[15:18], v10 offset:16
	s_wait_loadcnt_dscnt 0x1
	v_mul_f64_e32 v[10:11], v[6:7], v[3:4]
	v_mul_f64_e32 v[3:4], v[8:9], v[3:4]
	s_delay_alu instid0(VALU_DEP_2) | instskip(NEXT) | instid1(VALU_DEP_2)
	v_fma_f64 v[8:9], v[8:9], v[1:2], v[10:11]
	v_fma_f64 v[1:2], v[6:7], v[1:2], -v[3:4]
	s_delay_alu instid0(VALU_DEP_2) | instskip(NEXT) | instid1(VALU_DEP_2)
	v_add_f64_e32 v[3:4], 0, v[8:9]
	v_add_f64_e32 v[1:2], 0, v[1:2]
	s_wait_dscnt 0x0
	s_delay_alu instid0(VALU_DEP_2) | instskip(NEXT) | instid1(VALU_DEP_2)
	v_mul_f64_e32 v[6:7], v[3:4], v[17:18]
	v_mul_f64_e32 v[8:9], v[1:2], v[17:18]
	s_delay_alu instid0(VALU_DEP_2) | instskip(NEXT) | instid1(VALU_DEP_2)
	v_fma_f64 v[1:2], v[1:2], v[15:16], -v[6:7]
	v_fma_f64 v[3:4], v[3:4], v[15:16], v[8:9]
	scratch_store_b128 off, v[1:4], off offset:32
.LBB127_19:
	s_wait_alu 0xfffe
	s_or_b32 exec_lo, exec_lo, s1
	s_wait_loadcnt 0x0
	s_wait_storecnt 0x0
	s_barrier_signal -1
	s_barrier_wait -1
	global_inv scope:SCOPE_SE
	scratch_load_b128 v[1:4], off, s15
	v_cmp_gt_u32_e32 vcc_lo, 2, v0
	s_wait_loadcnt 0x0
	ds_store_b128 v5, v[1:4]
	s_wait_dscnt 0x0
	s_barrier_signal -1
	s_barrier_wait -1
	global_inv scope:SCOPE_SE
	s_and_saveexec_b32 s1, vcc_lo
	s_cbranch_execz .LBB127_23
; %bb.20:
	scratch_load_b128 v[1:4], v14, off
	ds_load_b128 v[6:9], v5
	s_wait_loadcnt_dscnt 0x0
	v_mul_f64_e32 v[10:11], v[8:9], v[3:4]
	v_mul_f64_e32 v[3:4], v[6:7], v[3:4]
	s_delay_alu instid0(VALU_DEP_2) | instskip(NEXT) | instid1(VALU_DEP_2)
	v_fma_f64 v[6:7], v[6:7], v[1:2], -v[10:11]
	v_fma_f64 v[3:4], v[8:9], v[1:2], v[3:4]
	s_delay_alu instid0(VALU_DEP_2) | instskip(NEXT) | instid1(VALU_DEP_2)
	v_add_f64_e32 v[1:2], 0, v[6:7]
	v_add_f64_e32 v[3:4], 0, v[3:4]
	s_and_saveexec_b32 s2, s0
	s_cbranch_execz .LBB127_22
; %bb.21:
	scratch_load_b128 v[6:9], off, off offset:32
	v_mov_b32_e32 v10, 0
	ds_load_b128 v[15:18], v10 offset:1040
	s_wait_loadcnt_dscnt 0x0
	v_mul_f64_e32 v[10:11], v[15:16], v[8:9]
	v_mul_f64_e32 v[8:9], v[17:18], v[8:9]
	s_delay_alu instid0(VALU_DEP_2) | instskip(NEXT) | instid1(VALU_DEP_2)
	v_fma_f64 v[10:11], v[17:18], v[6:7], v[10:11]
	v_fma_f64 v[6:7], v[15:16], v[6:7], -v[8:9]
	s_delay_alu instid0(VALU_DEP_2) | instskip(NEXT) | instid1(VALU_DEP_2)
	v_add_f64_e32 v[3:4], v[3:4], v[10:11]
	v_add_f64_e32 v[1:2], v[1:2], v[6:7]
.LBB127_22:
	s_wait_alu 0xfffe
	s_or_b32 exec_lo, exec_lo, s2
	v_mov_b32_e32 v6, 0
	ds_load_b128 v[6:9], v6 offset:32
	s_wait_dscnt 0x0
	v_mul_f64_e32 v[10:11], v[3:4], v[8:9]
	v_mul_f64_e32 v[8:9], v[1:2], v[8:9]
	s_delay_alu instid0(VALU_DEP_2) | instskip(NEXT) | instid1(VALU_DEP_2)
	v_fma_f64 v[1:2], v[1:2], v[6:7], -v[10:11]
	v_fma_f64 v[3:4], v[3:4], v[6:7], v[8:9]
	scratch_store_b128 off, v[1:4], off offset:48
.LBB127_23:
	s_wait_alu 0xfffe
	s_or_b32 exec_lo, exec_lo, s1
	s_wait_loadcnt 0x0
	s_wait_storecnt 0x0
	s_barrier_signal -1
	s_barrier_wait -1
	global_inv scope:SCOPE_SE
	scratch_load_b128 v[1:4], off, s12
	v_add_nc_u32_e32 v6, -1, v0
	s_mov_b32 s2, exec_lo
	s_wait_loadcnt 0x0
	ds_store_b128 v5, v[1:4]
	s_wait_dscnt 0x0
	s_barrier_signal -1
	s_barrier_wait -1
	global_inv scope:SCOPE_SE
	v_cmpx_gt_u32_e32 3, v0
	s_cbranch_execz .LBB127_27
; %bb.24:
	v_mov_b32_e32 v1, 0
	v_mov_b32_e32 v3, 0
	v_dual_mov_b32 v2, 0 :: v_dual_add_nc_u32 v7, -1, v0
	v_or_b32_e32 v8, 0x400, v13
	v_mov_b32_e32 v4, 0
	v_or_b32_e32 v9, 8, v14
	s_mov_b32 s3, 0
.LBB127_25:                             ; =>This Inner Loop Header: Depth=1
	scratch_load_b128 v[15:18], v9, off offset:-8
	ds_load_b128 v[19:22], v8
	v_add_nc_u32_e32 v7, 1, v7
	v_add_nc_u32_e32 v8, 16, v8
	;; [unrolled: 1-line block ×3, first 2 shown]
	s_delay_alu instid0(VALU_DEP_3)
	v_cmp_lt_u32_e64 s1, 1, v7
	s_wait_alu 0xfffe
	s_or_b32 s3, s1, s3
	s_wait_loadcnt_dscnt 0x0
	v_mul_f64_e32 v[10:11], v[21:22], v[17:18]
	v_mul_f64_e32 v[17:18], v[19:20], v[17:18]
	s_delay_alu instid0(VALU_DEP_2) | instskip(NEXT) | instid1(VALU_DEP_2)
	v_fma_f64 v[10:11], v[19:20], v[15:16], -v[10:11]
	v_fma_f64 v[15:16], v[21:22], v[15:16], v[17:18]
	s_delay_alu instid0(VALU_DEP_2) | instskip(NEXT) | instid1(VALU_DEP_2)
	v_add_f64_e32 v[3:4], v[3:4], v[10:11]
	v_add_f64_e32 v[1:2], v[1:2], v[15:16]
	s_wait_alu 0xfffe
	s_and_not1_b32 exec_lo, exec_lo, s3
	s_cbranch_execnz .LBB127_25
; %bb.26:
	s_or_b32 exec_lo, exec_lo, s3
	v_mov_b32_e32 v7, 0
	ds_load_b128 v[7:10], v7 offset:48
	s_wait_dscnt 0x0
	v_mul_f64_e32 v[11:12], v[1:2], v[9:10]
	v_mul_f64_e32 v[15:16], v[3:4], v[9:10]
	s_delay_alu instid0(VALU_DEP_2) | instskip(NEXT) | instid1(VALU_DEP_2)
	v_fma_f64 v[9:10], v[3:4], v[7:8], -v[11:12]
	v_fma_f64 v[11:12], v[1:2], v[7:8], v[15:16]
	scratch_store_b128 off, v[9:12], off offset:64
.LBB127_27:
	s_wait_alu 0xfffe
	s_or_b32 exec_lo, exec_lo, s2
	s_wait_loadcnt 0x0
	s_wait_storecnt 0x0
	s_barrier_signal -1
	s_barrier_wait -1
	global_inv scope:SCOPE_SE
	scratch_load_b128 v[1:4], off, s4
	v_cmp_gt_u32_e64 s1, 4, v0
	s_wait_loadcnt 0x0
	ds_store_b128 v5, v[1:4]
	s_wait_dscnt 0x0
	s_barrier_signal -1
	s_barrier_wait -1
	global_inv scope:SCOPE_SE
	s_and_saveexec_b32 s3, s1
	s_cbranch_execz .LBB127_31
; %bb.28:
	v_mov_b32_e32 v1, 0
	v_mov_b32_e32 v3, 0
	v_dual_mov_b32 v2, 0 :: v_dual_add_nc_u32 v7, -1, v0
	v_or_b32_e32 v8, 0x400, v13
	v_mov_b32_e32 v4, 0
	v_or_b32_e32 v9, 8, v14
	s_mov_b32 s75, 0
.LBB127_29:                             ; =>This Inner Loop Header: Depth=1
	scratch_load_b128 v[15:18], v9, off offset:-8
	ds_load_b128 v[19:22], v8
	v_add_nc_u32_e32 v7, 1, v7
	v_add_nc_u32_e32 v8, 16, v8
	;; [unrolled: 1-line block ×3, first 2 shown]
	s_delay_alu instid0(VALU_DEP_3) | instskip(SKIP_4) | instid1(VALU_DEP_2)
	v_cmp_lt_u32_e64 s2, 2, v7
	s_or_b32 s75, s2, s75
	s_wait_loadcnt_dscnt 0x0
	v_mul_f64_e32 v[10:11], v[21:22], v[17:18]
	v_mul_f64_e32 v[17:18], v[19:20], v[17:18]
	v_fma_f64 v[10:11], v[19:20], v[15:16], -v[10:11]
	s_delay_alu instid0(VALU_DEP_2) | instskip(NEXT) | instid1(VALU_DEP_2)
	v_fma_f64 v[15:16], v[21:22], v[15:16], v[17:18]
	v_add_f64_e32 v[3:4], v[3:4], v[10:11]
	s_delay_alu instid0(VALU_DEP_2)
	v_add_f64_e32 v[1:2], v[1:2], v[15:16]
	s_and_not1_b32 exec_lo, exec_lo, s75
	s_cbranch_execnz .LBB127_29
; %bb.30:
	s_or_b32 exec_lo, exec_lo, s75
	v_mov_b32_e32 v7, 0
	ds_load_b128 v[7:10], v7 offset:64
	s_wait_dscnt 0x0
	v_mul_f64_e32 v[11:12], v[1:2], v[9:10]
	v_mul_f64_e32 v[15:16], v[3:4], v[9:10]
	s_delay_alu instid0(VALU_DEP_2) | instskip(NEXT) | instid1(VALU_DEP_2)
	v_fma_f64 v[9:10], v[3:4], v[7:8], -v[11:12]
	v_fma_f64 v[11:12], v[1:2], v[7:8], v[15:16]
	scratch_store_b128 off, v[9:12], off offset:80
.LBB127_31:
	s_wait_alu 0xfffe
	s_or_b32 exec_lo, exec_lo, s3
	s_wait_loadcnt 0x0
	s_wait_storecnt 0x0
	s_barrier_signal -1
	s_barrier_wait -1
	global_inv scope:SCOPE_SE
	scratch_load_b128 v[1:4], off, s74
	s_mov_b32 s3, exec_lo
	s_wait_loadcnt 0x0
	ds_store_b128 v5, v[1:4]
	s_wait_dscnt 0x0
	s_barrier_signal -1
	s_barrier_wait -1
	global_inv scope:SCOPE_SE
	v_cmpx_gt_u32_e32 5, v0
	s_cbranch_execz .LBB127_35
; %bb.32:
	v_mov_b32_e32 v1, 0
	v_mov_b32_e32 v3, 0
	v_dual_mov_b32 v2, 0 :: v_dual_add_nc_u32 v7, -1, v0
	v_or_b32_e32 v8, 0x400, v13
	v_mov_b32_e32 v4, 0
	v_or_b32_e32 v9, 8, v14
	s_mov_b32 s75, 0
.LBB127_33:                             ; =>This Inner Loop Header: Depth=1
	scratch_load_b128 v[15:18], v9, off offset:-8
	ds_load_b128 v[19:22], v8
	v_add_nc_u32_e32 v7, 1, v7
	v_add_nc_u32_e32 v8, 16, v8
	;; [unrolled: 1-line block ×3, first 2 shown]
	s_delay_alu instid0(VALU_DEP_3) | instskip(SKIP_4) | instid1(VALU_DEP_2)
	v_cmp_lt_u32_e64 s2, 3, v7
	s_or_b32 s75, s2, s75
	s_wait_loadcnt_dscnt 0x0
	v_mul_f64_e32 v[10:11], v[21:22], v[17:18]
	v_mul_f64_e32 v[17:18], v[19:20], v[17:18]
	v_fma_f64 v[10:11], v[19:20], v[15:16], -v[10:11]
	s_delay_alu instid0(VALU_DEP_2) | instskip(NEXT) | instid1(VALU_DEP_2)
	v_fma_f64 v[15:16], v[21:22], v[15:16], v[17:18]
	v_add_f64_e32 v[3:4], v[3:4], v[10:11]
	s_delay_alu instid0(VALU_DEP_2)
	v_add_f64_e32 v[1:2], v[1:2], v[15:16]
	s_and_not1_b32 exec_lo, exec_lo, s75
	s_cbranch_execnz .LBB127_33
; %bb.34:
	s_or_b32 exec_lo, exec_lo, s75
	v_mov_b32_e32 v7, 0
	ds_load_b128 v[7:10], v7 offset:80
	s_wait_dscnt 0x0
	v_mul_f64_e32 v[11:12], v[1:2], v[9:10]
	v_mul_f64_e32 v[15:16], v[3:4], v[9:10]
	s_delay_alu instid0(VALU_DEP_2) | instskip(NEXT) | instid1(VALU_DEP_2)
	v_fma_f64 v[9:10], v[3:4], v[7:8], -v[11:12]
	v_fma_f64 v[11:12], v[1:2], v[7:8], v[15:16]
	scratch_store_b128 off, v[9:12], off offset:96
.LBB127_35:
	s_wait_alu 0xfffe
	s_or_b32 exec_lo, exec_lo, s3
	s_wait_loadcnt 0x0
	s_wait_storecnt 0x0
	s_barrier_signal -1
	s_barrier_wait -1
	global_inv scope:SCOPE_SE
	scratch_load_b128 v[1:4], off, s73
	v_cmp_gt_u32_e64 s2, 6, v0
	s_wait_loadcnt 0x0
	ds_store_b128 v5, v[1:4]
	s_wait_dscnt 0x0
	s_barrier_signal -1
	s_barrier_wait -1
	global_inv scope:SCOPE_SE
	s_and_saveexec_b32 s75, s2
	s_cbranch_execz .LBB127_39
; %bb.36:
	v_mov_b32_e32 v1, 0
	v_mov_b32_e32 v3, 0
	v_dual_mov_b32 v2, 0 :: v_dual_add_nc_u32 v7, -1, v0
	v_or_b32_e32 v8, 0x400, v13
	v_mov_b32_e32 v4, 0
	v_or_b32_e32 v9, 8, v14
	s_mov_b32 s76, 0
.LBB127_37:                             ; =>This Inner Loop Header: Depth=1
	scratch_load_b128 v[15:18], v9, off offset:-8
	ds_load_b128 v[19:22], v8
	v_add_nc_u32_e32 v7, 1, v7
	v_add_nc_u32_e32 v8, 16, v8
	;; [unrolled: 1-line block ×3, first 2 shown]
	s_delay_alu instid0(VALU_DEP_3) | instskip(SKIP_4) | instid1(VALU_DEP_2)
	v_cmp_lt_u32_e64 s3, 4, v7
	s_or_b32 s76, s3, s76
	s_wait_loadcnt_dscnt 0x0
	v_mul_f64_e32 v[10:11], v[21:22], v[17:18]
	v_mul_f64_e32 v[17:18], v[19:20], v[17:18]
	v_fma_f64 v[10:11], v[19:20], v[15:16], -v[10:11]
	s_delay_alu instid0(VALU_DEP_2) | instskip(NEXT) | instid1(VALU_DEP_2)
	v_fma_f64 v[15:16], v[21:22], v[15:16], v[17:18]
	v_add_f64_e32 v[3:4], v[3:4], v[10:11]
	s_delay_alu instid0(VALU_DEP_2)
	v_add_f64_e32 v[1:2], v[1:2], v[15:16]
	s_and_not1_b32 exec_lo, exec_lo, s76
	s_cbranch_execnz .LBB127_37
; %bb.38:
	s_or_b32 exec_lo, exec_lo, s76
	v_mov_b32_e32 v7, 0
	ds_load_b128 v[7:10], v7 offset:96
	s_wait_dscnt 0x0
	v_mul_f64_e32 v[11:12], v[1:2], v[9:10]
	v_mul_f64_e32 v[15:16], v[3:4], v[9:10]
	s_delay_alu instid0(VALU_DEP_2) | instskip(NEXT) | instid1(VALU_DEP_2)
	v_fma_f64 v[9:10], v[3:4], v[7:8], -v[11:12]
	v_fma_f64 v[11:12], v[1:2], v[7:8], v[15:16]
	scratch_store_b128 off, v[9:12], off offset:112
.LBB127_39:
	s_or_b32 exec_lo, exec_lo, s75
	s_wait_loadcnt 0x0
	s_wait_storecnt 0x0
	s_barrier_signal -1
	s_barrier_wait -1
	global_inv scope:SCOPE_SE
	scratch_load_b128 v[1:4], off, s72
	s_mov_b32 s75, exec_lo
	s_wait_loadcnt 0x0
	ds_store_b128 v5, v[1:4]
	s_wait_dscnt 0x0
	s_barrier_signal -1
	s_barrier_wait -1
	global_inv scope:SCOPE_SE
	v_cmpx_gt_u32_e32 7, v0
	s_cbranch_execz .LBB127_43
; %bb.40:
	v_mov_b32_e32 v1, 0
	v_mov_b32_e32 v3, 0
	v_dual_mov_b32 v2, 0 :: v_dual_add_nc_u32 v7, -1, v0
	v_or_b32_e32 v8, 0x400, v13
	v_mov_b32_e32 v4, 0
	v_or_b32_e32 v9, 8, v14
	s_mov_b32 s76, 0
.LBB127_41:                             ; =>This Inner Loop Header: Depth=1
	scratch_load_b128 v[15:18], v9, off offset:-8
	ds_load_b128 v[19:22], v8
	v_add_nc_u32_e32 v7, 1, v7
	v_add_nc_u32_e32 v8, 16, v8
	;; [unrolled: 1-line block ×3, first 2 shown]
	s_delay_alu instid0(VALU_DEP_3) | instskip(SKIP_4) | instid1(VALU_DEP_2)
	v_cmp_lt_u32_e64 s3, 5, v7
	s_or_b32 s76, s3, s76
	s_wait_loadcnt_dscnt 0x0
	v_mul_f64_e32 v[10:11], v[21:22], v[17:18]
	v_mul_f64_e32 v[17:18], v[19:20], v[17:18]
	v_fma_f64 v[10:11], v[19:20], v[15:16], -v[10:11]
	s_delay_alu instid0(VALU_DEP_2) | instskip(NEXT) | instid1(VALU_DEP_2)
	v_fma_f64 v[15:16], v[21:22], v[15:16], v[17:18]
	v_add_f64_e32 v[3:4], v[3:4], v[10:11]
	s_delay_alu instid0(VALU_DEP_2)
	v_add_f64_e32 v[1:2], v[1:2], v[15:16]
	s_and_not1_b32 exec_lo, exec_lo, s76
	s_cbranch_execnz .LBB127_41
; %bb.42:
	s_or_b32 exec_lo, exec_lo, s76
	v_mov_b32_e32 v7, 0
	ds_load_b128 v[7:10], v7 offset:112
	s_wait_dscnt 0x0
	v_mul_f64_e32 v[11:12], v[1:2], v[9:10]
	v_mul_f64_e32 v[15:16], v[3:4], v[9:10]
	s_delay_alu instid0(VALU_DEP_2) | instskip(NEXT) | instid1(VALU_DEP_2)
	v_fma_f64 v[9:10], v[3:4], v[7:8], -v[11:12]
	v_fma_f64 v[11:12], v[1:2], v[7:8], v[15:16]
	scratch_store_b128 off, v[9:12], off offset:128
.LBB127_43:
	s_or_b32 exec_lo, exec_lo, s75
	s_wait_loadcnt 0x0
	s_wait_storecnt 0x0
	s_barrier_signal -1
	s_barrier_wait -1
	global_inv scope:SCOPE_SE
	scratch_load_b128 v[1:4], off, s71
	s_mov_b32 s75, exec_lo
	s_wait_loadcnt 0x0
	ds_store_b128 v5, v[1:4]
	s_wait_dscnt 0x0
	s_barrier_signal -1
	s_barrier_wait -1
	global_inv scope:SCOPE_SE
	v_cmpx_gt_u32_e32 8, v0
	s_cbranch_execz .LBB127_59
; %bb.44:
	scratch_load_b128 v[1:4], v14, off
	ds_load_b128 v[7:10], v5
	s_mov_b32 s76, exec_lo
	s_wait_loadcnt_dscnt 0x0
	v_mul_f64_e32 v[11:12], v[9:10], v[3:4]
	v_mul_f64_e32 v[3:4], v[7:8], v[3:4]
	s_delay_alu instid0(VALU_DEP_2) | instskip(NEXT) | instid1(VALU_DEP_2)
	v_fma_f64 v[7:8], v[7:8], v[1:2], -v[11:12]
	v_fma_f64 v[1:2], v[9:10], v[1:2], v[3:4]
	s_delay_alu instid0(VALU_DEP_2) | instskip(NEXT) | instid1(VALU_DEP_2)
	v_add_f64_e32 v[3:4], 0, v[7:8]
	v_add_f64_e32 v[1:2], 0, v[1:2]
	v_cmpx_ne_u32_e32 7, v0
	s_cbranch_execz .LBB127_58
; %bb.45:
	scratch_load_b128 v[7:10], v14, off offset:16
	ds_load_b128 v[15:18], v5 offset:16
	s_wait_loadcnt_dscnt 0x0
	v_mul_f64_e32 v[11:12], v[17:18], v[9:10]
	v_mul_f64_e32 v[9:10], v[15:16], v[9:10]
	s_delay_alu instid0(VALU_DEP_2) | instskip(NEXT) | instid1(VALU_DEP_2)
	v_fma_f64 v[11:12], v[15:16], v[7:8], -v[11:12]
	v_fma_f64 v[7:8], v[17:18], v[7:8], v[9:10]
	s_delay_alu instid0(VALU_DEP_2) | instskip(NEXT) | instid1(VALU_DEP_2)
	v_add_f64_e32 v[3:4], v[3:4], v[11:12]
	v_add_f64_e32 v[1:2], v[1:2], v[7:8]
	s_and_saveexec_b32 s3, s2
	s_cbranch_execz .LBB127_57
; %bb.46:
	scratch_load_b128 v[7:10], v14, off offset:32
	ds_load_b128 v[15:18], v5 offset:32
	s_mov_b32 s77, exec_lo
	s_wait_loadcnt_dscnt 0x0
	v_mul_f64_e32 v[11:12], v[17:18], v[9:10]
	v_mul_f64_e32 v[9:10], v[15:16], v[9:10]
	s_delay_alu instid0(VALU_DEP_2) | instskip(NEXT) | instid1(VALU_DEP_2)
	v_fma_f64 v[11:12], v[15:16], v[7:8], -v[11:12]
	v_fma_f64 v[7:8], v[17:18], v[7:8], v[9:10]
	s_delay_alu instid0(VALU_DEP_2) | instskip(NEXT) | instid1(VALU_DEP_2)
	v_add_f64_e32 v[3:4], v[3:4], v[11:12]
	v_add_f64_e32 v[1:2], v[1:2], v[7:8]
	v_cmpx_ne_u32_e32 5, v0
	s_cbranch_execz .LBB127_56
; %bb.47:
	scratch_load_b128 v[7:10], v14, off offset:48
	ds_load_b128 v[15:18], v5 offset:48
	s_wait_loadcnt_dscnt 0x0
	v_mul_f64_e32 v[11:12], v[17:18], v[9:10]
	v_mul_f64_e32 v[9:10], v[15:16], v[9:10]
	s_delay_alu instid0(VALU_DEP_2) | instskip(NEXT) | instid1(VALU_DEP_2)
	v_fma_f64 v[11:12], v[15:16], v[7:8], -v[11:12]
	v_fma_f64 v[7:8], v[17:18], v[7:8], v[9:10]
	s_delay_alu instid0(VALU_DEP_2) | instskip(NEXT) | instid1(VALU_DEP_2)
	v_add_f64_e32 v[3:4], v[3:4], v[11:12]
	v_add_f64_e32 v[1:2], v[1:2], v[7:8]
	s_and_saveexec_b32 s2, s1
	s_cbranch_execz .LBB127_55
; %bb.48:
	scratch_load_b128 v[7:10], v14, off offset:64
	ds_load_b128 v[15:18], v5 offset:64
	s_mov_b32 s78, exec_lo
	s_wait_loadcnt_dscnt 0x0
	v_mul_f64_e32 v[11:12], v[17:18], v[9:10]
	v_mul_f64_e32 v[9:10], v[15:16], v[9:10]
	s_delay_alu instid0(VALU_DEP_2) | instskip(NEXT) | instid1(VALU_DEP_2)
	v_fma_f64 v[11:12], v[15:16], v[7:8], -v[11:12]
	v_fma_f64 v[7:8], v[17:18], v[7:8], v[9:10]
	s_delay_alu instid0(VALU_DEP_2) | instskip(NEXT) | instid1(VALU_DEP_2)
	v_add_f64_e32 v[3:4], v[3:4], v[11:12]
	v_add_f64_e32 v[1:2], v[1:2], v[7:8]
	v_cmpx_ne_u32_e32 3, v0
	s_cbranch_execz .LBB127_54
; %bb.49:
	scratch_load_b128 v[7:10], v14, off offset:80
	ds_load_b128 v[15:18], v5 offset:80
	s_wait_loadcnt_dscnt 0x0
	v_mul_f64_e32 v[11:12], v[17:18], v[9:10]
	v_mul_f64_e32 v[9:10], v[15:16], v[9:10]
	s_delay_alu instid0(VALU_DEP_2) | instskip(NEXT) | instid1(VALU_DEP_2)
	v_fma_f64 v[11:12], v[15:16], v[7:8], -v[11:12]
	v_fma_f64 v[7:8], v[17:18], v[7:8], v[9:10]
	s_delay_alu instid0(VALU_DEP_2) | instskip(NEXT) | instid1(VALU_DEP_2)
	v_add_f64_e32 v[3:4], v[3:4], v[11:12]
	v_add_f64_e32 v[1:2], v[1:2], v[7:8]
	s_and_saveexec_b32 s1, vcc_lo
	s_cbranch_execz .LBB127_53
; %bb.50:
	scratch_load_b128 v[7:10], v14, off offset:96
	ds_load_b128 v[15:18], v5 offset:96
	s_wait_loadcnt_dscnt 0x0
	v_mul_f64_e32 v[11:12], v[17:18], v[9:10]
	v_mul_f64_e32 v[9:10], v[15:16], v[9:10]
	s_delay_alu instid0(VALU_DEP_2) | instskip(NEXT) | instid1(VALU_DEP_2)
	v_fma_f64 v[11:12], v[15:16], v[7:8], -v[11:12]
	v_fma_f64 v[7:8], v[17:18], v[7:8], v[9:10]
	s_delay_alu instid0(VALU_DEP_2) | instskip(NEXT) | instid1(VALU_DEP_2)
	v_add_f64_e32 v[3:4], v[3:4], v[11:12]
	v_add_f64_e32 v[1:2], v[1:2], v[7:8]
	s_and_saveexec_b32 s79, s0
	s_cbranch_execz .LBB127_52
; %bb.51:
	scratch_load_b128 v[7:10], v14, off offset:112
	ds_load_b128 v[15:18], v5 offset:112
	s_wait_loadcnt_dscnt 0x0
	v_mul_f64_e32 v[11:12], v[17:18], v[9:10]
	v_mul_f64_e32 v[9:10], v[15:16], v[9:10]
	s_delay_alu instid0(VALU_DEP_2) | instskip(NEXT) | instid1(VALU_DEP_2)
	v_fma_f64 v[11:12], v[15:16], v[7:8], -v[11:12]
	v_fma_f64 v[7:8], v[17:18], v[7:8], v[9:10]
	s_delay_alu instid0(VALU_DEP_2) | instskip(NEXT) | instid1(VALU_DEP_2)
	v_add_f64_e32 v[3:4], v[3:4], v[11:12]
	v_add_f64_e32 v[1:2], v[1:2], v[7:8]
.LBB127_52:
	s_or_b32 exec_lo, exec_lo, s79
.LBB127_53:
	s_wait_alu 0xfffe
	s_or_b32 exec_lo, exec_lo, s1
.LBB127_54:
	s_delay_alu instid0(SALU_CYCLE_1)
	s_or_b32 exec_lo, exec_lo, s78
.LBB127_55:
	s_wait_alu 0xfffe
	s_or_b32 exec_lo, exec_lo, s2
.LBB127_56:
	s_delay_alu instid0(SALU_CYCLE_1)
	s_or_b32 exec_lo, exec_lo, s77
.LBB127_57:
	s_wait_alu 0xfffe
	s_or_b32 exec_lo, exec_lo, s3
.LBB127_58:
	s_delay_alu instid0(SALU_CYCLE_1)
	s_or_b32 exec_lo, exec_lo, s76
	v_mov_b32_e32 v7, 0
	ds_load_b128 v[7:10], v7 offset:128
	s_wait_dscnt 0x0
	v_mul_f64_e32 v[11:12], v[1:2], v[9:10]
	v_mul_f64_e32 v[15:16], v[3:4], v[9:10]
	s_delay_alu instid0(VALU_DEP_2) | instskip(NEXT) | instid1(VALU_DEP_2)
	v_fma_f64 v[9:10], v[3:4], v[7:8], -v[11:12]
	v_fma_f64 v[11:12], v[1:2], v[7:8], v[15:16]
	scratch_store_b128 off, v[9:12], off offset:144
.LBB127_59:
	s_or_b32 exec_lo, exec_lo, s75
	s_wait_loadcnt 0x0
	s_wait_storecnt 0x0
	s_barrier_signal -1
	s_barrier_wait -1
	global_inv scope:SCOPE_SE
	scratch_load_b128 v[1:4], off, s70
	s_mov_b32 s0, exec_lo
	s_wait_loadcnt 0x0
	ds_store_b128 v5, v[1:4]
	s_wait_dscnt 0x0
	s_barrier_signal -1
	s_barrier_wait -1
	global_inv scope:SCOPE_SE
	v_cmpx_gt_u32_e32 9, v0
	s_cbranch_execz .LBB127_63
; %bb.60:
	v_mov_b32_e32 v1, 0
	v_mov_b32_e32 v3, 0
	v_dual_mov_b32 v2, 0 :: v_dual_add_nc_u32 v7, -1, v0
	v_or_b32_e32 v8, 0x400, v13
	v_mov_b32_e32 v4, 0
	v_or_b32_e32 v9, 8, v14
	s_mov_b32 s1, 0
.LBB127_61:                             ; =>This Inner Loop Header: Depth=1
	scratch_load_b128 v[15:18], v9, off offset:-8
	ds_load_b128 v[19:22], v8
	v_add_nc_u32_e32 v7, 1, v7
	v_add_nc_u32_e32 v8, 16, v8
	v_add_nc_u32_e32 v9, 16, v9
	s_delay_alu instid0(VALU_DEP_3)
	v_cmp_lt_u32_e32 vcc_lo, 7, v7
	s_wait_alu 0xfffe
	s_or_b32 s1, vcc_lo, s1
	s_wait_loadcnt_dscnt 0x0
	v_mul_f64_e32 v[10:11], v[21:22], v[17:18]
	v_mul_f64_e32 v[17:18], v[19:20], v[17:18]
	s_delay_alu instid0(VALU_DEP_2) | instskip(NEXT) | instid1(VALU_DEP_2)
	v_fma_f64 v[10:11], v[19:20], v[15:16], -v[10:11]
	v_fma_f64 v[15:16], v[21:22], v[15:16], v[17:18]
	s_delay_alu instid0(VALU_DEP_2) | instskip(NEXT) | instid1(VALU_DEP_2)
	v_add_f64_e32 v[3:4], v[3:4], v[10:11]
	v_add_f64_e32 v[1:2], v[1:2], v[15:16]
	s_wait_alu 0xfffe
	s_and_not1_b32 exec_lo, exec_lo, s1
	s_cbranch_execnz .LBB127_61
; %bb.62:
	s_or_b32 exec_lo, exec_lo, s1
	v_mov_b32_e32 v7, 0
	ds_load_b128 v[7:10], v7 offset:144
	s_wait_dscnt 0x0
	v_mul_f64_e32 v[11:12], v[1:2], v[9:10]
	v_mul_f64_e32 v[15:16], v[3:4], v[9:10]
	s_delay_alu instid0(VALU_DEP_2) | instskip(NEXT) | instid1(VALU_DEP_2)
	v_fma_f64 v[9:10], v[3:4], v[7:8], -v[11:12]
	v_fma_f64 v[11:12], v[1:2], v[7:8], v[15:16]
	scratch_store_b128 off, v[9:12], off offset:160
.LBB127_63:
	s_wait_alu 0xfffe
	s_or_b32 exec_lo, exec_lo, s0
	s_wait_loadcnt 0x0
	s_wait_storecnt 0x0
	s_barrier_signal -1
	s_barrier_wait -1
	global_inv scope:SCOPE_SE
	scratch_load_b128 v[1:4], off, s69
	s_mov_b32 s0, exec_lo
	s_wait_loadcnt 0x0
	ds_store_b128 v5, v[1:4]
	s_wait_dscnt 0x0
	s_barrier_signal -1
	s_barrier_wait -1
	global_inv scope:SCOPE_SE
	v_cmpx_gt_u32_e32 10, v0
	s_cbranch_execz .LBB127_67
; %bb.64:
	v_mov_b32_e32 v1, 0
	v_mov_b32_e32 v3, 0
	v_dual_mov_b32 v2, 0 :: v_dual_add_nc_u32 v7, -1, v0
	v_or_b32_e32 v8, 0x400, v13
	v_mov_b32_e32 v4, 0
	v_or_b32_e32 v9, 8, v14
	s_mov_b32 s1, 0
.LBB127_65:                             ; =>This Inner Loop Header: Depth=1
	scratch_load_b128 v[15:18], v9, off offset:-8
	ds_load_b128 v[19:22], v8
	v_add_nc_u32_e32 v7, 1, v7
	v_add_nc_u32_e32 v8, 16, v8
	v_add_nc_u32_e32 v9, 16, v9
	s_delay_alu instid0(VALU_DEP_3)
	v_cmp_lt_u32_e32 vcc_lo, 8, v7
	s_wait_alu 0xfffe
	s_or_b32 s1, vcc_lo, s1
	s_wait_loadcnt_dscnt 0x0
	v_mul_f64_e32 v[10:11], v[21:22], v[17:18]
	v_mul_f64_e32 v[17:18], v[19:20], v[17:18]
	s_delay_alu instid0(VALU_DEP_2) | instskip(NEXT) | instid1(VALU_DEP_2)
	v_fma_f64 v[10:11], v[19:20], v[15:16], -v[10:11]
	v_fma_f64 v[15:16], v[21:22], v[15:16], v[17:18]
	s_delay_alu instid0(VALU_DEP_2) | instskip(NEXT) | instid1(VALU_DEP_2)
	v_add_f64_e32 v[3:4], v[3:4], v[10:11]
	v_add_f64_e32 v[1:2], v[1:2], v[15:16]
	s_wait_alu 0xfffe
	s_and_not1_b32 exec_lo, exec_lo, s1
	s_cbranch_execnz .LBB127_65
; %bb.66:
	s_or_b32 exec_lo, exec_lo, s1
	v_mov_b32_e32 v7, 0
	ds_load_b128 v[7:10], v7 offset:160
	s_wait_dscnt 0x0
	v_mul_f64_e32 v[11:12], v[1:2], v[9:10]
	v_mul_f64_e32 v[15:16], v[3:4], v[9:10]
	s_delay_alu instid0(VALU_DEP_2) | instskip(NEXT) | instid1(VALU_DEP_2)
	v_fma_f64 v[9:10], v[3:4], v[7:8], -v[11:12]
	v_fma_f64 v[11:12], v[1:2], v[7:8], v[15:16]
	scratch_store_b128 off, v[9:12], off offset:176
.LBB127_67:
	s_wait_alu 0xfffe
	;; [unrolled: 59-line block ×10, first 2 shown]
	s_or_b32 exec_lo, exec_lo, s0
	s_wait_loadcnt 0x0
	s_wait_storecnt 0x0
	s_barrier_signal -1
	s_barrier_wait -1
	global_inv scope:SCOPE_SE
	scratch_load_b128 v[1:4], off, s60
	s_mov_b32 s0, exec_lo
	s_wait_loadcnt 0x0
	ds_store_b128 v5, v[1:4]
	s_wait_dscnt 0x0
	s_barrier_signal -1
	s_barrier_wait -1
	global_inv scope:SCOPE_SE
	v_cmpx_gt_u32_e32 19, v0
	s_cbranch_execz .LBB127_103
; %bb.100:
	v_mov_b32_e32 v1, 0
	v_mov_b32_e32 v3, 0
	v_dual_mov_b32 v2, 0 :: v_dual_add_nc_u32 v7, -1, v0
	v_or_b32_e32 v8, 0x400, v13
	v_mov_b32_e32 v4, 0
	v_or_b32_e32 v9, 8, v14
	s_mov_b32 s1, 0
.LBB127_101:                            ; =>This Inner Loop Header: Depth=1
	scratch_load_b128 v[15:18], v9, off offset:-8
	ds_load_b128 v[19:22], v8
	v_add_nc_u32_e32 v7, 1, v7
	v_add_nc_u32_e32 v8, 16, v8
	v_add_nc_u32_e32 v9, 16, v9
	s_delay_alu instid0(VALU_DEP_3)
	v_cmp_lt_u32_e32 vcc_lo, 17, v7
	s_wait_alu 0xfffe
	s_or_b32 s1, vcc_lo, s1
	s_wait_loadcnt_dscnt 0x0
	v_mul_f64_e32 v[10:11], v[21:22], v[17:18]
	v_mul_f64_e32 v[17:18], v[19:20], v[17:18]
	s_delay_alu instid0(VALU_DEP_2) | instskip(NEXT) | instid1(VALU_DEP_2)
	v_fma_f64 v[10:11], v[19:20], v[15:16], -v[10:11]
	v_fma_f64 v[15:16], v[21:22], v[15:16], v[17:18]
	s_delay_alu instid0(VALU_DEP_2) | instskip(NEXT) | instid1(VALU_DEP_2)
	v_add_f64_e32 v[3:4], v[3:4], v[10:11]
	v_add_f64_e32 v[1:2], v[1:2], v[15:16]
	s_wait_alu 0xfffe
	s_and_not1_b32 exec_lo, exec_lo, s1
	s_cbranch_execnz .LBB127_101
; %bb.102:
	s_or_b32 exec_lo, exec_lo, s1
	v_mov_b32_e32 v7, 0
	ds_load_b128 v[7:10], v7 offset:304
	s_wait_dscnt 0x0
	v_mul_f64_e32 v[11:12], v[1:2], v[9:10]
	v_mul_f64_e32 v[15:16], v[3:4], v[9:10]
	s_delay_alu instid0(VALU_DEP_2) | instskip(NEXT) | instid1(VALU_DEP_2)
	v_fma_f64 v[9:10], v[3:4], v[7:8], -v[11:12]
	v_fma_f64 v[11:12], v[1:2], v[7:8], v[15:16]
	scratch_store_b128 off, v[9:12], off offset:320
.LBB127_103:
	s_wait_alu 0xfffe
	s_or_b32 exec_lo, exec_lo, s0
	s_wait_loadcnt 0x0
	s_wait_storecnt 0x0
	s_barrier_signal -1
	s_barrier_wait -1
	global_inv scope:SCOPE_SE
	scratch_load_b128 v[1:4], off, s59
	s_mov_b32 s0, exec_lo
	s_wait_loadcnt 0x0
	ds_store_b128 v5, v[1:4]
	s_wait_dscnt 0x0
	s_barrier_signal -1
	s_barrier_wait -1
	global_inv scope:SCOPE_SE
	v_cmpx_gt_u32_e32 20, v0
	s_cbranch_execz .LBB127_107
; %bb.104:
	v_mov_b32_e32 v1, 0
	v_mov_b32_e32 v3, 0
	v_dual_mov_b32 v2, 0 :: v_dual_add_nc_u32 v7, -1, v0
	v_or_b32_e32 v8, 0x400, v13
	v_mov_b32_e32 v4, 0
	v_or_b32_e32 v9, 8, v14
	s_mov_b32 s1, 0
.LBB127_105:                            ; =>This Inner Loop Header: Depth=1
	scratch_load_b128 v[15:18], v9, off offset:-8
	ds_load_b128 v[19:22], v8
	v_add_nc_u32_e32 v7, 1, v7
	v_add_nc_u32_e32 v8, 16, v8
	v_add_nc_u32_e32 v9, 16, v9
	s_delay_alu instid0(VALU_DEP_3)
	v_cmp_lt_u32_e32 vcc_lo, 18, v7
	s_wait_alu 0xfffe
	s_or_b32 s1, vcc_lo, s1
	s_wait_loadcnt_dscnt 0x0
	v_mul_f64_e32 v[10:11], v[21:22], v[17:18]
	v_mul_f64_e32 v[17:18], v[19:20], v[17:18]
	s_delay_alu instid0(VALU_DEP_2) | instskip(NEXT) | instid1(VALU_DEP_2)
	v_fma_f64 v[10:11], v[19:20], v[15:16], -v[10:11]
	v_fma_f64 v[15:16], v[21:22], v[15:16], v[17:18]
	s_delay_alu instid0(VALU_DEP_2) | instskip(NEXT) | instid1(VALU_DEP_2)
	v_add_f64_e32 v[3:4], v[3:4], v[10:11]
	v_add_f64_e32 v[1:2], v[1:2], v[15:16]
	s_wait_alu 0xfffe
	s_and_not1_b32 exec_lo, exec_lo, s1
	s_cbranch_execnz .LBB127_105
; %bb.106:
	s_or_b32 exec_lo, exec_lo, s1
	v_mov_b32_e32 v7, 0
	ds_load_b128 v[7:10], v7 offset:320
	s_wait_dscnt 0x0
	v_mul_f64_e32 v[11:12], v[1:2], v[9:10]
	v_mul_f64_e32 v[15:16], v[3:4], v[9:10]
	s_delay_alu instid0(VALU_DEP_2) | instskip(NEXT) | instid1(VALU_DEP_2)
	v_fma_f64 v[9:10], v[3:4], v[7:8], -v[11:12]
	v_fma_f64 v[11:12], v[1:2], v[7:8], v[15:16]
	scratch_store_b128 off, v[9:12], off offset:336
.LBB127_107:
	s_wait_alu 0xfffe
	;; [unrolled: 59-line block ×44, first 2 shown]
	s_or_b32 exec_lo, exec_lo, s0
	s_wait_loadcnt 0x0
	s_wait_storecnt 0x0
	s_barrier_signal -1
	s_barrier_wait -1
	global_inv scope:SCOPE_SE
	scratch_load_b128 v[1:4], off, s5
	s_mov_b32 s0, exec_lo
	s_wait_loadcnt 0x0
	ds_store_b128 v5, v[1:4]
	s_wait_dscnt 0x0
	s_barrier_signal -1
	s_barrier_wait -1
	global_inv scope:SCOPE_SE
	v_cmpx_ne_u32_e32 63, v0
	s_cbranch_execz .LBB127_279
; %bb.276:
	v_mov_b32_e32 v1, 0
	v_dual_mov_b32 v2, 0 :: v_dual_mov_b32 v3, 0
	v_mov_b32_e32 v4, 0
	v_or_b32_e32 v7, 8, v14
	s_mov_b32 s1, 0
.LBB127_277:                            ; =>This Inner Loop Header: Depth=1
	scratch_load_b128 v[8:11], v7, off offset:-8
	ds_load_b128 v[12:15], v5
	v_add_nc_u32_e32 v6, 1, v6
	v_add_nc_u32_e32 v5, 16, v5
	;; [unrolled: 1-line block ×3, first 2 shown]
	s_delay_alu instid0(VALU_DEP_3)
	v_cmp_lt_u32_e32 vcc_lo, 61, v6
	s_wait_alu 0xfffe
	s_or_b32 s1, vcc_lo, s1
	s_wait_loadcnt_dscnt 0x0
	v_mul_f64_e32 v[16:17], v[14:15], v[10:11]
	v_mul_f64_e32 v[10:11], v[12:13], v[10:11]
	s_delay_alu instid0(VALU_DEP_2) | instskip(NEXT) | instid1(VALU_DEP_2)
	v_fma_f64 v[12:13], v[12:13], v[8:9], -v[16:17]
	v_fma_f64 v[8:9], v[14:15], v[8:9], v[10:11]
	s_delay_alu instid0(VALU_DEP_2) | instskip(NEXT) | instid1(VALU_DEP_2)
	v_add_f64_e32 v[3:4], v[3:4], v[12:13]
	v_add_f64_e32 v[1:2], v[1:2], v[8:9]
	s_wait_alu 0xfffe
	s_and_not1_b32 exec_lo, exec_lo, s1
	s_cbranch_execnz .LBB127_277
; %bb.278:
	s_or_b32 exec_lo, exec_lo, s1
	v_mov_b32_e32 v5, 0
	ds_load_b128 v[5:8], v5 offset:1008
	s_wait_dscnt 0x0
	v_mul_f64_e32 v[9:10], v[1:2], v[7:8]
	v_mul_f64_e32 v[7:8], v[3:4], v[7:8]
	s_delay_alu instid0(VALU_DEP_2) | instskip(NEXT) | instid1(VALU_DEP_2)
	v_fma_f64 v[3:4], v[3:4], v[5:6], -v[9:10]
	v_fma_f64 v[5:6], v[1:2], v[5:6], v[7:8]
	scratch_store_b128 off, v[3:6], off offset:1024
.LBB127_279:
	s_wait_alu 0xfffe
	s_or_b32 exec_lo, exec_lo, s0
	s_mov_b32 s1, -1
	s_wait_loadcnt 0x0
	s_wait_storecnt 0x0
	s_barrier_signal -1
	s_barrier_wait -1
	global_inv scope:SCOPE_SE
.LBB127_280:
	s_wait_alu 0xfffe
	s_and_b32 vcc_lo, exec_lo, s1
	s_wait_alu 0xfffe
	s_cbranch_vccz .LBB127_282
; %bb.281:
	v_mov_b32_e32 v1, 0
	s_lshl_b64 s[0:1], s[10:11], 2
	s_wait_alu 0xfffe
	s_add_nc_u64 s[0:1], s[6:7], s[0:1]
	global_load_b32 v1, v1, s[0:1]
	s_wait_loadcnt 0x0
	v_cmp_ne_u32_e32 vcc_lo, 0, v1
	s_cbranch_vccz .LBB127_283
.LBB127_282:
	s_nop 0
	s_sendmsg sendmsg(MSG_DEALLOC_VGPRS)
	s_endpgm
.LBB127_283:
	v_lshl_or_b32 v174, v0, 4, 0x400
	s_mov_b32 s0, exec_lo
	v_cmpx_eq_u32_e32 63, v0
	s_cbranch_execz .LBB127_285
; %bb.284:
	scratch_load_b128 v[1:4], off, s13
	v_mov_b32_e32 v5, 0
	s_delay_alu instid0(VALU_DEP_1)
	v_dual_mov_b32 v6, v5 :: v_dual_mov_b32 v7, v5
	v_mov_b32_e32 v8, v5
	scratch_store_b128 off, v[5:8], off offset:1008
	s_wait_loadcnt 0x0
	ds_store_b128 v174, v[1:4]
.LBB127_285:
	s_wait_alu 0xfffe
	s_or_b32 exec_lo, exec_lo, s0
	s_wait_storecnt_dscnt 0x0
	s_barrier_signal -1
	s_barrier_wait -1
	global_inv scope:SCOPE_SE
	s_clause 0x1
	scratch_load_b128 v[2:5], off, off offset:1024
	scratch_load_b128 v[6:9], off, off offset:1008
	v_mov_b32_e32 v1, 0
	s_mov_b32 s0, exec_lo
	ds_load_b128 v[10:13], v1 offset:2032
	s_wait_loadcnt_dscnt 0x100
	v_mul_f64_e32 v[14:15], v[12:13], v[4:5]
	v_mul_f64_e32 v[4:5], v[10:11], v[4:5]
	s_delay_alu instid0(VALU_DEP_2) | instskip(NEXT) | instid1(VALU_DEP_2)
	v_fma_f64 v[10:11], v[10:11], v[2:3], -v[14:15]
	v_fma_f64 v[2:3], v[12:13], v[2:3], v[4:5]
	s_delay_alu instid0(VALU_DEP_2) | instskip(NEXT) | instid1(VALU_DEP_2)
	v_add_f64_e32 v[4:5], 0, v[10:11]
	v_add_f64_e32 v[10:11], 0, v[2:3]
	s_wait_loadcnt 0x0
	s_delay_alu instid0(VALU_DEP_2) | instskip(NEXT) | instid1(VALU_DEP_2)
	v_add_f64_e64 v[2:3], v[6:7], -v[4:5]
	v_add_f64_e64 v[4:5], v[8:9], -v[10:11]
	scratch_store_b128 off, v[2:5], off offset:1008
	v_cmpx_lt_u32_e32 61, v0
	s_cbranch_execz .LBB127_287
; %bb.286:
	scratch_load_b128 v[5:8], off, s16
	v_dual_mov_b32 v2, v1 :: v_dual_mov_b32 v3, v1
	v_mov_b32_e32 v4, v1
	scratch_store_b128 off, v[1:4], off offset:992
	s_wait_loadcnt 0x0
	ds_store_b128 v174, v[5:8]
.LBB127_287:
	s_wait_alu 0xfffe
	s_or_b32 exec_lo, exec_lo, s0
	s_wait_storecnt_dscnt 0x0
	s_barrier_signal -1
	s_barrier_wait -1
	global_inv scope:SCOPE_SE
	s_clause 0x2
	scratch_load_b128 v[2:5], off, off offset:1008
	scratch_load_b128 v[6:9], off, off offset:1024
	;; [unrolled: 1-line block ×3, first 2 shown]
	ds_load_b128 v[14:17], v1 offset:2016
	ds_load_b128 v[18:21], v1 offset:2032
	s_mov_b32 s0, exec_lo
	s_wait_loadcnt_dscnt 0x201
	v_mul_f64_e32 v[22:23], v[16:17], v[4:5]
	v_mul_f64_e32 v[4:5], v[14:15], v[4:5]
	s_wait_loadcnt_dscnt 0x100
	v_mul_f64_e32 v[24:25], v[18:19], v[8:9]
	v_mul_f64_e32 v[8:9], v[20:21], v[8:9]
	s_delay_alu instid0(VALU_DEP_4) | instskip(NEXT) | instid1(VALU_DEP_4)
	v_fma_f64 v[14:15], v[14:15], v[2:3], -v[22:23]
	v_fma_f64 v[1:2], v[16:17], v[2:3], v[4:5]
	s_delay_alu instid0(VALU_DEP_4) | instskip(NEXT) | instid1(VALU_DEP_4)
	v_fma_f64 v[3:4], v[20:21], v[6:7], v[24:25]
	v_fma_f64 v[5:6], v[18:19], v[6:7], -v[8:9]
	s_delay_alu instid0(VALU_DEP_4) | instskip(NEXT) | instid1(VALU_DEP_4)
	v_add_f64_e32 v[7:8], 0, v[14:15]
	v_add_f64_e32 v[1:2], 0, v[1:2]
	s_delay_alu instid0(VALU_DEP_2) | instskip(NEXT) | instid1(VALU_DEP_2)
	v_add_f64_e32 v[5:6], v[7:8], v[5:6]
	v_add_f64_e32 v[3:4], v[1:2], v[3:4]
	s_wait_loadcnt 0x0
	s_delay_alu instid0(VALU_DEP_2) | instskip(NEXT) | instid1(VALU_DEP_2)
	v_add_f64_e64 v[1:2], v[10:11], -v[5:6]
	v_add_f64_e64 v[3:4], v[12:13], -v[3:4]
	scratch_store_b128 off, v[1:4], off offset:992
	v_cmpx_lt_u32_e32 60, v0
	s_cbranch_execz .LBB127_289
; %bb.288:
	scratch_load_b128 v[1:4], off, s18
	v_mov_b32_e32 v5, 0
	s_delay_alu instid0(VALU_DEP_1)
	v_dual_mov_b32 v6, v5 :: v_dual_mov_b32 v7, v5
	v_mov_b32_e32 v8, v5
	scratch_store_b128 off, v[5:8], off offset:976
	s_wait_loadcnt 0x0
	ds_store_b128 v174, v[1:4]
.LBB127_289:
	s_wait_alu 0xfffe
	s_or_b32 exec_lo, exec_lo, s0
	s_wait_storecnt_dscnt 0x0
	s_barrier_signal -1
	s_barrier_wait -1
	global_inv scope:SCOPE_SE
	s_clause 0x3
	scratch_load_b128 v[2:5], off, off offset:992
	scratch_load_b128 v[6:9], off, off offset:1008
	;; [unrolled: 1-line block ×4, first 2 shown]
	v_mov_b32_e32 v1, 0
	ds_load_b128 v[18:21], v1 offset:2000
	ds_load_b128 v[22:25], v1 offset:2016
	s_mov_b32 s0, exec_lo
	s_wait_loadcnt_dscnt 0x301
	v_mul_f64_e32 v[26:27], v[20:21], v[4:5]
	v_mul_f64_e32 v[4:5], v[18:19], v[4:5]
	s_wait_loadcnt_dscnt 0x200
	v_mul_f64_e32 v[28:29], v[22:23], v[8:9]
	v_mul_f64_e32 v[8:9], v[24:25], v[8:9]
	s_delay_alu instid0(VALU_DEP_4) | instskip(NEXT) | instid1(VALU_DEP_4)
	v_fma_f64 v[18:19], v[18:19], v[2:3], -v[26:27]
	v_fma_f64 v[20:21], v[20:21], v[2:3], v[4:5]
	ds_load_b128 v[2:5], v1 offset:2032
	v_fma_f64 v[24:25], v[24:25], v[6:7], v[28:29]
	v_fma_f64 v[6:7], v[22:23], v[6:7], -v[8:9]
	s_wait_loadcnt_dscnt 0x100
	v_mul_f64_e32 v[26:27], v[2:3], v[12:13]
	v_mul_f64_e32 v[12:13], v[4:5], v[12:13]
	v_add_f64_e32 v[8:9], 0, v[18:19]
	v_add_f64_e32 v[18:19], 0, v[20:21]
	s_delay_alu instid0(VALU_DEP_4) | instskip(NEXT) | instid1(VALU_DEP_4)
	v_fma_f64 v[4:5], v[4:5], v[10:11], v[26:27]
	v_fma_f64 v[2:3], v[2:3], v[10:11], -v[12:13]
	s_delay_alu instid0(VALU_DEP_4) | instskip(NEXT) | instid1(VALU_DEP_4)
	v_add_f64_e32 v[6:7], v[8:9], v[6:7]
	v_add_f64_e32 v[8:9], v[18:19], v[24:25]
	s_delay_alu instid0(VALU_DEP_2) | instskip(NEXT) | instid1(VALU_DEP_2)
	v_add_f64_e32 v[2:3], v[6:7], v[2:3]
	v_add_f64_e32 v[4:5], v[8:9], v[4:5]
	s_wait_loadcnt 0x0
	s_delay_alu instid0(VALU_DEP_2) | instskip(NEXT) | instid1(VALU_DEP_2)
	v_add_f64_e64 v[2:3], v[14:15], -v[2:3]
	v_add_f64_e64 v[4:5], v[16:17], -v[4:5]
	scratch_store_b128 off, v[2:5], off offset:976
	v_cmpx_lt_u32_e32 59, v0
	s_cbranch_execz .LBB127_291
; %bb.290:
	scratch_load_b128 v[5:8], off, s19
	v_dual_mov_b32 v2, v1 :: v_dual_mov_b32 v3, v1
	v_mov_b32_e32 v4, v1
	scratch_store_b128 off, v[1:4], off offset:960
	s_wait_loadcnt 0x0
	ds_store_b128 v174, v[5:8]
.LBB127_291:
	s_wait_alu 0xfffe
	s_or_b32 exec_lo, exec_lo, s0
	s_wait_storecnt_dscnt 0x0
	s_barrier_signal -1
	s_barrier_wait -1
	global_inv scope:SCOPE_SE
	s_clause 0x4
	scratch_load_b128 v[2:5], off, off offset:976
	scratch_load_b128 v[6:9], off, off offset:992
	;; [unrolled: 1-line block ×5, first 2 shown]
	ds_load_b128 v[22:25], v1 offset:1984
	ds_load_b128 v[26:29], v1 offset:2000
	s_mov_b32 s0, exec_lo
	s_wait_loadcnt_dscnt 0x401
	v_mul_f64_e32 v[30:31], v[24:25], v[4:5]
	v_mul_f64_e32 v[4:5], v[22:23], v[4:5]
	s_wait_loadcnt_dscnt 0x300
	v_mul_f64_e32 v[32:33], v[26:27], v[8:9]
	v_mul_f64_e32 v[8:9], v[28:29], v[8:9]
	s_delay_alu instid0(VALU_DEP_4) | instskip(NEXT) | instid1(VALU_DEP_4)
	v_fma_f64 v[30:31], v[22:23], v[2:3], -v[30:31]
	v_fma_f64 v[34:35], v[24:25], v[2:3], v[4:5]
	ds_load_b128 v[2:5], v1 offset:2016
	ds_load_b128 v[22:25], v1 offset:2032
	v_fma_f64 v[28:29], v[28:29], v[6:7], v[32:33]
	v_fma_f64 v[6:7], v[26:27], v[6:7], -v[8:9]
	s_wait_loadcnt_dscnt 0x201
	v_mul_f64_e32 v[36:37], v[2:3], v[12:13]
	v_mul_f64_e32 v[12:13], v[4:5], v[12:13]
	v_add_f64_e32 v[8:9], 0, v[30:31]
	v_add_f64_e32 v[26:27], 0, v[34:35]
	s_wait_loadcnt_dscnt 0x100
	v_mul_f64_e32 v[30:31], v[22:23], v[16:17]
	v_mul_f64_e32 v[16:17], v[24:25], v[16:17]
	v_fma_f64 v[4:5], v[4:5], v[10:11], v[36:37]
	v_fma_f64 v[1:2], v[2:3], v[10:11], -v[12:13]
	v_add_f64_e32 v[6:7], v[8:9], v[6:7]
	v_add_f64_e32 v[8:9], v[26:27], v[28:29]
	v_fma_f64 v[10:11], v[24:25], v[14:15], v[30:31]
	v_fma_f64 v[12:13], v[22:23], v[14:15], -v[16:17]
	s_delay_alu instid0(VALU_DEP_4) | instskip(NEXT) | instid1(VALU_DEP_4)
	v_add_f64_e32 v[1:2], v[6:7], v[1:2]
	v_add_f64_e32 v[3:4], v[8:9], v[4:5]
	s_delay_alu instid0(VALU_DEP_2) | instskip(NEXT) | instid1(VALU_DEP_2)
	v_add_f64_e32 v[1:2], v[1:2], v[12:13]
	v_add_f64_e32 v[3:4], v[3:4], v[10:11]
	s_wait_loadcnt 0x0
	s_delay_alu instid0(VALU_DEP_2) | instskip(NEXT) | instid1(VALU_DEP_2)
	v_add_f64_e64 v[1:2], v[18:19], -v[1:2]
	v_add_f64_e64 v[3:4], v[20:21], -v[3:4]
	scratch_store_b128 off, v[1:4], off offset:960
	v_cmpx_lt_u32_e32 58, v0
	s_cbranch_execz .LBB127_293
; %bb.292:
	scratch_load_b128 v[1:4], off, s20
	v_mov_b32_e32 v5, 0
	s_delay_alu instid0(VALU_DEP_1)
	v_dual_mov_b32 v6, v5 :: v_dual_mov_b32 v7, v5
	v_mov_b32_e32 v8, v5
	scratch_store_b128 off, v[5:8], off offset:944
	s_wait_loadcnt 0x0
	ds_store_b128 v174, v[1:4]
.LBB127_293:
	s_wait_alu 0xfffe
	s_or_b32 exec_lo, exec_lo, s0
	s_wait_storecnt_dscnt 0x0
	s_barrier_signal -1
	s_barrier_wait -1
	global_inv scope:SCOPE_SE
	s_clause 0x5
	scratch_load_b128 v[2:5], off, off offset:960
	scratch_load_b128 v[6:9], off, off offset:976
	;; [unrolled: 1-line block ×6, first 2 shown]
	v_mov_b32_e32 v1, 0
	ds_load_b128 v[26:29], v1 offset:1968
	ds_load_b128 v[30:33], v1 offset:1984
	s_mov_b32 s0, exec_lo
	s_wait_loadcnt_dscnt 0x501
	v_mul_f64_e32 v[34:35], v[28:29], v[4:5]
	v_mul_f64_e32 v[4:5], v[26:27], v[4:5]
	s_wait_loadcnt_dscnt 0x400
	v_mul_f64_e32 v[36:37], v[30:31], v[8:9]
	v_mul_f64_e32 v[8:9], v[32:33], v[8:9]
	s_delay_alu instid0(VALU_DEP_4) | instskip(NEXT) | instid1(VALU_DEP_4)
	v_fma_f64 v[34:35], v[26:27], v[2:3], -v[34:35]
	v_fma_f64 v[38:39], v[28:29], v[2:3], v[4:5]
	ds_load_b128 v[2:5], v1 offset:2000
	ds_load_b128 v[26:29], v1 offset:2016
	v_fma_f64 v[32:33], v[32:33], v[6:7], v[36:37]
	v_fma_f64 v[6:7], v[30:31], v[6:7], -v[8:9]
	s_wait_loadcnt_dscnt 0x301
	v_mul_f64_e32 v[40:41], v[2:3], v[12:13]
	v_mul_f64_e32 v[12:13], v[4:5], v[12:13]
	v_add_f64_e32 v[8:9], 0, v[34:35]
	v_add_f64_e32 v[30:31], 0, v[38:39]
	s_wait_loadcnt_dscnt 0x200
	v_mul_f64_e32 v[34:35], v[26:27], v[16:17]
	v_mul_f64_e32 v[16:17], v[28:29], v[16:17]
	v_fma_f64 v[36:37], v[4:5], v[10:11], v[40:41]
	v_fma_f64 v[10:11], v[2:3], v[10:11], -v[12:13]
	ds_load_b128 v[2:5], v1 offset:2032
	v_add_f64_e32 v[6:7], v[8:9], v[6:7]
	v_add_f64_e32 v[8:9], v[30:31], v[32:33]
	v_fma_f64 v[28:29], v[28:29], v[14:15], v[34:35]
	v_fma_f64 v[14:15], v[26:27], v[14:15], -v[16:17]
	s_wait_loadcnt_dscnt 0x100
	v_mul_f64_e32 v[12:13], v[2:3], v[20:21]
	v_mul_f64_e32 v[20:21], v[4:5], v[20:21]
	v_add_f64_e32 v[6:7], v[6:7], v[10:11]
	v_add_f64_e32 v[8:9], v[8:9], v[36:37]
	s_delay_alu instid0(VALU_DEP_4) | instskip(NEXT) | instid1(VALU_DEP_4)
	v_fma_f64 v[4:5], v[4:5], v[18:19], v[12:13]
	v_fma_f64 v[2:3], v[2:3], v[18:19], -v[20:21]
	s_delay_alu instid0(VALU_DEP_4) | instskip(NEXT) | instid1(VALU_DEP_4)
	v_add_f64_e32 v[6:7], v[6:7], v[14:15]
	v_add_f64_e32 v[8:9], v[8:9], v[28:29]
	s_delay_alu instid0(VALU_DEP_2) | instskip(NEXT) | instid1(VALU_DEP_2)
	v_add_f64_e32 v[2:3], v[6:7], v[2:3]
	v_add_f64_e32 v[4:5], v[8:9], v[4:5]
	s_wait_loadcnt 0x0
	s_delay_alu instid0(VALU_DEP_2) | instskip(NEXT) | instid1(VALU_DEP_2)
	v_add_f64_e64 v[2:3], v[22:23], -v[2:3]
	v_add_f64_e64 v[4:5], v[24:25], -v[4:5]
	scratch_store_b128 off, v[2:5], off offset:944
	v_cmpx_lt_u32_e32 57, v0
	s_cbranch_execz .LBB127_295
; %bb.294:
	scratch_load_b128 v[5:8], off, s21
	v_dual_mov_b32 v2, v1 :: v_dual_mov_b32 v3, v1
	v_mov_b32_e32 v4, v1
	scratch_store_b128 off, v[1:4], off offset:928
	s_wait_loadcnt 0x0
	ds_store_b128 v174, v[5:8]
.LBB127_295:
	s_wait_alu 0xfffe
	s_or_b32 exec_lo, exec_lo, s0
	s_wait_storecnt_dscnt 0x0
	s_barrier_signal -1
	s_barrier_wait -1
	global_inv scope:SCOPE_SE
	s_clause 0x5
	scratch_load_b128 v[2:5], off, off offset:944
	scratch_load_b128 v[6:9], off, off offset:960
	scratch_load_b128 v[10:13], off, off offset:976
	scratch_load_b128 v[14:17], off, off offset:992
	scratch_load_b128 v[18:21], off, off offset:1008
	scratch_load_b128 v[22:25], off, off offset:1024
	ds_load_b128 v[26:29], v1 offset:1952
	ds_load_b128 v[34:37], v1 offset:1968
	scratch_load_b128 v[30:33], off, off offset:928
	s_mov_b32 s0, exec_lo
	s_wait_loadcnt_dscnt 0x601
	v_mul_f64_e32 v[38:39], v[28:29], v[4:5]
	v_mul_f64_e32 v[4:5], v[26:27], v[4:5]
	s_wait_loadcnt_dscnt 0x500
	v_mul_f64_e32 v[40:41], v[34:35], v[8:9]
	v_mul_f64_e32 v[8:9], v[36:37], v[8:9]
	s_delay_alu instid0(VALU_DEP_4) | instskip(NEXT) | instid1(VALU_DEP_4)
	v_fma_f64 v[38:39], v[26:27], v[2:3], -v[38:39]
	v_fma_f64 v[42:43], v[28:29], v[2:3], v[4:5]
	ds_load_b128 v[2:5], v1 offset:1984
	ds_load_b128 v[26:29], v1 offset:2000
	v_fma_f64 v[36:37], v[36:37], v[6:7], v[40:41]
	v_fma_f64 v[6:7], v[34:35], v[6:7], -v[8:9]
	s_wait_loadcnt_dscnt 0x401
	v_mul_f64_e32 v[44:45], v[2:3], v[12:13]
	v_mul_f64_e32 v[12:13], v[4:5], v[12:13]
	v_add_f64_e32 v[8:9], 0, v[38:39]
	v_add_f64_e32 v[34:35], 0, v[42:43]
	s_wait_loadcnt_dscnt 0x300
	v_mul_f64_e32 v[38:39], v[26:27], v[16:17]
	v_mul_f64_e32 v[16:17], v[28:29], v[16:17]
	v_fma_f64 v[40:41], v[4:5], v[10:11], v[44:45]
	v_fma_f64 v[10:11], v[2:3], v[10:11], -v[12:13]
	v_add_f64_e32 v[12:13], v[8:9], v[6:7]
	v_add_f64_e32 v[34:35], v[34:35], v[36:37]
	ds_load_b128 v[2:5], v1 offset:2016
	ds_load_b128 v[6:9], v1 offset:2032
	v_fma_f64 v[28:29], v[28:29], v[14:15], v[38:39]
	v_fma_f64 v[14:15], v[26:27], v[14:15], -v[16:17]
	s_wait_loadcnt_dscnt 0x201
	v_mul_f64_e32 v[36:37], v[2:3], v[20:21]
	v_mul_f64_e32 v[20:21], v[4:5], v[20:21]
	s_wait_loadcnt_dscnt 0x100
	v_mul_f64_e32 v[16:17], v[6:7], v[24:25]
	v_mul_f64_e32 v[24:25], v[8:9], v[24:25]
	v_add_f64_e32 v[10:11], v[12:13], v[10:11]
	v_add_f64_e32 v[12:13], v[34:35], v[40:41]
	v_fma_f64 v[4:5], v[4:5], v[18:19], v[36:37]
	v_fma_f64 v[1:2], v[2:3], v[18:19], -v[20:21]
	v_fma_f64 v[8:9], v[8:9], v[22:23], v[16:17]
	v_fma_f64 v[6:7], v[6:7], v[22:23], -v[24:25]
	v_add_f64_e32 v[10:11], v[10:11], v[14:15]
	v_add_f64_e32 v[12:13], v[12:13], v[28:29]
	s_delay_alu instid0(VALU_DEP_2) | instskip(NEXT) | instid1(VALU_DEP_2)
	v_add_f64_e32 v[1:2], v[10:11], v[1:2]
	v_add_f64_e32 v[3:4], v[12:13], v[4:5]
	s_delay_alu instid0(VALU_DEP_2) | instskip(NEXT) | instid1(VALU_DEP_2)
	v_add_f64_e32 v[1:2], v[1:2], v[6:7]
	v_add_f64_e32 v[3:4], v[3:4], v[8:9]
	s_wait_loadcnt 0x0
	s_delay_alu instid0(VALU_DEP_2) | instskip(NEXT) | instid1(VALU_DEP_2)
	v_add_f64_e64 v[1:2], v[30:31], -v[1:2]
	v_add_f64_e64 v[3:4], v[32:33], -v[3:4]
	scratch_store_b128 off, v[1:4], off offset:928
	v_cmpx_lt_u32_e32 56, v0
	s_cbranch_execz .LBB127_297
; %bb.296:
	scratch_load_b128 v[1:4], off, s22
	v_mov_b32_e32 v5, 0
	s_delay_alu instid0(VALU_DEP_1)
	v_dual_mov_b32 v6, v5 :: v_dual_mov_b32 v7, v5
	v_mov_b32_e32 v8, v5
	scratch_store_b128 off, v[5:8], off offset:912
	s_wait_loadcnt 0x0
	ds_store_b128 v174, v[1:4]
.LBB127_297:
	s_wait_alu 0xfffe
	s_or_b32 exec_lo, exec_lo, s0
	s_wait_storecnt_dscnt 0x0
	s_barrier_signal -1
	s_barrier_wait -1
	global_inv scope:SCOPE_SE
	s_clause 0x6
	scratch_load_b128 v[2:5], off, off offset:928
	scratch_load_b128 v[6:9], off, off offset:944
	;; [unrolled: 1-line block ×7, first 2 shown]
	v_mov_b32_e32 v1, 0
	scratch_load_b128 v[34:37], off, off offset:912
	s_mov_b32 s0, exec_lo
	ds_load_b128 v[30:33], v1 offset:1936
	ds_load_b128 v[38:41], v1 offset:1952
	s_wait_loadcnt_dscnt 0x701
	v_mul_f64_e32 v[42:43], v[32:33], v[4:5]
	v_mul_f64_e32 v[4:5], v[30:31], v[4:5]
	s_wait_loadcnt_dscnt 0x600
	v_mul_f64_e32 v[44:45], v[38:39], v[8:9]
	v_mul_f64_e32 v[8:9], v[40:41], v[8:9]
	s_delay_alu instid0(VALU_DEP_4) | instskip(NEXT) | instid1(VALU_DEP_4)
	v_fma_f64 v[42:43], v[30:31], v[2:3], -v[42:43]
	v_fma_f64 v[175:176], v[32:33], v[2:3], v[4:5]
	ds_load_b128 v[2:5], v1 offset:1968
	ds_load_b128 v[30:33], v1 offset:1984
	v_fma_f64 v[40:41], v[40:41], v[6:7], v[44:45]
	v_fma_f64 v[6:7], v[38:39], v[6:7], -v[8:9]
	s_wait_loadcnt_dscnt 0x501
	v_mul_f64_e32 v[177:178], v[2:3], v[12:13]
	v_mul_f64_e32 v[12:13], v[4:5], v[12:13]
	v_add_f64_e32 v[8:9], 0, v[42:43]
	v_add_f64_e32 v[38:39], 0, v[175:176]
	s_wait_loadcnt_dscnt 0x400
	v_mul_f64_e32 v[42:43], v[30:31], v[16:17]
	v_mul_f64_e32 v[16:17], v[32:33], v[16:17]
	v_fma_f64 v[44:45], v[4:5], v[10:11], v[177:178]
	v_fma_f64 v[10:11], v[2:3], v[10:11], -v[12:13]
	v_add_f64_e32 v[12:13], v[8:9], v[6:7]
	v_add_f64_e32 v[38:39], v[38:39], v[40:41]
	ds_load_b128 v[2:5], v1 offset:2000
	ds_load_b128 v[6:9], v1 offset:2016
	v_fma_f64 v[32:33], v[32:33], v[14:15], v[42:43]
	v_fma_f64 v[14:15], v[30:31], v[14:15], -v[16:17]
	s_wait_loadcnt_dscnt 0x301
	v_mul_f64_e32 v[40:41], v[2:3], v[20:21]
	v_mul_f64_e32 v[20:21], v[4:5], v[20:21]
	s_wait_loadcnt_dscnt 0x200
	v_mul_f64_e32 v[16:17], v[6:7], v[24:25]
	v_mul_f64_e32 v[24:25], v[8:9], v[24:25]
	v_add_f64_e32 v[10:11], v[12:13], v[10:11]
	v_add_f64_e32 v[12:13], v[38:39], v[44:45]
	v_fma_f64 v[30:31], v[4:5], v[18:19], v[40:41]
	v_fma_f64 v[18:19], v[2:3], v[18:19], -v[20:21]
	ds_load_b128 v[2:5], v1 offset:2032
	v_fma_f64 v[8:9], v[8:9], v[22:23], v[16:17]
	v_fma_f64 v[6:7], v[6:7], v[22:23], -v[24:25]
	v_add_f64_e32 v[10:11], v[10:11], v[14:15]
	v_add_f64_e32 v[12:13], v[12:13], v[32:33]
	s_wait_loadcnt_dscnt 0x100
	v_mul_f64_e32 v[14:15], v[2:3], v[28:29]
	v_mul_f64_e32 v[20:21], v[4:5], v[28:29]
	s_delay_alu instid0(VALU_DEP_4) | instskip(NEXT) | instid1(VALU_DEP_4)
	v_add_f64_e32 v[10:11], v[10:11], v[18:19]
	v_add_f64_e32 v[12:13], v[12:13], v[30:31]
	s_delay_alu instid0(VALU_DEP_4) | instskip(NEXT) | instid1(VALU_DEP_4)
	v_fma_f64 v[4:5], v[4:5], v[26:27], v[14:15]
	v_fma_f64 v[2:3], v[2:3], v[26:27], -v[20:21]
	s_delay_alu instid0(VALU_DEP_4) | instskip(NEXT) | instid1(VALU_DEP_4)
	v_add_f64_e32 v[6:7], v[10:11], v[6:7]
	v_add_f64_e32 v[8:9], v[12:13], v[8:9]
	s_delay_alu instid0(VALU_DEP_2) | instskip(NEXT) | instid1(VALU_DEP_2)
	v_add_f64_e32 v[2:3], v[6:7], v[2:3]
	v_add_f64_e32 v[4:5], v[8:9], v[4:5]
	s_wait_loadcnt 0x0
	s_delay_alu instid0(VALU_DEP_2) | instskip(NEXT) | instid1(VALU_DEP_2)
	v_add_f64_e64 v[2:3], v[34:35], -v[2:3]
	v_add_f64_e64 v[4:5], v[36:37], -v[4:5]
	scratch_store_b128 off, v[2:5], off offset:912
	v_cmpx_lt_u32_e32 55, v0
	s_cbranch_execz .LBB127_299
; %bb.298:
	scratch_load_b128 v[5:8], off, s23
	v_dual_mov_b32 v2, v1 :: v_dual_mov_b32 v3, v1
	v_mov_b32_e32 v4, v1
	scratch_store_b128 off, v[1:4], off offset:896
	s_wait_loadcnt 0x0
	ds_store_b128 v174, v[5:8]
.LBB127_299:
	s_wait_alu 0xfffe
	s_or_b32 exec_lo, exec_lo, s0
	s_wait_storecnt_dscnt 0x0
	s_barrier_signal -1
	s_barrier_wait -1
	global_inv scope:SCOPE_SE
	s_clause 0x7
	scratch_load_b128 v[2:5], off, off offset:912
	scratch_load_b128 v[6:9], off, off offset:928
	;; [unrolled: 1-line block ×8, first 2 shown]
	ds_load_b128 v[34:37], v1 offset:1920
	ds_load_b128 v[38:41], v1 offset:1936
	scratch_load_b128 v[42:45], off, off offset:896
	s_mov_b32 s0, exec_lo
	s_wait_loadcnt_dscnt 0x801
	v_mul_f64_e32 v[175:176], v[36:37], v[4:5]
	v_mul_f64_e32 v[4:5], v[34:35], v[4:5]
	s_wait_loadcnt_dscnt 0x700
	v_mul_f64_e32 v[177:178], v[38:39], v[8:9]
	v_mul_f64_e32 v[8:9], v[40:41], v[8:9]
	s_delay_alu instid0(VALU_DEP_4) | instskip(NEXT) | instid1(VALU_DEP_4)
	v_fma_f64 v[175:176], v[34:35], v[2:3], -v[175:176]
	v_fma_f64 v[179:180], v[36:37], v[2:3], v[4:5]
	ds_load_b128 v[2:5], v1 offset:1952
	ds_load_b128 v[34:37], v1 offset:1968
	v_fma_f64 v[40:41], v[40:41], v[6:7], v[177:178]
	v_fma_f64 v[6:7], v[38:39], v[6:7], -v[8:9]
	s_wait_loadcnt_dscnt 0x601
	v_mul_f64_e32 v[181:182], v[2:3], v[12:13]
	v_mul_f64_e32 v[12:13], v[4:5], v[12:13]
	v_add_f64_e32 v[8:9], 0, v[175:176]
	v_add_f64_e32 v[38:39], 0, v[179:180]
	s_wait_loadcnt_dscnt 0x500
	v_mul_f64_e32 v[175:176], v[34:35], v[16:17]
	v_mul_f64_e32 v[16:17], v[36:37], v[16:17]
	v_fma_f64 v[177:178], v[4:5], v[10:11], v[181:182]
	v_fma_f64 v[10:11], v[2:3], v[10:11], -v[12:13]
	v_add_f64_e32 v[12:13], v[8:9], v[6:7]
	v_add_f64_e32 v[38:39], v[38:39], v[40:41]
	ds_load_b128 v[2:5], v1 offset:1984
	ds_load_b128 v[6:9], v1 offset:2000
	v_fma_f64 v[36:37], v[36:37], v[14:15], v[175:176]
	v_fma_f64 v[14:15], v[34:35], v[14:15], -v[16:17]
	s_wait_loadcnt_dscnt 0x401
	v_mul_f64_e32 v[40:41], v[2:3], v[20:21]
	v_mul_f64_e32 v[20:21], v[4:5], v[20:21]
	s_wait_loadcnt_dscnt 0x300
	v_mul_f64_e32 v[16:17], v[6:7], v[24:25]
	v_mul_f64_e32 v[24:25], v[8:9], v[24:25]
	v_add_f64_e32 v[10:11], v[12:13], v[10:11]
	v_add_f64_e32 v[12:13], v[38:39], v[177:178]
	v_fma_f64 v[34:35], v[4:5], v[18:19], v[40:41]
	v_fma_f64 v[18:19], v[2:3], v[18:19], -v[20:21]
	v_fma_f64 v[8:9], v[8:9], v[22:23], v[16:17]
	v_fma_f64 v[6:7], v[6:7], v[22:23], -v[24:25]
	v_add_f64_e32 v[14:15], v[10:11], v[14:15]
	v_add_f64_e32 v[20:21], v[12:13], v[36:37]
	ds_load_b128 v[2:5], v1 offset:2016
	ds_load_b128 v[10:13], v1 offset:2032
	s_wait_loadcnt_dscnt 0x201
	v_mul_f64_e32 v[36:37], v[2:3], v[28:29]
	v_mul_f64_e32 v[28:29], v[4:5], v[28:29]
	v_add_f64_e32 v[14:15], v[14:15], v[18:19]
	v_add_f64_e32 v[16:17], v[20:21], v[34:35]
	s_wait_loadcnt_dscnt 0x100
	v_mul_f64_e32 v[18:19], v[10:11], v[32:33]
	v_mul_f64_e32 v[20:21], v[12:13], v[32:33]
	v_fma_f64 v[4:5], v[4:5], v[26:27], v[36:37]
	v_fma_f64 v[1:2], v[2:3], v[26:27], -v[28:29]
	v_add_f64_e32 v[6:7], v[14:15], v[6:7]
	v_add_f64_e32 v[8:9], v[16:17], v[8:9]
	v_fma_f64 v[12:13], v[12:13], v[30:31], v[18:19]
	v_fma_f64 v[10:11], v[10:11], v[30:31], -v[20:21]
	s_delay_alu instid0(VALU_DEP_4) | instskip(NEXT) | instid1(VALU_DEP_4)
	v_add_f64_e32 v[1:2], v[6:7], v[1:2]
	v_add_f64_e32 v[3:4], v[8:9], v[4:5]
	s_delay_alu instid0(VALU_DEP_2) | instskip(NEXT) | instid1(VALU_DEP_2)
	v_add_f64_e32 v[1:2], v[1:2], v[10:11]
	v_add_f64_e32 v[3:4], v[3:4], v[12:13]
	s_wait_loadcnt 0x0
	s_delay_alu instid0(VALU_DEP_2) | instskip(NEXT) | instid1(VALU_DEP_2)
	v_add_f64_e64 v[1:2], v[42:43], -v[1:2]
	v_add_f64_e64 v[3:4], v[44:45], -v[3:4]
	scratch_store_b128 off, v[1:4], off offset:896
	v_cmpx_lt_u32_e32 54, v0
	s_cbranch_execz .LBB127_301
; %bb.300:
	scratch_load_b128 v[1:4], off, s24
	v_mov_b32_e32 v5, 0
	s_delay_alu instid0(VALU_DEP_1)
	v_dual_mov_b32 v6, v5 :: v_dual_mov_b32 v7, v5
	v_mov_b32_e32 v8, v5
	scratch_store_b128 off, v[5:8], off offset:880
	s_wait_loadcnt 0x0
	ds_store_b128 v174, v[1:4]
.LBB127_301:
	s_wait_alu 0xfffe
	s_or_b32 exec_lo, exec_lo, s0
	s_wait_storecnt_dscnt 0x0
	s_barrier_signal -1
	s_barrier_wait -1
	global_inv scope:SCOPE_SE
	s_clause 0x7
	scratch_load_b128 v[2:5], off, off offset:896
	scratch_load_b128 v[6:9], off, off offset:912
	;; [unrolled: 1-line block ×8, first 2 shown]
	v_mov_b32_e32 v1, 0
	s_mov_b32 s0, exec_lo
	ds_load_b128 v[34:37], v1 offset:1904
	s_clause 0x1
	scratch_load_b128 v[38:41], off, off offset:1024
	scratch_load_b128 v[42:45], off, off offset:880
	ds_load_b128 v[175:178], v1 offset:1920
	s_wait_loadcnt_dscnt 0x901
	v_mul_f64_e32 v[179:180], v[36:37], v[4:5]
	v_mul_f64_e32 v[4:5], v[34:35], v[4:5]
	s_wait_loadcnt_dscnt 0x800
	v_mul_f64_e32 v[181:182], v[175:176], v[8:9]
	v_mul_f64_e32 v[8:9], v[177:178], v[8:9]
	s_delay_alu instid0(VALU_DEP_4) | instskip(NEXT) | instid1(VALU_DEP_4)
	v_fma_f64 v[179:180], v[34:35], v[2:3], -v[179:180]
	v_fma_f64 v[183:184], v[36:37], v[2:3], v[4:5]
	ds_load_b128 v[2:5], v1 offset:1936
	ds_load_b128 v[34:37], v1 offset:1952
	v_fma_f64 v[177:178], v[177:178], v[6:7], v[181:182]
	v_fma_f64 v[6:7], v[175:176], v[6:7], -v[8:9]
	s_wait_loadcnt_dscnt 0x701
	v_mul_f64_e32 v[185:186], v[2:3], v[12:13]
	v_mul_f64_e32 v[12:13], v[4:5], v[12:13]
	v_add_f64_e32 v[8:9], 0, v[179:180]
	v_add_f64_e32 v[175:176], 0, v[183:184]
	s_wait_loadcnt_dscnt 0x600
	v_mul_f64_e32 v[179:180], v[34:35], v[16:17]
	v_mul_f64_e32 v[16:17], v[36:37], v[16:17]
	v_fma_f64 v[181:182], v[4:5], v[10:11], v[185:186]
	v_fma_f64 v[10:11], v[2:3], v[10:11], -v[12:13]
	v_add_f64_e32 v[12:13], v[8:9], v[6:7]
	v_add_f64_e32 v[175:176], v[175:176], v[177:178]
	ds_load_b128 v[2:5], v1 offset:1968
	ds_load_b128 v[6:9], v1 offset:1984
	v_fma_f64 v[36:37], v[36:37], v[14:15], v[179:180]
	v_fma_f64 v[14:15], v[34:35], v[14:15], -v[16:17]
	s_wait_loadcnt_dscnt 0x501
	v_mul_f64_e32 v[177:178], v[2:3], v[20:21]
	v_mul_f64_e32 v[20:21], v[4:5], v[20:21]
	s_wait_loadcnt_dscnt 0x400
	v_mul_f64_e32 v[16:17], v[6:7], v[24:25]
	v_mul_f64_e32 v[24:25], v[8:9], v[24:25]
	v_add_f64_e32 v[10:11], v[12:13], v[10:11]
	v_add_f64_e32 v[12:13], v[175:176], v[181:182]
	v_fma_f64 v[34:35], v[4:5], v[18:19], v[177:178]
	v_fma_f64 v[18:19], v[2:3], v[18:19], -v[20:21]
	v_fma_f64 v[8:9], v[8:9], v[22:23], v[16:17]
	v_fma_f64 v[6:7], v[6:7], v[22:23], -v[24:25]
	v_add_f64_e32 v[14:15], v[10:11], v[14:15]
	v_add_f64_e32 v[20:21], v[12:13], v[36:37]
	ds_load_b128 v[2:5], v1 offset:2000
	ds_load_b128 v[10:13], v1 offset:2016
	s_wait_loadcnt_dscnt 0x301
	v_mul_f64_e32 v[36:37], v[2:3], v[28:29]
	v_mul_f64_e32 v[28:29], v[4:5], v[28:29]
	v_add_f64_e32 v[14:15], v[14:15], v[18:19]
	v_add_f64_e32 v[16:17], v[20:21], v[34:35]
	s_wait_loadcnt_dscnt 0x200
	v_mul_f64_e32 v[18:19], v[10:11], v[32:33]
	v_mul_f64_e32 v[20:21], v[12:13], v[32:33]
	v_fma_f64 v[22:23], v[4:5], v[26:27], v[36:37]
	v_fma_f64 v[24:25], v[2:3], v[26:27], -v[28:29]
	ds_load_b128 v[2:5], v1 offset:2032
	v_add_f64_e32 v[6:7], v[14:15], v[6:7]
	v_add_f64_e32 v[8:9], v[16:17], v[8:9]
	v_fma_f64 v[12:13], v[12:13], v[30:31], v[18:19]
	v_fma_f64 v[10:11], v[10:11], v[30:31], -v[20:21]
	s_wait_loadcnt_dscnt 0x100
	v_mul_f64_e32 v[14:15], v[2:3], v[40:41]
	v_mul_f64_e32 v[16:17], v[4:5], v[40:41]
	v_add_f64_e32 v[6:7], v[6:7], v[24:25]
	v_add_f64_e32 v[8:9], v[8:9], v[22:23]
	s_delay_alu instid0(VALU_DEP_4) | instskip(NEXT) | instid1(VALU_DEP_4)
	v_fma_f64 v[4:5], v[4:5], v[38:39], v[14:15]
	v_fma_f64 v[2:3], v[2:3], v[38:39], -v[16:17]
	s_delay_alu instid0(VALU_DEP_4) | instskip(NEXT) | instid1(VALU_DEP_4)
	v_add_f64_e32 v[6:7], v[6:7], v[10:11]
	v_add_f64_e32 v[8:9], v[8:9], v[12:13]
	s_delay_alu instid0(VALU_DEP_2) | instskip(NEXT) | instid1(VALU_DEP_2)
	v_add_f64_e32 v[2:3], v[6:7], v[2:3]
	v_add_f64_e32 v[4:5], v[8:9], v[4:5]
	s_wait_loadcnt 0x0
	s_delay_alu instid0(VALU_DEP_2) | instskip(NEXT) | instid1(VALU_DEP_2)
	v_add_f64_e64 v[2:3], v[42:43], -v[2:3]
	v_add_f64_e64 v[4:5], v[44:45], -v[4:5]
	scratch_store_b128 off, v[2:5], off offset:880
	v_cmpx_lt_u32_e32 53, v0
	s_cbranch_execz .LBB127_303
; %bb.302:
	scratch_load_b128 v[5:8], off, s25
	v_dual_mov_b32 v2, v1 :: v_dual_mov_b32 v3, v1
	v_mov_b32_e32 v4, v1
	scratch_store_b128 off, v[1:4], off offset:864
	s_wait_loadcnt 0x0
	ds_store_b128 v174, v[5:8]
.LBB127_303:
	s_wait_alu 0xfffe
	s_or_b32 exec_lo, exec_lo, s0
	s_wait_storecnt_dscnt 0x0
	s_barrier_signal -1
	s_barrier_wait -1
	global_inv scope:SCOPE_SE
	s_clause 0x7
	scratch_load_b128 v[2:5], off, off offset:880
	scratch_load_b128 v[6:9], off, off offset:896
	;; [unrolled: 1-line block ×8, first 2 shown]
	ds_load_b128 v[34:37], v1 offset:1888
	ds_load_b128 v[42:45], v1 offset:1904
	s_clause 0x1
	scratch_load_b128 v[38:41], off, off offset:1008
	scratch_load_b128 v[175:178], off, off offset:1024
	s_mov_b32 s0, exec_lo
	s_wait_loadcnt_dscnt 0x901
	v_mul_f64_e32 v[179:180], v[36:37], v[4:5]
	v_mul_f64_e32 v[4:5], v[34:35], v[4:5]
	s_wait_loadcnt_dscnt 0x800
	v_mul_f64_e32 v[181:182], v[42:43], v[8:9]
	v_mul_f64_e32 v[8:9], v[44:45], v[8:9]
	s_delay_alu instid0(VALU_DEP_4) | instskip(NEXT) | instid1(VALU_DEP_4)
	v_fma_f64 v[34:35], v[34:35], v[2:3], -v[179:180]
	v_fma_f64 v[36:37], v[36:37], v[2:3], v[4:5]
	ds_load_b128 v[2:5], v1 offset:1920
	v_fma_f64 v[44:45], v[44:45], v[6:7], v[181:182]
	v_fma_f64 v[42:43], v[42:43], v[6:7], -v[8:9]
	ds_load_b128 v[6:9], v1 offset:1936
	s_wait_loadcnt_dscnt 0x701
	v_mul_f64_e32 v[179:180], v[2:3], v[12:13]
	v_mul_f64_e32 v[12:13], v[4:5], v[12:13]
	s_wait_loadcnt_dscnt 0x600
	v_mul_f64_e32 v[181:182], v[6:7], v[16:17]
	v_mul_f64_e32 v[16:17], v[8:9], v[16:17]
	v_add_f64_e32 v[34:35], 0, v[34:35]
	v_add_f64_e32 v[36:37], 0, v[36:37]
	v_fma_f64 v[179:180], v[4:5], v[10:11], v[179:180]
	v_fma_f64 v[183:184], v[2:3], v[10:11], -v[12:13]
	ds_load_b128 v[2:5], v1 offset:1952
	scratch_load_b128 v[10:13], off, off offset:864
	v_add_f64_e32 v[34:35], v[34:35], v[42:43]
	v_add_f64_e32 v[36:37], v[36:37], v[44:45]
	v_fma_f64 v[44:45], v[8:9], v[14:15], v[181:182]
	v_fma_f64 v[14:15], v[6:7], v[14:15], -v[16:17]
	ds_load_b128 v[6:9], v1 offset:1968
	s_wait_loadcnt_dscnt 0x601
	v_mul_f64_e32 v[42:43], v[2:3], v[20:21]
	v_mul_f64_e32 v[20:21], v[4:5], v[20:21]
	v_add_f64_e32 v[16:17], v[34:35], v[183:184]
	v_add_f64_e32 v[34:35], v[36:37], v[179:180]
	s_wait_loadcnt_dscnt 0x500
	v_mul_f64_e32 v[36:37], v[6:7], v[24:25]
	v_mul_f64_e32 v[24:25], v[8:9], v[24:25]
	v_fma_f64 v[42:43], v[4:5], v[18:19], v[42:43]
	v_fma_f64 v[18:19], v[2:3], v[18:19], -v[20:21]
	ds_load_b128 v[2:5], v1 offset:1984
	v_add_f64_e32 v[14:15], v[16:17], v[14:15]
	v_add_f64_e32 v[16:17], v[34:35], v[44:45]
	v_fma_f64 v[34:35], v[8:9], v[22:23], v[36:37]
	v_fma_f64 v[22:23], v[6:7], v[22:23], -v[24:25]
	ds_load_b128 v[6:9], v1 offset:2000
	s_wait_loadcnt_dscnt 0x401
	v_mul_f64_e32 v[20:21], v[2:3], v[28:29]
	v_mul_f64_e32 v[28:29], v[4:5], v[28:29]
	s_wait_loadcnt_dscnt 0x300
	v_mul_f64_e32 v[24:25], v[8:9], v[32:33]
	v_add_f64_e32 v[14:15], v[14:15], v[18:19]
	v_add_f64_e32 v[16:17], v[16:17], v[42:43]
	v_mul_f64_e32 v[18:19], v[6:7], v[32:33]
	v_fma_f64 v[20:21], v[4:5], v[26:27], v[20:21]
	v_fma_f64 v[26:27], v[2:3], v[26:27], -v[28:29]
	ds_load_b128 v[2:5], v1 offset:2016
	v_fma_f64 v[24:25], v[6:7], v[30:31], -v[24:25]
	v_add_f64_e32 v[14:15], v[14:15], v[22:23]
	v_add_f64_e32 v[16:17], v[16:17], v[34:35]
	v_fma_f64 v[18:19], v[8:9], v[30:31], v[18:19]
	ds_load_b128 v[6:9], v1 offset:2032
	s_wait_loadcnt_dscnt 0x201
	v_mul_f64_e32 v[22:23], v[2:3], v[40:41]
	v_mul_f64_e32 v[28:29], v[4:5], v[40:41]
	v_add_f64_e32 v[14:15], v[14:15], v[26:27]
	v_add_f64_e32 v[16:17], v[16:17], v[20:21]
	s_wait_loadcnt_dscnt 0x100
	v_mul_f64_e32 v[20:21], v[6:7], v[177:178]
	v_mul_f64_e32 v[26:27], v[8:9], v[177:178]
	v_fma_f64 v[4:5], v[4:5], v[38:39], v[22:23]
	v_fma_f64 v[1:2], v[2:3], v[38:39], -v[28:29]
	v_add_f64_e32 v[14:15], v[14:15], v[24:25]
	v_add_f64_e32 v[16:17], v[16:17], v[18:19]
	v_fma_f64 v[8:9], v[8:9], v[175:176], v[20:21]
	v_fma_f64 v[6:7], v[6:7], v[175:176], -v[26:27]
	s_delay_alu instid0(VALU_DEP_4) | instskip(NEXT) | instid1(VALU_DEP_4)
	v_add_f64_e32 v[1:2], v[14:15], v[1:2]
	v_add_f64_e32 v[3:4], v[16:17], v[4:5]
	s_delay_alu instid0(VALU_DEP_2) | instskip(NEXT) | instid1(VALU_DEP_2)
	v_add_f64_e32 v[1:2], v[1:2], v[6:7]
	v_add_f64_e32 v[3:4], v[3:4], v[8:9]
	s_wait_loadcnt 0x0
	s_delay_alu instid0(VALU_DEP_2) | instskip(NEXT) | instid1(VALU_DEP_2)
	v_add_f64_e64 v[1:2], v[10:11], -v[1:2]
	v_add_f64_e64 v[3:4], v[12:13], -v[3:4]
	scratch_store_b128 off, v[1:4], off offset:864
	v_cmpx_lt_u32_e32 52, v0
	s_cbranch_execz .LBB127_305
; %bb.304:
	scratch_load_b128 v[1:4], off, s26
	v_mov_b32_e32 v5, 0
	s_delay_alu instid0(VALU_DEP_1)
	v_dual_mov_b32 v6, v5 :: v_dual_mov_b32 v7, v5
	v_mov_b32_e32 v8, v5
	scratch_store_b128 off, v[5:8], off offset:848
	s_wait_loadcnt 0x0
	ds_store_b128 v174, v[1:4]
.LBB127_305:
	s_wait_alu 0xfffe
	s_or_b32 exec_lo, exec_lo, s0
	s_wait_storecnt_dscnt 0x0
	s_barrier_signal -1
	s_barrier_wait -1
	global_inv scope:SCOPE_SE
	s_clause 0x7
	scratch_load_b128 v[2:5], off, off offset:864
	scratch_load_b128 v[6:9], off, off offset:880
	;; [unrolled: 1-line block ×8, first 2 shown]
	v_mov_b32_e32 v1, 0
	s_clause 0x1
	scratch_load_b128 v[38:41], off, off offset:992
	scratch_load_b128 v[175:178], off, off offset:1008
	s_mov_b32 s0, exec_lo
	ds_load_b128 v[34:37], v1 offset:1872
	ds_load_b128 v[42:45], v1 offset:1888
	s_wait_loadcnt_dscnt 0x901
	v_mul_f64_e32 v[179:180], v[36:37], v[4:5]
	v_mul_f64_e32 v[4:5], v[34:35], v[4:5]
	s_wait_loadcnt_dscnt 0x800
	v_mul_f64_e32 v[181:182], v[42:43], v[8:9]
	v_mul_f64_e32 v[8:9], v[44:45], v[8:9]
	s_delay_alu instid0(VALU_DEP_4) | instskip(NEXT) | instid1(VALU_DEP_4)
	v_fma_f64 v[179:180], v[34:35], v[2:3], -v[179:180]
	v_fma_f64 v[183:184], v[36:37], v[2:3], v[4:5]
	ds_load_b128 v[2:5], v1 offset:1904
	scratch_load_b128 v[34:37], off, off offset:1024
	v_fma_f64 v[44:45], v[44:45], v[6:7], v[181:182]
	v_fma_f64 v[42:43], v[42:43], v[6:7], -v[8:9]
	ds_load_b128 v[6:9], v1 offset:1920
	s_wait_loadcnt_dscnt 0x801
	v_mul_f64_e32 v[185:186], v[2:3], v[12:13]
	v_mul_f64_e32 v[12:13], v[4:5], v[12:13]
	v_add_f64_e32 v[179:180], 0, v[179:180]
	v_add_f64_e32 v[181:182], 0, v[183:184]
	s_wait_loadcnt_dscnt 0x700
	v_mul_f64_e32 v[183:184], v[6:7], v[16:17]
	v_mul_f64_e32 v[16:17], v[8:9], v[16:17]
	v_fma_f64 v[185:186], v[4:5], v[10:11], v[185:186]
	v_fma_f64 v[10:11], v[2:3], v[10:11], -v[12:13]
	ds_load_b128 v[2:5], v1 offset:1936
	v_add_f64_e32 v[12:13], v[179:180], v[42:43]
	v_add_f64_e32 v[42:43], v[181:182], v[44:45]
	v_fma_f64 v[179:180], v[8:9], v[14:15], v[183:184]
	v_fma_f64 v[14:15], v[6:7], v[14:15], -v[16:17]
	ds_load_b128 v[6:9], v1 offset:1952
	s_wait_loadcnt_dscnt 0x601
	v_mul_f64_e32 v[44:45], v[2:3], v[20:21]
	v_mul_f64_e32 v[20:21], v[4:5], v[20:21]
	s_wait_loadcnt_dscnt 0x500
	v_mul_f64_e32 v[181:182], v[6:7], v[24:25]
	v_mul_f64_e32 v[24:25], v[8:9], v[24:25]
	v_add_f64_e32 v[16:17], v[12:13], v[10:11]
	v_add_f64_e32 v[42:43], v[42:43], v[185:186]
	scratch_load_b128 v[10:13], off, off offset:848
	v_fma_f64 v[44:45], v[4:5], v[18:19], v[44:45]
	v_fma_f64 v[18:19], v[2:3], v[18:19], -v[20:21]
	ds_load_b128 v[2:5], v1 offset:1968
	v_add_f64_e32 v[14:15], v[16:17], v[14:15]
	v_add_f64_e32 v[16:17], v[42:43], v[179:180]
	v_fma_f64 v[42:43], v[8:9], v[22:23], v[181:182]
	v_fma_f64 v[22:23], v[6:7], v[22:23], -v[24:25]
	ds_load_b128 v[6:9], v1 offset:1984
	s_wait_loadcnt_dscnt 0x501
	v_mul_f64_e32 v[20:21], v[2:3], v[28:29]
	v_mul_f64_e32 v[28:29], v[4:5], v[28:29]
	s_wait_loadcnt_dscnt 0x400
	v_mul_f64_e32 v[24:25], v[8:9], v[32:33]
	v_add_f64_e32 v[14:15], v[14:15], v[18:19]
	v_add_f64_e32 v[16:17], v[16:17], v[44:45]
	v_mul_f64_e32 v[18:19], v[6:7], v[32:33]
	v_fma_f64 v[20:21], v[4:5], v[26:27], v[20:21]
	v_fma_f64 v[26:27], v[2:3], v[26:27], -v[28:29]
	ds_load_b128 v[2:5], v1 offset:2000
	v_fma_f64 v[24:25], v[6:7], v[30:31], -v[24:25]
	v_add_f64_e32 v[14:15], v[14:15], v[22:23]
	v_add_f64_e32 v[16:17], v[16:17], v[42:43]
	v_fma_f64 v[18:19], v[8:9], v[30:31], v[18:19]
	ds_load_b128 v[6:9], v1 offset:2016
	s_wait_loadcnt_dscnt 0x301
	v_mul_f64_e32 v[22:23], v[2:3], v[40:41]
	v_mul_f64_e32 v[28:29], v[4:5], v[40:41]
	v_add_f64_e32 v[14:15], v[14:15], v[26:27]
	v_add_f64_e32 v[16:17], v[16:17], v[20:21]
	s_wait_loadcnt_dscnt 0x200
	v_mul_f64_e32 v[20:21], v[6:7], v[177:178]
	v_mul_f64_e32 v[26:27], v[8:9], v[177:178]
	v_fma_f64 v[22:23], v[4:5], v[38:39], v[22:23]
	v_fma_f64 v[28:29], v[2:3], v[38:39], -v[28:29]
	ds_load_b128 v[2:5], v1 offset:2032
	v_add_f64_e32 v[14:15], v[14:15], v[24:25]
	v_add_f64_e32 v[16:17], v[16:17], v[18:19]
	v_fma_f64 v[8:9], v[8:9], v[175:176], v[20:21]
	v_fma_f64 v[6:7], v[6:7], v[175:176], -v[26:27]
	s_wait_loadcnt_dscnt 0x100
	v_mul_f64_e32 v[18:19], v[2:3], v[36:37]
	v_mul_f64_e32 v[24:25], v[4:5], v[36:37]
	v_add_f64_e32 v[14:15], v[14:15], v[28:29]
	v_add_f64_e32 v[16:17], v[16:17], v[22:23]
	s_delay_alu instid0(VALU_DEP_4) | instskip(NEXT) | instid1(VALU_DEP_4)
	v_fma_f64 v[4:5], v[4:5], v[34:35], v[18:19]
	v_fma_f64 v[2:3], v[2:3], v[34:35], -v[24:25]
	s_delay_alu instid0(VALU_DEP_4) | instskip(NEXT) | instid1(VALU_DEP_4)
	v_add_f64_e32 v[6:7], v[14:15], v[6:7]
	v_add_f64_e32 v[8:9], v[16:17], v[8:9]
	s_delay_alu instid0(VALU_DEP_2) | instskip(NEXT) | instid1(VALU_DEP_2)
	v_add_f64_e32 v[2:3], v[6:7], v[2:3]
	v_add_f64_e32 v[4:5], v[8:9], v[4:5]
	s_wait_loadcnt 0x0
	s_delay_alu instid0(VALU_DEP_2) | instskip(NEXT) | instid1(VALU_DEP_2)
	v_add_f64_e64 v[2:3], v[10:11], -v[2:3]
	v_add_f64_e64 v[4:5], v[12:13], -v[4:5]
	scratch_store_b128 off, v[2:5], off offset:848
	v_cmpx_lt_u32_e32 51, v0
	s_cbranch_execz .LBB127_307
; %bb.306:
	scratch_load_b128 v[5:8], off, s27
	v_dual_mov_b32 v2, v1 :: v_dual_mov_b32 v3, v1
	v_mov_b32_e32 v4, v1
	scratch_store_b128 off, v[1:4], off offset:832
	s_wait_loadcnt 0x0
	ds_store_b128 v174, v[5:8]
.LBB127_307:
	s_wait_alu 0xfffe
	s_or_b32 exec_lo, exec_lo, s0
	s_wait_storecnt_dscnt 0x0
	s_barrier_signal -1
	s_barrier_wait -1
	global_inv scope:SCOPE_SE
	s_clause 0x7
	scratch_load_b128 v[2:5], off, off offset:848
	scratch_load_b128 v[6:9], off, off offset:864
	;; [unrolled: 1-line block ×8, first 2 shown]
	ds_load_b128 v[34:37], v1 offset:1856
	ds_load_b128 v[42:45], v1 offset:1872
	s_clause 0x1
	scratch_load_b128 v[38:41], off, off offset:976
	scratch_load_b128 v[175:178], off, off offset:992
	s_mov_b32 s0, exec_lo
	s_wait_loadcnt_dscnt 0x901
	v_mul_f64_e32 v[179:180], v[36:37], v[4:5]
	v_mul_f64_e32 v[4:5], v[34:35], v[4:5]
	s_wait_loadcnt_dscnt 0x800
	v_mul_f64_e32 v[181:182], v[42:43], v[8:9]
	v_mul_f64_e32 v[8:9], v[44:45], v[8:9]
	s_delay_alu instid0(VALU_DEP_4) | instskip(NEXT) | instid1(VALU_DEP_4)
	v_fma_f64 v[179:180], v[34:35], v[2:3], -v[179:180]
	v_fma_f64 v[183:184], v[36:37], v[2:3], v[4:5]
	ds_load_b128 v[2:5], v1 offset:1888
	scratch_load_b128 v[34:37], off, off offset:1008
	v_fma_f64 v[181:182], v[44:45], v[6:7], v[181:182]
	v_fma_f64 v[187:188], v[42:43], v[6:7], -v[8:9]
	ds_load_b128 v[6:9], v1 offset:1904
	scratch_load_b128 v[42:45], off, off offset:1024
	s_wait_loadcnt_dscnt 0x901
	v_mul_f64_e32 v[185:186], v[2:3], v[12:13]
	v_mul_f64_e32 v[12:13], v[4:5], v[12:13]
	s_wait_loadcnt_dscnt 0x800
	v_mul_f64_e32 v[189:190], v[6:7], v[16:17]
	v_mul_f64_e32 v[16:17], v[8:9], v[16:17]
	v_add_f64_e32 v[179:180], 0, v[179:180]
	v_add_f64_e32 v[183:184], 0, v[183:184]
	v_fma_f64 v[185:186], v[4:5], v[10:11], v[185:186]
	v_fma_f64 v[10:11], v[2:3], v[10:11], -v[12:13]
	ds_load_b128 v[2:5], v1 offset:1920
	v_add_f64_e32 v[12:13], v[179:180], v[187:188]
	v_add_f64_e32 v[179:180], v[183:184], v[181:182]
	v_fma_f64 v[183:184], v[8:9], v[14:15], v[189:190]
	v_fma_f64 v[14:15], v[6:7], v[14:15], -v[16:17]
	ds_load_b128 v[6:9], v1 offset:1936
	s_wait_loadcnt_dscnt 0x701
	v_mul_f64_e32 v[181:182], v[2:3], v[20:21]
	v_mul_f64_e32 v[20:21], v[4:5], v[20:21]
	s_wait_loadcnt_dscnt 0x600
	v_mul_f64_e32 v[16:17], v[6:7], v[24:25]
	v_mul_f64_e32 v[24:25], v[8:9], v[24:25]
	v_add_f64_e32 v[10:11], v[12:13], v[10:11]
	v_add_f64_e32 v[12:13], v[179:180], v[185:186]
	v_fma_f64 v[179:180], v[4:5], v[18:19], v[181:182]
	v_fma_f64 v[18:19], v[2:3], v[18:19], -v[20:21]
	ds_load_b128 v[2:5], v1 offset:1952
	v_fma_f64 v[16:17], v[8:9], v[22:23], v[16:17]
	v_fma_f64 v[22:23], v[6:7], v[22:23], -v[24:25]
	ds_load_b128 v[6:9], v1 offset:1968
	s_wait_loadcnt_dscnt 0x501
	v_mul_f64_e32 v[181:182], v[2:3], v[28:29]
	v_mul_f64_e32 v[28:29], v[4:5], v[28:29]
	v_add_f64_e32 v[14:15], v[10:11], v[14:15]
	v_add_f64_e32 v[20:21], v[12:13], v[183:184]
	scratch_load_b128 v[10:13], off, off offset:832
	s_wait_loadcnt_dscnt 0x500
	v_mul_f64_e32 v[24:25], v[8:9], v[32:33]
	v_add_f64_e32 v[14:15], v[14:15], v[18:19]
	v_add_f64_e32 v[18:19], v[20:21], v[179:180]
	v_mul_f64_e32 v[20:21], v[6:7], v[32:33]
	v_fma_f64 v[32:33], v[4:5], v[26:27], v[181:182]
	v_fma_f64 v[26:27], v[2:3], v[26:27], -v[28:29]
	ds_load_b128 v[2:5], v1 offset:1984
	v_fma_f64 v[24:25], v[6:7], v[30:31], -v[24:25]
	v_add_f64_e32 v[14:15], v[14:15], v[22:23]
	v_add_f64_e32 v[16:17], v[18:19], v[16:17]
	v_fma_f64 v[20:21], v[8:9], v[30:31], v[20:21]
	ds_load_b128 v[6:9], v1 offset:2000
	s_wait_loadcnt_dscnt 0x401
	v_mul_f64_e32 v[18:19], v[2:3], v[40:41]
	v_mul_f64_e32 v[22:23], v[4:5], v[40:41]
	s_wait_loadcnt_dscnt 0x300
	v_mul_f64_e32 v[28:29], v[8:9], v[177:178]
	v_add_f64_e32 v[14:15], v[14:15], v[26:27]
	v_add_f64_e32 v[16:17], v[16:17], v[32:33]
	v_mul_f64_e32 v[26:27], v[6:7], v[177:178]
	v_fma_f64 v[18:19], v[4:5], v[38:39], v[18:19]
	v_fma_f64 v[22:23], v[2:3], v[38:39], -v[22:23]
	ds_load_b128 v[2:5], v1 offset:2016
	v_fma_f64 v[28:29], v[6:7], v[175:176], -v[28:29]
	v_add_f64_e32 v[14:15], v[14:15], v[24:25]
	v_add_f64_e32 v[16:17], v[16:17], v[20:21]
	v_fma_f64 v[26:27], v[8:9], v[175:176], v[26:27]
	ds_load_b128 v[6:9], v1 offset:2032
	s_wait_loadcnt_dscnt 0x201
	v_mul_f64_e32 v[20:21], v[2:3], v[36:37]
	v_mul_f64_e32 v[24:25], v[4:5], v[36:37]
	v_add_f64_e32 v[14:15], v[14:15], v[22:23]
	v_add_f64_e32 v[16:17], v[16:17], v[18:19]
	s_wait_loadcnt_dscnt 0x100
	v_mul_f64_e32 v[18:19], v[6:7], v[44:45]
	v_mul_f64_e32 v[22:23], v[8:9], v[44:45]
	v_fma_f64 v[4:5], v[4:5], v[34:35], v[20:21]
	v_fma_f64 v[1:2], v[2:3], v[34:35], -v[24:25]
	v_add_f64_e32 v[14:15], v[14:15], v[28:29]
	v_add_f64_e32 v[16:17], v[16:17], v[26:27]
	v_fma_f64 v[8:9], v[8:9], v[42:43], v[18:19]
	v_fma_f64 v[6:7], v[6:7], v[42:43], -v[22:23]
	s_delay_alu instid0(VALU_DEP_4) | instskip(NEXT) | instid1(VALU_DEP_4)
	v_add_f64_e32 v[1:2], v[14:15], v[1:2]
	v_add_f64_e32 v[3:4], v[16:17], v[4:5]
	s_delay_alu instid0(VALU_DEP_2) | instskip(NEXT) | instid1(VALU_DEP_2)
	v_add_f64_e32 v[1:2], v[1:2], v[6:7]
	v_add_f64_e32 v[3:4], v[3:4], v[8:9]
	s_wait_loadcnt 0x0
	s_delay_alu instid0(VALU_DEP_2) | instskip(NEXT) | instid1(VALU_DEP_2)
	v_add_f64_e64 v[1:2], v[10:11], -v[1:2]
	v_add_f64_e64 v[3:4], v[12:13], -v[3:4]
	scratch_store_b128 off, v[1:4], off offset:832
	v_cmpx_lt_u32_e32 50, v0
	s_cbranch_execz .LBB127_309
; %bb.308:
	scratch_load_b128 v[1:4], off, s28
	v_mov_b32_e32 v5, 0
	s_delay_alu instid0(VALU_DEP_1)
	v_dual_mov_b32 v6, v5 :: v_dual_mov_b32 v7, v5
	v_mov_b32_e32 v8, v5
	scratch_store_b128 off, v[5:8], off offset:816
	s_wait_loadcnt 0x0
	ds_store_b128 v174, v[1:4]
.LBB127_309:
	s_wait_alu 0xfffe
	s_or_b32 exec_lo, exec_lo, s0
	s_wait_storecnt_dscnt 0x0
	s_barrier_signal -1
	s_barrier_wait -1
	global_inv scope:SCOPE_SE
	s_clause 0x7
	scratch_load_b128 v[2:5], off, off offset:832
	scratch_load_b128 v[6:9], off, off offset:848
	;; [unrolled: 1-line block ×8, first 2 shown]
	v_mov_b32_e32 v1, 0
	s_mov_b32 s0, exec_lo
	ds_load_b128 v[34:37], v1 offset:1840
	s_clause 0x1
	scratch_load_b128 v[38:41], off, off offset:960
	scratch_load_b128 v[42:45], off, off offset:816
	ds_load_b128 v[175:178], v1 offset:1856
	scratch_load_b128 v[179:182], off, off offset:976
	s_wait_loadcnt_dscnt 0xa01
	v_mul_f64_e32 v[183:184], v[36:37], v[4:5]
	v_mul_f64_e32 v[4:5], v[34:35], v[4:5]
	s_delay_alu instid0(VALU_DEP_2) | instskip(NEXT) | instid1(VALU_DEP_2)
	v_fma_f64 v[189:190], v[34:35], v[2:3], -v[183:184]
	v_fma_f64 v[191:192], v[36:37], v[2:3], v[4:5]
	ds_load_b128 v[2:5], v1 offset:1872
	s_wait_loadcnt_dscnt 0x901
	v_mul_f64_e32 v[187:188], v[175:176], v[8:9]
	v_mul_f64_e32 v[8:9], v[177:178], v[8:9]
	scratch_load_b128 v[34:37], off, off offset:992
	ds_load_b128 v[183:186], v1 offset:1888
	s_wait_loadcnt_dscnt 0x901
	v_mul_f64_e32 v[193:194], v[2:3], v[12:13]
	v_mul_f64_e32 v[12:13], v[4:5], v[12:13]
	v_fma_f64 v[177:178], v[177:178], v[6:7], v[187:188]
	v_fma_f64 v[175:176], v[175:176], v[6:7], -v[8:9]
	v_add_f64_e32 v[187:188], 0, v[189:190]
	v_add_f64_e32 v[189:190], 0, v[191:192]
	scratch_load_b128 v[6:9], off, off offset:1008
	v_fma_f64 v[193:194], v[4:5], v[10:11], v[193:194]
	v_fma_f64 v[195:196], v[2:3], v[10:11], -v[12:13]
	ds_load_b128 v[2:5], v1 offset:1904
	s_wait_loadcnt_dscnt 0x901
	v_mul_f64_e32 v[191:192], v[183:184], v[16:17]
	v_mul_f64_e32 v[16:17], v[185:186], v[16:17]
	scratch_load_b128 v[10:13], off, off offset:1024
	v_add_f64_e32 v[187:188], v[187:188], v[175:176]
	v_add_f64_e32 v[189:190], v[189:190], v[177:178]
	s_wait_loadcnt_dscnt 0x900
	v_mul_f64_e32 v[197:198], v[2:3], v[20:21]
	v_mul_f64_e32 v[20:21], v[4:5], v[20:21]
	ds_load_b128 v[175:178], v1 offset:1920
	v_fma_f64 v[185:186], v[185:186], v[14:15], v[191:192]
	v_fma_f64 v[14:15], v[183:184], v[14:15], -v[16:17]
	v_add_f64_e32 v[16:17], v[187:188], v[195:196]
	v_add_f64_e32 v[183:184], v[189:190], v[193:194]
	s_wait_loadcnt_dscnt 0x800
	v_mul_f64_e32 v[187:188], v[175:176], v[24:25]
	v_mul_f64_e32 v[24:25], v[177:178], v[24:25]
	v_fma_f64 v[189:190], v[4:5], v[18:19], v[197:198]
	v_fma_f64 v[18:19], v[2:3], v[18:19], -v[20:21]
	v_add_f64_e32 v[20:21], v[16:17], v[14:15]
	v_add_f64_e32 v[183:184], v[183:184], v[185:186]
	ds_load_b128 v[2:5], v1 offset:1936
	ds_load_b128 v[14:17], v1 offset:1952
	v_fma_f64 v[177:178], v[177:178], v[22:23], v[187:188]
	v_fma_f64 v[22:23], v[175:176], v[22:23], -v[24:25]
	s_wait_loadcnt_dscnt 0x701
	v_mul_f64_e32 v[185:186], v[2:3], v[28:29]
	v_mul_f64_e32 v[28:29], v[4:5], v[28:29]
	s_wait_loadcnt_dscnt 0x600
	v_mul_f64_e32 v[24:25], v[14:15], v[32:33]
	v_mul_f64_e32 v[32:33], v[16:17], v[32:33]
	v_add_f64_e32 v[18:19], v[20:21], v[18:19]
	v_add_f64_e32 v[20:21], v[183:184], v[189:190]
	v_fma_f64 v[175:176], v[4:5], v[26:27], v[185:186]
	v_fma_f64 v[26:27], v[2:3], v[26:27], -v[28:29]
	v_fma_f64 v[16:17], v[16:17], v[30:31], v[24:25]
	v_fma_f64 v[14:15], v[14:15], v[30:31], -v[32:33]
	v_add_f64_e32 v[22:23], v[18:19], v[22:23]
	v_add_f64_e32 v[28:29], v[20:21], v[177:178]
	ds_load_b128 v[2:5], v1 offset:1968
	ds_load_b128 v[18:21], v1 offset:1984
	s_wait_loadcnt_dscnt 0x501
	v_mul_f64_e32 v[177:178], v[2:3], v[40:41]
	v_mul_f64_e32 v[40:41], v[4:5], v[40:41]
	v_add_f64_e32 v[22:23], v[22:23], v[26:27]
	v_add_f64_e32 v[24:25], v[28:29], v[175:176]
	s_wait_loadcnt_dscnt 0x300
	v_mul_f64_e32 v[26:27], v[18:19], v[181:182]
	v_mul_f64_e32 v[28:29], v[20:21], v[181:182]
	v_fma_f64 v[30:31], v[4:5], v[38:39], v[177:178]
	v_fma_f64 v[32:33], v[2:3], v[38:39], -v[40:41]
	v_add_f64_e32 v[22:23], v[22:23], v[14:15]
	v_add_f64_e32 v[24:25], v[24:25], v[16:17]
	ds_load_b128 v[2:5], v1 offset:2000
	ds_load_b128 v[14:17], v1 offset:2016
	v_fma_f64 v[20:21], v[20:21], v[179:180], v[26:27]
	v_fma_f64 v[18:19], v[18:19], v[179:180], -v[28:29]
	s_wait_loadcnt_dscnt 0x201
	v_mul_f64_e32 v[38:39], v[2:3], v[36:37]
	v_mul_f64_e32 v[36:37], v[4:5], v[36:37]
	v_add_f64_e32 v[22:23], v[22:23], v[32:33]
	v_add_f64_e32 v[24:25], v[24:25], v[30:31]
	s_wait_loadcnt_dscnt 0x100
	v_mul_f64_e32 v[26:27], v[14:15], v[8:9]
	v_mul_f64_e32 v[8:9], v[16:17], v[8:9]
	v_fma_f64 v[28:29], v[4:5], v[34:35], v[38:39]
	v_fma_f64 v[30:31], v[2:3], v[34:35], -v[36:37]
	ds_load_b128 v[2:5], v1 offset:2032
	v_add_f64_e32 v[18:19], v[22:23], v[18:19]
	v_add_f64_e32 v[20:21], v[24:25], v[20:21]
	s_wait_loadcnt_dscnt 0x0
	v_mul_f64_e32 v[22:23], v[2:3], v[12:13]
	v_mul_f64_e32 v[12:13], v[4:5], v[12:13]
	v_fma_f64 v[16:17], v[16:17], v[6:7], v[26:27]
	v_fma_f64 v[6:7], v[14:15], v[6:7], -v[8:9]
	v_add_f64_e32 v[8:9], v[18:19], v[30:31]
	v_add_f64_e32 v[14:15], v[20:21], v[28:29]
	v_fma_f64 v[4:5], v[4:5], v[10:11], v[22:23]
	v_fma_f64 v[2:3], v[2:3], v[10:11], -v[12:13]
	s_delay_alu instid0(VALU_DEP_4) | instskip(NEXT) | instid1(VALU_DEP_4)
	v_add_f64_e32 v[6:7], v[8:9], v[6:7]
	v_add_f64_e32 v[8:9], v[14:15], v[16:17]
	s_delay_alu instid0(VALU_DEP_2) | instskip(NEXT) | instid1(VALU_DEP_2)
	v_add_f64_e32 v[2:3], v[6:7], v[2:3]
	v_add_f64_e32 v[4:5], v[8:9], v[4:5]
	s_delay_alu instid0(VALU_DEP_2) | instskip(NEXT) | instid1(VALU_DEP_2)
	v_add_f64_e64 v[2:3], v[42:43], -v[2:3]
	v_add_f64_e64 v[4:5], v[44:45], -v[4:5]
	scratch_store_b128 off, v[2:5], off offset:816
	v_cmpx_lt_u32_e32 49, v0
	s_cbranch_execz .LBB127_311
; %bb.310:
	scratch_load_b128 v[5:8], off, s29
	v_dual_mov_b32 v2, v1 :: v_dual_mov_b32 v3, v1
	v_mov_b32_e32 v4, v1
	scratch_store_b128 off, v[1:4], off offset:800
	s_wait_loadcnt 0x0
	ds_store_b128 v174, v[5:8]
.LBB127_311:
	s_wait_alu 0xfffe
	s_or_b32 exec_lo, exec_lo, s0
	s_wait_storecnt_dscnt 0x0
	s_barrier_signal -1
	s_barrier_wait -1
	global_inv scope:SCOPE_SE
	s_clause 0x8
	scratch_load_b128 v[2:5], off, off offset:816
	scratch_load_b128 v[6:9], off, off offset:832
	;; [unrolled: 1-line block ×9, first 2 shown]
	ds_load_b128 v[38:41], v1 offset:1824
	ds_load_b128 v[42:45], v1 offset:1840
	s_clause 0x1
	scratch_load_b128 v[175:178], off, off offset:800
	scratch_load_b128 v[179:182], off, off offset:960
	s_mov_b32 s0, exec_lo
	s_wait_loadcnt_dscnt 0xa01
	v_mul_f64_e32 v[183:184], v[40:41], v[4:5]
	v_mul_f64_e32 v[4:5], v[38:39], v[4:5]
	s_wait_loadcnt_dscnt 0x900
	v_mul_f64_e32 v[187:188], v[42:43], v[8:9]
	v_mul_f64_e32 v[8:9], v[44:45], v[8:9]
	s_delay_alu instid0(VALU_DEP_4) | instskip(NEXT) | instid1(VALU_DEP_4)
	v_fma_f64 v[189:190], v[38:39], v[2:3], -v[183:184]
	v_fma_f64 v[191:192], v[40:41], v[2:3], v[4:5]
	ds_load_b128 v[2:5], v1 offset:1856
	ds_load_b128 v[183:186], v1 offset:1872
	scratch_load_b128 v[38:41], off, off offset:976
	v_fma_f64 v[44:45], v[44:45], v[6:7], v[187:188]
	v_fma_f64 v[42:43], v[42:43], v[6:7], -v[8:9]
	scratch_load_b128 v[6:9], off, off offset:992
	s_wait_loadcnt_dscnt 0xa01
	v_mul_f64_e32 v[193:194], v[2:3], v[12:13]
	v_mul_f64_e32 v[12:13], v[4:5], v[12:13]
	v_add_f64_e32 v[187:188], 0, v[189:190]
	v_add_f64_e32 v[189:190], 0, v[191:192]
	s_wait_loadcnt_dscnt 0x900
	v_mul_f64_e32 v[191:192], v[183:184], v[16:17]
	v_mul_f64_e32 v[16:17], v[185:186], v[16:17]
	v_fma_f64 v[193:194], v[4:5], v[10:11], v[193:194]
	v_fma_f64 v[195:196], v[2:3], v[10:11], -v[12:13]
	ds_load_b128 v[2:5], v1 offset:1888
	scratch_load_b128 v[10:13], off, off offset:1008
	v_add_f64_e32 v[187:188], v[187:188], v[42:43]
	v_add_f64_e32 v[189:190], v[189:190], v[44:45]
	ds_load_b128 v[42:45], v1 offset:1904
	v_fma_f64 v[185:186], v[185:186], v[14:15], v[191:192]
	v_fma_f64 v[183:184], v[183:184], v[14:15], -v[16:17]
	scratch_load_b128 v[14:17], off, off offset:1024
	s_wait_loadcnt_dscnt 0xa01
	v_mul_f64_e32 v[197:198], v[2:3], v[20:21]
	v_mul_f64_e32 v[20:21], v[4:5], v[20:21]
	s_wait_loadcnt_dscnt 0x900
	v_mul_f64_e32 v[191:192], v[42:43], v[24:25]
	v_mul_f64_e32 v[24:25], v[44:45], v[24:25]
	v_add_f64_e32 v[187:188], v[187:188], v[195:196]
	v_add_f64_e32 v[189:190], v[189:190], v[193:194]
	v_fma_f64 v[193:194], v[4:5], v[18:19], v[197:198]
	v_fma_f64 v[195:196], v[2:3], v[18:19], -v[20:21]
	ds_load_b128 v[2:5], v1 offset:1920
	ds_load_b128 v[18:21], v1 offset:1936
	v_fma_f64 v[44:45], v[44:45], v[22:23], v[191:192]
	v_fma_f64 v[22:23], v[42:43], v[22:23], -v[24:25]
	v_add_f64_e32 v[183:184], v[187:188], v[183:184]
	v_add_f64_e32 v[185:186], v[189:190], v[185:186]
	s_wait_loadcnt_dscnt 0x801
	v_mul_f64_e32 v[187:188], v[2:3], v[28:29]
	v_mul_f64_e32 v[28:29], v[4:5], v[28:29]
	s_delay_alu instid0(VALU_DEP_4) | instskip(NEXT) | instid1(VALU_DEP_4)
	v_add_f64_e32 v[24:25], v[183:184], v[195:196]
	v_add_f64_e32 v[42:43], v[185:186], v[193:194]
	s_wait_loadcnt_dscnt 0x700
	v_mul_f64_e32 v[183:184], v[18:19], v[32:33]
	v_mul_f64_e32 v[32:33], v[20:21], v[32:33]
	v_fma_f64 v[185:186], v[4:5], v[26:27], v[187:188]
	v_fma_f64 v[26:27], v[2:3], v[26:27], -v[28:29]
	v_add_f64_e32 v[28:29], v[24:25], v[22:23]
	v_add_f64_e32 v[42:43], v[42:43], v[44:45]
	ds_load_b128 v[2:5], v1 offset:1952
	ds_load_b128 v[22:25], v1 offset:1968
	v_fma_f64 v[20:21], v[20:21], v[30:31], v[183:184]
	v_fma_f64 v[18:19], v[18:19], v[30:31], -v[32:33]
	s_wait_loadcnt_dscnt 0x601
	v_mul_f64_e32 v[44:45], v[2:3], v[36:37]
	v_mul_f64_e32 v[36:37], v[4:5], v[36:37]
	s_wait_loadcnt_dscnt 0x400
	v_mul_f64_e32 v[30:31], v[22:23], v[181:182]
	v_mul_f64_e32 v[32:33], v[24:25], v[181:182]
	v_add_f64_e32 v[26:27], v[28:29], v[26:27]
	v_add_f64_e32 v[28:29], v[42:43], v[185:186]
	v_fma_f64 v[42:43], v[4:5], v[34:35], v[44:45]
	v_fma_f64 v[34:35], v[2:3], v[34:35], -v[36:37]
	v_fma_f64 v[24:25], v[24:25], v[179:180], v[30:31]
	v_fma_f64 v[22:23], v[22:23], v[179:180], -v[32:33]
	v_add_f64_e32 v[26:27], v[26:27], v[18:19]
	v_add_f64_e32 v[28:29], v[28:29], v[20:21]
	ds_load_b128 v[2:5], v1 offset:1984
	ds_load_b128 v[18:21], v1 offset:2000
	s_wait_loadcnt_dscnt 0x301
	v_mul_f64_e32 v[36:37], v[2:3], v[40:41]
	v_mul_f64_e32 v[40:41], v[4:5], v[40:41]
	s_wait_loadcnt_dscnt 0x200
	v_mul_f64_e32 v[30:31], v[18:19], v[8:9]
	v_mul_f64_e32 v[8:9], v[20:21], v[8:9]
	v_add_f64_e32 v[26:27], v[26:27], v[34:35]
	v_add_f64_e32 v[28:29], v[28:29], v[42:43]
	v_fma_f64 v[32:33], v[4:5], v[38:39], v[36:37]
	v_fma_f64 v[34:35], v[2:3], v[38:39], -v[40:41]
	v_fma_f64 v[20:21], v[20:21], v[6:7], v[30:31]
	v_fma_f64 v[6:7], v[18:19], v[6:7], -v[8:9]
	v_add_f64_e32 v[26:27], v[26:27], v[22:23]
	v_add_f64_e32 v[28:29], v[28:29], v[24:25]
	ds_load_b128 v[2:5], v1 offset:2016
	ds_load_b128 v[22:25], v1 offset:2032
	s_wait_loadcnt_dscnt 0x101
	v_mul_f64_e32 v[36:37], v[2:3], v[12:13]
	v_mul_f64_e32 v[12:13], v[4:5], v[12:13]
	v_add_f64_e32 v[8:9], v[26:27], v[34:35]
	v_add_f64_e32 v[18:19], v[28:29], v[32:33]
	s_wait_loadcnt_dscnt 0x0
	v_mul_f64_e32 v[26:27], v[22:23], v[16:17]
	v_mul_f64_e32 v[16:17], v[24:25], v[16:17]
	v_fma_f64 v[4:5], v[4:5], v[10:11], v[36:37]
	v_fma_f64 v[1:2], v[2:3], v[10:11], -v[12:13]
	v_add_f64_e32 v[6:7], v[8:9], v[6:7]
	v_add_f64_e32 v[8:9], v[18:19], v[20:21]
	v_fma_f64 v[10:11], v[24:25], v[14:15], v[26:27]
	v_fma_f64 v[12:13], v[22:23], v[14:15], -v[16:17]
	s_delay_alu instid0(VALU_DEP_4) | instskip(NEXT) | instid1(VALU_DEP_4)
	v_add_f64_e32 v[1:2], v[6:7], v[1:2]
	v_add_f64_e32 v[3:4], v[8:9], v[4:5]
	s_delay_alu instid0(VALU_DEP_2) | instskip(NEXT) | instid1(VALU_DEP_2)
	v_add_f64_e32 v[1:2], v[1:2], v[12:13]
	v_add_f64_e32 v[3:4], v[3:4], v[10:11]
	s_delay_alu instid0(VALU_DEP_2) | instskip(NEXT) | instid1(VALU_DEP_2)
	v_add_f64_e64 v[1:2], v[175:176], -v[1:2]
	v_add_f64_e64 v[3:4], v[177:178], -v[3:4]
	scratch_store_b128 off, v[1:4], off offset:800
	v_cmpx_lt_u32_e32 48, v0
	s_cbranch_execz .LBB127_313
; %bb.312:
	scratch_load_b128 v[1:4], off, s30
	v_mov_b32_e32 v5, 0
	s_delay_alu instid0(VALU_DEP_1)
	v_dual_mov_b32 v6, v5 :: v_dual_mov_b32 v7, v5
	v_mov_b32_e32 v8, v5
	scratch_store_b128 off, v[5:8], off offset:784
	s_wait_loadcnt 0x0
	ds_store_b128 v174, v[1:4]
.LBB127_313:
	s_wait_alu 0xfffe
	s_or_b32 exec_lo, exec_lo, s0
	s_wait_storecnt_dscnt 0x0
	s_barrier_signal -1
	s_barrier_wait -1
	global_inv scope:SCOPE_SE
	s_clause 0x7
	scratch_load_b128 v[2:5], off, off offset:800
	scratch_load_b128 v[6:9], off, off offset:816
	;; [unrolled: 1-line block ×8, first 2 shown]
	v_mov_b32_e32 v1, 0
	s_mov_b32 s0, exec_lo
	ds_load_b128 v[34:37], v1 offset:1808
	s_clause 0x1
	scratch_load_b128 v[38:41], off, off offset:928
	scratch_load_b128 v[42:45], off, off offset:784
	ds_load_b128 v[175:178], v1 offset:1824
	scratch_load_b128 v[179:182], off, off offset:944
	s_wait_loadcnt_dscnt 0xa01
	v_mul_f64_e32 v[183:184], v[36:37], v[4:5]
	v_mul_f64_e32 v[4:5], v[34:35], v[4:5]
	s_delay_alu instid0(VALU_DEP_2) | instskip(NEXT) | instid1(VALU_DEP_2)
	v_fma_f64 v[189:190], v[34:35], v[2:3], -v[183:184]
	v_fma_f64 v[191:192], v[36:37], v[2:3], v[4:5]
	ds_load_b128 v[2:5], v1 offset:1840
	s_wait_loadcnt_dscnt 0x901
	v_mul_f64_e32 v[187:188], v[175:176], v[8:9]
	v_mul_f64_e32 v[8:9], v[177:178], v[8:9]
	scratch_load_b128 v[34:37], off, off offset:960
	ds_load_b128 v[183:186], v1 offset:1856
	s_wait_loadcnt_dscnt 0x901
	v_mul_f64_e32 v[193:194], v[2:3], v[12:13]
	v_mul_f64_e32 v[12:13], v[4:5], v[12:13]
	v_fma_f64 v[177:178], v[177:178], v[6:7], v[187:188]
	v_fma_f64 v[175:176], v[175:176], v[6:7], -v[8:9]
	v_add_f64_e32 v[187:188], 0, v[189:190]
	v_add_f64_e32 v[189:190], 0, v[191:192]
	scratch_load_b128 v[6:9], off, off offset:976
	v_fma_f64 v[193:194], v[4:5], v[10:11], v[193:194]
	v_fma_f64 v[195:196], v[2:3], v[10:11], -v[12:13]
	ds_load_b128 v[2:5], v1 offset:1872
	s_wait_loadcnt_dscnt 0x901
	v_mul_f64_e32 v[191:192], v[183:184], v[16:17]
	v_mul_f64_e32 v[16:17], v[185:186], v[16:17]
	scratch_load_b128 v[10:13], off, off offset:992
	v_add_f64_e32 v[187:188], v[187:188], v[175:176]
	v_add_f64_e32 v[189:190], v[189:190], v[177:178]
	s_wait_loadcnt_dscnt 0x900
	v_mul_f64_e32 v[197:198], v[2:3], v[20:21]
	v_mul_f64_e32 v[20:21], v[4:5], v[20:21]
	ds_load_b128 v[175:178], v1 offset:1888
	v_fma_f64 v[185:186], v[185:186], v[14:15], v[191:192]
	v_fma_f64 v[183:184], v[183:184], v[14:15], -v[16:17]
	scratch_load_b128 v[14:17], off, off offset:1008
	v_add_f64_e32 v[187:188], v[187:188], v[195:196]
	v_add_f64_e32 v[189:190], v[189:190], v[193:194]
	v_fma_f64 v[193:194], v[4:5], v[18:19], v[197:198]
	v_fma_f64 v[195:196], v[2:3], v[18:19], -v[20:21]
	ds_load_b128 v[2:5], v1 offset:1904
	s_wait_loadcnt_dscnt 0x901
	v_mul_f64_e32 v[191:192], v[175:176], v[24:25]
	v_mul_f64_e32 v[24:25], v[177:178], v[24:25]
	scratch_load_b128 v[18:21], off, off offset:1024
	s_wait_loadcnt_dscnt 0x900
	v_mul_f64_e32 v[197:198], v[2:3], v[28:29]
	v_mul_f64_e32 v[28:29], v[4:5], v[28:29]
	v_add_f64_e32 v[187:188], v[187:188], v[183:184]
	v_add_f64_e32 v[189:190], v[189:190], v[185:186]
	ds_load_b128 v[183:186], v1 offset:1920
	v_fma_f64 v[177:178], v[177:178], v[22:23], v[191:192]
	v_fma_f64 v[22:23], v[175:176], v[22:23], -v[24:25]
	v_add_f64_e32 v[24:25], v[187:188], v[195:196]
	v_add_f64_e32 v[175:176], v[189:190], v[193:194]
	s_wait_loadcnt_dscnt 0x800
	v_mul_f64_e32 v[187:188], v[183:184], v[32:33]
	v_mul_f64_e32 v[32:33], v[185:186], v[32:33]
	v_fma_f64 v[189:190], v[4:5], v[26:27], v[197:198]
	v_fma_f64 v[26:27], v[2:3], v[26:27], -v[28:29]
	v_add_f64_e32 v[28:29], v[24:25], v[22:23]
	v_add_f64_e32 v[175:176], v[175:176], v[177:178]
	ds_load_b128 v[2:5], v1 offset:1936
	ds_load_b128 v[22:25], v1 offset:1952
	v_fma_f64 v[185:186], v[185:186], v[30:31], v[187:188]
	v_fma_f64 v[30:31], v[183:184], v[30:31], -v[32:33]
	s_wait_loadcnt_dscnt 0x701
	v_mul_f64_e32 v[177:178], v[2:3], v[40:41]
	v_mul_f64_e32 v[40:41], v[4:5], v[40:41]
	s_wait_loadcnt_dscnt 0x500
	v_mul_f64_e32 v[32:33], v[22:23], v[181:182]
	v_add_f64_e32 v[26:27], v[28:29], v[26:27]
	v_add_f64_e32 v[28:29], v[175:176], v[189:190]
	v_mul_f64_e32 v[175:176], v[24:25], v[181:182]
	v_fma_f64 v[177:178], v[4:5], v[38:39], v[177:178]
	v_fma_f64 v[38:39], v[2:3], v[38:39], -v[40:41]
	v_fma_f64 v[24:25], v[24:25], v[179:180], v[32:33]
	v_add_f64_e32 v[30:31], v[26:27], v[30:31]
	v_add_f64_e32 v[40:41], v[28:29], v[185:186]
	ds_load_b128 v[2:5], v1 offset:1968
	ds_load_b128 v[26:29], v1 offset:1984
	v_fma_f64 v[22:23], v[22:23], v[179:180], -v[175:176]
	s_wait_loadcnt_dscnt 0x401
	v_mul_f64_e32 v[181:182], v[2:3], v[36:37]
	v_mul_f64_e32 v[36:37], v[4:5], v[36:37]
	v_add_f64_e32 v[30:31], v[30:31], v[38:39]
	v_add_f64_e32 v[32:33], v[40:41], v[177:178]
	s_wait_loadcnt_dscnt 0x300
	v_mul_f64_e32 v[38:39], v[26:27], v[8:9]
	v_mul_f64_e32 v[8:9], v[28:29], v[8:9]
	v_fma_f64 v[40:41], v[4:5], v[34:35], v[181:182]
	v_fma_f64 v[34:35], v[2:3], v[34:35], -v[36:37]
	v_add_f64_e32 v[30:31], v[30:31], v[22:23]
	v_add_f64_e32 v[32:33], v[32:33], v[24:25]
	ds_load_b128 v[2:5], v1 offset:2000
	ds_load_b128 v[22:25], v1 offset:2016
	v_fma_f64 v[28:29], v[28:29], v[6:7], v[38:39]
	v_fma_f64 v[6:7], v[26:27], v[6:7], -v[8:9]
	s_wait_loadcnt_dscnt 0x201
	v_mul_f64_e32 v[36:37], v[2:3], v[12:13]
	v_mul_f64_e32 v[12:13], v[4:5], v[12:13]
	v_add_f64_e32 v[8:9], v[30:31], v[34:35]
	v_add_f64_e32 v[26:27], v[32:33], v[40:41]
	s_wait_loadcnt_dscnt 0x100
	v_mul_f64_e32 v[30:31], v[22:23], v[16:17]
	v_mul_f64_e32 v[16:17], v[24:25], v[16:17]
	v_fma_f64 v[32:33], v[4:5], v[10:11], v[36:37]
	v_fma_f64 v[10:11], v[2:3], v[10:11], -v[12:13]
	ds_load_b128 v[2:5], v1 offset:2032
	v_add_f64_e32 v[6:7], v[8:9], v[6:7]
	v_add_f64_e32 v[8:9], v[26:27], v[28:29]
	v_fma_f64 v[24:25], v[24:25], v[14:15], v[30:31]
	v_fma_f64 v[14:15], v[22:23], v[14:15], -v[16:17]
	s_wait_loadcnt_dscnt 0x0
	v_mul_f64_e32 v[12:13], v[2:3], v[20:21]
	v_mul_f64_e32 v[20:21], v[4:5], v[20:21]
	v_add_f64_e32 v[6:7], v[6:7], v[10:11]
	v_add_f64_e32 v[8:9], v[8:9], v[32:33]
	s_delay_alu instid0(VALU_DEP_4) | instskip(NEXT) | instid1(VALU_DEP_4)
	v_fma_f64 v[4:5], v[4:5], v[18:19], v[12:13]
	v_fma_f64 v[2:3], v[2:3], v[18:19], -v[20:21]
	s_delay_alu instid0(VALU_DEP_4) | instskip(NEXT) | instid1(VALU_DEP_4)
	v_add_f64_e32 v[6:7], v[6:7], v[14:15]
	v_add_f64_e32 v[8:9], v[8:9], v[24:25]
	s_delay_alu instid0(VALU_DEP_2) | instskip(NEXT) | instid1(VALU_DEP_2)
	v_add_f64_e32 v[2:3], v[6:7], v[2:3]
	v_add_f64_e32 v[4:5], v[8:9], v[4:5]
	s_delay_alu instid0(VALU_DEP_2) | instskip(NEXT) | instid1(VALU_DEP_2)
	v_add_f64_e64 v[2:3], v[42:43], -v[2:3]
	v_add_f64_e64 v[4:5], v[44:45], -v[4:5]
	scratch_store_b128 off, v[2:5], off offset:784
	v_cmpx_lt_u32_e32 47, v0
	s_cbranch_execz .LBB127_315
; %bb.314:
	scratch_load_b128 v[5:8], off, s31
	v_dual_mov_b32 v2, v1 :: v_dual_mov_b32 v3, v1
	v_mov_b32_e32 v4, v1
	scratch_store_b128 off, v[1:4], off offset:768
	s_wait_loadcnt 0x0
	ds_store_b128 v174, v[5:8]
.LBB127_315:
	s_wait_alu 0xfffe
	s_or_b32 exec_lo, exec_lo, s0
	s_wait_storecnt_dscnt 0x0
	s_barrier_signal -1
	s_barrier_wait -1
	global_inv scope:SCOPE_SE
	s_clause 0x8
	scratch_load_b128 v[2:5], off, off offset:784
	scratch_load_b128 v[6:9], off, off offset:800
	;; [unrolled: 1-line block ×9, first 2 shown]
	ds_load_b128 v[38:41], v1 offset:1792
	ds_load_b128 v[42:45], v1 offset:1808
	s_clause 0x1
	scratch_load_b128 v[175:178], off, off offset:768
	scratch_load_b128 v[179:182], off, off offset:928
	s_mov_b32 s0, exec_lo
	s_wait_loadcnt_dscnt 0xa01
	v_mul_f64_e32 v[183:184], v[40:41], v[4:5]
	v_mul_f64_e32 v[4:5], v[38:39], v[4:5]
	s_wait_loadcnt_dscnt 0x900
	v_mul_f64_e32 v[187:188], v[42:43], v[8:9]
	v_mul_f64_e32 v[8:9], v[44:45], v[8:9]
	s_delay_alu instid0(VALU_DEP_4) | instskip(NEXT) | instid1(VALU_DEP_4)
	v_fma_f64 v[189:190], v[38:39], v[2:3], -v[183:184]
	v_fma_f64 v[191:192], v[40:41], v[2:3], v[4:5]
	ds_load_b128 v[2:5], v1 offset:1824
	ds_load_b128 v[183:186], v1 offset:1840
	scratch_load_b128 v[38:41], off, off offset:944
	v_fma_f64 v[44:45], v[44:45], v[6:7], v[187:188]
	v_fma_f64 v[42:43], v[42:43], v[6:7], -v[8:9]
	scratch_load_b128 v[6:9], off, off offset:960
	s_wait_loadcnt_dscnt 0xa01
	v_mul_f64_e32 v[193:194], v[2:3], v[12:13]
	v_mul_f64_e32 v[12:13], v[4:5], v[12:13]
	v_add_f64_e32 v[187:188], 0, v[189:190]
	v_add_f64_e32 v[189:190], 0, v[191:192]
	s_wait_loadcnt_dscnt 0x900
	v_mul_f64_e32 v[191:192], v[183:184], v[16:17]
	v_mul_f64_e32 v[16:17], v[185:186], v[16:17]
	v_fma_f64 v[193:194], v[4:5], v[10:11], v[193:194]
	v_fma_f64 v[195:196], v[2:3], v[10:11], -v[12:13]
	ds_load_b128 v[2:5], v1 offset:1856
	scratch_load_b128 v[10:13], off, off offset:976
	v_add_f64_e32 v[187:188], v[187:188], v[42:43]
	v_add_f64_e32 v[189:190], v[189:190], v[44:45]
	ds_load_b128 v[42:45], v1 offset:1872
	v_fma_f64 v[185:186], v[185:186], v[14:15], v[191:192]
	v_fma_f64 v[183:184], v[183:184], v[14:15], -v[16:17]
	scratch_load_b128 v[14:17], off, off offset:992
	s_wait_loadcnt_dscnt 0xa01
	v_mul_f64_e32 v[197:198], v[2:3], v[20:21]
	v_mul_f64_e32 v[20:21], v[4:5], v[20:21]
	s_wait_loadcnt_dscnt 0x900
	v_mul_f64_e32 v[191:192], v[42:43], v[24:25]
	v_mul_f64_e32 v[24:25], v[44:45], v[24:25]
	v_add_f64_e32 v[187:188], v[187:188], v[195:196]
	v_add_f64_e32 v[189:190], v[189:190], v[193:194]
	v_fma_f64 v[193:194], v[4:5], v[18:19], v[197:198]
	v_fma_f64 v[195:196], v[2:3], v[18:19], -v[20:21]
	ds_load_b128 v[2:5], v1 offset:1888
	scratch_load_b128 v[18:21], off, off offset:1008
	v_fma_f64 v[44:45], v[44:45], v[22:23], v[191:192]
	v_fma_f64 v[42:43], v[42:43], v[22:23], -v[24:25]
	scratch_load_b128 v[22:25], off, off offset:1024
	v_add_f64_e32 v[187:188], v[187:188], v[183:184]
	v_add_f64_e32 v[189:190], v[189:190], v[185:186]
	ds_load_b128 v[183:186], v1 offset:1904
	s_wait_loadcnt_dscnt 0xa01
	v_mul_f64_e32 v[197:198], v[2:3], v[28:29]
	v_mul_f64_e32 v[28:29], v[4:5], v[28:29]
	s_wait_loadcnt_dscnt 0x900
	v_mul_f64_e32 v[191:192], v[183:184], v[32:33]
	v_mul_f64_e32 v[32:33], v[185:186], v[32:33]
	v_add_f64_e32 v[187:188], v[187:188], v[195:196]
	v_add_f64_e32 v[189:190], v[189:190], v[193:194]
	v_fma_f64 v[193:194], v[4:5], v[26:27], v[197:198]
	v_fma_f64 v[195:196], v[2:3], v[26:27], -v[28:29]
	ds_load_b128 v[2:5], v1 offset:1920
	ds_load_b128 v[26:29], v1 offset:1936
	v_fma_f64 v[185:186], v[185:186], v[30:31], v[191:192]
	v_fma_f64 v[30:31], v[183:184], v[30:31], -v[32:33]
	v_add_f64_e32 v[42:43], v[187:188], v[42:43]
	v_add_f64_e32 v[44:45], v[189:190], v[44:45]
	s_wait_loadcnt_dscnt 0x801
	v_mul_f64_e32 v[187:188], v[2:3], v[36:37]
	v_mul_f64_e32 v[36:37], v[4:5], v[36:37]
	s_delay_alu instid0(VALU_DEP_4) | instskip(NEXT) | instid1(VALU_DEP_4)
	v_add_f64_e32 v[32:33], v[42:43], v[195:196]
	v_add_f64_e32 v[42:43], v[44:45], v[193:194]
	s_wait_loadcnt_dscnt 0x600
	v_mul_f64_e32 v[44:45], v[26:27], v[181:182]
	v_mul_f64_e32 v[181:182], v[28:29], v[181:182]
	v_fma_f64 v[183:184], v[4:5], v[34:35], v[187:188]
	v_fma_f64 v[34:35], v[2:3], v[34:35], -v[36:37]
	v_add_f64_e32 v[36:37], v[32:33], v[30:31]
	v_add_f64_e32 v[42:43], v[42:43], v[185:186]
	ds_load_b128 v[2:5], v1 offset:1952
	ds_load_b128 v[30:33], v1 offset:1968
	v_fma_f64 v[28:29], v[28:29], v[179:180], v[44:45]
	v_fma_f64 v[26:27], v[26:27], v[179:180], -v[181:182]
	s_wait_loadcnt_dscnt 0x501
	v_mul_f64_e32 v[185:186], v[2:3], v[40:41]
	v_mul_f64_e32 v[40:41], v[4:5], v[40:41]
	v_add_f64_e32 v[34:35], v[36:37], v[34:35]
	v_add_f64_e32 v[36:37], v[42:43], v[183:184]
	s_wait_loadcnt_dscnt 0x400
	v_mul_f64_e32 v[42:43], v[30:31], v[8:9]
	v_mul_f64_e32 v[8:9], v[32:33], v[8:9]
	v_fma_f64 v[44:45], v[4:5], v[38:39], v[185:186]
	v_fma_f64 v[38:39], v[2:3], v[38:39], -v[40:41]
	v_add_f64_e32 v[34:35], v[34:35], v[26:27]
	v_add_f64_e32 v[36:37], v[36:37], v[28:29]
	ds_load_b128 v[2:5], v1 offset:1984
	ds_load_b128 v[26:29], v1 offset:2000
	v_fma_f64 v[32:33], v[32:33], v[6:7], v[42:43]
	v_fma_f64 v[6:7], v[30:31], v[6:7], -v[8:9]
	s_wait_loadcnt_dscnt 0x301
	v_mul_f64_e32 v[40:41], v[2:3], v[12:13]
	v_mul_f64_e32 v[12:13], v[4:5], v[12:13]
	;; [unrolled: 16-line block ×3, first 2 shown]
	s_wait_loadcnt_dscnt 0x0
	v_mul_f64_e32 v[16:17], v[6:7], v[24:25]
	v_mul_f64_e32 v[24:25], v[8:9], v[24:25]
	v_add_f64_e32 v[10:11], v[12:13], v[10:11]
	v_add_f64_e32 v[12:13], v[30:31], v[36:37]
	v_fma_f64 v[4:5], v[4:5], v[18:19], v[32:33]
	v_fma_f64 v[1:2], v[2:3], v[18:19], -v[20:21]
	v_fma_f64 v[8:9], v[8:9], v[22:23], v[16:17]
	v_fma_f64 v[6:7], v[6:7], v[22:23], -v[24:25]
	v_add_f64_e32 v[10:11], v[10:11], v[14:15]
	v_add_f64_e32 v[12:13], v[12:13], v[28:29]
	s_delay_alu instid0(VALU_DEP_2) | instskip(NEXT) | instid1(VALU_DEP_2)
	v_add_f64_e32 v[1:2], v[10:11], v[1:2]
	v_add_f64_e32 v[3:4], v[12:13], v[4:5]
	s_delay_alu instid0(VALU_DEP_2) | instskip(NEXT) | instid1(VALU_DEP_2)
	;; [unrolled: 3-line block ×3, first 2 shown]
	v_add_f64_e64 v[1:2], v[175:176], -v[1:2]
	v_add_f64_e64 v[3:4], v[177:178], -v[3:4]
	scratch_store_b128 off, v[1:4], off offset:768
	v_cmpx_lt_u32_e32 46, v0
	s_cbranch_execz .LBB127_317
; %bb.316:
	scratch_load_b128 v[1:4], off, s33
	v_mov_b32_e32 v5, 0
	s_delay_alu instid0(VALU_DEP_1)
	v_dual_mov_b32 v6, v5 :: v_dual_mov_b32 v7, v5
	v_mov_b32_e32 v8, v5
	scratch_store_b128 off, v[5:8], off offset:752
	s_wait_loadcnt 0x0
	ds_store_b128 v174, v[1:4]
.LBB127_317:
	s_wait_alu 0xfffe
	s_or_b32 exec_lo, exec_lo, s0
	s_wait_storecnt_dscnt 0x0
	s_barrier_signal -1
	s_barrier_wait -1
	global_inv scope:SCOPE_SE
	s_clause 0x7
	scratch_load_b128 v[2:5], off, off offset:768
	scratch_load_b128 v[6:9], off, off offset:784
	;; [unrolled: 1-line block ×8, first 2 shown]
	v_mov_b32_e32 v1, 0
	s_mov_b32 s0, exec_lo
	ds_load_b128 v[34:37], v1 offset:1776
	s_clause 0x1
	scratch_load_b128 v[38:41], off, off offset:896
	scratch_load_b128 v[42:45], off, off offset:752
	ds_load_b128 v[175:178], v1 offset:1792
	scratch_load_b128 v[179:182], off, off offset:912
	s_wait_loadcnt_dscnt 0xa01
	v_mul_f64_e32 v[183:184], v[36:37], v[4:5]
	v_mul_f64_e32 v[4:5], v[34:35], v[4:5]
	s_delay_alu instid0(VALU_DEP_2) | instskip(NEXT) | instid1(VALU_DEP_2)
	v_fma_f64 v[189:190], v[34:35], v[2:3], -v[183:184]
	v_fma_f64 v[191:192], v[36:37], v[2:3], v[4:5]
	ds_load_b128 v[2:5], v1 offset:1808
	s_wait_loadcnt_dscnt 0x901
	v_mul_f64_e32 v[187:188], v[175:176], v[8:9]
	v_mul_f64_e32 v[8:9], v[177:178], v[8:9]
	scratch_load_b128 v[34:37], off, off offset:928
	ds_load_b128 v[183:186], v1 offset:1824
	s_wait_loadcnt_dscnt 0x901
	v_mul_f64_e32 v[193:194], v[2:3], v[12:13]
	v_mul_f64_e32 v[12:13], v[4:5], v[12:13]
	v_fma_f64 v[177:178], v[177:178], v[6:7], v[187:188]
	v_fma_f64 v[175:176], v[175:176], v[6:7], -v[8:9]
	v_add_f64_e32 v[187:188], 0, v[189:190]
	v_add_f64_e32 v[189:190], 0, v[191:192]
	scratch_load_b128 v[6:9], off, off offset:944
	v_fma_f64 v[193:194], v[4:5], v[10:11], v[193:194]
	v_fma_f64 v[195:196], v[2:3], v[10:11], -v[12:13]
	ds_load_b128 v[2:5], v1 offset:1840
	s_wait_loadcnt_dscnt 0x901
	v_mul_f64_e32 v[191:192], v[183:184], v[16:17]
	v_mul_f64_e32 v[16:17], v[185:186], v[16:17]
	scratch_load_b128 v[10:13], off, off offset:960
	v_add_f64_e32 v[187:188], v[187:188], v[175:176]
	v_add_f64_e32 v[189:190], v[189:190], v[177:178]
	s_wait_loadcnt_dscnt 0x900
	v_mul_f64_e32 v[197:198], v[2:3], v[20:21]
	v_mul_f64_e32 v[20:21], v[4:5], v[20:21]
	ds_load_b128 v[175:178], v1 offset:1856
	v_fma_f64 v[185:186], v[185:186], v[14:15], v[191:192]
	v_fma_f64 v[183:184], v[183:184], v[14:15], -v[16:17]
	scratch_load_b128 v[14:17], off, off offset:976
	v_add_f64_e32 v[187:188], v[187:188], v[195:196]
	v_add_f64_e32 v[189:190], v[189:190], v[193:194]
	v_fma_f64 v[193:194], v[4:5], v[18:19], v[197:198]
	v_fma_f64 v[195:196], v[2:3], v[18:19], -v[20:21]
	ds_load_b128 v[2:5], v1 offset:1872
	s_wait_loadcnt_dscnt 0x901
	v_mul_f64_e32 v[191:192], v[175:176], v[24:25]
	v_mul_f64_e32 v[24:25], v[177:178], v[24:25]
	scratch_load_b128 v[18:21], off, off offset:992
	s_wait_loadcnt_dscnt 0x900
	v_mul_f64_e32 v[197:198], v[2:3], v[28:29]
	v_mul_f64_e32 v[28:29], v[4:5], v[28:29]
	v_add_f64_e32 v[187:188], v[187:188], v[183:184]
	v_add_f64_e32 v[189:190], v[189:190], v[185:186]
	ds_load_b128 v[183:186], v1 offset:1888
	v_fma_f64 v[177:178], v[177:178], v[22:23], v[191:192]
	v_fma_f64 v[175:176], v[175:176], v[22:23], -v[24:25]
	scratch_load_b128 v[22:25], off, off offset:1008
	v_add_f64_e32 v[187:188], v[187:188], v[195:196]
	v_add_f64_e32 v[189:190], v[189:190], v[193:194]
	v_fma_f64 v[193:194], v[4:5], v[26:27], v[197:198]
	v_fma_f64 v[195:196], v[2:3], v[26:27], -v[28:29]
	ds_load_b128 v[2:5], v1 offset:1904
	s_wait_loadcnt_dscnt 0x901
	v_mul_f64_e32 v[191:192], v[183:184], v[32:33]
	v_mul_f64_e32 v[32:33], v[185:186], v[32:33]
	scratch_load_b128 v[26:29], off, off offset:1024
	s_wait_loadcnt_dscnt 0x900
	v_mul_f64_e32 v[197:198], v[2:3], v[40:41]
	v_mul_f64_e32 v[40:41], v[4:5], v[40:41]
	v_add_f64_e32 v[187:188], v[187:188], v[175:176]
	v_add_f64_e32 v[189:190], v[189:190], v[177:178]
	ds_load_b128 v[175:178], v1 offset:1920
	v_fma_f64 v[185:186], v[185:186], v[30:31], v[191:192]
	v_fma_f64 v[30:31], v[183:184], v[30:31], -v[32:33]
	v_add_f64_e32 v[32:33], v[187:188], v[195:196]
	v_add_f64_e32 v[183:184], v[189:190], v[193:194]
	s_wait_loadcnt_dscnt 0x700
	v_mul_f64_e32 v[187:188], v[175:176], v[181:182]
	v_mul_f64_e32 v[181:182], v[177:178], v[181:182]
	v_fma_f64 v[189:190], v[4:5], v[38:39], v[197:198]
	v_fma_f64 v[38:39], v[2:3], v[38:39], -v[40:41]
	v_add_f64_e32 v[40:41], v[32:33], v[30:31]
	v_add_f64_e32 v[183:184], v[183:184], v[185:186]
	ds_load_b128 v[2:5], v1 offset:1936
	ds_load_b128 v[30:33], v1 offset:1952
	v_fma_f64 v[177:178], v[177:178], v[179:180], v[187:188]
	v_fma_f64 v[175:176], v[175:176], v[179:180], -v[181:182]
	s_wait_loadcnt_dscnt 0x601
	v_mul_f64_e32 v[185:186], v[2:3], v[36:37]
	v_mul_f64_e32 v[36:37], v[4:5], v[36:37]
	v_add_f64_e32 v[38:39], v[40:41], v[38:39]
	v_add_f64_e32 v[40:41], v[183:184], v[189:190]
	s_wait_loadcnt_dscnt 0x500
	v_mul_f64_e32 v[179:180], v[30:31], v[8:9]
	v_mul_f64_e32 v[8:9], v[32:33], v[8:9]
	v_fma_f64 v[181:182], v[4:5], v[34:35], v[185:186]
	v_fma_f64 v[183:184], v[2:3], v[34:35], -v[36:37]
	ds_load_b128 v[2:5], v1 offset:1968
	ds_load_b128 v[34:37], v1 offset:1984
	v_add_f64_e32 v[38:39], v[38:39], v[175:176]
	v_add_f64_e32 v[40:41], v[40:41], v[177:178]
	s_wait_loadcnt_dscnt 0x401
	v_mul_f64_e32 v[175:176], v[2:3], v[12:13]
	v_mul_f64_e32 v[12:13], v[4:5], v[12:13]
	v_fma_f64 v[32:33], v[32:33], v[6:7], v[179:180]
	v_fma_f64 v[6:7], v[30:31], v[6:7], -v[8:9]
	v_add_f64_e32 v[8:9], v[38:39], v[183:184]
	v_add_f64_e32 v[30:31], v[40:41], v[181:182]
	s_wait_loadcnt_dscnt 0x300
	v_mul_f64_e32 v[38:39], v[34:35], v[16:17]
	v_mul_f64_e32 v[16:17], v[36:37], v[16:17]
	v_fma_f64 v[40:41], v[4:5], v[10:11], v[175:176]
	v_fma_f64 v[10:11], v[2:3], v[10:11], -v[12:13]
	v_add_f64_e32 v[12:13], v[8:9], v[6:7]
	v_add_f64_e32 v[30:31], v[30:31], v[32:33]
	ds_load_b128 v[2:5], v1 offset:2000
	ds_load_b128 v[6:9], v1 offset:2016
	v_fma_f64 v[36:37], v[36:37], v[14:15], v[38:39]
	v_fma_f64 v[14:15], v[34:35], v[14:15], -v[16:17]
	s_wait_loadcnt_dscnt 0x201
	v_mul_f64_e32 v[32:33], v[2:3], v[20:21]
	v_mul_f64_e32 v[20:21], v[4:5], v[20:21]
	s_wait_loadcnt_dscnt 0x100
	v_mul_f64_e32 v[16:17], v[6:7], v[24:25]
	v_mul_f64_e32 v[24:25], v[8:9], v[24:25]
	v_add_f64_e32 v[10:11], v[12:13], v[10:11]
	v_add_f64_e32 v[12:13], v[30:31], v[40:41]
	v_fma_f64 v[30:31], v[4:5], v[18:19], v[32:33]
	v_fma_f64 v[18:19], v[2:3], v[18:19], -v[20:21]
	ds_load_b128 v[2:5], v1 offset:2032
	v_fma_f64 v[8:9], v[8:9], v[22:23], v[16:17]
	v_fma_f64 v[6:7], v[6:7], v[22:23], -v[24:25]
	v_add_f64_e32 v[10:11], v[10:11], v[14:15]
	v_add_f64_e32 v[12:13], v[12:13], v[36:37]
	s_wait_loadcnt_dscnt 0x0
	v_mul_f64_e32 v[14:15], v[2:3], v[28:29]
	v_mul_f64_e32 v[20:21], v[4:5], v[28:29]
	s_delay_alu instid0(VALU_DEP_4) | instskip(NEXT) | instid1(VALU_DEP_4)
	v_add_f64_e32 v[10:11], v[10:11], v[18:19]
	v_add_f64_e32 v[12:13], v[12:13], v[30:31]
	s_delay_alu instid0(VALU_DEP_4) | instskip(NEXT) | instid1(VALU_DEP_4)
	v_fma_f64 v[4:5], v[4:5], v[26:27], v[14:15]
	v_fma_f64 v[2:3], v[2:3], v[26:27], -v[20:21]
	s_delay_alu instid0(VALU_DEP_4) | instskip(NEXT) | instid1(VALU_DEP_4)
	v_add_f64_e32 v[6:7], v[10:11], v[6:7]
	v_add_f64_e32 v[8:9], v[12:13], v[8:9]
	s_delay_alu instid0(VALU_DEP_2) | instskip(NEXT) | instid1(VALU_DEP_2)
	v_add_f64_e32 v[2:3], v[6:7], v[2:3]
	v_add_f64_e32 v[4:5], v[8:9], v[4:5]
	s_delay_alu instid0(VALU_DEP_2) | instskip(NEXT) | instid1(VALU_DEP_2)
	v_add_f64_e64 v[2:3], v[42:43], -v[2:3]
	v_add_f64_e64 v[4:5], v[44:45], -v[4:5]
	scratch_store_b128 off, v[2:5], off offset:752
	v_cmpx_lt_u32_e32 45, v0
	s_cbranch_execz .LBB127_319
; %bb.318:
	scratch_load_b128 v[5:8], off, s34
	v_dual_mov_b32 v2, v1 :: v_dual_mov_b32 v3, v1
	v_mov_b32_e32 v4, v1
	scratch_store_b128 off, v[1:4], off offset:736
	s_wait_loadcnt 0x0
	ds_store_b128 v174, v[5:8]
.LBB127_319:
	s_wait_alu 0xfffe
	s_or_b32 exec_lo, exec_lo, s0
	s_wait_storecnt_dscnt 0x0
	s_barrier_signal -1
	s_barrier_wait -1
	global_inv scope:SCOPE_SE
	s_clause 0x8
	scratch_load_b128 v[2:5], off, off offset:752
	scratch_load_b128 v[6:9], off, off offset:768
	;; [unrolled: 1-line block ×9, first 2 shown]
	ds_load_b128 v[38:41], v1 offset:1760
	ds_load_b128 v[42:45], v1 offset:1776
	s_clause 0x1
	scratch_load_b128 v[175:178], off, off offset:736
	scratch_load_b128 v[179:182], off, off offset:896
	s_mov_b32 s0, exec_lo
	s_wait_loadcnt_dscnt 0xa01
	v_mul_f64_e32 v[183:184], v[40:41], v[4:5]
	v_mul_f64_e32 v[4:5], v[38:39], v[4:5]
	s_wait_loadcnt_dscnt 0x900
	v_mul_f64_e32 v[187:188], v[42:43], v[8:9]
	v_mul_f64_e32 v[8:9], v[44:45], v[8:9]
	s_delay_alu instid0(VALU_DEP_4) | instskip(NEXT) | instid1(VALU_DEP_4)
	v_fma_f64 v[189:190], v[38:39], v[2:3], -v[183:184]
	v_fma_f64 v[191:192], v[40:41], v[2:3], v[4:5]
	ds_load_b128 v[2:5], v1 offset:1792
	ds_load_b128 v[183:186], v1 offset:1808
	scratch_load_b128 v[38:41], off, off offset:912
	v_fma_f64 v[44:45], v[44:45], v[6:7], v[187:188]
	v_fma_f64 v[42:43], v[42:43], v[6:7], -v[8:9]
	scratch_load_b128 v[6:9], off, off offset:928
	s_wait_loadcnt_dscnt 0xa01
	v_mul_f64_e32 v[193:194], v[2:3], v[12:13]
	v_mul_f64_e32 v[12:13], v[4:5], v[12:13]
	v_add_f64_e32 v[187:188], 0, v[189:190]
	v_add_f64_e32 v[189:190], 0, v[191:192]
	s_wait_loadcnt_dscnt 0x900
	v_mul_f64_e32 v[191:192], v[183:184], v[16:17]
	v_mul_f64_e32 v[16:17], v[185:186], v[16:17]
	v_fma_f64 v[193:194], v[4:5], v[10:11], v[193:194]
	v_fma_f64 v[195:196], v[2:3], v[10:11], -v[12:13]
	ds_load_b128 v[2:5], v1 offset:1824
	scratch_load_b128 v[10:13], off, off offset:944
	v_add_f64_e32 v[187:188], v[187:188], v[42:43]
	v_add_f64_e32 v[189:190], v[189:190], v[44:45]
	ds_load_b128 v[42:45], v1 offset:1840
	v_fma_f64 v[185:186], v[185:186], v[14:15], v[191:192]
	v_fma_f64 v[183:184], v[183:184], v[14:15], -v[16:17]
	scratch_load_b128 v[14:17], off, off offset:960
	s_wait_loadcnt_dscnt 0xa01
	v_mul_f64_e32 v[197:198], v[2:3], v[20:21]
	v_mul_f64_e32 v[20:21], v[4:5], v[20:21]
	s_wait_loadcnt_dscnt 0x900
	v_mul_f64_e32 v[191:192], v[42:43], v[24:25]
	v_mul_f64_e32 v[24:25], v[44:45], v[24:25]
	v_add_f64_e32 v[187:188], v[187:188], v[195:196]
	v_add_f64_e32 v[189:190], v[189:190], v[193:194]
	v_fma_f64 v[193:194], v[4:5], v[18:19], v[197:198]
	v_fma_f64 v[195:196], v[2:3], v[18:19], -v[20:21]
	ds_load_b128 v[2:5], v1 offset:1856
	scratch_load_b128 v[18:21], off, off offset:976
	v_fma_f64 v[44:45], v[44:45], v[22:23], v[191:192]
	v_fma_f64 v[42:43], v[42:43], v[22:23], -v[24:25]
	scratch_load_b128 v[22:25], off, off offset:992
	v_add_f64_e32 v[187:188], v[187:188], v[183:184]
	v_add_f64_e32 v[189:190], v[189:190], v[185:186]
	ds_load_b128 v[183:186], v1 offset:1872
	s_wait_loadcnt_dscnt 0xa01
	v_mul_f64_e32 v[197:198], v[2:3], v[28:29]
	v_mul_f64_e32 v[28:29], v[4:5], v[28:29]
	s_wait_loadcnt_dscnt 0x900
	v_mul_f64_e32 v[191:192], v[183:184], v[32:33]
	v_mul_f64_e32 v[32:33], v[185:186], v[32:33]
	v_add_f64_e32 v[187:188], v[187:188], v[195:196]
	v_add_f64_e32 v[189:190], v[189:190], v[193:194]
	v_fma_f64 v[193:194], v[4:5], v[26:27], v[197:198]
	v_fma_f64 v[195:196], v[2:3], v[26:27], -v[28:29]
	ds_load_b128 v[2:5], v1 offset:1888
	scratch_load_b128 v[26:29], off, off offset:1008
	v_fma_f64 v[185:186], v[185:186], v[30:31], v[191:192]
	v_fma_f64 v[183:184], v[183:184], v[30:31], -v[32:33]
	scratch_load_b128 v[30:33], off, off offset:1024
	v_add_f64_e32 v[187:188], v[187:188], v[42:43]
	v_add_f64_e32 v[189:190], v[189:190], v[44:45]
	ds_load_b128 v[42:45], v1 offset:1904
	s_wait_loadcnt_dscnt 0xa01
	v_mul_f64_e32 v[197:198], v[2:3], v[36:37]
	v_mul_f64_e32 v[36:37], v[4:5], v[36:37]
	s_wait_loadcnt_dscnt 0x800
	v_mul_f64_e32 v[191:192], v[42:43], v[181:182]
	v_mul_f64_e32 v[181:182], v[44:45], v[181:182]
	v_add_f64_e32 v[187:188], v[187:188], v[195:196]
	v_add_f64_e32 v[189:190], v[189:190], v[193:194]
	v_fma_f64 v[193:194], v[4:5], v[34:35], v[197:198]
	v_fma_f64 v[195:196], v[2:3], v[34:35], -v[36:37]
	ds_load_b128 v[2:5], v1 offset:1920
	ds_load_b128 v[34:37], v1 offset:1936
	v_fma_f64 v[44:45], v[44:45], v[179:180], v[191:192]
	v_fma_f64 v[42:43], v[42:43], v[179:180], -v[181:182]
	v_add_f64_e32 v[183:184], v[187:188], v[183:184]
	v_add_f64_e32 v[185:186], v[189:190], v[185:186]
	s_wait_loadcnt_dscnt 0x701
	v_mul_f64_e32 v[187:188], v[2:3], v[40:41]
	v_mul_f64_e32 v[40:41], v[4:5], v[40:41]
	s_delay_alu instid0(VALU_DEP_4) | instskip(NEXT) | instid1(VALU_DEP_4)
	v_add_f64_e32 v[179:180], v[183:184], v[195:196]
	v_add_f64_e32 v[181:182], v[185:186], v[193:194]
	s_wait_loadcnt_dscnt 0x600
	v_mul_f64_e32 v[183:184], v[34:35], v[8:9]
	v_mul_f64_e32 v[8:9], v[36:37], v[8:9]
	v_fma_f64 v[185:186], v[4:5], v[38:39], v[187:188]
	v_fma_f64 v[187:188], v[2:3], v[38:39], -v[40:41]
	ds_load_b128 v[2:5], v1 offset:1952
	ds_load_b128 v[38:41], v1 offset:1968
	v_add_f64_e32 v[42:43], v[179:180], v[42:43]
	v_add_f64_e32 v[44:45], v[181:182], v[44:45]
	v_fma_f64 v[36:37], v[36:37], v[6:7], v[183:184]
	s_wait_loadcnt_dscnt 0x501
	v_mul_f64_e32 v[179:180], v[2:3], v[12:13]
	v_mul_f64_e32 v[12:13], v[4:5], v[12:13]
	v_fma_f64 v[6:7], v[34:35], v[6:7], -v[8:9]
	v_add_f64_e32 v[8:9], v[42:43], v[187:188]
	v_add_f64_e32 v[34:35], v[44:45], v[185:186]
	s_wait_loadcnt_dscnt 0x400
	v_mul_f64_e32 v[42:43], v[38:39], v[16:17]
	v_mul_f64_e32 v[16:17], v[40:41], v[16:17]
	v_fma_f64 v[44:45], v[4:5], v[10:11], v[179:180]
	v_fma_f64 v[10:11], v[2:3], v[10:11], -v[12:13]
	v_add_f64_e32 v[12:13], v[8:9], v[6:7]
	v_add_f64_e32 v[34:35], v[34:35], v[36:37]
	ds_load_b128 v[2:5], v1 offset:1984
	ds_load_b128 v[6:9], v1 offset:2000
	v_fma_f64 v[40:41], v[40:41], v[14:15], v[42:43]
	v_fma_f64 v[14:15], v[38:39], v[14:15], -v[16:17]
	s_wait_loadcnt_dscnt 0x301
	v_mul_f64_e32 v[36:37], v[2:3], v[20:21]
	v_mul_f64_e32 v[20:21], v[4:5], v[20:21]
	s_wait_loadcnt_dscnt 0x200
	v_mul_f64_e32 v[16:17], v[6:7], v[24:25]
	v_mul_f64_e32 v[24:25], v[8:9], v[24:25]
	v_add_f64_e32 v[10:11], v[12:13], v[10:11]
	v_add_f64_e32 v[12:13], v[34:35], v[44:45]
	v_fma_f64 v[34:35], v[4:5], v[18:19], v[36:37]
	v_fma_f64 v[18:19], v[2:3], v[18:19], -v[20:21]
	v_fma_f64 v[8:9], v[8:9], v[22:23], v[16:17]
	v_fma_f64 v[6:7], v[6:7], v[22:23], -v[24:25]
	v_add_f64_e32 v[14:15], v[10:11], v[14:15]
	v_add_f64_e32 v[20:21], v[12:13], v[40:41]
	ds_load_b128 v[2:5], v1 offset:2016
	ds_load_b128 v[10:13], v1 offset:2032
	s_wait_loadcnt_dscnt 0x101
	v_mul_f64_e32 v[36:37], v[2:3], v[28:29]
	v_mul_f64_e32 v[28:29], v[4:5], v[28:29]
	v_add_f64_e32 v[14:15], v[14:15], v[18:19]
	v_add_f64_e32 v[16:17], v[20:21], v[34:35]
	s_wait_loadcnt_dscnt 0x0
	v_mul_f64_e32 v[18:19], v[10:11], v[32:33]
	v_mul_f64_e32 v[20:21], v[12:13], v[32:33]
	v_fma_f64 v[4:5], v[4:5], v[26:27], v[36:37]
	v_fma_f64 v[1:2], v[2:3], v[26:27], -v[28:29]
	v_add_f64_e32 v[6:7], v[14:15], v[6:7]
	v_add_f64_e32 v[8:9], v[16:17], v[8:9]
	v_fma_f64 v[12:13], v[12:13], v[30:31], v[18:19]
	v_fma_f64 v[10:11], v[10:11], v[30:31], -v[20:21]
	s_delay_alu instid0(VALU_DEP_4) | instskip(NEXT) | instid1(VALU_DEP_4)
	v_add_f64_e32 v[1:2], v[6:7], v[1:2]
	v_add_f64_e32 v[3:4], v[8:9], v[4:5]
	s_delay_alu instid0(VALU_DEP_2) | instskip(NEXT) | instid1(VALU_DEP_2)
	v_add_f64_e32 v[1:2], v[1:2], v[10:11]
	v_add_f64_e32 v[3:4], v[3:4], v[12:13]
	s_delay_alu instid0(VALU_DEP_2) | instskip(NEXT) | instid1(VALU_DEP_2)
	v_add_f64_e64 v[1:2], v[175:176], -v[1:2]
	v_add_f64_e64 v[3:4], v[177:178], -v[3:4]
	scratch_store_b128 off, v[1:4], off offset:736
	v_cmpx_lt_u32_e32 44, v0
	s_cbranch_execz .LBB127_321
; %bb.320:
	scratch_load_b128 v[1:4], off, s35
	v_mov_b32_e32 v5, 0
	s_delay_alu instid0(VALU_DEP_1)
	v_dual_mov_b32 v6, v5 :: v_dual_mov_b32 v7, v5
	v_mov_b32_e32 v8, v5
	scratch_store_b128 off, v[5:8], off offset:720
	s_wait_loadcnt 0x0
	ds_store_b128 v174, v[1:4]
.LBB127_321:
	s_wait_alu 0xfffe
	s_or_b32 exec_lo, exec_lo, s0
	s_wait_storecnt_dscnt 0x0
	s_barrier_signal -1
	s_barrier_wait -1
	global_inv scope:SCOPE_SE
	s_clause 0x7
	scratch_load_b128 v[2:5], off, off offset:736
	scratch_load_b128 v[6:9], off, off offset:752
	;; [unrolled: 1-line block ×8, first 2 shown]
	v_mov_b32_e32 v1, 0
	s_mov_b32 s0, exec_lo
	ds_load_b128 v[34:37], v1 offset:1744
	s_clause 0x1
	scratch_load_b128 v[38:41], off, off offset:864
	scratch_load_b128 v[42:45], off, off offset:720
	ds_load_b128 v[175:178], v1 offset:1760
	scratch_load_b128 v[179:182], off, off offset:880
	s_wait_loadcnt_dscnt 0xa01
	v_mul_f64_e32 v[183:184], v[36:37], v[4:5]
	v_mul_f64_e32 v[4:5], v[34:35], v[4:5]
	s_delay_alu instid0(VALU_DEP_2) | instskip(NEXT) | instid1(VALU_DEP_2)
	v_fma_f64 v[189:190], v[34:35], v[2:3], -v[183:184]
	v_fma_f64 v[191:192], v[36:37], v[2:3], v[4:5]
	ds_load_b128 v[2:5], v1 offset:1776
	s_wait_loadcnt_dscnt 0x901
	v_mul_f64_e32 v[187:188], v[175:176], v[8:9]
	v_mul_f64_e32 v[8:9], v[177:178], v[8:9]
	scratch_load_b128 v[34:37], off, off offset:896
	ds_load_b128 v[183:186], v1 offset:1792
	s_wait_loadcnt_dscnt 0x901
	v_mul_f64_e32 v[193:194], v[2:3], v[12:13]
	v_mul_f64_e32 v[12:13], v[4:5], v[12:13]
	v_fma_f64 v[177:178], v[177:178], v[6:7], v[187:188]
	v_fma_f64 v[175:176], v[175:176], v[6:7], -v[8:9]
	v_add_f64_e32 v[187:188], 0, v[189:190]
	v_add_f64_e32 v[189:190], 0, v[191:192]
	scratch_load_b128 v[6:9], off, off offset:912
	v_fma_f64 v[193:194], v[4:5], v[10:11], v[193:194]
	v_fma_f64 v[195:196], v[2:3], v[10:11], -v[12:13]
	ds_load_b128 v[2:5], v1 offset:1808
	s_wait_loadcnt_dscnt 0x901
	v_mul_f64_e32 v[191:192], v[183:184], v[16:17]
	v_mul_f64_e32 v[16:17], v[185:186], v[16:17]
	scratch_load_b128 v[10:13], off, off offset:928
	v_add_f64_e32 v[187:188], v[187:188], v[175:176]
	v_add_f64_e32 v[189:190], v[189:190], v[177:178]
	s_wait_loadcnt_dscnt 0x900
	v_mul_f64_e32 v[197:198], v[2:3], v[20:21]
	v_mul_f64_e32 v[20:21], v[4:5], v[20:21]
	ds_load_b128 v[175:178], v1 offset:1824
	v_fma_f64 v[185:186], v[185:186], v[14:15], v[191:192]
	v_fma_f64 v[183:184], v[183:184], v[14:15], -v[16:17]
	scratch_load_b128 v[14:17], off, off offset:944
	v_add_f64_e32 v[187:188], v[187:188], v[195:196]
	v_add_f64_e32 v[189:190], v[189:190], v[193:194]
	v_fma_f64 v[193:194], v[4:5], v[18:19], v[197:198]
	v_fma_f64 v[195:196], v[2:3], v[18:19], -v[20:21]
	ds_load_b128 v[2:5], v1 offset:1840
	s_wait_loadcnt_dscnt 0x901
	v_mul_f64_e32 v[191:192], v[175:176], v[24:25]
	v_mul_f64_e32 v[24:25], v[177:178], v[24:25]
	scratch_load_b128 v[18:21], off, off offset:960
	s_wait_loadcnt_dscnt 0x900
	v_mul_f64_e32 v[197:198], v[2:3], v[28:29]
	v_mul_f64_e32 v[28:29], v[4:5], v[28:29]
	v_add_f64_e32 v[187:188], v[187:188], v[183:184]
	v_add_f64_e32 v[189:190], v[189:190], v[185:186]
	ds_load_b128 v[183:186], v1 offset:1856
	v_fma_f64 v[177:178], v[177:178], v[22:23], v[191:192]
	v_fma_f64 v[175:176], v[175:176], v[22:23], -v[24:25]
	scratch_load_b128 v[22:25], off, off offset:976
	v_add_f64_e32 v[187:188], v[187:188], v[195:196]
	v_add_f64_e32 v[189:190], v[189:190], v[193:194]
	v_fma_f64 v[193:194], v[4:5], v[26:27], v[197:198]
	v_fma_f64 v[195:196], v[2:3], v[26:27], -v[28:29]
	ds_load_b128 v[2:5], v1 offset:1872
	s_wait_loadcnt_dscnt 0x901
	v_mul_f64_e32 v[191:192], v[183:184], v[32:33]
	v_mul_f64_e32 v[32:33], v[185:186], v[32:33]
	scratch_load_b128 v[26:29], off, off offset:992
	s_wait_loadcnt_dscnt 0x900
	v_mul_f64_e32 v[197:198], v[2:3], v[40:41]
	v_mul_f64_e32 v[40:41], v[4:5], v[40:41]
	v_add_f64_e32 v[187:188], v[187:188], v[175:176]
	v_add_f64_e32 v[189:190], v[189:190], v[177:178]
	ds_load_b128 v[175:178], v1 offset:1888
	v_fma_f64 v[185:186], v[185:186], v[30:31], v[191:192]
	v_fma_f64 v[183:184], v[183:184], v[30:31], -v[32:33]
	scratch_load_b128 v[30:33], off, off offset:1008
	v_add_f64_e32 v[187:188], v[187:188], v[195:196]
	v_add_f64_e32 v[189:190], v[189:190], v[193:194]
	v_fma_f64 v[195:196], v[4:5], v[38:39], v[197:198]
	v_fma_f64 v[197:198], v[2:3], v[38:39], -v[40:41]
	ds_load_b128 v[2:5], v1 offset:1904
	s_wait_loadcnt_dscnt 0x801
	v_mul_f64_e32 v[191:192], v[175:176], v[181:182]
	v_mul_f64_e32 v[193:194], v[177:178], v[181:182]
	scratch_load_b128 v[38:41], off, off offset:1024
	v_add_f64_e32 v[187:188], v[187:188], v[183:184]
	v_add_f64_e32 v[185:186], v[189:190], v[185:186]
	ds_load_b128 v[181:184], v1 offset:1920
	v_fma_f64 v[177:178], v[177:178], v[179:180], v[191:192]
	v_fma_f64 v[175:176], v[175:176], v[179:180], -v[193:194]
	s_wait_loadcnt_dscnt 0x801
	v_mul_f64_e32 v[189:190], v[2:3], v[36:37]
	v_mul_f64_e32 v[36:37], v[4:5], v[36:37]
	v_add_f64_e32 v[179:180], v[187:188], v[197:198]
	v_add_f64_e32 v[185:186], v[185:186], v[195:196]
	s_delay_alu instid0(VALU_DEP_4) | instskip(NEXT) | instid1(VALU_DEP_4)
	v_fma_f64 v[189:190], v[4:5], v[34:35], v[189:190]
	v_fma_f64 v[191:192], v[2:3], v[34:35], -v[36:37]
	s_wait_loadcnt_dscnt 0x700
	v_mul_f64_e32 v[187:188], v[181:182], v[8:9]
	v_mul_f64_e32 v[8:9], v[183:184], v[8:9]
	ds_load_b128 v[2:5], v1 offset:1936
	ds_load_b128 v[34:37], v1 offset:1952
	v_add_f64_e32 v[175:176], v[179:180], v[175:176]
	v_add_f64_e32 v[177:178], v[185:186], v[177:178]
	s_wait_loadcnt_dscnt 0x601
	v_mul_f64_e32 v[179:180], v[2:3], v[12:13]
	v_mul_f64_e32 v[12:13], v[4:5], v[12:13]
	v_fma_f64 v[183:184], v[183:184], v[6:7], v[187:188]
	v_fma_f64 v[6:7], v[181:182], v[6:7], -v[8:9]
	v_add_f64_e32 v[8:9], v[175:176], v[191:192]
	v_add_f64_e32 v[175:176], v[177:178], v[189:190]
	s_wait_loadcnt_dscnt 0x500
	v_mul_f64_e32 v[177:178], v[34:35], v[16:17]
	v_mul_f64_e32 v[16:17], v[36:37], v[16:17]
	v_fma_f64 v[179:180], v[4:5], v[10:11], v[179:180]
	v_fma_f64 v[10:11], v[2:3], v[10:11], -v[12:13]
	v_add_f64_e32 v[12:13], v[8:9], v[6:7]
	v_add_f64_e32 v[175:176], v[175:176], v[183:184]
	ds_load_b128 v[2:5], v1 offset:1968
	ds_load_b128 v[6:9], v1 offset:1984
	v_fma_f64 v[36:37], v[36:37], v[14:15], v[177:178]
	v_fma_f64 v[14:15], v[34:35], v[14:15], -v[16:17]
	s_wait_loadcnt_dscnt 0x401
	v_mul_f64_e32 v[181:182], v[2:3], v[20:21]
	v_mul_f64_e32 v[20:21], v[4:5], v[20:21]
	s_wait_loadcnt_dscnt 0x300
	v_mul_f64_e32 v[16:17], v[6:7], v[24:25]
	v_mul_f64_e32 v[24:25], v[8:9], v[24:25]
	v_add_f64_e32 v[10:11], v[12:13], v[10:11]
	v_add_f64_e32 v[12:13], v[175:176], v[179:180]
	v_fma_f64 v[34:35], v[4:5], v[18:19], v[181:182]
	v_fma_f64 v[18:19], v[2:3], v[18:19], -v[20:21]
	v_fma_f64 v[8:9], v[8:9], v[22:23], v[16:17]
	v_fma_f64 v[6:7], v[6:7], v[22:23], -v[24:25]
	v_add_f64_e32 v[14:15], v[10:11], v[14:15]
	v_add_f64_e32 v[20:21], v[12:13], v[36:37]
	ds_load_b128 v[2:5], v1 offset:2000
	ds_load_b128 v[10:13], v1 offset:2016
	s_wait_loadcnt_dscnt 0x201
	v_mul_f64_e32 v[36:37], v[2:3], v[28:29]
	v_mul_f64_e32 v[28:29], v[4:5], v[28:29]
	v_add_f64_e32 v[14:15], v[14:15], v[18:19]
	v_add_f64_e32 v[16:17], v[20:21], v[34:35]
	s_wait_loadcnt_dscnt 0x100
	v_mul_f64_e32 v[18:19], v[10:11], v[32:33]
	v_mul_f64_e32 v[20:21], v[12:13], v[32:33]
	v_fma_f64 v[22:23], v[4:5], v[26:27], v[36:37]
	v_fma_f64 v[24:25], v[2:3], v[26:27], -v[28:29]
	ds_load_b128 v[2:5], v1 offset:2032
	v_add_f64_e32 v[6:7], v[14:15], v[6:7]
	v_add_f64_e32 v[8:9], v[16:17], v[8:9]
	v_fma_f64 v[12:13], v[12:13], v[30:31], v[18:19]
	v_fma_f64 v[10:11], v[10:11], v[30:31], -v[20:21]
	s_wait_loadcnt_dscnt 0x0
	v_mul_f64_e32 v[14:15], v[2:3], v[40:41]
	v_mul_f64_e32 v[16:17], v[4:5], v[40:41]
	v_add_f64_e32 v[6:7], v[6:7], v[24:25]
	v_add_f64_e32 v[8:9], v[8:9], v[22:23]
	s_delay_alu instid0(VALU_DEP_4) | instskip(NEXT) | instid1(VALU_DEP_4)
	v_fma_f64 v[4:5], v[4:5], v[38:39], v[14:15]
	v_fma_f64 v[2:3], v[2:3], v[38:39], -v[16:17]
	s_delay_alu instid0(VALU_DEP_4) | instskip(NEXT) | instid1(VALU_DEP_4)
	v_add_f64_e32 v[6:7], v[6:7], v[10:11]
	v_add_f64_e32 v[8:9], v[8:9], v[12:13]
	s_delay_alu instid0(VALU_DEP_2) | instskip(NEXT) | instid1(VALU_DEP_2)
	v_add_f64_e32 v[2:3], v[6:7], v[2:3]
	v_add_f64_e32 v[4:5], v[8:9], v[4:5]
	s_delay_alu instid0(VALU_DEP_2) | instskip(NEXT) | instid1(VALU_DEP_2)
	v_add_f64_e64 v[2:3], v[42:43], -v[2:3]
	v_add_f64_e64 v[4:5], v[44:45], -v[4:5]
	scratch_store_b128 off, v[2:5], off offset:720
	v_cmpx_lt_u32_e32 43, v0
	s_cbranch_execz .LBB127_323
; %bb.322:
	scratch_load_b128 v[5:8], off, s36
	v_dual_mov_b32 v2, v1 :: v_dual_mov_b32 v3, v1
	v_mov_b32_e32 v4, v1
	scratch_store_b128 off, v[1:4], off offset:704
	s_wait_loadcnt 0x0
	ds_store_b128 v174, v[5:8]
.LBB127_323:
	s_wait_alu 0xfffe
	s_or_b32 exec_lo, exec_lo, s0
	s_wait_storecnt_dscnt 0x0
	s_barrier_signal -1
	s_barrier_wait -1
	global_inv scope:SCOPE_SE
	s_clause 0x8
	scratch_load_b128 v[2:5], off, off offset:720
	scratch_load_b128 v[6:9], off, off offset:736
	;; [unrolled: 1-line block ×9, first 2 shown]
	ds_load_b128 v[38:41], v1 offset:1728
	ds_load_b128 v[42:45], v1 offset:1744
	s_clause 0x1
	scratch_load_b128 v[175:178], off, off offset:704
	scratch_load_b128 v[179:182], off, off offset:864
	s_mov_b32 s0, exec_lo
	s_wait_loadcnt_dscnt 0xa01
	v_mul_f64_e32 v[183:184], v[40:41], v[4:5]
	v_mul_f64_e32 v[4:5], v[38:39], v[4:5]
	s_wait_loadcnt_dscnt 0x900
	v_mul_f64_e32 v[187:188], v[42:43], v[8:9]
	v_mul_f64_e32 v[8:9], v[44:45], v[8:9]
	s_delay_alu instid0(VALU_DEP_4) | instskip(NEXT) | instid1(VALU_DEP_4)
	v_fma_f64 v[189:190], v[38:39], v[2:3], -v[183:184]
	v_fma_f64 v[191:192], v[40:41], v[2:3], v[4:5]
	ds_load_b128 v[2:5], v1 offset:1760
	ds_load_b128 v[183:186], v1 offset:1776
	scratch_load_b128 v[38:41], off, off offset:880
	v_fma_f64 v[44:45], v[44:45], v[6:7], v[187:188]
	v_fma_f64 v[42:43], v[42:43], v[6:7], -v[8:9]
	scratch_load_b128 v[6:9], off, off offset:896
	s_wait_loadcnt_dscnt 0xa01
	v_mul_f64_e32 v[193:194], v[2:3], v[12:13]
	v_mul_f64_e32 v[12:13], v[4:5], v[12:13]
	v_add_f64_e32 v[187:188], 0, v[189:190]
	v_add_f64_e32 v[189:190], 0, v[191:192]
	s_wait_loadcnt_dscnt 0x900
	v_mul_f64_e32 v[191:192], v[183:184], v[16:17]
	v_mul_f64_e32 v[16:17], v[185:186], v[16:17]
	v_fma_f64 v[193:194], v[4:5], v[10:11], v[193:194]
	v_fma_f64 v[195:196], v[2:3], v[10:11], -v[12:13]
	ds_load_b128 v[2:5], v1 offset:1792
	scratch_load_b128 v[10:13], off, off offset:912
	v_add_f64_e32 v[187:188], v[187:188], v[42:43]
	v_add_f64_e32 v[189:190], v[189:190], v[44:45]
	ds_load_b128 v[42:45], v1 offset:1808
	v_fma_f64 v[185:186], v[185:186], v[14:15], v[191:192]
	v_fma_f64 v[183:184], v[183:184], v[14:15], -v[16:17]
	scratch_load_b128 v[14:17], off, off offset:928
	s_wait_loadcnt_dscnt 0xa01
	v_mul_f64_e32 v[197:198], v[2:3], v[20:21]
	v_mul_f64_e32 v[20:21], v[4:5], v[20:21]
	s_wait_loadcnt_dscnt 0x900
	v_mul_f64_e32 v[191:192], v[42:43], v[24:25]
	v_mul_f64_e32 v[24:25], v[44:45], v[24:25]
	v_add_f64_e32 v[187:188], v[187:188], v[195:196]
	v_add_f64_e32 v[189:190], v[189:190], v[193:194]
	v_fma_f64 v[193:194], v[4:5], v[18:19], v[197:198]
	v_fma_f64 v[195:196], v[2:3], v[18:19], -v[20:21]
	ds_load_b128 v[2:5], v1 offset:1824
	scratch_load_b128 v[18:21], off, off offset:944
	v_fma_f64 v[44:45], v[44:45], v[22:23], v[191:192]
	v_fma_f64 v[42:43], v[42:43], v[22:23], -v[24:25]
	scratch_load_b128 v[22:25], off, off offset:960
	v_add_f64_e32 v[187:188], v[187:188], v[183:184]
	v_add_f64_e32 v[189:190], v[189:190], v[185:186]
	ds_load_b128 v[183:186], v1 offset:1840
	s_wait_loadcnt_dscnt 0xa01
	v_mul_f64_e32 v[197:198], v[2:3], v[28:29]
	v_mul_f64_e32 v[28:29], v[4:5], v[28:29]
	s_wait_loadcnt_dscnt 0x900
	v_mul_f64_e32 v[191:192], v[183:184], v[32:33]
	v_mul_f64_e32 v[32:33], v[185:186], v[32:33]
	v_add_f64_e32 v[187:188], v[187:188], v[195:196]
	v_add_f64_e32 v[189:190], v[189:190], v[193:194]
	v_fma_f64 v[193:194], v[4:5], v[26:27], v[197:198]
	v_fma_f64 v[195:196], v[2:3], v[26:27], -v[28:29]
	ds_load_b128 v[2:5], v1 offset:1856
	scratch_load_b128 v[26:29], off, off offset:976
	v_fma_f64 v[185:186], v[185:186], v[30:31], v[191:192]
	v_fma_f64 v[183:184], v[183:184], v[30:31], -v[32:33]
	scratch_load_b128 v[30:33], off, off offset:992
	v_add_f64_e32 v[187:188], v[187:188], v[42:43]
	v_add_f64_e32 v[189:190], v[189:190], v[44:45]
	ds_load_b128 v[42:45], v1 offset:1872
	s_wait_loadcnt_dscnt 0xa01
	v_mul_f64_e32 v[197:198], v[2:3], v[36:37]
	v_mul_f64_e32 v[36:37], v[4:5], v[36:37]
	s_wait_loadcnt_dscnt 0x800
	v_mul_f64_e32 v[191:192], v[42:43], v[181:182]
	v_add_f64_e32 v[187:188], v[187:188], v[195:196]
	v_add_f64_e32 v[189:190], v[189:190], v[193:194]
	v_mul_f64_e32 v[193:194], v[44:45], v[181:182]
	v_fma_f64 v[195:196], v[4:5], v[34:35], v[197:198]
	v_fma_f64 v[197:198], v[2:3], v[34:35], -v[36:37]
	ds_load_b128 v[2:5], v1 offset:1888
	scratch_load_b128 v[34:37], off, off offset:1008
	v_fma_f64 v[44:45], v[44:45], v[179:180], v[191:192]
	v_add_f64_e32 v[187:188], v[187:188], v[183:184]
	v_add_f64_e32 v[185:186], v[189:190], v[185:186]
	ds_load_b128 v[181:184], v1 offset:1904
	v_fma_f64 v[179:180], v[42:43], v[179:180], -v[193:194]
	s_wait_loadcnt_dscnt 0x801
	v_mul_f64_e32 v[189:190], v[2:3], v[40:41]
	v_mul_f64_e32 v[199:200], v[4:5], v[40:41]
	scratch_load_b128 v[40:43], off, off offset:1024
	s_wait_loadcnt_dscnt 0x800
	v_mul_f64_e32 v[191:192], v[181:182], v[8:9]
	v_mul_f64_e32 v[8:9], v[183:184], v[8:9]
	v_add_f64_e32 v[187:188], v[187:188], v[197:198]
	v_add_f64_e32 v[185:186], v[185:186], v[195:196]
	v_fma_f64 v[189:190], v[4:5], v[38:39], v[189:190]
	v_fma_f64 v[38:39], v[2:3], v[38:39], -v[199:200]
	v_fma_f64 v[183:184], v[183:184], v[6:7], v[191:192]
	v_fma_f64 v[6:7], v[181:182], v[6:7], -v[8:9]
	v_add_f64_e32 v[179:180], v[187:188], v[179:180]
	v_add_f64_e32 v[44:45], v[185:186], v[44:45]
	ds_load_b128 v[2:5], v1 offset:1920
	ds_load_b128 v[185:188], v1 offset:1936
	s_wait_loadcnt_dscnt 0x701
	v_mul_f64_e32 v[193:194], v[2:3], v[12:13]
	v_mul_f64_e32 v[12:13], v[4:5], v[12:13]
	v_add_f64_e32 v[8:9], v[179:180], v[38:39]
	v_add_f64_e32 v[38:39], v[44:45], v[189:190]
	s_wait_loadcnt_dscnt 0x600
	v_mul_f64_e32 v[44:45], v[185:186], v[16:17]
	v_mul_f64_e32 v[16:17], v[187:188], v[16:17]
	v_fma_f64 v[179:180], v[4:5], v[10:11], v[193:194]
	v_fma_f64 v[10:11], v[2:3], v[10:11], -v[12:13]
	v_add_f64_e32 v[12:13], v[8:9], v[6:7]
	v_add_f64_e32 v[38:39], v[38:39], v[183:184]
	ds_load_b128 v[2:5], v1 offset:1952
	ds_load_b128 v[6:9], v1 offset:1968
	v_fma_f64 v[44:45], v[187:188], v[14:15], v[44:45]
	v_fma_f64 v[14:15], v[185:186], v[14:15], -v[16:17]
	s_wait_loadcnt_dscnt 0x501
	v_mul_f64_e32 v[181:182], v[2:3], v[20:21]
	v_mul_f64_e32 v[20:21], v[4:5], v[20:21]
	s_wait_loadcnt_dscnt 0x400
	v_mul_f64_e32 v[16:17], v[6:7], v[24:25]
	v_mul_f64_e32 v[24:25], v[8:9], v[24:25]
	v_add_f64_e32 v[10:11], v[12:13], v[10:11]
	v_add_f64_e32 v[12:13], v[38:39], v[179:180]
	v_fma_f64 v[38:39], v[4:5], v[18:19], v[181:182]
	v_fma_f64 v[18:19], v[2:3], v[18:19], -v[20:21]
	v_fma_f64 v[8:9], v[8:9], v[22:23], v[16:17]
	v_fma_f64 v[6:7], v[6:7], v[22:23], -v[24:25]
	v_add_f64_e32 v[14:15], v[10:11], v[14:15]
	v_add_f64_e32 v[20:21], v[12:13], v[44:45]
	ds_load_b128 v[2:5], v1 offset:1984
	ds_load_b128 v[10:13], v1 offset:2000
	s_wait_loadcnt_dscnt 0x301
	v_mul_f64_e32 v[44:45], v[2:3], v[28:29]
	v_mul_f64_e32 v[28:29], v[4:5], v[28:29]
	v_add_f64_e32 v[14:15], v[14:15], v[18:19]
	v_add_f64_e32 v[16:17], v[20:21], v[38:39]
	s_wait_loadcnt_dscnt 0x200
	v_mul_f64_e32 v[18:19], v[10:11], v[32:33]
	v_mul_f64_e32 v[20:21], v[12:13], v[32:33]
	v_fma_f64 v[22:23], v[4:5], v[26:27], v[44:45]
	v_fma_f64 v[24:25], v[2:3], v[26:27], -v[28:29]
	v_add_f64_e32 v[14:15], v[14:15], v[6:7]
	v_add_f64_e32 v[16:17], v[16:17], v[8:9]
	ds_load_b128 v[2:5], v1 offset:2016
	ds_load_b128 v[6:9], v1 offset:2032
	v_fma_f64 v[12:13], v[12:13], v[30:31], v[18:19]
	v_fma_f64 v[10:11], v[10:11], v[30:31], -v[20:21]
	s_wait_loadcnt_dscnt 0x101
	v_mul_f64_e32 v[26:27], v[2:3], v[36:37]
	v_mul_f64_e32 v[28:29], v[4:5], v[36:37]
	s_wait_loadcnt_dscnt 0x0
	v_mul_f64_e32 v[18:19], v[6:7], v[42:43]
	v_add_f64_e32 v[14:15], v[14:15], v[24:25]
	v_add_f64_e32 v[16:17], v[16:17], v[22:23]
	v_mul_f64_e32 v[20:21], v[8:9], v[42:43]
	v_fma_f64 v[4:5], v[4:5], v[34:35], v[26:27]
	v_fma_f64 v[1:2], v[2:3], v[34:35], -v[28:29]
	v_fma_f64 v[8:9], v[8:9], v[40:41], v[18:19]
	v_add_f64_e32 v[10:11], v[14:15], v[10:11]
	v_add_f64_e32 v[12:13], v[16:17], v[12:13]
	v_fma_f64 v[6:7], v[6:7], v[40:41], -v[20:21]
	s_delay_alu instid0(VALU_DEP_3) | instskip(NEXT) | instid1(VALU_DEP_3)
	v_add_f64_e32 v[1:2], v[10:11], v[1:2]
	v_add_f64_e32 v[3:4], v[12:13], v[4:5]
	s_delay_alu instid0(VALU_DEP_2) | instskip(NEXT) | instid1(VALU_DEP_2)
	v_add_f64_e32 v[1:2], v[1:2], v[6:7]
	v_add_f64_e32 v[3:4], v[3:4], v[8:9]
	s_delay_alu instid0(VALU_DEP_2) | instskip(NEXT) | instid1(VALU_DEP_2)
	v_add_f64_e64 v[1:2], v[175:176], -v[1:2]
	v_add_f64_e64 v[3:4], v[177:178], -v[3:4]
	scratch_store_b128 off, v[1:4], off offset:704
	v_cmpx_lt_u32_e32 42, v0
	s_cbranch_execz .LBB127_325
; %bb.324:
	scratch_load_b128 v[1:4], off, s37
	v_mov_b32_e32 v5, 0
	s_delay_alu instid0(VALU_DEP_1)
	v_dual_mov_b32 v6, v5 :: v_dual_mov_b32 v7, v5
	v_mov_b32_e32 v8, v5
	scratch_store_b128 off, v[5:8], off offset:688
	s_wait_loadcnt 0x0
	ds_store_b128 v174, v[1:4]
.LBB127_325:
	s_wait_alu 0xfffe
	s_or_b32 exec_lo, exec_lo, s0
	s_wait_storecnt_dscnt 0x0
	s_barrier_signal -1
	s_barrier_wait -1
	global_inv scope:SCOPE_SE
	s_clause 0x7
	scratch_load_b128 v[2:5], off, off offset:704
	scratch_load_b128 v[6:9], off, off offset:720
	;; [unrolled: 1-line block ×8, first 2 shown]
	v_mov_b32_e32 v1, 0
	s_mov_b32 s0, exec_lo
	ds_load_b128 v[34:37], v1 offset:1712
	s_clause 0x1
	scratch_load_b128 v[38:41], off, off offset:832
	scratch_load_b128 v[42:45], off, off offset:688
	ds_load_b128 v[175:178], v1 offset:1728
	scratch_load_b128 v[179:182], off, off offset:848
	s_wait_loadcnt_dscnt 0xa01
	v_mul_f64_e32 v[183:184], v[36:37], v[4:5]
	v_mul_f64_e32 v[4:5], v[34:35], v[4:5]
	s_delay_alu instid0(VALU_DEP_2) | instskip(NEXT) | instid1(VALU_DEP_2)
	v_fma_f64 v[189:190], v[34:35], v[2:3], -v[183:184]
	v_fma_f64 v[191:192], v[36:37], v[2:3], v[4:5]
	ds_load_b128 v[2:5], v1 offset:1744
	s_wait_loadcnt_dscnt 0x901
	v_mul_f64_e32 v[187:188], v[175:176], v[8:9]
	v_mul_f64_e32 v[8:9], v[177:178], v[8:9]
	scratch_load_b128 v[34:37], off, off offset:864
	ds_load_b128 v[183:186], v1 offset:1760
	s_wait_loadcnt_dscnt 0x901
	v_mul_f64_e32 v[193:194], v[2:3], v[12:13]
	v_mul_f64_e32 v[12:13], v[4:5], v[12:13]
	v_fma_f64 v[177:178], v[177:178], v[6:7], v[187:188]
	v_fma_f64 v[175:176], v[175:176], v[6:7], -v[8:9]
	v_add_f64_e32 v[187:188], 0, v[189:190]
	v_add_f64_e32 v[189:190], 0, v[191:192]
	scratch_load_b128 v[6:9], off, off offset:880
	v_fma_f64 v[193:194], v[4:5], v[10:11], v[193:194]
	v_fma_f64 v[195:196], v[2:3], v[10:11], -v[12:13]
	ds_load_b128 v[2:5], v1 offset:1776
	s_wait_loadcnt_dscnt 0x901
	v_mul_f64_e32 v[191:192], v[183:184], v[16:17]
	v_mul_f64_e32 v[16:17], v[185:186], v[16:17]
	scratch_load_b128 v[10:13], off, off offset:896
	v_add_f64_e32 v[187:188], v[187:188], v[175:176]
	v_add_f64_e32 v[189:190], v[189:190], v[177:178]
	s_wait_loadcnt_dscnt 0x900
	v_mul_f64_e32 v[197:198], v[2:3], v[20:21]
	v_mul_f64_e32 v[20:21], v[4:5], v[20:21]
	ds_load_b128 v[175:178], v1 offset:1792
	v_fma_f64 v[185:186], v[185:186], v[14:15], v[191:192]
	v_fma_f64 v[183:184], v[183:184], v[14:15], -v[16:17]
	scratch_load_b128 v[14:17], off, off offset:912
	v_add_f64_e32 v[187:188], v[187:188], v[195:196]
	v_add_f64_e32 v[189:190], v[189:190], v[193:194]
	v_fma_f64 v[193:194], v[4:5], v[18:19], v[197:198]
	v_fma_f64 v[195:196], v[2:3], v[18:19], -v[20:21]
	ds_load_b128 v[2:5], v1 offset:1808
	s_wait_loadcnt_dscnt 0x901
	v_mul_f64_e32 v[191:192], v[175:176], v[24:25]
	v_mul_f64_e32 v[24:25], v[177:178], v[24:25]
	scratch_load_b128 v[18:21], off, off offset:928
	s_wait_loadcnt_dscnt 0x900
	v_mul_f64_e32 v[197:198], v[2:3], v[28:29]
	v_mul_f64_e32 v[28:29], v[4:5], v[28:29]
	v_add_f64_e32 v[187:188], v[187:188], v[183:184]
	v_add_f64_e32 v[189:190], v[189:190], v[185:186]
	ds_load_b128 v[183:186], v1 offset:1824
	v_fma_f64 v[177:178], v[177:178], v[22:23], v[191:192]
	v_fma_f64 v[175:176], v[175:176], v[22:23], -v[24:25]
	scratch_load_b128 v[22:25], off, off offset:944
	v_add_f64_e32 v[187:188], v[187:188], v[195:196]
	v_add_f64_e32 v[189:190], v[189:190], v[193:194]
	v_fma_f64 v[193:194], v[4:5], v[26:27], v[197:198]
	v_fma_f64 v[195:196], v[2:3], v[26:27], -v[28:29]
	ds_load_b128 v[2:5], v1 offset:1840
	s_wait_loadcnt_dscnt 0x901
	v_mul_f64_e32 v[191:192], v[183:184], v[32:33]
	v_mul_f64_e32 v[32:33], v[185:186], v[32:33]
	scratch_load_b128 v[26:29], off, off offset:960
	s_wait_loadcnt_dscnt 0x900
	v_mul_f64_e32 v[197:198], v[2:3], v[40:41]
	v_mul_f64_e32 v[40:41], v[4:5], v[40:41]
	v_add_f64_e32 v[187:188], v[187:188], v[175:176]
	v_add_f64_e32 v[189:190], v[189:190], v[177:178]
	ds_load_b128 v[175:178], v1 offset:1856
	v_fma_f64 v[185:186], v[185:186], v[30:31], v[191:192]
	v_fma_f64 v[183:184], v[183:184], v[30:31], -v[32:33]
	scratch_load_b128 v[30:33], off, off offset:976
	v_add_f64_e32 v[187:188], v[187:188], v[195:196]
	v_add_f64_e32 v[189:190], v[189:190], v[193:194]
	v_fma_f64 v[195:196], v[4:5], v[38:39], v[197:198]
	v_fma_f64 v[197:198], v[2:3], v[38:39], -v[40:41]
	ds_load_b128 v[2:5], v1 offset:1872
	s_wait_loadcnt_dscnt 0x801
	v_mul_f64_e32 v[191:192], v[175:176], v[181:182]
	v_mul_f64_e32 v[193:194], v[177:178], v[181:182]
	scratch_load_b128 v[38:41], off, off offset:992
	v_add_f64_e32 v[187:188], v[187:188], v[183:184]
	v_add_f64_e32 v[185:186], v[189:190], v[185:186]
	ds_load_b128 v[181:184], v1 offset:1888
	v_fma_f64 v[191:192], v[177:178], v[179:180], v[191:192]
	v_fma_f64 v[179:180], v[175:176], v[179:180], -v[193:194]
	scratch_load_b128 v[175:178], off, off offset:1008
	s_wait_loadcnt_dscnt 0x901
	v_mul_f64_e32 v[189:190], v[2:3], v[36:37]
	v_mul_f64_e32 v[36:37], v[4:5], v[36:37]
	v_add_f64_e32 v[187:188], v[187:188], v[197:198]
	v_add_f64_e32 v[185:186], v[185:186], v[195:196]
	s_delay_alu instid0(VALU_DEP_4) | instskip(NEXT) | instid1(VALU_DEP_4)
	v_fma_f64 v[189:190], v[4:5], v[34:35], v[189:190]
	v_fma_f64 v[195:196], v[2:3], v[34:35], -v[36:37]
	ds_load_b128 v[2:5], v1 offset:1904
	s_wait_loadcnt_dscnt 0x801
	v_mul_f64_e32 v[193:194], v[181:182], v[8:9]
	v_mul_f64_e32 v[8:9], v[183:184], v[8:9]
	scratch_load_b128 v[34:37], off, off offset:1024
	s_wait_loadcnt_dscnt 0x800
	v_mul_f64_e32 v[197:198], v[2:3], v[12:13]
	v_add_f64_e32 v[179:180], v[187:188], v[179:180]
	v_add_f64_e32 v[191:192], v[185:186], v[191:192]
	v_mul_f64_e32 v[12:13], v[4:5], v[12:13]
	ds_load_b128 v[185:188], v1 offset:1920
	v_fma_f64 v[183:184], v[183:184], v[6:7], v[193:194]
	v_fma_f64 v[6:7], v[181:182], v[6:7], -v[8:9]
	s_wait_loadcnt_dscnt 0x700
	v_mul_f64_e32 v[181:182], v[185:186], v[16:17]
	v_add_f64_e32 v[8:9], v[179:180], v[195:196]
	v_add_f64_e32 v[179:180], v[191:192], v[189:190]
	v_mul_f64_e32 v[16:17], v[187:188], v[16:17]
	v_fma_f64 v[189:190], v[4:5], v[10:11], v[197:198]
	v_fma_f64 v[10:11], v[2:3], v[10:11], -v[12:13]
	v_fma_f64 v[181:182], v[187:188], v[14:15], v[181:182]
	v_add_f64_e32 v[12:13], v[8:9], v[6:7]
	v_add_f64_e32 v[179:180], v[179:180], v[183:184]
	ds_load_b128 v[2:5], v1 offset:1936
	ds_load_b128 v[6:9], v1 offset:1952
	v_fma_f64 v[14:15], v[185:186], v[14:15], -v[16:17]
	s_wait_loadcnt_dscnt 0x601
	v_mul_f64_e32 v[183:184], v[2:3], v[20:21]
	v_mul_f64_e32 v[20:21], v[4:5], v[20:21]
	s_wait_loadcnt_dscnt 0x500
	v_mul_f64_e32 v[16:17], v[6:7], v[24:25]
	v_mul_f64_e32 v[24:25], v[8:9], v[24:25]
	v_add_f64_e32 v[10:11], v[12:13], v[10:11]
	v_add_f64_e32 v[12:13], v[179:180], v[189:190]
	v_fma_f64 v[179:180], v[4:5], v[18:19], v[183:184]
	v_fma_f64 v[18:19], v[2:3], v[18:19], -v[20:21]
	v_fma_f64 v[8:9], v[8:9], v[22:23], v[16:17]
	v_fma_f64 v[6:7], v[6:7], v[22:23], -v[24:25]
	v_add_f64_e32 v[14:15], v[10:11], v[14:15]
	v_add_f64_e32 v[20:21], v[12:13], v[181:182]
	ds_load_b128 v[2:5], v1 offset:1968
	ds_load_b128 v[10:13], v1 offset:1984
	s_wait_loadcnt_dscnt 0x401
	v_mul_f64_e32 v[181:182], v[2:3], v[28:29]
	v_mul_f64_e32 v[28:29], v[4:5], v[28:29]
	v_add_f64_e32 v[14:15], v[14:15], v[18:19]
	v_add_f64_e32 v[16:17], v[20:21], v[179:180]
	s_wait_loadcnt_dscnt 0x300
	v_mul_f64_e32 v[18:19], v[10:11], v[32:33]
	v_mul_f64_e32 v[20:21], v[12:13], v[32:33]
	v_fma_f64 v[22:23], v[4:5], v[26:27], v[181:182]
	v_fma_f64 v[24:25], v[2:3], v[26:27], -v[28:29]
	v_add_f64_e32 v[14:15], v[14:15], v[6:7]
	v_add_f64_e32 v[16:17], v[16:17], v[8:9]
	ds_load_b128 v[2:5], v1 offset:2000
	ds_load_b128 v[6:9], v1 offset:2016
	v_fma_f64 v[12:13], v[12:13], v[30:31], v[18:19]
	v_fma_f64 v[10:11], v[10:11], v[30:31], -v[20:21]
	s_wait_loadcnt_dscnt 0x201
	v_mul_f64_e32 v[26:27], v[2:3], v[40:41]
	v_mul_f64_e32 v[28:29], v[4:5], v[40:41]
	s_wait_loadcnt_dscnt 0x100
	v_mul_f64_e32 v[18:19], v[6:7], v[177:178]
	v_mul_f64_e32 v[20:21], v[8:9], v[177:178]
	v_add_f64_e32 v[14:15], v[14:15], v[24:25]
	v_add_f64_e32 v[16:17], v[16:17], v[22:23]
	v_fma_f64 v[22:23], v[4:5], v[38:39], v[26:27]
	v_fma_f64 v[24:25], v[2:3], v[38:39], -v[28:29]
	ds_load_b128 v[2:5], v1 offset:2032
	v_fma_f64 v[8:9], v[8:9], v[175:176], v[18:19]
	v_fma_f64 v[6:7], v[6:7], v[175:176], -v[20:21]
	v_add_f64_e32 v[10:11], v[14:15], v[10:11]
	v_add_f64_e32 v[12:13], v[16:17], v[12:13]
	s_wait_loadcnt_dscnt 0x0
	v_mul_f64_e32 v[14:15], v[2:3], v[36:37]
	v_mul_f64_e32 v[16:17], v[4:5], v[36:37]
	s_delay_alu instid0(VALU_DEP_4) | instskip(NEXT) | instid1(VALU_DEP_4)
	v_add_f64_e32 v[10:11], v[10:11], v[24:25]
	v_add_f64_e32 v[12:13], v[12:13], v[22:23]
	s_delay_alu instid0(VALU_DEP_4) | instskip(NEXT) | instid1(VALU_DEP_4)
	v_fma_f64 v[4:5], v[4:5], v[34:35], v[14:15]
	v_fma_f64 v[2:3], v[2:3], v[34:35], -v[16:17]
	s_delay_alu instid0(VALU_DEP_4) | instskip(NEXT) | instid1(VALU_DEP_4)
	v_add_f64_e32 v[6:7], v[10:11], v[6:7]
	v_add_f64_e32 v[8:9], v[12:13], v[8:9]
	s_delay_alu instid0(VALU_DEP_2) | instskip(NEXT) | instid1(VALU_DEP_2)
	v_add_f64_e32 v[2:3], v[6:7], v[2:3]
	v_add_f64_e32 v[4:5], v[8:9], v[4:5]
	s_delay_alu instid0(VALU_DEP_2) | instskip(NEXT) | instid1(VALU_DEP_2)
	v_add_f64_e64 v[2:3], v[42:43], -v[2:3]
	v_add_f64_e64 v[4:5], v[44:45], -v[4:5]
	scratch_store_b128 off, v[2:5], off offset:688
	v_cmpx_lt_u32_e32 41, v0
	s_cbranch_execz .LBB127_327
; %bb.326:
	scratch_load_b128 v[5:8], off, s38
	v_dual_mov_b32 v2, v1 :: v_dual_mov_b32 v3, v1
	v_mov_b32_e32 v4, v1
	scratch_store_b128 off, v[1:4], off offset:672
	s_wait_loadcnt 0x0
	ds_store_b128 v174, v[5:8]
.LBB127_327:
	s_wait_alu 0xfffe
	s_or_b32 exec_lo, exec_lo, s0
	s_wait_storecnt_dscnt 0x0
	s_barrier_signal -1
	s_barrier_wait -1
	global_inv scope:SCOPE_SE
	s_clause 0x8
	scratch_load_b128 v[2:5], off, off offset:688
	scratch_load_b128 v[6:9], off, off offset:704
	scratch_load_b128 v[10:13], off, off offset:720
	scratch_load_b128 v[14:17], off, off offset:736
	scratch_load_b128 v[18:21], off, off offset:752
	scratch_load_b128 v[22:25], off, off offset:768
	scratch_load_b128 v[26:29], off, off offset:784
	scratch_load_b128 v[30:33], off, off offset:800
	scratch_load_b128 v[34:37], off, off offset:816
	ds_load_b128 v[38:41], v1 offset:1696
	ds_load_b128 v[42:45], v1 offset:1712
	s_clause 0x1
	scratch_load_b128 v[175:178], off, off offset:672
	scratch_load_b128 v[179:182], off, off offset:832
	s_mov_b32 s0, exec_lo
	s_wait_loadcnt_dscnt 0xa01
	v_mul_f64_e32 v[183:184], v[40:41], v[4:5]
	v_mul_f64_e32 v[4:5], v[38:39], v[4:5]
	s_wait_loadcnt_dscnt 0x900
	v_mul_f64_e32 v[187:188], v[42:43], v[8:9]
	v_mul_f64_e32 v[8:9], v[44:45], v[8:9]
	s_delay_alu instid0(VALU_DEP_4) | instskip(NEXT) | instid1(VALU_DEP_4)
	v_fma_f64 v[189:190], v[38:39], v[2:3], -v[183:184]
	v_fma_f64 v[191:192], v[40:41], v[2:3], v[4:5]
	ds_load_b128 v[2:5], v1 offset:1728
	ds_load_b128 v[183:186], v1 offset:1744
	scratch_load_b128 v[38:41], off, off offset:848
	v_fma_f64 v[44:45], v[44:45], v[6:7], v[187:188]
	v_fma_f64 v[42:43], v[42:43], v[6:7], -v[8:9]
	scratch_load_b128 v[6:9], off, off offset:864
	s_wait_loadcnt_dscnt 0xa01
	v_mul_f64_e32 v[193:194], v[2:3], v[12:13]
	v_mul_f64_e32 v[12:13], v[4:5], v[12:13]
	v_add_f64_e32 v[187:188], 0, v[189:190]
	v_add_f64_e32 v[189:190], 0, v[191:192]
	s_wait_loadcnt_dscnt 0x900
	v_mul_f64_e32 v[191:192], v[183:184], v[16:17]
	v_mul_f64_e32 v[16:17], v[185:186], v[16:17]
	v_fma_f64 v[193:194], v[4:5], v[10:11], v[193:194]
	v_fma_f64 v[195:196], v[2:3], v[10:11], -v[12:13]
	ds_load_b128 v[2:5], v1 offset:1760
	scratch_load_b128 v[10:13], off, off offset:880
	v_add_f64_e32 v[187:188], v[187:188], v[42:43]
	v_add_f64_e32 v[189:190], v[189:190], v[44:45]
	ds_load_b128 v[42:45], v1 offset:1776
	v_fma_f64 v[185:186], v[185:186], v[14:15], v[191:192]
	v_fma_f64 v[183:184], v[183:184], v[14:15], -v[16:17]
	scratch_load_b128 v[14:17], off, off offset:896
	s_wait_loadcnt_dscnt 0xa01
	v_mul_f64_e32 v[197:198], v[2:3], v[20:21]
	v_mul_f64_e32 v[20:21], v[4:5], v[20:21]
	s_wait_loadcnt_dscnt 0x900
	v_mul_f64_e32 v[191:192], v[42:43], v[24:25]
	v_mul_f64_e32 v[24:25], v[44:45], v[24:25]
	v_add_f64_e32 v[187:188], v[187:188], v[195:196]
	v_add_f64_e32 v[189:190], v[189:190], v[193:194]
	v_fma_f64 v[193:194], v[4:5], v[18:19], v[197:198]
	v_fma_f64 v[195:196], v[2:3], v[18:19], -v[20:21]
	ds_load_b128 v[2:5], v1 offset:1792
	scratch_load_b128 v[18:21], off, off offset:912
	v_fma_f64 v[44:45], v[44:45], v[22:23], v[191:192]
	v_fma_f64 v[42:43], v[42:43], v[22:23], -v[24:25]
	scratch_load_b128 v[22:25], off, off offset:928
	v_add_f64_e32 v[187:188], v[187:188], v[183:184]
	v_add_f64_e32 v[189:190], v[189:190], v[185:186]
	ds_load_b128 v[183:186], v1 offset:1808
	s_wait_loadcnt_dscnt 0xa01
	v_mul_f64_e32 v[197:198], v[2:3], v[28:29]
	v_mul_f64_e32 v[28:29], v[4:5], v[28:29]
	s_wait_loadcnt_dscnt 0x900
	v_mul_f64_e32 v[191:192], v[183:184], v[32:33]
	v_mul_f64_e32 v[32:33], v[185:186], v[32:33]
	v_add_f64_e32 v[187:188], v[187:188], v[195:196]
	v_add_f64_e32 v[189:190], v[189:190], v[193:194]
	v_fma_f64 v[193:194], v[4:5], v[26:27], v[197:198]
	v_fma_f64 v[195:196], v[2:3], v[26:27], -v[28:29]
	ds_load_b128 v[2:5], v1 offset:1824
	scratch_load_b128 v[26:29], off, off offset:944
	v_fma_f64 v[185:186], v[185:186], v[30:31], v[191:192]
	v_fma_f64 v[183:184], v[183:184], v[30:31], -v[32:33]
	scratch_load_b128 v[30:33], off, off offset:960
	v_add_f64_e32 v[187:188], v[187:188], v[42:43]
	v_add_f64_e32 v[189:190], v[189:190], v[44:45]
	ds_load_b128 v[42:45], v1 offset:1840
	s_wait_loadcnt_dscnt 0xa01
	v_mul_f64_e32 v[197:198], v[2:3], v[36:37]
	v_mul_f64_e32 v[36:37], v[4:5], v[36:37]
	s_wait_loadcnt_dscnt 0x800
	v_mul_f64_e32 v[191:192], v[42:43], v[181:182]
	v_add_f64_e32 v[187:188], v[187:188], v[195:196]
	v_add_f64_e32 v[189:190], v[189:190], v[193:194]
	v_mul_f64_e32 v[193:194], v[44:45], v[181:182]
	v_fma_f64 v[195:196], v[4:5], v[34:35], v[197:198]
	v_fma_f64 v[197:198], v[2:3], v[34:35], -v[36:37]
	ds_load_b128 v[2:5], v1 offset:1856
	scratch_load_b128 v[34:37], off, off offset:976
	v_fma_f64 v[44:45], v[44:45], v[179:180], v[191:192]
	v_add_f64_e32 v[187:188], v[187:188], v[183:184]
	v_add_f64_e32 v[185:186], v[189:190], v[185:186]
	ds_load_b128 v[181:184], v1 offset:1872
	v_fma_f64 v[179:180], v[42:43], v[179:180], -v[193:194]
	s_wait_loadcnt_dscnt 0x801
	v_mul_f64_e32 v[189:190], v[2:3], v[40:41]
	v_mul_f64_e32 v[199:200], v[4:5], v[40:41]
	scratch_load_b128 v[40:43], off, off offset:992
	s_wait_loadcnt_dscnt 0x800
	v_mul_f64_e32 v[193:194], v[181:182], v[8:9]
	v_mul_f64_e32 v[8:9], v[183:184], v[8:9]
	v_add_f64_e32 v[187:188], v[187:188], v[197:198]
	v_add_f64_e32 v[185:186], v[185:186], v[195:196]
	v_fma_f64 v[195:196], v[4:5], v[38:39], v[189:190]
	v_fma_f64 v[38:39], v[2:3], v[38:39], -v[199:200]
	ds_load_b128 v[2:5], v1 offset:1888
	ds_load_b128 v[189:192], v1 offset:1904
	v_fma_f64 v[183:184], v[183:184], v[6:7], v[193:194]
	v_fma_f64 v[181:182], v[181:182], v[6:7], -v[8:9]
	scratch_load_b128 v[6:9], off, off offset:1024
	v_add_f64_e32 v[179:180], v[187:188], v[179:180]
	v_add_f64_e32 v[44:45], v[185:186], v[44:45]
	scratch_load_b128 v[185:188], off, off offset:1008
	s_wait_loadcnt_dscnt 0x901
	v_mul_f64_e32 v[197:198], v[2:3], v[12:13]
	v_mul_f64_e32 v[12:13], v[4:5], v[12:13]
	v_add_f64_e32 v[38:39], v[179:180], v[38:39]
	v_add_f64_e32 v[44:45], v[44:45], v[195:196]
	s_wait_loadcnt_dscnt 0x800
	v_mul_f64_e32 v[179:180], v[189:190], v[16:17]
	v_mul_f64_e32 v[16:17], v[191:192], v[16:17]
	v_fma_f64 v[193:194], v[4:5], v[10:11], v[197:198]
	v_fma_f64 v[195:196], v[2:3], v[10:11], -v[12:13]
	ds_load_b128 v[2:5], v1 offset:1920
	ds_load_b128 v[10:13], v1 offset:1936
	v_add_f64_e32 v[38:39], v[38:39], v[181:182]
	v_add_f64_e32 v[44:45], v[44:45], v[183:184]
	s_wait_loadcnt_dscnt 0x701
	v_mul_f64_e32 v[181:182], v[2:3], v[20:21]
	v_mul_f64_e32 v[20:21], v[4:5], v[20:21]
	v_fma_f64 v[179:180], v[191:192], v[14:15], v[179:180]
	v_fma_f64 v[14:15], v[189:190], v[14:15], -v[16:17]
	v_add_f64_e32 v[16:17], v[38:39], v[195:196]
	v_add_f64_e32 v[38:39], v[44:45], v[193:194]
	s_wait_loadcnt_dscnt 0x600
	v_mul_f64_e32 v[44:45], v[10:11], v[24:25]
	v_mul_f64_e32 v[24:25], v[12:13], v[24:25]
	v_fma_f64 v[181:182], v[4:5], v[18:19], v[181:182]
	v_fma_f64 v[18:19], v[2:3], v[18:19], -v[20:21]
	v_add_f64_e32 v[20:21], v[16:17], v[14:15]
	v_add_f64_e32 v[38:39], v[38:39], v[179:180]
	ds_load_b128 v[2:5], v1 offset:1952
	ds_load_b128 v[14:17], v1 offset:1968
	v_fma_f64 v[12:13], v[12:13], v[22:23], v[44:45]
	v_fma_f64 v[10:11], v[10:11], v[22:23], -v[24:25]
	s_wait_loadcnt_dscnt 0x501
	v_mul_f64_e32 v[179:180], v[2:3], v[28:29]
	v_mul_f64_e32 v[28:29], v[4:5], v[28:29]
	s_wait_loadcnt_dscnt 0x400
	v_mul_f64_e32 v[22:23], v[14:15], v[32:33]
	v_mul_f64_e32 v[24:25], v[16:17], v[32:33]
	v_add_f64_e32 v[18:19], v[20:21], v[18:19]
	v_add_f64_e32 v[20:21], v[38:39], v[181:182]
	v_fma_f64 v[32:33], v[4:5], v[26:27], v[179:180]
	v_fma_f64 v[26:27], v[2:3], v[26:27], -v[28:29]
	v_fma_f64 v[16:17], v[16:17], v[30:31], v[22:23]
	v_fma_f64 v[14:15], v[14:15], v[30:31], -v[24:25]
	v_add_f64_e32 v[18:19], v[18:19], v[10:11]
	v_add_f64_e32 v[20:21], v[20:21], v[12:13]
	ds_load_b128 v[2:5], v1 offset:1984
	ds_load_b128 v[10:13], v1 offset:2000
	s_wait_loadcnt_dscnt 0x301
	v_mul_f64_e32 v[28:29], v[2:3], v[36:37]
	v_mul_f64_e32 v[36:37], v[4:5], v[36:37]
	s_wait_loadcnt_dscnt 0x200
	v_mul_f64_e32 v[22:23], v[10:11], v[42:43]
	v_add_f64_e32 v[18:19], v[18:19], v[26:27]
	v_add_f64_e32 v[20:21], v[20:21], v[32:33]
	v_mul_f64_e32 v[24:25], v[12:13], v[42:43]
	v_fma_f64 v[26:27], v[4:5], v[34:35], v[28:29]
	v_fma_f64 v[28:29], v[2:3], v[34:35], -v[36:37]
	v_fma_f64 v[12:13], v[12:13], v[40:41], v[22:23]
	v_add_f64_e32 v[18:19], v[18:19], v[14:15]
	v_add_f64_e32 v[20:21], v[20:21], v[16:17]
	ds_load_b128 v[2:5], v1 offset:2016
	ds_load_b128 v[14:17], v1 offset:2032
	v_fma_f64 v[10:11], v[10:11], v[40:41], -v[24:25]
	s_wait_loadcnt_dscnt 0x1
	v_mul_f64_e32 v[30:31], v[2:3], v[187:188]
	v_mul_f64_e32 v[32:33], v[4:5], v[187:188]
	s_wait_dscnt 0x0
	v_mul_f64_e32 v[22:23], v[14:15], v[8:9]
	v_mul_f64_e32 v[8:9], v[16:17], v[8:9]
	v_add_f64_e32 v[18:19], v[18:19], v[28:29]
	v_add_f64_e32 v[20:21], v[20:21], v[26:27]
	v_fma_f64 v[4:5], v[4:5], v[185:186], v[30:31]
	v_fma_f64 v[1:2], v[2:3], v[185:186], -v[32:33]
	v_fma_f64 v[16:17], v[16:17], v[6:7], v[22:23]
	v_fma_f64 v[6:7], v[14:15], v[6:7], -v[8:9]
	v_add_f64_e32 v[10:11], v[18:19], v[10:11]
	v_add_f64_e32 v[12:13], v[20:21], v[12:13]
	s_delay_alu instid0(VALU_DEP_2) | instskip(NEXT) | instid1(VALU_DEP_2)
	v_add_f64_e32 v[1:2], v[10:11], v[1:2]
	v_add_f64_e32 v[3:4], v[12:13], v[4:5]
	s_delay_alu instid0(VALU_DEP_2) | instskip(NEXT) | instid1(VALU_DEP_2)
	;; [unrolled: 3-line block ×3, first 2 shown]
	v_add_f64_e64 v[1:2], v[175:176], -v[1:2]
	v_add_f64_e64 v[3:4], v[177:178], -v[3:4]
	scratch_store_b128 off, v[1:4], off offset:672
	v_cmpx_lt_u32_e32 40, v0
	s_cbranch_execz .LBB127_329
; %bb.328:
	scratch_load_b128 v[1:4], off, s39
	v_mov_b32_e32 v5, 0
	s_delay_alu instid0(VALU_DEP_1)
	v_dual_mov_b32 v6, v5 :: v_dual_mov_b32 v7, v5
	v_mov_b32_e32 v8, v5
	scratch_store_b128 off, v[5:8], off offset:656
	s_wait_loadcnt 0x0
	ds_store_b128 v174, v[1:4]
.LBB127_329:
	s_wait_alu 0xfffe
	s_or_b32 exec_lo, exec_lo, s0
	s_wait_storecnt_dscnt 0x0
	s_barrier_signal -1
	s_barrier_wait -1
	global_inv scope:SCOPE_SE
	s_clause 0x7
	scratch_load_b128 v[2:5], off, off offset:672
	scratch_load_b128 v[6:9], off, off offset:688
	;; [unrolled: 1-line block ×8, first 2 shown]
	v_mov_b32_e32 v1, 0
	s_mov_b32 s0, exec_lo
	ds_load_b128 v[34:37], v1 offset:1680
	s_clause 0x1
	scratch_load_b128 v[38:41], off, off offset:800
	scratch_load_b128 v[42:45], off, off offset:656
	ds_load_b128 v[175:178], v1 offset:1696
	scratch_load_b128 v[179:182], off, off offset:816
	s_wait_loadcnt_dscnt 0xa01
	v_mul_f64_e32 v[183:184], v[36:37], v[4:5]
	v_mul_f64_e32 v[4:5], v[34:35], v[4:5]
	s_delay_alu instid0(VALU_DEP_2) | instskip(NEXT) | instid1(VALU_DEP_2)
	v_fma_f64 v[189:190], v[34:35], v[2:3], -v[183:184]
	v_fma_f64 v[191:192], v[36:37], v[2:3], v[4:5]
	ds_load_b128 v[2:5], v1 offset:1712
	s_wait_loadcnt_dscnt 0x901
	v_mul_f64_e32 v[187:188], v[175:176], v[8:9]
	v_mul_f64_e32 v[8:9], v[177:178], v[8:9]
	scratch_load_b128 v[34:37], off, off offset:832
	ds_load_b128 v[183:186], v1 offset:1728
	s_wait_loadcnt_dscnt 0x901
	v_mul_f64_e32 v[193:194], v[2:3], v[12:13]
	v_mul_f64_e32 v[12:13], v[4:5], v[12:13]
	v_fma_f64 v[177:178], v[177:178], v[6:7], v[187:188]
	v_fma_f64 v[175:176], v[175:176], v[6:7], -v[8:9]
	v_add_f64_e32 v[187:188], 0, v[189:190]
	v_add_f64_e32 v[189:190], 0, v[191:192]
	scratch_load_b128 v[6:9], off, off offset:848
	v_fma_f64 v[193:194], v[4:5], v[10:11], v[193:194]
	v_fma_f64 v[195:196], v[2:3], v[10:11], -v[12:13]
	ds_load_b128 v[2:5], v1 offset:1744
	s_wait_loadcnt_dscnt 0x901
	v_mul_f64_e32 v[191:192], v[183:184], v[16:17]
	v_mul_f64_e32 v[16:17], v[185:186], v[16:17]
	scratch_load_b128 v[10:13], off, off offset:864
	v_add_f64_e32 v[187:188], v[187:188], v[175:176]
	v_add_f64_e32 v[189:190], v[189:190], v[177:178]
	s_wait_loadcnt_dscnt 0x900
	v_mul_f64_e32 v[197:198], v[2:3], v[20:21]
	v_mul_f64_e32 v[20:21], v[4:5], v[20:21]
	ds_load_b128 v[175:178], v1 offset:1760
	v_fma_f64 v[185:186], v[185:186], v[14:15], v[191:192]
	v_fma_f64 v[183:184], v[183:184], v[14:15], -v[16:17]
	scratch_load_b128 v[14:17], off, off offset:880
	v_add_f64_e32 v[187:188], v[187:188], v[195:196]
	v_add_f64_e32 v[189:190], v[189:190], v[193:194]
	v_fma_f64 v[193:194], v[4:5], v[18:19], v[197:198]
	v_fma_f64 v[195:196], v[2:3], v[18:19], -v[20:21]
	ds_load_b128 v[2:5], v1 offset:1776
	s_wait_loadcnt_dscnt 0x901
	v_mul_f64_e32 v[191:192], v[175:176], v[24:25]
	v_mul_f64_e32 v[24:25], v[177:178], v[24:25]
	scratch_load_b128 v[18:21], off, off offset:896
	s_wait_loadcnt_dscnt 0x900
	v_mul_f64_e32 v[197:198], v[2:3], v[28:29]
	v_mul_f64_e32 v[28:29], v[4:5], v[28:29]
	v_add_f64_e32 v[187:188], v[187:188], v[183:184]
	v_add_f64_e32 v[189:190], v[189:190], v[185:186]
	ds_load_b128 v[183:186], v1 offset:1792
	v_fma_f64 v[177:178], v[177:178], v[22:23], v[191:192]
	v_fma_f64 v[175:176], v[175:176], v[22:23], -v[24:25]
	scratch_load_b128 v[22:25], off, off offset:912
	v_add_f64_e32 v[187:188], v[187:188], v[195:196]
	v_add_f64_e32 v[189:190], v[189:190], v[193:194]
	v_fma_f64 v[193:194], v[4:5], v[26:27], v[197:198]
	v_fma_f64 v[195:196], v[2:3], v[26:27], -v[28:29]
	ds_load_b128 v[2:5], v1 offset:1808
	s_wait_loadcnt_dscnt 0x901
	v_mul_f64_e32 v[191:192], v[183:184], v[32:33]
	v_mul_f64_e32 v[32:33], v[185:186], v[32:33]
	scratch_load_b128 v[26:29], off, off offset:928
	s_wait_loadcnt_dscnt 0x900
	v_mul_f64_e32 v[197:198], v[2:3], v[40:41]
	v_mul_f64_e32 v[40:41], v[4:5], v[40:41]
	v_add_f64_e32 v[187:188], v[187:188], v[175:176]
	v_add_f64_e32 v[189:190], v[189:190], v[177:178]
	ds_load_b128 v[175:178], v1 offset:1824
	v_fma_f64 v[185:186], v[185:186], v[30:31], v[191:192]
	v_fma_f64 v[183:184], v[183:184], v[30:31], -v[32:33]
	scratch_load_b128 v[30:33], off, off offset:944
	v_add_f64_e32 v[187:188], v[187:188], v[195:196]
	v_add_f64_e32 v[189:190], v[189:190], v[193:194]
	v_fma_f64 v[195:196], v[4:5], v[38:39], v[197:198]
	v_fma_f64 v[197:198], v[2:3], v[38:39], -v[40:41]
	ds_load_b128 v[2:5], v1 offset:1840
	s_wait_loadcnt_dscnt 0x801
	v_mul_f64_e32 v[191:192], v[175:176], v[181:182]
	v_mul_f64_e32 v[193:194], v[177:178], v[181:182]
	scratch_load_b128 v[38:41], off, off offset:960
	v_add_f64_e32 v[187:188], v[187:188], v[183:184]
	v_add_f64_e32 v[185:186], v[189:190], v[185:186]
	ds_load_b128 v[181:184], v1 offset:1856
	v_fma_f64 v[191:192], v[177:178], v[179:180], v[191:192]
	v_fma_f64 v[179:180], v[175:176], v[179:180], -v[193:194]
	scratch_load_b128 v[175:178], off, off offset:976
	s_wait_loadcnt_dscnt 0x901
	v_mul_f64_e32 v[189:190], v[2:3], v[36:37]
	v_mul_f64_e32 v[36:37], v[4:5], v[36:37]
	v_add_f64_e32 v[187:188], v[187:188], v[197:198]
	v_add_f64_e32 v[185:186], v[185:186], v[195:196]
	s_delay_alu instid0(VALU_DEP_4) | instskip(NEXT) | instid1(VALU_DEP_4)
	v_fma_f64 v[189:190], v[4:5], v[34:35], v[189:190]
	v_fma_f64 v[195:196], v[2:3], v[34:35], -v[36:37]
	ds_load_b128 v[2:5], v1 offset:1872
	s_wait_loadcnt_dscnt 0x801
	v_mul_f64_e32 v[193:194], v[181:182], v[8:9]
	v_mul_f64_e32 v[8:9], v[183:184], v[8:9]
	scratch_load_b128 v[34:37], off, off offset:992
	s_wait_loadcnt_dscnt 0x800
	v_mul_f64_e32 v[197:198], v[2:3], v[12:13]
	v_add_f64_e32 v[179:180], v[187:188], v[179:180]
	v_add_f64_e32 v[191:192], v[185:186], v[191:192]
	v_mul_f64_e32 v[12:13], v[4:5], v[12:13]
	ds_load_b128 v[185:188], v1 offset:1888
	v_fma_f64 v[183:184], v[183:184], v[6:7], v[193:194]
	v_fma_f64 v[181:182], v[181:182], v[6:7], -v[8:9]
	scratch_load_b128 v[6:9], off, off offset:1008
	v_fma_f64 v[193:194], v[4:5], v[10:11], v[197:198]
	v_add_f64_e32 v[179:180], v[179:180], v[195:196]
	v_add_f64_e32 v[189:190], v[191:192], v[189:190]
	v_fma_f64 v[195:196], v[2:3], v[10:11], -v[12:13]
	ds_load_b128 v[2:5], v1 offset:1904
	s_wait_loadcnt_dscnt 0x801
	v_mul_f64_e32 v[191:192], v[185:186], v[16:17]
	v_mul_f64_e32 v[16:17], v[187:188], v[16:17]
	scratch_load_b128 v[10:13], off, off offset:1024
	v_add_f64_e32 v[197:198], v[179:180], v[181:182]
	v_add_f64_e32 v[183:184], v[189:190], v[183:184]
	s_wait_loadcnt_dscnt 0x800
	v_mul_f64_e32 v[189:190], v[2:3], v[20:21]
	v_mul_f64_e32 v[20:21], v[4:5], v[20:21]
	v_fma_f64 v[187:188], v[187:188], v[14:15], v[191:192]
	v_fma_f64 v[14:15], v[185:186], v[14:15], -v[16:17]
	ds_load_b128 v[179:182], v1 offset:1920
	s_wait_loadcnt_dscnt 0x700
	v_mul_f64_e32 v[185:186], v[179:180], v[24:25]
	v_mul_f64_e32 v[24:25], v[181:182], v[24:25]
	v_add_f64_e32 v[16:17], v[197:198], v[195:196]
	v_add_f64_e32 v[183:184], v[183:184], v[193:194]
	v_fma_f64 v[189:190], v[4:5], v[18:19], v[189:190]
	v_fma_f64 v[18:19], v[2:3], v[18:19], -v[20:21]
	v_fma_f64 v[181:182], v[181:182], v[22:23], v[185:186]
	v_fma_f64 v[22:23], v[179:180], v[22:23], -v[24:25]
	v_add_f64_e32 v[20:21], v[16:17], v[14:15]
	v_add_f64_e32 v[183:184], v[183:184], v[187:188]
	ds_load_b128 v[2:5], v1 offset:1936
	ds_load_b128 v[14:17], v1 offset:1952
	s_wait_loadcnt_dscnt 0x601
	v_mul_f64_e32 v[187:188], v[2:3], v[28:29]
	v_mul_f64_e32 v[28:29], v[4:5], v[28:29]
	s_wait_loadcnt_dscnt 0x500
	v_mul_f64_e32 v[24:25], v[14:15], v[32:33]
	v_mul_f64_e32 v[32:33], v[16:17], v[32:33]
	v_add_f64_e32 v[18:19], v[20:21], v[18:19]
	v_add_f64_e32 v[20:21], v[183:184], v[189:190]
	v_fma_f64 v[179:180], v[4:5], v[26:27], v[187:188]
	v_fma_f64 v[26:27], v[2:3], v[26:27], -v[28:29]
	v_fma_f64 v[16:17], v[16:17], v[30:31], v[24:25]
	v_fma_f64 v[14:15], v[14:15], v[30:31], -v[32:33]
	v_add_f64_e32 v[22:23], v[18:19], v[22:23]
	v_add_f64_e32 v[28:29], v[20:21], v[181:182]
	ds_load_b128 v[2:5], v1 offset:1968
	ds_load_b128 v[18:21], v1 offset:1984
	s_wait_loadcnt_dscnt 0x401
	v_mul_f64_e32 v[181:182], v[2:3], v[40:41]
	v_mul_f64_e32 v[40:41], v[4:5], v[40:41]
	v_add_f64_e32 v[22:23], v[22:23], v[26:27]
	v_add_f64_e32 v[24:25], v[28:29], v[179:180]
	s_wait_loadcnt_dscnt 0x300
	v_mul_f64_e32 v[26:27], v[18:19], v[177:178]
	v_mul_f64_e32 v[28:29], v[20:21], v[177:178]
	v_fma_f64 v[30:31], v[4:5], v[38:39], v[181:182]
	v_fma_f64 v[32:33], v[2:3], v[38:39], -v[40:41]
	v_add_f64_e32 v[22:23], v[22:23], v[14:15]
	v_add_f64_e32 v[24:25], v[24:25], v[16:17]
	ds_load_b128 v[2:5], v1 offset:2000
	ds_load_b128 v[14:17], v1 offset:2016
	v_fma_f64 v[20:21], v[20:21], v[175:176], v[26:27]
	v_fma_f64 v[18:19], v[18:19], v[175:176], -v[28:29]
	s_wait_loadcnt_dscnt 0x201
	v_mul_f64_e32 v[38:39], v[2:3], v[36:37]
	v_mul_f64_e32 v[36:37], v[4:5], v[36:37]
	s_wait_loadcnt_dscnt 0x100
	v_mul_f64_e32 v[26:27], v[14:15], v[8:9]
	v_mul_f64_e32 v[8:9], v[16:17], v[8:9]
	v_add_f64_e32 v[22:23], v[22:23], v[32:33]
	v_add_f64_e32 v[24:25], v[24:25], v[30:31]
	v_fma_f64 v[28:29], v[4:5], v[34:35], v[38:39]
	v_fma_f64 v[30:31], v[2:3], v[34:35], -v[36:37]
	ds_load_b128 v[2:5], v1 offset:2032
	v_fma_f64 v[16:17], v[16:17], v[6:7], v[26:27]
	v_fma_f64 v[6:7], v[14:15], v[6:7], -v[8:9]
	v_add_f64_e32 v[18:19], v[22:23], v[18:19]
	v_add_f64_e32 v[20:21], v[24:25], v[20:21]
	s_wait_loadcnt_dscnt 0x0
	v_mul_f64_e32 v[22:23], v[2:3], v[12:13]
	v_mul_f64_e32 v[12:13], v[4:5], v[12:13]
	s_delay_alu instid0(VALU_DEP_4) | instskip(NEXT) | instid1(VALU_DEP_4)
	v_add_f64_e32 v[8:9], v[18:19], v[30:31]
	v_add_f64_e32 v[14:15], v[20:21], v[28:29]
	s_delay_alu instid0(VALU_DEP_4) | instskip(NEXT) | instid1(VALU_DEP_4)
	v_fma_f64 v[4:5], v[4:5], v[10:11], v[22:23]
	v_fma_f64 v[2:3], v[2:3], v[10:11], -v[12:13]
	s_delay_alu instid0(VALU_DEP_4) | instskip(NEXT) | instid1(VALU_DEP_4)
	v_add_f64_e32 v[6:7], v[8:9], v[6:7]
	v_add_f64_e32 v[8:9], v[14:15], v[16:17]
	s_delay_alu instid0(VALU_DEP_2) | instskip(NEXT) | instid1(VALU_DEP_2)
	v_add_f64_e32 v[2:3], v[6:7], v[2:3]
	v_add_f64_e32 v[4:5], v[8:9], v[4:5]
	s_delay_alu instid0(VALU_DEP_2) | instskip(NEXT) | instid1(VALU_DEP_2)
	v_add_f64_e64 v[2:3], v[42:43], -v[2:3]
	v_add_f64_e64 v[4:5], v[44:45], -v[4:5]
	scratch_store_b128 off, v[2:5], off offset:656
	v_cmpx_lt_u32_e32 39, v0
	s_cbranch_execz .LBB127_331
; %bb.330:
	scratch_load_b128 v[5:8], off, s40
	v_dual_mov_b32 v2, v1 :: v_dual_mov_b32 v3, v1
	v_mov_b32_e32 v4, v1
	scratch_store_b128 off, v[1:4], off offset:640
	s_wait_loadcnt 0x0
	ds_store_b128 v174, v[5:8]
.LBB127_331:
	s_wait_alu 0xfffe
	s_or_b32 exec_lo, exec_lo, s0
	s_wait_storecnt_dscnt 0x0
	s_barrier_signal -1
	s_barrier_wait -1
	global_inv scope:SCOPE_SE
	s_clause 0x8
	scratch_load_b128 v[2:5], off, off offset:656
	scratch_load_b128 v[6:9], off, off offset:672
	;; [unrolled: 1-line block ×9, first 2 shown]
	ds_load_b128 v[38:41], v1 offset:1664
	ds_load_b128 v[42:45], v1 offset:1680
	s_clause 0x1
	scratch_load_b128 v[175:178], off, off offset:640
	scratch_load_b128 v[179:182], off, off offset:800
	s_mov_b32 s0, exec_lo
	s_wait_loadcnt_dscnt 0xa01
	v_mul_f64_e32 v[183:184], v[40:41], v[4:5]
	v_mul_f64_e32 v[4:5], v[38:39], v[4:5]
	s_wait_loadcnt_dscnt 0x900
	v_mul_f64_e32 v[187:188], v[42:43], v[8:9]
	v_mul_f64_e32 v[8:9], v[44:45], v[8:9]
	s_delay_alu instid0(VALU_DEP_4) | instskip(NEXT) | instid1(VALU_DEP_4)
	v_fma_f64 v[189:190], v[38:39], v[2:3], -v[183:184]
	v_fma_f64 v[191:192], v[40:41], v[2:3], v[4:5]
	ds_load_b128 v[2:5], v1 offset:1696
	ds_load_b128 v[183:186], v1 offset:1712
	scratch_load_b128 v[38:41], off, off offset:816
	v_fma_f64 v[44:45], v[44:45], v[6:7], v[187:188]
	v_fma_f64 v[42:43], v[42:43], v[6:7], -v[8:9]
	scratch_load_b128 v[6:9], off, off offset:832
	s_wait_loadcnt_dscnt 0xa01
	v_mul_f64_e32 v[193:194], v[2:3], v[12:13]
	v_mul_f64_e32 v[12:13], v[4:5], v[12:13]
	v_add_f64_e32 v[187:188], 0, v[189:190]
	v_add_f64_e32 v[189:190], 0, v[191:192]
	s_wait_loadcnt_dscnt 0x900
	v_mul_f64_e32 v[191:192], v[183:184], v[16:17]
	v_mul_f64_e32 v[16:17], v[185:186], v[16:17]
	v_fma_f64 v[193:194], v[4:5], v[10:11], v[193:194]
	v_fma_f64 v[195:196], v[2:3], v[10:11], -v[12:13]
	ds_load_b128 v[2:5], v1 offset:1728
	scratch_load_b128 v[10:13], off, off offset:848
	v_add_f64_e32 v[187:188], v[187:188], v[42:43]
	v_add_f64_e32 v[189:190], v[189:190], v[44:45]
	ds_load_b128 v[42:45], v1 offset:1744
	v_fma_f64 v[185:186], v[185:186], v[14:15], v[191:192]
	v_fma_f64 v[183:184], v[183:184], v[14:15], -v[16:17]
	scratch_load_b128 v[14:17], off, off offset:864
	s_wait_loadcnt_dscnt 0xa01
	v_mul_f64_e32 v[197:198], v[2:3], v[20:21]
	v_mul_f64_e32 v[20:21], v[4:5], v[20:21]
	s_wait_loadcnt_dscnt 0x900
	v_mul_f64_e32 v[191:192], v[42:43], v[24:25]
	v_mul_f64_e32 v[24:25], v[44:45], v[24:25]
	v_add_f64_e32 v[187:188], v[187:188], v[195:196]
	v_add_f64_e32 v[189:190], v[189:190], v[193:194]
	v_fma_f64 v[193:194], v[4:5], v[18:19], v[197:198]
	v_fma_f64 v[195:196], v[2:3], v[18:19], -v[20:21]
	ds_load_b128 v[2:5], v1 offset:1760
	scratch_load_b128 v[18:21], off, off offset:880
	v_fma_f64 v[44:45], v[44:45], v[22:23], v[191:192]
	v_fma_f64 v[42:43], v[42:43], v[22:23], -v[24:25]
	scratch_load_b128 v[22:25], off, off offset:896
	v_add_f64_e32 v[187:188], v[187:188], v[183:184]
	v_add_f64_e32 v[189:190], v[189:190], v[185:186]
	ds_load_b128 v[183:186], v1 offset:1776
	s_wait_loadcnt_dscnt 0xa01
	v_mul_f64_e32 v[197:198], v[2:3], v[28:29]
	v_mul_f64_e32 v[28:29], v[4:5], v[28:29]
	s_wait_loadcnt_dscnt 0x900
	v_mul_f64_e32 v[191:192], v[183:184], v[32:33]
	v_mul_f64_e32 v[32:33], v[185:186], v[32:33]
	v_add_f64_e32 v[187:188], v[187:188], v[195:196]
	v_add_f64_e32 v[189:190], v[189:190], v[193:194]
	v_fma_f64 v[193:194], v[4:5], v[26:27], v[197:198]
	v_fma_f64 v[195:196], v[2:3], v[26:27], -v[28:29]
	ds_load_b128 v[2:5], v1 offset:1792
	scratch_load_b128 v[26:29], off, off offset:912
	v_fma_f64 v[185:186], v[185:186], v[30:31], v[191:192]
	v_fma_f64 v[183:184], v[183:184], v[30:31], -v[32:33]
	scratch_load_b128 v[30:33], off, off offset:928
	v_add_f64_e32 v[187:188], v[187:188], v[42:43]
	v_add_f64_e32 v[189:190], v[189:190], v[44:45]
	ds_load_b128 v[42:45], v1 offset:1808
	s_wait_loadcnt_dscnt 0xa01
	v_mul_f64_e32 v[197:198], v[2:3], v[36:37]
	v_mul_f64_e32 v[36:37], v[4:5], v[36:37]
	s_wait_loadcnt_dscnt 0x800
	v_mul_f64_e32 v[191:192], v[42:43], v[181:182]
	v_add_f64_e32 v[187:188], v[187:188], v[195:196]
	v_add_f64_e32 v[189:190], v[189:190], v[193:194]
	v_mul_f64_e32 v[193:194], v[44:45], v[181:182]
	v_fma_f64 v[195:196], v[4:5], v[34:35], v[197:198]
	v_fma_f64 v[197:198], v[2:3], v[34:35], -v[36:37]
	ds_load_b128 v[2:5], v1 offset:1824
	scratch_load_b128 v[34:37], off, off offset:944
	v_fma_f64 v[44:45], v[44:45], v[179:180], v[191:192]
	v_add_f64_e32 v[187:188], v[187:188], v[183:184]
	v_add_f64_e32 v[185:186], v[189:190], v[185:186]
	ds_load_b128 v[181:184], v1 offset:1840
	v_fma_f64 v[179:180], v[42:43], v[179:180], -v[193:194]
	s_wait_loadcnt_dscnt 0x801
	v_mul_f64_e32 v[189:190], v[2:3], v[40:41]
	v_mul_f64_e32 v[199:200], v[4:5], v[40:41]
	scratch_load_b128 v[40:43], off, off offset:960
	s_wait_loadcnt_dscnt 0x800
	v_mul_f64_e32 v[193:194], v[181:182], v[8:9]
	v_mul_f64_e32 v[8:9], v[183:184], v[8:9]
	v_add_f64_e32 v[187:188], v[187:188], v[197:198]
	v_add_f64_e32 v[185:186], v[185:186], v[195:196]
	v_fma_f64 v[195:196], v[4:5], v[38:39], v[189:190]
	v_fma_f64 v[38:39], v[2:3], v[38:39], -v[199:200]
	ds_load_b128 v[2:5], v1 offset:1856
	ds_load_b128 v[189:192], v1 offset:1872
	v_fma_f64 v[183:184], v[183:184], v[6:7], v[193:194]
	v_fma_f64 v[181:182], v[181:182], v[6:7], -v[8:9]
	scratch_load_b128 v[6:9], off, off offset:992
	v_add_f64_e32 v[179:180], v[187:188], v[179:180]
	v_add_f64_e32 v[44:45], v[185:186], v[44:45]
	scratch_load_b128 v[185:188], off, off offset:976
	s_wait_loadcnt_dscnt 0x901
	v_mul_f64_e32 v[197:198], v[2:3], v[12:13]
	v_mul_f64_e32 v[12:13], v[4:5], v[12:13]
	s_wait_loadcnt_dscnt 0x800
	v_mul_f64_e32 v[193:194], v[189:190], v[16:17]
	v_mul_f64_e32 v[16:17], v[191:192], v[16:17]
	v_add_f64_e32 v[38:39], v[179:180], v[38:39]
	v_add_f64_e32 v[44:45], v[44:45], v[195:196]
	v_fma_f64 v[195:196], v[4:5], v[10:11], v[197:198]
	v_fma_f64 v[197:198], v[2:3], v[10:11], -v[12:13]
	ds_load_b128 v[2:5], v1 offset:1888
	scratch_load_b128 v[10:13], off, off offset:1008
	v_fma_f64 v[191:192], v[191:192], v[14:15], v[193:194]
	v_fma_f64 v[189:190], v[189:190], v[14:15], -v[16:17]
	scratch_load_b128 v[14:17], off, off offset:1024
	v_add_f64_e32 v[38:39], v[38:39], v[181:182]
	v_add_f64_e32 v[44:45], v[44:45], v[183:184]
	ds_load_b128 v[179:182], v1 offset:1904
	s_wait_loadcnt_dscnt 0x901
	v_mul_f64_e32 v[183:184], v[2:3], v[20:21]
	v_mul_f64_e32 v[20:21], v[4:5], v[20:21]
	s_wait_loadcnt_dscnt 0x800
	v_mul_f64_e32 v[193:194], v[179:180], v[24:25]
	v_mul_f64_e32 v[24:25], v[181:182], v[24:25]
	v_add_f64_e32 v[38:39], v[38:39], v[197:198]
	v_add_f64_e32 v[44:45], v[44:45], v[195:196]
	v_fma_f64 v[183:184], v[4:5], v[18:19], v[183:184]
	v_fma_f64 v[195:196], v[2:3], v[18:19], -v[20:21]
	ds_load_b128 v[2:5], v1 offset:1920
	ds_load_b128 v[18:21], v1 offset:1936
	v_fma_f64 v[181:182], v[181:182], v[22:23], v[193:194]
	v_fma_f64 v[22:23], v[179:180], v[22:23], -v[24:25]
	v_add_f64_e32 v[38:39], v[38:39], v[189:190]
	v_add_f64_e32 v[44:45], v[44:45], v[191:192]
	s_wait_loadcnt_dscnt 0x701
	v_mul_f64_e32 v[189:190], v[2:3], v[28:29]
	v_mul_f64_e32 v[28:29], v[4:5], v[28:29]
	s_delay_alu instid0(VALU_DEP_4) | instskip(NEXT) | instid1(VALU_DEP_4)
	v_add_f64_e32 v[24:25], v[38:39], v[195:196]
	v_add_f64_e32 v[38:39], v[44:45], v[183:184]
	s_wait_loadcnt_dscnt 0x600
	v_mul_f64_e32 v[44:45], v[18:19], v[32:33]
	v_mul_f64_e32 v[32:33], v[20:21], v[32:33]
	v_fma_f64 v[179:180], v[4:5], v[26:27], v[189:190]
	v_fma_f64 v[26:27], v[2:3], v[26:27], -v[28:29]
	v_add_f64_e32 v[28:29], v[24:25], v[22:23]
	v_add_f64_e32 v[38:39], v[38:39], v[181:182]
	ds_load_b128 v[2:5], v1 offset:1952
	ds_load_b128 v[22:25], v1 offset:1968
	v_fma_f64 v[20:21], v[20:21], v[30:31], v[44:45]
	v_fma_f64 v[18:19], v[18:19], v[30:31], -v[32:33]
	s_wait_loadcnt_dscnt 0x501
	v_mul_f64_e32 v[181:182], v[2:3], v[36:37]
	v_mul_f64_e32 v[36:37], v[4:5], v[36:37]
	s_wait_loadcnt_dscnt 0x400
	v_mul_f64_e32 v[30:31], v[22:23], v[42:43]
	v_add_f64_e32 v[26:27], v[28:29], v[26:27]
	v_add_f64_e32 v[28:29], v[38:39], v[179:180]
	v_mul_f64_e32 v[32:33], v[24:25], v[42:43]
	v_fma_f64 v[38:39], v[4:5], v[34:35], v[181:182]
	v_fma_f64 v[34:35], v[2:3], v[34:35], -v[36:37]
	v_fma_f64 v[24:25], v[24:25], v[40:41], v[30:31]
	v_add_f64_e32 v[26:27], v[26:27], v[18:19]
	v_add_f64_e32 v[28:29], v[28:29], v[20:21]
	ds_load_b128 v[2:5], v1 offset:1984
	ds_load_b128 v[18:21], v1 offset:2000
	v_fma_f64 v[22:23], v[22:23], v[40:41], -v[32:33]
	s_wait_loadcnt_dscnt 0x201
	v_mul_f64_e32 v[36:37], v[2:3], v[187:188]
	v_mul_f64_e32 v[42:43], v[4:5], v[187:188]
	s_wait_dscnt 0x0
	v_mul_f64_e32 v[30:31], v[18:19], v[8:9]
	v_mul_f64_e32 v[8:9], v[20:21], v[8:9]
	v_add_f64_e32 v[26:27], v[26:27], v[34:35]
	v_add_f64_e32 v[28:29], v[28:29], v[38:39]
	v_fma_f64 v[32:33], v[4:5], v[185:186], v[36:37]
	v_fma_f64 v[34:35], v[2:3], v[185:186], -v[42:43]
	v_fma_f64 v[20:21], v[20:21], v[6:7], v[30:31]
	v_fma_f64 v[6:7], v[18:19], v[6:7], -v[8:9]
	v_add_f64_e32 v[26:27], v[26:27], v[22:23]
	v_add_f64_e32 v[28:29], v[28:29], v[24:25]
	ds_load_b128 v[2:5], v1 offset:2016
	ds_load_b128 v[22:25], v1 offset:2032
	s_wait_loadcnt_dscnt 0x101
	v_mul_f64_e32 v[36:37], v[2:3], v[12:13]
	v_mul_f64_e32 v[12:13], v[4:5], v[12:13]
	v_add_f64_e32 v[8:9], v[26:27], v[34:35]
	v_add_f64_e32 v[18:19], v[28:29], v[32:33]
	s_wait_loadcnt_dscnt 0x0
	v_mul_f64_e32 v[26:27], v[22:23], v[16:17]
	v_mul_f64_e32 v[16:17], v[24:25], v[16:17]
	v_fma_f64 v[4:5], v[4:5], v[10:11], v[36:37]
	v_fma_f64 v[1:2], v[2:3], v[10:11], -v[12:13]
	v_add_f64_e32 v[6:7], v[8:9], v[6:7]
	v_add_f64_e32 v[8:9], v[18:19], v[20:21]
	v_fma_f64 v[10:11], v[24:25], v[14:15], v[26:27]
	v_fma_f64 v[12:13], v[22:23], v[14:15], -v[16:17]
	s_delay_alu instid0(VALU_DEP_4) | instskip(NEXT) | instid1(VALU_DEP_4)
	v_add_f64_e32 v[1:2], v[6:7], v[1:2]
	v_add_f64_e32 v[3:4], v[8:9], v[4:5]
	s_delay_alu instid0(VALU_DEP_2) | instskip(NEXT) | instid1(VALU_DEP_2)
	v_add_f64_e32 v[1:2], v[1:2], v[12:13]
	v_add_f64_e32 v[3:4], v[3:4], v[10:11]
	s_delay_alu instid0(VALU_DEP_2) | instskip(NEXT) | instid1(VALU_DEP_2)
	v_add_f64_e64 v[1:2], v[175:176], -v[1:2]
	v_add_f64_e64 v[3:4], v[177:178], -v[3:4]
	scratch_store_b128 off, v[1:4], off offset:640
	v_cmpx_lt_u32_e32 38, v0
	s_cbranch_execz .LBB127_333
; %bb.332:
	scratch_load_b128 v[1:4], off, s41
	v_mov_b32_e32 v5, 0
	s_delay_alu instid0(VALU_DEP_1)
	v_dual_mov_b32 v6, v5 :: v_dual_mov_b32 v7, v5
	v_mov_b32_e32 v8, v5
	scratch_store_b128 off, v[5:8], off offset:624
	s_wait_loadcnt 0x0
	ds_store_b128 v174, v[1:4]
.LBB127_333:
	s_wait_alu 0xfffe
	s_or_b32 exec_lo, exec_lo, s0
	s_wait_storecnt_dscnt 0x0
	s_barrier_signal -1
	s_barrier_wait -1
	global_inv scope:SCOPE_SE
	s_clause 0x7
	scratch_load_b128 v[2:5], off, off offset:640
	scratch_load_b128 v[6:9], off, off offset:656
	;; [unrolled: 1-line block ×8, first 2 shown]
	v_mov_b32_e32 v1, 0
	s_mov_b32 s0, exec_lo
	ds_load_b128 v[34:37], v1 offset:1648
	s_clause 0x1
	scratch_load_b128 v[38:41], off, off offset:768
	scratch_load_b128 v[42:45], off, off offset:624
	ds_load_b128 v[175:178], v1 offset:1664
	scratch_load_b128 v[179:182], off, off offset:784
	s_wait_loadcnt_dscnt 0xa01
	v_mul_f64_e32 v[183:184], v[36:37], v[4:5]
	v_mul_f64_e32 v[4:5], v[34:35], v[4:5]
	s_delay_alu instid0(VALU_DEP_2) | instskip(NEXT) | instid1(VALU_DEP_2)
	v_fma_f64 v[189:190], v[34:35], v[2:3], -v[183:184]
	v_fma_f64 v[191:192], v[36:37], v[2:3], v[4:5]
	ds_load_b128 v[2:5], v1 offset:1680
	s_wait_loadcnt_dscnt 0x901
	v_mul_f64_e32 v[187:188], v[175:176], v[8:9]
	v_mul_f64_e32 v[8:9], v[177:178], v[8:9]
	scratch_load_b128 v[34:37], off, off offset:800
	ds_load_b128 v[183:186], v1 offset:1696
	s_wait_loadcnt_dscnt 0x901
	v_mul_f64_e32 v[193:194], v[2:3], v[12:13]
	v_mul_f64_e32 v[12:13], v[4:5], v[12:13]
	v_fma_f64 v[177:178], v[177:178], v[6:7], v[187:188]
	v_fma_f64 v[175:176], v[175:176], v[6:7], -v[8:9]
	v_add_f64_e32 v[187:188], 0, v[189:190]
	v_add_f64_e32 v[189:190], 0, v[191:192]
	scratch_load_b128 v[6:9], off, off offset:816
	v_fma_f64 v[193:194], v[4:5], v[10:11], v[193:194]
	v_fma_f64 v[195:196], v[2:3], v[10:11], -v[12:13]
	ds_load_b128 v[2:5], v1 offset:1712
	s_wait_loadcnt_dscnt 0x901
	v_mul_f64_e32 v[191:192], v[183:184], v[16:17]
	v_mul_f64_e32 v[16:17], v[185:186], v[16:17]
	scratch_load_b128 v[10:13], off, off offset:832
	v_add_f64_e32 v[187:188], v[187:188], v[175:176]
	v_add_f64_e32 v[189:190], v[189:190], v[177:178]
	s_wait_loadcnt_dscnt 0x900
	v_mul_f64_e32 v[197:198], v[2:3], v[20:21]
	v_mul_f64_e32 v[20:21], v[4:5], v[20:21]
	ds_load_b128 v[175:178], v1 offset:1728
	v_fma_f64 v[185:186], v[185:186], v[14:15], v[191:192]
	v_fma_f64 v[183:184], v[183:184], v[14:15], -v[16:17]
	scratch_load_b128 v[14:17], off, off offset:848
	v_add_f64_e32 v[187:188], v[187:188], v[195:196]
	v_add_f64_e32 v[189:190], v[189:190], v[193:194]
	v_fma_f64 v[193:194], v[4:5], v[18:19], v[197:198]
	v_fma_f64 v[195:196], v[2:3], v[18:19], -v[20:21]
	ds_load_b128 v[2:5], v1 offset:1744
	s_wait_loadcnt_dscnt 0x901
	v_mul_f64_e32 v[191:192], v[175:176], v[24:25]
	v_mul_f64_e32 v[24:25], v[177:178], v[24:25]
	scratch_load_b128 v[18:21], off, off offset:864
	s_wait_loadcnt_dscnt 0x900
	v_mul_f64_e32 v[197:198], v[2:3], v[28:29]
	v_mul_f64_e32 v[28:29], v[4:5], v[28:29]
	v_add_f64_e32 v[187:188], v[187:188], v[183:184]
	v_add_f64_e32 v[189:190], v[189:190], v[185:186]
	ds_load_b128 v[183:186], v1 offset:1760
	v_fma_f64 v[177:178], v[177:178], v[22:23], v[191:192]
	v_fma_f64 v[175:176], v[175:176], v[22:23], -v[24:25]
	scratch_load_b128 v[22:25], off, off offset:880
	v_add_f64_e32 v[187:188], v[187:188], v[195:196]
	v_add_f64_e32 v[189:190], v[189:190], v[193:194]
	v_fma_f64 v[193:194], v[4:5], v[26:27], v[197:198]
	v_fma_f64 v[195:196], v[2:3], v[26:27], -v[28:29]
	ds_load_b128 v[2:5], v1 offset:1776
	s_wait_loadcnt_dscnt 0x901
	v_mul_f64_e32 v[191:192], v[183:184], v[32:33]
	v_mul_f64_e32 v[32:33], v[185:186], v[32:33]
	scratch_load_b128 v[26:29], off, off offset:896
	s_wait_loadcnt_dscnt 0x900
	v_mul_f64_e32 v[197:198], v[2:3], v[40:41]
	v_mul_f64_e32 v[40:41], v[4:5], v[40:41]
	v_add_f64_e32 v[187:188], v[187:188], v[175:176]
	v_add_f64_e32 v[189:190], v[189:190], v[177:178]
	ds_load_b128 v[175:178], v1 offset:1792
	v_fma_f64 v[185:186], v[185:186], v[30:31], v[191:192]
	v_fma_f64 v[183:184], v[183:184], v[30:31], -v[32:33]
	scratch_load_b128 v[30:33], off, off offset:912
	v_add_f64_e32 v[187:188], v[187:188], v[195:196]
	v_add_f64_e32 v[189:190], v[189:190], v[193:194]
	v_fma_f64 v[195:196], v[4:5], v[38:39], v[197:198]
	v_fma_f64 v[197:198], v[2:3], v[38:39], -v[40:41]
	ds_load_b128 v[2:5], v1 offset:1808
	s_wait_loadcnt_dscnt 0x801
	v_mul_f64_e32 v[191:192], v[175:176], v[181:182]
	v_mul_f64_e32 v[193:194], v[177:178], v[181:182]
	scratch_load_b128 v[38:41], off, off offset:928
	v_add_f64_e32 v[187:188], v[187:188], v[183:184]
	v_add_f64_e32 v[185:186], v[189:190], v[185:186]
	ds_load_b128 v[181:184], v1 offset:1824
	v_fma_f64 v[191:192], v[177:178], v[179:180], v[191:192]
	v_fma_f64 v[179:180], v[175:176], v[179:180], -v[193:194]
	scratch_load_b128 v[175:178], off, off offset:944
	s_wait_loadcnt_dscnt 0x901
	v_mul_f64_e32 v[189:190], v[2:3], v[36:37]
	v_mul_f64_e32 v[36:37], v[4:5], v[36:37]
	v_add_f64_e32 v[187:188], v[187:188], v[197:198]
	v_add_f64_e32 v[185:186], v[185:186], v[195:196]
	s_delay_alu instid0(VALU_DEP_4) | instskip(NEXT) | instid1(VALU_DEP_4)
	v_fma_f64 v[189:190], v[4:5], v[34:35], v[189:190]
	v_fma_f64 v[195:196], v[2:3], v[34:35], -v[36:37]
	ds_load_b128 v[2:5], v1 offset:1840
	s_wait_loadcnt_dscnt 0x801
	v_mul_f64_e32 v[193:194], v[181:182], v[8:9]
	v_mul_f64_e32 v[8:9], v[183:184], v[8:9]
	scratch_load_b128 v[34:37], off, off offset:960
	s_wait_loadcnt_dscnt 0x800
	v_mul_f64_e32 v[197:198], v[2:3], v[12:13]
	v_add_f64_e32 v[179:180], v[187:188], v[179:180]
	v_add_f64_e32 v[191:192], v[185:186], v[191:192]
	v_mul_f64_e32 v[12:13], v[4:5], v[12:13]
	ds_load_b128 v[185:188], v1 offset:1856
	v_fma_f64 v[183:184], v[183:184], v[6:7], v[193:194]
	v_fma_f64 v[181:182], v[181:182], v[6:7], -v[8:9]
	scratch_load_b128 v[6:9], off, off offset:976
	v_fma_f64 v[193:194], v[4:5], v[10:11], v[197:198]
	v_add_f64_e32 v[179:180], v[179:180], v[195:196]
	v_add_f64_e32 v[189:190], v[191:192], v[189:190]
	v_fma_f64 v[195:196], v[2:3], v[10:11], -v[12:13]
	ds_load_b128 v[2:5], v1 offset:1872
	s_wait_loadcnt_dscnt 0x801
	v_mul_f64_e32 v[191:192], v[185:186], v[16:17]
	v_mul_f64_e32 v[16:17], v[187:188], v[16:17]
	scratch_load_b128 v[10:13], off, off offset:992
	v_add_f64_e32 v[197:198], v[179:180], v[181:182]
	v_add_f64_e32 v[183:184], v[189:190], v[183:184]
	s_wait_loadcnt_dscnt 0x800
	v_mul_f64_e32 v[189:190], v[2:3], v[20:21]
	v_mul_f64_e32 v[20:21], v[4:5], v[20:21]
	v_fma_f64 v[187:188], v[187:188], v[14:15], v[191:192]
	v_fma_f64 v[185:186], v[185:186], v[14:15], -v[16:17]
	ds_load_b128 v[179:182], v1 offset:1888
	scratch_load_b128 v[14:17], off, off offset:1008
	v_add_f64_e32 v[191:192], v[197:198], v[195:196]
	v_add_f64_e32 v[183:184], v[183:184], v[193:194]
	v_fma_f64 v[189:190], v[4:5], v[18:19], v[189:190]
	v_fma_f64 v[195:196], v[2:3], v[18:19], -v[20:21]
	ds_load_b128 v[2:5], v1 offset:1904
	s_wait_loadcnt_dscnt 0x801
	v_mul_f64_e32 v[193:194], v[179:180], v[24:25]
	v_mul_f64_e32 v[24:25], v[181:182], v[24:25]
	scratch_load_b128 v[18:21], off, off offset:1024
	s_wait_loadcnt_dscnt 0x800
	v_mul_f64_e32 v[197:198], v[2:3], v[28:29]
	v_mul_f64_e32 v[28:29], v[4:5], v[28:29]
	v_add_f64_e32 v[191:192], v[191:192], v[185:186]
	v_add_f64_e32 v[187:188], v[183:184], v[187:188]
	ds_load_b128 v[183:186], v1 offset:1920
	v_fma_f64 v[181:182], v[181:182], v[22:23], v[193:194]
	v_fma_f64 v[22:23], v[179:180], v[22:23], -v[24:25]
	v_add_f64_e32 v[24:25], v[191:192], v[195:196]
	v_add_f64_e32 v[179:180], v[187:188], v[189:190]
	s_wait_loadcnt_dscnt 0x700
	v_mul_f64_e32 v[187:188], v[183:184], v[32:33]
	v_mul_f64_e32 v[32:33], v[185:186], v[32:33]
	v_fma_f64 v[189:190], v[4:5], v[26:27], v[197:198]
	v_fma_f64 v[26:27], v[2:3], v[26:27], -v[28:29]
	v_add_f64_e32 v[28:29], v[24:25], v[22:23]
	v_add_f64_e32 v[179:180], v[179:180], v[181:182]
	ds_load_b128 v[2:5], v1 offset:1936
	ds_load_b128 v[22:25], v1 offset:1952
	v_fma_f64 v[185:186], v[185:186], v[30:31], v[187:188]
	v_fma_f64 v[30:31], v[183:184], v[30:31], -v[32:33]
	s_wait_loadcnt_dscnt 0x601
	v_mul_f64_e32 v[181:182], v[2:3], v[40:41]
	v_mul_f64_e32 v[40:41], v[4:5], v[40:41]
	s_wait_loadcnt_dscnt 0x500
	v_mul_f64_e32 v[32:33], v[22:23], v[177:178]
	v_mul_f64_e32 v[177:178], v[24:25], v[177:178]
	v_add_f64_e32 v[26:27], v[28:29], v[26:27]
	v_add_f64_e32 v[28:29], v[179:180], v[189:190]
	v_fma_f64 v[179:180], v[4:5], v[38:39], v[181:182]
	v_fma_f64 v[38:39], v[2:3], v[38:39], -v[40:41]
	v_fma_f64 v[24:25], v[24:25], v[175:176], v[32:33]
	v_fma_f64 v[22:23], v[22:23], v[175:176], -v[177:178]
	v_add_f64_e32 v[30:31], v[26:27], v[30:31]
	v_add_f64_e32 v[40:41], v[28:29], v[185:186]
	ds_load_b128 v[2:5], v1 offset:1968
	ds_load_b128 v[26:29], v1 offset:1984
	s_wait_loadcnt_dscnt 0x401
	v_mul_f64_e32 v[181:182], v[2:3], v[36:37]
	v_mul_f64_e32 v[36:37], v[4:5], v[36:37]
	v_add_f64_e32 v[30:31], v[30:31], v[38:39]
	v_add_f64_e32 v[32:33], v[40:41], v[179:180]
	s_wait_loadcnt_dscnt 0x300
	v_mul_f64_e32 v[38:39], v[26:27], v[8:9]
	v_mul_f64_e32 v[8:9], v[28:29], v[8:9]
	v_fma_f64 v[40:41], v[4:5], v[34:35], v[181:182]
	v_fma_f64 v[34:35], v[2:3], v[34:35], -v[36:37]
	v_add_f64_e32 v[30:31], v[30:31], v[22:23]
	v_add_f64_e32 v[32:33], v[32:33], v[24:25]
	ds_load_b128 v[2:5], v1 offset:2000
	ds_load_b128 v[22:25], v1 offset:2016
	v_fma_f64 v[28:29], v[28:29], v[6:7], v[38:39]
	v_fma_f64 v[6:7], v[26:27], v[6:7], -v[8:9]
	s_wait_loadcnt_dscnt 0x201
	v_mul_f64_e32 v[36:37], v[2:3], v[12:13]
	v_mul_f64_e32 v[12:13], v[4:5], v[12:13]
	v_add_f64_e32 v[8:9], v[30:31], v[34:35]
	v_add_f64_e32 v[26:27], v[32:33], v[40:41]
	s_wait_loadcnt_dscnt 0x100
	v_mul_f64_e32 v[30:31], v[22:23], v[16:17]
	v_mul_f64_e32 v[16:17], v[24:25], v[16:17]
	v_fma_f64 v[32:33], v[4:5], v[10:11], v[36:37]
	v_fma_f64 v[10:11], v[2:3], v[10:11], -v[12:13]
	ds_load_b128 v[2:5], v1 offset:2032
	v_add_f64_e32 v[6:7], v[8:9], v[6:7]
	v_add_f64_e32 v[8:9], v[26:27], v[28:29]
	v_fma_f64 v[24:25], v[24:25], v[14:15], v[30:31]
	v_fma_f64 v[14:15], v[22:23], v[14:15], -v[16:17]
	s_wait_loadcnt_dscnt 0x0
	v_mul_f64_e32 v[12:13], v[2:3], v[20:21]
	v_mul_f64_e32 v[20:21], v[4:5], v[20:21]
	v_add_f64_e32 v[6:7], v[6:7], v[10:11]
	v_add_f64_e32 v[8:9], v[8:9], v[32:33]
	s_delay_alu instid0(VALU_DEP_4) | instskip(NEXT) | instid1(VALU_DEP_4)
	v_fma_f64 v[4:5], v[4:5], v[18:19], v[12:13]
	v_fma_f64 v[2:3], v[2:3], v[18:19], -v[20:21]
	s_delay_alu instid0(VALU_DEP_4) | instskip(NEXT) | instid1(VALU_DEP_4)
	v_add_f64_e32 v[6:7], v[6:7], v[14:15]
	v_add_f64_e32 v[8:9], v[8:9], v[24:25]
	s_delay_alu instid0(VALU_DEP_2) | instskip(NEXT) | instid1(VALU_DEP_2)
	v_add_f64_e32 v[2:3], v[6:7], v[2:3]
	v_add_f64_e32 v[4:5], v[8:9], v[4:5]
	s_delay_alu instid0(VALU_DEP_2) | instskip(NEXT) | instid1(VALU_DEP_2)
	v_add_f64_e64 v[2:3], v[42:43], -v[2:3]
	v_add_f64_e64 v[4:5], v[44:45], -v[4:5]
	scratch_store_b128 off, v[2:5], off offset:624
	v_cmpx_lt_u32_e32 37, v0
	s_cbranch_execz .LBB127_335
; %bb.334:
	scratch_load_b128 v[5:8], off, s42
	v_dual_mov_b32 v2, v1 :: v_dual_mov_b32 v3, v1
	v_mov_b32_e32 v4, v1
	scratch_store_b128 off, v[1:4], off offset:608
	s_wait_loadcnt 0x0
	ds_store_b128 v174, v[5:8]
.LBB127_335:
	s_wait_alu 0xfffe
	s_or_b32 exec_lo, exec_lo, s0
	s_wait_storecnt_dscnt 0x0
	s_barrier_signal -1
	s_barrier_wait -1
	global_inv scope:SCOPE_SE
	s_clause 0x8
	scratch_load_b128 v[2:5], off, off offset:624
	scratch_load_b128 v[6:9], off, off offset:640
	;; [unrolled: 1-line block ×9, first 2 shown]
	ds_load_b128 v[38:41], v1 offset:1632
	ds_load_b128 v[42:45], v1 offset:1648
	s_clause 0x1
	scratch_load_b128 v[175:178], off, off offset:608
	scratch_load_b128 v[179:182], off, off offset:768
	s_mov_b32 s0, exec_lo
	s_wait_loadcnt_dscnt 0xa01
	v_mul_f64_e32 v[183:184], v[40:41], v[4:5]
	v_mul_f64_e32 v[4:5], v[38:39], v[4:5]
	s_wait_loadcnt_dscnt 0x900
	v_mul_f64_e32 v[187:188], v[42:43], v[8:9]
	v_mul_f64_e32 v[8:9], v[44:45], v[8:9]
	s_delay_alu instid0(VALU_DEP_4) | instskip(NEXT) | instid1(VALU_DEP_4)
	v_fma_f64 v[189:190], v[38:39], v[2:3], -v[183:184]
	v_fma_f64 v[191:192], v[40:41], v[2:3], v[4:5]
	ds_load_b128 v[2:5], v1 offset:1664
	ds_load_b128 v[183:186], v1 offset:1680
	scratch_load_b128 v[38:41], off, off offset:784
	v_fma_f64 v[44:45], v[44:45], v[6:7], v[187:188]
	v_fma_f64 v[42:43], v[42:43], v[6:7], -v[8:9]
	scratch_load_b128 v[6:9], off, off offset:800
	s_wait_loadcnt_dscnt 0xa01
	v_mul_f64_e32 v[193:194], v[2:3], v[12:13]
	v_mul_f64_e32 v[12:13], v[4:5], v[12:13]
	v_add_f64_e32 v[187:188], 0, v[189:190]
	v_add_f64_e32 v[189:190], 0, v[191:192]
	s_wait_loadcnt_dscnt 0x900
	v_mul_f64_e32 v[191:192], v[183:184], v[16:17]
	v_mul_f64_e32 v[16:17], v[185:186], v[16:17]
	v_fma_f64 v[193:194], v[4:5], v[10:11], v[193:194]
	v_fma_f64 v[195:196], v[2:3], v[10:11], -v[12:13]
	ds_load_b128 v[2:5], v1 offset:1696
	scratch_load_b128 v[10:13], off, off offset:816
	v_add_f64_e32 v[187:188], v[187:188], v[42:43]
	v_add_f64_e32 v[189:190], v[189:190], v[44:45]
	ds_load_b128 v[42:45], v1 offset:1712
	v_fma_f64 v[185:186], v[185:186], v[14:15], v[191:192]
	v_fma_f64 v[183:184], v[183:184], v[14:15], -v[16:17]
	scratch_load_b128 v[14:17], off, off offset:832
	s_wait_loadcnt_dscnt 0xa01
	v_mul_f64_e32 v[197:198], v[2:3], v[20:21]
	v_mul_f64_e32 v[20:21], v[4:5], v[20:21]
	s_wait_loadcnt_dscnt 0x900
	v_mul_f64_e32 v[191:192], v[42:43], v[24:25]
	v_mul_f64_e32 v[24:25], v[44:45], v[24:25]
	v_add_f64_e32 v[187:188], v[187:188], v[195:196]
	v_add_f64_e32 v[189:190], v[189:190], v[193:194]
	v_fma_f64 v[193:194], v[4:5], v[18:19], v[197:198]
	v_fma_f64 v[195:196], v[2:3], v[18:19], -v[20:21]
	ds_load_b128 v[2:5], v1 offset:1728
	scratch_load_b128 v[18:21], off, off offset:848
	v_fma_f64 v[44:45], v[44:45], v[22:23], v[191:192]
	v_fma_f64 v[42:43], v[42:43], v[22:23], -v[24:25]
	scratch_load_b128 v[22:25], off, off offset:864
	v_add_f64_e32 v[187:188], v[187:188], v[183:184]
	v_add_f64_e32 v[189:190], v[189:190], v[185:186]
	ds_load_b128 v[183:186], v1 offset:1744
	s_wait_loadcnt_dscnt 0xa01
	v_mul_f64_e32 v[197:198], v[2:3], v[28:29]
	v_mul_f64_e32 v[28:29], v[4:5], v[28:29]
	s_wait_loadcnt_dscnt 0x900
	v_mul_f64_e32 v[191:192], v[183:184], v[32:33]
	v_mul_f64_e32 v[32:33], v[185:186], v[32:33]
	v_add_f64_e32 v[187:188], v[187:188], v[195:196]
	v_add_f64_e32 v[189:190], v[189:190], v[193:194]
	v_fma_f64 v[193:194], v[4:5], v[26:27], v[197:198]
	v_fma_f64 v[195:196], v[2:3], v[26:27], -v[28:29]
	ds_load_b128 v[2:5], v1 offset:1760
	scratch_load_b128 v[26:29], off, off offset:880
	v_fma_f64 v[185:186], v[185:186], v[30:31], v[191:192]
	v_fma_f64 v[183:184], v[183:184], v[30:31], -v[32:33]
	scratch_load_b128 v[30:33], off, off offset:896
	v_add_f64_e32 v[187:188], v[187:188], v[42:43]
	v_add_f64_e32 v[189:190], v[189:190], v[44:45]
	ds_load_b128 v[42:45], v1 offset:1776
	s_wait_loadcnt_dscnt 0xa01
	v_mul_f64_e32 v[197:198], v[2:3], v[36:37]
	v_mul_f64_e32 v[36:37], v[4:5], v[36:37]
	s_wait_loadcnt_dscnt 0x800
	v_mul_f64_e32 v[191:192], v[42:43], v[181:182]
	v_add_f64_e32 v[187:188], v[187:188], v[195:196]
	v_add_f64_e32 v[189:190], v[189:190], v[193:194]
	v_mul_f64_e32 v[193:194], v[44:45], v[181:182]
	v_fma_f64 v[195:196], v[4:5], v[34:35], v[197:198]
	v_fma_f64 v[197:198], v[2:3], v[34:35], -v[36:37]
	ds_load_b128 v[2:5], v1 offset:1792
	scratch_load_b128 v[34:37], off, off offset:912
	v_fma_f64 v[44:45], v[44:45], v[179:180], v[191:192]
	v_add_f64_e32 v[187:188], v[187:188], v[183:184]
	v_add_f64_e32 v[185:186], v[189:190], v[185:186]
	ds_load_b128 v[181:184], v1 offset:1808
	v_fma_f64 v[179:180], v[42:43], v[179:180], -v[193:194]
	s_wait_loadcnt_dscnt 0x801
	v_mul_f64_e32 v[189:190], v[2:3], v[40:41]
	v_mul_f64_e32 v[199:200], v[4:5], v[40:41]
	scratch_load_b128 v[40:43], off, off offset:928
	s_wait_loadcnt_dscnt 0x800
	v_mul_f64_e32 v[193:194], v[181:182], v[8:9]
	v_mul_f64_e32 v[8:9], v[183:184], v[8:9]
	v_add_f64_e32 v[187:188], v[187:188], v[197:198]
	v_add_f64_e32 v[185:186], v[185:186], v[195:196]
	v_fma_f64 v[195:196], v[4:5], v[38:39], v[189:190]
	v_fma_f64 v[38:39], v[2:3], v[38:39], -v[199:200]
	ds_load_b128 v[2:5], v1 offset:1824
	ds_load_b128 v[189:192], v1 offset:1840
	v_fma_f64 v[183:184], v[183:184], v[6:7], v[193:194]
	v_fma_f64 v[181:182], v[181:182], v[6:7], -v[8:9]
	scratch_load_b128 v[6:9], off, off offset:960
	v_add_f64_e32 v[179:180], v[187:188], v[179:180]
	v_add_f64_e32 v[44:45], v[185:186], v[44:45]
	scratch_load_b128 v[185:188], off, off offset:944
	s_wait_loadcnt_dscnt 0x901
	v_mul_f64_e32 v[197:198], v[2:3], v[12:13]
	v_mul_f64_e32 v[12:13], v[4:5], v[12:13]
	s_wait_loadcnt_dscnt 0x800
	v_mul_f64_e32 v[193:194], v[189:190], v[16:17]
	v_mul_f64_e32 v[16:17], v[191:192], v[16:17]
	v_add_f64_e32 v[38:39], v[179:180], v[38:39]
	v_add_f64_e32 v[44:45], v[44:45], v[195:196]
	v_fma_f64 v[195:196], v[4:5], v[10:11], v[197:198]
	v_fma_f64 v[197:198], v[2:3], v[10:11], -v[12:13]
	ds_load_b128 v[2:5], v1 offset:1856
	scratch_load_b128 v[10:13], off, off offset:976
	v_fma_f64 v[191:192], v[191:192], v[14:15], v[193:194]
	v_fma_f64 v[189:190], v[189:190], v[14:15], -v[16:17]
	scratch_load_b128 v[14:17], off, off offset:992
	v_add_f64_e32 v[38:39], v[38:39], v[181:182]
	v_add_f64_e32 v[44:45], v[44:45], v[183:184]
	ds_load_b128 v[179:182], v1 offset:1872
	s_wait_loadcnt_dscnt 0x901
	v_mul_f64_e32 v[183:184], v[2:3], v[20:21]
	v_mul_f64_e32 v[20:21], v[4:5], v[20:21]
	s_wait_loadcnt_dscnt 0x800
	v_mul_f64_e32 v[193:194], v[179:180], v[24:25]
	v_mul_f64_e32 v[24:25], v[181:182], v[24:25]
	v_add_f64_e32 v[38:39], v[38:39], v[197:198]
	v_add_f64_e32 v[44:45], v[44:45], v[195:196]
	v_fma_f64 v[183:184], v[4:5], v[18:19], v[183:184]
	v_fma_f64 v[195:196], v[2:3], v[18:19], -v[20:21]
	ds_load_b128 v[2:5], v1 offset:1888
	scratch_load_b128 v[18:21], off, off offset:1008
	v_fma_f64 v[181:182], v[181:182], v[22:23], v[193:194]
	v_fma_f64 v[179:180], v[179:180], v[22:23], -v[24:25]
	scratch_load_b128 v[22:25], off, off offset:1024
	v_add_f64_e32 v[38:39], v[38:39], v[189:190]
	v_add_f64_e32 v[44:45], v[44:45], v[191:192]
	ds_load_b128 v[189:192], v1 offset:1904
	s_wait_loadcnt_dscnt 0x901
	v_mul_f64_e32 v[197:198], v[2:3], v[28:29]
	v_mul_f64_e32 v[28:29], v[4:5], v[28:29]
	v_add_f64_e32 v[38:39], v[38:39], v[195:196]
	v_add_f64_e32 v[44:45], v[44:45], v[183:184]
	s_wait_loadcnt_dscnt 0x800
	v_mul_f64_e32 v[183:184], v[189:190], v[32:33]
	v_mul_f64_e32 v[32:33], v[191:192], v[32:33]
	v_fma_f64 v[193:194], v[4:5], v[26:27], v[197:198]
	v_fma_f64 v[195:196], v[2:3], v[26:27], -v[28:29]
	ds_load_b128 v[2:5], v1 offset:1920
	ds_load_b128 v[26:29], v1 offset:1936
	v_add_f64_e32 v[38:39], v[38:39], v[179:180]
	v_add_f64_e32 v[44:45], v[44:45], v[181:182]
	s_wait_loadcnt_dscnt 0x701
	v_mul_f64_e32 v[179:180], v[2:3], v[36:37]
	v_mul_f64_e32 v[36:37], v[4:5], v[36:37]
	v_fma_f64 v[181:182], v[191:192], v[30:31], v[183:184]
	v_fma_f64 v[30:31], v[189:190], v[30:31], -v[32:33]
	v_add_f64_e32 v[32:33], v[38:39], v[195:196]
	v_add_f64_e32 v[38:39], v[44:45], v[193:194]
	s_wait_loadcnt_dscnt 0x600
	v_mul_f64_e32 v[44:45], v[26:27], v[42:43]
	v_mul_f64_e32 v[42:43], v[28:29], v[42:43]
	v_fma_f64 v[179:180], v[4:5], v[34:35], v[179:180]
	v_fma_f64 v[34:35], v[2:3], v[34:35], -v[36:37]
	v_add_f64_e32 v[36:37], v[32:33], v[30:31]
	v_add_f64_e32 v[38:39], v[38:39], v[181:182]
	ds_load_b128 v[2:5], v1 offset:1952
	ds_load_b128 v[30:33], v1 offset:1968
	v_fma_f64 v[28:29], v[28:29], v[40:41], v[44:45]
	v_fma_f64 v[26:27], v[26:27], v[40:41], -v[42:43]
	s_wait_loadcnt_dscnt 0x401
	v_mul_f64_e32 v[181:182], v[2:3], v[187:188]
	v_mul_f64_e32 v[183:184], v[4:5], v[187:188]
	v_add_f64_e32 v[34:35], v[36:37], v[34:35]
	v_add_f64_e32 v[36:37], v[38:39], v[179:180]
	s_wait_dscnt 0x0
	v_mul_f64_e32 v[38:39], v[30:31], v[8:9]
	v_mul_f64_e32 v[8:9], v[32:33], v[8:9]
	v_fma_f64 v[40:41], v[4:5], v[185:186], v[181:182]
	v_fma_f64 v[42:43], v[2:3], v[185:186], -v[183:184]
	v_add_f64_e32 v[34:35], v[34:35], v[26:27]
	v_add_f64_e32 v[36:37], v[36:37], v[28:29]
	ds_load_b128 v[2:5], v1 offset:1984
	ds_load_b128 v[26:29], v1 offset:2000
	v_fma_f64 v[32:33], v[32:33], v[6:7], v[38:39]
	v_fma_f64 v[6:7], v[30:31], v[6:7], -v[8:9]
	s_wait_loadcnt_dscnt 0x301
	v_mul_f64_e32 v[44:45], v[2:3], v[12:13]
	v_mul_f64_e32 v[12:13], v[4:5], v[12:13]
	v_add_f64_e32 v[8:9], v[34:35], v[42:43]
	v_add_f64_e32 v[30:31], v[36:37], v[40:41]
	s_wait_loadcnt_dscnt 0x200
	v_mul_f64_e32 v[34:35], v[26:27], v[16:17]
	v_mul_f64_e32 v[16:17], v[28:29], v[16:17]
	v_fma_f64 v[36:37], v[4:5], v[10:11], v[44:45]
	v_fma_f64 v[10:11], v[2:3], v[10:11], -v[12:13]
	v_add_f64_e32 v[12:13], v[8:9], v[6:7]
	v_add_f64_e32 v[30:31], v[30:31], v[32:33]
	ds_load_b128 v[2:5], v1 offset:2016
	ds_load_b128 v[6:9], v1 offset:2032
	v_fma_f64 v[28:29], v[28:29], v[14:15], v[34:35]
	v_fma_f64 v[14:15], v[26:27], v[14:15], -v[16:17]
	s_wait_loadcnt_dscnt 0x101
	v_mul_f64_e32 v[32:33], v[2:3], v[20:21]
	v_mul_f64_e32 v[20:21], v[4:5], v[20:21]
	s_wait_loadcnt_dscnt 0x0
	v_mul_f64_e32 v[16:17], v[6:7], v[24:25]
	v_mul_f64_e32 v[24:25], v[8:9], v[24:25]
	v_add_f64_e32 v[10:11], v[12:13], v[10:11]
	v_add_f64_e32 v[12:13], v[30:31], v[36:37]
	v_fma_f64 v[4:5], v[4:5], v[18:19], v[32:33]
	v_fma_f64 v[1:2], v[2:3], v[18:19], -v[20:21]
	v_fma_f64 v[8:9], v[8:9], v[22:23], v[16:17]
	v_fma_f64 v[6:7], v[6:7], v[22:23], -v[24:25]
	v_add_f64_e32 v[10:11], v[10:11], v[14:15]
	v_add_f64_e32 v[12:13], v[12:13], v[28:29]
	s_delay_alu instid0(VALU_DEP_2) | instskip(NEXT) | instid1(VALU_DEP_2)
	v_add_f64_e32 v[1:2], v[10:11], v[1:2]
	v_add_f64_e32 v[3:4], v[12:13], v[4:5]
	s_delay_alu instid0(VALU_DEP_2) | instskip(NEXT) | instid1(VALU_DEP_2)
	;; [unrolled: 3-line block ×3, first 2 shown]
	v_add_f64_e64 v[1:2], v[175:176], -v[1:2]
	v_add_f64_e64 v[3:4], v[177:178], -v[3:4]
	scratch_store_b128 off, v[1:4], off offset:608
	v_cmpx_lt_u32_e32 36, v0
	s_cbranch_execz .LBB127_337
; %bb.336:
	scratch_load_b128 v[1:4], off, s43
	v_mov_b32_e32 v5, 0
	s_delay_alu instid0(VALU_DEP_1)
	v_dual_mov_b32 v6, v5 :: v_dual_mov_b32 v7, v5
	v_mov_b32_e32 v8, v5
	scratch_store_b128 off, v[5:8], off offset:592
	s_wait_loadcnt 0x0
	ds_store_b128 v174, v[1:4]
.LBB127_337:
	s_wait_alu 0xfffe
	s_or_b32 exec_lo, exec_lo, s0
	s_wait_storecnt_dscnt 0x0
	s_barrier_signal -1
	s_barrier_wait -1
	global_inv scope:SCOPE_SE
	s_clause 0x7
	scratch_load_b128 v[2:5], off, off offset:608
	scratch_load_b128 v[6:9], off, off offset:624
	scratch_load_b128 v[10:13], off, off offset:640
	scratch_load_b128 v[14:17], off, off offset:656
	scratch_load_b128 v[18:21], off, off offset:672
	scratch_load_b128 v[22:25], off, off offset:688
	scratch_load_b128 v[26:29], off, off offset:704
	scratch_load_b128 v[30:33], off, off offset:720
	v_mov_b32_e32 v1, 0
	s_mov_b32 s0, exec_lo
	ds_load_b128 v[34:37], v1 offset:1616
	s_clause 0x1
	scratch_load_b128 v[38:41], off, off offset:736
	scratch_load_b128 v[42:45], off, off offset:592
	ds_load_b128 v[175:178], v1 offset:1632
	scratch_load_b128 v[179:182], off, off offset:752
	s_wait_loadcnt_dscnt 0xa01
	v_mul_f64_e32 v[183:184], v[36:37], v[4:5]
	v_mul_f64_e32 v[4:5], v[34:35], v[4:5]
	s_delay_alu instid0(VALU_DEP_2) | instskip(NEXT) | instid1(VALU_DEP_2)
	v_fma_f64 v[189:190], v[34:35], v[2:3], -v[183:184]
	v_fma_f64 v[191:192], v[36:37], v[2:3], v[4:5]
	ds_load_b128 v[2:5], v1 offset:1648
	s_wait_loadcnt_dscnt 0x901
	v_mul_f64_e32 v[187:188], v[175:176], v[8:9]
	v_mul_f64_e32 v[8:9], v[177:178], v[8:9]
	scratch_load_b128 v[34:37], off, off offset:768
	ds_load_b128 v[183:186], v1 offset:1664
	s_wait_loadcnt_dscnt 0x901
	v_mul_f64_e32 v[193:194], v[2:3], v[12:13]
	v_mul_f64_e32 v[12:13], v[4:5], v[12:13]
	v_fma_f64 v[177:178], v[177:178], v[6:7], v[187:188]
	v_fma_f64 v[175:176], v[175:176], v[6:7], -v[8:9]
	v_add_f64_e32 v[187:188], 0, v[189:190]
	v_add_f64_e32 v[189:190], 0, v[191:192]
	scratch_load_b128 v[6:9], off, off offset:784
	v_fma_f64 v[193:194], v[4:5], v[10:11], v[193:194]
	v_fma_f64 v[195:196], v[2:3], v[10:11], -v[12:13]
	ds_load_b128 v[2:5], v1 offset:1680
	s_wait_loadcnt_dscnt 0x901
	v_mul_f64_e32 v[191:192], v[183:184], v[16:17]
	v_mul_f64_e32 v[16:17], v[185:186], v[16:17]
	scratch_load_b128 v[10:13], off, off offset:800
	v_add_f64_e32 v[187:188], v[187:188], v[175:176]
	v_add_f64_e32 v[189:190], v[189:190], v[177:178]
	s_wait_loadcnt_dscnt 0x900
	v_mul_f64_e32 v[197:198], v[2:3], v[20:21]
	v_mul_f64_e32 v[20:21], v[4:5], v[20:21]
	ds_load_b128 v[175:178], v1 offset:1696
	v_fma_f64 v[185:186], v[185:186], v[14:15], v[191:192]
	v_fma_f64 v[183:184], v[183:184], v[14:15], -v[16:17]
	scratch_load_b128 v[14:17], off, off offset:816
	v_add_f64_e32 v[187:188], v[187:188], v[195:196]
	v_add_f64_e32 v[189:190], v[189:190], v[193:194]
	v_fma_f64 v[193:194], v[4:5], v[18:19], v[197:198]
	v_fma_f64 v[195:196], v[2:3], v[18:19], -v[20:21]
	ds_load_b128 v[2:5], v1 offset:1712
	s_wait_loadcnt_dscnt 0x901
	v_mul_f64_e32 v[191:192], v[175:176], v[24:25]
	v_mul_f64_e32 v[24:25], v[177:178], v[24:25]
	scratch_load_b128 v[18:21], off, off offset:832
	s_wait_loadcnt_dscnt 0x900
	v_mul_f64_e32 v[197:198], v[2:3], v[28:29]
	v_mul_f64_e32 v[28:29], v[4:5], v[28:29]
	v_add_f64_e32 v[187:188], v[187:188], v[183:184]
	v_add_f64_e32 v[189:190], v[189:190], v[185:186]
	ds_load_b128 v[183:186], v1 offset:1728
	v_fma_f64 v[177:178], v[177:178], v[22:23], v[191:192]
	v_fma_f64 v[175:176], v[175:176], v[22:23], -v[24:25]
	scratch_load_b128 v[22:25], off, off offset:848
	v_add_f64_e32 v[187:188], v[187:188], v[195:196]
	v_add_f64_e32 v[189:190], v[189:190], v[193:194]
	v_fma_f64 v[193:194], v[4:5], v[26:27], v[197:198]
	v_fma_f64 v[195:196], v[2:3], v[26:27], -v[28:29]
	ds_load_b128 v[2:5], v1 offset:1744
	s_wait_loadcnt_dscnt 0x901
	v_mul_f64_e32 v[191:192], v[183:184], v[32:33]
	v_mul_f64_e32 v[32:33], v[185:186], v[32:33]
	scratch_load_b128 v[26:29], off, off offset:864
	s_wait_loadcnt_dscnt 0x900
	v_mul_f64_e32 v[197:198], v[2:3], v[40:41]
	v_mul_f64_e32 v[40:41], v[4:5], v[40:41]
	v_add_f64_e32 v[187:188], v[187:188], v[175:176]
	v_add_f64_e32 v[189:190], v[189:190], v[177:178]
	ds_load_b128 v[175:178], v1 offset:1760
	v_fma_f64 v[185:186], v[185:186], v[30:31], v[191:192]
	v_fma_f64 v[183:184], v[183:184], v[30:31], -v[32:33]
	scratch_load_b128 v[30:33], off, off offset:880
	v_add_f64_e32 v[187:188], v[187:188], v[195:196]
	v_add_f64_e32 v[189:190], v[189:190], v[193:194]
	v_fma_f64 v[195:196], v[4:5], v[38:39], v[197:198]
	v_fma_f64 v[197:198], v[2:3], v[38:39], -v[40:41]
	ds_load_b128 v[2:5], v1 offset:1776
	s_wait_loadcnt_dscnt 0x801
	v_mul_f64_e32 v[191:192], v[175:176], v[181:182]
	v_mul_f64_e32 v[193:194], v[177:178], v[181:182]
	scratch_load_b128 v[38:41], off, off offset:896
	v_add_f64_e32 v[187:188], v[187:188], v[183:184]
	v_add_f64_e32 v[185:186], v[189:190], v[185:186]
	ds_load_b128 v[181:184], v1 offset:1792
	v_fma_f64 v[191:192], v[177:178], v[179:180], v[191:192]
	v_fma_f64 v[179:180], v[175:176], v[179:180], -v[193:194]
	scratch_load_b128 v[175:178], off, off offset:912
	s_wait_loadcnt_dscnt 0x901
	v_mul_f64_e32 v[189:190], v[2:3], v[36:37]
	v_mul_f64_e32 v[36:37], v[4:5], v[36:37]
	v_add_f64_e32 v[187:188], v[187:188], v[197:198]
	v_add_f64_e32 v[185:186], v[185:186], v[195:196]
	s_delay_alu instid0(VALU_DEP_4) | instskip(NEXT) | instid1(VALU_DEP_4)
	v_fma_f64 v[189:190], v[4:5], v[34:35], v[189:190]
	v_fma_f64 v[195:196], v[2:3], v[34:35], -v[36:37]
	ds_load_b128 v[2:5], v1 offset:1808
	s_wait_loadcnt_dscnt 0x801
	v_mul_f64_e32 v[193:194], v[181:182], v[8:9]
	v_mul_f64_e32 v[8:9], v[183:184], v[8:9]
	scratch_load_b128 v[34:37], off, off offset:928
	s_wait_loadcnt_dscnt 0x800
	v_mul_f64_e32 v[197:198], v[2:3], v[12:13]
	v_add_f64_e32 v[179:180], v[187:188], v[179:180]
	v_add_f64_e32 v[191:192], v[185:186], v[191:192]
	v_mul_f64_e32 v[12:13], v[4:5], v[12:13]
	ds_load_b128 v[185:188], v1 offset:1824
	v_fma_f64 v[183:184], v[183:184], v[6:7], v[193:194]
	v_fma_f64 v[181:182], v[181:182], v[6:7], -v[8:9]
	scratch_load_b128 v[6:9], off, off offset:944
	v_fma_f64 v[193:194], v[4:5], v[10:11], v[197:198]
	v_add_f64_e32 v[179:180], v[179:180], v[195:196]
	v_add_f64_e32 v[189:190], v[191:192], v[189:190]
	v_fma_f64 v[195:196], v[2:3], v[10:11], -v[12:13]
	ds_load_b128 v[2:5], v1 offset:1840
	s_wait_loadcnt_dscnt 0x801
	v_mul_f64_e32 v[191:192], v[185:186], v[16:17]
	v_mul_f64_e32 v[16:17], v[187:188], v[16:17]
	scratch_load_b128 v[10:13], off, off offset:960
	v_add_f64_e32 v[197:198], v[179:180], v[181:182]
	v_add_f64_e32 v[183:184], v[189:190], v[183:184]
	s_wait_loadcnt_dscnt 0x800
	v_mul_f64_e32 v[189:190], v[2:3], v[20:21]
	v_mul_f64_e32 v[20:21], v[4:5], v[20:21]
	v_fma_f64 v[187:188], v[187:188], v[14:15], v[191:192]
	v_fma_f64 v[185:186], v[185:186], v[14:15], -v[16:17]
	ds_load_b128 v[179:182], v1 offset:1856
	scratch_load_b128 v[14:17], off, off offset:976
	v_add_f64_e32 v[191:192], v[197:198], v[195:196]
	v_add_f64_e32 v[183:184], v[183:184], v[193:194]
	v_fma_f64 v[189:190], v[4:5], v[18:19], v[189:190]
	v_fma_f64 v[195:196], v[2:3], v[18:19], -v[20:21]
	ds_load_b128 v[2:5], v1 offset:1872
	s_wait_loadcnt_dscnt 0x801
	v_mul_f64_e32 v[193:194], v[179:180], v[24:25]
	v_mul_f64_e32 v[24:25], v[181:182], v[24:25]
	scratch_load_b128 v[18:21], off, off offset:992
	s_wait_loadcnt_dscnt 0x800
	v_mul_f64_e32 v[197:198], v[2:3], v[28:29]
	v_mul_f64_e32 v[28:29], v[4:5], v[28:29]
	v_add_f64_e32 v[191:192], v[191:192], v[185:186]
	v_add_f64_e32 v[187:188], v[183:184], v[187:188]
	ds_load_b128 v[183:186], v1 offset:1888
	v_fma_f64 v[181:182], v[181:182], v[22:23], v[193:194]
	v_fma_f64 v[179:180], v[179:180], v[22:23], -v[24:25]
	scratch_load_b128 v[22:25], off, off offset:1008
	v_fma_f64 v[193:194], v[4:5], v[26:27], v[197:198]
	v_add_f64_e32 v[191:192], v[191:192], v[195:196]
	v_add_f64_e32 v[187:188], v[187:188], v[189:190]
	v_fma_f64 v[195:196], v[2:3], v[26:27], -v[28:29]
	ds_load_b128 v[2:5], v1 offset:1904
	s_wait_loadcnt_dscnt 0x801
	v_mul_f64_e32 v[189:190], v[183:184], v[32:33]
	v_mul_f64_e32 v[32:33], v[185:186], v[32:33]
	scratch_load_b128 v[26:29], off, off offset:1024
	s_wait_loadcnt_dscnt 0x800
	v_mul_f64_e32 v[197:198], v[2:3], v[40:41]
	v_mul_f64_e32 v[40:41], v[4:5], v[40:41]
	v_add_f64_e32 v[191:192], v[191:192], v[179:180]
	v_add_f64_e32 v[187:188], v[187:188], v[181:182]
	ds_load_b128 v[179:182], v1 offset:1920
	v_fma_f64 v[185:186], v[185:186], v[30:31], v[189:190]
	v_fma_f64 v[30:31], v[183:184], v[30:31], -v[32:33]
	v_fma_f64 v[189:190], v[4:5], v[38:39], v[197:198]
	v_fma_f64 v[38:39], v[2:3], v[38:39], -v[40:41]
	v_add_f64_e32 v[32:33], v[191:192], v[195:196]
	v_add_f64_e32 v[183:184], v[187:188], v[193:194]
	s_wait_loadcnt_dscnt 0x700
	v_mul_f64_e32 v[187:188], v[179:180], v[177:178]
	v_mul_f64_e32 v[177:178], v[181:182], v[177:178]
	s_delay_alu instid0(VALU_DEP_4) | instskip(NEXT) | instid1(VALU_DEP_4)
	v_add_f64_e32 v[40:41], v[32:33], v[30:31]
	v_add_f64_e32 v[183:184], v[183:184], v[185:186]
	ds_load_b128 v[2:5], v1 offset:1936
	ds_load_b128 v[30:33], v1 offset:1952
	v_fma_f64 v[181:182], v[181:182], v[175:176], v[187:188]
	v_fma_f64 v[175:176], v[179:180], v[175:176], -v[177:178]
	s_wait_loadcnt_dscnt 0x601
	v_mul_f64_e32 v[185:186], v[2:3], v[36:37]
	v_mul_f64_e32 v[36:37], v[4:5], v[36:37]
	s_wait_loadcnt_dscnt 0x500
	v_mul_f64_e32 v[177:178], v[30:31], v[8:9]
	v_mul_f64_e32 v[8:9], v[32:33], v[8:9]
	v_add_f64_e32 v[38:39], v[40:41], v[38:39]
	v_add_f64_e32 v[40:41], v[183:184], v[189:190]
	v_fma_f64 v[179:180], v[4:5], v[34:35], v[185:186]
	v_fma_f64 v[183:184], v[2:3], v[34:35], -v[36:37]
	ds_load_b128 v[2:5], v1 offset:1968
	ds_load_b128 v[34:37], v1 offset:1984
	v_fma_f64 v[32:33], v[32:33], v[6:7], v[177:178]
	v_fma_f64 v[6:7], v[30:31], v[6:7], -v[8:9]
	v_add_f64_e32 v[38:39], v[38:39], v[175:176]
	v_add_f64_e32 v[40:41], v[40:41], v[181:182]
	s_wait_loadcnt_dscnt 0x401
	v_mul_f64_e32 v[175:176], v[2:3], v[12:13]
	v_mul_f64_e32 v[12:13], v[4:5], v[12:13]
	s_delay_alu instid0(VALU_DEP_4) | instskip(NEXT) | instid1(VALU_DEP_4)
	v_add_f64_e32 v[8:9], v[38:39], v[183:184]
	v_add_f64_e32 v[30:31], v[40:41], v[179:180]
	s_wait_loadcnt_dscnt 0x300
	v_mul_f64_e32 v[38:39], v[34:35], v[16:17]
	v_mul_f64_e32 v[16:17], v[36:37], v[16:17]
	v_fma_f64 v[40:41], v[4:5], v[10:11], v[175:176]
	v_fma_f64 v[10:11], v[2:3], v[10:11], -v[12:13]
	v_add_f64_e32 v[12:13], v[8:9], v[6:7]
	v_add_f64_e32 v[30:31], v[30:31], v[32:33]
	ds_load_b128 v[2:5], v1 offset:2000
	ds_load_b128 v[6:9], v1 offset:2016
	v_fma_f64 v[36:37], v[36:37], v[14:15], v[38:39]
	v_fma_f64 v[14:15], v[34:35], v[14:15], -v[16:17]
	s_wait_loadcnt_dscnt 0x201
	v_mul_f64_e32 v[32:33], v[2:3], v[20:21]
	v_mul_f64_e32 v[20:21], v[4:5], v[20:21]
	s_wait_loadcnt_dscnt 0x100
	v_mul_f64_e32 v[16:17], v[6:7], v[24:25]
	v_mul_f64_e32 v[24:25], v[8:9], v[24:25]
	v_add_f64_e32 v[10:11], v[12:13], v[10:11]
	v_add_f64_e32 v[12:13], v[30:31], v[40:41]
	v_fma_f64 v[30:31], v[4:5], v[18:19], v[32:33]
	v_fma_f64 v[18:19], v[2:3], v[18:19], -v[20:21]
	ds_load_b128 v[2:5], v1 offset:2032
	v_fma_f64 v[8:9], v[8:9], v[22:23], v[16:17]
	v_fma_f64 v[6:7], v[6:7], v[22:23], -v[24:25]
	v_add_f64_e32 v[10:11], v[10:11], v[14:15]
	v_add_f64_e32 v[12:13], v[12:13], v[36:37]
	s_wait_loadcnt_dscnt 0x0
	v_mul_f64_e32 v[14:15], v[2:3], v[28:29]
	v_mul_f64_e32 v[20:21], v[4:5], v[28:29]
	s_delay_alu instid0(VALU_DEP_4) | instskip(NEXT) | instid1(VALU_DEP_4)
	v_add_f64_e32 v[10:11], v[10:11], v[18:19]
	v_add_f64_e32 v[12:13], v[12:13], v[30:31]
	s_delay_alu instid0(VALU_DEP_4) | instskip(NEXT) | instid1(VALU_DEP_4)
	v_fma_f64 v[4:5], v[4:5], v[26:27], v[14:15]
	v_fma_f64 v[2:3], v[2:3], v[26:27], -v[20:21]
	s_delay_alu instid0(VALU_DEP_4) | instskip(NEXT) | instid1(VALU_DEP_4)
	v_add_f64_e32 v[6:7], v[10:11], v[6:7]
	v_add_f64_e32 v[8:9], v[12:13], v[8:9]
	s_delay_alu instid0(VALU_DEP_2) | instskip(NEXT) | instid1(VALU_DEP_2)
	v_add_f64_e32 v[2:3], v[6:7], v[2:3]
	v_add_f64_e32 v[4:5], v[8:9], v[4:5]
	s_delay_alu instid0(VALU_DEP_2) | instskip(NEXT) | instid1(VALU_DEP_2)
	v_add_f64_e64 v[2:3], v[42:43], -v[2:3]
	v_add_f64_e64 v[4:5], v[44:45], -v[4:5]
	scratch_store_b128 off, v[2:5], off offset:592
	v_cmpx_lt_u32_e32 35, v0
	s_cbranch_execz .LBB127_339
; %bb.338:
	scratch_load_b128 v[5:8], off, s44
	v_dual_mov_b32 v2, v1 :: v_dual_mov_b32 v3, v1
	v_mov_b32_e32 v4, v1
	scratch_store_b128 off, v[1:4], off offset:576
	s_wait_loadcnt 0x0
	ds_store_b128 v174, v[5:8]
.LBB127_339:
	s_wait_alu 0xfffe
	s_or_b32 exec_lo, exec_lo, s0
	s_wait_storecnt_dscnt 0x0
	s_barrier_signal -1
	s_barrier_wait -1
	global_inv scope:SCOPE_SE
	s_clause 0x8
	scratch_load_b128 v[2:5], off, off offset:592
	scratch_load_b128 v[6:9], off, off offset:608
	;; [unrolled: 1-line block ×9, first 2 shown]
	ds_load_b128 v[38:41], v1 offset:1600
	ds_load_b128 v[42:45], v1 offset:1616
	s_clause 0x1
	scratch_load_b128 v[175:178], off, off offset:576
	scratch_load_b128 v[179:182], off, off offset:736
	s_mov_b32 s0, exec_lo
	s_wait_loadcnt_dscnt 0xa01
	v_mul_f64_e32 v[183:184], v[40:41], v[4:5]
	v_mul_f64_e32 v[4:5], v[38:39], v[4:5]
	s_wait_loadcnt_dscnt 0x900
	v_mul_f64_e32 v[187:188], v[42:43], v[8:9]
	v_mul_f64_e32 v[8:9], v[44:45], v[8:9]
	s_delay_alu instid0(VALU_DEP_4) | instskip(NEXT) | instid1(VALU_DEP_4)
	v_fma_f64 v[189:190], v[38:39], v[2:3], -v[183:184]
	v_fma_f64 v[191:192], v[40:41], v[2:3], v[4:5]
	ds_load_b128 v[2:5], v1 offset:1632
	ds_load_b128 v[183:186], v1 offset:1648
	scratch_load_b128 v[38:41], off, off offset:752
	v_fma_f64 v[44:45], v[44:45], v[6:7], v[187:188]
	v_fma_f64 v[42:43], v[42:43], v[6:7], -v[8:9]
	scratch_load_b128 v[6:9], off, off offset:768
	s_wait_loadcnt_dscnt 0xa01
	v_mul_f64_e32 v[193:194], v[2:3], v[12:13]
	v_mul_f64_e32 v[12:13], v[4:5], v[12:13]
	v_add_f64_e32 v[187:188], 0, v[189:190]
	v_add_f64_e32 v[189:190], 0, v[191:192]
	s_wait_loadcnt_dscnt 0x900
	v_mul_f64_e32 v[191:192], v[183:184], v[16:17]
	v_mul_f64_e32 v[16:17], v[185:186], v[16:17]
	v_fma_f64 v[193:194], v[4:5], v[10:11], v[193:194]
	v_fma_f64 v[195:196], v[2:3], v[10:11], -v[12:13]
	ds_load_b128 v[2:5], v1 offset:1664
	scratch_load_b128 v[10:13], off, off offset:784
	v_add_f64_e32 v[187:188], v[187:188], v[42:43]
	v_add_f64_e32 v[189:190], v[189:190], v[44:45]
	ds_load_b128 v[42:45], v1 offset:1680
	v_fma_f64 v[185:186], v[185:186], v[14:15], v[191:192]
	v_fma_f64 v[183:184], v[183:184], v[14:15], -v[16:17]
	scratch_load_b128 v[14:17], off, off offset:800
	s_wait_loadcnt_dscnt 0xa01
	v_mul_f64_e32 v[197:198], v[2:3], v[20:21]
	v_mul_f64_e32 v[20:21], v[4:5], v[20:21]
	s_wait_loadcnt_dscnt 0x900
	v_mul_f64_e32 v[191:192], v[42:43], v[24:25]
	v_mul_f64_e32 v[24:25], v[44:45], v[24:25]
	v_add_f64_e32 v[187:188], v[187:188], v[195:196]
	v_add_f64_e32 v[189:190], v[189:190], v[193:194]
	v_fma_f64 v[193:194], v[4:5], v[18:19], v[197:198]
	v_fma_f64 v[195:196], v[2:3], v[18:19], -v[20:21]
	ds_load_b128 v[2:5], v1 offset:1696
	scratch_load_b128 v[18:21], off, off offset:816
	v_fma_f64 v[44:45], v[44:45], v[22:23], v[191:192]
	v_fma_f64 v[42:43], v[42:43], v[22:23], -v[24:25]
	scratch_load_b128 v[22:25], off, off offset:832
	v_add_f64_e32 v[187:188], v[187:188], v[183:184]
	v_add_f64_e32 v[189:190], v[189:190], v[185:186]
	ds_load_b128 v[183:186], v1 offset:1712
	s_wait_loadcnt_dscnt 0xa01
	v_mul_f64_e32 v[197:198], v[2:3], v[28:29]
	v_mul_f64_e32 v[28:29], v[4:5], v[28:29]
	s_wait_loadcnt_dscnt 0x900
	v_mul_f64_e32 v[191:192], v[183:184], v[32:33]
	v_mul_f64_e32 v[32:33], v[185:186], v[32:33]
	v_add_f64_e32 v[187:188], v[187:188], v[195:196]
	v_add_f64_e32 v[189:190], v[189:190], v[193:194]
	v_fma_f64 v[193:194], v[4:5], v[26:27], v[197:198]
	v_fma_f64 v[195:196], v[2:3], v[26:27], -v[28:29]
	ds_load_b128 v[2:5], v1 offset:1728
	scratch_load_b128 v[26:29], off, off offset:848
	v_fma_f64 v[185:186], v[185:186], v[30:31], v[191:192]
	v_fma_f64 v[183:184], v[183:184], v[30:31], -v[32:33]
	scratch_load_b128 v[30:33], off, off offset:864
	v_add_f64_e32 v[187:188], v[187:188], v[42:43]
	v_add_f64_e32 v[189:190], v[189:190], v[44:45]
	ds_load_b128 v[42:45], v1 offset:1744
	s_wait_loadcnt_dscnt 0xa01
	v_mul_f64_e32 v[197:198], v[2:3], v[36:37]
	v_mul_f64_e32 v[36:37], v[4:5], v[36:37]
	s_wait_loadcnt_dscnt 0x800
	v_mul_f64_e32 v[191:192], v[42:43], v[181:182]
	v_add_f64_e32 v[187:188], v[187:188], v[195:196]
	v_add_f64_e32 v[189:190], v[189:190], v[193:194]
	v_mul_f64_e32 v[193:194], v[44:45], v[181:182]
	v_fma_f64 v[195:196], v[4:5], v[34:35], v[197:198]
	v_fma_f64 v[197:198], v[2:3], v[34:35], -v[36:37]
	ds_load_b128 v[2:5], v1 offset:1760
	scratch_load_b128 v[34:37], off, off offset:880
	v_fma_f64 v[44:45], v[44:45], v[179:180], v[191:192]
	v_add_f64_e32 v[187:188], v[187:188], v[183:184]
	v_add_f64_e32 v[185:186], v[189:190], v[185:186]
	ds_load_b128 v[181:184], v1 offset:1776
	v_fma_f64 v[179:180], v[42:43], v[179:180], -v[193:194]
	s_wait_loadcnt_dscnt 0x801
	v_mul_f64_e32 v[189:190], v[2:3], v[40:41]
	v_mul_f64_e32 v[199:200], v[4:5], v[40:41]
	scratch_load_b128 v[40:43], off, off offset:896
	s_wait_loadcnt_dscnt 0x800
	v_mul_f64_e32 v[193:194], v[181:182], v[8:9]
	v_mul_f64_e32 v[8:9], v[183:184], v[8:9]
	v_add_f64_e32 v[187:188], v[187:188], v[197:198]
	v_add_f64_e32 v[185:186], v[185:186], v[195:196]
	v_fma_f64 v[195:196], v[4:5], v[38:39], v[189:190]
	v_fma_f64 v[38:39], v[2:3], v[38:39], -v[199:200]
	ds_load_b128 v[2:5], v1 offset:1792
	ds_load_b128 v[189:192], v1 offset:1808
	v_fma_f64 v[183:184], v[183:184], v[6:7], v[193:194]
	v_fma_f64 v[181:182], v[181:182], v[6:7], -v[8:9]
	scratch_load_b128 v[6:9], off, off offset:928
	v_add_f64_e32 v[179:180], v[187:188], v[179:180]
	v_add_f64_e32 v[44:45], v[185:186], v[44:45]
	scratch_load_b128 v[185:188], off, off offset:912
	s_wait_loadcnt_dscnt 0x901
	v_mul_f64_e32 v[197:198], v[2:3], v[12:13]
	v_mul_f64_e32 v[12:13], v[4:5], v[12:13]
	s_wait_loadcnt_dscnt 0x800
	v_mul_f64_e32 v[193:194], v[189:190], v[16:17]
	v_mul_f64_e32 v[16:17], v[191:192], v[16:17]
	v_add_f64_e32 v[38:39], v[179:180], v[38:39]
	v_add_f64_e32 v[44:45], v[44:45], v[195:196]
	v_fma_f64 v[195:196], v[4:5], v[10:11], v[197:198]
	v_fma_f64 v[197:198], v[2:3], v[10:11], -v[12:13]
	ds_load_b128 v[2:5], v1 offset:1824
	scratch_load_b128 v[10:13], off, off offset:944
	v_fma_f64 v[191:192], v[191:192], v[14:15], v[193:194]
	v_fma_f64 v[189:190], v[189:190], v[14:15], -v[16:17]
	scratch_load_b128 v[14:17], off, off offset:960
	v_add_f64_e32 v[38:39], v[38:39], v[181:182]
	v_add_f64_e32 v[44:45], v[44:45], v[183:184]
	ds_load_b128 v[179:182], v1 offset:1840
	s_wait_loadcnt_dscnt 0x901
	v_mul_f64_e32 v[183:184], v[2:3], v[20:21]
	v_mul_f64_e32 v[20:21], v[4:5], v[20:21]
	s_wait_loadcnt_dscnt 0x800
	v_mul_f64_e32 v[193:194], v[179:180], v[24:25]
	v_mul_f64_e32 v[24:25], v[181:182], v[24:25]
	v_add_f64_e32 v[38:39], v[38:39], v[197:198]
	v_add_f64_e32 v[44:45], v[44:45], v[195:196]
	v_fma_f64 v[183:184], v[4:5], v[18:19], v[183:184]
	v_fma_f64 v[195:196], v[2:3], v[18:19], -v[20:21]
	ds_load_b128 v[2:5], v1 offset:1856
	scratch_load_b128 v[18:21], off, off offset:976
	v_fma_f64 v[181:182], v[181:182], v[22:23], v[193:194]
	v_fma_f64 v[179:180], v[179:180], v[22:23], -v[24:25]
	scratch_load_b128 v[22:25], off, off offset:992
	v_add_f64_e32 v[38:39], v[38:39], v[189:190]
	v_add_f64_e32 v[44:45], v[44:45], v[191:192]
	ds_load_b128 v[189:192], v1 offset:1872
	s_wait_loadcnt_dscnt 0x901
	v_mul_f64_e32 v[197:198], v[2:3], v[28:29]
	v_mul_f64_e32 v[28:29], v[4:5], v[28:29]
	v_add_f64_e32 v[38:39], v[38:39], v[195:196]
	v_add_f64_e32 v[44:45], v[44:45], v[183:184]
	s_wait_loadcnt_dscnt 0x800
	v_mul_f64_e32 v[183:184], v[189:190], v[32:33]
	v_mul_f64_e32 v[32:33], v[191:192], v[32:33]
	v_fma_f64 v[193:194], v[4:5], v[26:27], v[197:198]
	v_fma_f64 v[195:196], v[2:3], v[26:27], -v[28:29]
	ds_load_b128 v[2:5], v1 offset:1888
	scratch_load_b128 v[26:29], off, off offset:1008
	v_add_f64_e32 v[38:39], v[38:39], v[179:180]
	v_add_f64_e32 v[44:45], v[44:45], v[181:182]
	ds_load_b128 v[179:182], v1 offset:1904
	s_wait_loadcnt_dscnt 0x801
	v_mul_f64_e32 v[197:198], v[2:3], v[36:37]
	v_mul_f64_e32 v[36:37], v[4:5], v[36:37]
	v_fma_f64 v[183:184], v[191:192], v[30:31], v[183:184]
	v_fma_f64 v[189:190], v[189:190], v[30:31], -v[32:33]
	scratch_load_b128 v[30:33], off, off offset:1024
	s_wait_loadcnt_dscnt 0x800
	v_mul_f64_e32 v[191:192], v[179:180], v[42:43]
	v_add_f64_e32 v[38:39], v[38:39], v[195:196]
	v_add_f64_e32 v[44:45], v[44:45], v[193:194]
	v_mul_f64_e32 v[42:43], v[181:182], v[42:43]
	v_fma_f64 v[193:194], v[4:5], v[34:35], v[197:198]
	v_fma_f64 v[195:196], v[2:3], v[34:35], -v[36:37]
	ds_load_b128 v[2:5], v1 offset:1920
	ds_load_b128 v[34:37], v1 offset:1936
	v_fma_f64 v[181:182], v[181:182], v[40:41], v[191:192]
	v_add_f64_e32 v[38:39], v[38:39], v[189:190]
	v_add_f64_e32 v[44:45], v[44:45], v[183:184]
	v_fma_f64 v[40:41], v[179:180], v[40:41], -v[42:43]
	s_wait_loadcnt_dscnt 0x601
	v_mul_f64_e32 v[183:184], v[2:3], v[187:188]
	v_mul_f64_e32 v[187:188], v[4:5], v[187:188]
	v_add_f64_e32 v[38:39], v[38:39], v[195:196]
	v_add_f64_e32 v[42:43], v[44:45], v[193:194]
	s_wait_dscnt 0x0
	v_mul_f64_e32 v[44:45], v[34:35], v[8:9]
	v_mul_f64_e32 v[8:9], v[36:37], v[8:9]
	v_fma_f64 v[179:180], v[4:5], v[185:186], v[183:184]
	v_fma_f64 v[183:184], v[2:3], v[185:186], -v[187:188]
	v_add_f64_e32 v[185:186], v[38:39], v[40:41]
	v_add_f64_e32 v[42:43], v[42:43], v[181:182]
	ds_load_b128 v[2:5], v1 offset:1952
	ds_load_b128 v[38:41], v1 offset:1968
	v_fma_f64 v[36:37], v[36:37], v[6:7], v[44:45]
	v_fma_f64 v[6:7], v[34:35], v[6:7], -v[8:9]
	s_wait_loadcnt_dscnt 0x501
	v_mul_f64_e32 v[181:182], v[2:3], v[12:13]
	v_mul_f64_e32 v[12:13], v[4:5], v[12:13]
	v_add_f64_e32 v[8:9], v[185:186], v[183:184]
	v_add_f64_e32 v[34:35], v[42:43], v[179:180]
	s_wait_loadcnt_dscnt 0x400
	v_mul_f64_e32 v[42:43], v[38:39], v[16:17]
	v_mul_f64_e32 v[16:17], v[40:41], v[16:17]
	v_fma_f64 v[44:45], v[4:5], v[10:11], v[181:182]
	v_fma_f64 v[10:11], v[2:3], v[10:11], -v[12:13]
	v_add_f64_e32 v[12:13], v[8:9], v[6:7]
	v_add_f64_e32 v[34:35], v[34:35], v[36:37]
	ds_load_b128 v[2:5], v1 offset:1984
	ds_load_b128 v[6:9], v1 offset:2000
	v_fma_f64 v[40:41], v[40:41], v[14:15], v[42:43]
	v_fma_f64 v[14:15], v[38:39], v[14:15], -v[16:17]
	s_wait_loadcnt_dscnt 0x301
	v_mul_f64_e32 v[36:37], v[2:3], v[20:21]
	v_mul_f64_e32 v[20:21], v[4:5], v[20:21]
	s_wait_loadcnt_dscnt 0x200
	v_mul_f64_e32 v[16:17], v[6:7], v[24:25]
	v_mul_f64_e32 v[24:25], v[8:9], v[24:25]
	v_add_f64_e32 v[10:11], v[12:13], v[10:11]
	v_add_f64_e32 v[12:13], v[34:35], v[44:45]
	v_fma_f64 v[34:35], v[4:5], v[18:19], v[36:37]
	v_fma_f64 v[18:19], v[2:3], v[18:19], -v[20:21]
	v_fma_f64 v[8:9], v[8:9], v[22:23], v[16:17]
	v_fma_f64 v[6:7], v[6:7], v[22:23], -v[24:25]
	v_add_f64_e32 v[14:15], v[10:11], v[14:15]
	v_add_f64_e32 v[20:21], v[12:13], v[40:41]
	ds_load_b128 v[2:5], v1 offset:2016
	ds_load_b128 v[10:13], v1 offset:2032
	s_wait_loadcnt_dscnt 0x101
	v_mul_f64_e32 v[36:37], v[2:3], v[28:29]
	v_mul_f64_e32 v[28:29], v[4:5], v[28:29]
	v_add_f64_e32 v[14:15], v[14:15], v[18:19]
	v_add_f64_e32 v[16:17], v[20:21], v[34:35]
	s_wait_loadcnt_dscnt 0x0
	v_mul_f64_e32 v[18:19], v[10:11], v[32:33]
	v_mul_f64_e32 v[20:21], v[12:13], v[32:33]
	v_fma_f64 v[4:5], v[4:5], v[26:27], v[36:37]
	v_fma_f64 v[1:2], v[2:3], v[26:27], -v[28:29]
	v_add_f64_e32 v[6:7], v[14:15], v[6:7]
	v_add_f64_e32 v[8:9], v[16:17], v[8:9]
	v_fma_f64 v[12:13], v[12:13], v[30:31], v[18:19]
	v_fma_f64 v[10:11], v[10:11], v[30:31], -v[20:21]
	s_delay_alu instid0(VALU_DEP_4) | instskip(NEXT) | instid1(VALU_DEP_4)
	v_add_f64_e32 v[1:2], v[6:7], v[1:2]
	v_add_f64_e32 v[3:4], v[8:9], v[4:5]
	s_delay_alu instid0(VALU_DEP_2) | instskip(NEXT) | instid1(VALU_DEP_2)
	v_add_f64_e32 v[1:2], v[1:2], v[10:11]
	v_add_f64_e32 v[3:4], v[3:4], v[12:13]
	s_delay_alu instid0(VALU_DEP_2) | instskip(NEXT) | instid1(VALU_DEP_2)
	v_add_f64_e64 v[1:2], v[175:176], -v[1:2]
	v_add_f64_e64 v[3:4], v[177:178], -v[3:4]
	scratch_store_b128 off, v[1:4], off offset:576
	v_cmpx_lt_u32_e32 34, v0
	s_cbranch_execz .LBB127_341
; %bb.340:
	scratch_load_b128 v[1:4], off, s45
	v_mov_b32_e32 v5, 0
	s_delay_alu instid0(VALU_DEP_1)
	v_dual_mov_b32 v6, v5 :: v_dual_mov_b32 v7, v5
	v_mov_b32_e32 v8, v5
	scratch_store_b128 off, v[5:8], off offset:560
	s_wait_loadcnt 0x0
	ds_store_b128 v174, v[1:4]
.LBB127_341:
	s_wait_alu 0xfffe
	s_or_b32 exec_lo, exec_lo, s0
	s_wait_storecnt_dscnt 0x0
	s_barrier_signal -1
	s_barrier_wait -1
	global_inv scope:SCOPE_SE
	s_clause 0x7
	scratch_load_b128 v[2:5], off, off offset:576
	scratch_load_b128 v[6:9], off, off offset:592
	;; [unrolled: 1-line block ×8, first 2 shown]
	v_mov_b32_e32 v1, 0
	s_mov_b32 s0, exec_lo
	ds_load_b128 v[34:37], v1 offset:1584
	s_clause 0x1
	scratch_load_b128 v[38:41], off, off offset:704
	scratch_load_b128 v[42:45], off, off offset:560
	ds_load_b128 v[175:178], v1 offset:1600
	scratch_load_b128 v[179:182], off, off offset:720
	s_wait_loadcnt_dscnt 0xa01
	v_mul_f64_e32 v[183:184], v[36:37], v[4:5]
	v_mul_f64_e32 v[4:5], v[34:35], v[4:5]
	s_delay_alu instid0(VALU_DEP_2) | instskip(NEXT) | instid1(VALU_DEP_2)
	v_fma_f64 v[189:190], v[34:35], v[2:3], -v[183:184]
	v_fma_f64 v[191:192], v[36:37], v[2:3], v[4:5]
	ds_load_b128 v[2:5], v1 offset:1616
	s_wait_loadcnt_dscnt 0x901
	v_mul_f64_e32 v[187:188], v[175:176], v[8:9]
	v_mul_f64_e32 v[8:9], v[177:178], v[8:9]
	scratch_load_b128 v[34:37], off, off offset:736
	ds_load_b128 v[183:186], v1 offset:1632
	s_wait_loadcnt_dscnt 0x901
	v_mul_f64_e32 v[193:194], v[2:3], v[12:13]
	v_mul_f64_e32 v[12:13], v[4:5], v[12:13]
	v_fma_f64 v[177:178], v[177:178], v[6:7], v[187:188]
	v_fma_f64 v[175:176], v[175:176], v[6:7], -v[8:9]
	v_add_f64_e32 v[187:188], 0, v[189:190]
	v_add_f64_e32 v[189:190], 0, v[191:192]
	scratch_load_b128 v[6:9], off, off offset:752
	v_fma_f64 v[193:194], v[4:5], v[10:11], v[193:194]
	v_fma_f64 v[195:196], v[2:3], v[10:11], -v[12:13]
	ds_load_b128 v[2:5], v1 offset:1648
	s_wait_loadcnt_dscnt 0x901
	v_mul_f64_e32 v[191:192], v[183:184], v[16:17]
	v_mul_f64_e32 v[16:17], v[185:186], v[16:17]
	scratch_load_b128 v[10:13], off, off offset:768
	v_add_f64_e32 v[187:188], v[187:188], v[175:176]
	v_add_f64_e32 v[189:190], v[189:190], v[177:178]
	s_wait_loadcnt_dscnt 0x900
	v_mul_f64_e32 v[197:198], v[2:3], v[20:21]
	v_mul_f64_e32 v[20:21], v[4:5], v[20:21]
	ds_load_b128 v[175:178], v1 offset:1664
	v_fma_f64 v[185:186], v[185:186], v[14:15], v[191:192]
	v_fma_f64 v[183:184], v[183:184], v[14:15], -v[16:17]
	scratch_load_b128 v[14:17], off, off offset:784
	v_add_f64_e32 v[187:188], v[187:188], v[195:196]
	v_add_f64_e32 v[189:190], v[189:190], v[193:194]
	v_fma_f64 v[193:194], v[4:5], v[18:19], v[197:198]
	v_fma_f64 v[195:196], v[2:3], v[18:19], -v[20:21]
	ds_load_b128 v[2:5], v1 offset:1680
	s_wait_loadcnt_dscnt 0x901
	v_mul_f64_e32 v[191:192], v[175:176], v[24:25]
	v_mul_f64_e32 v[24:25], v[177:178], v[24:25]
	scratch_load_b128 v[18:21], off, off offset:800
	s_wait_loadcnt_dscnt 0x900
	v_mul_f64_e32 v[197:198], v[2:3], v[28:29]
	v_mul_f64_e32 v[28:29], v[4:5], v[28:29]
	v_add_f64_e32 v[187:188], v[187:188], v[183:184]
	v_add_f64_e32 v[189:190], v[189:190], v[185:186]
	ds_load_b128 v[183:186], v1 offset:1696
	v_fma_f64 v[177:178], v[177:178], v[22:23], v[191:192]
	v_fma_f64 v[175:176], v[175:176], v[22:23], -v[24:25]
	scratch_load_b128 v[22:25], off, off offset:816
	v_add_f64_e32 v[187:188], v[187:188], v[195:196]
	v_add_f64_e32 v[189:190], v[189:190], v[193:194]
	v_fma_f64 v[193:194], v[4:5], v[26:27], v[197:198]
	v_fma_f64 v[195:196], v[2:3], v[26:27], -v[28:29]
	ds_load_b128 v[2:5], v1 offset:1712
	s_wait_loadcnt_dscnt 0x901
	v_mul_f64_e32 v[191:192], v[183:184], v[32:33]
	v_mul_f64_e32 v[32:33], v[185:186], v[32:33]
	scratch_load_b128 v[26:29], off, off offset:832
	s_wait_loadcnt_dscnt 0x900
	v_mul_f64_e32 v[197:198], v[2:3], v[40:41]
	v_mul_f64_e32 v[40:41], v[4:5], v[40:41]
	v_add_f64_e32 v[187:188], v[187:188], v[175:176]
	v_add_f64_e32 v[189:190], v[189:190], v[177:178]
	ds_load_b128 v[175:178], v1 offset:1728
	v_fma_f64 v[185:186], v[185:186], v[30:31], v[191:192]
	v_fma_f64 v[183:184], v[183:184], v[30:31], -v[32:33]
	scratch_load_b128 v[30:33], off, off offset:848
	v_add_f64_e32 v[187:188], v[187:188], v[195:196]
	v_add_f64_e32 v[189:190], v[189:190], v[193:194]
	v_fma_f64 v[195:196], v[4:5], v[38:39], v[197:198]
	v_fma_f64 v[197:198], v[2:3], v[38:39], -v[40:41]
	ds_load_b128 v[2:5], v1 offset:1744
	s_wait_loadcnt_dscnt 0x801
	v_mul_f64_e32 v[191:192], v[175:176], v[181:182]
	v_mul_f64_e32 v[193:194], v[177:178], v[181:182]
	scratch_load_b128 v[38:41], off, off offset:864
	v_add_f64_e32 v[187:188], v[187:188], v[183:184]
	v_add_f64_e32 v[185:186], v[189:190], v[185:186]
	ds_load_b128 v[181:184], v1 offset:1760
	v_fma_f64 v[191:192], v[177:178], v[179:180], v[191:192]
	v_fma_f64 v[179:180], v[175:176], v[179:180], -v[193:194]
	scratch_load_b128 v[175:178], off, off offset:880
	s_wait_loadcnt_dscnt 0x901
	v_mul_f64_e32 v[189:190], v[2:3], v[36:37]
	v_mul_f64_e32 v[36:37], v[4:5], v[36:37]
	v_add_f64_e32 v[187:188], v[187:188], v[197:198]
	v_add_f64_e32 v[185:186], v[185:186], v[195:196]
	s_delay_alu instid0(VALU_DEP_4) | instskip(NEXT) | instid1(VALU_DEP_4)
	v_fma_f64 v[189:190], v[4:5], v[34:35], v[189:190]
	v_fma_f64 v[195:196], v[2:3], v[34:35], -v[36:37]
	ds_load_b128 v[2:5], v1 offset:1776
	s_wait_loadcnt_dscnt 0x801
	v_mul_f64_e32 v[193:194], v[181:182], v[8:9]
	v_mul_f64_e32 v[8:9], v[183:184], v[8:9]
	scratch_load_b128 v[34:37], off, off offset:896
	s_wait_loadcnt_dscnt 0x800
	v_mul_f64_e32 v[197:198], v[2:3], v[12:13]
	v_add_f64_e32 v[179:180], v[187:188], v[179:180]
	v_add_f64_e32 v[191:192], v[185:186], v[191:192]
	v_mul_f64_e32 v[12:13], v[4:5], v[12:13]
	ds_load_b128 v[185:188], v1 offset:1792
	v_fma_f64 v[183:184], v[183:184], v[6:7], v[193:194]
	v_fma_f64 v[181:182], v[181:182], v[6:7], -v[8:9]
	scratch_load_b128 v[6:9], off, off offset:912
	v_fma_f64 v[193:194], v[4:5], v[10:11], v[197:198]
	v_add_f64_e32 v[179:180], v[179:180], v[195:196]
	v_add_f64_e32 v[189:190], v[191:192], v[189:190]
	v_fma_f64 v[195:196], v[2:3], v[10:11], -v[12:13]
	ds_load_b128 v[2:5], v1 offset:1808
	s_wait_loadcnt_dscnt 0x801
	v_mul_f64_e32 v[191:192], v[185:186], v[16:17]
	v_mul_f64_e32 v[16:17], v[187:188], v[16:17]
	scratch_load_b128 v[10:13], off, off offset:928
	v_add_f64_e32 v[197:198], v[179:180], v[181:182]
	v_add_f64_e32 v[183:184], v[189:190], v[183:184]
	s_wait_loadcnt_dscnt 0x800
	v_mul_f64_e32 v[189:190], v[2:3], v[20:21]
	v_mul_f64_e32 v[20:21], v[4:5], v[20:21]
	v_fma_f64 v[187:188], v[187:188], v[14:15], v[191:192]
	v_fma_f64 v[185:186], v[185:186], v[14:15], -v[16:17]
	ds_load_b128 v[179:182], v1 offset:1824
	scratch_load_b128 v[14:17], off, off offset:944
	v_add_f64_e32 v[191:192], v[197:198], v[195:196]
	v_add_f64_e32 v[183:184], v[183:184], v[193:194]
	v_fma_f64 v[189:190], v[4:5], v[18:19], v[189:190]
	v_fma_f64 v[195:196], v[2:3], v[18:19], -v[20:21]
	ds_load_b128 v[2:5], v1 offset:1840
	s_wait_loadcnt_dscnt 0x801
	v_mul_f64_e32 v[193:194], v[179:180], v[24:25]
	v_mul_f64_e32 v[24:25], v[181:182], v[24:25]
	scratch_load_b128 v[18:21], off, off offset:960
	s_wait_loadcnt_dscnt 0x800
	v_mul_f64_e32 v[197:198], v[2:3], v[28:29]
	v_mul_f64_e32 v[28:29], v[4:5], v[28:29]
	v_add_f64_e32 v[191:192], v[191:192], v[185:186]
	v_add_f64_e32 v[187:188], v[183:184], v[187:188]
	ds_load_b128 v[183:186], v1 offset:1856
	v_fma_f64 v[181:182], v[181:182], v[22:23], v[193:194]
	v_fma_f64 v[179:180], v[179:180], v[22:23], -v[24:25]
	scratch_load_b128 v[22:25], off, off offset:976
	v_fma_f64 v[193:194], v[4:5], v[26:27], v[197:198]
	v_add_f64_e32 v[191:192], v[191:192], v[195:196]
	v_add_f64_e32 v[187:188], v[187:188], v[189:190]
	v_fma_f64 v[195:196], v[2:3], v[26:27], -v[28:29]
	ds_load_b128 v[2:5], v1 offset:1872
	s_wait_loadcnt_dscnt 0x801
	v_mul_f64_e32 v[189:190], v[183:184], v[32:33]
	v_mul_f64_e32 v[32:33], v[185:186], v[32:33]
	scratch_load_b128 v[26:29], off, off offset:992
	s_wait_loadcnt_dscnt 0x800
	v_mul_f64_e32 v[197:198], v[2:3], v[40:41]
	v_mul_f64_e32 v[40:41], v[4:5], v[40:41]
	v_add_f64_e32 v[191:192], v[191:192], v[179:180]
	v_add_f64_e32 v[187:188], v[187:188], v[181:182]
	ds_load_b128 v[179:182], v1 offset:1888
	v_fma_f64 v[185:186], v[185:186], v[30:31], v[189:190]
	v_fma_f64 v[183:184], v[183:184], v[30:31], -v[32:33]
	scratch_load_b128 v[30:33], off, off offset:1008
	v_add_f64_e32 v[189:190], v[191:192], v[195:196]
	v_add_f64_e32 v[187:188], v[187:188], v[193:194]
	v_fma_f64 v[193:194], v[4:5], v[38:39], v[197:198]
	v_fma_f64 v[195:196], v[2:3], v[38:39], -v[40:41]
	ds_load_b128 v[2:5], v1 offset:1904
	s_wait_loadcnt_dscnt 0x801
	v_mul_f64_e32 v[191:192], v[179:180], v[177:178]
	v_mul_f64_e32 v[177:178], v[181:182], v[177:178]
	scratch_load_b128 v[38:41], off, off offset:1024
	s_wait_loadcnt_dscnt 0x800
	v_mul_f64_e32 v[197:198], v[2:3], v[36:37]
	v_mul_f64_e32 v[36:37], v[4:5], v[36:37]
	v_add_f64_e32 v[189:190], v[189:190], v[183:184]
	v_add_f64_e32 v[187:188], v[187:188], v[185:186]
	ds_load_b128 v[183:186], v1 offset:1920
	v_fma_f64 v[181:182], v[181:182], v[175:176], v[191:192]
	v_fma_f64 v[175:176], v[179:180], v[175:176], -v[177:178]
	v_fma_f64 v[191:192], v[2:3], v[34:35], -v[36:37]
	v_add_f64_e32 v[177:178], v[189:190], v[195:196]
	v_add_f64_e32 v[179:180], v[187:188], v[193:194]
	s_wait_loadcnt_dscnt 0x700
	v_mul_f64_e32 v[187:188], v[183:184], v[8:9]
	v_mul_f64_e32 v[8:9], v[185:186], v[8:9]
	v_fma_f64 v[189:190], v[4:5], v[34:35], v[197:198]
	ds_load_b128 v[2:5], v1 offset:1936
	ds_load_b128 v[34:37], v1 offset:1952
	v_add_f64_e32 v[175:176], v[177:178], v[175:176]
	v_add_f64_e32 v[177:178], v[179:180], v[181:182]
	s_wait_loadcnt_dscnt 0x601
	v_mul_f64_e32 v[179:180], v[2:3], v[12:13]
	v_mul_f64_e32 v[12:13], v[4:5], v[12:13]
	v_fma_f64 v[181:182], v[185:186], v[6:7], v[187:188]
	v_fma_f64 v[6:7], v[183:184], v[6:7], -v[8:9]
	v_add_f64_e32 v[8:9], v[175:176], v[191:192]
	v_add_f64_e32 v[175:176], v[177:178], v[189:190]
	s_wait_loadcnt_dscnt 0x500
	v_mul_f64_e32 v[177:178], v[34:35], v[16:17]
	v_mul_f64_e32 v[16:17], v[36:37], v[16:17]
	v_fma_f64 v[179:180], v[4:5], v[10:11], v[179:180]
	v_fma_f64 v[10:11], v[2:3], v[10:11], -v[12:13]
	v_add_f64_e32 v[12:13], v[8:9], v[6:7]
	v_add_f64_e32 v[175:176], v[175:176], v[181:182]
	ds_load_b128 v[2:5], v1 offset:1968
	ds_load_b128 v[6:9], v1 offset:1984
	v_fma_f64 v[36:37], v[36:37], v[14:15], v[177:178]
	v_fma_f64 v[14:15], v[34:35], v[14:15], -v[16:17]
	s_wait_loadcnt_dscnt 0x401
	v_mul_f64_e32 v[181:182], v[2:3], v[20:21]
	v_mul_f64_e32 v[20:21], v[4:5], v[20:21]
	s_wait_loadcnt_dscnt 0x300
	v_mul_f64_e32 v[16:17], v[6:7], v[24:25]
	v_mul_f64_e32 v[24:25], v[8:9], v[24:25]
	v_add_f64_e32 v[10:11], v[12:13], v[10:11]
	v_add_f64_e32 v[12:13], v[175:176], v[179:180]
	v_fma_f64 v[34:35], v[4:5], v[18:19], v[181:182]
	v_fma_f64 v[18:19], v[2:3], v[18:19], -v[20:21]
	v_fma_f64 v[8:9], v[8:9], v[22:23], v[16:17]
	v_fma_f64 v[6:7], v[6:7], v[22:23], -v[24:25]
	v_add_f64_e32 v[14:15], v[10:11], v[14:15]
	v_add_f64_e32 v[20:21], v[12:13], v[36:37]
	ds_load_b128 v[2:5], v1 offset:2000
	ds_load_b128 v[10:13], v1 offset:2016
	s_wait_loadcnt_dscnt 0x201
	v_mul_f64_e32 v[36:37], v[2:3], v[28:29]
	v_mul_f64_e32 v[28:29], v[4:5], v[28:29]
	v_add_f64_e32 v[14:15], v[14:15], v[18:19]
	v_add_f64_e32 v[16:17], v[20:21], v[34:35]
	s_wait_loadcnt_dscnt 0x100
	v_mul_f64_e32 v[18:19], v[10:11], v[32:33]
	v_mul_f64_e32 v[20:21], v[12:13], v[32:33]
	v_fma_f64 v[22:23], v[4:5], v[26:27], v[36:37]
	v_fma_f64 v[24:25], v[2:3], v[26:27], -v[28:29]
	ds_load_b128 v[2:5], v1 offset:2032
	v_add_f64_e32 v[6:7], v[14:15], v[6:7]
	v_add_f64_e32 v[8:9], v[16:17], v[8:9]
	v_fma_f64 v[12:13], v[12:13], v[30:31], v[18:19]
	v_fma_f64 v[10:11], v[10:11], v[30:31], -v[20:21]
	s_wait_loadcnt_dscnt 0x0
	v_mul_f64_e32 v[14:15], v[2:3], v[40:41]
	v_mul_f64_e32 v[16:17], v[4:5], v[40:41]
	v_add_f64_e32 v[6:7], v[6:7], v[24:25]
	v_add_f64_e32 v[8:9], v[8:9], v[22:23]
	s_delay_alu instid0(VALU_DEP_4) | instskip(NEXT) | instid1(VALU_DEP_4)
	v_fma_f64 v[4:5], v[4:5], v[38:39], v[14:15]
	v_fma_f64 v[2:3], v[2:3], v[38:39], -v[16:17]
	s_delay_alu instid0(VALU_DEP_4) | instskip(NEXT) | instid1(VALU_DEP_4)
	v_add_f64_e32 v[6:7], v[6:7], v[10:11]
	v_add_f64_e32 v[8:9], v[8:9], v[12:13]
	s_delay_alu instid0(VALU_DEP_2) | instskip(NEXT) | instid1(VALU_DEP_2)
	v_add_f64_e32 v[2:3], v[6:7], v[2:3]
	v_add_f64_e32 v[4:5], v[8:9], v[4:5]
	s_delay_alu instid0(VALU_DEP_2) | instskip(NEXT) | instid1(VALU_DEP_2)
	v_add_f64_e64 v[2:3], v[42:43], -v[2:3]
	v_add_f64_e64 v[4:5], v[44:45], -v[4:5]
	scratch_store_b128 off, v[2:5], off offset:560
	v_cmpx_lt_u32_e32 33, v0
	s_cbranch_execz .LBB127_343
; %bb.342:
	scratch_load_b128 v[5:8], off, s46
	v_dual_mov_b32 v2, v1 :: v_dual_mov_b32 v3, v1
	v_mov_b32_e32 v4, v1
	scratch_store_b128 off, v[1:4], off offset:544
	s_wait_loadcnt 0x0
	ds_store_b128 v174, v[5:8]
.LBB127_343:
	s_wait_alu 0xfffe
	s_or_b32 exec_lo, exec_lo, s0
	s_wait_storecnt_dscnt 0x0
	s_barrier_signal -1
	s_barrier_wait -1
	global_inv scope:SCOPE_SE
	s_clause 0x8
	scratch_load_b128 v[2:5], off, off offset:560
	scratch_load_b128 v[6:9], off, off offset:576
	;; [unrolled: 1-line block ×9, first 2 shown]
	ds_load_b128 v[38:41], v1 offset:1568
	ds_load_b128 v[42:45], v1 offset:1584
	s_clause 0x1
	scratch_load_b128 v[175:178], off, off offset:544
	scratch_load_b128 v[179:182], off, off offset:704
	s_mov_b32 s0, exec_lo
	s_wait_loadcnt_dscnt 0xa01
	v_mul_f64_e32 v[183:184], v[40:41], v[4:5]
	v_mul_f64_e32 v[4:5], v[38:39], v[4:5]
	s_wait_loadcnt_dscnt 0x900
	v_mul_f64_e32 v[187:188], v[42:43], v[8:9]
	v_mul_f64_e32 v[8:9], v[44:45], v[8:9]
	s_delay_alu instid0(VALU_DEP_4) | instskip(NEXT) | instid1(VALU_DEP_4)
	v_fma_f64 v[189:190], v[38:39], v[2:3], -v[183:184]
	v_fma_f64 v[191:192], v[40:41], v[2:3], v[4:5]
	ds_load_b128 v[2:5], v1 offset:1600
	ds_load_b128 v[183:186], v1 offset:1616
	scratch_load_b128 v[38:41], off, off offset:720
	v_fma_f64 v[44:45], v[44:45], v[6:7], v[187:188]
	v_fma_f64 v[42:43], v[42:43], v[6:7], -v[8:9]
	scratch_load_b128 v[6:9], off, off offset:736
	s_wait_loadcnt_dscnt 0xa01
	v_mul_f64_e32 v[193:194], v[2:3], v[12:13]
	v_mul_f64_e32 v[12:13], v[4:5], v[12:13]
	v_add_f64_e32 v[187:188], 0, v[189:190]
	v_add_f64_e32 v[189:190], 0, v[191:192]
	s_wait_loadcnt_dscnt 0x900
	v_mul_f64_e32 v[191:192], v[183:184], v[16:17]
	v_mul_f64_e32 v[16:17], v[185:186], v[16:17]
	v_fma_f64 v[193:194], v[4:5], v[10:11], v[193:194]
	v_fma_f64 v[195:196], v[2:3], v[10:11], -v[12:13]
	ds_load_b128 v[2:5], v1 offset:1632
	scratch_load_b128 v[10:13], off, off offset:752
	v_add_f64_e32 v[187:188], v[187:188], v[42:43]
	v_add_f64_e32 v[189:190], v[189:190], v[44:45]
	ds_load_b128 v[42:45], v1 offset:1648
	v_fma_f64 v[185:186], v[185:186], v[14:15], v[191:192]
	v_fma_f64 v[183:184], v[183:184], v[14:15], -v[16:17]
	scratch_load_b128 v[14:17], off, off offset:768
	s_wait_loadcnt_dscnt 0xa01
	v_mul_f64_e32 v[197:198], v[2:3], v[20:21]
	v_mul_f64_e32 v[20:21], v[4:5], v[20:21]
	s_wait_loadcnt_dscnt 0x900
	v_mul_f64_e32 v[191:192], v[42:43], v[24:25]
	v_mul_f64_e32 v[24:25], v[44:45], v[24:25]
	v_add_f64_e32 v[187:188], v[187:188], v[195:196]
	v_add_f64_e32 v[189:190], v[189:190], v[193:194]
	v_fma_f64 v[193:194], v[4:5], v[18:19], v[197:198]
	v_fma_f64 v[195:196], v[2:3], v[18:19], -v[20:21]
	ds_load_b128 v[2:5], v1 offset:1664
	scratch_load_b128 v[18:21], off, off offset:784
	v_fma_f64 v[44:45], v[44:45], v[22:23], v[191:192]
	v_fma_f64 v[42:43], v[42:43], v[22:23], -v[24:25]
	scratch_load_b128 v[22:25], off, off offset:800
	v_add_f64_e32 v[187:188], v[187:188], v[183:184]
	v_add_f64_e32 v[189:190], v[189:190], v[185:186]
	ds_load_b128 v[183:186], v1 offset:1680
	s_wait_loadcnt_dscnt 0xa01
	v_mul_f64_e32 v[197:198], v[2:3], v[28:29]
	v_mul_f64_e32 v[28:29], v[4:5], v[28:29]
	s_wait_loadcnt_dscnt 0x900
	v_mul_f64_e32 v[191:192], v[183:184], v[32:33]
	v_mul_f64_e32 v[32:33], v[185:186], v[32:33]
	v_add_f64_e32 v[187:188], v[187:188], v[195:196]
	v_add_f64_e32 v[189:190], v[189:190], v[193:194]
	v_fma_f64 v[193:194], v[4:5], v[26:27], v[197:198]
	v_fma_f64 v[195:196], v[2:3], v[26:27], -v[28:29]
	ds_load_b128 v[2:5], v1 offset:1696
	scratch_load_b128 v[26:29], off, off offset:816
	v_fma_f64 v[185:186], v[185:186], v[30:31], v[191:192]
	v_fma_f64 v[183:184], v[183:184], v[30:31], -v[32:33]
	scratch_load_b128 v[30:33], off, off offset:832
	v_add_f64_e32 v[187:188], v[187:188], v[42:43]
	v_add_f64_e32 v[189:190], v[189:190], v[44:45]
	ds_load_b128 v[42:45], v1 offset:1712
	s_wait_loadcnt_dscnt 0xa01
	v_mul_f64_e32 v[197:198], v[2:3], v[36:37]
	v_mul_f64_e32 v[36:37], v[4:5], v[36:37]
	s_wait_loadcnt_dscnt 0x800
	v_mul_f64_e32 v[191:192], v[42:43], v[181:182]
	v_add_f64_e32 v[187:188], v[187:188], v[195:196]
	v_add_f64_e32 v[189:190], v[189:190], v[193:194]
	v_mul_f64_e32 v[193:194], v[44:45], v[181:182]
	v_fma_f64 v[195:196], v[4:5], v[34:35], v[197:198]
	v_fma_f64 v[197:198], v[2:3], v[34:35], -v[36:37]
	ds_load_b128 v[2:5], v1 offset:1728
	scratch_load_b128 v[34:37], off, off offset:848
	v_fma_f64 v[44:45], v[44:45], v[179:180], v[191:192]
	v_add_f64_e32 v[187:188], v[187:188], v[183:184]
	v_add_f64_e32 v[185:186], v[189:190], v[185:186]
	ds_load_b128 v[181:184], v1 offset:1744
	v_fma_f64 v[179:180], v[42:43], v[179:180], -v[193:194]
	s_wait_loadcnt_dscnt 0x801
	v_mul_f64_e32 v[189:190], v[2:3], v[40:41]
	v_mul_f64_e32 v[199:200], v[4:5], v[40:41]
	scratch_load_b128 v[40:43], off, off offset:864
	s_wait_loadcnt_dscnt 0x800
	v_mul_f64_e32 v[193:194], v[181:182], v[8:9]
	v_mul_f64_e32 v[8:9], v[183:184], v[8:9]
	v_add_f64_e32 v[187:188], v[187:188], v[197:198]
	v_add_f64_e32 v[185:186], v[185:186], v[195:196]
	v_fma_f64 v[195:196], v[4:5], v[38:39], v[189:190]
	v_fma_f64 v[38:39], v[2:3], v[38:39], -v[199:200]
	ds_load_b128 v[2:5], v1 offset:1760
	ds_load_b128 v[189:192], v1 offset:1776
	v_fma_f64 v[183:184], v[183:184], v[6:7], v[193:194]
	v_fma_f64 v[181:182], v[181:182], v[6:7], -v[8:9]
	scratch_load_b128 v[6:9], off, off offset:896
	v_add_f64_e32 v[179:180], v[187:188], v[179:180]
	v_add_f64_e32 v[44:45], v[185:186], v[44:45]
	scratch_load_b128 v[185:188], off, off offset:880
	s_wait_loadcnt_dscnt 0x901
	v_mul_f64_e32 v[197:198], v[2:3], v[12:13]
	v_mul_f64_e32 v[12:13], v[4:5], v[12:13]
	s_wait_loadcnt_dscnt 0x800
	v_mul_f64_e32 v[193:194], v[189:190], v[16:17]
	v_mul_f64_e32 v[16:17], v[191:192], v[16:17]
	v_add_f64_e32 v[38:39], v[179:180], v[38:39]
	v_add_f64_e32 v[44:45], v[44:45], v[195:196]
	v_fma_f64 v[195:196], v[4:5], v[10:11], v[197:198]
	v_fma_f64 v[197:198], v[2:3], v[10:11], -v[12:13]
	ds_load_b128 v[2:5], v1 offset:1792
	scratch_load_b128 v[10:13], off, off offset:912
	v_fma_f64 v[191:192], v[191:192], v[14:15], v[193:194]
	v_fma_f64 v[189:190], v[189:190], v[14:15], -v[16:17]
	scratch_load_b128 v[14:17], off, off offset:928
	v_add_f64_e32 v[38:39], v[38:39], v[181:182]
	v_add_f64_e32 v[44:45], v[44:45], v[183:184]
	ds_load_b128 v[179:182], v1 offset:1808
	s_wait_loadcnt_dscnt 0x901
	v_mul_f64_e32 v[183:184], v[2:3], v[20:21]
	v_mul_f64_e32 v[20:21], v[4:5], v[20:21]
	s_wait_loadcnt_dscnt 0x800
	v_mul_f64_e32 v[193:194], v[179:180], v[24:25]
	v_mul_f64_e32 v[24:25], v[181:182], v[24:25]
	v_add_f64_e32 v[38:39], v[38:39], v[197:198]
	v_add_f64_e32 v[44:45], v[44:45], v[195:196]
	v_fma_f64 v[183:184], v[4:5], v[18:19], v[183:184]
	v_fma_f64 v[195:196], v[2:3], v[18:19], -v[20:21]
	ds_load_b128 v[2:5], v1 offset:1824
	scratch_load_b128 v[18:21], off, off offset:944
	v_fma_f64 v[181:182], v[181:182], v[22:23], v[193:194]
	v_fma_f64 v[179:180], v[179:180], v[22:23], -v[24:25]
	scratch_load_b128 v[22:25], off, off offset:960
	v_add_f64_e32 v[38:39], v[38:39], v[189:190]
	v_add_f64_e32 v[44:45], v[44:45], v[191:192]
	ds_load_b128 v[189:192], v1 offset:1840
	s_wait_loadcnt_dscnt 0x901
	v_mul_f64_e32 v[197:198], v[2:3], v[28:29]
	v_mul_f64_e32 v[28:29], v[4:5], v[28:29]
	v_add_f64_e32 v[38:39], v[38:39], v[195:196]
	v_add_f64_e32 v[44:45], v[44:45], v[183:184]
	s_wait_loadcnt_dscnt 0x800
	v_mul_f64_e32 v[183:184], v[189:190], v[32:33]
	v_mul_f64_e32 v[32:33], v[191:192], v[32:33]
	v_fma_f64 v[193:194], v[4:5], v[26:27], v[197:198]
	v_fma_f64 v[195:196], v[2:3], v[26:27], -v[28:29]
	ds_load_b128 v[2:5], v1 offset:1856
	scratch_load_b128 v[26:29], off, off offset:976
	v_add_f64_e32 v[38:39], v[38:39], v[179:180]
	v_add_f64_e32 v[44:45], v[44:45], v[181:182]
	ds_load_b128 v[179:182], v1 offset:1872
	s_wait_loadcnt_dscnt 0x801
	v_mul_f64_e32 v[197:198], v[2:3], v[36:37]
	v_mul_f64_e32 v[36:37], v[4:5], v[36:37]
	v_fma_f64 v[183:184], v[191:192], v[30:31], v[183:184]
	v_fma_f64 v[189:190], v[189:190], v[30:31], -v[32:33]
	scratch_load_b128 v[30:33], off, off offset:992
	s_wait_loadcnt_dscnt 0x800
	v_mul_f64_e32 v[191:192], v[179:180], v[42:43]
	v_add_f64_e32 v[38:39], v[38:39], v[195:196]
	v_add_f64_e32 v[44:45], v[44:45], v[193:194]
	v_mul_f64_e32 v[193:194], v[181:182], v[42:43]
	v_fma_f64 v[195:196], v[4:5], v[34:35], v[197:198]
	v_fma_f64 v[197:198], v[2:3], v[34:35], -v[36:37]
	ds_load_b128 v[2:5], v1 offset:1888
	scratch_load_b128 v[34:37], off, off offset:1008
	v_fma_f64 v[181:182], v[181:182], v[40:41], v[191:192]
	v_add_f64_e32 v[38:39], v[38:39], v[189:190]
	v_add_f64_e32 v[183:184], v[44:45], v[183:184]
	ds_load_b128 v[42:45], v1 offset:1904
	v_fma_f64 v[179:180], v[179:180], v[40:41], -v[193:194]
	s_wait_loadcnt_dscnt 0x701
	v_mul_f64_e32 v[189:190], v[2:3], v[187:188]
	v_mul_f64_e32 v[187:188], v[4:5], v[187:188]
	s_wait_dscnt 0x0
	v_mul_f64_e32 v[193:194], v[42:43], v[8:9]
	v_mul_f64_e32 v[8:9], v[44:45], v[8:9]
	v_add_f64_e32 v[191:192], v[38:39], v[197:198]
	v_add_f64_e32 v[183:184], v[183:184], v[195:196]
	scratch_load_b128 v[38:41], off, off offset:1024
	v_fma_f64 v[189:190], v[4:5], v[185:186], v[189:190]
	v_fma_f64 v[185:186], v[2:3], v[185:186], -v[187:188]
	v_fma_f64 v[44:45], v[44:45], v[6:7], v[193:194]
	v_fma_f64 v[6:7], v[42:43], v[6:7], -v[8:9]
	v_add_f64_e32 v[187:188], v[191:192], v[179:180]
	v_add_f64_e32 v[183:184], v[183:184], v[181:182]
	ds_load_b128 v[2:5], v1 offset:1920
	ds_load_b128 v[179:182], v1 offset:1936
	s_wait_loadcnt_dscnt 0x701
	v_mul_f64_e32 v[191:192], v[2:3], v[12:13]
	v_mul_f64_e32 v[12:13], v[4:5], v[12:13]
	v_add_f64_e32 v[8:9], v[187:188], v[185:186]
	v_add_f64_e32 v[42:43], v[183:184], v[189:190]
	s_wait_loadcnt_dscnt 0x600
	v_mul_f64_e32 v[183:184], v[179:180], v[16:17]
	v_mul_f64_e32 v[16:17], v[181:182], v[16:17]
	v_fma_f64 v[185:186], v[4:5], v[10:11], v[191:192]
	v_fma_f64 v[10:11], v[2:3], v[10:11], -v[12:13]
	v_add_f64_e32 v[12:13], v[8:9], v[6:7]
	v_add_f64_e32 v[42:43], v[42:43], v[44:45]
	ds_load_b128 v[2:5], v1 offset:1952
	ds_load_b128 v[6:9], v1 offset:1968
	v_fma_f64 v[181:182], v[181:182], v[14:15], v[183:184]
	v_fma_f64 v[14:15], v[179:180], v[14:15], -v[16:17]
	s_wait_loadcnt_dscnt 0x501
	v_mul_f64_e32 v[44:45], v[2:3], v[20:21]
	v_mul_f64_e32 v[20:21], v[4:5], v[20:21]
	s_wait_loadcnt_dscnt 0x400
	v_mul_f64_e32 v[16:17], v[6:7], v[24:25]
	v_mul_f64_e32 v[24:25], v[8:9], v[24:25]
	v_add_f64_e32 v[10:11], v[12:13], v[10:11]
	v_add_f64_e32 v[12:13], v[42:43], v[185:186]
	v_fma_f64 v[42:43], v[4:5], v[18:19], v[44:45]
	v_fma_f64 v[18:19], v[2:3], v[18:19], -v[20:21]
	v_fma_f64 v[8:9], v[8:9], v[22:23], v[16:17]
	v_fma_f64 v[6:7], v[6:7], v[22:23], -v[24:25]
	v_add_f64_e32 v[14:15], v[10:11], v[14:15]
	v_add_f64_e32 v[20:21], v[12:13], v[181:182]
	ds_load_b128 v[2:5], v1 offset:1984
	ds_load_b128 v[10:13], v1 offset:2000
	s_wait_loadcnt_dscnt 0x301
	v_mul_f64_e32 v[44:45], v[2:3], v[28:29]
	v_mul_f64_e32 v[28:29], v[4:5], v[28:29]
	v_add_f64_e32 v[14:15], v[14:15], v[18:19]
	v_add_f64_e32 v[16:17], v[20:21], v[42:43]
	s_wait_loadcnt_dscnt 0x200
	v_mul_f64_e32 v[18:19], v[10:11], v[32:33]
	v_mul_f64_e32 v[20:21], v[12:13], v[32:33]
	v_fma_f64 v[22:23], v[4:5], v[26:27], v[44:45]
	v_fma_f64 v[24:25], v[2:3], v[26:27], -v[28:29]
	v_add_f64_e32 v[14:15], v[14:15], v[6:7]
	v_add_f64_e32 v[16:17], v[16:17], v[8:9]
	ds_load_b128 v[2:5], v1 offset:2016
	ds_load_b128 v[6:9], v1 offset:2032
	v_fma_f64 v[12:13], v[12:13], v[30:31], v[18:19]
	v_fma_f64 v[10:11], v[10:11], v[30:31], -v[20:21]
	s_wait_loadcnt_dscnt 0x101
	v_mul_f64_e32 v[26:27], v[2:3], v[36:37]
	v_mul_f64_e32 v[28:29], v[4:5], v[36:37]
	v_add_f64_e32 v[14:15], v[14:15], v[24:25]
	v_add_f64_e32 v[16:17], v[16:17], v[22:23]
	s_wait_loadcnt_dscnt 0x0
	v_mul_f64_e32 v[18:19], v[6:7], v[40:41]
	v_mul_f64_e32 v[20:21], v[8:9], v[40:41]
	v_fma_f64 v[4:5], v[4:5], v[34:35], v[26:27]
	v_fma_f64 v[1:2], v[2:3], v[34:35], -v[28:29]
	v_add_f64_e32 v[10:11], v[14:15], v[10:11]
	v_add_f64_e32 v[12:13], v[16:17], v[12:13]
	v_fma_f64 v[8:9], v[8:9], v[38:39], v[18:19]
	v_fma_f64 v[6:7], v[6:7], v[38:39], -v[20:21]
	s_delay_alu instid0(VALU_DEP_4) | instskip(NEXT) | instid1(VALU_DEP_4)
	v_add_f64_e32 v[1:2], v[10:11], v[1:2]
	v_add_f64_e32 v[3:4], v[12:13], v[4:5]
	s_delay_alu instid0(VALU_DEP_2) | instskip(NEXT) | instid1(VALU_DEP_2)
	v_add_f64_e32 v[1:2], v[1:2], v[6:7]
	v_add_f64_e32 v[3:4], v[3:4], v[8:9]
	s_delay_alu instid0(VALU_DEP_2) | instskip(NEXT) | instid1(VALU_DEP_2)
	v_add_f64_e64 v[1:2], v[175:176], -v[1:2]
	v_add_f64_e64 v[3:4], v[177:178], -v[3:4]
	scratch_store_b128 off, v[1:4], off offset:544
	v_cmpx_lt_u32_e32 32, v0
	s_cbranch_execz .LBB127_345
; %bb.344:
	scratch_load_b128 v[1:4], off, s47
	v_mov_b32_e32 v5, 0
	s_delay_alu instid0(VALU_DEP_1)
	v_dual_mov_b32 v6, v5 :: v_dual_mov_b32 v7, v5
	v_mov_b32_e32 v8, v5
	scratch_store_b128 off, v[5:8], off offset:528
	s_wait_loadcnt 0x0
	ds_store_b128 v174, v[1:4]
.LBB127_345:
	s_wait_alu 0xfffe
	s_or_b32 exec_lo, exec_lo, s0
	s_wait_storecnt_dscnt 0x0
	s_barrier_signal -1
	s_barrier_wait -1
	global_inv scope:SCOPE_SE
	s_clause 0x7
	scratch_load_b128 v[2:5], off, off offset:544
	scratch_load_b128 v[6:9], off, off offset:560
	;; [unrolled: 1-line block ×8, first 2 shown]
	v_mov_b32_e32 v1, 0
	s_mov_b32 s0, exec_lo
	ds_load_b128 v[34:37], v1 offset:1552
	s_clause 0x1
	scratch_load_b128 v[38:41], off, off offset:672
	scratch_load_b128 v[42:45], off, off offset:528
	ds_load_b128 v[175:178], v1 offset:1568
	scratch_load_b128 v[179:182], off, off offset:688
	s_wait_loadcnt_dscnt 0xa01
	v_mul_f64_e32 v[183:184], v[36:37], v[4:5]
	v_mul_f64_e32 v[4:5], v[34:35], v[4:5]
	s_delay_alu instid0(VALU_DEP_2) | instskip(NEXT) | instid1(VALU_DEP_2)
	v_fma_f64 v[189:190], v[34:35], v[2:3], -v[183:184]
	v_fma_f64 v[191:192], v[36:37], v[2:3], v[4:5]
	ds_load_b128 v[2:5], v1 offset:1584
	s_wait_loadcnt_dscnt 0x901
	v_mul_f64_e32 v[187:188], v[175:176], v[8:9]
	v_mul_f64_e32 v[8:9], v[177:178], v[8:9]
	scratch_load_b128 v[34:37], off, off offset:704
	ds_load_b128 v[183:186], v1 offset:1600
	s_wait_loadcnt_dscnt 0x901
	v_mul_f64_e32 v[193:194], v[2:3], v[12:13]
	v_mul_f64_e32 v[12:13], v[4:5], v[12:13]
	v_fma_f64 v[177:178], v[177:178], v[6:7], v[187:188]
	v_fma_f64 v[175:176], v[175:176], v[6:7], -v[8:9]
	v_add_f64_e32 v[187:188], 0, v[189:190]
	v_add_f64_e32 v[189:190], 0, v[191:192]
	scratch_load_b128 v[6:9], off, off offset:720
	v_fma_f64 v[193:194], v[4:5], v[10:11], v[193:194]
	v_fma_f64 v[195:196], v[2:3], v[10:11], -v[12:13]
	ds_load_b128 v[2:5], v1 offset:1616
	s_wait_loadcnt_dscnt 0x901
	v_mul_f64_e32 v[191:192], v[183:184], v[16:17]
	v_mul_f64_e32 v[16:17], v[185:186], v[16:17]
	scratch_load_b128 v[10:13], off, off offset:736
	v_add_f64_e32 v[187:188], v[187:188], v[175:176]
	v_add_f64_e32 v[189:190], v[189:190], v[177:178]
	s_wait_loadcnt_dscnt 0x900
	v_mul_f64_e32 v[197:198], v[2:3], v[20:21]
	v_mul_f64_e32 v[20:21], v[4:5], v[20:21]
	ds_load_b128 v[175:178], v1 offset:1632
	v_fma_f64 v[185:186], v[185:186], v[14:15], v[191:192]
	v_fma_f64 v[183:184], v[183:184], v[14:15], -v[16:17]
	scratch_load_b128 v[14:17], off, off offset:752
	v_add_f64_e32 v[187:188], v[187:188], v[195:196]
	v_add_f64_e32 v[189:190], v[189:190], v[193:194]
	v_fma_f64 v[193:194], v[4:5], v[18:19], v[197:198]
	v_fma_f64 v[195:196], v[2:3], v[18:19], -v[20:21]
	ds_load_b128 v[2:5], v1 offset:1648
	s_wait_loadcnt_dscnt 0x901
	v_mul_f64_e32 v[191:192], v[175:176], v[24:25]
	v_mul_f64_e32 v[24:25], v[177:178], v[24:25]
	scratch_load_b128 v[18:21], off, off offset:768
	s_wait_loadcnt_dscnt 0x900
	v_mul_f64_e32 v[197:198], v[2:3], v[28:29]
	v_mul_f64_e32 v[28:29], v[4:5], v[28:29]
	v_add_f64_e32 v[187:188], v[187:188], v[183:184]
	v_add_f64_e32 v[189:190], v[189:190], v[185:186]
	ds_load_b128 v[183:186], v1 offset:1664
	v_fma_f64 v[177:178], v[177:178], v[22:23], v[191:192]
	v_fma_f64 v[175:176], v[175:176], v[22:23], -v[24:25]
	scratch_load_b128 v[22:25], off, off offset:784
	v_add_f64_e32 v[187:188], v[187:188], v[195:196]
	v_add_f64_e32 v[189:190], v[189:190], v[193:194]
	v_fma_f64 v[193:194], v[4:5], v[26:27], v[197:198]
	v_fma_f64 v[195:196], v[2:3], v[26:27], -v[28:29]
	ds_load_b128 v[2:5], v1 offset:1680
	s_wait_loadcnt_dscnt 0x901
	v_mul_f64_e32 v[191:192], v[183:184], v[32:33]
	v_mul_f64_e32 v[32:33], v[185:186], v[32:33]
	scratch_load_b128 v[26:29], off, off offset:800
	s_wait_loadcnt_dscnt 0x900
	v_mul_f64_e32 v[197:198], v[2:3], v[40:41]
	v_mul_f64_e32 v[40:41], v[4:5], v[40:41]
	v_add_f64_e32 v[187:188], v[187:188], v[175:176]
	v_add_f64_e32 v[189:190], v[189:190], v[177:178]
	ds_load_b128 v[175:178], v1 offset:1696
	v_fma_f64 v[185:186], v[185:186], v[30:31], v[191:192]
	v_fma_f64 v[183:184], v[183:184], v[30:31], -v[32:33]
	scratch_load_b128 v[30:33], off, off offset:816
	v_add_f64_e32 v[187:188], v[187:188], v[195:196]
	v_add_f64_e32 v[189:190], v[189:190], v[193:194]
	v_fma_f64 v[195:196], v[4:5], v[38:39], v[197:198]
	v_fma_f64 v[197:198], v[2:3], v[38:39], -v[40:41]
	ds_load_b128 v[2:5], v1 offset:1712
	s_wait_loadcnt_dscnt 0x801
	v_mul_f64_e32 v[191:192], v[175:176], v[181:182]
	v_mul_f64_e32 v[193:194], v[177:178], v[181:182]
	scratch_load_b128 v[38:41], off, off offset:832
	v_add_f64_e32 v[187:188], v[187:188], v[183:184]
	v_add_f64_e32 v[185:186], v[189:190], v[185:186]
	ds_load_b128 v[181:184], v1 offset:1728
	v_fma_f64 v[191:192], v[177:178], v[179:180], v[191:192]
	v_fma_f64 v[179:180], v[175:176], v[179:180], -v[193:194]
	scratch_load_b128 v[175:178], off, off offset:848
	s_wait_loadcnt_dscnt 0x901
	v_mul_f64_e32 v[189:190], v[2:3], v[36:37]
	v_mul_f64_e32 v[36:37], v[4:5], v[36:37]
	v_add_f64_e32 v[187:188], v[187:188], v[197:198]
	v_add_f64_e32 v[185:186], v[185:186], v[195:196]
	s_delay_alu instid0(VALU_DEP_4) | instskip(NEXT) | instid1(VALU_DEP_4)
	v_fma_f64 v[189:190], v[4:5], v[34:35], v[189:190]
	v_fma_f64 v[195:196], v[2:3], v[34:35], -v[36:37]
	ds_load_b128 v[2:5], v1 offset:1744
	s_wait_loadcnt_dscnt 0x801
	v_mul_f64_e32 v[193:194], v[181:182], v[8:9]
	v_mul_f64_e32 v[8:9], v[183:184], v[8:9]
	scratch_load_b128 v[34:37], off, off offset:864
	s_wait_loadcnt_dscnt 0x800
	v_mul_f64_e32 v[197:198], v[2:3], v[12:13]
	v_add_f64_e32 v[179:180], v[187:188], v[179:180]
	v_add_f64_e32 v[191:192], v[185:186], v[191:192]
	v_mul_f64_e32 v[12:13], v[4:5], v[12:13]
	ds_load_b128 v[185:188], v1 offset:1760
	v_fma_f64 v[183:184], v[183:184], v[6:7], v[193:194]
	v_fma_f64 v[181:182], v[181:182], v[6:7], -v[8:9]
	scratch_load_b128 v[6:9], off, off offset:880
	v_fma_f64 v[193:194], v[4:5], v[10:11], v[197:198]
	v_add_f64_e32 v[179:180], v[179:180], v[195:196]
	v_add_f64_e32 v[189:190], v[191:192], v[189:190]
	v_fma_f64 v[195:196], v[2:3], v[10:11], -v[12:13]
	ds_load_b128 v[2:5], v1 offset:1776
	s_wait_loadcnt_dscnt 0x801
	v_mul_f64_e32 v[191:192], v[185:186], v[16:17]
	v_mul_f64_e32 v[16:17], v[187:188], v[16:17]
	scratch_load_b128 v[10:13], off, off offset:896
	v_add_f64_e32 v[197:198], v[179:180], v[181:182]
	v_add_f64_e32 v[183:184], v[189:190], v[183:184]
	s_wait_loadcnt_dscnt 0x800
	v_mul_f64_e32 v[189:190], v[2:3], v[20:21]
	v_mul_f64_e32 v[20:21], v[4:5], v[20:21]
	v_fma_f64 v[187:188], v[187:188], v[14:15], v[191:192]
	v_fma_f64 v[185:186], v[185:186], v[14:15], -v[16:17]
	ds_load_b128 v[179:182], v1 offset:1792
	scratch_load_b128 v[14:17], off, off offset:912
	v_add_f64_e32 v[191:192], v[197:198], v[195:196]
	v_add_f64_e32 v[183:184], v[183:184], v[193:194]
	v_fma_f64 v[189:190], v[4:5], v[18:19], v[189:190]
	v_fma_f64 v[195:196], v[2:3], v[18:19], -v[20:21]
	ds_load_b128 v[2:5], v1 offset:1808
	s_wait_loadcnt_dscnt 0x801
	v_mul_f64_e32 v[193:194], v[179:180], v[24:25]
	v_mul_f64_e32 v[24:25], v[181:182], v[24:25]
	scratch_load_b128 v[18:21], off, off offset:928
	s_wait_loadcnt_dscnt 0x800
	v_mul_f64_e32 v[197:198], v[2:3], v[28:29]
	v_mul_f64_e32 v[28:29], v[4:5], v[28:29]
	v_add_f64_e32 v[191:192], v[191:192], v[185:186]
	v_add_f64_e32 v[187:188], v[183:184], v[187:188]
	ds_load_b128 v[183:186], v1 offset:1824
	v_fma_f64 v[181:182], v[181:182], v[22:23], v[193:194]
	v_fma_f64 v[179:180], v[179:180], v[22:23], -v[24:25]
	scratch_load_b128 v[22:25], off, off offset:944
	v_fma_f64 v[193:194], v[4:5], v[26:27], v[197:198]
	v_add_f64_e32 v[191:192], v[191:192], v[195:196]
	v_add_f64_e32 v[187:188], v[187:188], v[189:190]
	v_fma_f64 v[195:196], v[2:3], v[26:27], -v[28:29]
	ds_load_b128 v[2:5], v1 offset:1840
	s_wait_loadcnt_dscnt 0x801
	v_mul_f64_e32 v[189:190], v[183:184], v[32:33]
	v_mul_f64_e32 v[32:33], v[185:186], v[32:33]
	scratch_load_b128 v[26:29], off, off offset:960
	s_wait_loadcnt_dscnt 0x800
	v_mul_f64_e32 v[197:198], v[2:3], v[40:41]
	v_mul_f64_e32 v[40:41], v[4:5], v[40:41]
	v_add_f64_e32 v[191:192], v[191:192], v[179:180]
	v_add_f64_e32 v[187:188], v[187:188], v[181:182]
	ds_load_b128 v[179:182], v1 offset:1856
	v_fma_f64 v[185:186], v[185:186], v[30:31], v[189:190]
	v_fma_f64 v[183:184], v[183:184], v[30:31], -v[32:33]
	scratch_load_b128 v[30:33], off, off offset:976
	v_add_f64_e32 v[189:190], v[191:192], v[195:196]
	v_add_f64_e32 v[187:188], v[187:188], v[193:194]
	v_fma_f64 v[193:194], v[4:5], v[38:39], v[197:198]
	v_fma_f64 v[195:196], v[2:3], v[38:39], -v[40:41]
	ds_load_b128 v[2:5], v1 offset:1872
	s_wait_loadcnt_dscnt 0x801
	v_mul_f64_e32 v[191:192], v[179:180], v[177:178]
	v_mul_f64_e32 v[177:178], v[181:182], v[177:178]
	scratch_load_b128 v[38:41], off, off offset:992
	s_wait_loadcnt_dscnt 0x800
	v_mul_f64_e32 v[197:198], v[2:3], v[36:37]
	v_mul_f64_e32 v[36:37], v[4:5], v[36:37]
	v_add_f64_e32 v[189:190], v[189:190], v[183:184]
	v_add_f64_e32 v[187:188], v[187:188], v[185:186]
	ds_load_b128 v[183:186], v1 offset:1888
	v_fma_f64 v[181:182], v[181:182], v[175:176], v[191:192]
	v_fma_f64 v[179:180], v[179:180], v[175:176], -v[177:178]
	scratch_load_b128 v[175:178], off, off offset:1008
	v_add_f64_e32 v[189:190], v[189:190], v[195:196]
	v_add_f64_e32 v[187:188], v[187:188], v[193:194]
	v_fma_f64 v[193:194], v[4:5], v[34:35], v[197:198]
	v_fma_f64 v[195:196], v[2:3], v[34:35], -v[36:37]
	ds_load_b128 v[2:5], v1 offset:1904
	s_wait_loadcnt_dscnt 0x801
	v_mul_f64_e32 v[191:192], v[183:184], v[8:9]
	v_mul_f64_e32 v[8:9], v[185:186], v[8:9]
	scratch_load_b128 v[34:37], off, off offset:1024
	s_wait_loadcnt_dscnt 0x800
	v_mul_f64_e32 v[197:198], v[2:3], v[12:13]
	v_mul_f64_e32 v[12:13], v[4:5], v[12:13]
	v_add_f64_e32 v[189:190], v[189:190], v[179:180]
	v_add_f64_e32 v[187:188], v[187:188], v[181:182]
	ds_load_b128 v[179:182], v1 offset:1920
	v_fma_f64 v[185:186], v[185:186], v[6:7], v[191:192]
	v_fma_f64 v[6:7], v[183:184], v[6:7], -v[8:9]
	v_add_f64_e32 v[8:9], v[189:190], v[195:196]
	v_add_f64_e32 v[183:184], v[187:188], v[193:194]
	s_wait_loadcnt_dscnt 0x700
	v_mul_f64_e32 v[187:188], v[179:180], v[16:17]
	v_mul_f64_e32 v[16:17], v[181:182], v[16:17]
	v_fma_f64 v[189:190], v[4:5], v[10:11], v[197:198]
	v_fma_f64 v[10:11], v[2:3], v[10:11], -v[12:13]
	v_add_f64_e32 v[12:13], v[8:9], v[6:7]
	v_add_f64_e32 v[183:184], v[183:184], v[185:186]
	ds_load_b128 v[2:5], v1 offset:1936
	ds_load_b128 v[6:9], v1 offset:1952
	v_fma_f64 v[181:182], v[181:182], v[14:15], v[187:188]
	v_fma_f64 v[14:15], v[179:180], v[14:15], -v[16:17]
	s_wait_loadcnt_dscnt 0x601
	v_mul_f64_e32 v[185:186], v[2:3], v[20:21]
	v_mul_f64_e32 v[20:21], v[4:5], v[20:21]
	s_wait_loadcnt_dscnt 0x500
	v_mul_f64_e32 v[16:17], v[6:7], v[24:25]
	v_mul_f64_e32 v[24:25], v[8:9], v[24:25]
	v_add_f64_e32 v[10:11], v[12:13], v[10:11]
	v_add_f64_e32 v[12:13], v[183:184], v[189:190]
	v_fma_f64 v[179:180], v[4:5], v[18:19], v[185:186]
	v_fma_f64 v[18:19], v[2:3], v[18:19], -v[20:21]
	v_fma_f64 v[8:9], v[8:9], v[22:23], v[16:17]
	v_fma_f64 v[6:7], v[6:7], v[22:23], -v[24:25]
	v_add_f64_e32 v[14:15], v[10:11], v[14:15]
	v_add_f64_e32 v[20:21], v[12:13], v[181:182]
	ds_load_b128 v[2:5], v1 offset:1968
	ds_load_b128 v[10:13], v1 offset:1984
	s_wait_loadcnt_dscnt 0x401
	v_mul_f64_e32 v[181:182], v[2:3], v[28:29]
	v_mul_f64_e32 v[28:29], v[4:5], v[28:29]
	v_add_f64_e32 v[14:15], v[14:15], v[18:19]
	v_add_f64_e32 v[16:17], v[20:21], v[179:180]
	s_wait_loadcnt_dscnt 0x300
	v_mul_f64_e32 v[18:19], v[10:11], v[32:33]
	v_mul_f64_e32 v[20:21], v[12:13], v[32:33]
	v_fma_f64 v[22:23], v[4:5], v[26:27], v[181:182]
	v_fma_f64 v[24:25], v[2:3], v[26:27], -v[28:29]
	v_add_f64_e32 v[14:15], v[14:15], v[6:7]
	v_add_f64_e32 v[16:17], v[16:17], v[8:9]
	ds_load_b128 v[2:5], v1 offset:2000
	ds_load_b128 v[6:9], v1 offset:2016
	v_fma_f64 v[12:13], v[12:13], v[30:31], v[18:19]
	v_fma_f64 v[10:11], v[10:11], v[30:31], -v[20:21]
	s_wait_loadcnt_dscnt 0x201
	v_mul_f64_e32 v[26:27], v[2:3], v[40:41]
	v_mul_f64_e32 v[28:29], v[4:5], v[40:41]
	s_wait_loadcnt_dscnt 0x100
	v_mul_f64_e32 v[18:19], v[6:7], v[177:178]
	v_mul_f64_e32 v[20:21], v[8:9], v[177:178]
	v_add_f64_e32 v[14:15], v[14:15], v[24:25]
	v_add_f64_e32 v[16:17], v[16:17], v[22:23]
	v_fma_f64 v[22:23], v[4:5], v[38:39], v[26:27]
	v_fma_f64 v[24:25], v[2:3], v[38:39], -v[28:29]
	ds_load_b128 v[2:5], v1 offset:2032
	v_fma_f64 v[8:9], v[8:9], v[175:176], v[18:19]
	v_fma_f64 v[6:7], v[6:7], v[175:176], -v[20:21]
	v_add_f64_e32 v[10:11], v[14:15], v[10:11]
	v_add_f64_e32 v[12:13], v[16:17], v[12:13]
	s_wait_loadcnt_dscnt 0x0
	v_mul_f64_e32 v[14:15], v[2:3], v[36:37]
	v_mul_f64_e32 v[16:17], v[4:5], v[36:37]
	s_delay_alu instid0(VALU_DEP_4) | instskip(NEXT) | instid1(VALU_DEP_4)
	v_add_f64_e32 v[10:11], v[10:11], v[24:25]
	v_add_f64_e32 v[12:13], v[12:13], v[22:23]
	s_delay_alu instid0(VALU_DEP_4) | instskip(NEXT) | instid1(VALU_DEP_4)
	v_fma_f64 v[4:5], v[4:5], v[34:35], v[14:15]
	v_fma_f64 v[2:3], v[2:3], v[34:35], -v[16:17]
	s_delay_alu instid0(VALU_DEP_4) | instskip(NEXT) | instid1(VALU_DEP_4)
	v_add_f64_e32 v[6:7], v[10:11], v[6:7]
	v_add_f64_e32 v[8:9], v[12:13], v[8:9]
	s_delay_alu instid0(VALU_DEP_2) | instskip(NEXT) | instid1(VALU_DEP_2)
	v_add_f64_e32 v[2:3], v[6:7], v[2:3]
	v_add_f64_e32 v[4:5], v[8:9], v[4:5]
	s_delay_alu instid0(VALU_DEP_2) | instskip(NEXT) | instid1(VALU_DEP_2)
	v_add_f64_e64 v[2:3], v[42:43], -v[2:3]
	v_add_f64_e64 v[4:5], v[44:45], -v[4:5]
	scratch_store_b128 off, v[2:5], off offset:528
	v_cmpx_lt_u32_e32 31, v0
	s_cbranch_execz .LBB127_347
; %bb.346:
	scratch_load_b128 v[5:8], off, s48
	v_dual_mov_b32 v2, v1 :: v_dual_mov_b32 v3, v1
	v_mov_b32_e32 v4, v1
	scratch_store_b128 off, v[1:4], off offset:512
	s_wait_loadcnt 0x0
	ds_store_b128 v174, v[5:8]
.LBB127_347:
	s_wait_alu 0xfffe
	s_or_b32 exec_lo, exec_lo, s0
	s_wait_storecnt_dscnt 0x0
	s_barrier_signal -1
	s_barrier_wait -1
	global_inv scope:SCOPE_SE
	s_clause 0x8
	scratch_load_b128 v[2:5], off, off offset:528
	scratch_load_b128 v[6:9], off, off offset:544
	;; [unrolled: 1-line block ×9, first 2 shown]
	ds_load_b128 v[38:41], v1 offset:1536
	ds_load_b128 v[42:45], v1 offset:1552
	s_clause 0x1
	scratch_load_b128 v[175:178], off, off offset:512
	scratch_load_b128 v[179:182], off, off offset:672
	s_mov_b32 s0, exec_lo
	s_wait_loadcnt_dscnt 0xa01
	v_mul_f64_e32 v[183:184], v[40:41], v[4:5]
	v_mul_f64_e32 v[4:5], v[38:39], v[4:5]
	s_wait_loadcnt_dscnt 0x900
	v_mul_f64_e32 v[187:188], v[42:43], v[8:9]
	v_mul_f64_e32 v[8:9], v[44:45], v[8:9]
	s_delay_alu instid0(VALU_DEP_4) | instskip(NEXT) | instid1(VALU_DEP_4)
	v_fma_f64 v[189:190], v[38:39], v[2:3], -v[183:184]
	v_fma_f64 v[191:192], v[40:41], v[2:3], v[4:5]
	ds_load_b128 v[2:5], v1 offset:1568
	ds_load_b128 v[183:186], v1 offset:1584
	scratch_load_b128 v[38:41], off, off offset:688
	v_fma_f64 v[44:45], v[44:45], v[6:7], v[187:188]
	v_fma_f64 v[42:43], v[42:43], v[6:7], -v[8:9]
	scratch_load_b128 v[6:9], off, off offset:704
	s_wait_loadcnt_dscnt 0xa01
	v_mul_f64_e32 v[193:194], v[2:3], v[12:13]
	v_mul_f64_e32 v[12:13], v[4:5], v[12:13]
	v_add_f64_e32 v[187:188], 0, v[189:190]
	v_add_f64_e32 v[189:190], 0, v[191:192]
	s_wait_loadcnt_dscnt 0x900
	v_mul_f64_e32 v[191:192], v[183:184], v[16:17]
	v_mul_f64_e32 v[16:17], v[185:186], v[16:17]
	v_fma_f64 v[193:194], v[4:5], v[10:11], v[193:194]
	v_fma_f64 v[195:196], v[2:3], v[10:11], -v[12:13]
	ds_load_b128 v[2:5], v1 offset:1600
	scratch_load_b128 v[10:13], off, off offset:720
	v_add_f64_e32 v[187:188], v[187:188], v[42:43]
	v_add_f64_e32 v[189:190], v[189:190], v[44:45]
	ds_load_b128 v[42:45], v1 offset:1616
	v_fma_f64 v[185:186], v[185:186], v[14:15], v[191:192]
	v_fma_f64 v[183:184], v[183:184], v[14:15], -v[16:17]
	scratch_load_b128 v[14:17], off, off offset:736
	s_wait_loadcnt_dscnt 0xa01
	v_mul_f64_e32 v[197:198], v[2:3], v[20:21]
	v_mul_f64_e32 v[20:21], v[4:5], v[20:21]
	s_wait_loadcnt_dscnt 0x900
	v_mul_f64_e32 v[191:192], v[42:43], v[24:25]
	v_mul_f64_e32 v[24:25], v[44:45], v[24:25]
	v_add_f64_e32 v[187:188], v[187:188], v[195:196]
	v_add_f64_e32 v[189:190], v[189:190], v[193:194]
	v_fma_f64 v[193:194], v[4:5], v[18:19], v[197:198]
	v_fma_f64 v[195:196], v[2:3], v[18:19], -v[20:21]
	ds_load_b128 v[2:5], v1 offset:1632
	scratch_load_b128 v[18:21], off, off offset:752
	v_fma_f64 v[44:45], v[44:45], v[22:23], v[191:192]
	v_fma_f64 v[42:43], v[42:43], v[22:23], -v[24:25]
	scratch_load_b128 v[22:25], off, off offset:768
	v_add_f64_e32 v[187:188], v[187:188], v[183:184]
	v_add_f64_e32 v[189:190], v[189:190], v[185:186]
	ds_load_b128 v[183:186], v1 offset:1648
	s_wait_loadcnt_dscnt 0xa01
	v_mul_f64_e32 v[197:198], v[2:3], v[28:29]
	v_mul_f64_e32 v[28:29], v[4:5], v[28:29]
	s_wait_loadcnt_dscnt 0x900
	v_mul_f64_e32 v[191:192], v[183:184], v[32:33]
	v_mul_f64_e32 v[32:33], v[185:186], v[32:33]
	v_add_f64_e32 v[187:188], v[187:188], v[195:196]
	v_add_f64_e32 v[189:190], v[189:190], v[193:194]
	v_fma_f64 v[193:194], v[4:5], v[26:27], v[197:198]
	v_fma_f64 v[195:196], v[2:3], v[26:27], -v[28:29]
	ds_load_b128 v[2:5], v1 offset:1664
	scratch_load_b128 v[26:29], off, off offset:784
	v_fma_f64 v[185:186], v[185:186], v[30:31], v[191:192]
	v_fma_f64 v[183:184], v[183:184], v[30:31], -v[32:33]
	scratch_load_b128 v[30:33], off, off offset:800
	v_add_f64_e32 v[187:188], v[187:188], v[42:43]
	v_add_f64_e32 v[189:190], v[189:190], v[44:45]
	ds_load_b128 v[42:45], v1 offset:1680
	s_wait_loadcnt_dscnt 0xa01
	v_mul_f64_e32 v[197:198], v[2:3], v[36:37]
	v_mul_f64_e32 v[36:37], v[4:5], v[36:37]
	s_wait_loadcnt_dscnt 0x800
	v_mul_f64_e32 v[191:192], v[42:43], v[181:182]
	v_add_f64_e32 v[187:188], v[187:188], v[195:196]
	v_add_f64_e32 v[189:190], v[189:190], v[193:194]
	v_mul_f64_e32 v[193:194], v[44:45], v[181:182]
	v_fma_f64 v[195:196], v[4:5], v[34:35], v[197:198]
	v_fma_f64 v[197:198], v[2:3], v[34:35], -v[36:37]
	ds_load_b128 v[2:5], v1 offset:1696
	scratch_load_b128 v[34:37], off, off offset:816
	v_fma_f64 v[44:45], v[44:45], v[179:180], v[191:192]
	v_add_f64_e32 v[187:188], v[187:188], v[183:184]
	v_add_f64_e32 v[185:186], v[189:190], v[185:186]
	ds_load_b128 v[181:184], v1 offset:1712
	v_fma_f64 v[179:180], v[42:43], v[179:180], -v[193:194]
	s_wait_loadcnt_dscnt 0x801
	v_mul_f64_e32 v[189:190], v[2:3], v[40:41]
	v_mul_f64_e32 v[199:200], v[4:5], v[40:41]
	scratch_load_b128 v[40:43], off, off offset:832
	s_wait_loadcnt_dscnt 0x800
	v_mul_f64_e32 v[193:194], v[181:182], v[8:9]
	v_mul_f64_e32 v[8:9], v[183:184], v[8:9]
	v_add_f64_e32 v[187:188], v[187:188], v[197:198]
	v_add_f64_e32 v[185:186], v[185:186], v[195:196]
	v_fma_f64 v[195:196], v[4:5], v[38:39], v[189:190]
	v_fma_f64 v[38:39], v[2:3], v[38:39], -v[199:200]
	ds_load_b128 v[2:5], v1 offset:1728
	ds_load_b128 v[189:192], v1 offset:1744
	v_fma_f64 v[183:184], v[183:184], v[6:7], v[193:194]
	v_fma_f64 v[181:182], v[181:182], v[6:7], -v[8:9]
	scratch_load_b128 v[6:9], off, off offset:864
	v_add_f64_e32 v[179:180], v[187:188], v[179:180]
	v_add_f64_e32 v[44:45], v[185:186], v[44:45]
	scratch_load_b128 v[185:188], off, off offset:848
	s_wait_loadcnt_dscnt 0x901
	v_mul_f64_e32 v[197:198], v[2:3], v[12:13]
	v_mul_f64_e32 v[12:13], v[4:5], v[12:13]
	s_wait_loadcnt_dscnt 0x800
	v_mul_f64_e32 v[193:194], v[189:190], v[16:17]
	v_mul_f64_e32 v[16:17], v[191:192], v[16:17]
	v_add_f64_e32 v[38:39], v[179:180], v[38:39]
	v_add_f64_e32 v[44:45], v[44:45], v[195:196]
	v_fma_f64 v[195:196], v[4:5], v[10:11], v[197:198]
	v_fma_f64 v[197:198], v[2:3], v[10:11], -v[12:13]
	ds_load_b128 v[2:5], v1 offset:1760
	scratch_load_b128 v[10:13], off, off offset:880
	v_fma_f64 v[191:192], v[191:192], v[14:15], v[193:194]
	v_fma_f64 v[189:190], v[189:190], v[14:15], -v[16:17]
	scratch_load_b128 v[14:17], off, off offset:896
	v_add_f64_e32 v[38:39], v[38:39], v[181:182]
	v_add_f64_e32 v[44:45], v[44:45], v[183:184]
	ds_load_b128 v[179:182], v1 offset:1776
	s_wait_loadcnt_dscnt 0x901
	v_mul_f64_e32 v[183:184], v[2:3], v[20:21]
	v_mul_f64_e32 v[20:21], v[4:5], v[20:21]
	s_wait_loadcnt_dscnt 0x800
	v_mul_f64_e32 v[193:194], v[179:180], v[24:25]
	v_mul_f64_e32 v[24:25], v[181:182], v[24:25]
	v_add_f64_e32 v[38:39], v[38:39], v[197:198]
	v_add_f64_e32 v[44:45], v[44:45], v[195:196]
	v_fma_f64 v[183:184], v[4:5], v[18:19], v[183:184]
	v_fma_f64 v[195:196], v[2:3], v[18:19], -v[20:21]
	ds_load_b128 v[2:5], v1 offset:1792
	scratch_load_b128 v[18:21], off, off offset:912
	v_fma_f64 v[181:182], v[181:182], v[22:23], v[193:194]
	v_fma_f64 v[179:180], v[179:180], v[22:23], -v[24:25]
	scratch_load_b128 v[22:25], off, off offset:928
	v_add_f64_e32 v[38:39], v[38:39], v[189:190]
	v_add_f64_e32 v[44:45], v[44:45], v[191:192]
	ds_load_b128 v[189:192], v1 offset:1808
	s_wait_loadcnt_dscnt 0x901
	v_mul_f64_e32 v[197:198], v[2:3], v[28:29]
	v_mul_f64_e32 v[28:29], v[4:5], v[28:29]
	v_add_f64_e32 v[38:39], v[38:39], v[195:196]
	v_add_f64_e32 v[44:45], v[44:45], v[183:184]
	s_wait_loadcnt_dscnt 0x800
	v_mul_f64_e32 v[183:184], v[189:190], v[32:33]
	v_mul_f64_e32 v[32:33], v[191:192], v[32:33]
	v_fma_f64 v[193:194], v[4:5], v[26:27], v[197:198]
	v_fma_f64 v[195:196], v[2:3], v[26:27], -v[28:29]
	ds_load_b128 v[2:5], v1 offset:1824
	scratch_load_b128 v[26:29], off, off offset:944
	v_add_f64_e32 v[38:39], v[38:39], v[179:180]
	v_add_f64_e32 v[44:45], v[44:45], v[181:182]
	ds_load_b128 v[179:182], v1 offset:1840
	s_wait_loadcnt_dscnt 0x801
	v_mul_f64_e32 v[197:198], v[2:3], v[36:37]
	v_mul_f64_e32 v[36:37], v[4:5], v[36:37]
	v_fma_f64 v[183:184], v[191:192], v[30:31], v[183:184]
	v_fma_f64 v[189:190], v[189:190], v[30:31], -v[32:33]
	scratch_load_b128 v[30:33], off, off offset:960
	s_wait_loadcnt_dscnt 0x800
	v_mul_f64_e32 v[191:192], v[179:180], v[42:43]
	v_add_f64_e32 v[38:39], v[38:39], v[195:196]
	v_add_f64_e32 v[44:45], v[44:45], v[193:194]
	v_mul_f64_e32 v[193:194], v[181:182], v[42:43]
	v_fma_f64 v[195:196], v[4:5], v[34:35], v[197:198]
	v_fma_f64 v[197:198], v[2:3], v[34:35], -v[36:37]
	ds_load_b128 v[2:5], v1 offset:1856
	scratch_load_b128 v[34:37], off, off offset:976
	v_fma_f64 v[181:182], v[181:182], v[40:41], v[191:192]
	v_add_f64_e32 v[38:39], v[38:39], v[189:190]
	v_add_f64_e32 v[183:184], v[44:45], v[183:184]
	ds_load_b128 v[42:45], v1 offset:1872
	v_fma_f64 v[179:180], v[179:180], v[40:41], -v[193:194]
	s_wait_loadcnt_dscnt 0x701
	v_mul_f64_e32 v[189:190], v[2:3], v[187:188]
	v_mul_f64_e32 v[187:188], v[4:5], v[187:188]
	s_wait_dscnt 0x0
	v_mul_f64_e32 v[193:194], v[42:43], v[8:9]
	v_mul_f64_e32 v[8:9], v[44:45], v[8:9]
	v_add_f64_e32 v[191:192], v[38:39], v[197:198]
	v_add_f64_e32 v[183:184], v[183:184], v[195:196]
	scratch_load_b128 v[38:41], off, off offset:992
	v_fma_f64 v[189:190], v[4:5], v[185:186], v[189:190]
	v_fma_f64 v[187:188], v[2:3], v[185:186], -v[187:188]
	ds_load_b128 v[2:5], v1 offset:1888
	v_fma_f64 v[44:45], v[44:45], v[6:7], v[193:194]
	v_fma_f64 v[42:43], v[42:43], v[6:7], -v[8:9]
	scratch_load_b128 v[6:9], off, off offset:1024
	v_add_f64_e32 v[191:192], v[191:192], v[179:180]
	v_add_f64_e32 v[195:196], v[183:184], v[181:182]
	scratch_load_b128 v[179:182], off, off offset:1008
	ds_load_b128 v[183:186], v1 offset:1904
	s_wait_loadcnt_dscnt 0x901
	v_mul_f64_e32 v[197:198], v[2:3], v[12:13]
	v_mul_f64_e32 v[12:13], v[4:5], v[12:13]
	v_add_f64_e32 v[187:188], v[191:192], v[187:188]
	v_add_f64_e32 v[189:190], v[195:196], v[189:190]
	s_wait_loadcnt_dscnt 0x800
	v_mul_f64_e32 v[191:192], v[183:184], v[16:17]
	v_mul_f64_e32 v[16:17], v[185:186], v[16:17]
	v_fma_f64 v[193:194], v[4:5], v[10:11], v[197:198]
	v_fma_f64 v[195:196], v[2:3], v[10:11], -v[12:13]
	ds_load_b128 v[2:5], v1 offset:1920
	ds_load_b128 v[10:13], v1 offset:1936
	v_add_f64_e32 v[42:43], v[187:188], v[42:43]
	v_add_f64_e32 v[44:45], v[189:190], v[44:45]
	s_wait_loadcnt_dscnt 0x701
	v_mul_f64_e32 v[187:188], v[2:3], v[20:21]
	v_mul_f64_e32 v[20:21], v[4:5], v[20:21]
	v_fma_f64 v[185:186], v[185:186], v[14:15], v[191:192]
	v_fma_f64 v[14:15], v[183:184], v[14:15], -v[16:17]
	v_add_f64_e32 v[16:17], v[42:43], v[195:196]
	v_add_f64_e32 v[42:43], v[44:45], v[193:194]
	s_wait_loadcnt_dscnt 0x600
	v_mul_f64_e32 v[44:45], v[10:11], v[24:25]
	v_mul_f64_e32 v[24:25], v[12:13], v[24:25]
	v_fma_f64 v[183:184], v[4:5], v[18:19], v[187:188]
	v_fma_f64 v[18:19], v[2:3], v[18:19], -v[20:21]
	v_add_f64_e32 v[20:21], v[16:17], v[14:15]
	v_add_f64_e32 v[42:43], v[42:43], v[185:186]
	ds_load_b128 v[2:5], v1 offset:1952
	ds_load_b128 v[14:17], v1 offset:1968
	v_fma_f64 v[12:13], v[12:13], v[22:23], v[44:45]
	v_fma_f64 v[10:11], v[10:11], v[22:23], -v[24:25]
	s_wait_loadcnt_dscnt 0x501
	v_mul_f64_e32 v[185:186], v[2:3], v[28:29]
	v_mul_f64_e32 v[28:29], v[4:5], v[28:29]
	s_wait_loadcnt_dscnt 0x400
	v_mul_f64_e32 v[22:23], v[14:15], v[32:33]
	v_mul_f64_e32 v[24:25], v[16:17], v[32:33]
	v_add_f64_e32 v[18:19], v[20:21], v[18:19]
	v_add_f64_e32 v[20:21], v[42:43], v[183:184]
	v_fma_f64 v[32:33], v[4:5], v[26:27], v[185:186]
	v_fma_f64 v[26:27], v[2:3], v[26:27], -v[28:29]
	v_fma_f64 v[16:17], v[16:17], v[30:31], v[22:23]
	v_fma_f64 v[14:15], v[14:15], v[30:31], -v[24:25]
	v_add_f64_e32 v[18:19], v[18:19], v[10:11]
	v_add_f64_e32 v[20:21], v[20:21], v[12:13]
	ds_load_b128 v[2:5], v1 offset:1984
	ds_load_b128 v[10:13], v1 offset:2000
	s_wait_loadcnt_dscnt 0x301
	v_mul_f64_e32 v[28:29], v[2:3], v[36:37]
	v_mul_f64_e32 v[36:37], v[4:5], v[36:37]
	v_add_f64_e32 v[18:19], v[18:19], v[26:27]
	v_add_f64_e32 v[20:21], v[20:21], v[32:33]
	s_wait_loadcnt_dscnt 0x200
	v_mul_f64_e32 v[22:23], v[10:11], v[40:41]
	v_mul_f64_e32 v[24:25], v[12:13], v[40:41]
	v_fma_f64 v[26:27], v[4:5], v[34:35], v[28:29]
	v_fma_f64 v[28:29], v[2:3], v[34:35], -v[36:37]
	v_add_f64_e32 v[18:19], v[18:19], v[14:15]
	v_add_f64_e32 v[20:21], v[20:21], v[16:17]
	ds_load_b128 v[2:5], v1 offset:2016
	ds_load_b128 v[14:17], v1 offset:2032
	v_fma_f64 v[12:13], v[12:13], v[38:39], v[22:23]
	v_fma_f64 v[10:11], v[10:11], v[38:39], -v[24:25]
	s_wait_loadcnt_dscnt 0x1
	v_mul_f64_e32 v[30:31], v[2:3], v[181:182]
	v_mul_f64_e32 v[32:33], v[4:5], v[181:182]
	s_wait_dscnt 0x0
	v_mul_f64_e32 v[22:23], v[14:15], v[8:9]
	v_mul_f64_e32 v[8:9], v[16:17], v[8:9]
	v_add_f64_e32 v[18:19], v[18:19], v[28:29]
	v_add_f64_e32 v[20:21], v[20:21], v[26:27]
	v_fma_f64 v[4:5], v[4:5], v[179:180], v[30:31]
	v_fma_f64 v[1:2], v[2:3], v[179:180], -v[32:33]
	v_fma_f64 v[16:17], v[16:17], v[6:7], v[22:23]
	v_fma_f64 v[6:7], v[14:15], v[6:7], -v[8:9]
	v_add_f64_e32 v[10:11], v[18:19], v[10:11]
	v_add_f64_e32 v[12:13], v[20:21], v[12:13]
	s_delay_alu instid0(VALU_DEP_2) | instskip(NEXT) | instid1(VALU_DEP_2)
	v_add_f64_e32 v[1:2], v[10:11], v[1:2]
	v_add_f64_e32 v[3:4], v[12:13], v[4:5]
	s_delay_alu instid0(VALU_DEP_2) | instskip(NEXT) | instid1(VALU_DEP_2)
	;; [unrolled: 3-line block ×3, first 2 shown]
	v_add_f64_e64 v[1:2], v[175:176], -v[1:2]
	v_add_f64_e64 v[3:4], v[177:178], -v[3:4]
	scratch_store_b128 off, v[1:4], off offset:512
	v_cmpx_lt_u32_e32 30, v0
	s_cbranch_execz .LBB127_349
; %bb.348:
	scratch_load_b128 v[1:4], off, s49
	v_mov_b32_e32 v5, 0
	s_delay_alu instid0(VALU_DEP_1)
	v_dual_mov_b32 v6, v5 :: v_dual_mov_b32 v7, v5
	v_mov_b32_e32 v8, v5
	scratch_store_b128 off, v[5:8], off offset:496
	s_wait_loadcnt 0x0
	ds_store_b128 v174, v[1:4]
.LBB127_349:
	s_wait_alu 0xfffe
	s_or_b32 exec_lo, exec_lo, s0
	s_wait_storecnt_dscnt 0x0
	s_barrier_signal -1
	s_barrier_wait -1
	global_inv scope:SCOPE_SE
	s_clause 0x7
	scratch_load_b128 v[2:5], off, off offset:512
	scratch_load_b128 v[6:9], off, off offset:528
	;; [unrolled: 1-line block ×8, first 2 shown]
	v_mov_b32_e32 v1, 0
	s_mov_b32 s0, exec_lo
	ds_load_b128 v[34:37], v1 offset:1520
	s_clause 0x1
	scratch_load_b128 v[38:41], off, off offset:640
	scratch_load_b128 v[42:45], off, off offset:496
	ds_load_b128 v[175:178], v1 offset:1536
	scratch_load_b128 v[179:182], off, off offset:656
	s_wait_loadcnt_dscnt 0xa01
	v_mul_f64_e32 v[183:184], v[36:37], v[4:5]
	v_mul_f64_e32 v[4:5], v[34:35], v[4:5]
	s_delay_alu instid0(VALU_DEP_2) | instskip(NEXT) | instid1(VALU_DEP_2)
	v_fma_f64 v[189:190], v[34:35], v[2:3], -v[183:184]
	v_fma_f64 v[191:192], v[36:37], v[2:3], v[4:5]
	ds_load_b128 v[2:5], v1 offset:1552
	s_wait_loadcnt_dscnt 0x901
	v_mul_f64_e32 v[187:188], v[175:176], v[8:9]
	v_mul_f64_e32 v[8:9], v[177:178], v[8:9]
	scratch_load_b128 v[34:37], off, off offset:672
	ds_load_b128 v[183:186], v1 offset:1568
	s_wait_loadcnt_dscnt 0x901
	v_mul_f64_e32 v[193:194], v[2:3], v[12:13]
	v_mul_f64_e32 v[12:13], v[4:5], v[12:13]
	v_fma_f64 v[177:178], v[177:178], v[6:7], v[187:188]
	v_fma_f64 v[175:176], v[175:176], v[6:7], -v[8:9]
	v_add_f64_e32 v[187:188], 0, v[189:190]
	v_add_f64_e32 v[189:190], 0, v[191:192]
	scratch_load_b128 v[6:9], off, off offset:688
	v_fma_f64 v[193:194], v[4:5], v[10:11], v[193:194]
	v_fma_f64 v[195:196], v[2:3], v[10:11], -v[12:13]
	ds_load_b128 v[2:5], v1 offset:1584
	s_wait_loadcnt_dscnt 0x901
	v_mul_f64_e32 v[191:192], v[183:184], v[16:17]
	v_mul_f64_e32 v[16:17], v[185:186], v[16:17]
	scratch_load_b128 v[10:13], off, off offset:704
	v_add_f64_e32 v[187:188], v[187:188], v[175:176]
	v_add_f64_e32 v[189:190], v[189:190], v[177:178]
	s_wait_loadcnt_dscnt 0x900
	v_mul_f64_e32 v[197:198], v[2:3], v[20:21]
	v_mul_f64_e32 v[20:21], v[4:5], v[20:21]
	ds_load_b128 v[175:178], v1 offset:1600
	v_fma_f64 v[185:186], v[185:186], v[14:15], v[191:192]
	v_fma_f64 v[183:184], v[183:184], v[14:15], -v[16:17]
	scratch_load_b128 v[14:17], off, off offset:720
	v_add_f64_e32 v[187:188], v[187:188], v[195:196]
	v_add_f64_e32 v[189:190], v[189:190], v[193:194]
	v_fma_f64 v[193:194], v[4:5], v[18:19], v[197:198]
	v_fma_f64 v[195:196], v[2:3], v[18:19], -v[20:21]
	ds_load_b128 v[2:5], v1 offset:1616
	s_wait_loadcnt_dscnt 0x901
	v_mul_f64_e32 v[191:192], v[175:176], v[24:25]
	v_mul_f64_e32 v[24:25], v[177:178], v[24:25]
	scratch_load_b128 v[18:21], off, off offset:736
	s_wait_loadcnt_dscnt 0x900
	v_mul_f64_e32 v[197:198], v[2:3], v[28:29]
	v_mul_f64_e32 v[28:29], v[4:5], v[28:29]
	v_add_f64_e32 v[187:188], v[187:188], v[183:184]
	v_add_f64_e32 v[189:190], v[189:190], v[185:186]
	ds_load_b128 v[183:186], v1 offset:1632
	v_fma_f64 v[177:178], v[177:178], v[22:23], v[191:192]
	v_fma_f64 v[175:176], v[175:176], v[22:23], -v[24:25]
	scratch_load_b128 v[22:25], off, off offset:752
	v_add_f64_e32 v[187:188], v[187:188], v[195:196]
	v_add_f64_e32 v[189:190], v[189:190], v[193:194]
	v_fma_f64 v[193:194], v[4:5], v[26:27], v[197:198]
	v_fma_f64 v[195:196], v[2:3], v[26:27], -v[28:29]
	ds_load_b128 v[2:5], v1 offset:1648
	s_wait_loadcnt_dscnt 0x901
	v_mul_f64_e32 v[191:192], v[183:184], v[32:33]
	v_mul_f64_e32 v[32:33], v[185:186], v[32:33]
	scratch_load_b128 v[26:29], off, off offset:768
	s_wait_loadcnt_dscnt 0x900
	v_mul_f64_e32 v[197:198], v[2:3], v[40:41]
	v_mul_f64_e32 v[40:41], v[4:5], v[40:41]
	v_add_f64_e32 v[187:188], v[187:188], v[175:176]
	v_add_f64_e32 v[189:190], v[189:190], v[177:178]
	ds_load_b128 v[175:178], v1 offset:1664
	v_fma_f64 v[185:186], v[185:186], v[30:31], v[191:192]
	v_fma_f64 v[183:184], v[183:184], v[30:31], -v[32:33]
	scratch_load_b128 v[30:33], off, off offset:784
	v_add_f64_e32 v[187:188], v[187:188], v[195:196]
	v_add_f64_e32 v[189:190], v[189:190], v[193:194]
	v_fma_f64 v[195:196], v[4:5], v[38:39], v[197:198]
	v_fma_f64 v[197:198], v[2:3], v[38:39], -v[40:41]
	ds_load_b128 v[2:5], v1 offset:1680
	s_wait_loadcnt_dscnt 0x801
	v_mul_f64_e32 v[191:192], v[175:176], v[181:182]
	v_mul_f64_e32 v[193:194], v[177:178], v[181:182]
	scratch_load_b128 v[38:41], off, off offset:800
	v_add_f64_e32 v[187:188], v[187:188], v[183:184]
	v_add_f64_e32 v[185:186], v[189:190], v[185:186]
	ds_load_b128 v[181:184], v1 offset:1696
	v_fma_f64 v[191:192], v[177:178], v[179:180], v[191:192]
	v_fma_f64 v[179:180], v[175:176], v[179:180], -v[193:194]
	scratch_load_b128 v[175:178], off, off offset:816
	s_wait_loadcnt_dscnt 0x901
	v_mul_f64_e32 v[189:190], v[2:3], v[36:37]
	v_mul_f64_e32 v[36:37], v[4:5], v[36:37]
	v_add_f64_e32 v[187:188], v[187:188], v[197:198]
	v_add_f64_e32 v[185:186], v[185:186], v[195:196]
	s_delay_alu instid0(VALU_DEP_4) | instskip(NEXT) | instid1(VALU_DEP_4)
	v_fma_f64 v[189:190], v[4:5], v[34:35], v[189:190]
	v_fma_f64 v[195:196], v[2:3], v[34:35], -v[36:37]
	ds_load_b128 v[2:5], v1 offset:1712
	s_wait_loadcnt_dscnt 0x801
	v_mul_f64_e32 v[193:194], v[181:182], v[8:9]
	v_mul_f64_e32 v[8:9], v[183:184], v[8:9]
	scratch_load_b128 v[34:37], off, off offset:832
	s_wait_loadcnt_dscnt 0x800
	v_mul_f64_e32 v[197:198], v[2:3], v[12:13]
	v_add_f64_e32 v[179:180], v[187:188], v[179:180]
	v_add_f64_e32 v[191:192], v[185:186], v[191:192]
	v_mul_f64_e32 v[12:13], v[4:5], v[12:13]
	ds_load_b128 v[185:188], v1 offset:1728
	v_fma_f64 v[183:184], v[183:184], v[6:7], v[193:194]
	v_fma_f64 v[181:182], v[181:182], v[6:7], -v[8:9]
	scratch_load_b128 v[6:9], off, off offset:848
	v_fma_f64 v[193:194], v[4:5], v[10:11], v[197:198]
	v_add_f64_e32 v[179:180], v[179:180], v[195:196]
	v_add_f64_e32 v[189:190], v[191:192], v[189:190]
	v_fma_f64 v[195:196], v[2:3], v[10:11], -v[12:13]
	ds_load_b128 v[2:5], v1 offset:1744
	s_wait_loadcnt_dscnt 0x801
	v_mul_f64_e32 v[191:192], v[185:186], v[16:17]
	v_mul_f64_e32 v[16:17], v[187:188], v[16:17]
	scratch_load_b128 v[10:13], off, off offset:864
	v_add_f64_e32 v[197:198], v[179:180], v[181:182]
	v_add_f64_e32 v[183:184], v[189:190], v[183:184]
	s_wait_loadcnt_dscnt 0x800
	v_mul_f64_e32 v[189:190], v[2:3], v[20:21]
	v_mul_f64_e32 v[20:21], v[4:5], v[20:21]
	v_fma_f64 v[187:188], v[187:188], v[14:15], v[191:192]
	v_fma_f64 v[185:186], v[185:186], v[14:15], -v[16:17]
	ds_load_b128 v[179:182], v1 offset:1760
	scratch_load_b128 v[14:17], off, off offset:880
	v_add_f64_e32 v[191:192], v[197:198], v[195:196]
	v_add_f64_e32 v[183:184], v[183:184], v[193:194]
	v_fma_f64 v[189:190], v[4:5], v[18:19], v[189:190]
	v_fma_f64 v[195:196], v[2:3], v[18:19], -v[20:21]
	ds_load_b128 v[2:5], v1 offset:1776
	s_wait_loadcnt_dscnt 0x801
	v_mul_f64_e32 v[193:194], v[179:180], v[24:25]
	v_mul_f64_e32 v[24:25], v[181:182], v[24:25]
	scratch_load_b128 v[18:21], off, off offset:896
	s_wait_loadcnt_dscnt 0x800
	v_mul_f64_e32 v[197:198], v[2:3], v[28:29]
	v_mul_f64_e32 v[28:29], v[4:5], v[28:29]
	v_add_f64_e32 v[191:192], v[191:192], v[185:186]
	v_add_f64_e32 v[187:188], v[183:184], v[187:188]
	ds_load_b128 v[183:186], v1 offset:1792
	v_fma_f64 v[181:182], v[181:182], v[22:23], v[193:194]
	v_fma_f64 v[179:180], v[179:180], v[22:23], -v[24:25]
	scratch_load_b128 v[22:25], off, off offset:912
	v_fma_f64 v[193:194], v[4:5], v[26:27], v[197:198]
	v_add_f64_e32 v[191:192], v[191:192], v[195:196]
	v_add_f64_e32 v[187:188], v[187:188], v[189:190]
	v_fma_f64 v[195:196], v[2:3], v[26:27], -v[28:29]
	ds_load_b128 v[2:5], v1 offset:1808
	s_wait_loadcnt_dscnt 0x801
	v_mul_f64_e32 v[189:190], v[183:184], v[32:33]
	v_mul_f64_e32 v[32:33], v[185:186], v[32:33]
	scratch_load_b128 v[26:29], off, off offset:928
	s_wait_loadcnt_dscnt 0x800
	v_mul_f64_e32 v[197:198], v[2:3], v[40:41]
	v_mul_f64_e32 v[40:41], v[4:5], v[40:41]
	v_add_f64_e32 v[191:192], v[191:192], v[179:180]
	v_add_f64_e32 v[187:188], v[187:188], v[181:182]
	ds_load_b128 v[179:182], v1 offset:1824
	v_fma_f64 v[185:186], v[185:186], v[30:31], v[189:190]
	v_fma_f64 v[183:184], v[183:184], v[30:31], -v[32:33]
	scratch_load_b128 v[30:33], off, off offset:944
	v_add_f64_e32 v[189:190], v[191:192], v[195:196]
	v_add_f64_e32 v[187:188], v[187:188], v[193:194]
	v_fma_f64 v[193:194], v[4:5], v[38:39], v[197:198]
	v_fma_f64 v[195:196], v[2:3], v[38:39], -v[40:41]
	ds_load_b128 v[2:5], v1 offset:1840
	s_wait_loadcnt_dscnt 0x801
	v_mul_f64_e32 v[191:192], v[179:180], v[177:178]
	v_mul_f64_e32 v[177:178], v[181:182], v[177:178]
	scratch_load_b128 v[38:41], off, off offset:960
	s_wait_loadcnt_dscnt 0x800
	v_mul_f64_e32 v[197:198], v[2:3], v[36:37]
	v_mul_f64_e32 v[36:37], v[4:5], v[36:37]
	v_add_f64_e32 v[189:190], v[189:190], v[183:184]
	v_add_f64_e32 v[187:188], v[187:188], v[185:186]
	ds_load_b128 v[183:186], v1 offset:1856
	v_fma_f64 v[181:182], v[181:182], v[175:176], v[191:192]
	v_fma_f64 v[179:180], v[179:180], v[175:176], -v[177:178]
	scratch_load_b128 v[175:178], off, off offset:976
	v_add_f64_e32 v[189:190], v[189:190], v[195:196]
	v_add_f64_e32 v[187:188], v[187:188], v[193:194]
	v_fma_f64 v[193:194], v[4:5], v[34:35], v[197:198]
	;; [unrolled: 18-line block ×3, first 2 shown]
	v_fma_f64 v[195:196], v[2:3], v[10:11], -v[12:13]
	ds_load_b128 v[2:5], v1 offset:1904
	s_wait_loadcnt_dscnt 0x801
	v_mul_f64_e32 v[191:192], v[179:180], v[16:17]
	v_mul_f64_e32 v[16:17], v[181:182], v[16:17]
	scratch_load_b128 v[10:13], off, off offset:1024
	s_wait_loadcnt_dscnt 0x800
	v_mul_f64_e32 v[197:198], v[2:3], v[20:21]
	v_mul_f64_e32 v[20:21], v[4:5], v[20:21]
	v_add_f64_e32 v[189:190], v[189:190], v[183:184]
	v_add_f64_e32 v[187:188], v[187:188], v[185:186]
	ds_load_b128 v[183:186], v1 offset:1920
	v_fma_f64 v[181:182], v[181:182], v[14:15], v[191:192]
	v_fma_f64 v[14:15], v[179:180], v[14:15], -v[16:17]
	v_add_f64_e32 v[16:17], v[189:190], v[195:196]
	v_add_f64_e32 v[179:180], v[187:188], v[193:194]
	s_wait_loadcnt_dscnt 0x700
	v_mul_f64_e32 v[187:188], v[183:184], v[24:25]
	v_mul_f64_e32 v[24:25], v[185:186], v[24:25]
	v_fma_f64 v[189:190], v[4:5], v[18:19], v[197:198]
	v_fma_f64 v[18:19], v[2:3], v[18:19], -v[20:21]
	v_add_f64_e32 v[20:21], v[16:17], v[14:15]
	v_add_f64_e32 v[179:180], v[179:180], v[181:182]
	ds_load_b128 v[2:5], v1 offset:1936
	ds_load_b128 v[14:17], v1 offset:1952
	v_fma_f64 v[185:186], v[185:186], v[22:23], v[187:188]
	v_fma_f64 v[22:23], v[183:184], v[22:23], -v[24:25]
	s_wait_loadcnt_dscnt 0x601
	v_mul_f64_e32 v[181:182], v[2:3], v[28:29]
	v_mul_f64_e32 v[28:29], v[4:5], v[28:29]
	s_wait_loadcnt_dscnt 0x500
	v_mul_f64_e32 v[24:25], v[14:15], v[32:33]
	v_mul_f64_e32 v[32:33], v[16:17], v[32:33]
	v_add_f64_e32 v[18:19], v[20:21], v[18:19]
	v_add_f64_e32 v[20:21], v[179:180], v[189:190]
	v_fma_f64 v[179:180], v[4:5], v[26:27], v[181:182]
	v_fma_f64 v[26:27], v[2:3], v[26:27], -v[28:29]
	v_fma_f64 v[16:17], v[16:17], v[30:31], v[24:25]
	v_fma_f64 v[14:15], v[14:15], v[30:31], -v[32:33]
	v_add_f64_e32 v[22:23], v[18:19], v[22:23]
	v_add_f64_e32 v[28:29], v[20:21], v[185:186]
	ds_load_b128 v[2:5], v1 offset:1968
	ds_load_b128 v[18:21], v1 offset:1984
	s_wait_loadcnt_dscnt 0x401
	v_mul_f64_e32 v[181:182], v[2:3], v[40:41]
	v_mul_f64_e32 v[40:41], v[4:5], v[40:41]
	v_add_f64_e32 v[22:23], v[22:23], v[26:27]
	v_add_f64_e32 v[24:25], v[28:29], v[179:180]
	s_wait_loadcnt_dscnt 0x300
	v_mul_f64_e32 v[26:27], v[18:19], v[177:178]
	v_mul_f64_e32 v[28:29], v[20:21], v[177:178]
	v_fma_f64 v[30:31], v[4:5], v[38:39], v[181:182]
	v_fma_f64 v[32:33], v[2:3], v[38:39], -v[40:41]
	v_add_f64_e32 v[22:23], v[22:23], v[14:15]
	v_add_f64_e32 v[24:25], v[24:25], v[16:17]
	ds_load_b128 v[2:5], v1 offset:2000
	ds_load_b128 v[14:17], v1 offset:2016
	v_fma_f64 v[20:21], v[20:21], v[175:176], v[26:27]
	v_fma_f64 v[18:19], v[18:19], v[175:176], -v[28:29]
	s_wait_loadcnt_dscnt 0x201
	v_mul_f64_e32 v[38:39], v[2:3], v[36:37]
	v_mul_f64_e32 v[36:37], v[4:5], v[36:37]
	s_wait_loadcnt_dscnt 0x100
	v_mul_f64_e32 v[26:27], v[14:15], v[8:9]
	v_mul_f64_e32 v[8:9], v[16:17], v[8:9]
	v_add_f64_e32 v[22:23], v[22:23], v[32:33]
	v_add_f64_e32 v[24:25], v[24:25], v[30:31]
	v_fma_f64 v[28:29], v[4:5], v[34:35], v[38:39]
	v_fma_f64 v[30:31], v[2:3], v[34:35], -v[36:37]
	ds_load_b128 v[2:5], v1 offset:2032
	v_fma_f64 v[16:17], v[16:17], v[6:7], v[26:27]
	v_fma_f64 v[6:7], v[14:15], v[6:7], -v[8:9]
	v_add_f64_e32 v[18:19], v[22:23], v[18:19]
	v_add_f64_e32 v[20:21], v[24:25], v[20:21]
	s_wait_loadcnt_dscnt 0x0
	v_mul_f64_e32 v[22:23], v[2:3], v[12:13]
	v_mul_f64_e32 v[12:13], v[4:5], v[12:13]
	s_delay_alu instid0(VALU_DEP_4) | instskip(NEXT) | instid1(VALU_DEP_4)
	v_add_f64_e32 v[8:9], v[18:19], v[30:31]
	v_add_f64_e32 v[14:15], v[20:21], v[28:29]
	s_delay_alu instid0(VALU_DEP_4) | instskip(NEXT) | instid1(VALU_DEP_4)
	v_fma_f64 v[4:5], v[4:5], v[10:11], v[22:23]
	v_fma_f64 v[2:3], v[2:3], v[10:11], -v[12:13]
	s_delay_alu instid0(VALU_DEP_4) | instskip(NEXT) | instid1(VALU_DEP_4)
	v_add_f64_e32 v[6:7], v[8:9], v[6:7]
	v_add_f64_e32 v[8:9], v[14:15], v[16:17]
	s_delay_alu instid0(VALU_DEP_2) | instskip(NEXT) | instid1(VALU_DEP_2)
	v_add_f64_e32 v[2:3], v[6:7], v[2:3]
	v_add_f64_e32 v[4:5], v[8:9], v[4:5]
	s_delay_alu instid0(VALU_DEP_2) | instskip(NEXT) | instid1(VALU_DEP_2)
	v_add_f64_e64 v[2:3], v[42:43], -v[2:3]
	v_add_f64_e64 v[4:5], v[44:45], -v[4:5]
	scratch_store_b128 off, v[2:5], off offset:496
	v_cmpx_lt_u32_e32 29, v0
	s_cbranch_execz .LBB127_351
; %bb.350:
	scratch_load_b128 v[5:8], off, s50
	v_dual_mov_b32 v2, v1 :: v_dual_mov_b32 v3, v1
	v_mov_b32_e32 v4, v1
	scratch_store_b128 off, v[1:4], off offset:480
	s_wait_loadcnt 0x0
	ds_store_b128 v174, v[5:8]
.LBB127_351:
	s_wait_alu 0xfffe
	s_or_b32 exec_lo, exec_lo, s0
	s_wait_storecnt_dscnt 0x0
	s_barrier_signal -1
	s_barrier_wait -1
	global_inv scope:SCOPE_SE
	s_clause 0x8
	scratch_load_b128 v[2:5], off, off offset:496
	scratch_load_b128 v[6:9], off, off offset:512
	scratch_load_b128 v[10:13], off, off offset:528
	scratch_load_b128 v[14:17], off, off offset:544
	scratch_load_b128 v[18:21], off, off offset:560
	scratch_load_b128 v[22:25], off, off offset:576
	scratch_load_b128 v[26:29], off, off offset:592
	scratch_load_b128 v[30:33], off, off offset:608
	scratch_load_b128 v[34:37], off, off offset:624
	ds_load_b128 v[38:41], v1 offset:1504
	ds_load_b128 v[42:45], v1 offset:1520
	s_clause 0x1
	scratch_load_b128 v[175:178], off, off offset:480
	scratch_load_b128 v[179:182], off, off offset:640
	s_mov_b32 s0, exec_lo
	s_wait_loadcnt_dscnt 0xa01
	v_mul_f64_e32 v[183:184], v[40:41], v[4:5]
	v_mul_f64_e32 v[4:5], v[38:39], v[4:5]
	s_wait_loadcnt_dscnt 0x900
	v_mul_f64_e32 v[187:188], v[42:43], v[8:9]
	v_mul_f64_e32 v[8:9], v[44:45], v[8:9]
	s_delay_alu instid0(VALU_DEP_4) | instskip(NEXT) | instid1(VALU_DEP_4)
	v_fma_f64 v[189:190], v[38:39], v[2:3], -v[183:184]
	v_fma_f64 v[191:192], v[40:41], v[2:3], v[4:5]
	ds_load_b128 v[2:5], v1 offset:1536
	ds_load_b128 v[183:186], v1 offset:1552
	scratch_load_b128 v[38:41], off, off offset:656
	v_fma_f64 v[44:45], v[44:45], v[6:7], v[187:188]
	v_fma_f64 v[42:43], v[42:43], v[6:7], -v[8:9]
	scratch_load_b128 v[6:9], off, off offset:672
	s_wait_loadcnt_dscnt 0xa01
	v_mul_f64_e32 v[193:194], v[2:3], v[12:13]
	v_mul_f64_e32 v[12:13], v[4:5], v[12:13]
	v_add_f64_e32 v[187:188], 0, v[189:190]
	v_add_f64_e32 v[189:190], 0, v[191:192]
	s_wait_loadcnt_dscnt 0x900
	v_mul_f64_e32 v[191:192], v[183:184], v[16:17]
	v_mul_f64_e32 v[16:17], v[185:186], v[16:17]
	v_fma_f64 v[193:194], v[4:5], v[10:11], v[193:194]
	v_fma_f64 v[195:196], v[2:3], v[10:11], -v[12:13]
	ds_load_b128 v[2:5], v1 offset:1568
	scratch_load_b128 v[10:13], off, off offset:688
	v_add_f64_e32 v[187:188], v[187:188], v[42:43]
	v_add_f64_e32 v[189:190], v[189:190], v[44:45]
	ds_load_b128 v[42:45], v1 offset:1584
	v_fma_f64 v[185:186], v[185:186], v[14:15], v[191:192]
	v_fma_f64 v[183:184], v[183:184], v[14:15], -v[16:17]
	scratch_load_b128 v[14:17], off, off offset:704
	s_wait_loadcnt_dscnt 0xa01
	v_mul_f64_e32 v[197:198], v[2:3], v[20:21]
	v_mul_f64_e32 v[20:21], v[4:5], v[20:21]
	s_wait_loadcnt_dscnt 0x900
	v_mul_f64_e32 v[191:192], v[42:43], v[24:25]
	v_mul_f64_e32 v[24:25], v[44:45], v[24:25]
	v_add_f64_e32 v[187:188], v[187:188], v[195:196]
	v_add_f64_e32 v[189:190], v[189:190], v[193:194]
	v_fma_f64 v[193:194], v[4:5], v[18:19], v[197:198]
	v_fma_f64 v[195:196], v[2:3], v[18:19], -v[20:21]
	ds_load_b128 v[2:5], v1 offset:1600
	scratch_load_b128 v[18:21], off, off offset:720
	v_fma_f64 v[44:45], v[44:45], v[22:23], v[191:192]
	v_fma_f64 v[42:43], v[42:43], v[22:23], -v[24:25]
	scratch_load_b128 v[22:25], off, off offset:736
	v_add_f64_e32 v[187:188], v[187:188], v[183:184]
	v_add_f64_e32 v[189:190], v[189:190], v[185:186]
	ds_load_b128 v[183:186], v1 offset:1616
	s_wait_loadcnt_dscnt 0xa01
	v_mul_f64_e32 v[197:198], v[2:3], v[28:29]
	v_mul_f64_e32 v[28:29], v[4:5], v[28:29]
	s_wait_loadcnt_dscnt 0x900
	v_mul_f64_e32 v[191:192], v[183:184], v[32:33]
	v_mul_f64_e32 v[32:33], v[185:186], v[32:33]
	v_add_f64_e32 v[187:188], v[187:188], v[195:196]
	v_add_f64_e32 v[189:190], v[189:190], v[193:194]
	v_fma_f64 v[193:194], v[4:5], v[26:27], v[197:198]
	v_fma_f64 v[195:196], v[2:3], v[26:27], -v[28:29]
	ds_load_b128 v[2:5], v1 offset:1632
	scratch_load_b128 v[26:29], off, off offset:752
	v_fma_f64 v[185:186], v[185:186], v[30:31], v[191:192]
	v_fma_f64 v[183:184], v[183:184], v[30:31], -v[32:33]
	scratch_load_b128 v[30:33], off, off offset:768
	v_add_f64_e32 v[187:188], v[187:188], v[42:43]
	v_add_f64_e32 v[189:190], v[189:190], v[44:45]
	ds_load_b128 v[42:45], v1 offset:1648
	s_wait_loadcnt_dscnt 0xa01
	v_mul_f64_e32 v[197:198], v[2:3], v[36:37]
	v_mul_f64_e32 v[36:37], v[4:5], v[36:37]
	s_wait_loadcnt_dscnt 0x800
	v_mul_f64_e32 v[191:192], v[42:43], v[181:182]
	v_add_f64_e32 v[187:188], v[187:188], v[195:196]
	v_add_f64_e32 v[189:190], v[189:190], v[193:194]
	v_mul_f64_e32 v[193:194], v[44:45], v[181:182]
	v_fma_f64 v[195:196], v[4:5], v[34:35], v[197:198]
	v_fma_f64 v[197:198], v[2:3], v[34:35], -v[36:37]
	ds_load_b128 v[2:5], v1 offset:1664
	scratch_load_b128 v[34:37], off, off offset:784
	v_fma_f64 v[44:45], v[44:45], v[179:180], v[191:192]
	v_add_f64_e32 v[187:188], v[187:188], v[183:184]
	v_add_f64_e32 v[185:186], v[189:190], v[185:186]
	ds_load_b128 v[181:184], v1 offset:1680
	v_fma_f64 v[179:180], v[42:43], v[179:180], -v[193:194]
	s_wait_loadcnt_dscnt 0x801
	v_mul_f64_e32 v[189:190], v[2:3], v[40:41]
	v_mul_f64_e32 v[199:200], v[4:5], v[40:41]
	scratch_load_b128 v[40:43], off, off offset:800
	s_wait_loadcnt_dscnt 0x800
	v_mul_f64_e32 v[193:194], v[181:182], v[8:9]
	v_mul_f64_e32 v[8:9], v[183:184], v[8:9]
	v_add_f64_e32 v[187:188], v[187:188], v[197:198]
	v_add_f64_e32 v[185:186], v[185:186], v[195:196]
	v_fma_f64 v[195:196], v[4:5], v[38:39], v[189:190]
	v_fma_f64 v[38:39], v[2:3], v[38:39], -v[199:200]
	ds_load_b128 v[2:5], v1 offset:1696
	ds_load_b128 v[189:192], v1 offset:1712
	v_fma_f64 v[183:184], v[183:184], v[6:7], v[193:194]
	v_fma_f64 v[181:182], v[181:182], v[6:7], -v[8:9]
	scratch_load_b128 v[6:9], off, off offset:832
	v_add_f64_e32 v[179:180], v[187:188], v[179:180]
	v_add_f64_e32 v[44:45], v[185:186], v[44:45]
	scratch_load_b128 v[185:188], off, off offset:816
	s_wait_loadcnt_dscnt 0x901
	v_mul_f64_e32 v[197:198], v[2:3], v[12:13]
	v_mul_f64_e32 v[12:13], v[4:5], v[12:13]
	s_wait_loadcnt_dscnt 0x800
	v_mul_f64_e32 v[193:194], v[189:190], v[16:17]
	v_mul_f64_e32 v[16:17], v[191:192], v[16:17]
	v_add_f64_e32 v[38:39], v[179:180], v[38:39]
	v_add_f64_e32 v[44:45], v[44:45], v[195:196]
	v_fma_f64 v[195:196], v[4:5], v[10:11], v[197:198]
	v_fma_f64 v[197:198], v[2:3], v[10:11], -v[12:13]
	ds_load_b128 v[2:5], v1 offset:1728
	scratch_load_b128 v[10:13], off, off offset:848
	v_fma_f64 v[191:192], v[191:192], v[14:15], v[193:194]
	v_fma_f64 v[189:190], v[189:190], v[14:15], -v[16:17]
	scratch_load_b128 v[14:17], off, off offset:864
	v_add_f64_e32 v[38:39], v[38:39], v[181:182]
	v_add_f64_e32 v[44:45], v[44:45], v[183:184]
	ds_load_b128 v[179:182], v1 offset:1744
	s_wait_loadcnt_dscnt 0x901
	v_mul_f64_e32 v[183:184], v[2:3], v[20:21]
	v_mul_f64_e32 v[20:21], v[4:5], v[20:21]
	s_wait_loadcnt_dscnt 0x800
	v_mul_f64_e32 v[193:194], v[179:180], v[24:25]
	v_mul_f64_e32 v[24:25], v[181:182], v[24:25]
	v_add_f64_e32 v[38:39], v[38:39], v[197:198]
	v_add_f64_e32 v[44:45], v[44:45], v[195:196]
	v_fma_f64 v[183:184], v[4:5], v[18:19], v[183:184]
	v_fma_f64 v[195:196], v[2:3], v[18:19], -v[20:21]
	ds_load_b128 v[2:5], v1 offset:1760
	scratch_load_b128 v[18:21], off, off offset:880
	v_fma_f64 v[181:182], v[181:182], v[22:23], v[193:194]
	v_fma_f64 v[179:180], v[179:180], v[22:23], -v[24:25]
	scratch_load_b128 v[22:25], off, off offset:896
	v_add_f64_e32 v[38:39], v[38:39], v[189:190]
	v_add_f64_e32 v[44:45], v[44:45], v[191:192]
	ds_load_b128 v[189:192], v1 offset:1776
	s_wait_loadcnt_dscnt 0x901
	v_mul_f64_e32 v[197:198], v[2:3], v[28:29]
	v_mul_f64_e32 v[28:29], v[4:5], v[28:29]
	v_add_f64_e32 v[38:39], v[38:39], v[195:196]
	v_add_f64_e32 v[44:45], v[44:45], v[183:184]
	s_wait_loadcnt_dscnt 0x800
	v_mul_f64_e32 v[183:184], v[189:190], v[32:33]
	v_mul_f64_e32 v[32:33], v[191:192], v[32:33]
	v_fma_f64 v[193:194], v[4:5], v[26:27], v[197:198]
	v_fma_f64 v[195:196], v[2:3], v[26:27], -v[28:29]
	ds_load_b128 v[2:5], v1 offset:1792
	scratch_load_b128 v[26:29], off, off offset:912
	v_add_f64_e32 v[38:39], v[38:39], v[179:180]
	v_add_f64_e32 v[44:45], v[44:45], v[181:182]
	ds_load_b128 v[179:182], v1 offset:1808
	s_wait_loadcnt_dscnt 0x801
	v_mul_f64_e32 v[197:198], v[2:3], v[36:37]
	v_mul_f64_e32 v[36:37], v[4:5], v[36:37]
	v_fma_f64 v[183:184], v[191:192], v[30:31], v[183:184]
	v_fma_f64 v[189:190], v[189:190], v[30:31], -v[32:33]
	scratch_load_b128 v[30:33], off, off offset:928
	s_wait_loadcnt_dscnt 0x800
	v_mul_f64_e32 v[191:192], v[179:180], v[42:43]
	v_add_f64_e32 v[38:39], v[38:39], v[195:196]
	v_add_f64_e32 v[44:45], v[44:45], v[193:194]
	v_mul_f64_e32 v[193:194], v[181:182], v[42:43]
	v_fma_f64 v[195:196], v[4:5], v[34:35], v[197:198]
	v_fma_f64 v[197:198], v[2:3], v[34:35], -v[36:37]
	ds_load_b128 v[2:5], v1 offset:1824
	scratch_load_b128 v[34:37], off, off offset:944
	v_fma_f64 v[181:182], v[181:182], v[40:41], v[191:192]
	v_add_f64_e32 v[38:39], v[38:39], v[189:190]
	v_add_f64_e32 v[183:184], v[44:45], v[183:184]
	ds_load_b128 v[42:45], v1 offset:1840
	v_fma_f64 v[179:180], v[179:180], v[40:41], -v[193:194]
	s_wait_loadcnt_dscnt 0x701
	v_mul_f64_e32 v[189:190], v[2:3], v[187:188]
	v_mul_f64_e32 v[187:188], v[4:5], v[187:188]
	s_wait_dscnt 0x0
	v_mul_f64_e32 v[193:194], v[42:43], v[8:9]
	v_mul_f64_e32 v[8:9], v[44:45], v[8:9]
	v_add_f64_e32 v[191:192], v[38:39], v[197:198]
	v_add_f64_e32 v[183:184], v[183:184], v[195:196]
	scratch_load_b128 v[38:41], off, off offset:960
	v_fma_f64 v[189:190], v[4:5], v[185:186], v[189:190]
	v_fma_f64 v[187:188], v[2:3], v[185:186], -v[187:188]
	ds_load_b128 v[2:5], v1 offset:1856
	v_fma_f64 v[44:45], v[44:45], v[6:7], v[193:194]
	v_fma_f64 v[42:43], v[42:43], v[6:7], -v[8:9]
	scratch_load_b128 v[6:9], off, off offset:992
	v_add_f64_e32 v[191:192], v[191:192], v[179:180]
	v_add_f64_e32 v[195:196], v[183:184], v[181:182]
	scratch_load_b128 v[179:182], off, off offset:976
	ds_load_b128 v[183:186], v1 offset:1872
	s_wait_loadcnt_dscnt 0x901
	v_mul_f64_e32 v[197:198], v[2:3], v[12:13]
	v_mul_f64_e32 v[12:13], v[4:5], v[12:13]
	v_add_f64_e32 v[187:188], v[191:192], v[187:188]
	v_add_f64_e32 v[189:190], v[195:196], v[189:190]
	s_wait_loadcnt_dscnt 0x800
	v_mul_f64_e32 v[191:192], v[183:184], v[16:17]
	v_mul_f64_e32 v[16:17], v[185:186], v[16:17]
	v_fma_f64 v[193:194], v[4:5], v[10:11], v[197:198]
	v_fma_f64 v[195:196], v[2:3], v[10:11], -v[12:13]
	ds_load_b128 v[2:5], v1 offset:1888
	scratch_load_b128 v[10:13], off, off offset:1008
	v_add_f64_e32 v[187:188], v[187:188], v[42:43]
	v_add_f64_e32 v[189:190], v[189:190], v[44:45]
	ds_load_b128 v[42:45], v1 offset:1904
	s_wait_loadcnt_dscnt 0x801
	v_mul_f64_e32 v[197:198], v[2:3], v[20:21]
	v_mul_f64_e32 v[20:21], v[4:5], v[20:21]
	v_fma_f64 v[185:186], v[185:186], v[14:15], v[191:192]
	v_fma_f64 v[183:184], v[183:184], v[14:15], -v[16:17]
	scratch_load_b128 v[14:17], off, off offset:1024
	s_wait_loadcnt_dscnt 0x800
	v_mul_f64_e32 v[191:192], v[42:43], v[24:25]
	v_mul_f64_e32 v[24:25], v[44:45], v[24:25]
	v_add_f64_e32 v[187:188], v[187:188], v[195:196]
	v_add_f64_e32 v[189:190], v[189:190], v[193:194]
	v_fma_f64 v[193:194], v[4:5], v[18:19], v[197:198]
	v_fma_f64 v[195:196], v[2:3], v[18:19], -v[20:21]
	ds_load_b128 v[2:5], v1 offset:1920
	ds_load_b128 v[18:21], v1 offset:1936
	v_fma_f64 v[44:45], v[44:45], v[22:23], v[191:192]
	v_fma_f64 v[22:23], v[42:43], v[22:23], -v[24:25]
	v_add_f64_e32 v[183:184], v[187:188], v[183:184]
	v_add_f64_e32 v[185:186], v[189:190], v[185:186]
	s_wait_loadcnt_dscnt 0x701
	v_mul_f64_e32 v[187:188], v[2:3], v[28:29]
	v_mul_f64_e32 v[28:29], v[4:5], v[28:29]
	s_delay_alu instid0(VALU_DEP_4) | instskip(NEXT) | instid1(VALU_DEP_4)
	v_add_f64_e32 v[24:25], v[183:184], v[195:196]
	v_add_f64_e32 v[42:43], v[185:186], v[193:194]
	s_wait_loadcnt_dscnt 0x600
	v_mul_f64_e32 v[183:184], v[18:19], v[32:33]
	v_mul_f64_e32 v[32:33], v[20:21], v[32:33]
	v_fma_f64 v[185:186], v[4:5], v[26:27], v[187:188]
	v_fma_f64 v[26:27], v[2:3], v[26:27], -v[28:29]
	v_add_f64_e32 v[28:29], v[24:25], v[22:23]
	v_add_f64_e32 v[42:43], v[42:43], v[44:45]
	ds_load_b128 v[2:5], v1 offset:1952
	ds_load_b128 v[22:25], v1 offset:1968
	v_fma_f64 v[20:21], v[20:21], v[30:31], v[183:184]
	v_fma_f64 v[18:19], v[18:19], v[30:31], -v[32:33]
	s_wait_loadcnt_dscnt 0x501
	v_mul_f64_e32 v[44:45], v[2:3], v[36:37]
	v_mul_f64_e32 v[36:37], v[4:5], v[36:37]
	v_add_f64_e32 v[26:27], v[28:29], v[26:27]
	v_add_f64_e32 v[28:29], v[42:43], v[185:186]
	s_wait_loadcnt_dscnt 0x400
	v_mul_f64_e32 v[30:31], v[22:23], v[40:41]
	v_mul_f64_e32 v[32:33], v[24:25], v[40:41]
	v_fma_f64 v[40:41], v[4:5], v[34:35], v[44:45]
	v_fma_f64 v[34:35], v[2:3], v[34:35], -v[36:37]
	v_add_f64_e32 v[26:27], v[26:27], v[18:19]
	v_add_f64_e32 v[28:29], v[28:29], v[20:21]
	ds_load_b128 v[2:5], v1 offset:1984
	ds_load_b128 v[18:21], v1 offset:2000
	v_fma_f64 v[24:25], v[24:25], v[38:39], v[30:31]
	v_fma_f64 v[22:23], v[22:23], v[38:39], -v[32:33]
	s_wait_loadcnt_dscnt 0x201
	v_mul_f64_e32 v[36:37], v[2:3], v[181:182]
	v_mul_f64_e32 v[42:43], v[4:5], v[181:182]
	s_wait_dscnt 0x0
	v_mul_f64_e32 v[30:31], v[18:19], v[8:9]
	v_mul_f64_e32 v[8:9], v[20:21], v[8:9]
	v_add_f64_e32 v[26:27], v[26:27], v[34:35]
	v_add_f64_e32 v[28:29], v[28:29], v[40:41]
	v_fma_f64 v[32:33], v[4:5], v[179:180], v[36:37]
	v_fma_f64 v[34:35], v[2:3], v[179:180], -v[42:43]
	v_fma_f64 v[20:21], v[20:21], v[6:7], v[30:31]
	v_fma_f64 v[6:7], v[18:19], v[6:7], -v[8:9]
	v_add_f64_e32 v[26:27], v[26:27], v[22:23]
	v_add_f64_e32 v[28:29], v[28:29], v[24:25]
	ds_load_b128 v[2:5], v1 offset:2016
	ds_load_b128 v[22:25], v1 offset:2032
	s_wait_loadcnt_dscnt 0x101
	v_mul_f64_e32 v[36:37], v[2:3], v[12:13]
	v_mul_f64_e32 v[12:13], v[4:5], v[12:13]
	v_add_f64_e32 v[8:9], v[26:27], v[34:35]
	v_add_f64_e32 v[18:19], v[28:29], v[32:33]
	s_wait_loadcnt_dscnt 0x0
	v_mul_f64_e32 v[26:27], v[22:23], v[16:17]
	v_mul_f64_e32 v[16:17], v[24:25], v[16:17]
	v_fma_f64 v[4:5], v[4:5], v[10:11], v[36:37]
	v_fma_f64 v[1:2], v[2:3], v[10:11], -v[12:13]
	v_add_f64_e32 v[6:7], v[8:9], v[6:7]
	v_add_f64_e32 v[8:9], v[18:19], v[20:21]
	v_fma_f64 v[10:11], v[24:25], v[14:15], v[26:27]
	v_fma_f64 v[12:13], v[22:23], v[14:15], -v[16:17]
	s_delay_alu instid0(VALU_DEP_4) | instskip(NEXT) | instid1(VALU_DEP_4)
	v_add_f64_e32 v[1:2], v[6:7], v[1:2]
	v_add_f64_e32 v[3:4], v[8:9], v[4:5]
	s_delay_alu instid0(VALU_DEP_2) | instskip(NEXT) | instid1(VALU_DEP_2)
	v_add_f64_e32 v[1:2], v[1:2], v[12:13]
	v_add_f64_e32 v[3:4], v[3:4], v[10:11]
	s_delay_alu instid0(VALU_DEP_2) | instskip(NEXT) | instid1(VALU_DEP_2)
	v_add_f64_e64 v[1:2], v[175:176], -v[1:2]
	v_add_f64_e64 v[3:4], v[177:178], -v[3:4]
	scratch_store_b128 off, v[1:4], off offset:480
	v_cmpx_lt_u32_e32 28, v0
	s_cbranch_execz .LBB127_353
; %bb.352:
	scratch_load_b128 v[1:4], off, s51
	v_mov_b32_e32 v5, 0
	s_delay_alu instid0(VALU_DEP_1)
	v_dual_mov_b32 v6, v5 :: v_dual_mov_b32 v7, v5
	v_mov_b32_e32 v8, v5
	scratch_store_b128 off, v[5:8], off offset:464
	s_wait_loadcnt 0x0
	ds_store_b128 v174, v[1:4]
.LBB127_353:
	s_wait_alu 0xfffe
	s_or_b32 exec_lo, exec_lo, s0
	s_wait_storecnt_dscnt 0x0
	s_barrier_signal -1
	s_barrier_wait -1
	global_inv scope:SCOPE_SE
	s_clause 0x7
	scratch_load_b128 v[2:5], off, off offset:480
	scratch_load_b128 v[6:9], off, off offset:496
	;; [unrolled: 1-line block ×8, first 2 shown]
	v_mov_b32_e32 v1, 0
	s_mov_b32 s0, exec_lo
	ds_load_b128 v[38:41], v1 offset:1488
	s_clause 0x1
	scratch_load_b128 v[34:37], off, off offset:608
	scratch_load_b128 v[42:45], off, off offset:464
	ds_load_b128 v[175:178], v1 offset:1504
	scratch_load_b128 v[179:182], off, off offset:624
	s_wait_loadcnt_dscnt 0xa01
	v_mul_f64_e32 v[183:184], v[40:41], v[4:5]
	v_mul_f64_e32 v[4:5], v[38:39], v[4:5]
	s_delay_alu instid0(VALU_DEP_2) | instskip(NEXT) | instid1(VALU_DEP_2)
	v_fma_f64 v[189:190], v[38:39], v[2:3], -v[183:184]
	v_fma_f64 v[191:192], v[40:41], v[2:3], v[4:5]
	ds_load_b128 v[2:5], v1 offset:1520
	s_wait_loadcnt_dscnt 0x901
	v_mul_f64_e32 v[187:188], v[175:176], v[8:9]
	v_mul_f64_e32 v[8:9], v[177:178], v[8:9]
	scratch_load_b128 v[38:41], off, off offset:640
	ds_load_b128 v[183:186], v1 offset:1536
	s_wait_loadcnt_dscnt 0x901
	v_mul_f64_e32 v[193:194], v[2:3], v[12:13]
	v_mul_f64_e32 v[12:13], v[4:5], v[12:13]
	v_fma_f64 v[177:178], v[177:178], v[6:7], v[187:188]
	v_fma_f64 v[175:176], v[175:176], v[6:7], -v[8:9]
	v_add_f64_e32 v[187:188], 0, v[189:190]
	v_add_f64_e32 v[189:190], 0, v[191:192]
	scratch_load_b128 v[6:9], off, off offset:656
	v_fma_f64 v[193:194], v[4:5], v[10:11], v[193:194]
	v_fma_f64 v[195:196], v[2:3], v[10:11], -v[12:13]
	ds_load_b128 v[2:5], v1 offset:1552
	s_wait_loadcnt_dscnt 0x901
	v_mul_f64_e32 v[191:192], v[183:184], v[16:17]
	v_mul_f64_e32 v[16:17], v[185:186], v[16:17]
	scratch_load_b128 v[10:13], off, off offset:672
	v_add_f64_e32 v[187:188], v[187:188], v[175:176]
	v_add_f64_e32 v[189:190], v[189:190], v[177:178]
	s_wait_loadcnt_dscnt 0x900
	v_mul_f64_e32 v[197:198], v[2:3], v[20:21]
	v_mul_f64_e32 v[20:21], v[4:5], v[20:21]
	ds_load_b128 v[175:178], v1 offset:1568
	v_fma_f64 v[185:186], v[185:186], v[14:15], v[191:192]
	v_fma_f64 v[183:184], v[183:184], v[14:15], -v[16:17]
	scratch_load_b128 v[14:17], off, off offset:688
	v_add_f64_e32 v[187:188], v[187:188], v[195:196]
	v_add_f64_e32 v[189:190], v[189:190], v[193:194]
	v_fma_f64 v[193:194], v[4:5], v[18:19], v[197:198]
	v_fma_f64 v[195:196], v[2:3], v[18:19], -v[20:21]
	ds_load_b128 v[2:5], v1 offset:1584
	s_wait_loadcnt_dscnt 0x901
	v_mul_f64_e32 v[191:192], v[175:176], v[24:25]
	v_mul_f64_e32 v[24:25], v[177:178], v[24:25]
	scratch_load_b128 v[18:21], off, off offset:704
	s_wait_loadcnt_dscnt 0x900
	v_mul_f64_e32 v[197:198], v[2:3], v[28:29]
	v_mul_f64_e32 v[28:29], v[4:5], v[28:29]
	v_add_f64_e32 v[187:188], v[187:188], v[183:184]
	v_add_f64_e32 v[189:190], v[189:190], v[185:186]
	ds_load_b128 v[183:186], v1 offset:1600
	v_fma_f64 v[177:178], v[177:178], v[22:23], v[191:192]
	v_fma_f64 v[175:176], v[175:176], v[22:23], -v[24:25]
	scratch_load_b128 v[22:25], off, off offset:720
	v_add_f64_e32 v[187:188], v[187:188], v[195:196]
	v_add_f64_e32 v[189:190], v[189:190], v[193:194]
	v_fma_f64 v[193:194], v[4:5], v[26:27], v[197:198]
	v_fma_f64 v[195:196], v[2:3], v[26:27], -v[28:29]
	ds_load_b128 v[2:5], v1 offset:1616
	s_wait_loadcnt_dscnt 0x901
	v_mul_f64_e32 v[191:192], v[183:184], v[32:33]
	v_mul_f64_e32 v[32:33], v[185:186], v[32:33]
	scratch_load_b128 v[26:29], off, off offset:736
	s_wait_loadcnt_dscnt 0x900
	v_mul_f64_e32 v[197:198], v[2:3], v[36:37]
	v_mul_f64_e32 v[36:37], v[4:5], v[36:37]
	v_add_f64_e32 v[187:188], v[187:188], v[175:176]
	v_add_f64_e32 v[189:190], v[189:190], v[177:178]
	ds_load_b128 v[175:178], v1 offset:1632
	v_fma_f64 v[185:186], v[185:186], v[30:31], v[191:192]
	v_fma_f64 v[183:184], v[183:184], v[30:31], -v[32:33]
	scratch_load_b128 v[30:33], off, off offset:752
	v_add_f64_e32 v[187:188], v[187:188], v[195:196]
	v_add_f64_e32 v[189:190], v[189:190], v[193:194]
	v_fma_f64 v[195:196], v[4:5], v[34:35], v[197:198]
	v_fma_f64 v[197:198], v[2:3], v[34:35], -v[36:37]
	ds_load_b128 v[2:5], v1 offset:1648
	s_wait_loadcnt_dscnt 0x801
	v_mul_f64_e32 v[191:192], v[175:176], v[181:182]
	v_mul_f64_e32 v[193:194], v[177:178], v[181:182]
	scratch_load_b128 v[34:37], off, off offset:768
	v_add_f64_e32 v[187:188], v[187:188], v[183:184]
	v_add_f64_e32 v[185:186], v[189:190], v[185:186]
	ds_load_b128 v[181:184], v1 offset:1664
	v_fma_f64 v[191:192], v[177:178], v[179:180], v[191:192]
	v_fma_f64 v[179:180], v[175:176], v[179:180], -v[193:194]
	scratch_load_b128 v[175:178], off, off offset:784
	s_wait_loadcnt_dscnt 0x901
	v_mul_f64_e32 v[189:190], v[2:3], v[40:41]
	v_mul_f64_e32 v[40:41], v[4:5], v[40:41]
	v_add_f64_e32 v[187:188], v[187:188], v[197:198]
	v_add_f64_e32 v[185:186], v[185:186], v[195:196]
	s_delay_alu instid0(VALU_DEP_4) | instskip(NEXT) | instid1(VALU_DEP_4)
	v_fma_f64 v[189:190], v[4:5], v[38:39], v[189:190]
	v_fma_f64 v[195:196], v[2:3], v[38:39], -v[40:41]
	ds_load_b128 v[2:5], v1 offset:1680
	s_wait_loadcnt_dscnt 0x801
	v_mul_f64_e32 v[193:194], v[181:182], v[8:9]
	v_mul_f64_e32 v[8:9], v[183:184], v[8:9]
	scratch_load_b128 v[38:41], off, off offset:800
	s_wait_loadcnt_dscnt 0x800
	v_mul_f64_e32 v[197:198], v[2:3], v[12:13]
	v_add_f64_e32 v[179:180], v[187:188], v[179:180]
	v_add_f64_e32 v[191:192], v[185:186], v[191:192]
	v_mul_f64_e32 v[12:13], v[4:5], v[12:13]
	ds_load_b128 v[185:188], v1 offset:1696
	v_fma_f64 v[183:184], v[183:184], v[6:7], v[193:194]
	v_fma_f64 v[181:182], v[181:182], v[6:7], -v[8:9]
	scratch_load_b128 v[6:9], off, off offset:816
	v_fma_f64 v[193:194], v[4:5], v[10:11], v[197:198]
	v_add_f64_e32 v[179:180], v[179:180], v[195:196]
	v_add_f64_e32 v[189:190], v[191:192], v[189:190]
	v_fma_f64 v[195:196], v[2:3], v[10:11], -v[12:13]
	ds_load_b128 v[2:5], v1 offset:1712
	s_wait_loadcnt_dscnt 0x801
	v_mul_f64_e32 v[191:192], v[185:186], v[16:17]
	v_mul_f64_e32 v[16:17], v[187:188], v[16:17]
	scratch_load_b128 v[10:13], off, off offset:832
	v_add_f64_e32 v[197:198], v[179:180], v[181:182]
	v_add_f64_e32 v[183:184], v[189:190], v[183:184]
	s_wait_loadcnt_dscnt 0x800
	v_mul_f64_e32 v[189:190], v[2:3], v[20:21]
	v_mul_f64_e32 v[20:21], v[4:5], v[20:21]
	v_fma_f64 v[187:188], v[187:188], v[14:15], v[191:192]
	v_fma_f64 v[185:186], v[185:186], v[14:15], -v[16:17]
	ds_load_b128 v[179:182], v1 offset:1728
	scratch_load_b128 v[14:17], off, off offset:848
	v_add_f64_e32 v[191:192], v[197:198], v[195:196]
	v_add_f64_e32 v[183:184], v[183:184], v[193:194]
	v_fma_f64 v[189:190], v[4:5], v[18:19], v[189:190]
	v_fma_f64 v[195:196], v[2:3], v[18:19], -v[20:21]
	ds_load_b128 v[2:5], v1 offset:1744
	s_wait_loadcnt_dscnt 0x801
	v_mul_f64_e32 v[193:194], v[179:180], v[24:25]
	v_mul_f64_e32 v[24:25], v[181:182], v[24:25]
	scratch_load_b128 v[18:21], off, off offset:864
	s_wait_loadcnt_dscnt 0x800
	v_mul_f64_e32 v[197:198], v[2:3], v[28:29]
	v_mul_f64_e32 v[28:29], v[4:5], v[28:29]
	v_add_f64_e32 v[191:192], v[191:192], v[185:186]
	v_add_f64_e32 v[187:188], v[183:184], v[187:188]
	ds_load_b128 v[183:186], v1 offset:1760
	v_fma_f64 v[181:182], v[181:182], v[22:23], v[193:194]
	v_fma_f64 v[179:180], v[179:180], v[22:23], -v[24:25]
	scratch_load_b128 v[22:25], off, off offset:880
	v_fma_f64 v[193:194], v[4:5], v[26:27], v[197:198]
	v_add_f64_e32 v[191:192], v[191:192], v[195:196]
	v_add_f64_e32 v[187:188], v[187:188], v[189:190]
	v_fma_f64 v[195:196], v[2:3], v[26:27], -v[28:29]
	ds_load_b128 v[2:5], v1 offset:1776
	s_wait_loadcnt_dscnt 0x801
	v_mul_f64_e32 v[189:190], v[183:184], v[32:33]
	v_mul_f64_e32 v[32:33], v[185:186], v[32:33]
	scratch_load_b128 v[26:29], off, off offset:896
	s_wait_loadcnt_dscnt 0x800
	v_mul_f64_e32 v[197:198], v[2:3], v[36:37]
	v_mul_f64_e32 v[36:37], v[4:5], v[36:37]
	v_add_f64_e32 v[191:192], v[191:192], v[179:180]
	v_add_f64_e32 v[187:188], v[187:188], v[181:182]
	ds_load_b128 v[179:182], v1 offset:1792
	v_fma_f64 v[185:186], v[185:186], v[30:31], v[189:190]
	v_fma_f64 v[183:184], v[183:184], v[30:31], -v[32:33]
	scratch_load_b128 v[30:33], off, off offset:912
	v_add_f64_e32 v[189:190], v[191:192], v[195:196]
	v_add_f64_e32 v[187:188], v[187:188], v[193:194]
	v_fma_f64 v[193:194], v[4:5], v[34:35], v[197:198]
	v_fma_f64 v[195:196], v[2:3], v[34:35], -v[36:37]
	ds_load_b128 v[2:5], v1 offset:1808
	s_wait_loadcnt_dscnt 0x801
	v_mul_f64_e32 v[191:192], v[179:180], v[177:178]
	v_mul_f64_e32 v[177:178], v[181:182], v[177:178]
	scratch_load_b128 v[34:37], off, off offset:928
	s_wait_loadcnt_dscnt 0x800
	v_mul_f64_e32 v[197:198], v[2:3], v[40:41]
	v_mul_f64_e32 v[40:41], v[4:5], v[40:41]
	v_add_f64_e32 v[189:190], v[189:190], v[183:184]
	v_add_f64_e32 v[187:188], v[187:188], v[185:186]
	ds_load_b128 v[183:186], v1 offset:1824
	v_fma_f64 v[181:182], v[181:182], v[175:176], v[191:192]
	v_fma_f64 v[179:180], v[179:180], v[175:176], -v[177:178]
	scratch_load_b128 v[175:178], off, off offset:944
	v_add_f64_e32 v[189:190], v[189:190], v[195:196]
	v_add_f64_e32 v[187:188], v[187:188], v[193:194]
	v_fma_f64 v[193:194], v[4:5], v[38:39], v[197:198]
	;; [unrolled: 18-line block ×4, first 2 shown]
	v_fma_f64 v[195:196], v[2:3], v[18:19], -v[20:21]
	ds_load_b128 v[2:5], v1 offset:1904
	s_wait_loadcnt_dscnt 0x801
	v_mul_f64_e32 v[191:192], v[183:184], v[24:25]
	v_mul_f64_e32 v[24:25], v[185:186], v[24:25]
	scratch_load_b128 v[18:21], off, off offset:1024
	s_wait_loadcnt_dscnt 0x800
	v_mul_f64_e32 v[197:198], v[2:3], v[28:29]
	v_mul_f64_e32 v[28:29], v[4:5], v[28:29]
	v_add_f64_e32 v[189:190], v[189:190], v[179:180]
	v_add_f64_e32 v[187:188], v[187:188], v[181:182]
	ds_load_b128 v[179:182], v1 offset:1920
	v_fma_f64 v[185:186], v[185:186], v[22:23], v[191:192]
	v_fma_f64 v[22:23], v[183:184], v[22:23], -v[24:25]
	v_add_f64_e32 v[24:25], v[189:190], v[195:196]
	v_add_f64_e32 v[183:184], v[187:188], v[193:194]
	s_wait_loadcnt_dscnt 0x700
	v_mul_f64_e32 v[187:188], v[179:180], v[32:33]
	v_mul_f64_e32 v[32:33], v[181:182], v[32:33]
	v_fma_f64 v[189:190], v[4:5], v[26:27], v[197:198]
	v_fma_f64 v[26:27], v[2:3], v[26:27], -v[28:29]
	v_add_f64_e32 v[28:29], v[24:25], v[22:23]
	v_add_f64_e32 v[183:184], v[183:184], v[185:186]
	ds_load_b128 v[2:5], v1 offset:1936
	ds_load_b128 v[22:25], v1 offset:1952
	v_fma_f64 v[181:182], v[181:182], v[30:31], v[187:188]
	v_fma_f64 v[30:31], v[179:180], v[30:31], -v[32:33]
	s_wait_loadcnt_dscnt 0x601
	v_mul_f64_e32 v[185:186], v[2:3], v[36:37]
	v_mul_f64_e32 v[36:37], v[4:5], v[36:37]
	s_wait_loadcnt_dscnt 0x500
	v_mul_f64_e32 v[32:33], v[22:23], v[177:178]
	v_mul_f64_e32 v[177:178], v[24:25], v[177:178]
	v_add_f64_e32 v[26:27], v[28:29], v[26:27]
	v_add_f64_e32 v[28:29], v[183:184], v[189:190]
	v_fma_f64 v[179:180], v[4:5], v[34:35], v[185:186]
	v_fma_f64 v[34:35], v[2:3], v[34:35], -v[36:37]
	v_fma_f64 v[24:25], v[24:25], v[175:176], v[32:33]
	v_fma_f64 v[22:23], v[22:23], v[175:176], -v[177:178]
	v_add_f64_e32 v[30:31], v[26:27], v[30:31]
	v_add_f64_e32 v[36:37], v[28:29], v[181:182]
	ds_load_b128 v[2:5], v1 offset:1968
	ds_load_b128 v[26:29], v1 offset:1984
	s_wait_loadcnt_dscnt 0x401
	v_mul_f64_e32 v[181:182], v[2:3], v[40:41]
	v_mul_f64_e32 v[40:41], v[4:5], v[40:41]
	v_add_f64_e32 v[30:31], v[30:31], v[34:35]
	v_add_f64_e32 v[32:33], v[36:37], v[179:180]
	s_wait_loadcnt_dscnt 0x300
	v_mul_f64_e32 v[34:35], v[26:27], v[8:9]
	v_mul_f64_e32 v[8:9], v[28:29], v[8:9]
	v_fma_f64 v[36:37], v[4:5], v[38:39], v[181:182]
	v_fma_f64 v[38:39], v[2:3], v[38:39], -v[40:41]
	v_add_f64_e32 v[30:31], v[30:31], v[22:23]
	v_add_f64_e32 v[32:33], v[32:33], v[24:25]
	ds_load_b128 v[2:5], v1 offset:2000
	ds_load_b128 v[22:25], v1 offset:2016
	v_fma_f64 v[28:29], v[28:29], v[6:7], v[34:35]
	v_fma_f64 v[6:7], v[26:27], v[6:7], -v[8:9]
	s_wait_loadcnt_dscnt 0x201
	v_mul_f64_e32 v[40:41], v[2:3], v[12:13]
	v_mul_f64_e32 v[12:13], v[4:5], v[12:13]
	v_add_f64_e32 v[8:9], v[30:31], v[38:39]
	v_add_f64_e32 v[26:27], v[32:33], v[36:37]
	s_wait_loadcnt_dscnt 0x100
	v_mul_f64_e32 v[30:31], v[22:23], v[16:17]
	v_mul_f64_e32 v[16:17], v[24:25], v[16:17]
	v_fma_f64 v[32:33], v[4:5], v[10:11], v[40:41]
	v_fma_f64 v[10:11], v[2:3], v[10:11], -v[12:13]
	ds_load_b128 v[2:5], v1 offset:2032
	v_add_f64_e32 v[6:7], v[8:9], v[6:7]
	v_add_f64_e32 v[8:9], v[26:27], v[28:29]
	v_fma_f64 v[24:25], v[24:25], v[14:15], v[30:31]
	v_fma_f64 v[14:15], v[22:23], v[14:15], -v[16:17]
	s_wait_loadcnt_dscnt 0x0
	v_mul_f64_e32 v[12:13], v[2:3], v[20:21]
	v_mul_f64_e32 v[20:21], v[4:5], v[20:21]
	v_add_f64_e32 v[6:7], v[6:7], v[10:11]
	v_add_f64_e32 v[8:9], v[8:9], v[32:33]
	s_delay_alu instid0(VALU_DEP_4) | instskip(NEXT) | instid1(VALU_DEP_4)
	v_fma_f64 v[4:5], v[4:5], v[18:19], v[12:13]
	v_fma_f64 v[2:3], v[2:3], v[18:19], -v[20:21]
	s_delay_alu instid0(VALU_DEP_4) | instskip(NEXT) | instid1(VALU_DEP_4)
	v_add_f64_e32 v[6:7], v[6:7], v[14:15]
	v_add_f64_e32 v[8:9], v[8:9], v[24:25]
	s_delay_alu instid0(VALU_DEP_2) | instskip(NEXT) | instid1(VALU_DEP_2)
	v_add_f64_e32 v[2:3], v[6:7], v[2:3]
	v_add_f64_e32 v[4:5], v[8:9], v[4:5]
	s_delay_alu instid0(VALU_DEP_2) | instskip(NEXT) | instid1(VALU_DEP_2)
	v_add_f64_e64 v[2:3], v[42:43], -v[2:3]
	v_add_f64_e64 v[4:5], v[44:45], -v[4:5]
	scratch_store_b128 off, v[2:5], off offset:464
	v_cmpx_lt_u32_e32 27, v0
	s_cbranch_execz .LBB127_355
; %bb.354:
	scratch_load_b128 v[5:8], off, s52
	v_dual_mov_b32 v2, v1 :: v_dual_mov_b32 v3, v1
	v_mov_b32_e32 v4, v1
	scratch_store_b128 off, v[1:4], off offset:448
	s_wait_loadcnt 0x0
	ds_store_b128 v174, v[5:8]
.LBB127_355:
	s_wait_alu 0xfffe
	s_or_b32 exec_lo, exec_lo, s0
	s_wait_storecnt_dscnt 0x0
	s_barrier_signal -1
	s_barrier_wait -1
	global_inv scope:SCOPE_SE
	s_clause 0x8
	scratch_load_b128 v[2:5], off, off offset:464
	scratch_load_b128 v[6:9], off, off offset:480
	;; [unrolled: 1-line block ×9, first 2 shown]
	ds_load_b128 v[38:41], v1 offset:1472
	ds_load_b128 v[42:45], v1 offset:1488
	s_clause 0x1
	scratch_load_b128 v[175:178], off, off offset:448
	scratch_load_b128 v[179:182], off, off offset:608
	s_mov_b32 s0, exec_lo
	s_wait_loadcnt_dscnt 0xa01
	v_mul_f64_e32 v[183:184], v[40:41], v[4:5]
	v_mul_f64_e32 v[4:5], v[38:39], v[4:5]
	s_wait_loadcnt_dscnt 0x900
	v_mul_f64_e32 v[187:188], v[42:43], v[8:9]
	v_mul_f64_e32 v[8:9], v[44:45], v[8:9]
	s_delay_alu instid0(VALU_DEP_4) | instskip(NEXT) | instid1(VALU_DEP_4)
	v_fma_f64 v[189:190], v[38:39], v[2:3], -v[183:184]
	v_fma_f64 v[191:192], v[40:41], v[2:3], v[4:5]
	ds_load_b128 v[2:5], v1 offset:1504
	ds_load_b128 v[183:186], v1 offset:1520
	scratch_load_b128 v[38:41], off, off offset:624
	v_fma_f64 v[44:45], v[44:45], v[6:7], v[187:188]
	v_fma_f64 v[42:43], v[42:43], v[6:7], -v[8:9]
	scratch_load_b128 v[6:9], off, off offset:640
	s_wait_loadcnt_dscnt 0xa01
	v_mul_f64_e32 v[193:194], v[2:3], v[12:13]
	v_mul_f64_e32 v[12:13], v[4:5], v[12:13]
	v_add_f64_e32 v[187:188], 0, v[189:190]
	v_add_f64_e32 v[189:190], 0, v[191:192]
	s_wait_loadcnt_dscnt 0x900
	v_mul_f64_e32 v[191:192], v[183:184], v[16:17]
	v_mul_f64_e32 v[16:17], v[185:186], v[16:17]
	v_fma_f64 v[193:194], v[4:5], v[10:11], v[193:194]
	v_fma_f64 v[195:196], v[2:3], v[10:11], -v[12:13]
	ds_load_b128 v[2:5], v1 offset:1536
	scratch_load_b128 v[10:13], off, off offset:656
	v_add_f64_e32 v[187:188], v[187:188], v[42:43]
	v_add_f64_e32 v[189:190], v[189:190], v[44:45]
	ds_load_b128 v[42:45], v1 offset:1552
	v_fma_f64 v[185:186], v[185:186], v[14:15], v[191:192]
	v_fma_f64 v[183:184], v[183:184], v[14:15], -v[16:17]
	scratch_load_b128 v[14:17], off, off offset:672
	s_wait_loadcnt_dscnt 0xa01
	v_mul_f64_e32 v[197:198], v[2:3], v[20:21]
	v_mul_f64_e32 v[20:21], v[4:5], v[20:21]
	s_wait_loadcnt_dscnt 0x900
	v_mul_f64_e32 v[191:192], v[42:43], v[24:25]
	v_mul_f64_e32 v[24:25], v[44:45], v[24:25]
	v_add_f64_e32 v[187:188], v[187:188], v[195:196]
	v_add_f64_e32 v[189:190], v[189:190], v[193:194]
	v_fma_f64 v[193:194], v[4:5], v[18:19], v[197:198]
	v_fma_f64 v[195:196], v[2:3], v[18:19], -v[20:21]
	ds_load_b128 v[2:5], v1 offset:1568
	scratch_load_b128 v[18:21], off, off offset:688
	v_fma_f64 v[44:45], v[44:45], v[22:23], v[191:192]
	v_fma_f64 v[42:43], v[42:43], v[22:23], -v[24:25]
	scratch_load_b128 v[22:25], off, off offset:704
	v_add_f64_e32 v[187:188], v[187:188], v[183:184]
	v_add_f64_e32 v[189:190], v[189:190], v[185:186]
	ds_load_b128 v[183:186], v1 offset:1584
	s_wait_loadcnt_dscnt 0xa01
	v_mul_f64_e32 v[197:198], v[2:3], v[28:29]
	v_mul_f64_e32 v[28:29], v[4:5], v[28:29]
	s_wait_loadcnt_dscnt 0x900
	v_mul_f64_e32 v[191:192], v[183:184], v[32:33]
	v_mul_f64_e32 v[32:33], v[185:186], v[32:33]
	v_add_f64_e32 v[187:188], v[187:188], v[195:196]
	v_add_f64_e32 v[189:190], v[189:190], v[193:194]
	v_fma_f64 v[193:194], v[4:5], v[26:27], v[197:198]
	v_fma_f64 v[195:196], v[2:3], v[26:27], -v[28:29]
	ds_load_b128 v[2:5], v1 offset:1600
	scratch_load_b128 v[26:29], off, off offset:720
	v_fma_f64 v[185:186], v[185:186], v[30:31], v[191:192]
	v_fma_f64 v[183:184], v[183:184], v[30:31], -v[32:33]
	scratch_load_b128 v[30:33], off, off offset:736
	v_add_f64_e32 v[187:188], v[187:188], v[42:43]
	v_add_f64_e32 v[189:190], v[189:190], v[44:45]
	ds_load_b128 v[42:45], v1 offset:1616
	s_wait_loadcnt_dscnt 0xa01
	v_mul_f64_e32 v[197:198], v[2:3], v[36:37]
	v_mul_f64_e32 v[36:37], v[4:5], v[36:37]
	s_wait_loadcnt_dscnt 0x800
	v_mul_f64_e32 v[191:192], v[42:43], v[181:182]
	v_add_f64_e32 v[187:188], v[187:188], v[195:196]
	v_add_f64_e32 v[189:190], v[189:190], v[193:194]
	v_mul_f64_e32 v[193:194], v[44:45], v[181:182]
	v_fma_f64 v[195:196], v[4:5], v[34:35], v[197:198]
	v_fma_f64 v[197:198], v[2:3], v[34:35], -v[36:37]
	ds_load_b128 v[2:5], v1 offset:1632
	scratch_load_b128 v[34:37], off, off offset:752
	v_fma_f64 v[44:45], v[44:45], v[179:180], v[191:192]
	v_add_f64_e32 v[187:188], v[187:188], v[183:184]
	v_add_f64_e32 v[185:186], v[189:190], v[185:186]
	ds_load_b128 v[181:184], v1 offset:1648
	v_fma_f64 v[179:180], v[42:43], v[179:180], -v[193:194]
	s_wait_loadcnt_dscnt 0x801
	v_mul_f64_e32 v[189:190], v[2:3], v[40:41]
	v_mul_f64_e32 v[199:200], v[4:5], v[40:41]
	scratch_load_b128 v[40:43], off, off offset:768
	s_wait_loadcnt_dscnt 0x800
	v_mul_f64_e32 v[193:194], v[181:182], v[8:9]
	v_mul_f64_e32 v[8:9], v[183:184], v[8:9]
	v_add_f64_e32 v[187:188], v[187:188], v[197:198]
	v_add_f64_e32 v[185:186], v[185:186], v[195:196]
	v_fma_f64 v[195:196], v[4:5], v[38:39], v[189:190]
	v_fma_f64 v[38:39], v[2:3], v[38:39], -v[199:200]
	ds_load_b128 v[2:5], v1 offset:1664
	ds_load_b128 v[189:192], v1 offset:1680
	v_fma_f64 v[183:184], v[183:184], v[6:7], v[193:194]
	v_fma_f64 v[181:182], v[181:182], v[6:7], -v[8:9]
	scratch_load_b128 v[6:9], off, off offset:800
	v_add_f64_e32 v[179:180], v[187:188], v[179:180]
	v_add_f64_e32 v[44:45], v[185:186], v[44:45]
	scratch_load_b128 v[185:188], off, off offset:784
	s_wait_loadcnt_dscnt 0x901
	v_mul_f64_e32 v[197:198], v[2:3], v[12:13]
	v_mul_f64_e32 v[12:13], v[4:5], v[12:13]
	s_wait_loadcnt_dscnt 0x800
	v_mul_f64_e32 v[193:194], v[189:190], v[16:17]
	v_mul_f64_e32 v[16:17], v[191:192], v[16:17]
	v_add_f64_e32 v[38:39], v[179:180], v[38:39]
	v_add_f64_e32 v[44:45], v[44:45], v[195:196]
	v_fma_f64 v[195:196], v[4:5], v[10:11], v[197:198]
	v_fma_f64 v[197:198], v[2:3], v[10:11], -v[12:13]
	ds_load_b128 v[2:5], v1 offset:1696
	scratch_load_b128 v[10:13], off, off offset:816
	v_fma_f64 v[191:192], v[191:192], v[14:15], v[193:194]
	v_fma_f64 v[189:190], v[189:190], v[14:15], -v[16:17]
	scratch_load_b128 v[14:17], off, off offset:832
	v_add_f64_e32 v[38:39], v[38:39], v[181:182]
	v_add_f64_e32 v[44:45], v[44:45], v[183:184]
	ds_load_b128 v[179:182], v1 offset:1712
	s_wait_loadcnt_dscnt 0x901
	v_mul_f64_e32 v[183:184], v[2:3], v[20:21]
	v_mul_f64_e32 v[20:21], v[4:5], v[20:21]
	s_wait_loadcnt_dscnt 0x800
	v_mul_f64_e32 v[193:194], v[179:180], v[24:25]
	v_mul_f64_e32 v[24:25], v[181:182], v[24:25]
	v_add_f64_e32 v[38:39], v[38:39], v[197:198]
	v_add_f64_e32 v[44:45], v[44:45], v[195:196]
	v_fma_f64 v[183:184], v[4:5], v[18:19], v[183:184]
	v_fma_f64 v[195:196], v[2:3], v[18:19], -v[20:21]
	ds_load_b128 v[2:5], v1 offset:1728
	scratch_load_b128 v[18:21], off, off offset:848
	v_fma_f64 v[181:182], v[181:182], v[22:23], v[193:194]
	v_fma_f64 v[179:180], v[179:180], v[22:23], -v[24:25]
	scratch_load_b128 v[22:25], off, off offset:864
	v_add_f64_e32 v[38:39], v[38:39], v[189:190]
	v_add_f64_e32 v[44:45], v[44:45], v[191:192]
	ds_load_b128 v[189:192], v1 offset:1744
	s_wait_loadcnt_dscnt 0x901
	v_mul_f64_e32 v[197:198], v[2:3], v[28:29]
	v_mul_f64_e32 v[28:29], v[4:5], v[28:29]
	v_add_f64_e32 v[38:39], v[38:39], v[195:196]
	v_add_f64_e32 v[44:45], v[44:45], v[183:184]
	s_wait_loadcnt_dscnt 0x800
	v_mul_f64_e32 v[183:184], v[189:190], v[32:33]
	v_mul_f64_e32 v[32:33], v[191:192], v[32:33]
	v_fma_f64 v[193:194], v[4:5], v[26:27], v[197:198]
	v_fma_f64 v[195:196], v[2:3], v[26:27], -v[28:29]
	ds_load_b128 v[2:5], v1 offset:1760
	scratch_load_b128 v[26:29], off, off offset:880
	v_add_f64_e32 v[38:39], v[38:39], v[179:180]
	v_add_f64_e32 v[44:45], v[44:45], v[181:182]
	ds_load_b128 v[179:182], v1 offset:1776
	s_wait_loadcnt_dscnt 0x801
	v_mul_f64_e32 v[197:198], v[2:3], v[36:37]
	v_mul_f64_e32 v[36:37], v[4:5], v[36:37]
	v_fma_f64 v[183:184], v[191:192], v[30:31], v[183:184]
	v_fma_f64 v[189:190], v[189:190], v[30:31], -v[32:33]
	scratch_load_b128 v[30:33], off, off offset:896
	s_wait_loadcnt_dscnt 0x800
	v_mul_f64_e32 v[191:192], v[179:180], v[42:43]
	v_add_f64_e32 v[38:39], v[38:39], v[195:196]
	v_add_f64_e32 v[44:45], v[44:45], v[193:194]
	v_mul_f64_e32 v[193:194], v[181:182], v[42:43]
	v_fma_f64 v[195:196], v[4:5], v[34:35], v[197:198]
	v_fma_f64 v[197:198], v[2:3], v[34:35], -v[36:37]
	ds_load_b128 v[2:5], v1 offset:1792
	scratch_load_b128 v[34:37], off, off offset:912
	v_fma_f64 v[181:182], v[181:182], v[40:41], v[191:192]
	v_add_f64_e32 v[38:39], v[38:39], v[189:190]
	v_add_f64_e32 v[183:184], v[44:45], v[183:184]
	ds_load_b128 v[42:45], v1 offset:1808
	v_fma_f64 v[179:180], v[179:180], v[40:41], -v[193:194]
	s_wait_loadcnt_dscnt 0x701
	v_mul_f64_e32 v[189:190], v[2:3], v[187:188]
	v_mul_f64_e32 v[187:188], v[4:5], v[187:188]
	s_wait_dscnt 0x0
	v_mul_f64_e32 v[193:194], v[42:43], v[8:9]
	v_mul_f64_e32 v[8:9], v[44:45], v[8:9]
	v_add_f64_e32 v[191:192], v[38:39], v[197:198]
	v_add_f64_e32 v[183:184], v[183:184], v[195:196]
	scratch_load_b128 v[38:41], off, off offset:928
	v_fma_f64 v[189:190], v[4:5], v[185:186], v[189:190]
	v_fma_f64 v[187:188], v[2:3], v[185:186], -v[187:188]
	ds_load_b128 v[2:5], v1 offset:1824
	v_fma_f64 v[44:45], v[44:45], v[6:7], v[193:194]
	v_fma_f64 v[42:43], v[42:43], v[6:7], -v[8:9]
	scratch_load_b128 v[6:9], off, off offset:960
	v_add_f64_e32 v[191:192], v[191:192], v[179:180]
	v_add_f64_e32 v[195:196], v[183:184], v[181:182]
	scratch_load_b128 v[179:182], off, off offset:944
	ds_load_b128 v[183:186], v1 offset:1840
	s_wait_loadcnt_dscnt 0x901
	v_mul_f64_e32 v[197:198], v[2:3], v[12:13]
	v_mul_f64_e32 v[12:13], v[4:5], v[12:13]
	v_add_f64_e32 v[187:188], v[191:192], v[187:188]
	v_add_f64_e32 v[189:190], v[195:196], v[189:190]
	s_wait_loadcnt_dscnt 0x800
	v_mul_f64_e32 v[191:192], v[183:184], v[16:17]
	v_mul_f64_e32 v[16:17], v[185:186], v[16:17]
	v_fma_f64 v[193:194], v[4:5], v[10:11], v[197:198]
	v_fma_f64 v[195:196], v[2:3], v[10:11], -v[12:13]
	ds_load_b128 v[2:5], v1 offset:1856
	scratch_load_b128 v[10:13], off, off offset:976
	v_add_f64_e32 v[187:188], v[187:188], v[42:43]
	v_add_f64_e32 v[189:190], v[189:190], v[44:45]
	ds_load_b128 v[42:45], v1 offset:1872
	s_wait_loadcnt_dscnt 0x801
	v_mul_f64_e32 v[197:198], v[2:3], v[20:21]
	v_mul_f64_e32 v[20:21], v[4:5], v[20:21]
	v_fma_f64 v[185:186], v[185:186], v[14:15], v[191:192]
	v_fma_f64 v[183:184], v[183:184], v[14:15], -v[16:17]
	scratch_load_b128 v[14:17], off, off offset:992
	s_wait_loadcnt_dscnt 0x800
	v_mul_f64_e32 v[191:192], v[42:43], v[24:25]
	v_mul_f64_e32 v[24:25], v[44:45], v[24:25]
	v_add_f64_e32 v[187:188], v[187:188], v[195:196]
	v_add_f64_e32 v[189:190], v[189:190], v[193:194]
	v_fma_f64 v[193:194], v[4:5], v[18:19], v[197:198]
	v_fma_f64 v[195:196], v[2:3], v[18:19], -v[20:21]
	ds_load_b128 v[2:5], v1 offset:1888
	scratch_load_b128 v[18:21], off, off offset:1008
	v_fma_f64 v[44:45], v[44:45], v[22:23], v[191:192]
	v_fma_f64 v[42:43], v[42:43], v[22:23], -v[24:25]
	scratch_load_b128 v[22:25], off, off offset:1024
	v_add_f64_e32 v[187:188], v[187:188], v[183:184]
	v_add_f64_e32 v[189:190], v[189:190], v[185:186]
	ds_load_b128 v[183:186], v1 offset:1904
	s_wait_loadcnt_dscnt 0x901
	v_mul_f64_e32 v[197:198], v[2:3], v[28:29]
	v_mul_f64_e32 v[28:29], v[4:5], v[28:29]
	s_wait_loadcnt_dscnt 0x800
	v_mul_f64_e32 v[191:192], v[183:184], v[32:33]
	v_mul_f64_e32 v[32:33], v[185:186], v[32:33]
	v_add_f64_e32 v[187:188], v[187:188], v[195:196]
	v_add_f64_e32 v[189:190], v[189:190], v[193:194]
	v_fma_f64 v[193:194], v[4:5], v[26:27], v[197:198]
	v_fma_f64 v[195:196], v[2:3], v[26:27], -v[28:29]
	ds_load_b128 v[2:5], v1 offset:1920
	ds_load_b128 v[26:29], v1 offset:1936
	v_fma_f64 v[185:186], v[185:186], v[30:31], v[191:192]
	v_fma_f64 v[30:31], v[183:184], v[30:31], -v[32:33]
	v_add_f64_e32 v[42:43], v[187:188], v[42:43]
	v_add_f64_e32 v[44:45], v[189:190], v[44:45]
	s_wait_loadcnt_dscnt 0x701
	v_mul_f64_e32 v[187:188], v[2:3], v[36:37]
	v_mul_f64_e32 v[36:37], v[4:5], v[36:37]
	s_delay_alu instid0(VALU_DEP_4) | instskip(NEXT) | instid1(VALU_DEP_4)
	v_add_f64_e32 v[32:33], v[42:43], v[195:196]
	v_add_f64_e32 v[42:43], v[44:45], v[193:194]
	s_delay_alu instid0(VALU_DEP_4) | instskip(NEXT) | instid1(VALU_DEP_4)
	v_fma_f64 v[183:184], v[4:5], v[34:35], v[187:188]
	v_fma_f64 v[34:35], v[2:3], v[34:35], -v[36:37]
	s_wait_loadcnt_dscnt 0x600
	v_mul_f64_e32 v[44:45], v[26:27], v[40:41]
	v_mul_f64_e32 v[40:41], v[28:29], v[40:41]
	v_add_f64_e32 v[36:37], v[32:33], v[30:31]
	v_add_f64_e32 v[42:43], v[42:43], v[185:186]
	ds_load_b128 v[2:5], v1 offset:1952
	ds_load_b128 v[30:33], v1 offset:1968
	v_fma_f64 v[28:29], v[28:29], v[38:39], v[44:45]
	v_fma_f64 v[26:27], v[26:27], v[38:39], -v[40:41]
	s_wait_loadcnt_dscnt 0x401
	v_mul_f64_e32 v[185:186], v[2:3], v[181:182]
	v_mul_f64_e32 v[181:182], v[4:5], v[181:182]
	s_wait_dscnt 0x0
	v_mul_f64_e32 v[38:39], v[30:31], v[8:9]
	v_mul_f64_e32 v[8:9], v[32:33], v[8:9]
	v_add_f64_e32 v[34:35], v[36:37], v[34:35]
	v_add_f64_e32 v[36:37], v[42:43], v[183:184]
	v_fma_f64 v[40:41], v[4:5], v[179:180], v[185:186]
	v_fma_f64 v[42:43], v[2:3], v[179:180], -v[181:182]
	v_fma_f64 v[32:33], v[32:33], v[6:7], v[38:39]
	v_fma_f64 v[6:7], v[30:31], v[6:7], -v[8:9]
	v_add_f64_e32 v[34:35], v[34:35], v[26:27]
	v_add_f64_e32 v[36:37], v[36:37], v[28:29]
	ds_load_b128 v[2:5], v1 offset:1984
	ds_load_b128 v[26:29], v1 offset:2000
	s_wait_loadcnt_dscnt 0x301
	v_mul_f64_e32 v[44:45], v[2:3], v[12:13]
	v_mul_f64_e32 v[12:13], v[4:5], v[12:13]
	v_add_f64_e32 v[8:9], v[34:35], v[42:43]
	v_add_f64_e32 v[30:31], v[36:37], v[40:41]
	s_wait_loadcnt_dscnt 0x200
	v_mul_f64_e32 v[34:35], v[26:27], v[16:17]
	v_mul_f64_e32 v[16:17], v[28:29], v[16:17]
	v_fma_f64 v[36:37], v[4:5], v[10:11], v[44:45]
	v_fma_f64 v[10:11], v[2:3], v[10:11], -v[12:13]
	v_add_f64_e32 v[12:13], v[8:9], v[6:7]
	v_add_f64_e32 v[30:31], v[30:31], v[32:33]
	ds_load_b128 v[2:5], v1 offset:2016
	ds_load_b128 v[6:9], v1 offset:2032
	v_fma_f64 v[28:29], v[28:29], v[14:15], v[34:35]
	v_fma_f64 v[14:15], v[26:27], v[14:15], -v[16:17]
	s_wait_loadcnt_dscnt 0x101
	v_mul_f64_e32 v[32:33], v[2:3], v[20:21]
	v_mul_f64_e32 v[20:21], v[4:5], v[20:21]
	s_wait_loadcnt_dscnt 0x0
	v_mul_f64_e32 v[16:17], v[6:7], v[24:25]
	v_mul_f64_e32 v[24:25], v[8:9], v[24:25]
	v_add_f64_e32 v[10:11], v[12:13], v[10:11]
	v_add_f64_e32 v[12:13], v[30:31], v[36:37]
	v_fma_f64 v[4:5], v[4:5], v[18:19], v[32:33]
	v_fma_f64 v[1:2], v[2:3], v[18:19], -v[20:21]
	v_fma_f64 v[8:9], v[8:9], v[22:23], v[16:17]
	v_fma_f64 v[6:7], v[6:7], v[22:23], -v[24:25]
	v_add_f64_e32 v[10:11], v[10:11], v[14:15]
	v_add_f64_e32 v[12:13], v[12:13], v[28:29]
	s_delay_alu instid0(VALU_DEP_2) | instskip(NEXT) | instid1(VALU_DEP_2)
	v_add_f64_e32 v[1:2], v[10:11], v[1:2]
	v_add_f64_e32 v[3:4], v[12:13], v[4:5]
	s_delay_alu instid0(VALU_DEP_2) | instskip(NEXT) | instid1(VALU_DEP_2)
	;; [unrolled: 3-line block ×3, first 2 shown]
	v_add_f64_e64 v[1:2], v[175:176], -v[1:2]
	v_add_f64_e64 v[3:4], v[177:178], -v[3:4]
	scratch_store_b128 off, v[1:4], off offset:448
	v_cmpx_lt_u32_e32 26, v0
	s_cbranch_execz .LBB127_357
; %bb.356:
	scratch_load_b128 v[1:4], off, s53
	v_mov_b32_e32 v5, 0
	s_delay_alu instid0(VALU_DEP_1)
	v_dual_mov_b32 v6, v5 :: v_dual_mov_b32 v7, v5
	v_mov_b32_e32 v8, v5
	scratch_store_b128 off, v[5:8], off offset:432
	s_wait_loadcnt 0x0
	ds_store_b128 v174, v[1:4]
.LBB127_357:
	s_wait_alu 0xfffe
	s_or_b32 exec_lo, exec_lo, s0
	s_wait_storecnt_dscnt 0x0
	s_barrier_signal -1
	s_barrier_wait -1
	global_inv scope:SCOPE_SE
	s_clause 0x7
	scratch_load_b128 v[2:5], off, off offset:448
	scratch_load_b128 v[6:9], off, off offset:464
	;; [unrolled: 1-line block ×8, first 2 shown]
	v_mov_b32_e32 v1, 0
	s_mov_b32 s0, exec_lo
	ds_load_b128 v[38:41], v1 offset:1456
	s_clause 0x1
	scratch_load_b128 v[34:37], off, off offset:576
	scratch_load_b128 v[42:45], off, off offset:432
	ds_load_b128 v[175:178], v1 offset:1472
	scratch_load_b128 v[179:182], off, off offset:592
	s_wait_loadcnt_dscnt 0xa01
	v_mul_f64_e32 v[183:184], v[40:41], v[4:5]
	v_mul_f64_e32 v[4:5], v[38:39], v[4:5]
	s_delay_alu instid0(VALU_DEP_2) | instskip(NEXT) | instid1(VALU_DEP_2)
	v_fma_f64 v[189:190], v[38:39], v[2:3], -v[183:184]
	v_fma_f64 v[191:192], v[40:41], v[2:3], v[4:5]
	ds_load_b128 v[2:5], v1 offset:1488
	s_wait_loadcnt_dscnt 0x901
	v_mul_f64_e32 v[187:188], v[175:176], v[8:9]
	v_mul_f64_e32 v[8:9], v[177:178], v[8:9]
	scratch_load_b128 v[38:41], off, off offset:608
	ds_load_b128 v[183:186], v1 offset:1504
	s_wait_loadcnt_dscnt 0x901
	v_mul_f64_e32 v[193:194], v[2:3], v[12:13]
	v_mul_f64_e32 v[12:13], v[4:5], v[12:13]
	v_fma_f64 v[177:178], v[177:178], v[6:7], v[187:188]
	v_fma_f64 v[175:176], v[175:176], v[6:7], -v[8:9]
	v_add_f64_e32 v[187:188], 0, v[189:190]
	v_add_f64_e32 v[189:190], 0, v[191:192]
	scratch_load_b128 v[6:9], off, off offset:624
	v_fma_f64 v[193:194], v[4:5], v[10:11], v[193:194]
	v_fma_f64 v[195:196], v[2:3], v[10:11], -v[12:13]
	ds_load_b128 v[2:5], v1 offset:1520
	s_wait_loadcnt_dscnt 0x901
	v_mul_f64_e32 v[191:192], v[183:184], v[16:17]
	v_mul_f64_e32 v[16:17], v[185:186], v[16:17]
	scratch_load_b128 v[10:13], off, off offset:640
	v_add_f64_e32 v[187:188], v[187:188], v[175:176]
	v_add_f64_e32 v[189:190], v[189:190], v[177:178]
	s_wait_loadcnt_dscnt 0x900
	v_mul_f64_e32 v[197:198], v[2:3], v[20:21]
	v_mul_f64_e32 v[20:21], v[4:5], v[20:21]
	ds_load_b128 v[175:178], v1 offset:1536
	v_fma_f64 v[185:186], v[185:186], v[14:15], v[191:192]
	v_fma_f64 v[183:184], v[183:184], v[14:15], -v[16:17]
	scratch_load_b128 v[14:17], off, off offset:656
	v_add_f64_e32 v[187:188], v[187:188], v[195:196]
	v_add_f64_e32 v[189:190], v[189:190], v[193:194]
	v_fma_f64 v[193:194], v[4:5], v[18:19], v[197:198]
	v_fma_f64 v[195:196], v[2:3], v[18:19], -v[20:21]
	ds_load_b128 v[2:5], v1 offset:1552
	s_wait_loadcnt_dscnt 0x901
	v_mul_f64_e32 v[191:192], v[175:176], v[24:25]
	v_mul_f64_e32 v[24:25], v[177:178], v[24:25]
	scratch_load_b128 v[18:21], off, off offset:672
	s_wait_loadcnt_dscnt 0x900
	v_mul_f64_e32 v[197:198], v[2:3], v[28:29]
	v_mul_f64_e32 v[28:29], v[4:5], v[28:29]
	v_add_f64_e32 v[187:188], v[187:188], v[183:184]
	v_add_f64_e32 v[189:190], v[189:190], v[185:186]
	ds_load_b128 v[183:186], v1 offset:1568
	v_fma_f64 v[177:178], v[177:178], v[22:23], v[191:192]
	v_fma_f64 v[175:176], v[175:176], v[22:23], -v[24:25]
	scratch_load_b128 v[22:25], off, off offset:688
	v_add_f64_e32 v[187:188], v[187:188], v[195:196]
	v_add_f64_e32 v[189:190], v[189:190], v[193:194]
	v_fma_f64 v[193:194], v[4:5], v[26:27], v[197:198]
	v_fma_f64 v[195:196], v[2:3], v[26:27], -v[28:29]
	ds_load_b128 v[2:5], v1 offset:1584
	s_wait_loadcnt_dscnt 0x901
	v_mul_f64_e32 v[191:192], v[183:184], v[32:33]
	v_mul_f64_e32 v[32:33], v[185:186], v[32:33]
	scratch_load_b128 v[26:29], off, off offset:704
	s_wait_loadcnt_dscnt 0x900
	v_mul_f64_e32 v[197:198], v[2:3], v[36:37]
	v_mul_f64_e32 v[36:37], v[4:5], v[36:37]
	v_add_f64_e32 v[187:188], v[187:188], v[175:176]
	v_add_f64_e32 v[189:190], v[189:190], v[177:178]
	ds_load_b128 v[175:178], v1 offset:1600
	v_fma_f64 v[185:186], v[185:186], v[30:31], v[191:192]
	v_fma_f64 v[183:184], v[183:184], v[30:31], -v[32:33]
	scratch_load_b128 v[30:33], off, off offset:720
	v_add_f64_e32 v[187:188], v[187:188], v[195:196]
	v_add_f64_e32 v[189:190], v[189:190], v[193:194]
	v_fma_f64 v[195:196], v[4:5], v[34:35], v[197:198]
	v_fma_f64 v[197:198], v[2:3], v[34:35], -v[36:37]
	ds_load_b128 v[2:5], v1 offset:1616
	s_wait_loadcnt_dscnt 0x801
	v_mul_f64_e32 v[191:192], v[175:176], v[181:182]
	v_mul_f64_e32 v[193:194], v[177:178], v[181:182]
	scratch_load_b128 v[34:37], off, off offset:736
	v_add_f64_e32 v[187:188], v[187:188], v[183:184]
	v_add_f64_e32 v[185:186], v[189:190], v[185:186]
	ds_load_b128 v[181:184], v1 offset:1632
	v_fma_f64 v[191:192], v[177:178], v[179:180], v[191:192]
	v_fma_f64 v[179:180], v[175:176], v[179:180], -v[193:194]
	scratch_load_b128 v[175:178], off, off offset:752
	s_wait_loadcnt_dscnt 0x901
	v_mul_f64_e32 v[189:190], v[2:3], v[40:41]
	v_mul_f64_e32 v[40:41], v[4:5], v[40:41]
	v_add_f64_e32 v[187:188], v[187:188], v[197:198]
	v_add_f64_e32 v[185:186], v[185:186], v[195:196]
	s_delay_alu instid0(VALU_DEP_4) | instskip(NEXT) | instid1(VALU_DEP_4)
	v_fma_f64 v[189:190], v[4:5], v[38:39], v[189:190]
	v_fma_f64 v[195:196], v[2:3], v[38:39], -v[40:41]
	ds_load_b128 v[2:5], v1 offset:1648
	s_wait_loadcnt_dscnt 0x801
	v_mul_f64_e32 v[193:194], v[181:182], v[8:9]
	v_mul_f64_e32 v[8:9], v[183:184], v[8:9]
	scratch_load_b128 v[38:41], off, off offset:768
	s_wait_loadcnt_dscnt 0x800
	v_mul_f64_e32 v[197:198], v[2:3], v[12:13]
	v_add_f64_e32 v[179:180], v[187:188], v[179:180]
	v_add_f64_e32 v[191:192], v[185:186], v[191:192]
	v_mul_f64_e32 v[12:13], v[4:5], v[12:13]
	ds_load_b128 v[185:188], v1 offset:1664
	v_fma_f64 v[183:184], v[183:184], v[6:7], v[193:194]
	v_fma_f64 v[181:182], v[181:182], v[6:7], -v[8:9]
	scratch_load_b128 v[6:9], off, off offset:784
	v_fma_f64 v[193:194], v[4:5], v[10:11], v[197:198]
	v_add_f64_e32 v[179:180], v[179:180], v[195:196]
	v_add_f64_e32 v[189:190], v[191:192], v[189:190]
	v_fma_f64 v[195:196], v[2:3], v[10:11], -v[12:13]
	ds_load_b128 v[2:5], v1 offset:1680
	s_wait_loadcnt_dscnt 0x801
	v_mul_f64_e32 v[191:192], v[185:186], v[16:17]
	v_mul_f64_e32 v[16:17], v[187:188], v[16:17]
	scratch_load_b128 v[10:13], off, off offset:800
	v_add_f64_e32 v[197:198], v[179:180], v[181:182]
	v_add_f64_e32 v[183:184], v[189:190], v[183:184]
	s_wait_loadcnt_dscnt 0x800
	v_mul_f64_e32 v[189:190], v[2:3], v[20:21]
	v_mul_f64_e32 v[20:21], v[4:5], v[20:21]
	v_fma_f64 v[187:188], v[187:188], v[14:15], v[191:192]
	v_fma_f64 v[185:186], v[185:186], v[14:15], -v[16:17]
	ds_load_b128 v[179:182], v1 offset:1696
	scratch_load_b128 v[14:17], off, off offset:816
	v_add_f64_e32 v[191:192], v[197:198], v[195:196]
	v_add_f64_e32 v[183:184], v[183:184], v[193:194]
	v_fma_f64 v[189:190], v[4:5], v[18:19], v[189:190]
	v_fma_f64 v[195:196], v[2:3], v[18:19], -v[20:21]
	ds_load_b128 v[2:5], v1 offset:1712
	s_wait_loadcnt_dscnt 0x801
	v_mul_f64_e32 v[193:194], v[179:180], v[24:25]
	v_mul_f64_e32 v[24:25], v[181:182], v[24:25]
	scratch_load_b128 v[18:21], off, off offset:832
	s_wait_loadcnt_dscnt 0x800
	v_mul_f64_e32 v[197:198], v[2:3], v[28:29]
	v_mul_f64_e32 v[28:29], v[4:5], v[28:29]
	v_add_f64_e32 v[191:192], v[191:192], v[185:186]
	v_add_f64_e32 v[187:188], v[183:184], v[187:188]
	ds_load_b128 v[183:186], v1 offset:1728
	v_fma_f64 v[181:182], v[181:182], v[22:23], v[193:194]
	v_fma_f64 v[179:180], v[179:180], v[22:23], -v[24:25]
	scratch_load_b128 v[22:25], off, off offset:848
	v_fma_f64 v[193:194], v[4:5], v[26:27], v[197:198]
	v_add_f64_e32 v[191:192], v[191:192], v[195:196]
	v_add_f64_e32 v[187:188], v[187:188], v[189:190]
	v_fma_f64 v[195:196], v[2:3], v[26:27], -v[28:29]
	ds_load_b128 v[2:5], v1 offset:1744
	s_wait_loadcnt_dscnt 0x801
	v_mul_f64_e32 v[189:190], v[183:184], v[32:33]
	v_mul_f64_e32 v[32:33], v[185:186], v[32:33]
	scratch_load_b128 v[26:29], off, off offset:864
	s_wait_loadcnt_dscnt 0x800
	v_mul_f64_e32 v[197:198], v[2:3], v[36:37]
	v_mul_f64_e32 v[36:37], v[4:5], v[36:37]
	v_add_f64_e32 v[191:192], v[191:192], v[179:180]
	v_add_f64_e32 v[187:188], v[187:188], v[181:182]
	ds_load_b128 v[179:182], v1 offset:1760
	v_fma_f64 v[185:186], v[185:186], v[30:31], v[189:190]
	v_fma_f64 v[183:184], v[183:184], v[30:31], -v[32:33]
	scratch_load_b128 v[30:33], off, off offset:880
	v_add_f64_e32 v[189:190], v[191:192], v[195:196]
	v_add_f64_e32 v[187:188], v[187:188], v[193:194]
	v_fma_f64 v[193:194], v[4:5], v[34:35], v[197:198]
	v_fma_f64 v[195:196], v[2:3], v[34:35], -v[36:37]
	ds_load_b128 v[2:5], v1 offset:1776
	s_wait_loadcnt_dscnt 0x801
	v_mul_f64_e32 v[191:192], v[179:180], v[177:178]
	v_mul_f64_e32 v[177:178], v[181:182], v[177:178]
	scratch_load_b128 v[34:37], off, off offset:896
	s_wait_loadcnt_dscnt 0x800
	v_mul_f64_e32 v[197:198], v[2:3], v[40:41]
	v_mul_f64_e32 v[40:41], v[4:5], v[40:41]
	v_add_f64_e32 v[189:190], v[189:190], v[183:184]
	v_add_f64_e32 v[187:188], v[187:188], v[185:186]
	ds_load_b128 v[183:186], v1 offset:1792
	v_fma_f64 v[181:182], v[181:182], v[175:176], v[191:192]
	v_fma_f64 v[179:180], v[179:180], v[175:176], -v[177:178]
	scratch_load_b128 v[175:178], off, off offset:912
	v_add_f64_e32 v[189:190], v[189:190], v[195:196]
	v_add_f64_e32 v[187:188], v[187:188], v[193:194]
	v_fma_f64 v[193:194], v[4:5], v[38:39], v[197:198]
	v_fma_f64 v[195:196], v[2:3], v[38:39], -v[40:41]
	ds_load_b128 v[2:5], v1 offset:1808
	s_wait_loadcnt_dscnt 0x801
	v_mul_f64_e32 v[191:192], v[183:184], v[8:9]
	v_mul_f64_e32 v[8:9], v[185:186], v[8:9]
	scratch_load_b128 v[38:41], off, off offset:928
	s_wait_loadcnt_dscnt 0x800
	v_mul_f64_e32 v[197:198], v[2:3], v[12:13]
	v_mul_f64_e32 v[12:13], v[4:5], v[12:13]
	v_add_f64_e32 v[189:190], v[189:190], v[179:180]
	v_add_f64_e32 v[187:188], v[187:188], v[181:182]
	ds_load_b128 v[179:182], v1 offset:1824
	v_fma_f64 v[185:186], v[185:186], v[6:7], v[191:192]
	v_fma_f64 v[183:184], v[183:184], v[6:7], -v[8:9]
	scratch_load_b128 v[6:9], off, off offset:944
	v_add_f64_e32 v[189:190], v[189:190], v[195:196]
	v_add_f64_e32 v[187:188], v[187:188], v[193:194]
	v_fma_f64 v[193:194], v[4:5], v[10:11], v[197:198]
	v_fma_f64 v[195:196], v[2:3], v[10:11], -v[12:13]
	ds_load_b128 v[2:5], v1 offset:1840
	s_wait_loadcnt_dscnt 0x801
	v_mul_f64_e32 v[191:192], v[179:180], v[16:17]
	v_mul_f64_e32 v[16:17], v[181:182], v[16:17]
	scratch_load_b128 v[10:13], off, off offset:960
	s_wait_loadcnt_dscnt 0x800
	v_mul_f64_e32 v[197:198], v[2:3], v[20:21]
	v_mul_f64_e32 v[20:21], v[4:5], v[20:21]
	v_add_f64_e32 v[189:190], v[189:190], v[183:184]
	v_add_f64_e32 v[187:188], v[187:188], v[185:186]
	ds_load_b128 v[183:186], v1 offset:1856
	v_fma_f64 v[181:182], v[181:182], v[14:15], v[191:192]
	v_fma_f64 v[179:180], v[179:180], v[14:15], -v[16:17]
	scratch_load_b128 v[14:17], off, off offset:976
	v_add_f64_e32 v[189:190], v[189:190], v[195:196]
	v_add_f64_e32 v[187:188], v[187:188], v[193:194]
	v_fma_f64 v[193:194], v[4:5], v[18:19], v[197:198]
	v_fma_f64 v[195:196], v[2:3], v[18:19], -v[20:21]
	ds_load_b128 v[2:5], v1 offset:1872
	s_wait_loadcnt_dscnt 0x801
	v_mul_f64_e32 v[191:192], v[183:184], v[24:25]
	v_mul_f64_e32 v[24:25], v[185:186], v[24:25]
	scratch_load_b128 v[18:21], off, off offset:992
	s_wait_loadcnt_dscnt 0x800
	v_mul_f64_e32 v[197:198], v[2:3], v[28:29]
	v_mul_f64_e32 v[28:29], v[4:5], v[28:29]
	v_add_f64_e32 v[189:190], v[189:190], v[179:180]
	v_add_f64_e32 v[187:188], v[187:188], v[181:182]
	ds_load_b128 v[179:182], v1 offset:1888
	v_fma_f64 v[185:186], v[185:186], v[22:23], v[191:192]
	v_fma_f64 v[183:184], v[183:184], v[22:23], -v[24:25]
	scratch_load_b128 v[22:25], off, off offset:1008
	v_add_f64_e32 v[189:190], v[189:190], v[195:196]
	v_add_f64_e32 v[187:188], v[187:188], v[193:194]
	v_fma_f64 v[193:194], v[4:5], v[26:27], v[197:198]
	v_fma_f64 v[195:196], v[2:3], v[26:27], -v[28:29]
	ds_load_b128 v[2:5], v1 offset:1904
	s_wait_loadcnt_dscnt 0x801
	v_mul_f64_e32 v[191:192], v[179:180], v[32:33]
	v_mul_f64_e32 v[32:33], v[181:182], v[32:33]
	scratch_load_b128 v[26:29], off, off offset:1024
	s_wait_loadcnt_dscnt 0x800
	v_mul_f64_e32 v[197:198], v[2:3], v[36:37]
	v_mul_f64_e32 v[36:37], v[4:5], v[36:37]
	v_add_f64_e32 v[189:190], v[189:190], v[183:184]
	v_add_f64_e32 v[187:188], v[187:188], v[185:186]
	ds_load_b128 v[183:186], v1 offset:1920
	v_fma_f64 v[181:182], v[181:182], v[30:31], v[191:192]
	v_fma_f64 v[30:31], v[179:180], v[30:31], -v[32:33]
	v_add_f64_e32 v[32:33], v[189:190], v[195:196]
	v_add_f64_e32 v[179:180], v[187:188], v[193:194]
	s_wait_loadcnt_dscnt 0x700
	v_mul_f64_e32 v[187:188], v[183:184], v[177:178]
	v_mul_f64_e32 v[177:178], v[185:186], v[177:178]
	v_fma_f64 v[189:190], v[4:5], v[34:35], v[197:198]
	v_fma_f64 v[34:35], v[2:3], v[34:35], -v[36:37]
	v_add_f64_e32 v[36:37], v[32:33], v[30:31]
	v_add_f64_e32 v[179:180], v[179:180], v[181:182]
	ds_load_b128 v[2:5], v1 offset:1936
	ds_load_b128 v[30:33], v1 offset:1952
	v_fma_f64 v[185:186], v[185:186], v[175:176], v[187:188]
	v_fma_f64 v[175:176], v[183:184], v[175:176], -v[177:178]
	s_wait_loadcnt_dscnt 0x601
	v_mul_f64_e32 v[181:182], v[2:3], v[40:41]
	v_mul_f64_e32 v[40:41], v[4:5], v[40:41]
	s_wait_loadcnt_dscnt 0x500
	v_mul_f64_e32 v[177:178], v[30:31], v[8:9]
	v_mul_f64_e32 v[8:9], v[32:33], v[8:9]
	v_add_f64_e32 v[34:35], v[36:37], v[34:35]
	v_add_f64_e32 v[36:37], v[179:180], v[189:190]
	v_fma_f64 v[179:180], v[4:5], v[38:39], v[181:182]
	v_fma_f64 v[38:39], v[2:3], v[38:39], -v[40:41]
	v_fma_f64 v[32:33], v[32:33], v[6:7], v[177:178]
	v_fma_f64 v[6:7], v[30:31], v[6:7], -v[8:9]
	v_add_f64_e32 v[40:41], v[34:35], v[175:176]
	v_add_f64_e32 v[175:176], v[36:37], v[185:186]
	ds_load_b128 v[2:5], v1 offset:1968
	ds_load_b128 v[34:37], v1 offset:1984
	s_wait_loadcnt_dscnt 0x401
	v_mul_f64_e32 v[181:182], v[2:3], v[12:13]
	v_mul_f64_e32 v[12:13], v[4:5], v[12:13]
	v_add_f64_e32 v[8:9], v[40:41], v[38:39]
	v_add_f64_e32 v[30:31], v[175:176], v[179:180]
	s_wait_loadcnt_dscnt 0x300
	v_mul_f64_e32 v[38:39], v[34:35], v[16:17]
	v_mul_f64_e32 v[16:17], v[36:37], v[16:17]
	v_fma_f64 v[40:41], v[4:5], v[10:11], v[181:182]
	v_fma_f64 v[10:11], v[2:3], v[10:11], -v[12:13]
	v_add_f64_e32 v[12:13], v[8:9], v[6:7]
	v_add_f64_e32 v[30:31], v[30:31], v[32:33]
	ds_load_b128 v[2:5], v1 offset:2000
	ds_load_b128 v[6:9], v1 offset:2016
	v_fma_f64 v[36:37], v[36:37], v[14:15], v[38:39]
	v_fma_f64 v[14:15], v[34:35], v[14:15], -v[16:17]
	s_wait_loadcnt_dscnt 0x201
	v_mul_f64_e32 v[32:33], v[2:3], v[20:21]
	v_mul_f64_e32 v[20:21], v[4:5], v[20:21]
	s_wait_loadcnt_dscnt 0x100
	v_mul_f64_e32 v[16:17], v[6:7], v[24:25]
	v_mul_f64_e32 v[24:25], v[8:9], v[24:25]
	v_add_f64_e32 v[10:11], v[12:13], v[10:11]
	v_add_f64_e32 v[12:13], v[30:31], v[40:41]
	v_fma_f64 v[30:31], v[4:5], v[18:19], v[32:33]
	v_fma_f64 v[18:19], v[2:3], v[18:19], -v[20:21]
	ds_load_b128 v[2:5], v1 offset:2032
	v_fma_f64 v[8:9], v[8:9], v[22:23], v[16:17]
	v_fma_f64 v[6:7], v[6:7], v[22:23], -v[24:25]
	v_add_f64_e32 v[10:11], v[10:11], v[14:15]
	v_add_f64_e32 v[12:13], v[12:13], v[36:37]
	s_wait_loadcnt_dscnt 0x0
	v_mul_f64_e32 v[14:15], v[2:3], v[28:29]
	v_mul_f64_e32 v[20:21], v[4:5], v[28:29]
	s_delay_alu instid0(VALU_DEP_4) | instskip(NEXT) | instid1(VALU_DEP_4)
	v_add_f64_e32 v[10:11], v[10:11], v[18:19]
	v_add_f64_e32 v[12:13], v[12:13], v[30:31]
	s_delay_alu instid0(VALU_DEP_4) | instskip(NEXT) | instid1(VALU_DEP_4)
	v_fma_f64 v[4:5], v[4:5], v[26:27], v[14:15]
	v_fma_f64 v[2:3], v[2:3], v[26:27], -v[20:21]
	s_delay_alu instid0(VALU_DEP_4) | instskip(NEXT) | instid1(VALU_DEP_4)
	v_add_f64_e32 v[6:7], v[10:11], v[6:7]
	v_add_f64_e32 v[8:9], v[12:13], v[8:9]
	s_delay_alu instid0(VALU_DEP_2) | instskip(NEXT) | instid1(VALU_DEP_2)
	v_add_f64_e32 v[2:3], v[6:7], v[2:3]
	v_add_f64_e32 v[4:5], v[8:9], v[4:5]
	s_delay_alu instid0(VALU_DEP_2) | instskip(NEXT) | instid1(VALU_DEP_2)
	v_add_f64_e64 v[2:3], v[42:43], -v[2:3]
	v_add_f64_e64 v[4:5], v[44:45], -v[4:5]
	scratch_store_b128 off, v[2:5], off offset:432
	v_cmpx_lt_u32_e32 25, v0
	s_cbranch_execz .LBB127_359
; %bb.358:
	scratch_load_b128 v[5:8], off, s54
	v_dual_mov_b32 v2, v1 :: v_dual_mov_b32 v3, v1
	v_mov_b32_e32 v4, v1
	scratch_store_b128 off, v[1:4], off offset:416
	s_wait_loadcnt 0x0
	ds_store_b128 v174, v[5:8]
.LBB127_359:
	s_wait_alu 0xfffe
	s_or_b32 exec_lo, exec_lo, s0
	s_wait_storecnt_dscnt 0x0
	s_barrier_signal -1
	s_barrier_wait -1
	global_inv scope:SCOPE_SE
	s_clause 0x8
	scratch_load_b128 v[2:5], off, off offset:432
	scratch_load_b128 v[6:9], off, off offset:448
	;; [unrolled: 1-line block ×9, first 2 shown]
	ds_load_b128 v[42:45], v1 offset:1440
	ds_load_b128 v[38:41], v1 offset:1456
	s_clause 0x1
	scratch_load_b128 v[175:178], off, off offset:416
	scratch_load_b128 v[179:182], off, off offset:576
	s_mov_b32 s0, exec_lo
	s_wait_loadcnt_dscnt 0xa01
	v_mul_f64_e32 v[183:184], v[44:45], v[4:5]
	v_mul_f64_e32 v[4:5], v[42:43], v[4:5]
	s_wait_loadcnt_dscnt 0x900
	v_mul_f64_e32 v[187:188], v[38:39], v[8:9]
	v_mul_f64_e32 v[8:9], v[40:41], v[8:9]
	s_delay_alu instid0(VALU_DEP_4) | instskip(NEXT) | instid1(VALU_DEP_4)
	v_fma_f64 v[189:190], v[42:43], v[2:3], -v[183:184]
	v_fma_f64 v[191:192], v[44:45], v[2:3], v[4:5]
	ds_load_b128 v[2:5], v1 offset:1472
	ds_load_b128 v[183:186], v1 offset:1488
	scratch_load_b128 v[42:45], off, off offset:592
	v_fma_f64 v[40:41], v[40:41], v[6:7], v[187:188]
	v_fma_f64 v[38:39], v[38:39], v[6:7], -v[8:9]
	scratch_load_b128 v[6:9], off, off offset:608
	s_wait_loadcnt_dscnt 0xa01
	v_mul_f64_e32 v[193:194], v[2:3], v[12:13]
	v_mul_f64_e32 v[12:13], v[4:5], v[12:13]
	v_add_f64_e32 v[187:188], 0, v[189:190]
	v_add_f64_e32 v[189:190], 0, v[191:192]
	s_wait_loadcnt_dscnt 0x900
	v_mul_f64_e32 v[191:192], v[183:184], v[16:17]
	v_mul_f64_e32 v[16:17], v[185:186], v[16:17]
	v_fma_f64 v[193:194], v[4:5], v[10:11], v[193:194]
	v_fma_f64 v[195:196], v[2:3], v[10:11], -v[12:13]
	ds_load_b128 v[2:5], v1 offset:1504
	scratch_load_b128 v[10:13], off, off offset:624
	v_add_f64_e32 v[187:188], v[187:188], v[38:39]
	v_add_f64_e32 v[189:190], v[189:190], v[40:41]
	ds_load_b128 v[38:41], v1 offset:1520
	v_fma_f64 v[185:186], v[185:186], v[14:15], v[191:192]
	v_fma_f64 v[183:184], v[183:184], v[14:15], -v[16:17]
	scratch_load_b128 v[14:17], off, off offset:640
	s_wait_loadcnt_dscnt 0xa01
	v_mul_f64_e32 v[197:198], v[2:3], v[20:21]
	v_mul_f64_e32 v[20:21], v[4:5], v[20:21]
	s_wait_loadcnt_dscnt 0x900
	v_mul_f64_e32 v[191:192], v[38:39], v[24:25]
	v_mul_f64_e32 v[24:25], v[40:41], v[24:25]
	v_add_f64_e32 v[187:188], v[187:188], v[195:196]
	v_add_f64_e32 v[189:190], v[189:190], v[193:194]
	v_fma_f64 v[193:194], v[4:5], v[18:19], v[197:198]
	v_fma_f64 v[195:196], v[2:3], v[18:19], -v[20:21]
	ds_load_b128 v[2:5], v1 offset:1536
	scratch_load_b128 v[18:21], off, off offset:656
	v_fma_f64 v[40:41], v[40:41], v[22:23], v[191:192]
	v_fma_f64 v[38:39], v[38:39], v[22:23], -v[24:25]
	scratch_load_b128 v[22:25], off, off offset:672
	v_add_f64_e32 v[187:188], v[187:188], v[183:184]
	v_add_f64_e32 v[189:190], v[189:190], v[185:186]
	ds_load_b128 v[183:186], v1 offset:1552
	s_wait_loadcnt_dscnt 0xa01
	v_mul_f64_e32 v[197:198], v[2:3], v[28:29]
	v_mul_f64_e32 v[28:29], v[4:5], v[28:29]
	s_wait_loadcnt_dscnt 0x900
	v_mul_f64_e32 v[191:192], v[183:184], v[32:33]
	v_mul_f64_e32 v[32:33], v[185:186], v[32:33]
	v_add_f64_e32 v[187:188], v[187:188], v[195:196]
	v_add_f64_e32 v[189:190], v[189:190], v[193:194]
	v_fma_f64 v[193:194], v[4:5], v[26:27], v[197:198]
	v_fma_f64 v[195:196], v[2:3], v[26:27], -v[28:29]
	ds_load_b128 v[2:5], v1 offset:1568
	scratch_load_b128 v[26:29], off, off offset:688
	v_fma_f64 v[185:186], v[185:186], v[30:31], v[191:192]
	v_fma_f64 v[183:184], v[183:184], v[30:31], -v[32:33]
	scratch_load_b128 v[30:33], off, off offset:704
	v_add_f64_e32 v[187:188], v[187:188], v[38:39]
	v_add_f64_e32 v[189:190], v[189:190], v[40:41]
	ds_load_b128 v[38:41], v1 offset:1584
	s_wait_loadcnt_dscnt 0xa01
	v_mul_f64_e32 v[197:198], v[2:3], v[36:37]
	v_mul_f64_e32 v[36:37], v[4:5], v[36:37]
	s_wait_loadcnt_dscnt 0x800
	v_mul_f64_e32 v[191:192], v[38:39], v[181:182]
	v_add_f64_e32 v[187:188], v[187:188], v[195:196]
	v_add_f64_e32 v[189:190], v[189:190], v[193:194]
	v_mul_f64_e32 v[193:194], v[40:41], v[181:182]
	v_fma_f64 v[195:196], v[4:5], v[34:35], v[197:198]
	v_fma_f64 v[197:198], v[2:3], v[34:35], -v[36:37]
	ds_load_b128 v[2:5], v1 offset:1600
	scratch_load_b128 v[34:37], off, off offset:720
	v_fma_f64 v[191:192], v[40:41], v[179:180], v[191:192]
	v_add_f64_e32 v[187:188], v[187:188], v[183:184]
	v_add_f64_e32 v[185:186], v[189:190], v[185:186]
	ds_load_b128 v[181:184], v1 offset:1616
	v_fma_f64 v[179:180], v[38:39], v[179:180], -v[193:194]
	scratch_load_b128 v[38:41], off, off offset:736
	s_wait_loadcnt_dscnt 0x901
	v_mul_f64_e32 v[189:190], v[2:3], v[44:45]
	v_mul_f64_e32 v[44:45], v[4:5], v[44:45]
	s_wait_loadcnt_dscnt 0x800
	v_mul_f64_e32 v[193:194], v[181:182], v[8:9]
	v_mul_f64_e32 v[8:9], v[183:184], v[8:9]
	v_add_f64_e32 v[187:188], v[187:188], v[197:198]
	v_add_f64_e32 v[185:186], v[185:186], v[195:196]
	v_fma_f64 v[189:190], v[4:5], v[42:43], v[189:190]
	v_fma_f64 v[195:196], v[2:3], v[42:43], -v[44:45]
	ds_load_b128 v[2:5], v1 offset:1632
	scratch_load_b128 v[42:45], off, off offset:752
	v_fma_f64 v[183:184], v[183:184], v[6:7], v[193:194]
	v_fma_f64 v[181:182], v[181:182], v[6:7], -v[8:9]
	scratch_load_b128 v[6:9], off, off offset:768
	v_add_f64_e32 v[179:180], v[187:188], v[179:180]
	v_add_f64_e32 v[191:192], v[185:186], v[191:192]
	ds_load_b128 v[185:188], v1 offset:1648
	s_wait_loadcnt_dscnt 0x901
	v_mul_f64_e32 v[197:198], v[2:3], v[12:13]
	v_mul_f64_e32 v[12:13], v[4:5], v[12:13]
	v_add_f64_e32 v[179:180], v[179:180], v[195:196]
	v_add_f64_e32 v[189:190], v[191:192], v[189:190]
	s_wait_loadcnt_dscnt 0x800
	v_mul_f64_e32 v[191:192], v[185:186], v[16:17]
	v_mul_f64_e32 v[16:17], v[187:188], v[16:17]
	v_fma_f64 v[193:194], v[4:5], v[10:11], v[197:198]
	v_fma_f64 v[195:196], v[2:3], v[10:11], -v[12:13]
	ds_load_b128 v[2:5], v1 offset:1664
	scratch_load_b128 v[10:13], off, off offset:784
	v_add_f64_e32 v[197:198], v[179:180], v[181:182]
	v_add_f64_e32 v[183:184], v[189:190], v[183:184]
	ds_load_b128 v[179:182], v1 offset:1680
	s_wait_loadcnt_dscnt 0x801
	v_mul_f64_e32 v[189:190], v[2:3], v[20:21]
	v_mul_f64_e32 v[20:21], v[4:5], v[20:21]
	v_fma_f64 v[187:188], v[187:188], v[14:15], v[191:192]
	v_fma_f64 v[185:186], v[185:186], v[14:15], -v[16:17]
	scratch_load_b128 v[14:17], off, off offset:800
	v_add_f64_e32 v[191:192], v[197:198], v[195:196]
	v_add_f64_e32 v[183:184], v[183:184], v[193:194]
	s_wait_loadcnt_dscnt 0x800
	v_mul_f64_e32 v[193:194], v[179:180], v[24:25]
	v_mul_f64_e32 v[24:25], v[181:182], v[24:25]
	v_fma_f64 v[189:190], v[4:5], v[18:19], v[189:190]
	v_fma_f64 v[195:196], v[2:3], v[18:19], -v[20:21]
	ds_load_b128 v[2:5], v1 offset:1696
	scratch_load_b128 v[18:21], off, off offset:816
	v_add_f64_e32 v[191:192], v[191:192], v[185:186]
	v_add_f64_e32 v[187:188], v[183:184], v[187:188]
	ds_load_b128 v[183:186], v1 offset:1712
	s_wait_loadcnt_dscnt 0x801
	v_mul_f64_e32 v[197:198], v[2:3], v[28:29]
	v_mul_f64_e32 v[28:29], v[4:5], v[28:29]
	v_fma_f64 v[181:182], v[181:182], v[22:23], v[193:194]
	v_fma_f64 v[179:180], v[179:180], v[22:23], -v[24:25]
	scratch_load_b128 v[22:25], off, off offset:832
	;; [unrolled: 18-line block ×4, first 2 shown]
	s_wait_loadcnt_dscnt 0x800
	v_mul_f64_e32 v[191:192], v[183:184], v[8:9]
	v_mul_f64_e32 v[8:9], v[185:186], v[8:9]
	v_add_f64_e32 v[189:190], v[189:190], v[195:196]
	v_add_f64_e32 v[187:188], v[187:188], v[193:194]
	v_fma_f64 v[193:194], v[4:5], v[42:43], v[197:198]
	v_fma_f64 v[195:196], v[2:3], v[42:43], -v[44:45]
	ds_load_b128 v[2:5], v1 offset:1792
	scratch_load_b128 v[42:45], off, off offset:912
	v_fma_f64 v[185:186], v[185:186], v[6:7], v[191:192]
	v_fma_f64 v[183:184], v[183:184], v[6:7], -v[8:9]
	scratch_load_b128 v[6:9], off, off offset:928
	v_add_f64_e32 v[189:190], v[189:190], v[179:180]
	v_add_f64_e32 v[187:188], v[187:188], v[181:182]
	ds_load_b128 v[179:182], v1 offset:1808
	s_wait_loadcnt_dscnt 0x901
	v_mul_f64_e32 v[197:198], v[2:3], v[12:13]
	v_mul_f64_e32 v[12:13], v[4:5], v[12:13]
	s_wait_loadcnt_dscnt 0x800
	v_mul_f64_e32 v[191:192], v[179:180], v[16:17]
	v_mul_f64_e32 v[16:17], v[181:182], v[16:17]
	v_add_f64_e32 v[189:190], v[189:190], v[195:196]
	v_add_f64_e32 v[187:188], v[187:188], v[193:194]
	v_fma_f64 v[193:194], v[4:5], v[10:11], v[197:198]
	v_fma_f64 v[195:196], v[2:3], v[10:11], -v[12:13]
	ds_load_b128 v[2:5], v1 offset:1824
	scratch_load_b128 v[10:13], off, off offset:944
	v_fma_f64 v[181:182], v[181:182], v[14:15], v[191:192]
	v_fma_f64 v[179:180], v[179:180], v[14:15], -v[16:17]
	scratch_load_b128 v[14:17], off, off offset:960
	v_add_f64_e32 v[189:190], v[189:190], v[183:184]
	v_add_f64_e32 v[187:188], v[187:188], v[185:186]
	ds_load_b128 v[183:186], v1 offset:1840
	s_wait_loadcnt_dscnt 0x901
	v_mul_f64_e32 v[197:198], v[2:3], v[20:21]
	v_mul_f64_e32 v[20:21], v[4:5], v[20:21]
	;; [unrolled: 18-line block ×4, first 2 shown]
	s_wait_loadcnt_dscnt 0x800
	v_mul_f64_e32 v[191:192], v[183:184], v[40:41]
	v_mul_f64_e32 v[40:41], v[185:186], v[40:41]
	v_add_f64_e32 v[189:190], v[189:190], v[195:196]
	v_add_f64_e32 v[187:188], v[187:188], v[193:194]
	v_fma_f64 v[193:194], v[4:5], v[34:35], v[197:198]
	v_fma_f64 v[195:196], v[2:3], v[34:35], -v[36:37]
	ds_load_b128 v[2:5], v1 offset:1920
	ds_load_b128 v[34:37], v1 offset:1936
	v_fma_f64 v[185:186], v[185:186], v[38:39], v[191:192]
	v_fma_f64 v[38:39], v[183:184], v[38:39], -v[40:41]
	v_add_f64_e32 v[179:180], v[189:190], v[179:180]
	v_add_f64_e32 v[181:182], v[187:188], v[181:182]
	s_wait_loadcnt_dscnt 0x701
	v_mul_f64_e32 v[187:188], v[2:3], v[44:45]
	v_mul_f64_e32 v[44:45], v[4:5], v[44:45]
	s_delay_alu instid0(VALU_DEP_4) | instskip(NEXT) | instid1(VALU_DEP_4)
	v_add_f64_e32 v[40:41], v[179:180], v[195:196]
	v_add_f64_e32 v[179:180], v[181:182], v[193:194]
	s_wait_loadcnt_dscnt 0x600
	v_mul_f64_e32 v[181:182], v[34:35], v[8:9]
	v_mul_f64_e32 v[8:9], v[36:37], v[8:9]
	v_fma_f64 v[183:184], v[4:5], v[42:43], v[187:188]
	v_fma_f64 v[42:43], v[2:3], v[42:43], -v[44:45]
	v_add_f64_e32 v[44:45], v[40:41], v[38:39]
	v_add_f64_e32 v[179:180], v[179:180], v[185:186]
	ds_load_b128 v[2:5], v1 offset:1952
	ds_load_b128 v[38:41], v1 offset:1968
	v_fma_f64 v[36:37], v[36:37], v[6:7], v[181:182]
	v_fma_f64 v[6:7], v[34:35], v[6:7], -v[8:9]
	s_wait_loadcnt_dscnt 0x501
	v_mul_f64_e32 v[185:186], v[2:3], v[12:13]
	v_mul_f64_e32 v[12:13], v[4:5], v[12:13]
	v_add_f64_e32 v[8:9], v[44:45], v[42:43]
	v_add_f64_e32 v[34:35], v[179:180], v[183:184]
	s_wait_loadcnt_dscnt 0x400
	v_mul_f64_e32 v[42:43], v[38:39], v[16:17]
	v_mul_f64_e32 v[16:17], v[40:41], v[16:17]
	v_fma_f64 v[44:45], v[4:5], v[10:11], v[185:186]
	v_fma_f64 v[10:11], v[2:3], v[10:11], -v[12:13]
	v_add_f64_e32 v[12:13], v[8:9], v[6:7]
	v_add_f64_e32 v[34:35], v[34:35], v[36:37]
	ds_load_b128 v[2:5], v1 offset:1984
	ds_load_b128 v[6:9], v1 offset:2000
	v_fma_f64 v[40:41], v[40:41], v[14:15], v[42:43]
	v_fma_f64 v[14:15], v[38:39], v[14:15], -v[16:17]
	s_wait_loadcnt_dscnt 0x301
	v_mul_f64_e32 v[36:37], v[2:3], v[20:21]
	v_mul_f64_e32 v[20:21], v[4:5], v[20:21]
	s_wait_loadcnt_dscnt 0x200
	v_mul_f64_e32 v[16:17], v[6:7], v[24:25]
	v_mul_f64_e32 v[24:25], v[8:9], v[24:25]
	v_add_f64_e32 v[10:11], v[12:13], v[10:11]
	v_add_f64_e32 v[12:13], v[34:35], v[44:45]
	v_fma_f64 v[34:35], v[4:5], v[18:19], v[36:37]
	v_fma_f64 v[18:19], v[2:3], v[18:19], -v[20:21]
	v_fma_f64 v[8:9], v[8:9], v[22:23], v[16:17]
	v_fma_f64 v[6:7], v[6:7], v[22:23], -v[24:25]
	v_add_f64_e32 v[14:15], v[10:11], v[14:15]
	v_add_f64_e32 v[20:21], v[12:13], v[40:41]
	ds_load_b128 v[2:5], v1 offset:2016
	ds_load_b128 v[10:13], v1 offset:2032
	s_wait_loadcnt_dscnt 0x101
	v_mul_f64_e32 v[36:37], v[2:3], v[28:29]
	v_mul_f64_e32 v[28:29], v[4:5], v[28:29]
	v_add_f64_e32 v[14:15], v[14:15], v[18:19]
	v_add_f64_e32 v[16:17], v[20:21], v[34:35]
	s_wait_loadcnt_dscnt 0x0
	v_mul_f64_e32 v[18:19], v[10:11], v[32:33]
	v_mul_f64_e32 v[20:21], v[12:13], v[32:33]
	v_fma_f64 v[4:5], v[4:5], v[26:27], v[36:37]
	v_fma_f64 v[1:2], v[2:3], v[26:27], -v[28:29]
	v_add_f64_e32 v[6:7], v[14:15], v[6:7]
	v_add_f64_e32 v[8:9], v[16:17], v[8:9]
	v_fma_f64 v[12:13], v[12:13], v[30:31], v[18:19]
	v_fma_f64 v[10:11], v[10:11], v[30:31], -v[20:21]
	s_delay_alu instid0(VALU_DEP_4) | instskip(NEXT) | instid1(VALU_DEP_4)
	v_add_f64_e32 v[1:2], v[6:7], v[1:2]
	v_add_f64_e32 v[3:4], v[8:9], v[4:5]
	s_delay_alu instid0(VALU_DEP_2) | instskip(NEXT) | instid1(VALU_DEP_2)
	v_add_f64_e32 v[1:2], v[1:2], v[10:11]
	v_add_f64_e32 v[3:4], v[3:4], v[12:13]
	s_delay_alu instid0(VALU_DEP_2) | instskip(NEXT) | instid1(VALU_DEP_2)
	v_add_f64_e64 v[1:2], v[175:176], -v[1:2]
	v_add_f64_e64 v[3:4], v[177:178], -v[3:4]
	scratch_store_b128 off, v[1:4], off offset:416
	v_cmpx_lt_u32_e32 24, v0
	s_cbranch_execz .LBB127_361
; %bb.360:
	scratch_load_b128 v[1:4], off, s55
	v_mov_b32_e32 v5, 0
	s_delay_alu instid0(VALU_DEP_1)
	v_dual_mov_b32 v6, v5 :: v_dual_mov_b32 v7, v5
	v_mov_b32_e32 v8, v5
	scratch_store_b128 off, v[5:8], off offset:400
	s_wait_loadcnt 0x0
	ds_store_b128 v174, v[1:4]
.LBB127_361:
	s_wait_alu 0xfffe
	s_or_b32 exec_lo, exec_lo, s0
	s_wait_storecnt_dscnt 0x0
	s_barrier_signal -1
	s_barrier_wait -1
	global_inv scope:SCOPE_SE
	s_clause 0x7
	scratch_load_b128 v[2:5], off, off offset:416
	scratch_load_b128 v[6:9], off, off offset:432
	;; [unrolled: 1-line block ×8, first 2 shown]
	v_mov_b32_e32 v1, 0
	s_mov_b32 s0, exec_lo
	ds_load_b128 v[38:41], v1 offset:1424
	s_clause 0x1
	scratch_load_b128 v[34:37], off, off offset:544
	scratch_load_b128 v[42:45], off, off offset:400
	ds_load_b128 v[175:178], v1 offset:1440
	scratch_load_b128 v[179:182], off, off offset:560
	s_wait_loadcnt_dscnt 0xa01
	v_mul_f64_e32 v[183:184], v[40:41], v[4:5]
	v_mul_f64_e32 v[4:5], v[38:39], v[4:5]
	s_delay_alu instid0(VALU_DEP_2) | instskip(NEXT) | instid1(VALU_DEP_2)
	v_fma_f64 v[189:190], v[38:39], v[2:3], -v[183:184]
	v_fma_f64 v[191:192], v[40:41], v[2:3], v[4:5]
	ds_load_b128 v[2:5], v1 offset:1456
	s_wait_loadcnt_dscnt 0x901
	v_mul_f64_e32 v[187:188], v[175:176], v[8:9]
	v_mul_f64_e32 v[8:9], v[177:178], v[8:9]
	scratch_load_b128 v[38:41], off, off offset:576
	ds_load_b128 v[183:186], v1 offset:1472
	s_wait_loadcnt_dscnt 0x901
	v_mul_f64_e32 v[193:194], v[2:3], v[12:13]
	v_mul_f64_e32 v[12:13], v[4:5], v[12:13]
	v_fma_f64 v[177:178], v[177:178], v[6:7], v[187:188]
	v_fma_f64 v[175:176], v[175:176], v[6:7], -v[8:9]
	v_add_f64_e32 v[187:188], 0, v[189:190]
	v_add_f64_e32 v[189:190], 0, v[191:192]
	scratch_load_b128 v[6:9], off, off offset:592
	v_fma_f64 v[193:194], v[4:5], v[10:11], v[193:194]
	v_fma_f64 v[195:196], v[2:3], v[10:11], -v[12:13]
	ds_load_b128 v[2:5], v1 offset:1488
	s_wait_loadcnt_dscnt 0x901
	v_mul_f64_e32 v[191:192], v[183:184], v[16:17]
	v_mul_f64_e32 v[16:17], v[185:186], v[16:17]
	scratch_load_b128 v[10:13], off, off offset:608
	v_add_f64_e32 v[187:188], v[187:188], v[175:176]
	v_add_f64_e32 v[189:190], v[189:190], v[177:178]
	s_wait_loadcnt_dscnt 0x900
	v_mul_f64_e32 v[197:198], v[2:3], v[20:21]
	v_mul_f64_e32 v[20:21], v[4:5], v[20:21]
	ds_load_b128 v[175:178], v1 offset:1504
	v_fma_f64 v[185:186], v[185:186], v[14:15], v[191:192]
	v_fma_f64 v[183:184], v[183:184], v[14:15], -v[16:17]
	scratch_load_b128 v[14:17], off, off offset:624
	v_add_f64_e32 v[187:188], v[187:188], v[195:196]
	v_add_f64_e32 v[189:190], v[189:190], v[193:194]
	v_fma_f64 v[193:194], v[4:5], v[18:19], v[197:198]
	v_fma_f64 v[195:196], v[2:3], v[18:19], -v[20:21]
	ds_load_b128 v[2:5], v1 offset:1520
	s_wait_loadcnt_dscnt 0x901
	v_mul_f64_e32 v[191:192], v[175:176], v[24:25]
	v_mul_f64_e32 v[24:25], v[177:178], v[24:25]
	scratch_load_b128 v[18:21], off, off offset:640
	s_wait_loadcnt_dscnt 0x900
	v_mul_f64_e32 v[197:198], v[2:3], v[28:29]
	v_mul_f64_e32 v[28:29], v[4:5], v[28:29]
	v_add_f64_e32 v[187:188], v[187:188], v[183:184]
	v_add_f64_e32 v[189:190], v[189:190], v[185:186]
	ds_load_b128 v[183:186], v1 offset:1536
	v_fma_f64 v[177:178], v[177:178], v[22:23], v[191:192]
	v_fma_f64 v[175:176], v[175:176], v[22:23], -v[24:25]
	scratch_load_b128 v[22:25], off, off offset:656
	v_add_f64_e32 v[187:188], v[187:188], v[195:196]
	v_add_f64_e32 v[189:190], v[189:190], v[193:194]
	v_fma_f64 v[193:194], v[4:5], v[26:27], v[197:198]
	v_fma_f64 v[195:196], v[2:3], v[26:27], -v[28:29]
	ds_load_b128 v[2:5], v1 offset:1552
	s_wait_loadcnt_dscnt 0x901
	v_mul_f64_e32 v[191:192], v[183:184], v[32:33]
	v_mul_f64_e32 v[32:33], v[185:186], v[32:33]
	scratch_load_b128 v[26:29], off, off offset:672
	s_wait_loadcnt_dscnt 0x900
	v_mul_f64_e32 v[197:198], v[2:3], v[36:37]
	v_mul_f64_e32 v[36:37], v[4:5], v[36:37]
	v_add_f64_e32 v[187:188], v[187:188], v[175:176]
	v_add_f64_e32 v[189:190], v[189:190], v[177:178]
	ds_load_b128 v[175:178], v1 offset:1568
	v_fma_f64 v[185:186], v[185:186], v[30:31], v[191:192]
	v_fma_f64 v[183:184], v[183:184], v[30:31], -v[32:33]
	scratch_load_b128 v[30:33], off, off offset:688
	v_add_f64_e32 v[187:188], v[187:188], v[195:196]
	v_add_f64_e32 v[189:190], v[189:190], v[193:194]
	v_fma_f64 v[195:196], v[4:5], v[34:35], v[197:198]
	v_fma_f64 v[197:198], v[2:3], v[34:35], -v[36:37]
	ds_load_b128 v[2:5], v1 offset:1584
	s_wait_loadcnt_dscnt 0x801
	v_mul_f64_e32 v[191:192], v[175:176], v[181:182]
	v_mul_f64_e32 v[193:194], v[177:178], v[181:182]
	scratch_load_b128 v[34:37], off, off offset:704
	v_add_f64_e32 v[187:188], v[187:188], v[183:184]
	v_add_f64_e32 v[185:186], v[189:190], v[185:186]
	ds_load_b128 v[181:184], v1 offset:1600
	v_fma_f64 v[191:192], v[177:178], v[179:180], v[191:192]
	v_fma_f64 v[179:180], v[175:176], v[179:180], -v[193:194]
	scratch_load_b128 v[175:178], off, off offset:720
	s_wait_loadcnt_dscnt 0x901
	v_mul_f64_e32 v[189:190], v[2:3], v[40:41]
	v_mul_f64_e32 v[40:41], v[4:5], v[40:41]
	v_add_f64_e32 v[187:188], v[187:188], v[197:198]
	v_add_f64_e32 v[185:186], v[185:186], v[195:196]
	s_delay_alu instid0(VALU_DEP_4) | instskip(NEXT) | instid1(VALU_DEP_4)
	v_fma_f64 v[189:190], v[4:5], v[38:39], v[189:190]
	v_fma_f64 v[195:196], v[2:3], v[38:39], -v[40:41]
	ds_load_b128 v[2:5], v1 offset:1616
	s_wait_loadcnt_dscnt 0x801
	v_mul_f64_e32 v[193:194], v[181:182], v[8:9]
	v_mul_f64_e32 v[8:9], v[183:184], v[8:9]
	scratch_load_b128 v[38:41], off, off offset:736
	s_wait_loadcnt_dscnt 0x800
	v_mul_f64_e32 v[197:198], v[2:3], v[12:13]
	v_add_f64_e32 v[179:180], v[187:188], v[179:180]
	v_add_f64_e32 v[191:192], v[185:186], v[191:192]
	v_mul_f64_e32 v[12:13], v[4:5], v[12:13]
	ds_load_b128 v[185:188], v1 offset:1632
	v_fma_f64 v[183:184], v[183:184], v[6:7], v[193:194]
	v_fma_f64 v[181:182], v[181:182], v[6:7], -v[8:9]
	scratch_load_b128 v[6:9], off, off offset:752
	v_fma_f64 v[193:194], v[4:5], v[10:11], v[197:198]
	v_add_f64_e32 v[179:180], v[179:180], v[195:196]
	v_add_f64_e32 v[189:190], v[191:192], v[189:190]
	v_fma_f64 v[195:196], v[2:3], v[10:11], -v[12:13]
	ds_load_b128 v[2:5], v1 offset:1648
	s_wait_loadcnt_dscnt 0x801
	v_mul_f64_e32 v[191:192], v[185:186], v[16:17]
	v_mul_f64_e32 v[16:17], v[187:188], v[16:17]
	scratch_load_b128 v[10:13], off, off offset:768
	v_add_f64_e32 v[197:198], v[179:180], v[181:182]
	v_add_f64_e32 v[183:184], v[189:190], v[183:184]
	s_wait_loadcnt_dscnt 0x800
	v_mul_f64_e32 v[189:190], v[2:3], v[20:21]
	v_mul_f64_e32 v[20:21], v[4:5], v[20:21]
	v_fma_f64 v[187:188], v[187:188], v[14:15], v[191:192]
	v_fma_f64 v[185:186], v[185:186], v[14:15], -v[16:17]
	ds_load_b128 v[179:182], v1 offset:1664
	scratch_load_b128 v[14:17], off, off offset:784
	v_add_f64_e32 v[191:192], v[197:198], v[195:196]
	v_add_f64_e32 v[183:184], v[183:184], v[193:194]
	v_fma_f64 v[189:190], v[4:5], v[18:19], v[189:190]
	v_fma_f64 v[195:196], v[2:3], v[18:19], -v[20:21]
	ds_load_b128 v[2:5], v1 offset:1680
	s_wait_loadcnt_dscnt 0x801
	v_mul_f64_e32 v[193:194], v[179:180], v[24:25]
	v_mul_f64_e32 v[24:25], v[181:182], v[24:25]
	scratch_load_b128 v[18:21], off, off offset:800
	s_wait_loadcnt_dscnt 0x800
	v_mul_f64_e32 v[197:198], v[2:3], v[28:29]
	v_mul_f64_e32 v[28:29], v[4:5], v[28:29]
	v_add_f64_e32 v[191:192], v[191:192], v[185:186]
	v_add_f64_e32 v[187:188], v[183:184], v[187:188]
	ds_load_b128 v[183:186], v1 offset:1696
	v_fma_f64 v[181:182], v[181:182], v[22:23], v[193:194]
	v_fma_f64 v[179:180], v[179:180], v[22:23], -v[24:25]
	scratch_load_b128 v[22:25], off, off offset:816
	v_fma_f64 v[193:194], v[4:5], v[26:27], v[197:198]
	v_add_f64_e32 v[191:192], v[191:192], v[195:196]
	v_add_f64_e32 v[187:188], v[187:188], v[189:190]
	v_fma_f64 v[195:196], v[2:3], v[26:27], -v[28:29]
	ds_load_b128 v[2:5], v1 offset:1712
	s_wait_loadcnt_dscnt 0x801
	v_mul_f64_e32 v[189:190], v[183:184], v[32:33]
	v_mul_f64_e32 v[32:33], v[185:186], v[32:33]
	scratch_load_b128 v[26:29], off, off offset:832
	s_wait_loadcnt_dscnt 0x800
	v_mul_f64_e32 v[197:198], v[2:3], v[36:37]
	v_mul_f64_e32 v[36:37], v[4:5], v[36:37]
	v_add_f64_e32 v[191:192], v[191:192], v[179:180]
	v_add_f64_e32 v[187:188], v[187:188], v[181:182]
	ds_load_b128 v[179:182], v1 offset:1728
	v_fma_f64 v[185:186], v[185:186], v[30:31], v[189:190]
	v_fma_f64 v[183:184], v[183:184], v[30:31], -v[32:33]
	scratch_load_b128 v[30:33], off, off offset:848
	v_add_f64_e32 v[189:190], v[191:192], v[195:196]
	v_add_f64_e32 v[187:188], v[187:188], v[193:194]
	v_fma_f64 v[193:194], v[4:5], v[34:35], v[197:198]
	v_fma_f64 v[195:196], v[2:3], v[34:35], -v[36:37]
	ds_load_b128 v[2:5], v1 offset:1744
	s_wait_loadcnt_dscnt 0x801
	v_mul_f64_e32 v[191:192], v[179:180], v[177:178]
	v_mul_f64_e32 v[177:178], v[181:182], v[177:178]
	scratch_load_b128 v[34:37], off, off offset:864
	s_wait_loadcnt_dscnt 0x800
	v_mul_f64_e32 v[197:198], v[2:3], v[40:41]
	v_mul_f64_e32 v[40:41], v[4:5], v[40:41]
	v_add_f64_e32 v[189:190], v[189:190], v[183:184]
	v_add_f64_e32 v[187:188], v[187:188], v[185:186]
	ds_load_b128 v[183:186], v1 offset:1760
	v_fma_f64 v[181:182], v[181:182], v[175:176], v[191:192]
	v_fma_f64 v[179:180], v[179:180], v[175:176], -v[177:178]
	scratch_load_b128 v[175:178], off, off offset:880
	v_add_f64_e32 v[189:190], v[189:190], v[195:196]
	v_add_f64_e32 v[187:188], v[187:188], v[193:194]
	v_fma_f64 v[193:194], v[4:5], v[38:39], v[197:198]
	;; [unrolled: 18-line block ×6, first 2 shown]
	v_fma_f64 v[197:198], v[2:3], v[34:35], -v[36:37]
	ds_load_b128 v[2:5], v1 offset:1904
	s_wait_loadcnt_dscnt 0x801
	v_mul_f64_e32 v[191:192], v[183:184], v[177:178]
	v_mul_f64_e32 v[193:194], v[185:186], v[177:178]
	scratch_load_b128 v[34:37], off, off offset:1024
	v_add_f64_e32 v[189:190], v[189:190], v[179:180]
	v_add_f64_e32 v[181:182], v[187:188], v[181:182]
	s_wait_loadcnt_dscnt 0x800
	v_mul_f64_e32 v[187:188], v[2:3], v[40:41]
	v_mul_f64_e32 v[40:41], v[4:5], v[40:41]
	ds_load_b128 v[177:180], v1 offset:1920
	v_fma_f64 v[185:186], v[185:186], v[175:176], v[191:192]
	v_fma_f64 v[175:176], v[183:184], v[175:176], -v[193:194]
	v_add_f64_e32 v[183:184], v[189:190], v[197:198]
	v_add_f64_e32 v[181:182], v[181:182], v[195:196]
	s_wait_loadcnt_dscnt 0x700
	v_mul_f64_e32 v[189:190], v[177:178], v[8:9]
	v_mul_f64_e32 v[8:9], v[179:180], v[8:9]
	v_fma_f64 v[187:188], v[4:5], v[38:39], v[187:188]
	v_fma_f64 v[191:192], v[2:3], v[38:39], -v[40:41]
	ds_load_b128 v[2:5], v1 offset:1936
	ds_load_b128 v[38:41], v1 offset:1952
	v_add_f64_e32 v[175:176], v[183:184], v[175:176]
	v_add_f64_e32 v[181:182], v[181:182], v[185:186]
	s_wait_loadcnt_dscnt 0x601
	v_mul_f64_e32 v[183:184], v[2:3], v[12:13]
	v_mul_f64_e32 v[12:13], v[4:5], v[12:13]
	v_fma_f64 v[179:180], v[179:180], v[6:7], v[189:190]
	v_fma_f64 v[6:7], v[177:178], v[6:7], -v[8:9]
	s_wait_loadcnt_dscnt 0x500
	v_mul_f64_e32 v[177:178], v[38:39], v[16:17]
	v_mul_f64_e32 v[16:17], v[40:41], v[16:17]
	v_add_f64_e32 v[8:9], v[175:176], v[191:192]
	v_add_f64_e32 v[175:176], v[181:182], v[187:188]
	v_fma_f64 v[181:182], v[4:5], v[10:11], v[183:184]
	v_fma_f64 v[10:11], v[2:3], v[10:11], -v[12:13]
	v_fma_f64 v[40:41], v[40:41], v[14:15], v[177:178]
	v_fma_f64 v[14:15], v[38:39], v[14:15], -v[16:17]
	v_add_f64_e32 v[12:13], v[8:9], v[6:7]
	v_add_f64_e32 v[175:176], v[175:176], v[179:180]
	ds_load_b128 v[2:5], v1 offset:1968
	ds_load_b128 v[6:9], v1 offset:1984
	s_wait_loadcnt_dscnt 0x401
	v_mul_f64_e32 v[179:180], v[2:3], v[20:21]
	v_mul_f64_e32 v[20:21], v[4:5], v[20:21]
	s_wait_loadcnt_dscnt 0x300
	v_mul_f64_e32 v[16:17], v[6:7], v[24:25]
	v_mul_f64_e32 v[24:25], v[8:9], v[24:25]
	v_add_f64_e32 v[10:11], v[12:13], v[10:11]
	v_add_f64_e32 v[12:13], v[175:176], v[181:182]
	v_fma_f64 v[38:39], v[4:5], v[18:19], v[179:180]
	v_fma_f64 v[18:19], v[2:3], v[18:19], -v[20:21]
	v_fma_f64 v[8:9], v[8:9], v[22:23], v[16:17]
	v_fma_f64 v[6:7], v[6:7], v[22:23], -v[24:25]
	v_add_f64_e32 v[14:15], v[10:11], v[14:15]
	v_add_f64_e32 v[20:21], v[12:13], v[40:41]
	ds_load_b128 v[2:5], v1 offset:2000
	ds_load_b128 v[10:13], v1 offset:2016
	s_wait_loadcnt_dscnt 0x201
	v_mul_f64_e32 v[40:41], v[2:3], v[28:29]
	v_mul_f64_e32 v[28:29], v[4:5], v[28:29]
	v_add_f64_e32 v[14:15], v[14:15], v[18:19]
	v_add_f64_e32 v[16:17], v[20:21], v[38:39]
	s_wait_loadcnt_dscnt 0x100
	v_mul_f64_e32 v[18:19], v[10:11], v[32:33]
	v_mul_f64_e32 v[20:21], v[12:13], v[32:33]
	v_fma_f64 v[22:23], v[4:5], v[26:27], v[40:41]
	v_fma_f64 v[24:25], v[2:3], v[26:27], -v[28:29]
	ds_load_b128 v[2:5], v1 offset:2032
	v_add_f64_e32 v[6:7], v[14:15], v[6:7]
	v_add_f64_e32 v[8:9], v[16:17], v[8:9]
	v_fma_f64 v[12:13], v[12:13], v[30:31], v[18:19]
	v_fma_f64 v[10:11], v[10:11], v[30:31], -v[20:21]
	s_wait_loadcnt_dscnt 0x0
	v_mul_f64_e32 v[14:15], v[2:3], v[36:37]
	v_mul_f64_e32 v[16:17], v[4:5], v[36:37]
	v_add_f64_e32 v[6:7], v[6:7], v[24:25]
	v_add_f64_e32 v[8:9], v[8:9], v[22:23]
	s_delay_alu instid0(VALU_DEP_4) | instskip(NEXT) | instid1(VALU_DEP_4)
	v_fma_f64 v[4:5], v[4:5], v[34:35], v[14:15]
	v_fma_f64 v[2:3], v[2:3], v[34:35], -v[16:17]
	s_delay_alu instid0(VALU_DEP_4) | instskip(NEXT) | instid1(VALU_DEP_4)
	v_add_f64_e32 v[6:7], v[6:7], v[10:11]
	v_add_f64_e32 v[8:9], v[8:9], v[12:13]
	s_delay_alu instid0(VALU_DEP_2) | instskip(NEXT) | instid1(VALU_DEP_2)
	v_add_f64_e32 v[2:3], v[6:7], v[2:3]
	v_add_f64_e32 v[4:5], v[8:9], v[4:5]
	s_delay_alu instid0(VALU_DEP_2) | instskip(NEXT) | instid1(VALU_DEP_2)
	v_add_f64_e64 v[2:3], v[42:43], -v[2:3]
	v_add_f64_e64 v[4:5], v[44:45], -v[4:5]
	scratch_store_b128 off, v[2:5], off offset:400
	v_cmpx_lt_u32_e32 23, v0
	s_cbranch_execz .LBB127_363
; %bb.362:
	scratch_load_b128 v[5:8], off, s56
	v_dual_mov_b32 v2, v1 :: v_dual_mov_b32 v3, v1
	v_mov_b32_e32 v4, v1
	scratch_store_b128 off, v[1:4], off offset:384
	s_wait_loadcnt 0x0
	ds_store_b128 v174, v[5:8]
.LBB127_363:
	s_wait_alu 0xfffe
	s_or_b32 exec_lo, exec_lo, s0
	s_wait_storecnt_dscnt 0x0
	s_barrier_signal -1
	s_barrier_wait -1
	global_inv scope:SCOPE_SE
	s_clause 0x8
	scratch_load_b128 v[2:5], off, off offset:400
	scratch_load_b128 v[6:9], off, off offset:416
	;; [unrolled: 1-line block ×9, first 2 shown]
	ds_load_b128 v[42:45], v1 offset:1408
	ds_load_b128 v[38:41], v1 offset:1424
	s_clause 0x1
	scratch_load_b128 v[175:178], off, off offset:384
	scratch_load_b128 v[179:182], off, off offset:544
	s_mov_b32 s0, exec_lo
	s_wait_loadcnt_dscnt 0xa01
	v_mul_f64_e32 v[183:184], v[44:45], v[4:5]
	v_mul_f64_e32 v[4:5], v[42:43], v[4:5]
	s_wait_loadcnt_dscnt 0x900
	v_mul_f64_e32 v[187:188], v[38:39], v[8:9]
	v_mul_f64_e32 v[8:9], v[40:41], v[8:9]
	s_delay_alu instid0(VALU_DEP_4) | instskip(NEXT) | instid1(VALU_DEP_4)
	v_fma_f64 v[189:190], v[42:43], v[2:3], -v[183:184]
	v_fma_f64 v[191:192], v[44:45], v[2:3], v[4:5]
	ds_load_b128 v[2:5], v1 offset:1440
	ds_load_b128 v[183:186], v1 offset:1456
	scratch_load_b128 v[42:45], off, off offset:560
	v_fma_f64 v[40:41], v[40:41], v[6:7], v[187:188]
	v_fma_f64 v[38:39], v[38:39], v[6:7], -v[8:9]
	scratch_load_b128 v[6:9], off, off offset:576
	s_wait_loadcnt_dscnt 0xa01
	v_mul_f64_e32 v[193:194], v[2:3], v[12:13]
	v_mul_f64_e32 v[12:13], v[4:5], v[12:13]
	v_add_f64_e32 v[187:188], 0, v[189:190]
	v_add_f64_e32 v[189:190], 0, v[191:192]
	s_wait_loadcnt_dscnt 0x900
	v_mul_f64_e32 v[191:192], v[183:184], v[16:17]
	v_mul_f64_e32 v[16:17], v[185:186], v[16:17]
	v_fma_f64 v[193:194], v[4:5], v[10:11], v[193:194]
	v_fma_f64 v[195:196], v[2:3], v[10:11], -v[12:13]
	ds_load_b128 v[2:5], v1 offset:1472
	scratch_load_b128 v[10:13], off, off offset:592
	v_add_f64_e32 v[187:188], v[187:188], v[38:39]
	v_add_f64_e32 v[189:190], v[189:190], v[40:41]
	ds_load_b128 v[38:41], v1 offset:1488
	v_fma_f64 v[185:186], v[185:186], v[14:15], v[191:192]
	v_fma_f64 v[183:184], v[183:184], v[14:15], -v[16:17]
	scratch_load_b128 v[14:17], off, off offset:608
	s_wait_loadcnt_dscnt 0xa01
	v_mul_f64_e32 v[197:198], v[2:3], v[20:21]
	v_mul_f64_e32 v[20:21], v[4:5], v[20:21]
	s_wait_loadcnt_dscnt 0x900
	v_mul_f64_e32 v[191:192], v[38:39], v[24:25]
	v_mul_f64_e32 v[24:25], v[40:41], v[24:25]
	v_add_f64_e32 v[187:188], v[187:188], v[195:196]
	v_add_f64_e32 v[189:190], v[189:190], v[193:194]
	v_fma_f64 v[193:194], v[4:5], v[18:19], v[197:198]
	v_fma_f64 v[195:196], v[2:3], v[18:19], -v[20:21]
	ds_load_b128 v[2:5], v1 offset:1504
	scratch_load_b128 v[18:21], off, off offset:624
	v_fma_f64 v[40:41], v[40:41], v[22:23], v[191:192]
	v_fma_f64 v[38:39], v[38:39], v[22:23], -v[24:25]
	scratch_load_b128 v[22:25], off, off offset:640
	v_add_f64_e32 v[187:188], v[187:188], v[183:184]
	v_add_f64_e32 v[189:190], v[189:190], v[185:186]
	ds_load_b128 v[183:186], v1 offset:1520
	s_wait_loadcnt_dscnt 0xa01
	v_mul_f64_e32 v[197:198], v[2:3], v[28:29]
	v_mul_f64_e32 v[28:29], v[4:5], v[28:29]
	s_wait_loadcnt_dscnt 0x900
	v_mul_f64_e32 v[191:192], v[183:184], v[32:33]
	v_mul_f64_e32 v[32:33], v[185:186], v[32:33]
	v_add_f64_e32 v[187:188], v[187:188], v[195:196]
	v_add_f64_e32 v[189:190], v[189:190], v[193:194]
	v_fma_f64 v[193:194], v[4:5], v[26:27], v[197:198]
	v_fma_f64 v[195:196], v[2:3], v[26:27], -v[28:29]
	ds_load_b128 v[2:5], v1 offset:1536
	scratch_load_b128 v[26:29], off, off offset:656
	v_fma_f64 v[185:186], v[185:186], v[30:31], v[191:192]
	v_fma_f64 v[183:184], v[183:184], v[30:31], -v[32:33]
	scratch_load_b128 v[30:33], off, off offset:672
	v_add_f64_e32 v[187:188], v[187:188], v[38:39]
	v_add_f64_e32 v[189:190], v[189:190], v[40:41]
	ds_load_b128 v[38:41], v1 offset:1552
	s_wait_loadcnt_dscnt 0xa01
	v_mul_f64_e32 v[197:198], v[2:3], v[36:37]
	v_mul_f64_e32 v[36:37], v[4:5], v[36:37]
	s_wait_loadcnt_dscnt 0x800
	v_mul_f64_e32 v[191:192], v[38:39], v[181:182]
	v_add_f64_e32 v[187:188], v[187:188], v[195:196]
	v_add_f64_e32 v[189:190], v[189:190], v[193:194]
	v_mul_f64_e32 v[193:194], v[40:41], v[181:182]
	v_fma_f64 v[195:196], v[4:5], v[34:35], v[197:198]
	v_fma_f64 v[197:198], v[2:3], v[34:35], -v[36:37]
	ds_load_b128 v[2:5], v1 offset:1568
	scratch_load_b128 v[34:37], off, off offset:688
	v_fma_f64 v[191:192], v[40:41], v[179:180], v[191:192]
	v_add_f64_e32 v[187:188], v[187:188], v[183:184]
	v_add_f64_e32 v[185:186], v[189:190], v[185:186]
	ds_load_b128 v[181:184], v1 offset:1584
	v_fma_f64 v[179:180], v[38:39], v[179:180], -v[193:194]
	scratch_load_b128 v[38:41], off, off offset:704
	s_wait_loadcnt_dscnt 0x901
	v_mul_f64_e32 v[189:190], v[2:3], v[44:45]
	v_mul_f64_e32 v[44:45], v[4:5], v[44:45]
	s_wait_loadcnt_dscnt 0x800
	v_mul_f64_e32 v[193:194], v[181:182], v[8:9]
	v_mul_f64_e32 v[8:9], v[183:184], v[8:9]
	v_add_f64_e32 v[187:188], v[187:188], v[197:198]
	v_add_f64_e32 v[185:186], v[185:186], v[195:196]
	v_fma_f64 v[189:190], v[4:5], v[42:43], v[189:190]
	v_fma_f64 v[195:196], v[2:3], v[42:43], -v[44:45]
	ds_load_b128 v[2:5], v1 offset:1600
	scratch_load_b128 v[42:45], off, off offset:720
	v_fma_f64 v[183:184], v[183:184], v[6:7], v[193:194]
	v_fma_f64 v[181:182], v[181:182], v[6:7], -v[8:9]
	scratch_load_b128 v[6:9], off, off offset:736
	v_add_f64_e32 v[179:180], v[187:188], v[179:180]
	v_add_f64_e32 v[191:192], v[185:186], v[191:192]
	ds_load_b128 v[185:188], v1 offset:1616
	s_wait_loadcnt_dscnt 0x901
	v_mul_f64_e32 v[197:198], v[2:3], v[12:13]
	v_mul_f64_e32 v[12:13], v[4:5], v[12:13]
	v_add_f64_e32 v[179:180], v[179:180], v[195:196]
	v_add_f64_e32 v[189:190], v[191:192], v[189:190]
	s_wait_loadcnt_dscnt 0x800
	v_mul_f64_e32 v[191:192], v[185:186], v[16:17]
	v_mul_f64_e32 v[16:17], v[187:188], v[16:17]
	v_fma_f64 v[193:194], v[4:5], v[10:11], v[197:198]
	v_fma_f64 v[195:196], v[2:3], v[10:11], -v[12:13]
	ds_load_b128 v[2:5], v1 offset:1632
	scratch_load_b128 v[10:13], off, off offset:752
	v_add_f64_e32 v[197:198], v[179:180], v[181:182]
	v_add_f64_e32 v[183:184], v[189:190], v[183:184]
	ds_load_b128 v[179:182], v1 offset:1648
	s_wait_loadcnt_dscnt 0x801
	v_mul_f64_e32 v[189:190], v[2:3], v[20:21]
	v_mul_f64_e32 v[20:21], v[4:5], v[20:21]
	v_fma_f64 v[187:188], v[187:188], v[14:15], v[191:192]
	v_fma_f64 v[185:186], v[185:186], v[14:15], -v[16:17]
	scratch_load_b128 v[14:17], off, off offset:768
	v_add_f64_e32 v[191:192], v[197:198], v[195:196]
	v_add_f64_e32 v[183:184], v[183:184], v[193:194]
	s_wait_loadcnt_dscnt 0x800
	v_mul_f64_e32 v[193:194], v[179:180], v[24:25]
	v_mul_f64_e32 v[24:25], v[181:182], v[24:25]
	v_fma_f64 v[189:190], v[4:5], v[18:19], v[189:190]
	v_fma_f64 v[195:196], v[2:3], v[18:19], -v[20:21]
	ds_load_b128 v[2:5], v1 offset:1664
	scratch_load_b128 v[18:21], off, off offset:784
	v_add_f64_e32 v[191:192], v[191:192], v[185:186]
	v_add_f64_e32 v[187:188], v[183:184], v[187:188]
	ds_load_b128 v[183:186], v1 offset:1680
	s_wait_loadcnt_dscnt 0x801
	v_mul_f64_e32 v[197:198], v[2:3], v[28:29]
	v_mul_f64_e32 v[28:29], v[4:5], v[28:29]
	v_fma_f64 v[181:182], v[181:182], v[22:23], v[193:194]
	v_fma_f64 v[179:180], v[179:180], v[22:23], -v[24:25]
	scratch_load_b128 v[22:25], off, off offset:800
	;; [unrolled: 18-line block ×4, first 2 shown]
	s_wait_loadcnt_dscnt 0x800
	v_mul_f64_e32 v[191:192], v[183:184], v[8:9]
	v_mul_f64_e32 v[8:9], v[185:186], v[8:9]
	v_add_f64_e32 v[189:190], v[189:190], v[195:196]
	v_add_f64_e32 v[187:188], v[187:188], v[193:194]
	v_fma_f64 v[193:194], v[4:5], v[42:43], v[197:198]
	v_fma_f64 v[195:196], v[2:3], v[42:43], -v[44:45]
	ds_load_b128 v[2:5], v1 offset:1760
	scratch_load_b128 v[42:45], off, off offset:880
	v_fma_f64 v[185:186], v[185:186], v[6:7], v[191:192]
	v_fma_f64 v[183:184], v[183:184], v[6:7], -v[8:9]
	scratch_load_b128 v[6:9], off, off offset:896
	v_add_f64_e32 v[189:190], v[189:190], v[179:180]
	v_add_f64_e32 v[187:188], v[187:188], v[181:182]
	ds_load_b128 v[179:182], v1 offset:1776
	s_wait_loadcnt_dscnt 0x901
	v_mul_f64_e32 v[197:198], v[2:3], v[12:13]
	v_mul_f64_e32 v[12:13], v[4:5], v[12:13]
	s_wait_loadcnt_dscnt 0x800
	v_mul_f64_e32 v[191:192], v[179:180], v[16:17]
	v_mul_f64_e32 v[16:17], v[181:182], v[16:17]
	v_add_f64_e32 v[189:190], v[189:190], v[195:196]
	v_add_f64_e32 v[187:188], v[187:188], v[193:194]
	v_fma_f64 v[193:194], v[4:5], v[10:11], v[197:198]
	v_fma_f64 v[195:196], v[2:3], v[10:11], -v[12:13]
	ds_load_b128 v[2:5], v1 offset:1792
	scratch_load_b128 v[10:13], off, off offset:912
	v_fma_f64 v[181:182], v[181:182], v[14:15], v[191:192]
	v_fma_f64 v[179:180], v[179:180], v[14:15], -v[16:17]
	scratch_load_b128 v[14:17], off, off offset:928
	v_add_f64_e32 v[189:190], v[189:190], v[183:184]
	v_add_f64_e32 v[187:188], v[187:188], v[185:186]
	ds_load_b128 v[183:186], v1 offset:1808
	s_wait_loadcnt_dscnt 0x901
	v_mul_f64_e32 v[197:198], v[2:3], v[20:21]
	v_mul_f64_e32 v[20:21], v[4:5], v[20:21]
	;; [unrolled: 18-line block ×5, first 2 shown]
	s_wait_loadcnt_dscnt 0x800
	v_mul_f64_e32 v[191:192], v[179:180], v[8:9]
	v_mul_f64_e32 v[8:9], v[181:182], v[8:9]
	v_add_f64_e32 v[189:190], v[189:190], v[195:196]
	v_add_f64_e32 v[187:188], v[187:188], v[193:194]
	v_fma_f64 v[193:194], v[4:5], v[42:43], v[197:198]
	v_fma_f64 v[195:196], v[2:3], v[42:43], -v[44:45]
	ds_load_b128 v[2:5], v1 offset:1920
	ds_load_b128 v[42:45], v1 offset:1936
	v_fma_f64 v[181:182], v[181:182], v[6:7], v[191:192]
	v_fma_f64 v[6:7], v[179:180], v[6:7], -v[8:9]
	v_add_f64_e32 v[183:184], v[189:190], v[183:184]
	v_add_f64_e32 v[185:186], v[187:188], v[185:186]
	s_wait_loadcnt_dscnt 0x701
	v_mul_f64_e32 v[187:188], v[2:3], v[12:13]
	v_mul_f64_e32 v[12:13], v[4:5], v[12:13]
	s_delay_alu instid0(VALU_DEP_4) | instskip(NEXT) | instid1(VALU_DEP_4)
	v_add_f64_e32 v[8:9], v[183:184], v[195:196]
	v_add_f64_e32 v[179:180], v[185:186], v[193:194]
	s_wait_loadcnt_dscnt 0x600
	v_mul_f64_e32 v[183:184], v[42:43], v[16:17]
	v_mul_f64_e32 v[16:17], v[44:45], v[16:17]
	v_fma_f64 v[185:186], v[4:5], v[10:11], v[187:188]
	v_fma_f64 v[10:11], v[2:3], v[10:11], -v[12:13]
	v_add_f64_e32 v[12:13], v[8:9], v[6:7]
	v_add_f64_e32 v[179:180], v[179:180], v[181:182]
	ds_load_b128 v[2:5], v1 offset:1952
	ds_load_b128 v[6:9], v1 offset:1968
	v_fma_f64 v[44:45], v[44:45], v[14:15], v[183:184]
	v_fma_f64 v[14:15], v[42:43], v[14:15], -v[16:17]
	s_wait_loadcnt_dscnt 0x501
	v_mul_f64_e32 v[181:182], v[2:3], v[20:21]
	v_mul_f64_e32 v[20:21], v[4:5], v[20:21]
	s_wait_loadcnt_dscnt 0x400
	v_mul_f64_e32 v[16:17], v[6:7], v[24:25]
	v_mul_f64_e32 v[24:25], v[8:9], v[24:25]
	v_add_f64_e32 v[10:11], v[12:13], v[10:11]
	v_add_f64_e32 v[12:13], v[179:180], v[185:186]
	v_fma_f64 v[42:43], v[4:5], v[18:19], v[181:182]
	v_fma_f64 v[18:19], v[2:3], v[18:19], -v[20:21]
	v_fma_f64 v[8:9], v[8:9], v[22:23], v[16:17]
	v_fma_f64 v[6:7], v[6:7], v[22:23], -v[24:25]
	v_add_f64_e32 v[14:15], v[10:11], v[14:15]
	v_add_f64_e32 v[20:21], v[12:13], v[44:45]
	ds_load_b128 v[2:5], v1 offset:1984
	ds_load_b128 v[10:13], v1 offset:2000
	s_wait_loadcnt_dscnt 0x301
	v_mul_f64_e32 v[44:45], v[2:3], v[28:29]
	v_mul_f64_e32 v[28:29], v[4:5], v[28:29]
	v_add_f64_e32 v[14:15], v[14:15], v[18:19]
	v_add_f64_e32 v[16:17], v[20:21], v[42:43]
	s_wait_loadcnt_dscnt 0x200
	v_mul_f64_e32 v[18:19], v[10:11], v[32:33]
	v_mul_f64_e32 v[20:21], v[12:13], v[32:33]
	v_fma_f64 v[22:23], v[4:5], v[26:27], v[44:45]
	v_fma_f64 v[24:25], v[2:3], v[26:27], -v[28:29]
	v_add_f64_e32 v[14:15], v[14:15], v[6:7]
	v_add_f64_e32 v[16:17], v[16:17], v[8:9]
	ds_load_b128 v[2:5], v1 offset:2016
	ds_load_b128 v[6:9], v1 offset:2032
	v_fma_f64 v[12:13], v[12:13], v[30:31], v[18:19]
	v_fma_f64 v[10:11], v[10:11], v[30:31], -v[20:21]
	s_wait_loadcnt_dscnt 0x101
	v_mul_f64_e32 v[26:27], v[2:3], v[36:37]
	v_mul_f64_e32 v[28:29], v[4:5], v[36:37]
	s_wait_loadcnt_dscnt 0x0
	v_mul_f64_e32 v[18:19], v[6:7], v[40:41]
	v_mul_f64_e32 v[20:21], v[8:9], v[40:41]
	v_add_f64_e32 v[14:15], v[14:15], v[24:25]
	v_add_f64_e32 v[16:17], v[16:17], v[22:23]
	v_fma_f64 v[4:5], v[4:5], v[34:35], v[26:27]
	v_fma_f64 v[1:2], v[2:3], v[34:35], -v[28:29]
	v_fma_f64 v[8:9], v[8:9], v[38:39], v[18:19]
	v_fma_f64 v[6:7], v[6:7], v[38:39], -v[20:21]
	v_add_f64_e32 v[10:11], v[14:15], v[10:11]
	v_add_f64_e32 v[12:13], v[16:17], v[12:13]
	s_delay_alu instid0(VALU_DEP_2) | instskip(NEXT) | instid1(VALU_DEP_2)
	v_add_f64_e32 v[1:2], v[10:11], v[1:2]
	v_add_f64_e32 v[3:4], v[12:13], v[4:5]
	s_delay_alu instid0(VALU_DEP_2) | instskip(NEXT) | instid1(VALU_DEP_2)
	v_add_f64_e32 v[1:2], v[1:2], v[6:7]
	v_add_f64_e32 v[3:4], v[3:4], v[8:9]
	s_delay_alu instid0(VALU_DEP_2) | instskip(NEXT) | instid1(VALU_DEP_2)
	v_add_f64_e64 v[1:2], v[175:176], -v[1:2]
	v_add_f64_e64 v[3:4], v[177:178], -v[3:4]
	scratch_store_b128 off, v[1:4], off offset:384
	v_cmpx_lt_u32_e32 22, v0
	s_cbranch_execz .LBB127_365
; %bb.364:
	scratch_load_b128 v[1:4], off, s57
	v_mov_b32_e32 v5, 0
	s_delay_alu instid0(VALU_DEP_1)
	v_dual_mov_b32 v6, v5 :: v_dual_mov_b32 v7, v5
	v_mov_b32_e32 v8, v5
	scratch_store_b128 off, v[5:8], off offset:368
	s_wait_loadcnt 0x0
	ds_store_b128 v174, v[1:4]
.LBB127_365:
	s_wait_alu 0xfffe
	s_or_b32 exec_lo, exec_lo, s0
	s_wait_storecnt_dscnt 0x0
	s_barrier_signal -1
	s_barrier_wait -1
	global_inv scope:SCOPE_SE
	s_clause 0x7
	scratch_load_b128 v[2:5], off, off offset:384
	scratch_load_b128 v[6:9], off, off offset:400
	;; [unrolled: 1-line block ×8, first 2 shown]
	v_mov_b32_e32 v1, 0
	s_mov_b32 s0, exec_lo
	ds_load_b128 v[38:41], v1 offset:1392
	s_clause 0x1
	scratch_load_b128 v[34:37], off, off offset:512
	scratch_load_b128 v[42:45], off, off offset:368
	ds_load_b128 v[175:178], v1 offset:1408
	scratch_load_b128 v[179:182], off, off offset:528
	s_wait_loadcnt_dscnt 0xa01
	v_mul_f64_e32 v[183:184], v[40:41], v[4:5]
	v_mul_f64_e32 v[4:5], v[38:39], v[4:5]
	s_delay_alu instid0(VALU_DEP_2) | instskip(NEXT) | instid1(VALU_DEP_2)
	v_fma_f64 v[189:190], v[38:39], v[2:3], -v[183:184]
	v_fma_f64 v[191:192], v[40:41], v[2:3], v[4:5]
	ds_load_b128 v[2:5], v1 offset:1424
	s_wait_loadcnt_dscnt 0x901
	v_mul_f64_e32 v[187:188], v[175:176], v[8:9]
	v_mul_f64_e32 v[8:9], v[177:178], v[8:9]
	scratch_load_b128 v[38:41], off, off offset:544
	ds_load_b128 v[183:186], v1 offset:1440
	s_wait_loadcnt_dscnt 0x901
	v_mul_f64_e32 v[193:194], v[2:3], v[12:13]
	v_mul_f64_e32 v[12:13], v[4:5], v[12:13]
	v_fma_f64 v[177:178], v[177:178], v[6:7], v[187:188]
	v_fma_f64 v[175:176], v[175:176], v[6:7], -v[8:9]
	v_add_f64_e32 v[187:188], 0, v[189:190]
	v_add_f64_e32 v[189:190], 0, v[191:192]
	scratch_load_b128 v[6:9], off, off offset:560
	v_fma_f64 v[193:194], v[4:5], v[10:11], v[193:194]
	v_fma_f64 v[195:196], v[2:3], v[10:11], -v[12:13]
	ds_load_b128 v[2:5], v1 offset:1456
	s_wait_loadcnt_dscnt 0x901
	v_mul_f64_e32 v[191:192], v[183:184], v[16:17]
	v_mul_f64_e32 v[16:17], v[185:186], v[16:17]
	scratch_load_b128 v[10:13], off, off offset:576
	v_add_f64_e32 v[187:188], v[187:188], v[175:176]
	v_add_f64_e32 v[189:190], v[189:190], v[177:178]
	s_wait_loadcnt_dscnt 0x900
	v_mul_f64_e32 v[197:198], v[2:3], v[20:21]
	v_mul_f64_e32 v[20:21], v[4:5], v[20:21]
	ds_load_b128 v[175:178], v1 offset:1472
	v_fma_f64 v[185:186], v[185:186], v[14:15], v[191:192]
	v_fma_f64 v[183:184], v[183:184], v[14:15], -v[16:17]
	scratch_load_b128 v[14:17], off, off offset:592
	v_add_f64_e32 v[187:188], v[187:188], v[195:196]
	v_add_f64_e32 v[189:190], v[189:190], v[193:194]
	v_fma_f64 v[193:194], v[4:5], v[18:19], v[197:198]
	v_fma_f64 v[195:196], v[2:3], v[18:19], -v[20:21]
	ds_load_b128 v[2:5], v1 offset:1488
	s_wait_loadcnt_dscnt 0x901
	v_mul_f64_e32 v[191:192], v[175:176], v[24:25]
	v_mul_f64_e32 v[24:25], v[177:178], v[24:25]
	scratch_load_b128 v[18:21], off, off offset:608
	s_wait_loadcnt_dscnt 0x900
	v_mul_f64_e32 v[197:198], v[2:3], v[28:29]
	v_mul_f64_e32 v[28:29], v[4:5], v[28:29]
	v_add_f64_e32 v[187:188], v[187:188], v[183:184]
	v_add_f64_e32 v[189:190], v[189:190], v[185:186]
	ds_load_b128 v[183:186], v1 offset:1504
	v_fma_f64 v[177:178], v[177:178], v[22:23], v[191:192]
	v_fma_f64 v[175:176], v[175:176], v[22:23], -v[24:25]
	scratch_load_b128 v[22:25], off, off offset:624
	v_add_f64_e32 v[187:188], v[187:188], v[195:196]
	v_add_f64_e32 v[189:190], v[189:190], v[193:194]
	v_fma_f64 v[193:194], v[4:5], v[26:27], v[197:198]
	v_fma_f64 v[195:196], v[2:3], v[26:27], -v[28:29]
	ds_load_b128 v[2:5], v1 offset:1520
	s_wait_loadcnt_dscnt 0x901
	v_mul_f64_e32 v[191:192], v[183:184], v[32:33]
	v_mul_f64_e32 v[32:33], v[185:186], v[32:33]
	scratch_load_b128 v[26:29], off, off offset:640
	s_wait_loadcnt_dscnt 0x900
	v_mul_f64_e32 v[197:198], v[2:3], v[36:37]
	v_mul_f64_e32 v[36:37], v[4:5], v[36:37]
	v_add_f64_e32 v[187:188], v[187:188], v[175:176]
	v_add_f64_e32 v[189:190], v[189:190], v[177:178]
	ds_load_b128 v[175:178], v1 offset:1536
	v_fma_f64 v[185:186], v[185:186], v[30:31], v[191:192]
	v_fma_f64 v[183:184], v[183:184], v[30:31], -v[32:33]
	scratch_load_b128 v[30:33], off, off offset:656
	v_add_f64_e32 v[187:188], v[187:188], v[195:196]
	v_add_f64_e32 v[189:190], v[189:190], v[193:194]
	v_fma_f64 v[195:196], v[4:5], v[34:35], v[197:198]
	v_fma_f64 v[197:198], v[2:3], v[34:35], -v[36:37]
	ds_load_b128 v[2:5], v1 offset:1552
	s_wait_loadcnt_dscnt 0x801
	v_mul_f64_e32 v[191:192], v[175:176], v[181:182]
	v_mul_f64_e32 v[193:194], v[177:178], v[181:182]
	scratch_load_b128 v[34:37], off, off offset:672
	v_add_f64_e32 v[187:188], v[187:188], v[183:184]
	v_add_f64_e32 v[185:186], v[189:190], v[185:186]
	ds_load_b128 v[181:184], v1 offset:1568
	v_fma_f64 v[191:192], v[177:178], v[179:180], v[191:192]
	v_fma_f64 v[179:180], v[175:176], v[179:180], -v[193:194]
	scratch_load_b128 v[175:178], off, off offset:688
	s_wait_loadcnt_dscnt 0x901
	v_mul_f64_e32 v[189:190], v[2:3], v[40:41]
	v_mul_f64_e32 v[40:41], v[4:5], v[40:41]
	v_add_f64_e32 v[187:188], v[187:188], v[197:198]
	v_add_f64_e32 v[185:186], v[185:186], v[195:196]
	s_delay_alu instid0(VALU_DEP_4) | instskip(NEXT) | instid1(VALU_DEP_4)
	v_fma_f64 v[189:190], v[4:5], v[38:39], v[189:190]
	v_fma_f64 v[195:196], v[2:3], v[38:39], -v[40:41]
	ds_load_b128 v[2:5], v1 offset:1584
	s_wait_loadcnt_dscnt 0x801
	v_mul_f64_e32 v[193:194], v[181:182], v[8:9]
	v_mul_f64_e32 v[8:9], v[183:184], v[8:9]
	scratch_load_b128 v[38:41], off, off offset:704
	s_wait_loadcnt_dscnt 0x800
	v_mul_f64_e32 v[197:198], v[2:3], v[12:13]
	v_add_f64_e32 v[179:180], v[187:188], v[179:180]
	v_add_f64_e32 v[191:192], v[185:186], v[191:192]
	v_mul_f64_e32 v[12:13], v[4:5], v[12:13]
	ds_load_b128 v[185:188], v1 offset:1600
	v_fma_f64 v[183:184], v[183:184], v[6:7], v[193:194]
	v_fma_f64 v[181:182], v[181:182], v[6:7], -v[8:9]
	scratch_load_b128 v[6:9], off, off offset:720
	v_fma_f64 v[193:194], v[4:5], v[10:11], v[197:198]
	v_add_f64_e32 v[179:180], v[179:180], v[195:196]
	v_add_f64_e32 v[189:190], v[191:192], v[189:190]
	v_fma_f64 v[195:196], v[2:3], v[10:11], -v[12:13]
	ds_load_b128 v[2:5], v1 offset:1616
	s_wait_loadcnt_dscnt 0x801
	v_mul_f64_e32 v[191:192], v[185:186], v[16:17]
	v_mul_f64_e32 v[16:17], v[187:188], v[16:17]
	scratch_load_b128 v[10:13], off, off offset:736
	v_add_f64_e32 v[197:198], v[179:180], v[181:182]
	v_add_f64_e32 v[183:184], v[189:190], v[183:184]
	s_wait_loadcnt_dscnt 0x800
	v_mul_f64_e32 v[189:190], v[2:3], v[20:21]
	v_mul_f64_e32 v[20:21], v[4:5], v[20:21]
	v_fma_f64 v[187:188], v[187:188], v[14:15], v[191:192]
	v_fma_f64 v[185:186], v[185:186], v[14:15], -v[16:17]
	ds_load_b128 v[179:182], v1 offset:1632
	scratch_load_b128 v[14:17], off, off offset:752
	v_add_f64_e32 v[191:192], v[197:198], v[195:196]
	v_add_f64_e32 v[183:184], v[183:184], v[193:194]
	v_fma_f64 v[189:190], v[4:5], v[18:19], v[189:190]
	v_fma_f64 v[195:196], v[2:3], v[18:19], -v[20:21]
	ds_load_b128 v[2:5], v1 offset:1648
	s_wait_loadcnt_dscnt 0x801
	v_mul_f64_e32 v[193:194], v[179:180], v[24:25]
	v_mul_f64_e32 v[24:25], v[181:182], v[24:25]
	scratch_load_b128 v[18:21], off, off offset:768
	s_wait_loadcnt_dscnt 0x800
	v_mul_f64_e32 v[197:198], v[2:3], v[28:29]
	v_mul_f64_e32 v[28:29], v[4:5], v[28:29]
	v_add_f64_e32 v[191:192], v[191:192], v[185:186]
	v_add_f64_e32 v[187:188], v[183:184], v[187:188]
	ds_load_b128 v[183:186], v1 offset:1664
	v_fma_f64 v[181:182], v[181:182], v[22:23], v[193:194]
	v_fma_f64 v[179:180], v[179:180], v[22:23], -v[24:25]
	scratch_load_b128 v[22:25], off, off offset:784
	v_fma_f64 v[193:194], v[4:5], v[26:27], v[197:198]
	v_add_f64_e32 v[191:192], v[191:192], v[195:196]
	v_add_f64_e32 v[187:188], v[187:188], v[189:190]
	v_fma_f64 v[195:196], v[2:3], v[26:27], -v[28:29]
	ds_load_b128 v[2:5], v1 offset:1680
	s_wait_loadcnt_dscnt 0x801
	v_mul_f64_e32 v[189:190], v[183:184], v[32:33]
	v_mul_f64_e32 v[32:33], v[185:186], v[32:33]
	scratch_load_b128 v[26:29], off, off offset:800
	s_wait_loadcnt_dscnt 0x800
	v_mul_f64_e32 v[197:198], v[2:3], v[36:37]
	v_mul_f64_e32 v[36:37], v[4:5], v[36:37]
	v_add_f64_e32 v[191:192], v[191:192], v[179:180]
	v_add_f64_e32 v[187:188], v[187:188], v[181:182]
	ds_load_b128 v[179:182], v1 offset:1696
	v_fma_f64 v[185:186], v[185:186], v[30:31], v[189:190]
	v_fma_f64 v[183:184], v[183:184], v[30:31], -v[32:33]
	scratch_load_b128 v[30:33], off, off offset:816
	v_add_f64_e32 v[189:190], v[191:192], v[195:196]
	v_add_f64_e32 v[187:188], v[187:188], v[193:194]
	v_fma_f64 v[193:194], v[4:5], v[34:35], v[197:198]
	v_fma_f64 v[195:196], v[2:3], v[34:35], -v[36:37]
	ds_load_b128 v[2:5], v1 offset:1712
	s_wait_loadcnt_dscnt 0x801
	v_mul_f64_e32 v[191:192], v[179:180], v[177:178]
	v_mul_f64_e32 v[177:178], v[181:182], v[177:178]
	scratch_load_b128 v[34:37], off, off offset:832
	s_wait_loadcnt_dscnt 0x800
	v_mul_f64_e32 v[197:198], v[2:3], v[40:41]
	v_mul_f64_e32 v[40:41], v[4:5], v[40:41]
	v_add_f64_e32 v[189:190], v[189:190], v[183:184]
	v_add_f64_e32 v[187:188], v[187:188], v[185:186]
	ds_load_b128 v[183:186], v1 offset:1728
	v_fma_f64 v[181:182], v[181:182], v[175:176], v[191:192]
	v_fma_f64 v[179:180], v[179:180], v[175:176], -v[177:178]
	scratch_load_b128 v[175:178], off, off offset:848
	v_add_f64_e32 v[189:190], v[189:190], v[195:196]
	v_add_f64_e32 v[187:188], v[187:188], v[193:194]
	v_fma_f64 v[193:194], v[4:5], v[38:39], v[197:198]
	;; [unrolled: 18-line block ×6, first 2 shown]
	v_fma_f64 v[197:198], v[2:3], v[34:35], -v[36:37]
	ds_load_b128 v[2:5], v1 offset:1872
	s_wait_loadcnt_dscnt 0x801
	v_mul_f64_e32 v[191:192], v[183:184], v[177:178]
	v_mul_f64_e32 v[193:194], v[185:186], v[177:178]
	scratch_load_b128 v[34:37], off, off offset:992
	v_add_f64_e32 v[189:190], v[189:190], v[179:180]
	v_add_f64_e32 v[181:182], v[187:188], v[181:182]
	s_wait_loadcnt_dscnt 0x800
	v_mul_f64_e32 v[187:188], v[2:3], v[40:41]
	v_mul_f64_e32 v[40:41], v[4:5], v[40:41]
	ds_load_b128 v[177:180], v1 offset:1888
	v_fma_f64 v[185:186], v[185:186], v[175:176], v[191:192]
	v_fma_f64 v[175:176], v[183:184], v[175:176], -v[193:194]
	v_add_f64_e32 v[189:190], v[189:190], v[197:198]
	v_add_f64_e32 v[191:192], v[181:182], v[195:196]
	scratch_load_b128 v[181:184], off, off offset:1008
	v_fma_f64 v[195:196], v[4:5], v[38:39], v[187:188]
	v_fma_f64 v[197:198], v[2:3], v[38:39], -v[40:41]
	ds_load_b128 v[2:5], v1 offset:1904
	s_wait_loadcnt_dscnt 0x801
	v_mul_f64_e32 v[193:194], v[177:178], v[8:9]
	v_mul_f64_e32 v[8:9], v[179:180], v[8:9]
	scratch_load_b128 v[38:41], off, off offset:1024
	v_add_f64_e32 v[175:176], v[189:190], v[175:176]
	v_add_f64_e32 v[189:190], v[191:192], v[185:186]
	s_wait_loadcnt_dscnt 0x800
	v_mul_f64_e32 v[191:192], v[2:3], v[12:13]
	v_mul_f64_e32 v[12:13], v[4:5], v[12:13]
	ds_load_b128 v[185:188], v1 offset:1920
	v_fma_f64 v[179:180], v[179:180], v[6:7], v[193:194]
	v_fma_f64 v[6:7], v[177:178], v[6:7], -v[8:9]
	s_wait_loadcnt_dscnt 0x700
	v_mul_f64_e32 v[177:178], v[185:186], v[16:17]
	v_mul_f64_e32 v[16:17], v[187:188], v[16:17]
	v_add_f64_e32 v[8:9], v[175:176], v[197:198]
	v_add_f64_e32 v[175:176], v[189:190], v[195:196]
	v_fma_f64 v[189:190], v[4:5], v[10:11], v[191:192]
	v_fma_f64 v[10:11], v[2:3], v[10:11], -v[12:13]
	v_fma_f64 v[177:178], v[187:188], v[14:15], v[177:178]
	v_fma_f64 v[14:15], v[185:186], v[14:15], -v[16:17]
	v_add_f64_e32 v[12:13], v[8:9], v[6:7]
	v_add_f64_e32 v[175:176], v[175:176], v[179:180]
	ds_load_b128 v[2:5], v1 offset:1936
	ds_load_b128 v[6:9], v1 offset:1952
	s_wait_loadcnt_dscnt 0x601
	v_mul_f64_e32 v[179:180], v[2:3], v[20:21]
	v_mul_f64_e32 v[20:21], v[4:5], v[20:21]
	s_wait_loadcnt_dscnt 0x500
	v_mul_f64_e32 v[16:17], v[6:7], v[24:25]
	v_mul_f64_e32 v[24:25], v[8:9], v[24:25]
	v_add_f64_e32 v[10:11], v[12:13], v[10:11]
	v_add_f64_e32 v[12:13], v[175:176], v[189:190]
	v_fma_f64 v[175:176], v[4:5], v[18:19], v[179:180]
	v_fma_f64 v[18:19], v[2:3], v[18:19], -v[20:21]
	v_fma_f64 v[8:9], v[8:9], v[22:23], v[16:17]
	v_fma_f64 v[6:7], v[6:7], v[22:23], -v[24:25]
	v_add_f64_e32 v[14:15], v[10:11], v[14:15]
	v_add_f64_e32 v[20:21], v[12:13], v[177:178]
	ds_load_b128 v[2:5], v1 offset:1968
	ds_load_b128 v[10:13], v1 offset:1984
	s_wait_loadcnt_dscnt 0x401
	v_mul_f64_e32 v[177:178], v[2:3], v[28:29]
	v_mul_f64_e32 v[28:29], v[4:5], v[28:29]
	v_add_f64_e32 v[14:15], v[14:15], v[18:19]
	v_add_f64_e32 v[16:17], v[20:21], v[175:176]
	s_wait_loadcnt_dscnt 0x300
	v_mul_f64_e32 v[18:19], v[10:11], v[32:33]
	v_mul_f64_e32 v[20:21], v[12:13], v[32:33]
	v_fma_f64 v[22:23], v[4:5], v[26:27], v[177:178]
	v_fma_f64 v[24:25], v[2:3], v[26:27], -v[28:29]
	v_add_f64_e32 v[14:15], v[14:15], v[6:7]
	v_add_f64_e32 v[16:17], v[16:17], v[8:9]
	ds_load_b128 v[2:5], v1 offset:2000
	ds_load_b128 v[6:9], v1 offset:2016
	v_fma_f64 v[12:13], v[12:13], v[30:31], v[18:19]
	v_fma_f64 v[10:11], v[10:11], v[30:31], -v[20:21]
	s_wait_loadcnt_dscnt 0x201
	v_mul_f64_e32 v[26:27], v[2:3], v[36:37]
	v_mul_f64_e32 v[28:29], v[4:5], v[36:37]
	v_add_f64_e32 v[14:15], v[14:15], v[24:25]
	v_add_f64_e32 v[16:17], v[16:17], v[22:23]
	s_wait_loadcnt_dscnt 0x100
	v_mul_f64_e32 v[18:19], v[6:7], v[183:184]
	v_mul_f64_e32 v[20:21], v[8:9], v[183:184]
	v_fma_f64 v[22:23], v[4:5], v[34:35], v[26:27]
	v_fma_f64 v[24:25], v[2:3], v[34:35], -v[28:29]
	ds_load_b128 v[2:5], v1 offset:2032
	v_add_f64_e32 v[10:11], v[14:15], v[10:11]
	v_add_f64_e32 v[12:13], v[16:17], v[12:13]
	s_wait_loadcnt_dscnt 0x0
	v_mul_f64_e32 v[14:15], v[2:3], v[40:41]
	v_mul_f64_e32 v[16:17], v[4:5], v[40:41]
	v_fma_f64 v[8:9], v[8:9], v[181:182], v[18:19]
	v_fma_f64 v[6:7], v[6:7], v[181:182], -v[20:21]
	v_add_f64_e32 v[10:11], v[10:11], v[24:25]
	v_add_f64_e32 v[12:13], v[12:13], v[22:23]
	v_fma_f64 v[4:5], v[4:5], v[38:39], v[14:15]
	v_fma_f64 v[2:3], v[2:3], v[38:39], -v[16:17]
	s_delay_alu instid0(VALU_DEP_4) | instskip(NEXT) | instid1(VALU_DEP_4)
	v_add_f64_e32 v[6:7], v[10:11], v[6:7]
	v_add_f64_e32 v[8:9], v[12:13], v[8:9]
	s_delay_alu instid0(VALU_DEP_2) | instskip(NEXT) | instid1(VALU_DEP_2)
	v_add_f64_e32 v[2:3], v[6:7], v[2:3]
	v_add_f64_e32 v[4:5], v[8:9], v[4:5]
	s_delay_alu instid0(VALU_DEP_2) | instskip(NEXT) | instid1(VALU_DEP_2)
	v_add_f64_e64 v[2:3], v[42:43], -v[2:3]
	v_add_f64_e64 v[4:5], v[44:45], -v[4:5]
	scratch_store_b128 off, v[2:5], off offset:368
	v_cmpx_lt_u32_e32 21, v0
	s_cbranch_execz .LBB127_367
; %bb.366:
	scratch_load_b128 v[5:8], off, s58
	v_dual_mov_b32 v2, v1 :: v_dual_mov_b32 v3, v1
	v_mov_b32_e32 v4, v1
	scratch_store_b128 off, v[1:4], off offset:352
	s_wait_loadcnt 0x0
	ds_store_b128 v174, v[5:8]
.LBB127_367:
	s_wait_alu 0xfffe
	s_or_b32 exec_lo, exec_lo, s0
	s_wait_storecnt_dscnt 0x0
	s_barrier_signal -1
	s_barrier_wait -1
	global_inv scope:SCOPE_SE
	s_clause 0x8
	scratch_load_b128 v[2:5], off, off offset:368
	scratch_load_b128 v[6:9], off, off offset:384
	;; [unrolled: 1-line block ×9, first 2 shown]
	ds_load_b128 v[42:45], v1 offset:1376
	ds_load_b128 v[38:41], v1 offset:1392
	s_clause 0x1
	scratch_load_b128 v[175:178], off, off offset:352
	scratch_load_b128 v[179:182], off, off offset:512
	s_mov_b32 s0, exec_lo
	s_wait_loadcnt_dscnt 0xa01
	v_mul_f64_e32 v[183:184], v[44:45], v[4:5]
	v_mul_f64_e32 v[4:5], v[42:43], v[4:5]
	s_wait_loadcnt_dscnt 0x900
	v_mul_f64_e32 v[187:188], v[38:39], v[8:9]
	v_mul_f64_e32 v[8:9], v[40:41], v[8:9]
	s_delay_alu instid0(VALU_DEP_4) | instskip(NEXT) | instid1(VALU_DEP_4)
	v_fma_f64 v[189:190], v[42:43], v[2:3], -v[183:184]
	v_fma_f64 v[191:192], v[44:45], v[2:3], v[4:5]
	ds_load_b128 v[2:5], v1 offset:1408
	ds_load_b128 v[183:186], v1 offset:1424
	scratch_load_b128 v[42:45], off, off offset:528
	v_fma_f64 v[40:41], v[40:41], v[6:7], v[187:188]
	v_fma_f64 v[38:39], v[38:39], v[6:7], -v[8:9]
	scratch_load_b128 v[6:9], off, off offset:544
	s_wait_loadcnt_dscnt 0xa01
	v_mul_f64_e32 v[193:194], v[2:3], v[12:13]
	v_mul_f64_e32 v[12:13], v[4:5], v[12:13]
	v_add_f64_e32 v[187:188], 0, v[189:190]
	v_add_f64_e32 v[189:190], 0, v[191:192]
	s_wait_loadcnt_dscnt 0x900
	v_mul_f64_e32 v[191:192], v[183:184], v[16:17]
	v_mul_f64_e32 v[16:17], v[185:186], v[16:17]
	v_fma_f64 v[193:194], v[4:5], v[10:11], v[193:194]
	v_fma_f64 v[195:196], v[2:3], v[10:11], -v[12:13]
	ds_load_b128 v[2:5], v1 offset:1440
	scratch_load_b128 v[10:13], off, off offset:560
	v_add_f64_e32 v[187:188], v[187:188], v[38:39]
	v_add_f64_e32 v[189:190], v[189:190], v[40:41]
	ds_load_b128 v[38:41], v1 offset:1456
	v_fma_f64 v[185:186], v[185:186], v[14:15], v[191:192]
	v_fma_f64 v[183:184], v[183:184], v[14:15], -v[16:17]
	scratch_load_b128 v[14:17], off, off offset:576
	s_wait_loadcnt_dscnt 0xa01
	v_mul_f64_e32 v[197:198], v[2:3], v[20:21]
	v_mul_f64_e32 v[20:21], v[4:5], v[20:21]
	s_wait_loadcnt_dscnt 0x900
	v_mul_f64_e32 v[191:192], v[38:39], v[24:25]
	v_mul_f64_e32 v[24:25], v[40:41], v[24:25]
	v_add_f64_e32 v[187:188], v[187:188], v[195:196]
	v_add_f64_e32 v[189:190], v[189:190], v[193:194]
	v_fma_f64 v[193:194], v[4:5], v[18:19], v[197:198]
	v_fma_f64 v[195:196], v[2:3], v[18:19], -v[20:21]
	ds_load_b128 v[2:5], v1 offset:1472
	scratch_load_b128 v[18:21], off, off offset:592
	v_fma_f64 v[40:41], v[40:41], v[22:23], v[191:192]
	v_fma_f64 v[38:39], v[38:39], v[22:23], -v[24:25]
	scratch_load_b128 v[22:25], off, off offset:608
	v_add_f64_e32 v[187:188], v[187:188], v[183:184]
	v_add_f64_e32 v[189:190], v[189:190], v[185:186]
	ds_load_b128 v[183:186], v1 offset:1488
	s_wait_loadcnt_dscnt 0xa01
	v_mul_f64_e32 v[197:198], v[2:3], v[28:29]
	v_mul_f64_e32 v[28:29], v[4:5], v[28:29]
	s_wait_loadcnt_dscnt 0x900
	v_mul_f64_e32 v[191:192], v[183:184], v[32:33]
	v_mul_f64_e32 v[32:33], v[185:186], v[32:33]
	v_add_f64_e32 v[187:188], v[187:188], v[195:196]
	v_add_f64_e32 v[189:190], v[189:190], v[193:194]
	v_fma_f64 v[193:194], v[4:5], v[26:27], v[197:198]
	v_fma_f64 v[195:196], v[2:3], v[26:27], -v[28:29]
	ds_load_b128 v[2:5], v1 offset:1504
	scratch_load_b128 v[26:29], off, off offset:624
	v_fma_f64 v[185:186], v[185:186], v[30:31], v[191:192]
	v_fma_f64 v[183:184], v[183:184], v[30:31], -v[32:33]
	scratch_load_b128 v[30:33], off, off offset:640
	v_add_f64_e32 v[187:188], v[187:188], v[38:39]
	v_add_f64_e32 v[189:190], v[189:190], v[40:41]
	ds_load_b128 v[38:41], v1 offset:1520
	s_wait_loadcnt_dscnt 0xa01
	v_mul_f64_e32 v[197:198], v[2:3], v[36:37]
	v_mul_f64_e32 v[36:37], v[4:5], v[36:37]
	s_wait_loadcnt_dscnt 0x800
	v_mul_f64_e32 v[191:192], v[38:39], v[181:182]
	v_add_f64_e32 v[187:188], v[187:188], v[195:196]
	v_add_f64_e32 v[189:190], v[189:190], v[193:194]
	v_mul_f64_e32 v[193:194], v[40:41], v[181:182]
	v_fma_f64 v[195:196], v[4:5], v[34:35], v[197:198]
	v_fma_f64 v[197:198], v[2:3], v[34:35], -v[36:37]
	ds_load_b128 v[2:5], v1 offset:1536
	scratch_load_b128 v[34:37], off, off offset:656
	v_fma_f64 v[191:192], v[40:41], v[179:180], v[191:192]
	v_add_f64_e32 v[187:188], v[187:188], v[183:184]
	v_add_f64_e32 v[185:186], v[189:190], v[185:186]
	ds_load_b128 v[181:184], v1 offset:1552
	v_fma_f64 v[179:180], v[38:39], v[179:180], -v[193:194]
	scratch_load_b128 v[38:41], off, off offset:672
	s_wait_loadcnt_dscnt 0x901
	v_mul_f64_e32 v[189:190], v[2:3], v[44:45]
	v_mul_f64_e32 v[44:45], v[4:5], v[44:45]
	s_wait_loadcnt_dscnt 0x800
	v_mul_f64_e32 v[193:194], v[181:182], v[8:9]
	v_mul_f64_e32 v[8:9], v[183:184], v[8:9]
	v_add_f64_e32 v[187:188], v[187:188], v[197:198]
	v_add_f64_e32 v[185:186], v[185:186], v[195:196]
	v_fma_f64 v[189:190], v[4:5], v[42:43], v[189:190]
	v_fma_f64 v[195:196], v[2:3], v[42:43], -v[44:45]
	ds_load_b128 v[2:5], v1 offset:1568
	scratch_load_b128 v[42:45], off, off offset:688
	v_fma_f64 v[183:184], v[183:184], v[6:7], v[193:194]
	v_fma_f64 v[181:182], v[181:182], v[6:7], -v[8:9]
	scratch_load_b128 v[6:9], off, off offset:704
	v_add_f64_e32 v[179:180], v[187:188], v[179:180]
	v_add_f64_e32 v[191:192], v[185:186], v[191:192]
	ds_load_b128 v[185:188], v1 offset:1584
	s_wait_loadcnt_dscnt 0x901
	v_mul_f64_e32 v[197:198], v[2:3], v[12:13]
	v_mul_f64_e32 v[12:13], v[4:5], v[12:13]
	v_add_f64_e32 v[179:180], v[179:180], v[195:196]
	v_add_f64_e32 v[189:190], v[191:192], v[189:190]
	s_wait_loadcnt_dscnt 0x800
	v_mul_f64_e32 v[191:192], v[185:186], v[16:17]
	v_mul_f64_e32 v[16:17], v[187:188], v[16:17]
	v_fma_f64 v[193:194], v[4:5], v[10:11], v[197:198]
	v_fma_f64 v[195:196], v[2:3], v[10:11], -v[12:13]
	ds_load_b128 v[2:5], v1 offset:1600
	scratch_load_b128 v[10:13], off, off offset:720
	v_add_f64_e32 v[197:198], v[179:180], v[181:182]
	v_add_f64_e32 v[183:184], v[189:190], v[183:184]
	ds_load_b128 v[179:182], v1 offset:1616
	s_wait_loadcnt_dscnt 0x801
	v_mul_f64_e32 v[189:190], v[2:3], v[20:21]
	v_mul_f64_e32 v[20:21], v[4:5], v[20:21]
	v_fma_f64 v[187:188], v[187:188], v[14:15], v[191:192]
	v_fma_f64 v[185:186], v[185:186], v[14:15], -v[16:17]
	scratch_load_b128 v[14:17], off, off offset:736
	v_add_f64_e32 v[191:192], v[197:198], v[195:196]
	v_add_f64_e32 v[183:184], v[183:184], v[193:194]
	s_wait_loadcnt_dscnt 0x800
	v_mul_f64_e32 v[193:194], v[179:180], v[24:25]
	v_mul_f64_e32 v[24:25], v[181:182], v[24:25]
	v_fma_f64 v[189:190], v[4:5], v[18:19], v[189:190]
	v_fma_f64 v[195:196], v[2:3], v[18:19], -v[20:21]
	ds_load_b128 v[2:5], v1 offset:1632
	scratch_load_b128 v[18:21], off, off offset:752
	v_add_f64_e32 v[191:192], v[191:192], v[185:186]
	v_add_f64_e32 v[187:188], v[183:184], v[187:188]
	ds_load_b128 v[183:186], v1 offset:1648
	s_wait_loadcnt_dscnt 0x801
	v_mul_f64_e32 v[197:198], v[2:3], v[28:29]
	v_mul_f64_e32 v[28:29], v[4:5], v[28:29]
	v_fma_f64 v[181:182], v[181:182], v[22:23], v[193:194]
	v_fma_f64 v[179:180], v[179:180], v[22:23], -v[24:25]
	scratch_load_b128 v[22:25], off, off offset:768
	;; [unrolled: 18-line block ×4, first 2 shown]
	s_wait_loadcnt_dscnt 0x800
	v_mul_f64_e32 v[191:192], v[183:184], v[8:9]
	v_mul_f64_e32 v[8:9], v[185:186], v[8:9]
	v_add_f64_e32 v[189:190], v[189:190], v[195:196]
	v_add_f64_e32 v[187:188], v[187:188], v[193:194]
	v_fma_f64 v[193:194], v[4:5], v[42:43], v[197:198]
	v_fma_f64 v[195:196], v[2:3], v[42:43], -v[44:45]
	ds_load_b128 v[2:5], v1 offset:1728
	scratch_load_b128 v[42:45], off, off offset:848
	v_fma_f64 v[185:186], v[185:186], v[6:7], v[191:192]
	v_fma_f64 v[183:184], v[183:184], v[6:7], -v[8:9]
	scratch_load_b128 v[6:9], off, off offset:864
	v_add_f64_e32 v[189:190], v[189:190], v[179:180]
	v_add_f64_e32 v[187:188], v[187:188], v[181:182]
	ds_load_b128 v[179:182], v1 offset:1744
	s_wait_loadcnt_dscnt 0x901
	v_mul_f64_e32 v[197:198], v[2:3], v[12:13]
	v_mul_f64_e32 v[12:13], v[4:5], v[12:13]
	s_wait_loadcnt_dscnt 0x800
	v_mul_f64_e32 v[191:192], v[179:180], v[16:17]
	v_mul_f64_e32 v[16:17], v[181:182], v[16:17]
	v_add_f64_e32 v[189:190], v[189:190], v[195:196]
	v_add_f64_e32 v[187:188], v[187:188], v[193:194]
	v_fma_f64 v[193:194], v[4:5], v[10:11], v[197:198]
	v_fma_f64 v[195:196], v[2:3], v[10:11], -v[12:13]
	ds_load_b128 v[2:5], v1 offset:1760
	scratch_load_b128 v[10:13], off, off offset:880
	v_fma_f64 v[181:182], v[181:182], v[14:15], v[191:192]
	v_fma_f64 v[179:180], v[179:180], v[14:15], -v[16:17]
	scratch_load_b128 v[14:17], off, off offset:896
	v_add_f64_e32 v[189:190], v[189:190], v[183:184]
	v_add_f64_e32 v[187:188], v[187:188], v[185:186]
	ds_load_b128 v[183:186], v1 offset:1776
	s_wait_loadcnt_dscnt 0x901
	v_mul_f64_e32 v[197:198], v[2:3], v[20:21]
	v_mul_f64_e32 v[20:21], v[4:5], v[20:21]
	;; [unrolled: 18-line block ×6, first 2 shown]
	s_wait_loadcnt_dscnt 0x800
	v_mul_f64_e32 v[191:192], v[183:184], v[16:17]
	v_mul_f64_e32 v[16:17], v[185:186], v[16:17]
	v_add_f64_e32 v[189:190], v[189:190], v[195:196]
	v_add_f64_e32 v[187:188], v[187:188], v[193:194]
	v_fma_f64 v[193:194], v[4:5], v[10:11], v[197:198]
	v_fma_f64 v[195:196], v[2:3], v[10:11], -v[12:13]
	ds_load_b128 v[2:5], v1 offset:1920
	ds_load_b128 v[10:13], v1 offset:1936
	v_fma_f64 v[185:186], v[185:186], v[14:15], v[191:192]
	v_fma_f64 v[14:15], v[183:184], v[14:15], -v[16:17]
	v_add_f64_e32 v[179:180], v[189:190], v[179:180]
	v_add_f64_e32 v[181:182], v[187:188], v[181:182]
	s_wait_loadcnt_dscnt 0x701
	v_mul_f64_e32 v[187:188], v[2:3], v[20:21]
	v_mul_f64_e32 v[20:21], v[4:5], v[20:21]
	s_delay_alu instid0(VALU_DEP_4) | instskip(NEXT) | instid1(VALU_DEP_4)
	v_add_f64_e32 v[16:17], v[179:180], v[195:196]
	v_add_f64_e32 v[179:180], v[181:182], v[193:194]
	s_wait_loadcnt_dscnt 0x600
	v_mul_f64_e32 v[181:182], v[10:11], v[24:25]
	v_mul_f64_e32 v[24:25], v[12:13], v[24:25]
	v_fma_f64 v[183:184], v[4:5], v[18:19], v[187:188]
	v_fma_f64 v[18:19], v[2:3], v[18:19], -v[20:21]
	v_add_f64_e32 v[20:21], v[16:17], v[14:15]
	v_add_f64_e32 v[179:180], v[179:180], v[185:186]
	ds_load_b128 v[2:5], v1 offset:1952
	ds_load_b128 v[14:17], v1 offset:1968
	v_fma_f64 v[12:13], v[12:13], v[22:23], v[181:182]
	v_fma_f64 v[10:11], v[10:11], v[22:23], -v[24:25]
	s_wait_loadcnt_dscnt 0x501
	v_mul_f64_e32 v[185:186], v[2:3], v[28:29]
	v_mul_f64_e32 v[28:29], v[4:5], v[28:29]
	s_wait_loadcnt_dscnt 0x400
	v_mul_f64_e32 v[22:23], v[14:15], v[32:33]
	v_mul_f64_e32 v[24:25], v[16:17], v[32:33]
	v_add_f64_e32 v[18:19], v[20:21], v[18:19]
	v_add_f64_e32 v[20:21], v[179:180], v[183:184]
	v_fma_f64 v[32:33], v[4:5], v[26:27], v[185:186]
	v_fma_f64 v[26:27], v[2:3], v[26:27], -v[28:29]
	v_fma_f64 v[16:17], v[16:17], v[30:31], v[22:23]
	v_fma_f64 v[14:15], v[14:15], v[30:31], -v[24:25]
	v_add_f64_e32 v[18:19], v[18:19], v[10:11]
	v_add_f64_e32 v[20:21], v[20:21], v[12:13]
	ds_load_b128 v[2:5], v1 offset:1984
	ds_load_b128 v[10:13], v1 offset:2000
	s_wait_loadcnt_dscnt 0x301
	v_mul_f64_e32 v[28:29], v[2:3], v[36:37]
	v_mul_f64_e32 v[36:37], v[4:5], v[36:37]
	s_wait_loadcnt_dscnt 0x200
	v_mul_f64_e32 v[22:23], v[10:11], v[40:41]
	v_mul_f64_e32 v[24:25], v[12:13], v[40:41]
	v_add_f64_e32 v[18:19], v[18:19], v[26:27]
	v_add_f64_e32 v[20:21], v[20:21], v[32:33]
	v_fma_f64 v[26:27], v[4:5], v[34:35], v[28:29]
	v_fma_f64 v[28:29], v[2:3], v[34:35], -v[36:37]
	v_fma_f64 v[12:13], v[12:13], v[38:39], v[22:23]
	v_fma_f64 v[10:11], v[10:11], v[38:39], -v[24:25]
	v_add_f64_e32 v[18:19], v[18:19], v[14:15]
	v_add_f64_e32 v[20:21], v[20:21], v[16:17]
	ds_load_b128 v[2:5], v1 offset:2016
	ds_load_b128 v[14:17], v1 offset:2032
	s_wait_loadcnt_dscnt 0x101
	v_mul_f64_e32 v[30:31], v[2:3], v[44:45]
	v_mul_f64_e32 v[32:33], v[4:5], v[44:45]
	s_wait_loadcnt_dscnt 0x0
	v_mul_f64_e32 v[22:23], v[14:15], v[8:9]
	v_mul_f64_e32 v[8:9], v[16:17], v[8:9]
	v_add_f64_e32 v[18:19], v[18:19], v[28:29]
	v_add_f64_e32 v[20:21], v[20:21], v[26:27]
	v_fma_f64 v[4:5], v[4:5], v[42:43], v[30:31]
	v_fma_f64 v[1:2], v[2:3], v[42:43], -v[32:33]
	v_fma_f64 v[16:17], v[16:17], v[6:7], v[22:23]
	v_fma_f64 v[6:7], v[14:15], v[6:7], -v[8:9]
	v_add_f64_e32 v[10:11], v[18:19], v[10:11]
	v_add_f64_e32 v[12:13], v[20:21], v[12:13]
	s_delay_alu instid0(VALU_DEP_2) | instskip(NEXT) | instid1(VALU_DEP_2)
	v_add_f64_e32 v[1:2], v[10:11], v[1:2]
	v_add_f64_e32 v[3:4], v[12:13], v[4:5]
	s_delay_alu instid0(VALU_DEP_2) | instskip(NEXT) | instid1(VALU_DEP_2)
	;; [unrolled: 3-line block ×3, first 2 shown]
	v_add_f64_e64 v[1:2], v[175:176], -v[1:2]
	v_add_f64_e64 v[3:4], v[177:178], -v[3:4]
	scratch_store_b128 off, v[1:4], off offset:352
	v_cmpx_lt_u32_e32 20, v0
	s_cbranch_execz .LBB127_369
; %bb.368:
	scratch_load_b128 v[1:4], off, s59
	v_mov_b32_e32 v5, 0
	s_delay_alu instid0(VALU_DEP_1)
	v_dual_mov_b32 v6, v5 :: v_dual_mov_b32 v7, v5
	v_mov_b32_e32 v8, v5
	scratch_store_b128 off, v[5:8], off offset:336
	s_wait_loadcnt 0x0
	ds_store_b128 v174, v[1:4]
.LBB127_369:
	s_wait_alu 0xfffe
	s_or_b32 exec_lo, exec_lo, s0
	s_wait_storecnt_dscnt 0x0
	s_barrier_signal -1
	s_barrier_wait -1
	global_inv scope:SCOPE_SE
	s_clause 0x7
	scratch_load_b128 v[2:5], off, off offset:352
	scratch_load_b128 v[6:9], off, off offset:368
	;; [unrolled: 1-line block ×8, first 2 shown]
	v_mov_b32_e32 v1, 0
	s_mov_b32 s0, exec_lo
	ds_load_b128 v[38:41], v1 offset:1360
	s_clause 0x1
	scratch_load_b128 v[34:37], off, off offset:480
	scratch_load_b128 v[42:45], off, off offset:336
	ds_load_b128 v[175:178], v1 offset:1376
	scratch_load_b128 v[179:182], off, off offset:496
	s_wait_loadcnt_dscnt 0xa01
	v_mul_f64_e32 v[183:184], v[40:41], v[4:5]
	v_mul_f64_e32 v[4:5], v[38:39], v[4:5]
	s_delay_alu instid0(VALU_DEP_2) | instskip(NEXT) | instid1(VALU_DEP_2)
	v_fma_f64 v[189:190], v[38:39], v[2:3], -v[183:184]
	v_fma_f64 v[191:192], v[40:41], v[2:3], v[4:5]
	ds_load_b128 v[2:5], v1 offset:1392
	s_wait_loadcnt_dscnt 0x901
	v_mul_f64_e32 v[187:188], v[175:176], v[8:9]
	v_mul_f64_e32 v[8:9], v[177:178], v[8:9]
	scratch_load_b128 v[38:41], off, off offset:512
	ds_load_b128 v[183:186], v1 offset:1408
	s_wait_loadcnt_dscnt 0x901
	v_mul_f64_e32 v[193:194], v[2:3], v[12:13]
	v_mul_f64_e32 v[12:13], v[4:5], v[12:13]
	v_fma_f64 v[177:178], v[177:178], v[6:7], v[187:188]
	v_fma_f64 v[175:176], v[175:176], v[6:7], -v[8:9]
	v_add_f64_e32 v[187:188], 0, v[189:190]
	v_add_f64_e32 v[189:190], 0, v[191:192]
	scratch_load_b128 v[6:9], off, off offset:528
	v_fma_f64 v[193:194], v[4:5], v[10:11], v[193:194]
	v_fma_f64 v[195:196], v[2:3], v[10:11], -v[12:13]
	ds_load_b128 v[2:5], v1 offset:1424
	s_wait_loadcnt_dscnt 0x901
	v_mul_f64_e32 v[191:192], v[183:184], v[16:17]
	v_mul_f64_e32 v[16:17], v[185:186], v[16:17]
	scratch_load_b128 v[10:13], off, off offset:544
	v_add_f64_e32 v[187:188], v[187:188], v[175:176]
	v_add_f64_e32 v[189:190], v[189:190], v[177:178]
	s_wait_loadcnt_dscnt 0x900
	v_mul_f64_e32 v[197:198], v[2:3], v[20:21]
	v_mul_f64_e32 v[20:21], v[4:5], v[20:21]
	ds_load_b128 v[175:178], v1 offset:1440
	v_fma_f64 v[185:186], v[185:186], v[14:15], v[191:192]
	v_fma_f64 v[183:184], v[183:184], v[14:15], -v[16:17]
	scratch_load_b128 v[14:17], off, off offset:560
	v_add_f64_e32 v[187:188], v[187:188], v[195:196]
	v_add_f64_e32 v[189:190], v[189:190], v[193:194]
	v_fma_f64 v[193:194], v[4:5], v[18:19], v[197:198]
	v_fma_f64 v[195:196], v[2:3], v[18:19], -v[20:21]
	ds_load_b128 v[2:5], v1 offset:1456
	s_wait_loadcnt_dscnt 0x901
	v_mul_f64_e32 v[191:192], v[175:176], v[24:25]
	v_mul_f64_e32 v[24:25], v[177:178], v[24:25]
	scratch_load_b128 v[18:21], off, off offset:576
	s_wait_loadcnt_dscnt 0x900
	v_mul_f64_e32 v[197:198], v[2:3], v[28:29]
	v_mul_f64_e32 v[28:29], v[4:5], v[28:29]
	v_add_f64_e32 v[187:188], v[187:188], v[183:184]
	v_add_f64_e32 v[189:190], v[189:190], v[185:186]
	ds_load_b128 v[183:186], v1 offset:1472
	v_fma_f64 v[177:178], v[177:178], v[22:23], v[191:192]
	v_fma_f64 v[175:176], v[175:176], v[22:23], -v[24:25]
	scratch_load_b128 v[22:25], off, off offset:592
	v_add_f64_e32 v[187:188], v[187:188], v[195:196]
	v_add_f64_e32 v[189:190], v[189:190], v[193:194]
	v_fma_f64 v[193:194], v[4:5], v[26:27], v[197:198]
	v_fma_f64 v[195:196], v[2:3], v[26:27], -v[28:29]
	ds_load_b128 v[2:5], v1 offset:1488
	s_wait_loadcnt_dscnt 0x901
	v_mul_f64_e32 v[191:192], v[183:184], v[32:33]
	v_mul_f64_e32 v[32:33], v[185:186], v[32:33]
	scratch_load_b128 v[26:29], off, off offset:608
	s_wait_loadcnt_dscnt 0x900
	v_mul_f64_e32 v[197:198], v[2:3], v[36:37]
	v_mul_f64_e32 v[36:37], v[4:5], v[36:37]
	v_add_f64_e32 v[187:188], v[187:188], v[175:176]
	v_add_f64_e32 v[189:190], v[189:190], v[177:178]
	ds_load_b128 v[175:178], v1 offset:1504
	v_fma_f64 v[185:186], v[185:186], v[30:31], v[191:192]
	v_fma_f64 v[183:184], v[183:184], v[30:31], -v[32:33]
	scratch_load_b128 v[30:33], off, off offset:624
	v_add_f64_e32 v[187:188], v[187:188], v[195:196]
	v_add_f64_e32 v[189:190], v[189:190], v[193:194]
	v_fma_f64 v[195:196], v[4:5], v[34:35], v[197:198]
	v_fma_f64 v[197:198], v[2:3], v[34:35], -v[36:37]
	ds_load_b128 v[2:5], v1 offset:1520
	s_wait_loadcnt_dscnt 0x801
	v_mul_f64_e32 v[191:192], v[175:176], v[181:182]
	v_mul_f64_e32 v[193:194], v[177:178], v[181:182]
	scratch_load_b128 v[34:37], off, off offset:640
	v_add_f64_e32 v[187:188], v[187:188], v[183:184]
	v_add_f64_e32 v[185:186], v[189:190], v[185:186]
	ds_load_b128 v[181:184], v1 offset:1536
	v_fma_f64 v[191:192], v[177:178], v[179:180], v[191:192]
	v_fma_f64 v[179:180], v[175:176], v[179:180], -v[193:194]
	scratch_load_b128 v[175:178], off, off offset:656
	s_wait_loadcnt_dscnt 0x901
	v_mul_f64_e32 v[189:190], v[2:3], v[40:41]
	v_mul_f64_e32 v[40:41], v[4:5], v[40:41]
	v_add_f64_e32 v[187:188], v[187:188], v[197:198]
	v_add_f64_e32 v[185:186], v[185:186], v[195:196]
	s_delay_alu instid0(VALU_DEP_4) | instskip(NEXT) | instid1(VALU_DEP_4)
	v_fma_f64 v[189:190], v[4:5], v[38:39], v[189:190]
	v_fma_f64 v[195:196], v[2:3], v[38:39], -v[40:41]
	ds_load_b128 v[2:5], v1 offset:1552
	s_wait_loadcnt_dscnt 0x801
	v_mul_f64_e32 v[193:194], v[181:182], v[8:9]
	v_mul_f64_e32 v[8:9], v[183:184], v[8:9]
	scratch_load_b128 v[38:41], off, off offset:672
	s_wait_loadcnt_dscnt 0x800
	v_mul_f64_e32 v[197:198], v[2:3], v[12:13]
	v_add_f64_e32 v[179:180], v[187:188], v[179:180]
	v_add_f64_e32 v[191:192], v[185:186], v[191:192]
	v_mul_f64_e32 v[12:13], v[4:5], v[12:13]
	ds_load_b128 v[185:188], v1 offset:1568
	v_fma_f64 v[183:184], v[183:184], v[6:7], v[193:194]
	v_fma_f64 v[181:182], v[181:182], v[6:7], -v[8:9]
	scratch_load_b128 v[6:9], off, off offset:688
	v_fma_f64 v[193:194], v[4:5], v[10:11], v[197:198]
	v_add_f64_e32 v[179:180], v[179:180], v[195:196]
	v_add_f64_e32 v[189:190], v[191:192], v[189:190]
	v_fma_f64 v[195:196], v[2:3], v[10:11], -v[12:13]
	ds_load_b128 v[2:5], v1 offset:1584
	s_wait_loadcnt_dscnt 0x801
	v_mul_f64_e32 v[191:192], v[185:186], v[16:17]
	v_mul_f64_e32 v[16:17], v[187:188], v[16:17]
	scratch_load_b128 v[10:13], off, off offset:704
	v_add_f64_e32 v[197:198], v[179:180], v[181:182]
	v_add_f64_e32 v[183:184], v[189:190], v[183:184]
	s_wait_loadcnt_dscnt 0x800
	v_mul_f64_e32 v[189:190], v[2:3], v[20:21]
	v_mul_f64_e32 v[20:21], v[4:5], v[20:21]
	v_fma_f64 v[187:188], v[187:188], v[14:15], v[191:192]
	v_fma_f64 v[185:186], v[185:186], v[14:15], -v[16:17]
	ds_load_b128 v[179:182], v1 offset:1600
	scratch_load_b128 v[14:17], off, off offset:720
	v_add_f64_e32 v[191:192], v[197:198], v[195:196]
	v_add_f64_e32 v[183:184], v[183:184], v[193:194]
	v_fma_f64 v[189:190], v[4:5], v[18:19], v[189:190]
	v_fma_f64 v[195:196], v[2:3], v[18:19], -v[20:21]
	ds_load_b128 v[2:5], v1 offset:1616
	s_wait_loadcnt_dscnt 0x801
	v_mul_f64_e32 v[193:194], v[179:180], v[24:25]
	v_mul_f64_e32 v[24:25], v[181:182], v[24:25]
	scratch_load_b128 v[18:21], off, off offset:736
	s_wait_loadcnt_dscnt 0x800
	v_mul_f64_e32 v[197:198], v[2:3], v[28:29]
	v_mul_f64_e32 v[28:29], v[4:5], v[28:29]
	v_add_f64_e32 v[191:192], v[191:192], v[185:186]
	v_add_f64_e32 v[187:188], v[183:184], v[187:188]
	ds_load_b128 v[183:186], v1 offset:1632
	v_fma_f64 v[181:182], v[181:182], v[22:23], v[193:194]
	v_fma_f64 v[179:180], v[179:180], v[22:23], -v[24:25]
	scratch_load_b128 v[22:25], off, off offset:752
	v_fma_f64 v[193:194], v[4:5], v[26:27], v[197:198]
	v_add_f64_e32 v[191:192], v[191:192], v[195:196]
	v_add_f64_e32 v[187:188], v[187:188], v[189:190]
	v_fma_f64 v[195:196], v[2:3], v[26:27], -v[28:29]
	ds_load_b128 v[2:5], v1 offset:1648
	s_wait_loadcnt_dscnt 0x801
	v_mul_f64_e32 v[189:190], v[183:184], v[32:33]
	v_mul_f64_e32 v[32:33], v[185:186], v[32:33]
	scratch_load_b128 v[26:29], off, off offset:768
	s_wait_loadcnt_dscnt 0x800
	v_mul_f64_e32 v[197:198], v[2:3], v[36:37]
	v_mul_f64_e32 v[36:37], v[4:5], v[36:37]
	v_add_f64_e32 v[191:192], v[191:192], v[179:180]
	v_add_f64_e32 v[187:188], v[187:188], v[181:182]
	ds_load_b128 v[179:182], v1 offset:1664
	v_fma_f64 v[185:186], v[185:186], v[30:31], v[189:190]
	v_fma_f64 v[183:184], v[183:184], v[30:31], -v[32:33]
	scratch_load_b128 v[30:33], off, off offset:784
	v_add_f64_e32 v[189:190], v[191:192], v[195:196]
	v_add_f64_e32 v[187:188], v[187:188], v[193:194]
	v_fma_f64 v[193:194], v[4:5], v[34:35], v[197:198]
	v_fma_f64 v[195:196], v[2:3], v[34:35], -v[36:37]
	ds_load_b128 v[2:5], v1 offset:1680
	s_wait_loadcnt_dscnt 0x801
	v_mul_f64_e32 v[191:192], v[179:180], v[177:178]
	v_mul_f64_e32 v[177:178], v[181:182], v[177:178]
	scratch_load_b128 v[34:37], off, off offset:800
	s_wait_loadcnt_dscnt 0x800
	v_mul_f64_e32 v[197:198], v[2:3], v[40:41]
	v_mul_f64_e32 v[40:41], v[4:5], v[40:41]
	v_add_f64_e32 v[189:190], v[189:190], v[183:184]
	v_add_f64_e32 v[187:188], v[187:188], v[185:186]
	ds_load_b128 v[183:186], v1 offset:1696
	v_fma_f64 v[181:182], v[181:182], v[175:176], v[191:192]
	v_fma_f64 v[179:180], v[179:180], v[175:176], -v[177:178]
	scratch_load_b128 v[175:178], off, off offset:816
	v_add_f64_e32 v[189:190], v[189:190], v[195:196]
	v_add_f64_e32 v[187:188], v[187:188], v[193:194]
	v_fma_f64 v[193:194], v[4:5], v[38:39], v[197:198]
	;; [unrolled: 18-line block ×6, first 2 shown]
	v_fma_f64 v[197:198], v[2:3], v[34:35], -v[36:37]
	ds_load_b128 v[2:5], v1 offset:1840
	s_wait_loadcnt_dscnt 0x801
	v_mul_f64_e32 v[191:192], v[183:184], v[177:178]
	v_mul_f64_e32 v[193:194], v[185:186], v[177:178]
	scratch_load_b128 v[34:37], off, off offset:960
	v_add_f64_e32 v[189:190], v[189:190], v[179:180]
	v_add_f64_e32 v[181:182], v[187:188], v[181:182]
	s_wait_loadcnt_dscnt 0x800
	v_mul_f64_e32 v[187:188], v[2:3], v[40:41]
	v_mul_f64_e32 v[40:41], v[4:5], v[40:41]
	ds_load_b128 v[177:180], v1 offset:1856
	v_fma_f64 v[185:186], v[185:186], v[175:176], v[191:192]
	v_fma_f64 v[175:176], v[183:184], v[175:176], -v[193:194]
	v_add_f64_e32 v[189:190], v[189:190], v[197:198]
	v_add_f64_e32 v[191:192], v[181:182], v[195:196]
	scratch_load_b128 v[181:184], off, off offset:976
	v_fma_f64 v[195:196], v[4:5], v[38:39], v[187:188]
	v_fma_f64 v[197:198], v[2:3], v[38:39], -v[40:41]
	ds_load_b128 v[2:5], v1 offset:1872
	s_wait_loadcnt_dscnt 0x801
	v_mul_f64_e32 v[193:194], v[177:178], v[8:9]
	v_mul_f64_e32 v[8:9], v[179:180], v[8:9]
	scratch_load_b128 v[38:41], off, off offset:992
	v_add_f64_e32 v[175:176], v[189:190], v[175:176]
	v_add_f64_e32 v[189:190], v[191:192], v[185:186]
	s_wait_loadcnt_dscnt 0x800
	v_mul_f64_e32 v[191:192], v[2:3], v[12:13]
	v_mul_f64_e32 v[12:13], v[4:5], v[12:13]
	ds_load_b128 v[185:188], v1 offset:1888
	v_fma_f64 v[179:180], v[179:180], v[6:7], v[193:194]
	v_fma_f64 v[177:178], v[177:178], v[6:7], -v[8:9]
	scratch_load_b128 v[6:9], off, off offset:1008
	v_add_f64_e32 v[175:176], v[175:176], v[197:198]
	v_add_f64_e32 v[189:190], v[189:190], v[195:196]
	v_fma_f64 v[191:192], v[4:5], v[10:11], v[191:192]
	v_fma_f64 v[195:196], v[2:3], v[10:11], -v[12:13]
	ds_load_b128 v[2:5], v1 offset:1904
	s_wait_loadcnt_dscnt 0x801
	v_mul_f64_e32 v[193:194], v[185:186], v[16:17]
	v_mul_f64_e32 v[16:17], v[187:188], v[16:17]
	scratch_load_b128 v[10:13], off, off offset:1024
	v_add_f64_e32 v[197:198], v[175:176], v[177:178]
	v_add_f64_e32 v[179:180], v[189:190], v[179:180]
	s_wait_loadcnt_dscnt 0x800
	v_mul_f64_e32 v[189:190], v[2:3], v[20:21]
	v_mul_f64_e32 v[20:21], v[4:5], v[20:21]
	ds_load_b128 v[175:178], v1 offset:1920
	v_fma_f64 v[187:188], v[187:188], v[14:15], v[193:194]
	v_fma_f64 v[14:15], v[185:186], v[14:15], -v[16:17]
	s_wait_loadcnt_dscnt 0x700
	v_mul_f64_e32 v[185:186], v[175:176], v[24:25]
	v_mul_f64_e32 v[24:25], v[177:178], v[24:25]
	v_add_f64_e32 v[16:17], v[197:198], v[195:196]
	v_add_f64_e32 v[179:180], v[179:180], v[191:192]
	v_fma_f64 v[189:190], v[4:5], v[18:19], v[189:190]
	v_fma_f64 v[18:19], v[2:3], v[18:19], -v[20:21]
	v_fma_f64 v[177:178], v[177:178], v[22:23], v[185:186]
	v_fma_f64 v[22:23], v[175:176], v[22:23], -v[24:25]
	v_add_f64_e32 v[20:21], v[16:17], v[14:15]
	v_add_f64_e32 v[179:180], v[179:180], v[187:188]
	ds_load_b128 v[2:5], v1 offset:1936
	ds_load_b128 v[14:17], v1 offset:1952
	s_wait_loadcnt_dscnt 0x601
	v_mul_f64_e32 v[187:188], v[2:3], v[28:29]
	v_mul_f64_e32 v[28:29], v[4:5], v[28:29]
	s_wait_loadcnt_dscnt 0x500
	v_mul_f64_e32 v[24:25], v[14:15], v[32:33]
	v_mul_f64_e32 v[32:33], v[16:17], v[32:33]
	v_add_f64_e32 v[18:19], v[20:21], v[18:19]
	v_add_f64_e32 v[20:21], v[179:180], v[189:190]
	v_fma_f64 v[175:176], v[4:5], v[26:27], v[187:188]
	v_fma_f64 v[26:27], v[2:3], v[26:27], -v[28:29]
	v_fma_f64 v[16:17], v[16:17], v[30:31], v[24:25]
	v_fma_f64 v[14:15], v[14:15], v[30:31], -v[32:33]
	v_add_f64_e32 v[22:23], v[18:19], v[22:23]
	v_add_f64_e32 v[28:29], v[20:21], v[177:178]
	ds_load_b128 v[2:5], v1 offset:1968
	ds_load_b128 v[18:21], v1 offset:1984
	s_wait_loadcnt_dscnt 0x401
	v_mul_f64_e32 v[177:178], v[2:3], v[36:37]
	v_mul_f64_e32 v[36:37], v[4:5], v[36:37]
	v_add_f64_e32 v[22:23], v[22:23], v[26:27]
	v_add_f64_e32 v[24:25], v[28:29], v[175:176]
	s_wait_loadcnt_dscnt 0x300
	v_mul_f64_e32 v[26:27], v[18:19], v[183:184]
	v_mul_f64_e32 v[28:29], v[20:21], v[183:184]
	v_fma_f64 v[30:31], v[4:5], v[34:35], v[177:178]
	v_fma_f64 v[32:33], v[2:3], v[34:35], -v[36:37]
	v_add_f64_e32 v[22:23], v[22:23], v[14:15]
	v_add_f64_e32 v[24:25], v[24:25], v[16:17]
	ds_load_b128 v[2:5], v1 offset:2000
	ds_load_b128 v[14:17], v1 offset:2016
	v_fma_f64 v[20:21], v[20:21], v[181:182], v[26:27]
	v_fma_f64 v[18:19], v[18:19], v[181:182], -v[28:29]
	s_wait_loadcnt_dscnt 0x201
	v_mul_f64_e32 v[34:35], v[2:3], v[40:41]
	v_mul_f64_e32 v[36:37], v[4:5], v[40:41]
	s_wait_loadcnt_dscnt 0x100
	v_mul_f64_e32 v[26:27], v[14:15], v[8:9]
	v_mul_f64_e32 v[8:9], v[16:17], v[8:9]
	v_add_f64_e32 v[22:23], v[22:23], v[32:33]
	v_add_f64_e32 v[24:25], v[24:25], v[30:31]
	v_fma_f64 v[28:29], v[4:5], v[38:39], v[34:35]
	v_fma_f64 v[30:31], v[2:3], v[38:39], -v[36:37]
	ds_load_b128 v[2:5], v1 offset:2032
	v_fma_f64 v[16:17], v[16:17], v[6:7], v[26:27]
	v_fma_f64 v[6:7], v[14:15], v[6:7], -v[8:9]
	v_add_f64_e32 v[18:19], v[22:23], v[18:19]
	v_add_f64_e32 v[20:21], v[24:25], v[20:21]
	s_wait_loadcnt_dscnt 0x0
	v_mul_f64_e32 v[22:23], v[2:3], v[12:13]
	v_mul_f64_e32 v[12:13], v[4:5], v[12:13]
	s_delay_alu instid0(VALU_DEP_4) | instskip(NEXT) | instid1(VALU_DEP_4)
	v_add_f64_e32 v[8:9], v[18:19], v[30:31]
	v_add_f64_e32 v[14:15], v[20:21], v[28:29]
	s_delay_alu instid0(VALU_DEP_4) | instskip(NEXT) | instid1(VALU_DEP_4)
	v_fma_f64 v[4:5], v[4:5], v[10:11], v[22:23]
	v_fma_f64 v[2:3], v[2:3], v[10:11], -v[12:13]
	s_delay_alu instid0(VALU_DEP_4) | instskip(NEXT) | instid1(VALU_DEP_4)
	v_add_f64_e32 v[6:7], v[8:9], v[6:7]
	v_add_f64_e32 v[8:9], v[14:15], v[16:17]
	s_delay_alu instid0(VALU_DEP_2) | instskip(NEXT) | instid1(VALU_DEP_2)
	v_add_f64_e32 v[2:3], v[6:7], v[2:3]
	v_add_f64_e32 v[4:5], v[8:9], v[4:5]
	s_delay_alu instid0(VALU_DEP_2) | instskip(NEXT) | instid1(VALU_DEP_2)
	v_add_f64_e64 v[2:3], v[42:43], -v[2:3]
	v_add_f64_e64 v[4:5], v[44:45], -v[4:5]
	scratch_store_b128 off, v[2:5], off offset:336
	v_cmpx_lt_u32_e32 19, v0
	s_cbranch_execz .LBB127_371
; %bb.370:
	scratch_load_b128 v[5:8], off, s60
	v_dual_mov_b32 v2, v1 :: v_dual_mov_b32 v3, v1
	v_mov_b32_e32 v4, v1
	scratch_store_b128 off, v[1:4], off offset:320
	s_wait_loadcnt 0x0
	ds_store_b128 v174, v[5:8]
.LBB127_371:
	s_wait_alu 0xfffe
	s_or_b32 exec_lo, exec_lo, s0
	s_wait_storecnt_dscnt 0x0
	s_barrier_signal -1
	s_barrier_wait -1
	global_inv scope:SCOPE_SE
	s_clause 0x8
	scratch_load_b128 v[2:5], off, off offset:336
	scratch_load_b128 v[6:9], off, off offset:352
	;; [unrolled: 1-line block ×9, first 2 shown]
	ds_load_b128 v[42:45], v1 offset:1344
	ds_load_b128 v[38:41], v1 offset:1360
	s_clause 0x1
	scratch_load_b128 v[175:178], off, off offset:320
	scratch_load_b128 v[179:182], off, off offset:480
	s_mov_b32 s0, exec_lo
	s_wait_loadcnt_dscnt 0xa01
	v_mul_f64_e32 v[183:184], v[44:45], v[4:5]
	v_mul_f64_e32 v[4:5], v[42:43], v[4:5]
	s_wait_loadcnt_dscnt 0x900
	v_mul_f64_e32 v[187:188], v[38:39], v[8:9]
	v_mul_f64_e32 v[8:9], v[40:41], v[8:9]
	s_delay_alu instid0(VALU_DEP_4) | instskip(NEXT) | instid1(VALU_DEP_4)
	v_fma_f64 v[189:190], v[42:43], v[2:3], -v[183:184]
	v_fma_f64 v[191:192], v[44:45], v[2:3], v[4:5]
	ds_load_b128 v[2:5], v1 offset:1376
	ds_load_b128 v[183:186], v1 offset:1392
	scratch_load_b128 v[42:45], off, off offset:496
	v_fma_f64 v[40:41], v[40:41], v[6:7], v[187:188]
	v_fma_f64 v[38:39], v[38:39], v[6:7], -v[8:9]
	scratch_load_b128 v[6:9], off, off offset:512
	s_wait_loadcnt_dscnt 0xa01
	v_mul_f64_e32 v[193:194], v[2:3], v[12:13]
	v_mul_f64_e32 v[12:13], v[4:5], v[12:13]
	v_add_f64_e32 v[187:188], 0, v[189:190]
	v_add_f64_e32 v[189:190], 0, v[191:192]
	s_wait_loadcnt_dscnt 0x900
	v_mul_f64_e32 v[191:192], v[183:184], v[16:17]
	v_mul_f64_e32 v[16:17], v[185:186], v[16:17]
	v_fma_f64 v[193:194], v[4:5], v[10:11], v[193:194]
	v_fma_f64 v[195:196], v[2:3], v[10:11], -v[12:13]
	ds_load_b128 v[2:5], v1 offset:1408
	scratch_load_b128 v[10:13], off, off offset:528
	v_add_f64_e32 v[187:188], v[187:188], v[38:39]
	v_add_f64_e32 v[189:190], v[189:190], v[40:41]
	ds_load_b128 v[38:41], v1 offset:1424
	v_fma_f64 v[185:186], v[185:186], v[14:15], v[191:192]
	v_fma_f64 v[183:184], v[183:184], v[14:15], -v[16:17]
	scratch_load_b128 v[14:17], off, off offset:544
	s_wait_loadcnt_dscnt 0xa01
	v_mul_f64_e32 v[197:198], v[2:3], v[20:21]
	v_mul_f64_e32 v[20:21], v[4:5], v[20:21]
	s_wait_loadcnt_dscnt 0x900
	v_mul_f64_e32 v[191:192], v[38:39], v[24:25]
	v_mul_f64_e32 v[24:25], v[40:41], v[24:25]
	v_add_f64_e32 v[187:188], v[187:188], v[195:196]
	v_add_f64_e32 v[189:190], v[189:190], v[193:194]
	v_fma_f64 v[193:194], v[4:5], v[18:19], v[197:198]
	v_fma_f64 v[195:196], v[2:3], v[18:19], -v[20:21]
	ds_load_b128 v[2:5], v1 offset:1440
	scratch_load_b128 v[18:21], off, off offset:560
	v_fma_f64 v[40:41], v[40:41], v[22:23], v[191:192]
	v_fma_f64 v[38:39], v[38:39], v[22:23], -v[24:25]
	scratch_load_b128 v[22:25], off, off offset:576
	v_add_f64_e32 v[187:188], v[187:188], v[183:184]
	v_add_f64_e32 v[189:190], v[189:190], v[185:186]
	ds_load_b128 v[183:186], v1 offset:1456
	s_wait_loadcnt_dscnt 0xa01
	v_mul_f64_e32 v[197:198], v[2:3], v[28:29]
	v_mul_f64_e32 v[28:29], v[4:5], v[28:29]
	s_wait_loadcnt_dscnt 0x900
	v_mul_f64_e32 v[191:192], v[183:184], v[32:33]
	v_mul_f64_e32 v[32:33], v[185:186], v[32:33]
	v_add_f64_e32 v[187:188], v[187:188], v[195:196]
	v_add_f64_e32 v[189:190], v[189:190], v[193:194]
	v_fma_f64 v[193:194], v[4:5], v[26:27], v[197:198]
	v_fma_f64 v[195:196], v[2:3], v[26:27], -v[28:29]
	ds_load_b128 v[2:5], v1 offset:1472
	scratch_load_b128 v[26:29], off, off offset:592
	v_fma_f64 v[185:186], v[185:186], v[30:31], v[191:192]
	v_fma_f64 v[183:184], v[183:184], v[30:31], -v[32:33]
	scratch_load_b128 v[30:33], off, off offset:608
	v_add_f64_e32 v[187:188], v[187:188], v[38:39]
	v_add_f64_e32 v[189:190], v[189:190], v[40:41]
	ds_load_b128 v[38:41], v1 offset:1488
	s_wait_loadcnt_dscnt 0xa01
	v_mul_f64_e32 v[197:198], v[2:3], v[36:37]
	v_mul_f64_e32 v[36:37], v[4:5], v[36:37]
	s_wait_loadcnt_dscnt 0x800
	v_mul_f64_e32 v[191:192], v[38:39], v[181:182]
	v_add_f64_e32 v[187:188], v[187:188], v[195:196]
	v_add_f64_e32 v[189:190], v[189:190], v[193:194]
	v_mul_f64_e32 v[193:194], v[40:41], v[181:182]
	v_fma_f64 v[195:196], v[4:5], v[34:35], v[197:198]
	v_fma_f64 v[197:198], v[2:3], v[34:35], -v[36:37]
	ds_load_b128 v[2:5], v1 offset:1504
	scratch_load_b128 v[34:37], off, off offset:624
	v_fma_f64 v[191:192], v[40:41], v[179:180], v[191:192]
	v_add_f64_e32 v[187:188], v[187:188], v[183:184]
	v_add_f64_e32 v[185:186], v[189:190], v[185:186]
	ds_load_b128 v[181:184], v1 offset:1520
	v_fma_f64 v[179:180], v[38:39], v[179:180], -v[193:194]
	scratch_load_b128 v[38:41], off, off offset:640
	s_wait_loadcnt_dscnt 0x901
	v_mul_f64_e32 v[189:190], v[2:3], v[44:45]
	v_mul_f64_e32 v[44:45], v[4:5], v[44:45]
	s_wait_loadcnt_dscnt 0x800
	v_mul_f64_e32 v[193:194], v[181:182], v[8:9]
	v_mul_f64_e32 v[8:9], v[183:184], v[8:9]
	v_add_f64_e32 v[187:188], v[187:188], v[197:198]
	v_add_f64_e32 v[185:186], v[185:186], v[195:196]
	v_fma_f64 v[189:190], v[4:5], v[42:43], v[189:190]
	v_fma_f64 v[195:196], v[2:3], v[42:43], -v[44:45]
	ds_load_b128 v[2:5], v1 offset:1536
	scratch_load_b128 v[42:45], off, off offset:656
	v_fma_f64 v[183:184], v[183:184], v[6:7], v[193:194]
	v_fma_f64 v[181:182], v[181:182], v[6:7], -v[8:9]
	scratch_load_b128 v[6:9], off, off offset:672
	v_add_f64_e32 v[179:180], v[187:188], v[179:180]
	v_add_f64_e32 v[191:192], v[185:186], v[191:192]
	ds_load_b128 v[185:188], v1 offset:1552
	s_wait_loadcnt_dscnt 0x901
	v_mul_f64_e32 v[197:198], v[2:3], v[12:13]
	v_mul_f64_e32 v[12:13], v[4:5], v[12:13]
	v_add_f64_e32 v[179:180], v[179:180], v[195:196]
	v_add_f64_e32 v[189:190], v[191:192], v[189:190]
	s_wait_loadcnt_dscnt 0x800
	v_mul_f64_e32 v[191:192], v[185:186], v[16:17]
	v_mul_f64_e32 v[16:17], v[187:188], v[16:17]
	v_fma_f64 v[193:194], v[4:5], v[10:11], v[197:198]
	v_fma_f64 v[195:196], v[2:3], v[10:11], -v[12:13]
	ds_load_b128 v[2:5], v1 offset:1568
	scratch_load_b128 v[10:13], off, off offset:688
	v_add_f64_e32 v[197:198], v[179:180], v[181:182]
	v_add_f64_e32 v[183:184], v[189:190], v[183:184]
	ds_load_b128 v[179:182], v1 offset:1584
	s_wait_loadcnt_dscnt 0x801
	v_mul_f64_e32 v[189:190], v[2:3], v[20:21]
	v_mul_f64_e32 v[20:21], v[4:5], v[20:21]
	v_fma_f64 v[187:188], v[187:188], v[14:15], v[191:192]
	v_fma_f64 v[185:186], v[185:186], v[14:15], -v[16:17]
	scratch_load_b128 v[14:17], off, off offset:704
	v_add_f64_e32 v[191:192], v[197:198], v[195:196]
	v_add_f64_e32 v[183:184], v[183:184], v[193:194]
	s_wait_loadcnt_dscnt 0x800
	v_mul_f64_e32 v[193:194], v[179:180], v[24:25]
	v_mul_f64_e32 v[24:25], v[181:182], v[24:25]
	v_fma_f64 v[189:190], v[4:5], v[18:19], v[189:190]
	v_fma_f64 v[195:196], v[2:3], v[18:19], -v[20:21]
	ds_load_b128 v[2:5], v1 offset:1600
	scratch_load_b128 v[18:21], off, off offset:720
	v_add_f64_e32 v[191:192], v[191:192], v[185:186]
	v_add_f64_e32 v[187:188], v[183:184], v[187:188]
	ds_load_b128 v[183:186], v1 offset:1616
	s_wait_loadcnt_dscnt 0x801
	v_mul_f64_e32 v[197:198], v[2:3], v[28:29]
	v_mul_f64_e32 v[28:29], v[4:5], v[28:29]
	v_fma_f64 v[181:182], v[181:182], v[22:23], v[193:194]
	v_fma_f64 v[179:180], v[179:180], v[22:23], -v[24:25]
	scratch_load_b128 v[22:25], off, off offset:736
	;; [unrolled: 18-line block ×4, first 2 shown]
	s_wait_loadcnt_dscnt 0x800
	v_mul_f64_e32 v[191:192], v[183:184], v[8:9]
	v_mul_f64_e32 v[8:9], v[185:186], v[8:9]
	v_add_f64_e32 v[189:190], v[189:190], v[195:196]
	v_add_f64_e32 v[187:188], v[187:188], v[193:194]
	v_fma_f64 v[193:194], v[4:5], v[42:43], v[197:198]
	v_fma_f64 v[195:196], v[2:3], v[42:43], -v[44:45]
	ds_load_b128 v[2:5], v1 offset:1696
	scratch_load_b128 v[42:45], off, off offset:816
	v_fma_f64 v[185:186], v[185:186], v[6:7], v[191:192]
	v_fma_f64 v[183:184], v[183:184], v[6:7], -v[8:9]
	scratch_load_b128 v[6:9], off, off offset:832
	v_add_f64_e32 v[189:190], v[189:190], v[179:180]
	v_add_f64_e32 v[187:188], v[187:188], v[181:182]
	ds_load_b128 v[179:182], v1 offset:1712
	s_wait_loadcnt_dscnt 0x901
	v_mul_f64_e32 v[197:198], v[2:3], v[12:13]
	v_mul_f64_e32 v[12:13], v[4:5], v[12:13]
	s_wait_loadcnt_dscnt 0x800
	v_mul_f64_e32 v[191:192], v[179:180], v[16:17]
	v_mul_f64_e32 v[16:17], v[181:182], v[16:17]
	v_add_f64_e32 v[189:190], v[189:190], v[195:196]
	v_add_f64_e32 v[187:188], v[187:188], v[193:194]
	v_fma_f64 v[193:194], v[4:5], v[10:11], v[197:198]
	v_fma_f64 v[195:196], v[2:3], v[10:11], -v[12:13]
	ds_load_b128 v[2:5], v1 offset:1728
	scratch_load_b128 v[10:13], off, off offset:848
	v_fma_f64 v[181:182], v[181:182], v[14:15], v[191:192]
	v_fma_f64 v[179:180], v[179:180], v[14:15], -v[16:17]
	scratch_load_b128 v[14:17], off, off offset:864
	v_add_f64_e32 v[189:190], v[189:190], v[183:184]
	v_add_f64_e32 v[187:188], v[187:188], v[185:186]
	ds_load_b128 v[183:186], v1 offset:1744
	s_wait_loadcnt_dscnt 0x901
	v_mul_f64_e32 v[197:198], v[2:3], v[20:21]
	v_mul_f64_e32 v[20:21], v[4:5], v[20:21]
	;; [unrolled: 18-line block ×7, first 2 shown]
	s_wait_loadcnt_dscnt 0x800
	v_mul_f64_e32 v[191:192], v[179:180], v[24:25]
	v_mul_f64_e32 v[24:25], v[181:182], v[24:25]
	v_add_f64_e32 v[189:190], v[189:190], v[195:196]
	v_add_f64_e32 v[187:188], v[187:188], v[193:194]
	v_fma_f64 v[193:194], v[4:5], v[18:19], v[197:198]
	v_fma_f64 v[195:196], v[2:3], v[18:19], -v[20:21]
	ds_load_b128 v[2:5], v1 offset:1920
	ds_load_b128 v[18:21], v1 offset:1936
	v_fma_f64 v[181:182], v[181:182], v[22:23], v[191:192]
	v_fma_f64 v[22:23], v[179:180], v[22:23], -v[24:25]
	v_add_f64_e32 v[183:184], v[189:190], v[183:184]
	v_add_f64_e32 v[185:186], v[187:188], v[185:186]
	s_wait_loadcnt_dscnt 0x701
	v_mul_f64_e32 v[187:188], v[2:3], v[28:29]
	v_mul_f64_e32 v[28:29], v[4:5], v[28:29]
	s_delay_alu instid0(VALU_DEP_4) | instskip(NEXT) | instid1(VALU_DEP_4)
	v_add_f64_e32 v[24:25], v[183:184], v[195:196]
	v_add_f64_e32 v[179:180], v[185:186], v[193:194]
	s_wait_loadcnt_dscnt 0x600
	v_mul_f64_e32 v[183:184], v[18:19], v[32:33]
	v_mul_f64_e32 v[32:33], v[20:21], v[32:33]
	v_fma_f64 v[185:186], v[4:5], v[26:27], v[187:188]
	v_fma_f64 v[26:27], v[2:3], v[26:27], -v[28:29]
	v_add_f64_e32 v[28:29], v[24:25], v[22:23]
	v_add_f64_e32 v[179:180], v[179:180], v[181:182]
	ds_load_b128 v[2:5], v1 offset:1952
	ds_load_b128 v[22:25], v1 offset:1968
	v_fma_f64 v[20:21], v[20:21], v[30:31], v[183:184]
	v_fma_f64 v[18:19], v[18:19], v[30:31], -v[32:33]
	s_wait_loadcnt_dscnt 0x501
	v_mul_f64_e32 v[181:182], v[2:3], v[36:37]
	v_mul_f64_e32 v[36:37], v[4:5], v[36:37]
	s_wait_loadcnt_dscnt 0x400
	v_mul_f64_e32 v[30:31], v[22:23], v[40:41]
	v_mul_f64_e32 v[32:33], v[24:25], v[40:41]
	v_add_f64_e32 v[26:27], v[28:29], v[26:27]
	v_add_f64_e32 v[28:29], v[179:180], v[185:186]
	v_fma_f64 v[40:41], v[4:5], v[34:35], v[181:182]
	v_fma_f64 v[34:35], v[2:3], v[34:35], -v[36:37]
	v_fma_f64 v[24:25], v[24:25], v[38:39], v[30:31]
	v_fma_f64 v[22:23], v[22:23], v[38:39], -v[32:33]
	v_add_f64_e32 v[26:27], v[26:27], v[18:19]
	v_add_f64_e32 v[28:29], v[28:29], v[20:21]
	ds_load_b128 v[2:5], v1 offset:1984
	ds_load_b128 v[18:21], v1 offset:2000
	s_wait_loadcnt_dscnt 0x301
	v_mul_f64_e32 v[36:37], v[2:3], v[44:45]
	v_mul_f64_e32 v[44:45], v[4:5], v[44:45]
	s_wait_loadcnt_dscnt 0x200
	v_mul_f64_e32 v[30:31], v[18:19], v[8:9]
	v_mul_f64_e32 v[8:9], v[20:21], v[8:9]
	v_add_f64_e32 v[26:27], v[26:27], v[34:35]
	v_add_f64_e32 v[28:29], v[28:29], v[40:41]
	v_fma_f64 v[32:33], v[4:5], v[42:43], v[36:37]
	v_fma_f64 v[34:35], v[2:3], v[42:43], -v[44:45]
	v_fma_f64 v[20:21], v[20:21], v[6:7], v[30:31]
	v_fma_f64 v[6:7], v[18:19], v[6:7], -v[8:9]
	v_add_f64_e32 v[26:27], v[26:27], v[22:23]
	v_add_f64_e32 v[28:29], v[28:29], v[24:25]
	ds_load_b128 v[2:5], v1 offset:2016
	ds_load_b128 v[22:25], v1 offset:2032
	s_wait_loadcnt_dscnt 0x101
	v_mul_f64_e32 v[36:37], v[2:3], v[12:13]
	v_mul_f64_e32 v[12:13], v[4:5], v[12:13]
	v_add_f64_e32 v[8:9], v[26:27], v[34:35]
	v_add_f64_e32 v[18:19], v[28:29], v[32:33]
	s_wait_loadcnt_dscnt 0x0
	v_mul_f64_e32 v[26:27], v[22:23], v[16:17]
	v_mul_f64_e32 v[16:17], v[24:25], v[16:17]
	v_fma_f64 v[4:5], v[4:5], v[10:11], v[36:37]
	v_fma_f64 v[1:2], v[2:3], v[10:11], -v[12:13]
	v_add_f64_e32 v[6:7], v[8:9], v[6:7]
	v_add_f64_e32 v[8:9], v[18:19], v[20:21]
	v_fma_f64 v[10:11], v[24:25], v[14:15], v[26:27]
	v_fma_f64 v[12:13], v[22:23], v[14:15], -v[16:17]
	s_delay_alu instid0(VALU_DEP_4) | instskip(NEXT) | instid1(VALU_DEP_4)
	v_add_f64_e32 v[1:2], v[6:7], v[1:2]
	v_add_f64_e32 v[3:4], v[8:9], v[4:5]
	s_delay_alu instid0(VALU_DEP_2) | instskip(NEXT) | instid1(VALU_DEP_2)
	v_add_f64_e32 v[1:2], v[1:2], v[12:13]
	v_add_f64_e32 v[3:4], v[3:4], v[10:11]
	s_delay_alu instid0(VALU_DEP_2) | instskip(NEXT) | instid1(VALU_DEP_2)
	v_add_f64_e64 v[1:2], v[175:176], -v[1:2]
	v_add_f64_e64 v[3:4], v[177:178], -v[3:4]
	scratch_store_b128 off, v[1:4], off offset:320
	v_cmpx_lt_u32_e32 18, v0
	s_cbranch_execz .LBB127_373
; %bb.372:
	scratch_load_b128 v[1:4], off, s61
	v_mov_b32_e32 v5, 0
	s_delay_alu instid0(VALU_DEP_1)
	v_dual_mov_b32 v6, v5 :: v_dual_mov_b32 v7, v5
	v_mov_b32_e32 v8, v5
	scratch_store_b128 off, v[5:8], off offset:304
	s_wait_loadcnt 0x0
	ds_store_b128 v174, v[1:4]
.LBB127_373:
	s_wait_alu 0xfffe
	s_or_b32 exec_lo, exec_lo, s0
	s_wait_storecnt_dscnt 0x0
	s_barrier_signal -1
	s_barrier_wait -1
	global_inv scope:SCOPE_SE
	s_clause 0x7
	scratch_load_b128 v[2:5], off, off offset:320
	scratch_load_b128 v[6:9], off, off offset:336
	;; [unrolled: 1-line block ×8, first 2 shown]
	v_mov_b32_e32 v1, 0
	s_mov_b32 s0, exec_lo
	ds_load_b128 v[38:41], v1 offset:1328
	s_clause 0x1
	scratch_load_b128 v[34:37], off, off offset:448
	scratch_load_b128 v[42:45], off, off offset:304
	ds_load_b128 v[175:178], v1 offset:1344
	scratch_load_b128 v[179:182], off, off offset:464
	s_wait_loadcnt_dscnt 0xa01
	v_mul_f64_e32 v[183:184], v[40:41], v[4:5]
	v_mul_f64_e32 v[4:5], v[38:39], v[4:5]
	s_delay_alu instid0(VALU_DEP_2) | instskip(NEXT) | instid1(VALU_DEP_2)
	v_fma_f64 v[189:190], v[38:39], v[2:3], -v[183:184]
	v_fma_f64 v[191:192], v[40:41], v[2:3], v[4:5]
	ds_load_b128 v[2:5], v1 offset:1360
	s_wait_loadcnt_dscnt 0x901
	v_mul_f64_e32 v[187:188], v[175:176], v[8:9]
	v_mul_f64_e32 v[8:9], v[177:178], v[8:9]
	scratch_load_b128 v[38:41], off, off offset:480
	ds_load_b128 v[183:186], v1 offset:1376
	s_wait_loadcnt_dscnt 0x901
	v_mul_f64_e32 v[193:194], v[2:3], v[12:13]
	v_mul_f64_e32 v[12:13], v[4:5], v[12:13]
	v_fma_f64 v[177:178], v[177:178], v[6:7], v[187:188]
	v_fma_f64 v[175:176], v[175:176], v[6:7], -v[8:9]
	v_add_f64_e32 v[187:188], 0, v[189:190]
	v_add_f64_e32 v[189:190], 0, v[191:192]
	scratch_load_b128 v[6:9], off, off offset:496
	v_fma_f64 v[193:194], v[4:5], v[10:11], v[193:194]
	v_fma_f64 v[195:196], v[2:3], v[10:11], -v[12:13]
	ds_load_b128 v[2:5], v1 offset:1392
	s_wait_loadcnt_dscnt 0x901
	v_mul_f64_e32 v[191:192], v[183:184], v[16:17]
	v_mul_f64_e32 v[16:17], v[185:186], v[16:17]
	scratch_load_b128 v[10:13], off, off offset:512
	v_add_f64_e32 v[187:188], v[187:188], v[175:176]
	v_add_f64_e32 v[189:190], v[189:190], v[177:178]
	s_wait_loadcnt_dscnt 0x900
	v_mul_f64_e32 v[197:198], v[2:3], v[20:21]
	v_mul_f64_e32 v[20:21], v[4:5], v[20:21]
	ds_load_b128 v[175:178], v1 offset:1408
	v_fma_f64 v[185:186], v[185:186], v[14:15], v[191:192]
	v_fma_f64 v[183:184], v[183:184], v[14:15], -v[16:17]
	scratch_load_b128 v[14:17], off, off offset:528
	v_add_f64_e32 v[187:188], v[187:188], v[195:196]
	v_add_f64_e32 v[189:190], v[189:190], v[193:194]
	v_fma_f64 v[193:194], v[4:5], v[18:19], v[197:198]
	v_fma_f64 v[195:196], v[2:3], v[18:19], -v[20:21]
	ds_load_b128 v[2:5], v1 offset:1424
	s_wait_loadcnt_dscnt 0x901
	v_mul_f64_e32 v[191:192], v[175:176], v[24:25]
	v_mul_f64_e32 v[24:25], v[177:178], v[24:25]
	scratch_load_b128 v[18:21], off, off offset:544
	s_wait_loadcnt_dscnt 0x900
	v_mul_f64_e32 v[197:198], v[2:3], v[28:29]
	v_mul_f64_e32 v[28:29], v[4:5], v[28:29]
	v_add_f64_e32 v[187:188], v[187:188], v[183:184]
	v_add_f64_e32 v[189:190], v[189:190], v[185:186]
	ds_load_b128 v[183:186], v1 offset:1440
	v_fma_f64 v[177:178], v[177:178], v[22:23], v[191:192]
	v_fma_f64 v[175:176], v[175:176], v[22:23], -v[24:25]
	scratch_load_b128 v[22:25], off, off offset:560
	v_add_f64_e32 v[187:188], v[187:188], v[195:196]
	v_add_f64_e32 v[189:190], v[189:190], v[193:194]
	v_fma_f64 v[193:194], v[4:5], v[26:27], v[197:198]
	v_fma_f64 v[195:196], v[2:3], v[26:27], -v[28:29]
	ds_load_b128 v[2:5], v1 offset:1456
	s_wait_loadcnt_dscnt 0x901
	v_mul_f64_e32 v[191:192], v[183:184], v[32:33]
	v_mul_f64_e32 v[32:33], v[185:186], v[32:33]
	scratch_load_b128 v[26:29], off, off offset:576
	s_wait_loadcnt_dscnt 0x900
	v_mul_f64_e32 v[197:198], v[2:3], v[36:37]
	v_mul_f64_e32 v[36:37], v[4:5], v[36:37]
	v_add_f64_e32 v[187:188], v[187:188], v[175:176]
	v_add_f64_e32 v[189:190], v[189:190], v[177:178]
	ds_load_b128 v[175:178], v1 offset:1472
	v_fma_f64 v[185:186], v[185:186], v[30:31], v[191:192]
	v_fma_f64 v[183:184], v[183:184], v[30:31], -v[32:33]
	scratch_load_b128 v[30:33], off, off offset:592
	v_add_f64_e32 v[187:188], v[187:188], v[195:196]
	v_add_f64_e32 v[189:190], v[189:190], v[193:194]
	v_fma_f64 v[195:196], v[4:5], v[34:35], v[197:198]
	v_fma_f64 v[197:198], v[2:3], v[34:35], -v[36:37]
	ds_load_b128 v[2:5], v1 offset:1488
	s_wait_loadcnt_dscnt 0x801
	v_mul_f64_e32 v[191:192], v[175:176], v[181:182]
	v_mul_f64_e32 v[193:194], v[177:178], v[181:182]
	scratch_load_b128 v[34:37], off, off offset:608
	v_add_f64_e32 v[187:188], v[187:188], v[183:184]
	v_add_f64_e32 v[185:186], v[189:190], v[185:186]
	ds_load_b128 v[181:184], v1 offset:1504
	v_fma_f64 v[191:192], v[177:178], v[179:180], v[191:192]
	v_fma_f64 v[179:180], v[175:176], v[179:180], -v[193:194]
	scratch_load_b128 v[175:178], off, off offset:624
	s_wait_loadcnt_dscnt 0x901
	v_mul_f64_e32 v[189:190], v[2:3], v[40:41]
	v_mul_f64_e32 v[40:41], v[4:5], v[40:41]
	v_add_f64_e32 v[187:188], v[187:188], v[197:198]
	v_add_f64_e32 v[185:186], v[185:186], v[195:196]
	s_delay_alu instid0(VALU_DEP_4) | instskip(NEXT) | instid1(VALU_DEP_4)
	v_fma_f64 v[189:190], v[4:5], v[38:39], v[189:190]
	v_fma_f64 v[195:196], v[2:3], v[38:39], -v[40:41]
	ds_load_b128 v[2:5], v1 offset:1520
	s_wait_loadcnt_dscnt 0x801
	v_mul_f64_e32 v[193:194], v[181:182], v[8:9]
	v_mul_f64_e32 v[8:9], v[183:184], v[8:9]
	scratch_load_b128 v[38:41], off, off offset:640
	s_wait_loadcnt_dscnt 0x800
	v_mul_f64_e32 v[197:198], v[2:3], v[12:13]
	v_add_f64_e32 v[179:180], v[187:188], v[179:180]
	v_add_f64_e32 v[191:192], v[185:186], v[191:192]
	v_mul_f64_e32 v[12:13], v[4:5], v[12:13]
	ds_load_b128 v[185:188], v1 offset:1536
	v_fma_f64 v[183:184], v[183:184], v[6:7], v[193:194]
	v_fma_f64 v[181:182], v[181:182], v[6:7], -v[8:9]
	scratch_load_b128 v[6:9], off, off offset:656
	v_fma_f64 v[193:194], v[4:5], v[10:11], v[197:198]
	v_add_f64_e32 v[179:180], v[179:180], v[195:196]
	v_add_f64_e32 v[189:190], v[191:192], v[189:190]
	v_fma_f64 v[195:196], v[2:3], v[10:11], -v[12:13]
	ds_load_b128 v[2:5], v1 offset:1552
	s_wait_loadcnt_dscnt 0x801
	v_mul_f64_e32 v[191:192], v[185:186], v[16:17]
	v_mul_f64_e32 v[16:17], v[187:188], v[16:17]
	scratch_load_b128 v[10:13], off, off offset:672
	v_add_f64_e32 v[197:198], v[179:180], v[181:182]
	v_add_f64_e32 v[183:184], v[189:190], v[183:184]
	s_wait_loadcnt_dscnt 0x800
	v_mul_f64_e32 v[189:190], v[2:3], v[20:21]
	v_mul_f64_e32 v[20:21], v[4:5], v[20:21]
	v_fma_f64 v[187:188], v[187:188], v[14:15], v[191:192]
	v_fma_f64 v[185:186], v[185:186], v[14:15], -v[16:17]
	ds_load_b128 v[179:182], v1 offset:1568
	scratch_load_b128 v[14:17], off, off offset:688
	v_add_f64_e32 v[191:192], v[197:198], v[195:196]
	v_add_f64_e32 v[183:184], v[183:184], v[193:194]
	v_fma_f64 v[189:190], v[4:5], v[18:19], v[189:190]
	v_fma_f64 v[195:196], v[2:3], v[18:19], -v[20:21]
	ds_load_b128 v[2:5], v1 offset:1584
	s_wait_loadcnt_dscnt 0x801
	v_mul_f64_e32 v[193:194], v[179:180], v[24:25]
	v_mul_f64_e32 v[24:25], v[181:182], v[24:25]
	scratch_load_b128 v[18:21], off, off offset:704
	s_wait_loadcnt_dscnt 0x800
	v_mul_f64_e32 v[197:198], v[2:3], v[28:29]
	v_mul_f64_e32 v[28:29], v[4:5], v[28:29]
	v_add_f64_e32 v[191:192], v[191:192], v[185:186]
	v_add_f64_e32 v[187:188], v[183:184], v[187:188]
	ds_load_b128 v[183:186], v1 offset:1600
	v_fma_f64 v[181:182], v[181:182], v[22:23], v[193:194]
	v_fma_f64 v[179:180], v[179:180], v[22:23], -v[24:25]
	scratch_load_b128 v[22:25], off, off offset:720
	v_fma_f64 v[193:194], v[4:5], v[26:27], v[197:198]
	v_add_f64_e32 v[191:192], v[191:192], v[195:196]
	v_add_f64_e32 v[187:188], v[187:188], v[189:190]
	v_fma_f64 v[195:196], v[2:3], v[26:27], -v[28:29]
	ds_load_b128 v[2:5], v1 offset:1616
	s_wait_loadcnt_dscnt 0x801
	v_mul_f64_e32 v[189:190], v[183:184], v[32:33]
	v_mul_f64_e32 v[32:33], v[185:186], v[32:33]
	scratch_load_b128 v[26:29], off, off offset:736
	s_wait_loadcnt_dscnt 0x800
	v_mul_f64_e32 v[197:198], v[2:3], v[36:37]
	v_mul_f64_e32 v[36:37], v[4:5], v[36:37]
	v_add_f64_e32 v[191:192], v[191:192], v[179:180]
	v_add_f64_e32 v[187:188], v[187:188], v[181:182]
	ds_load_b128 v[179:182], v1 offset:1632
	v_fma_f64 v[185:186], v[185:186], v[30:31], v[189:190]
	v_fma_f64 v[183:184], v[183:184], v[30:31], -v[32:33]
	scratch_load_b128 v[30:33], off, off offset:752
	v_add_f64_e32 v[189:190], v[191:192], v[195:196]
	v_add_f64_e32 v[187:188], v[187:188], v[193:194]
	v_fma_f64 v[193:194], v[4:5], v[34:35], v[197:198]
	v_fma_f64 v[195:196], v[2:3], v[34:35], -v[36:37]
	ds_load_b128 v[2:5], v1 offset:1648
	s_wait_loadcnt_dscnt 0x801
	v_mul_f64_e32 v[191:192], v[179:180], v[177:178]
	v_mul_f64_e32 v[177:178], v[181:182], v[177:178]
	scratch_load_b128 v[34:37], off, off offset:768
	s_wait_loadcnt_dscnt 0x800
	v_mul_f64_e32 v[197:198], v[2:3], v[40:41]
	v_mul_f64_e32 v[40:41], v[4:5], v[40:41]
	v_add_f64_e32 v[189:190], v[189:190], v[183:184]
	v_add_f64_e32 v[187:188], v[187:188], v[185:186]
	ds_load_b128 v[183:186], v1 offset:1664
	v_fma_f64 v[181:182], v[181:182], v[175:176], v[191:192]
	v_fma_f64 v[179:180], v[179:180], v[175:176], -v[177:178]
	scratch_load_b128 v[175:178], off, off offset:784
	v_add_f64_e32 v[189:190], v[189:190], v[195:196]
	v_add_f64_e32 v[187:188], v[187:188], v[193:194]
	v_fma_f64 v[193:194], v[4:5], v[38:39], v[197:198]
	;; [unrolled: 18-line block ×6, first 2 shown]
	v_fma_f64 v[197:198], v[2:3], v[34:35], -v[36:37]
	ds_load_b128 v[2:5], v1 offset:1808
	s_wait_loadcnt_dscnt 0x801
	v_mul_f64_e32 v[191:192], v[183:184], v[177:178]
	v_mul_f64_e32 v[193:194], v[185:186], v[177:178]
	scratch_load_b128 v[34:37], off, off offset:928
	v_add_f64_e32 v[189:190], v[189:190], v[179:180]
	v_add_f64_e32 v[181:182], v[187:188], v[181:182]
	s_wait_loadcnt_dscnt 0x800
	v_mul_f64_e32 v[187:188], v[2:3], v[40:41]
	v_mul_f64_e32 v[40:41], v[4:5], v[40:41]
	ds_load_b128 v[177:180], v1 offset:1824
	v_fma_f64 v[185:186], v[185:186], v[175:176], v[191:192]
	v_fma_f64 v[175:176], v[183:184], v[175:176], -v[193:194]
	v_add_f64_e32 v[189:190], v[189:190], v[197:198]
	v_add_f64_e32 v[191:192], v[181:182], v[195:196]
	scratch_load_b128 v[181:184], off, off offset:944
	v_fma_f64 v[195:196], v[4:5], v[38:39], v[187:188]
	v_fma_f64 v[197:198], v[2:3], v[38:39], -v[40:41]
	ds_load_b128 v[2:5], v1 offset:1840
	s_wait_loadcnt_dscnt 0x801
	v_mul_f64_e32 v[193:194], v[177:178], v[8:9]
	v_mul_f64_e32 v[8:9], v[179:180], v[8:9]
	scratch_load_b128 v[38:41], off, off offset:960
	v_add_f64_e32 v[175:176], v[189:190], v[175:176]
	v_add_f64_e32 v[189:190], v[191:192], v[185:186]
	s_wait_loadcnt_dscnt 0x800
	v_mul_f64_e32 v[191:192], v[2:3], v[12:13]
	v_mul_f64_e32 v[12:13], v[4:5], v[12:13]
	ds_load_b128 v[185:188], v1 offset:1856
	v_fma_f64 v[179:180], v[179:180], v[6:7], v[193:194]
	v_fma_f64 v[177:178], v[177:178], v[6:7], -v[8:9]
	scratch_load_b128 v[6:9], off, off offset:976
	v_add_f64_e32 v[175:176], v[175:176], v[197:198]
	v_add_f64_e32 v[189:190], v[189:190], v[195:196]
	v_fma_f64 v[191:192], v[4:5], v[10:11], v[191:192]
	v_fma_f64 v[195:196], v[2:3], v[10:11], -v[12:13]
	ds_load_b128 v[2:5], v1 offset:1872
	s_wait_loadcnt_dscnt 0x801
	v_mul_f64_e32 v[193:194], v[185:186], v[16:17]
	v_mul_f64_e32 v[16:17], v[187:188], v[16:17]
	scratch_load_b128 v[10:13], off, off offset:992
	v_add_f64_e32 v[197:198], v[175:176], v[177:178]
	v_add_f64_e32 v[179:180], v[189:190], v[179:180]
	s_wait_loadcnt_dscnt 0x800
	v_mul_f64_e32 v[189:190], v[2:3], v[20:21]
	v_mul_f64_e32 v[20:21], v[4:5], v[20:21]
	ds_load_b128 v[175:178], v1 offset:1888
	v_fma_f64 v[187:188], v[187:188], v[14:15], v[193:194]
	v_fma_f64 v[185:186], v[185:186], v[14:15], -v[16:17]
	scratch_load_b128 v[14:17], off, off offset:1008
	v_add_f64_e32 v[193:194], v[197:198], v[195:196]
	v_add_f64_e32 v[179:180], v[179:180], v[191:192]
	v_fma_f64 v[189:190], v[4:5], v[18:19], v[189:190]
	v_fma_f64 v[195:196], v[2:3], v[18:19], -v[20:21]
	ds_load_b128 v[2:5], v1 offset:1904
	s_wait_loadcnt_dscnt 0x801
	v_mul_f64_e32 v[191:192], v[175:176], v[24:25]
	v_mul_f64_e32 v[24:25], v[177:178], v[24:25]
	scratch_load_b128 v[18:21], off, off offset:1024
	s_wait_loadcnt_dscnt 0x800
	v_mul_f64_e32 v[197:198], v[2:3], v[28:29]
	v_mul_f64_e32 v[28:29], v[4:5], v[28:29]
	v_add_f64_e32 v[193:194], v[193:194], v[185:186]
	v_add_f64_e32 v[179:180], v[179:180], v[187:188]
	ds_load_b128 v[185:188], v1 offset:1920
	v_fma_f64 v[177:178], v[177:178], v[22:23], v[191:192]
	v_fma_f64 v[22:23], v[175:176], v[22:23], -v[24:25]
	v_add_f64_e32 v[24:25], v[193:194], v[195:196]
	v_add_f64_e32 v[175:176], v[179:180], v[189:190]
	s_wait_loadcnt_dscnt 0x700
	v_mul_f64_e32 v[179:180], v[185:186], v[32:33]
	v_mul_f64_e32 v[32:33], v[187:188], v[32:33]
	v_fma_f64 v[189:190], v[4:5], v[26:27], v[197:198]
	v_fma_f64 v[26:27], v[2:3], v[26:27], -v[28:29]
	v_add_f64_e32 v[28:29], v[24:25], v[22:23]
	v_add_f64_e32 v[175:176], v[175:176], v[177:178]
	ds_load_b128 v[2:5], v1 offset:1936
	ds_load_b128 v[22:25], v1 offset:1952
	v_fma_f64 v[179:180], v[187:188], v[30:31], v[179:180]
	v_fma_f64 v[30:31], v[185:186], v[30:31], -v[32:33]
	s_wait_loadcnt_dscnt 0x601
	v_mul_f64_e32 v[177:178], v[2:3], v[36:37]
	v_mul_f64_e32 v[36:37], v[4:5], v[36:37]
	v_add_f64_e32 v[26:27], v[28:29], v[26:27]
	v_add_f64_e32 v[28:29], v[175:176], v[189:190]
	s_wait_loadcnt_dscnt 0x500
	v_mul_f64_e32 v[32:33], v[22:23], v[183:184]
	v_mul_f64_e32 v[175:176], v[24:25], v[183:184]
	v_fma_f64 v[177:178], v[4:5], v[34:35], v[177:178]
	v_fma_f64 v[34:35], v[2:3], v[34:35], -v[36:37]
	v_add_f64_e32 v[30:31], v[26:27], v[30:31]
	v_add_f64_e32 v[36:37], v[28:29], v[179:180]
	ds_load_b128 v[2:5], v1 offset:1968
	ds_load_b128 v[26:29], v1 offset:1984
	v_fma_f64 v[24:25], v[24:25], v[181:182], v[32:33]
	v_fma_f64 v[22:23], v[22:23], v[181:182], -v[175:176]
	s_wait_loadcnt_dscnt 0x401
	v_mul_f64_e32 v[179:180], v[2:3], v[40:41]
	v_mul_f64_e32 v[40:41], v[4:5], v[40:41]
	;; [unrolled: 16-line block ×3, first 2 shown]
	v_add_f64_e32 v[8:9], v[30:31], v[38:39]
	v_add_f64_e32 v[26:27], v[32:33], v[36:37]
	s_wait_loadcnt_dscnt 0x100
	v_mul_f64_e32 v[30:31], v[22:23], v[16:17]
	v_mul_f64_e32 v[16:17], v[24:25], v[16:17]
	v_fma_f64 v[32:33], v[4:5], v[10:11], v[40:41]
	v_fma_f64 v[10:11], v[2:3], v[10:11], -v[12:13]
	ds_load_b128 v[2:5], v1 offset:2032
	v_add_f64_e32 v[6:7], v[8:9], v[6:7]
	v_add_f64_e32 v[8:9], v[26:27], v[28:29]
	v_fma_f64 v[24:25], v[24:25], v[14:15], v[30:31]
	v_fma_f64 v[14:15], v[22:23], v[14:15], -v[16:17]
	s_wait_loadcnt_dscnt 0x0
	v_mul_f64_e32 v[12:13], v[2:3], v[20:21]
	v_mul_f64_e32 v[20:21], v[4:5], v[20:21]
	v_add_f64_e32 v[6:7], v[6:7], v[10:11]
	v_add_f64_e32 v[8:9], v[8:9], v[32:33]
	s_delay_alu instid0(VALU_DEP_4) | instskip(NEXT) | instid1(VALU_DEP_4)
	v_fma_f64 v[4:5], v[4:5], v[18:19], v[12:13]
	v_fma_f64 v[2:3], v[2:3], v[18:19], -v[20:21]
	s_delay_alu instid0(VALU_DEP_4) | instskip(NEXT) | instid1(VALU_DEP_4)
	v_add_f64_e32 v[6:7], v[6:7], v[14:15]
	v_add_f64_e32 v[8:9], v[8:9], v[24:25]
	s_delay_alu instid0(VALU_DEP_2) | instskip(NEXT) | instid1(VALU_DEP_2)
	v_add_f64_e32 v[2:3], v[6:7], v[2:3]
	v_add_f64_e32 v[4:5], v[8:9], v[4:5]
	s_delay_alu instid0(VALU_DEP_2) | instskip(NEXT) | instid1(VALU_DEP_2)
	v_add_f64_e64 v[2:3], v[42:43], -v[2:3]
	v_add_f64_e64 v[4:5], v[44:45], -v[4:5]
	scratch_store_b128 off, v[2:5], off offset:304
	v_cmpx_lt_u32_e32 17, v0
	s_cbranch_execz .LBB127_375
; %bb.374:
	scratch_load_b128 v[5:8], off, s62
	v_dual_mov_b32 v2, v1 :: v_dual_mov_b32 v3, v1
	v_mov_b32_e32 v4, v1
	scratch_store_b128 off, v[1:4], off offset:288
	s_wait_loadcnt 0x0
	ds_store_b128 v174, v[5:8]
.LBB127_375:
	s_wait_alu 0xfffe
	s_or_b32 exec_lo, exec_lo, s0
	s_wait_storecnt_dscnt 0x0
	s_barrier_signal -1
	s_barrier_wait -1
	global_inv scope:SCOPE_SE
	s_clause 0x8
	scratch_load_b128 v[2:5], off, off offset:304
	scratch_load_b128 v[6:9], off, off offset:320
	;; [unrolled: 1-line block ×9, first 2 shown]
	ds_load_b128 v[42:45], v1 offset:1312
	ds_load_b128 v[38:41], v1 offset:1328
	s_clause 0x1
	scratch_load_b128 v[175:178], off, off offset:288
	scratch_load_b128 v[179:182], off, off offset:448
	s_mov_b32 s0, exec_lo
	s_wait_loadcnt_dscnt 0xa01
	v_mul_f64_e32 v[183:184], v[44:45], v[4:5]
	v_mul_f64_e32 v[4:5], v[42:43], v[4:5]
	s_wait_loadcnt_dscnt 0x900
	v_mul_f64_e32 v[187:188], v[38:39], v[8:9]
	v_mul_f64_e32 v[8:9], v[40:41], v[8:9]
	s_delay_alu instid0(VALU_DEP_4) | instskip(NEXT) | instid1(VALU_DEP_4)
	v_fma_f64 v[189:190], v[42:43], v[2:3], -v[183:184]
	v_fma_f64 v[191:192], v[44:45], v[2:3], v[4:5]
	ds_load_b128 v[2:5], v1 offset:1344
	ds_load_b128 v[183:186], v1 offset:1360
	scratch_load_b128 v[42:45], off, off offset:464
	v_fma_f64 v[40:41], v[40:41], v[6:7], v[187:188]
	v_fma_f64 v[38:39], v[38:39], v[6:7], -v[8:9]
	scratch_load_b128 v[6:9], off, off offset:480
	s_wait_loadcnt_dscnt 0xa01
	v_mul_f64_e32 v[193:194], v[2:3], v[12:13]
	v_mul_f64_e32 v[12:13], v[4:5], v[12:13]
	v_add_f64_e32 v[187:188], 0, v[189:190]
	v_add_f64_e32 v[189:190], 0, v[191:192]
	s_wait_loadcnt_dscnt 0x900
	v_mul_f64_e32 v[191:192], v[183:184], v[16:17]
	v_mul_f64_e32 v[16:17], v[185:186], v[16:17]
	v_fma_f64 v[193:194], v[4:5], v[10:11], v[193:194]
	v_fma_f64 v[195:196], v[2:3], v[10:11], -v[12:13]
	ds_load_b128 v[2:5], v1 offset:1376
	scratch_load_b128 v[10:13], off, off offset:496
	v_add_f64_e32 v[187:188], v[187:188], v[38:39]
	v_add_f64_e32 v[189:190], v[189:190], v[40:41]
	ds_load_b128 v[38:41], v1 offset:1392
	v_fma_f64 v[185:186], v[185:186], v[14:15], v[191:192]
	v_fma_f64 v[183:184], v[183:184], v[14:15], -v[16:17]
	scratch_load_b128 v[14:17], off, off offset:512
	s_wait_loadcnt_dscnt 0xa01
	v_mul_f64_e32 v[197:198], v[2:3], v[20:21]
	v_mul_f64_e32 v[20:21], v[4:5], v[20:21]
	s_wait_loadcnt_dscnt 0x900
	v_mul_f64_e32 v[191:192], v[38:39], v[24:25]
	v_mul_f64_e32 v[24:25], v[40:41], v[24:25]
	v_add_f64_e32 v[187:188], v[187:188], v[195:196]
	v_add_f64_e32 v[189:190], v[189:190], v[193:194]
	v_fma_f64 v[193:194], v[4:5], v[18:19], v[197:198]
	v_fma_f64 v[195:196], v[2:3], v[18:19], -v[20:21]
	ds_load_b128 v[2:5], v1 offset:1408
	scratch_load_b128 v[18:21], off, off offset:528
	v_fma_f64 v[40:41], v[40:41], v[22:23], v[191:192]
	v_fma_f64 v[38:39], v[38:39], v[22:23], -v[24:25]
	scratch_load_b128 v[22:25], off, off offset:544
	v_add_f64_e32 v[187:188], v[187:188], v[183:184]
	v_add_f64_e32 v[189:190], v[189:190], v[185:186]
	ds_load_b128 v[183:186], v1 offset:1424
	s_wait_loadcnt_dscnt 0xa01
	v_mul_f64_e32 v[197:198], v[2:3], v[28:29]
	v_mul_f64_e32 v[28:29], v[4:5], v[28:29]
	s_wait_loadcnt_dscnt 0x900
	v_mul_f64_e32 v[191:192], v[183:184], v[32:33]
	v_mul_f64_e32 v[32:33], v[185:186], v[32:33]
	v_add_f64_e32 v[187:188], v[187:188], v[195:196]
	v_add_f64_e32 v[189:190], v[189:190], v[193:194]
	v_fma_f64 v[193:194], v[4:5], v[26:27], v[197:198]
	v_fma_f64 v[195:196], v[2:3], v[26:27], -v[28:29]
	ds_load_b128 v[2:5], v1 offset:1440
	scratch_load_b128 v[26:29], off, off offset:560
	v_fma_f64 v[185:186], v[185:186], v[30:31], v[191:192]
	v_fma_f64 v[183:184], v[183:184], v[30:31], -v[32:33]
	scratch_load_b128 v[30:33], off, off offset:576
	v_add_f64_e32 v[187:188], v[187:188], v[38:39]
	v_add_f64_e32 v[189:190], v[189:190], v[40:41]
	ds_load_b128 v[38:41], v1 offset:1456
	s_wait_loadcnt_dscnt 0xa01
	v_mul_f64_e32 v[197:198], v[2:3], v[36:37]
	v_mul_f64_e32 v[36:37], v[4:5], v[36:37]
	s_wait_loadcnt_dscnt 0x800
	v_mul_f64_e32 v[191:192], v[38:39], v[181:182]
	v_add_f64_e32 v[187:188], v[187:188], v[195:196]
	v_add_f64_e32 v[189:190], v[189:190], v[193:194]
	v_mul_f64_e32 v[193:194], v[40:41], v[181:182]
	v_fma_f64 v[195:196], v[4:5], v[34:35], v[197:198]
	v_fma_f64 v[197:198], v[2:3], v[34:35], -v[36:37]
	ds_load_b128 v[2:5], v1 offset:1472
	scratch_load_b128 v[34:37], off, off offset:592
	v_fma_f64 v[191:192], v[40:41], v[179:180], v[191:192]
	v_add_f64_e32 v[187:188], v[187:188], v[183:184]
	v_add_f64_e32 v[185:186], v[189:190], v[185:186]
	ds_load_b128 v[181:184], v1 offset:1488
	v_fma_f64 v[179:180], v[38:39], v[179:180], -v[193:194]
	scratch_load_b128 v[38:41], off, off offset:608
	s_wait_loadcnt_dscnt 0x901
	v_mul_f64_e32 v[189:190], v[2:3], v[44:45]
	v_mul_f64_e32 v[44:45], v[4:5], v[44:45]
	s_wait_loadcnt_dscnt 0x800
	v_mul_f64_e32 v[193:194], v[181:182], v[8:9]
	v_mul_f64_e32 v[8:9], v[183:184], v[8:9]
	v_add_f64_e32 v[187:188], v[187:188], v[197:198]
	v_add_f64_e32 v[185:186], v[185:186], v[195:196]
	v_fma_f64 v[189:190], v[4:5], v[42:43], v[189:190]
	v_fma_f64 v[195:196], v[2:3], v[42:43], -v[44:45]
	ds_load_b128 v[2:5], v1 offset:1504
	scratch_load_b128 v[42:45], off, off offset:624
	v_fma_f64 v[183:184], v[183:184], v[6:7], v[193:194]
	v_fma_f64 v[181:182], v[181:182], v[6:7], -v[8:9]
	scratch_load_b128 v[6:9], off, off offset:640
	v_add_f64_e32 v[179:180], v[187:188], v[179:180]
	v_add_f64_e32 v[191:192], v[185:186], v[191:192]
	ds_load_b128 v[185:188], v1 offset:1520
	s_wait_loadcnt_dscnt 0x901
	v_mul_f64_e32 v[197:198], v[2:3], v[12:13]
	v_mul_f64_e32 v[12:13], v[4:5], v[12:13]
	v_add_f64_e32 v[179:180], v[179:180], v[195:196]
	v_add_f64_e32 v[189:190], v[191:192], v[189:190]
	s_wait_loadcnt_dscnt 0x800
	v_mul_f64_e32 v[191:192], v[185:186], v[16:17]
	v_mul_f64_e32 v[16:17], v[187:188], v[16:17]
	v_fma_f64 v[193:194], v[4:5], v[10:11], v[197:198]
	v_fma_f64 v[195:196], v[2:3], v[10:11], -v[12:13]
	ds_load_b128 v[2:5], v1 offset:1536
	scratch_load_b128 v[10:13], off, off offset:656
	v_add_f64_e32 v[197:198], v[179:180], v[181:182]
	v_add_f64_e32 v[183:184], v[189:190], v[183:184]
	ds_load_b128 v[179:182], v1 offset:1552
	s_wait_loadcnt_dscnt 0x801
	v_mul_f64_e32 v[189:190], v[2:3], v[20:21]
	v_mul_f64_e32 v[20:21], v[4:5], v[20:21]
	v_fma_f64 v[187:188], v[187:188], v[14:15], v[191:192]
	v_fma_f64 v[185:186], v[185:186], v[14:15], -v[16:17]
	scratch_load_b128 v[14:17], off, off offset:672
	v_add_f64_e32 v[191:192], v[197:198], v[195:196]
	v_add_f64_e32 v[183:184], v[183:184], v[193:194]
	s_wait_loadcnt_dscnt 0x800
	v_mul_f64_e32 v[193:194], v[179:180], v[24:25]
	v_mul_f64_e32 v[24:25], v[181:182], v[24:25]
	v_fma_f64 v[189:190], v[4:5], v[18:19], v[189:190]
	v_fma_f64 v[195:196], v[2:3], v[18:19], -v[20:21]
	ds_load_b128 v[2:5], v1 offset:1568
	scratch_load_b128 v[18:21], off, off offset:688
	v_add_f64_e32 v[191:192], v[191:192], v[185:186]
	v_add_f64_e32 v[187:188], v[183:184], v[187:188]
	ds_load_b128 v[183:186], v1 offset:1584
	s_wait_loadcnt_dscnt 0x801
	v_mul_f64_e32 v[197:198], v[2:3], v[28:29]
	v_mul_f64_e32 v[28:29], v[4:5], v[28:29]
	v_fma_f64 v[181:182], v[181:182], v[22:23], v[193:194]
	v_fma_f64 v[179:180], v[179:180], v[22:23], -v[24:25]
	scratch_load_b128 v[22:25], off, off offset:704
	;; [unrolled: 18-line block ×4, first 2 shown]
	s_wait_loadcnt_dscnt 0x800
	v_mul_f64_e32 v[191:192], v[183:184], v[8:9]
	v_mul_f64_e32 v[8:9], v[185:186], v[8:9]
	v_add_f64_e32 v[189:190], v[189:190], v[195:196]
	v_add_f64_e32 v[187:188], v[187:188], v[193:194]
	v_fma_f64 v[193:194], v[4:5], v[42:43], v[197:198]
	v_fma_f64 v[195:196], v[2:3], v[42:43], -v[44:45]
	ds_load_b128 v[2:5], v1 offset:1664
	scratch_load_b128 v[42:45], off, off offset:784
	v_fma_f64 v[185:186], v[185:186], v[6:7], v[191:192]
	v_fma_f64 v[183:184], v[183:184], v[6:7], -v[8:9]
	scratch_load_b128 v[6:9], off, off offset:800
	v_add_f64_e32 v[189:190], v[189:190], v[179:180]
	v_add_f64_e32 v[187:188], v[187:188], v[181:182]
	ds_load_b128 v[179:182], v1 offset:1680
	s_wait_loadcnt_dscnt 0x901
	v_mul_f64_e32 v[197:198], v[2:3], v[12:13]
	v_mul_f64_e32 v[12:13], v[4:5], v[12:13]
	s_wait_loadcnt_dscnt 0x800
	v_mul_f64_e32 v[191:192], v[179:180], v[16:17]
	v_mul_f64_e32 v[16:17], v[181:182], v[16:17]
	v_add_f64_e32 v[189:190], v[189:190], v[195:196]
	v_add_f64_e32 v[187:188], v[187:188], v[193:194]
	v_fma_f64 v[193:194], v[4:5], v[10:11], v[197:198]
	v_fma_f64 v[195:196], v[2:3], v[10:11], -v[12:13]
	ds_load_b128 v[2:5], v1 offset:1696
	scratch_load_b128 v[10:13], off, off offset:816
	v_fma_f64 v[181:182], v[181:182], v[14:15], v[191:192]
	v_fma_f64 v[179:180], v[179:180], v[14:15], -v[16:17]
	scratch_load_b128 v[14:17], off, off offset:832
	v_add_f64_e32 v[189:190], v[189:190], v[183:184]
	v_add_f64_e32 v[187:188], v[187:188], v[185:186]
	ds_load_b128 v[183:186], v1 offset:1712
	s_wait_loadcnt_dscnt 0x901
	v_mul_f64_e32 v[197:198], v[2:3], v[20:21]
	v_mul_f64_e32 v[20:21], v[4:5], v[20:21]
	;; [unrolled: 18-line block ×8, first 2 shown]
	s_wait_loadcnt_dscnt 0x800
	v_mul_f64_e32 v[191:192], v[183:184], v[32:33]
	v_mul_f64_e32 v[32:33], v[185:186], v[32:33]
	v_add_f64_e32 v[189:190], v[189:190], v[195:196]
	v_add_f64_e32 v[187:188], v[187:188], v[193:194]
	v_fma_f64 v[193:194], v[4:5], v[26:27], v[197:198]
	v_fma_f64 v[195:196], v[2:3], v[26:27], -v[28:29]
	ds_load_b128 v[2:5], v1 offset:1920
	ds_load_b128 v[26:29], v1 offset:1936
	v_fma_f64 v[185:186], v[185:186], v[30:31], v[191:192]
	v_fma_f64 v[30:31], v[183:184], v[30:31], -v[32:33]
	v_add_f64_e32 v[179:180], v[189:190], v[179:180]
	v_add_f64_e32 v[181:182], v[187:188], v[181:182]
	s_wait_loadcnt_dscnt 0x701
	v_mul_f64_e32 v[187:188], v[2:3], v[36:37]
	v_mul_f64_e32 v[36:37], v[4:5], v[36:37]
	s_delay_alu instid0(VALU_DEP_4) | instskip(NEXT) | instid1(VALU_DEP_4)
	v_add_f64_e32 v[32:33], v[179:180], v[195:196]
	v_add_f64_e32 v[179:180], v[181:182], v[193:194]
	s_wait_loadcnt_dscnt 0x600
	v_mul_f64_e32 v[181:182], v[26:27], v[40:41]
	v_mul_f64_e32 v[40:41], v[28:29], v[40:41]
	v_fma_f64 v[183:184], v[4:5], v[34:35], v[187:188]
	v_fma_f64 v[34:35], v[2:3], v[34:35], -v[36:37]
	v_add_f64_e32 v[36:37], v[32:33], v[30:31]
	v_add_f64_e32 v[179:180], v[179:180], v[185:186]
	ds_load_b128 v[2:5], v1 offset:1952
	ds_load_b128 v[30:33], v1 offset:1968
	v_fma_f64 v[28:29], v[28:29], v[38:39], v[181:182]
	v_fma_f64 v[26:27], v[26:27], v[38:39], -v[40:41]
	s_wait_loadcnt_dscnt 0x501
	v_mul_f64_e32 v[185:186], v[2:3], v[44:45]
	v_mul_f64_e32 v[44:45], v[4:5], v[44:45]
	s_wait_loadcnt_dscnt 0x400
	v_mul_f64_e32 v[38:39], v[30:31], v[8:9]
	v_mul_f64_e32 v[8:9], v[32:33], v[8:9]
	v_add_f64_e32 v[34:35], v[36:37], v[34:35]
	v_add_f64_e32 v[36:37], v[179:180], v[183:184]
	v_fma_f64 v[40:41], v[4:5], v[42:43], v[185:186]
	v_fma_f64 v[42:43], v[2:3], v[42:43], -v[44:45]
	v_fma_f64 v[32:33], v[32:33], v[6:7], v[38:39]
	v_fma_f64 v[6:7], v[30:31], v[6:7], -v[8:9]
	v_add_f64_e32 v[34:35], v[34:35], v[26:27]
	v_add_f64_e32 v[36:37], v[36:37], v[28:29]
	ds_load_b128 v[2:5], v1 offset:1984
	ds_load_b128 v[26:29], v1 offset:2000
	s_wait_loadcnt_dscnt 0x301
	v_mul_f64_e32 v[44:45], v[2:3], v[12:13]
	v_mul_f64_e32 v[12:13], v[4:5], v[12:13]
	v_add_f64_e32 v[8:9], v[34:35], v[42:43]
	v_add_f64_e32 v[30:31], v[36:37], v[40:41]
	s_wait_loadcnt_dscnt 0x200
	v_mul_f64_e32 v[34:35], v[26:27], v[16:17]
	v_mul_f64_e32 v[16:17], v[28:29], v[16:17]
	v_fma_f64 v[36:37], v[4:5], v[10:11], v[44:45]
	v_fma_f64 v[10:11], v[2:3], v[10:11], -v[12:13]
	v_add_f64_e32 v[12:13], v[8:9], v[6:7]
	v_add_f64_e32 v[30:31], v[30:31], v[32:33]
	ds_load_b128 v[2:5], v1 offset:2016
	ds_load_b128 v[6:9], v1 offset:2032
	v_fma_f64 v[28:29], v[28:29], v[14:15], v[34:35]
	v_fma_f64 v[14:15], v[26:27], v[14:15], -v[16:17]
	s_wait_loadcnt_dscnt 0x101
	v_mul_f64_e32 v[32:33], v[2:3], v[20:21]
	v_mul_f64_e32 v[20:21], v[4:5], v[20:21]
	s_wait_loadcnt_dscnt 0x0
	v_mul_f64_e32 v[16:17], v[6:7], v[24:25]
	v_mul_f64_e32 v[24:25], v[8:9], v[24:25]
	v_add_f64_e32 v[10:11], v[12:13], v[10:11]
	v_add_f64_e32 v[12:13], v[30:31], v[36:37]
	v_fma_f64 v[4:5], v[4:5], v[18:19], v[32:33]
	v_fma_f64 v[1:2], v[2:3], v[18:19], -v[20:21]
	v_fma_f64 v[8:9], v[8:9], v[22:23], v[16:17]
	v_fma_f64 v[6:7], v[6:7], v[22:23], -v[24:25]
	v_add_f64_e32 v[10:11], v[10:11], v[14:15]
	v_add_f64_e32 v[12:13], v[12:13], v[28:29]
	s_delay_alu instid0(VALU_DEP_2) | instskip(NEXT) | instid1(VALU_DEP_2)
	v_add_f64_e32 v[1:2], v[10:11], v[1:2]
	v_add_f64_e32 v[3:4], v[12:13], v[4:5]
	s_delay_alu instid0(VALU_DEP_2) | instskip(NEXT) | instid1(VALU_DEP_2)
	;; [unrolled: 3-line block ×3, first 2 shown]
	v_add_f64_e64 v[1:2], v[175:176], -v[1:2]
	v_add_f64_e64 v[3:4], v[177:178], -v[3:4]
	scratch_store_b128 off, v[1:4], off offset:288
	v_cmpx_lt_u32_e32 16, v0
	s_cbranch_execz .LBB127_377
; %bb.376:
	scratch_load_b128 v[1:4], off, s63
	v_mov_b32_e32 v5, 0
	s_delay_alu instid0(VALU_DEP_1)
	v_dual_mov_b32 v6, v5 :: v_dual_mov_b32 v7, v5
	v_mov_b32_e32 v8, v5
	scratch_store_b128 off, v[5:8], off offset:272
	s_wait_loadcnt 0x0
	ds_store_b128 v174, v[1:4]
.LBB127_377:
	s_wait_alu 0xfffe
	s_or_b32 exec_lo, exec_lo, s0
	s_wait_storecnt_dscnt 0x0
	s_barrier_signal -1
	s_barrier_wait -1
	global_inv scope:SCOPE_SE
	s_clause 0x7
	scratch_load_b128 v[2:5], off, off offset:288
	scratch_load_b128 v[6:9], off, off offset:304
	;; [unrolled: 1-line block ×8, first 2 shown]
	v_mov_b32_e32 v1, 0
	s_mov_b32 s0, exec_lo
	ds_load_b128 v[38:41], v1 offset:1296
	s_clause 0x1
	scratch_load_b128 v[34:37], off, off offset:416
	scratch_load_b128 v[42:45], off, off offset:272
	ds_load_b128 v[175:178], v1 offset:1312
	scratch_load_b128 v[179:182], off, off offset:432
	s_wait_loadcnt_dscnt 0xa01
	v_mul_f64_e32 v[183:184], v[40:41], v[4:5]
	v_mul_f64_e32 v[4:5], v[38:39], v[4:5]
	s_delay_alu instid0(VALU_DEP_2) | instskip(NEXT) | instid1(VALU_DEP_2)
	v_fma_f64 v[189:190], v[38:39], v[2:3], -v[183:184]
	v_fma_f64 v[191:192], v[40:41], v[2:3], v[4:5]
	ds_load_b128 v[2:5], v1 offset:1328
	s_wait_loadcnt_dscnt 0x901
	v_mul_f64_e32 v[187:188], v[175:176], v[8:9]
	v_mul_f64_e32 v[8:9], v[177:178], v[8:9]
	scratch_load_b128 v[38:41], off, off offset:448
	ds_load_b128 v[183:186], v1 offset:1344
	s_wait_loadcnt_dscnt 0x901
	v_mul_f64_e32 v[193:194], v[2:3], v[12:13]
	v_mul_f64_e32 v[12:13], v[4:5], v[12:13]
	v_fma_f64 v[177:178], v[177:178], v[6:7], v[187:188]
	v_fma_f64 v[175:176], v[175:176], v[6:7], -v[8:9]
	v_add_f64_e32 v[187:188], 0, v[189:190]
	v_add_f64_e32 v[189:190], 0, v[191:192]
	scratch_load_b128 v[6:9], off, off offset:464
	v_fma_f64 v[193:194], v[4:5], v[10:11], v[193:194]
	v_fma_f64 v[195:196], v[2:3], v[10:11], -v[12:13]
	ds_load_b128 v[2:5], v1 offset:1360
	s_wait_loadcnt_dscnt 0x901
	v_mul_f64_e32 v[191:192], v[183:184], v[16:17]
	v_mul_f64_e32 v[16:17], v[185:186], v[16:17]
	scratch_load_b128 v[10:13], off, off offset:480
	v_add_f64_e32 v[187:188], v[187:188], v[175:176]
	v_add_f64_e32 v[189:190], v[189:190], v[177:178]
	s_wait_loadcnt_dscnt 0x900
	v_mul_f64_e32 v[197:198], v[2:3], v[20:21]
	v_mul_f64_e32 v[20:21], v[4:5], v[20:21]
	ds_load_b128 v[175:178], v1 offset:1376
	v_fma_f64 v[185:186], v[185:186], v[14:15], v[191:192]
	v_fma_f64 v[183:184], v[183:184], v[14:15], -v[16:17]
	scratch_load_b128 v[14:17], off, off offset:496
	v_add_f64_e32 v[187:188], v[187:188], v[195:196]
	v_add_f64_e32 v[189:190], v[189:190], v[193:194]
	v_fma_f64 v[193:194], v[4:5], v[18:19], v[197:198]
	v_fma_f64 v[195:196], v[2:3], v[18:19], -v[20:21]
	ds_load_b128 v[2:5], v1 offset:1392
	s_wait_loadcnt_dscnt 0x901
	v_mul_f64_e32 v[191:192], v[175:176], v[24:25]
	v_mul_f64_e32 v[24:25], v[177:178], v[24:25]
	scratch_load_b128 v[18:21], off, off offset:512
	s_wait_loadcnt_dscnt 0x900
	v_mul_f64_e32 v[197:198], v[2:3], v[28:29]
	v_mul_f64_e32 v[28:29], v[4:5], v[28:29]
	v_add_f64_e32 v[187:188], v[187:188], v[183:184]
	v_add_f64_e32 v[189:190], v[189:190], v[185:186]
	ds_load_b128 v[183:186], v1 offset:1408
	v_fma_f64 v[177:178], v[177:178], v[22:23], v[191:192]
	v_fma_f64 v[175:176], v[175:176], v[22:23], -v[24:25]
	scratch_load_b128 v[22:25], off, off offset:528
	v_add_f64_e32 v[187:188], v[187:188], v[195:196]
	v_add_f64_e32 v[189:190], v[189:190], v[193:194]
	v_fma_f64 v[193:194], v[4:5], v[26:27], v[197:198]
	v_fma_f64 v[195:196], v[2:3], v[26:27], -v[28:29]
	ds_load_b128 v[2:5], v1 offset:1424
	s_wait_loadcnt_dscnt 0x901
	v_mul_f64_e32 v[191:192], v[183:184], v[32:33]
	v_mul_f64_e32 v[32:33], v[185:186], v[32:33]
	scratch_load_b128 v[26:29], off, off offset:544
	s_wait_loadcnt_dscnt 0x900
	v_mul_f64_e32 v[197:198], v[2:3], v[36:37]
	v_mul_f64_e32 v[36:37], v[4:5], v[36:37]
	v_add_f64_e32 v[187:188], v[187:188], v[175:176]
	v_add_f64_e32 v[189:190], v[189:190], v[177:178]
	ds_load_b128 v[175:178], v1 offset:1440
	v_fma_f64 v[185:186], v[185:186], v[30:31], v[191:192]
	v_fma_f64 v[183:184], v[183:184], v[30:31], -v[32:33]
	scratch_load_b128 v[30:33], off, off offset:560
	v_add_f64_e32 v[187:188], v[187:188], v[195:196]
	v_add_f64_e32 v[189:190], v[189:190], v[193:194]
	v_fma_f64 v[195:196], v[4:5], v[34:35], v[197:198]
	v_fma_f64 v[197:198], v[2:3], v[34:35], -v[36:37]
	ds_load_b128 v[2:5], v1 offset:1456
	s_wait_loadcnt_dscnt 0x801
	v_mul_f64_e32 v[191:192], v[175:176], v[181:182]
	v_mul_f64_e32 v[193:194], v[177:178], v[181:182]
	scratch_load_b128 v[34:37], off, off offset:576
	v_add_f64_e32 v[187:188], v[187:188], v[183:184]
	v_add_f64_e32 v[185:186], v[189:190], v[185:186]
	ds_load_b128 v[181:184], v1 offset:1472
	v_fma_f64 v[191:192], v[177:178], v[179:180], v[191:192]
	v_fma_f64 v[179:180], v[175:176], v[179:180], -v[193:194]
	scratch_load_b128 v[175:178], off, off offset:592
	s_wait_loadcnt_dscnt 0x901
	v_mul_f64_e32 v[189:190], v[2:3], v[40:41]
	v_mul_f64_e32 v[40:41], v[4:5], v[40:41]
	v_add_f64_e32 v[187:188], v[187:188], v[197:198]
	v_add_f64_e32 v[185:186], v[185:186], v[195:196]
	s_delay_alu instid0(VALU_DEP_4) | instskip(NEXT) | instid1(VALU_DEP_4)
	v_fma_f64 v[189:190], v[4:5], v[38:39], v[189:190]
	v_fma_f64 v[195:196], v[2:3], v[38:39], -v[40:41]
	ds_load_b128 v[2:5], v1 offset:1488
	s_wait_loadcnt_dscnt 0x801
	v_mul_f64_e32 v[193:194], v[181:182], v[8:9]
	v_mul_f64_e32 v[8:9], v[183:184], v[8:9]
	scratch_load_b128 v[38:41], off, off offset:608
	s_wait_loadcnt_dscnt 0x800
	v_mul_f64_e32 v[197:198], v[2:3], v[12:13]
	v_add_f64_e32 v[179:180], v[187:188], v[179:180]
	v_add_f64_e32 v[191:192], v[185:186], v[191:192]
	v_mul_f64_e32 v[12:13], v[4:5], v[12:13]
	ds_load_b128 v[185:188], v1 offset:1504
	v_fma_f64 v[183:184], v[183:184], v[6:7], v[193:194]
	v_fma_f64 v[181:182], v[181:182], v[6:7], -v[8:9]
	scratch_load_b128 v[6:9], off, off offset:624
	v_fma_f64 v[193:194], v[4:5], v[10:11], v[197:198]
	v_add_f64_e32 v[179:180], v[179:180], v[195:196]
	v_add_f64_e32 v[189:190], v[191:192], v[189:190]
	v_fma_f64 v[195:196], v[2:3], v[10:11], -v[12:13]
	ds_load_b128 v[2:5], v1 offset:1520
	s_wait_loadcnt_dscnt 0x801
	v_mul_f64_e32 v[191:192], v[185:186], v[16:17]
	v_mul_f64_e32 v[16:17], v[187:188], v[16:17]
	scratch_load_b128 v[10:13], off, off offset:640
	v_add_f64_e32 v[197:198], v[179:180], v[181:182]
	v_add_f64_e32 v[183:184], v[189:190], v[183:184]
	s_wait_loadcnt_dscnt 0x800
	v_mul_f64_e32 v[189:190], v[2:3], v[20:21]
	v_mul_f64_e32 v[20:21], v[4:5], v[20:21]
	v_fma_f64 v[187:188], v[187:188], v[14:15], v[191:192]
	v_fma_f64 v[185:186], v[185:186], v[14:15], -v[16:17]
	ds_load_b128 v[179:182], v1 offset:1536
	scratch_load_b128 v[14:17], off, off offset:656
	v_add_f64_e32 v[191:192], v[197:198], v[195:196]
	v_add_f64_e32 v[183:184], v[183:184], v[193:194]
	v_fma_f64 v[189:190], v[4:5], v[18:19], v[189:190]
	v_fma_f64 v[195:196], v[2:3], v[18:19], -v[20:21]
	ds_load_b128 v[2:5], v1 offset:1552
	s_wait_loadcnt_dscnt 0x801
	v_mul_f64_e32 v[193:194], v[179:180], v[24:25]
	v_mul_f64_e32 v[24:25], v[181:182], v[24:25]
	scratch_load_b128 v[18:21], off, off offset:672
	s_wait_loadcnt_dscnt 0x800
	v_mul_f64_e32 v[197:198], v[2:3], v[28:29]
	v_mul_f64_e32 v[28:29], v[4:5], v[28:29]
	v_add_f64_e32 v[191:192], v[191:192], v[185:186]
	v_add_f64_e32 v[187:188], v[183:184], v[187:188]
	ds_load_b128 v[183:186], v1 offset:1568
	v_fma_f64 v[181:182], v[181:182], v[22:23], v[193:194]
	v_fma_f64 v[179:180], v[179:180], v[22:23], -v[24:25]
	scratch_load_b128 v[22:25], off, off offset:688
	v_fma_f64 v[193:194], v[4:5], v[26:27], v[197:198]
	v_add_f64_e32 v[191:192], v[191:192], v[195:196]
	v_add_f64_e32 v[187:188], v[187:188], v[189:190]
	v_fma_f64 v[195:196], v[2:3], v[26:27], -v[28:29]
	ds_load_b128 v[2:5], v1 offset:1584
	s_wait_loadcnt_dscnt 0x801
	v_mul_f64_e32 v[189:190], v[183:184], v[32:33]
	v_mul_f64_e32 v[32:33], v[185:186], v[32:33]
	scratch_load_b128 v[26:29], off, off offset:704
	s_wait_loadcnt_dscnt 0x800
	v_mul_f64_e32 v[197:198], v[2:3], v[36:37]
	v_mul_f64_e32 v[36:37], v[4:5], v[36:37]
	v_add_f64_e32 v[191:192], v[191:192], v[179:180]
	v_add_f64_e32 v[187:188], v[187:188], v[181:182]
	ds_load_b128 v[179:182], v1 offset:1600
	v_fma_f64 v[185:186], v[185:186], v[30:31], v[189:190]
	v_fma_f64 v[183:184], v[183:184], v[30:31], -v[32:33]
	scratch_load_b128 v[30:33], off, off offset:720
	v_add_f64_e32 v[189:190], v[191:192], v[195:196]
	v_add_f64_e32 v[187:188], v[187:188], v[193:194]
	v_fma_f64 v[193:194], v[4:5], v[34:35], v[197:198]
	v_fma_f64 v[195:196], v[2:3], v[34:35], -v[36:37]
	ds_load_b128 v[2:5], v1 offset:1616
	s_wait_loadcnt_dscnt 0x801
	v_mul_f64_e32 v[191:192], v[179:180], v[177:178]
	v_mul_f64_e32 v[177:178], v[181:182], v[177:178]
	scratch_load_b128 v[34:37], off, off offset:736
	s_wait_loadcnt_dscnt 0x800
	v_mul_f64_e32 v[197:198], v[2:3], v[40:41]
	v_mul_f64_e32 v[40:41], v[4:5], v[40:41]
	v_add_f64_e32 v[189:190], v[189:190], v[183:184]
	v_add_f64_e32 v[187:188], v[187:188], v[185:186]
	ds_load_b128 v[183:186], v1 offset:1632
	v_fma_f64 v[181:182], v[181:182], v[175:176], v[191:192]
	v_fma_f64 v[179:180], v[179:180], v[175:176], -v[177:178]
	scratch_load_b128 v[175:178], off, off offset:752
	v_add_f64_e32 v[189:190], v[189:190], v[195:196]
	v_add_f64_e32 v[187:188], v[187:188], v[193:194]
	v_fma_f64 v[193:194], v[4:5], v[38:39], v[197:198]
	;; [unrolled: 18-line block ×6, first 2 shown]
	v_fma_f64 v[197:198], v[2:3], v[34:35], -v[36:37]
	ds_load_b128 v[2:5], v1 offset:1776
	s_wait_loadcnt_dscnt 0x801
	v_mul_f64_e32 v[191:192], v[183:184], v[177:178]
	v_mul_f64_e32 v[193:194], v[185:186], v[177:178]
	scratch_load_b128 v[34:37], off, off offset:896
	v_add_f64_e32 v[189:190], v[189:190], v[179:180]
	v_add_f64_e32 v[181:182], v[187:188], v[181:182]
	s_wait_loadcnt_dscnt 0x800
	v_mul_f64_e32 v[187:188], v[2:3], v[40:41]
	v_mul_f64_e32 v[40:41], v[4:5], v[40:41]
	ds_load_b128 v[177:180], v1 offset:1792
	v_fma_f64 v[185:186], v[185:186], v[175:176], v[191:192]
	v_fma_f64 v[175:176], v[183:184], v[175:176], -v[193:194]
	v_add_f64_e32 v[189:190], v[189:190], v[197:198]
	v_add_f64_e32 v[191:192], v[181:182], v[195:196]
	scratch_load_b128 v[181:184], off, off offset:912
	v_fma_f64 v[195:196], v[4:5], v[38:39], v[187:188]
	v_fma_f64 v[197:198], v[2:3], v[38:39], -v[40:41]
	ds_load_b128 v[2:5], v1 offset:1808
	s_wait_loadcnt_dscnt 0x801
	v_mul_f64_e32 v[193:194], v[177:178], v[8:9]
	v_mul_f64_e32 v[8:9], v[179:180], v[8:9]
	scratch_load_b128 v[38:41], off, off offset:928
	v_add_f64_e32 v[175:176], v[189:190], v[175:176]
	v_add_f64_e32 v[189:190], v[191:192], v[185:186]
	s_wait_loadcnt_dscnt 0x800
	v_mul_f64_e32 v[191:192], v[2:3], v[12:13]
	v_mul_f64_e32 v[12:13], v[4:5], v[12:13]
	ds_load_b128 v[185:188], v1 offset:1824
	v_fma_f64 v[179:180], v[179:180], v[6:7], v[193:194]
	v_fma_f64 v[177:178], v[177:178], v[6:7], -v[8:9]
	scratch_load_b128 v[6:9], off, off offset:944
	v_add_f64_e32 v[175:176], v[175:176], v[197:198]
	v_add_f64_e32 v[189:190], v[189:190], v[195:196]
	v_fma_f64 v[191:192], v[4:5], v[10:11], v[191:192]
	v_fma_f64 v[195:196], v[2:3], v[10:11], -v[12:13]
	ds_load_b128 v[2:5], v1 offset:1840
	s_wait_loadcnt_dscnt 0x801
	v_mul_f64_e32 v[193:194], v[185:186], v[16:17]
	v_mul_f64_e32 v[16:17], v[187:188], v[16:17]
	scratch_load_b128 v[10:13], off, off offset:960
	v_add_f64_e32 v[197:198], v[175:176], v[177:178]
	v_add_f64_e32 v[179:180], v[189:190], v[179:180]
	s_wait_loadcnt_dscnt 0x800
	v_mul_f64_e32 v[189:190], v[2:3], v[20:21]
	v_mul_f64_e32 v[20:21], v[4:5], v[20:21]
	ds_load_b128 v[175:178], v1 offset:1856
	v_fma_f64 v[187:188], v[187:188], v[14:15], v[193:194]
	v_fma_f64 v[185:186], v[185:186], v[14:15], -v[16:17]
	scratch_load_b128 v[14:17], off, off offset:976
	v_add_f64_e32 v[193:194], v[197:198], v[195:196]
	v_add_f64_e32 v[179:180], v[179:180], v[191:192]
	v_fma_f64 v[189:190], v[4:5], v[18:19], v[189:190]
	v_fma_f64 v[195:196], v[2:3], v[18:19], -v[20:21]
	ds_load_b128 v[2:5], v1 offset:1872
	s_wait_loadcnt_dscnt 0x801
	v_mul_f64_e32 v[191:192], v[175:176], v[24:25]
	v_mul_f64_e32 v[24:25], v[177:178], v[24:25]
	scratch_load_b128 v[18:21], off, off offset:992
	s_wait_loadcnt_dscnt 0x800
	v_mul_f64_e32 v[197:198], v[2:3], v[28:29]
	v_mul_f64_e32 v[28:29], v[4:5], v[28:29]
	v_add_f64_e32 v[193:194], v[193:194], v[185:186]
	v_add_f64_e32 v[179:180], v[179:180], v[187:188]
	ds_load_b128 v[185:188], v1 offset:1888
	v_fma_f64 v[177:178], v[177:178], v[22:23], v[191:192]
	v_fma_f64 v[175:176], v[175:176], v[22:23], -v[24:25]
	scratch_load_b128 v[22:25], off, off offset:1008
	v_add_f64_e32 v[191:192], v[193:194], v[195:196]
	v_add_f64_e32 v[179:180], v[179:180], v[189:190]
	v_fma_f64 v[193:194], v[4:5], v[26:27], v[197:198]
	v_fma_f64 v[195:196], v[2:3], v[26:27], -v[28:29]
	ds_load_b128 v[2:5], v1 offset:1904
	s_wait_loadcnt_dscnt 0x801
	v_mul_f64_e32 v[189:190], v[185:186], v[32:33]
	v_mul_f64_e32 v[32:33], v[187:188], v[32:33]
	scratch_load_b128 v[26:29], off, off offset:1024
	s_wait_loadcnt_dscnt 0x800
	v_mul_f64_e32 v[197:198], v[2:3], v[36:37]
	v_mul_f64_e32 v[36:37], v[4:5], v[36:37]
	v_add_f64_e32 v[191:192], v[191:192], v[175:176]
	v_add_f64_e32 v[179:180], v[179:180], v[177:178]
	ds_load_b128 v[175:178], v1 offset:1920
	v_fma_f64 v[187:188], v[187:188], v[30:31], v[189:190]
	v_fma_f64 v[30:31], v[185:186], v[30:31], -v[32:33]
	v_fma_f64 v[189:190], v[4:5], v[34:35], v[197:198]
	v_fma_f64 v[34:35], v[2:3], v[34:35], -v[36:37]
	v_add_f64_e32 v[32:33], v[191:192], v[195:196]
	v_add_f64_e32 v[179:180], v[179:180], v[193:194]
	s_wait_loadcnt_dscnt 0x700
	v_mul_f64_e32 v[185:186], v[175:176], v[183:184]
	v_mul_f64_e32 v[183:184], v[177:178], v[183:184]
	s_delay_alu instid0(VALU_DEP_4) | instskip(NEXT) | instid1(VALU_DEP_4)
	v_add_f64_e32 v[36:37], v[32:33], v[30:31]
	v_add_f64_e32 v[179:180], v[179:180], v[187:188]
	ds_load_b128 v[2:5], v1 offset:1936
	ds_load_b128 v[30:33], v1 offset:1952
	v_fma_f64 v[177:178], v[177:178], v[181:182], v[185:186]
	v_fma_f64 v[175:176], v[175:176], v[181:182], -v[183:184]
	s_wait_loadcnt_dscnt 0x601
	v_mul_f64_e32 v[187:188], v[2:3], v[40:41]
	v_mul_f64_e32 v[40:41], v[4:5], v[40:41]
	v_add_f64_e32 v[34:35], v[36:37], v[34:35]
	v_add_f64_e32 v[36:37], v[179:180], v[189:190]
	s_wait_loadcnt_dscnt 0x500
	v_mul_f64_e32 v[179:180], v[30:31], v[8:9]
	v_mul_f64_e32 v[8:9], v[32:33], v[8:9]
	v_fma_f64 v[181:182], v[4:5], v[38:39], v[187:188]
	v_fma_f64 v[38:39], v[2:3], v[38:39], -v[40:41]
	v_add_f64_e32 v[40:41], v[34:35], v[175:176]
	v_add_f64_e32 v[175:176], v[36:37], v[177:178]
	ds_load_b128 v[2:5], v1 offset:1968
	ds_load_b128 v[34:37], v1 offset:1984
	v_fma_f64 v[32:33], v[32:33], v[6:7], v[179:180]
	v_fma_f64 v[6:7], v[30:31], v[6:7], -v[8:9]
	s_wait_loadcnt_dscnt 0x401
	v_mul_f64_e32 v[177:178], v[2:3], v[12:13]
	v_mul_f64_e32 v[12:13], v[4:5], v[12:13]
	v_add_f64_e32 v[8:9], v[40:41], v[38:39]
	v_add_f64_e32 v[30:31], v[175:176], v[181:182]
	s_wait_loadcnt_dscnt 0x300
	v_mul_f64_e32 v[38:39], v[34:35], v[16:17]
	v_mul_f64_e32 v[16:17], v[36:37], v[16:17]
	v_fma_f64 v[40:41], v[4:5], v[10:11], v[177:178]
	v_fma_f64 v[10:11], v[2:3], v[10:11], -v[12:13]
	v_add_f64_e32 v[12:13], v[8:9], v[6:7]
	v_add_f64_e32 v[30:31], v[30:31], v[32:33]
	ds_load_b128 v[2:5], v1 offset:2000
	ds_load_b128 v[6:9], v1 offset:2016
	v_fma_f64 v[36:37], v[36:37], v[14:15], v[38:39]
	v_fma_f64 v[14:15], v[34:35], v[14:15], -v[16:17]
	s_wait_loadcnt_dscnt 0x201
	v_mul_f64_e32 v[32:33], v[2:3], v[20:21]
	v_mul_f64_e32 v[20:21], v[4:5], v[20:21]
	s_wait_loadcnt_dscnt 0x100
	v_mul_f64_e32 v[16:17], v[6:7], v[24:25]
	v_mul_f64_e32 v[24:25], v[8:9], v[24:25]
	v_add_f64_e32 v[10:11], v[12:13], v[10:11]
	v_add_f64_e32 v[12:13], v[30:31], v[40:41]
	v_fma_f64 v[30:31], v[4:5], v[18:19], v[32:33]
	v_fma_f64 v[18:19], v[2:3], v[18:19], -v[20:21]
	ds_load_b128 v[2:5], v1 offset:2032
	v_fma_f64 v[8:9], v[8:9], v[22:23], v[16:17]
	v_fma_f64 v[6:7], v[6:7], v[22:23], -v[24:25]
	v_add_f64_e32 v[10:11], v[10:11], v[14:15]
	v_add_f64_e32 v[12:13], v[12:13], v[36:37]
	s_wait_loadcnt_dscnt 0x0
	v_mul_f64_e32 v[14:15], v[2:3], v[28:29]
	v_mul_f64_e32 v[20:21], v[4:5], v[28:29]
	s_delay_alu instid0(VALU_DEP_4) | instskip(NEXT) | instid1(VALU_DEP_4)
	v_add_f64_e32 v[10:11], v[10:11], v[18:19]
	v_add_f64_e32 v[12:13], v[12:13], v[30:31]
	s_delay_alu instid0(VALU_DEP_4) | instskip(NEXT) | instid1(VALU_DEP_4)
	v_fma_f64 v[4:5], v[4:5], v[26:27], v[14:15]
	v_fma_f64 v[2:3], v[2:3], v[26:27], -v[20:21]
	s_delay_alu instid0(VALU_DEP_4) | instskip(NEXT) | instid1(VALU_DEP_4)
	v_add_f64_e32 v[6:7], v[10:11], v[6:7]
	v_add_f64_e32 v[8:9], v[12:13], v[8:9]
	s_delay_alu instid0(VALU_DEP_2) | instskip(NEXT) | instid1(VALU_DEP_2)
	v_add_f64_e32 v[2:3], v[6:7], v[2:3]
	v_add_f64_e32 v[4:5], v[8:9], v[4:5]
	s_delay_alu instid0(VALU_DEP_2) | instskip(NEXT) | instid1(VALU_DEP_2)
	v_add_f64_e64 v[2:3], v[42:43], -v[2:3]
	v_add_f64_e64 v[4:5], v[44:45], -v[4:5]
	scratch_store_b128 off, v[2:5], off offset:272
	v_cmpx_lt_u32_e32 15, v0
	s_cbranch_execz .LBB127_379
; %bb.378:
	scratch_load_b128 v[5:8], off, s64
	v_dual_mov_b32 v2, v1 :: v_dual_mov_b32 v3, v1
	v_mov_b32_e32 v4, v1
	scratch_store_b128 off, v[1:4], off offset:256
	s_wait_loadcnt 0x0
	ds_store_b128 v174, v[5:8]
.LBB127_379:
	s_wait_alu 0xfffe
	s_or_b32 exec_lo, exec_lo, s0
	s_wait_storecnt_dscnt 0x0
	s_barrier_signal -1
	s_barrier_wait -1
	global_inv scope:SCOPE_SE
	s_clause 0x8
	scratch_load_b128 v[2:5], off, off offset:272
	scratch_load_b128 v[6:9], off, off offset:288
	;; [unrolled: 1-line block ×9, first 2 shown]
	ds_load_b128 v[42:45], v1 offset:1280
	ds_load_b128 v[38:41], v1 offset:1296
	s_clause 0x1
	scratch_load_b128 v[175:178], off, off offset:256
	scratch_load_b128 v[179:182], off, off offset:416
	s_mov_b32 s0, exec_lo
	s_wait_loadcnt_dscnt 0xa01
	v_mul_f64_e32 v[183:184], v[44:45], v[4:5]
	v_mul_f64_e32 v[4:5], v[42:43], v[4:5]
	s_wait_loadcnt_dscnt 0x900
	v_mul_f64_e32 v[187:188], v[38:39], v[8:9]
	v_mul_f64_e32 v[8:9], v[40:41], v[8:9]
	s_delay_alu instid0(VALU_DEP_4) | instskip(NEXT) | instid1(VALU_DEP_4)
	v_fma_f64 v[189:190], v[42:43], v[2:3], -v[183:184]
	v_fma_f64 v[191:192], v[44:45], v[2:3], v[4:5]
	ds_load_b128 v[2:5], v1 offset:1312
	ds_load_b128 v[183:186], v1 offset:1328
	scratch_load_b128 v[42:45], off, off offset:432
	v_fma_f64 v[40:41], v[40:41], v[6:7], v[187:188]
	v_fma_f64 v[38:39], v[38:39], v[6:7], -v[8:9]
	scratch_load_b128 v[6:9], off, off offset:448
	s_wait_loadcnt_dscnt 0xa01
	v_mul_f64_e32 v[193:194], v[2:3], v[12:13]
	v_mul_f64_e32 v[12:13], v[4:5], v[12:13]
	v_add_f64_e32 v[187:188], 0, v[189:190]
	v_add_f64_e32 v[189:190], 0, v[191:192]
	s_wait_loadcnt_dscnt 0x900
	v_mul_f64_e32 v[191:192], v[183:184], v[16:17]
	v_mul_f64_e32 v[16:17], v[185:186], v[16:17]
	v_fma_f64 v[193:194], v[4:5], v[10:11], v[193:194]
	v_fma_f64 v[195:196], v[2:3], v[10:11], -v[12:13]
	ds_load_b128 v[2:5], v1 offset:1344
	scratch_load_b128 v[10:13], off, off offset:464
	v_add_f64_e32 v[187:188], v[187:188], v[38:39]
	v_add_f64_e32 v[189:190], v[189:190], v[40:41]
	ds_load_b128 v[38:41], v1 offset:1360
	v_fma_f64 v[185:186], v[185:186], v[14:15], v[191:192]
	v_fma_f64 v[183:184], v[183:184], v[14:15], -v[16:17]
	scratch_load_b128 v[14:17], off, off offset:480
	s_wait_loadcnt_dscnt 0xa01
	v_mul_f64_e32 v[197:198], v[2:3], v[20:21]
	v_mul_f64_e32 v[20:21], v[4:5], v[20:21]
	s_wait_loadcnt_dscnt 0x900
	v_mul_f64_e32 v[191:192], v[38:39], v[24:25]
	v_mul_f64_e32 v[24:25], v[40:41], v[24:25]
	v_add_f64_e32 v[187:188], v[187:188], v[195:196]
	v_add_f64_e32 v[189:190], v[189:190], v[193:194]
	v_fma_f64 v[193:194], v[4:5], v[18:19], v[197:198]
	v_fma_f64 v[195:196], v[2:3], v[18:19], -v[20:21]
	ds_load_b128 v[2:5], v1 offset:1376
	scratch_load_b128 v[18:21], off, off offset:496
	v_fma_f64 v[40:41], v[40:41], v[22:23], v[191:192]
	v_fma_f64 v[38:39], v[38:39], v[22:23], -v[24:25]
	scratch_load_b128 v[22:25], off, off offset:512
	v_add_f64_e32 v[187:188], v[187:188], v[183:184]
	v_add_f64_e32 v[189:190], v[189:190], v[185:186]
	ds_load_b128 v[183:186], v1 offset:1392
	s_wait_loadcnt_dscnt 0xa01
	v_mul_f64_e32 v[197:198], v[2:3], v[28:29]
	v_mul_f64_e32 v[28:29], v[4:5], v[28:29]
	s_wait_loadcnt_dscnt 0x900
	v_mul_f64_e32 v[191:192], v[183:184], v[32:33]
	v_mul_f64_e32 v[32:33], v[185:186], v[32:33]
	v_add_f64_e32 v[187:188], v[187:188], v[195:196]
	v_add_f64_e32 v[189:190], v[189:190], v[193:194]
	v_fma_f64 v[193:194], v[4:5], v[26:27], v[197:198]
	v_fma_f64 v[195:196], v[2:3], v[26:27], -v[28:29]
	ds_load_b128 v[2:5], v1 offset:1408
	scratch_load_b128 v[26:29], off, off offset:528
	v_fma_f64 v[185:186], v[185:186], v[30:31], v[191:192]
	v_fma_f64 v[183:184], v[183:184], v[30:31], -v[32:33]
	scratch_load_b128 v[30:33], off, off offset:544
	v_add_f64_e32 v[187:188], v[187:188], v[38:39]
	v_add_f64_e32 v[189:190], v[189:190], v[40:41]
	ds_load_b128 v[38:41], v1 offset:1424
	s_wait_loadcnt_dscnt 0xa01
	v_mul_f64_e32 v[197:198], v[2:3], v[36:37]
	v_mul_f64_e32 v[36:37], v[4:5], v[36:37]
	s_wait_loadcnt_dscnt 0x800
	v_mul_f64_e32 v[191:192], v[38:39], v[181:182]
	v_add_f64_e32 v[187:188], v[187:188], v[195:196]
	v_add_f64_e32 v[189:190], v[189:190], v[193:194]
	v_mul_f64_e32 v[193:194], v[40:41], v[181:182]
	v_fma_f64 v[195:196], v[4:5], v[34:35], v[197:198]
	v_fma_f64 v[197:198], v[2:3], v[34:35], -v[36:37]
	ds_load_b128 v[2:5], v1 offset:1440
	scratch_load_b128 v[34:37], off, off offset:560
	v_fma_f64 v[191:192], v[40:41], v[179:180], v[191:192]
	v_add_f64_e32 v[187:188], v[187:188], v[183:184]
	v_add_f64_e32 v[185:186], v[189:190], v[185:186]
	ds_load_b128 v[181:184], v1 offset:1456
	v_fma_f64 v[179:180], v[38:39], v[179:180], -v[193:194]
	scratch_load_b128 v[38:41], off, off offset:576
	s_wait_loadcnt_dscnt 0x901
	v_mul_f64_e32 v[189:190], v[2:3], v[44:45]
	v_mul_f64_e32 v[44:45], v[4:5], v[44:45]
	s_wait_loadcnt_dscnt 0x800
	v_mul_f64_e32 v[193:194], v[181:182], v[8:9]
	v_mul_f64_e32 v[8:9], v[183:184], v[8:9]
	v_add_f64_e32 v[187:188], v[187:188], v[197:198]
	v_add_f64_e32 v[185:186], v[185:186], v[195:196]
	v_fma_f64 v[189:190], v[4:5], v[42:43], v[189:190]
	v_fma_f64 v[195:196], v[2:3], v[42:43], -v[44:45]
	ds_load_b128 v[2:5], v1 offset:1472
	scratch_load_b128 v[42:45], off, off offset:592
	v_fma_f64 v[183:184], v[183:184], v[6:7], v[193:194]
	v_fma_f64 v[181:182], v[181:182], v[6:7], -v[8:9]
	scratch_load_b128 v[6:9], off, off offset:608
	v_add_f64_e32 v[179:180], v[187:188], v[179:180]
	v_add_f64_e32 v[191:192], v[185:186], v[191:192]
	ds_load_b128 v[185:188], v1 offset:1488
	s_wait_loadcnt_dscnt 0x901
	v_mul_f64_e32 v[197:198], v[2:3], v[12:13]
	v_mul_f64_e32 v[12:13], v[4:5], v[12:13]
	v_add_f64_e32 v[179:180], v[179:180], v[195:196]
	v_add_f64_e32 v[189:190], v[191:192], v[189:190]
	s_wait_loadcnt_dscnt 0x800
	v_mul_f64_e32 v[191:192], v[185:186], v[16:17]
	v_mul_f64_e32 v[16:17], v[187:188], v[16:17]
	v_fma_f64 v[193:194], v[4:5], v[10:11], v[197:198]
	v_fma_f64 v[195:196], v[2:3], v[10:11], -v[12:13]
	ds_load_b128 v[2:5], v1 offset:1504
	scratch_load_b128 v[10:13], off, off offset:624
	v_add_f64_e32 v[197:198], v[179:180], v[181:182]
	v_add_f64_e32 v[183:184], v[189:190], v[183:184]
	ds_load_b128 v[179:182], v1 offset:1520
	s_wait_loadcnt_dscnt 0x801
	v_mul_f64_e32 v[189:190], v[2:3], v[20:21]
	v_mul_f64_e32 v[20:21], v[4:5], v[20:21]
	v_fma_f64 v[187:188], v[187:188], v[14:15], v[191:192]
	v_fma_f64 v[185:186], v[185:186], v[14:15], -v[16:17]
	scratch_load_b128 v[14:17], off, off offset:640
	v_add_f64_e32 v[191:192], v[197:198], v[195:196]
	v_add_f64_e32 v[183:184], v[183:184], v[193:194]
	s_wait_loadcnt_dscnt 0x800
	v_mul_f64_e32 v[193:194], v[179:180], v[24:25]
	v_mul_f64_e32 v[24:25], v[181:182], v[24:25]
	v_fma_f64 v[189:190], v[4:5], v[18:19], v[189:190]
	v_fma_f64 v[195:196], v[2:3], v[18:19], -v[20:21]
	ds_load_b128 v[2:5], v1 offset:1536
	scratch_load_b128 v[18:21], off, off offset:656
	v_add_f64_e32 v[191:192], v[191:192], v[185:186]
	v_add_f64_e32 v[187:188], v[183:184], v[187:188]
	ds_load_b128 v[183:186], v1 offset:1552
	s_wait_loadcnt_dscnt 0x801
	v_mul_f64_e32 v[197:198], v[2:3], v[28:29]
	v_mul_f64_e32 v[28:29], v[4:5], v[28:29]
	v_fma_f64 v[181:182], v[181:182], v[22:23], v[193:194]
	v_fma_f64 v[179:180], v[179:180], v[22:23], -v[24:25]
	scratch_load_b128 v[22:25], off, off offset:672
	;; [unrolled: 18-line block ×4, first 2 shown]
	s_wait_loadcnt_dscnt 0x800
	v_mul_f64_e32 v[191:192], v[183:184], v[8:9]
	v_mul_f64_e32 v[8:9], v[185:186], v[8:9]
	v_add_f64_e32 v[189:190], v[189:190], v[195:196]
	v_add_f64_e32 v[187:188], v[187:188], v[193:194]
	v_fma_f64 v[193:194], v[4:5], v[42:43], v[197:198]
	v_fma_f64 v[195:196], v[2:3], v[42:43], -v[44:45]
	ds_load_b128 v[2:5], v1 offset:1632
	scratch_load_b128 v[42:45], off, off offset:752
	v_fma_f64 v[185:186], v[185:186], v[6:7], v[191:192]
	v_fma_f64 v[183:184], v[183:184], v[6:7], -v[8:9]
	scratch_load_b128 v[6:9], off, off offset:768
	v_add_f64_e32 v[189:190], v[189:190], v[179:180]
	v_add_f64_e32 v[187:188], v[187:188], v[181:182]
	ds_load_b128 v[179:182], v1 offset:1648
	s_wait_loadcnt_dscnt 0x901
	v_mul_f64_e32 v[197:198], v[2:3], v[12:13]
	v_mul_f64_e32 v[12:13], v[4:5], v[12:13]
	s_wait_loadcnt_dscnt 0x800
	v_mul_f64_e32 v[191:192], v[179:180], v[16:17]
	v_mul_f64_e32 v[16:17], v[181:182], v[16:17]
	v_add_f64_e32 v[189:190], v[189:190], v[195:196]
	v_add_f64_e32 v[187:188], v[187:188], v[193:194]
	v_fma_f64 v[193:194], v[4:5], v[10:11], v[197:198]
	v_fma_f64 v[195:196], v[2:3], v[10:11], -v[12:13]
	ds_load_b128 v[2:5], v1 offset:1664
	scratch_load_b128 v[10:13], off, off offset:784
	v_fma_f64 v[181:182], v[181:182], v[14:15], v[191:192]
	v_fma_f64 v[179:180], v[179:180], v[14:15], -v[16:17]
	scratch_load_b128 v[14:17], off, off offset:800
	v_add_f64_e32 v[189:190], v[189:190], v[183:184]
	v_add_f64_e32 v[187:188], v[187:188], v[185:186]
	ds_load_b128 v[183:186], v1 offset:1680
	s_wait_loadcnt_dscnt 0x901
	v_mul_f64_e32 v[197:198], v[2:3], v[20:21]
	v_mul_f64_e32 v[20:21], v[4:5], v[20:21]
	;; [unrolled: 18-line block ×9, first 2 shown]
	s_wait_loadcnt_dscnt 0x800
	v_mul_f64_e32 v[191:192], v[179:180], v[40:41]
	v_mul_f64_e32 v[40:41], v[181:182], v[40:41]
	v_add_f64_e32 v[189:190], v[189:190], v[195:196]
	v_add_f64_e32 v[187:188], v[187:188], v[193:194]
	v_fma_f64 v[193:194], v[4:5], v[34:35], v[197:198]
	v_fma_f64 v[195:196], v[2:3], v[34:35], -v[36:37]
	ds_load_b128 v[2:5], v1 offset:1920
	ds_load_b128 v[34:37], v1 offset:1936
	v_fma_f64 v[181:182], v[181:182], v[38:39], v[191:192]
	v_fma_f64 v[38:39], v[179:180], v[38:39], -v[40:41]
	v_add_f64_e32 v[183:184], v[189:190], v[183:184]
	v_add_f64_e32 v[185:186], v[187:188], v[185:186]
	s_wait_loadcnt_dscnt 0x701
	v_mul_f64_e32 v[187:188], v[2:3], v[44:45]
	v_mul_f64_e32 v[44:45], v[4:5], v[44:45]
	s_delay_alu instid0(VALU_DEP_4) | instskip(NEXT) | instid1(VALU_DEP_4)
	v_add_f64_e32 v[40:41], v[183:184], v[195:196]
	v_add_f64_e32 v[179:180], v[185:186], v[193:194]
	s_wait_loadcnt_dscnt 0x600
	v_mul_f64_e32 v[183:184], v[34:35], v[8:9]
	v_mul_f64_e32 v[8:9], v[36:37], v[8:9]
	v_fma_f64 v[185:186], v[4:5], v[42:43], v[187:188]
	v_fma_f64 v[42:43], v[2:3], v[42:43], -v[44:45]
	v_add_f64_e32 v[44:45], v[40:41], v[38:39]
	v_add_f64_e32 v[179:180], v[179:180], v[181:182]
	ds_load_b128 v[2:5], v1 offset:1952
	ds_load_b128 v[38:41], v1 offset:1968
	v_fma_f64 v[36:37], v[36:37], v[6:7], v[183:184]
	v_fma_f64 v[6:7], v[34:35], v[6:7], -v[8:9]
	s_wait_loadcnt_dscnt 0x501
	v_mul_f64_e32 v[181:182], v[2:3], v[12:13]
	v_mul_f64_e32 v[12:13], v[4:5], v[12:13]
	v_add_f64_e32 v[8:9], v[44:45], v[42:43]
	v_add_f64_e32 v[34:35], v[179:180], v[185:186]
	s_wait_loadcnt_dscnt 0x400
	v_mul_f64_e32 v[42:43], v[38:39], v[16:17]
	v_mul_f64_e32 v[16:17], v[40:41], v[16:17]
	v_fma_f64 v[44:45], v[4:5], v[10:11], v[181:182]
	v_fma_f64 v[10:11], v[2:3], v[10:11], -v[12:13]
	v_add_f64_e32 v[12:13], v[8:9], v[6:7]
	v_add_f64_e32 v[34:35], v[34:35], v[36:37]
	ds_load_b128 v[2:5], v1 offset:1984
	ds_load_b128 v[6:9], v1 offset:2000
	v_fma_f64 v[40:41], v[40:41], v[14:15], v[42:43]
	v_fma_f64 v[14:15], v[38:39], v[14:15], -v[16:17]
	s_wait_loadcnt_dscnt 0x301
	v_mul_f64_e32 v[36:37], v[2:3], v[20:21]
	v_mul_f64_e32 v[20:21], v[4:5], v[20:21]
	s_wait_loadcnt_dscnt 0x200
	v_mul_f64_e32 v[16:17], v[6:7], v[24:25]
	v_mul_f64_e32 v[24:25], v[8:9], v[24:25]
	v_add_f64_e32 v[10:11], v[12:13], v[10:11]
	v_add_f64_e32 v[12:13], v[34:35], v[44:45]
	v_fma_f64 v[34:35], v[4:5], v[18:19], v[36:37]
	v_fma_f64 v[18:19], v[2:3], v[18:19], -v[20:21]
	v_fma_f64 v[8:9], v[8:9], v[22:23], v[16:17]
	v_fma_f64 v[6:7], v[6:7], v[22:23], -v[24:25]
	v_add_f64_e32 v[14:15], v[10:11], v[14:15]
	v_add_f64_e32 v[20:21], v[12:13], v[40:41]
	ds_load_b128 v[2:5], v1 offset:2016
	ds_load_b128 v[10:13], v1 offset:2032
	s_wait_loadcnt_dscnt 0x101
	v_mul_f64_e32 v[36:37], v[2:3], v[28:29]
	v_mul_f64_e32 v[28:29], v[4:5], v[28:29]
	v_add_f64_e32 v[14:15], v[14:15], v[18:19]
	v_add_f64_e32 v[16:17], v[20:21], v[34:35]
	s_wait_loadcnt_dscnt 0x0
	v_mul_f64_e32 v[18:19], v[10:11], v[32:33]
	v_mul_f64_e32 v[20:21], v[12:13], v[32:33]
	v_fma_f64 v[4:5], v[4:5], v[26:27], v[36:37]
	v_fma_f64 v[1:2], v[2:3], v[26:27], -v[28:29]
	v_add_f64_e32 v[6:7], v[14:15], v[6:7]
	v_add_f64_e32 v[8:9], v[16:17], v[8:9]
	v_fma_f64 v[12:13], v[12:13], v[30:31], v[18:19]
	v_fma_f64 v[10:11], v[10:11], v[30:31], -v[20:21]
	s_delay_alu instid0(VALU_DEP_4) | instskip(NEXT) | instid1(VALU_DEP_4)
	v_add_f64_e32 v[1:2], v[6:7], v[1:2]
	v_add_f64_e32 v[3:4], v[8:9], v[4:5]
	s_delay_alu instid0(VALU_DEP_2) | instskip(NEXT) | instid1(VALU_DEP_2)
	v_add_f64_e32 v[1:2], v[1:2], v[10:11]
	v_add_f64_e32 v[3:4], v[3:4], v[12:13]
	s_delay_alu instid0(VALU_DEP_2) | instskip(NEXT) | instid1(VALU_DEP_2)
	v_add_f64_e64 v[1:2], v[175:176], -v[1:2]
	v_add_f64_e64 v[3:4], v[177:178], -v[3:4]
	scratch_store_b128 off, v[1:4], off offset:256
	v_cmpx_lt_u32_e32 14, v0
	s_cbranch_execz .LBB127_381
; %bb.380:
	scratch_load_b128 v[1:4], off, s65
	v_mov_b32_e32 v5, 0
	s_delay_alu instid0(VALU_DEP_1)
	v_dual_mov_b32 v6, v5 :: v_dual_mov_b32 v7, v5
	v_mov_b32_e32 v8, v5
	scratch_store_b128 off, v[5:8], off offset:240
	s_wait_loadcnt 0x0
	ds_store_b128 v174, v[1:4]
.LBB127_381:
	s_wait_alu 0xfffe
	s_or_b32 exec_lo, exec_lo, s0
	s_wait_storecnt_dscnt 0x0
	s_barrier_signal -1
	s_barrier_wait -1
	global_inv scope:SCOPE_SE
	s_clause 0x7
	scratch_load_b128 v[2:5], off, off offset:256
	scratch_load_b128 v[6:9], off, off offset:272
	;; [unrolled: 1-line block ×8, first 2 shown]
	v_mov_b32_e32 v1, 0
	s_mov_b32 s0, exec_lo
	ds_load_b128 v[38:41], v1 offset:1264
	s_clause 0x1
	scratch_load_b128 v[34:37], off, off offset:384
	scratch_load_b128 v[42:45], off, off offset:240
	ds_load_b128 v[175:178], v1 offset:1280
	scratch_load_b128 v[179:182], off, off offset:400
	s_wait_loadcnt_dscnt 0xa01
	v_mul_f64_e32 v[183:184], v[40:41], v[4:5]
	v_mul_f64_e32 v[4:5], v[38:39], v[4:5]
	s_delay_alu instid0(VALU_DEP_2) | instskip(NEXT) | instid1(VALU_DEP_2)
	v_fma_f64 v[189:190], v[38:39], v[2:3], -v[183:184]
	v_fma_f64 v[191:192], v[40:41], v[2:3], v[4:5]
	ds_load_b128 v[2:5], v1 offset:1296
	s_wait_loadcnt_dscnt 0x901
	v_mul_f64_e32 v[187:188], v[175:176], v[8:9]
	v_mul_f64_e32 v[8:9], v[177:178], v[8:9]
	scratch_load_b128 v[38:41], off, off offset:416
	ds_load_b128 v[183:186], v1 offset:1312
	s_wait_loadcnt_dscnt 0x901
	v_mul_f64_e32 v[193:194], v[2:3], v[12:13]
	v_mul_f64_e32 v[12:13], v[4:5], v[12:13]
	v_fma_f64 v[177:178], v[177:178], v[6:7], v[187:188]
	v_fma_f64 v[175:176], v[175:176], v[6:7], -v[8:9]
	v_add_f64_e32 v[187:188], 0, v[189:190]
	v_add_f64_e32 v[189:190], 0, v[191:192]
	scratch_load_b128 v[6:9], off, off offset:432
	v_fma_f64 v[193:194], v[4:5], v[10:11], v[193:194]
	v_fma_f64 v[195:196], v[2:3], v[10:11], -v[12:13]
	ds_load_b128 v[2:5], v1 offset:1328
	s_wait_loadcnt_dscnt 0x901
	v_mul_f64_e32 v[191:192], v[183:184], v[16:17]
	v_mul_f64_e32 v[16:17], v[185:186], v[16:17]
	scratch_load_b128 v[10:13], off, off offset:448
	v_add_f64_e32 v[187:188], v[187:188], v[175:176]
	v_add_f64_e32 v[189:190], v[189:190], v[177:178]
	s_wait_loadcnt_dscnt 0x900
	v_mul_f64_e32 v[197:198], v[2:3], v[20:21]
	v_mul_f64_e32 v[20:21], v[4:5], v[20:21]
	ds_load_b128 v[175:178], v1 offset:1344
	v_fma_f64 v[185:186], v[185:186], v[14:15], v[191:192]
	v_fma_f64 v[183:184], v[183:184], v[14:15], -v[16:17]
	scratch_load_b128 v[14:17], off, off offset:464
	v_add_f64_e32 v[187:188], v[187:188], v[195:196]
	v_add_f64_e32 v[189:190], v[189:190], v[193:194]
	v_fma_f64 v[193:194], v[4:5], v[18:19], v[197:198]
	v_fma_f64 v[195:196], v[2:3], v[18:19], -v[20:21]
	ds_load_b128 v[2:5], v1 offset:1360
	s_wait_loadcnt_dscnt 0x901
	v_mul_f64_e32 v[191:192], v[175:176], v[24:25]
	v_mul_f64_e32 v[24:25], v[177:178], v[24:25]
	scratch_load_b128 v[18:21], off, off offset:480
	s_wait_loadcnt_dscnt 0x900
	v_mul_f64_e32 v[197:198], v[2:3], v[28:29]
	v_mul_f64_e32 v[28:29], v[4:5], v[28:29]
	v_add_f64_e32 v[187:188], v[187:188], v[183:184]
	v_add_f64_e32 v[189:190], v[189:190], v[185:186]
	ds_load_b128 v[183:186], v1 offset:1376
	v_fma_f64 v[177:178], v[177:178], v[22:23], v[191:192]
	v_fma_f64 v[175:176], v[175:176], v[22:23], -v[24:25]
	scratch_load_b128 v[22:25], off, off offset:496
	v_add_f64_e32 v[187:188], v[187:188], v[195:196]
	v_add_f64_e32 v[189:190], v[189:190], v[193:194]
	v_fma_f64 v[193:194], v[4:5], v[26:27], v[197:198]
	v_fma_f64 v[195:196], v[2:3], v[26:27], -v[28:29]
	ds_load_b128 v[2:5], v1 offset:1392
	s_wait_loadcnt_dscnt 0x901
	v_mul_f64_e32 v[191:192], v[183:184], v[32:33]
	v_mul_f64_e32 v[32:33], v[185:186], v[32:33]
	scratch_load_b128 v[26:29], off, off offset:512
	s_wait_loadcnt_dscnt 0x900
	v_mul_f64_e32 v[197:198], v[2:3], v[36:37]
	v_mul_f64_e32 v[36:37], v[4:5], v[36:37]
	v_add_f64_e32 v[187:188], v[187:188], v[175:176]
	v_add_f64_e32 v[189:190], v[189:190], v[177:178]
	ds_load_b128 v[175:178], v1 offset:1408
	v_fma_f64 v[185:186], v[185:186], v[30:31], v[191:192]
	v_fma_f64 v[183:184], v[183:184], v[30:31], -v[32:33]
	scratch_load_b128 v[30:33], off, off offset:528
	v_add_f64_e32 v[187:188], v[187:188], v[195:196]
	v_add_f64_e32 v[189:190], v[189:190], v[193:194]
	v_fma_f64 v[195:196], v[4:5], v[34:35], v[197:198]
	v_fma_f64 v[197:198], v[2:3], v[34:35], -v[36:37]
	ds_load_b128 v[2:5], v1 offset:1424
	s_wait_loadcnt_dscnt 0x801
	v_mul_f64_e32 v[191:192], v[175:176], v[181:182]
	v_mul_f64_e32 v[193:194], v[177:178], v[181:182]
	scratch_load_b128 v[34:37], off, off offset:544
	v_add_f64_e32 v[187:188], v[187:188], v[183:184]
	v_add_f64_e32 v[185:186], v[189:190], v[185:186]
	ds_load_b128 v[181:184], v1 offset:1440
	v_fma_f64 v[191:192], v[177:178], v[179:180], v[191:192]
	v_fma_f64 v[179:180], v[175:176], v[179:180], -v[193:194]
	scratch_load_b128 v[175:178], off, off offset:560
	s_wait_loadcnt_dscnt 0x901
	v_mul_f64_e32 v[189:190], v[2:3], v[40:41]
	v_mul_f64_e32 v[40:41], v[4:5], v[40:41]
	v_add_f64_e32 v[187:188], v[187:188], v[197:198]
	v_add_f64_e32 v[185:186], v[185:186], v[195:196]
	s_delay_alu instid0(VALU_DEP_4) | instskip(NEXT) | instid1(VALU_DEP_4)
	v_fma_f64 v[189:190], v[4:5], v[38:39], v[189:190]
	v_fma_f64 v[195:196], v[2:3], v[38:39], -v[40:41]
	ds_load_b128 v[2:5], v1 offset:1456
	s_wait_loadcnt_dscnt 0x801
	v_mul_f64_e32 v[193:194], v[181:182], v[8:9]
	v_mul_f64_e32 v[8:9], v[183:184], v[8:9]
	scratch_load_b128 v[38:41], off, off offset:576
	s_wait_loadcnt_dscnt 0x800
	v_mul_f64_e32 v[197:198], v[2:3], v[12:13]
	v_add_f64_e32 v[179:180], v[187:188], v[179:180]
	v_add_f64_e32 v[191:192], v[185:186], v[191:192]
	v_mul_f64_e32 v[12:13], v[4:5], v[12:13]
	ds_load_b128 v[185:188], v1 offset:1472
	v_fma_f64 v[183:184], v[183:184], v[6:7], v[193:194]
	v_fma_f64 v[181:182], v[181:182], v[6:7], -v[8:9]
	scratch_load_b128 v[6:9], off, off offset:592
	v_fma_f64 v[193:194], v[4:5], v[10:11], v[197:198]
	v_add_f64_e32 v[179:180], v[179:180], v[195:196]
	v_add_f64_e32 v[189:190], v[191:192], v[189:190]
	v_fma_f64 v[195:196], v[2:3], v[10:11], -v[12:13]
	ds_load_b128 v[2:5], v1 offset:1488
	s_wait_loadcnt_dscnt 0x801
	v_mul_f64_e32 v[191:192], v[185:186], v[16:17]
	v_mul_f64_e32 v[16:17], v[187:188], v[16:17]
	scratch_load_b128 v[10:13], off, off offset:608
	v_add_f64_e32 v[197:198], v[179:180], v[181:182]
	v_add_f64_e32 v[183:184], v[189:190], v[183:184]
	s_wait_loadcnt_dscnt 0x800
	v_mul_f64_e32 v[189:190], v[2:3], v[20:21]
	v_mul_f64_e32 v[20:21], v[4:5], v[20:21]
	v_fma_f64 v[187:188], v[187:188], v[14:15], v[191:192]
	v_fma_f64 v[185:186], v[185:186], v[14:15], -v[16:17]
	ds_load_b128 v[179:182], v1 offset:1504
	scratch_load_b128 v[14:17], off, off offset:624
	v_add_f64_e32 v[191:192], v[197:198], v[195:196]
	v_add_f64_e32 v[183:184], v[183:184], v[193:194]
	v_fma_f64 v[189:190], v[4:5], v[18:19], v[189:190]
	v_fma_f64 v[195:196], v[2:3], v[18:19], -v[20:21]
	ds_load_b128 v[2:5], v1 offset:1520
	s_wait_loadcnt_dscnt 0x801
	v_mul_f64_e32 v[193:194], v[179:180], v[24:25]
	v_mul_f64_e32 v[24:25], v[181:182], v[24:25]
	scratch_load_b128 v[18:21], off, off offset:640
	s_wait_loadcnt_dscnt 0x800
	v_mul_f64_e32 v[197:198], v[2:3], v[28:29]
	v_mul_f64_e32 v[28:29], v[4:5], v[28:29]
	v_add_f64_e32 v[191:192], v[191:192], v[185:186]
	v_add_f64_e32 v[187:188], v[183:184], v[187:188]
	ds_load_b128 v[183:186], v1 offset:1536
	v_fma_f64 v[181:182], v[181:182], v[22:23], v[193:194]
	v_fma_f64 v[179:180], v[179:180], v[22:23], -v[24:25]
	scratch_load_b128 v[22:25], off, off offset:656
	v_fma_f64 v[193:194], v[4:5], v[26:27], v[197:198]
	v_add_f64_e32 v[191:192], v[191:192], v[195:196]
	v_add_f64_e32 v[187:188], v[187:188], v[189:190]
	v_fma_f64 v[195:196], v[2:3], v[26:27], -v[28:29]
	ds_load_b128 v[2:5], v1 offset:1552
	s_wait_loadcnt_dscnt 0x801
	v_mul_f64_e32 v[189:190], v[183:184], v[32:33]
	v_mul_f64_e32 v[32:33], v[185:186], v[32:33]
	scratch_load_b128 v[26:29], off, off offset:672
	s_wait_loadcnt_dscnt 0x800
	v_mul_f64_e32 v[197:198], v[2:3], v[36:37]
	v_mul_f64_e32 v[36:37], v[4:5], v[36:37]
	v_add_f64_e32 v[191:192], v[191:192], v[179:180]
	v_add_f64_e32 v[187:188], v[187:188], v[181:182]
	ds_load_b128 v[179:182], v1 offset:1568
	v_fma_f64 v[185:186], v[185:186], v[30:31], v[189:190]
	v_fma_f64 v[183:184], v[183:184], v[30:31], -v[32:33]
	scratch_load_b128 v[30:33], off, off offset:688
	v_add_f64_e32 v[189:190], v[191:192], v[195:196]
	v_add_f64_e32 v[187:188], v[187:188], v[193:194]
	v_fma_f64 v[193:194], v[4:5], v[34:35], v[197:198]
	v_fma_f64 v[195:196], v[2:3], v[34:35], -v[36:37]
	ds_load_b128 v[2:5], v1 offset:1584
	s_wait_loadcnt_dscnt 0x801
	v_mul_f64_e32 v[191:192], v[179:180], v[177:178]
	v_mul_f64_e32 v[177:178], v[181:182], v[177:178]
	scratch_load_b128 v[34:37], off, off offset:704
	s_wait_loadcnt_dscnt 0x800
	v_mul_f64_e32 v[197:198], v[2:3], v[40:41]
	v_mul_f64_e32 v[40:41], v[4:5], v[40:41]
	v_add_f64_e32 v[189:190], v[189:190], v[183:184]
	v_add_f64_e32 v[187:188], v[187:188], v[185:186]
	ds_load_b128 v[183:186], v1 offset:1600
	v_fma_f64 v[181:182], v[181:182], v[175:176], v[191:192]
	v_fma_f64 v[179:180], v[179:180], v[175:176], -v[177:178]
	scratch_load_b128 v[175:178], off, off offset:720
	v_add_f64_e32 v[189:190], v[189:190], v[195:196]
	v_add_f64_e32 v[187:188], v[187:188], v[193:194]
	v_fma_f64 v[193:194], v[4:5], v[38:39], v[197:198]
	;; [unrolled: 18-line block ×6, first 2 shown]
	v_fma_f64 v[197:198], v[2:3], v[34:35], -v[36:37]
	ds_load_b128 v[2:5], v1 offset:1744
	s_wait_loadcnt_dscnt 0x801
	v_mul_f64_e32 v[191:192], v[183:184], v[177:178]
	v_mul_f64_e32 v[193:194], v[185:186], v[177:178]
	scratch_load_b128 v[34:37], off, off offset:864
	v_add_f64_e32 v[189:190], v[189:190], v[179:180]
	v_add_f64_e32 v[181:182], v[187:188], v[181:182]
	s_wait_loadcnt_dscnt 0x800
	v_mul_f64_e32 v[187:188], v[2:3], v[40:41]
	v_mul_f64_e32 v[40:41], v[4:5], v[40:41]
	ds_load_b128 v[177:180], v1 offset:1760
	v_fma_f64 v[185:186], v[185:186], v[175:176], v[191:192]
	v_fma_f64 v[175:176], v[183:184], v[175:176], -v[193:194]
	v_add_f64_e32 v[189:190], v[189:190], v[197:198]
	v_add_f64_e32 v[191:192], v[181:182], v[195:196]
	scratch_load_b128 v[181:184], off, off offset:880
	v_fma_f64 v[195:196], v[4:5], v[38:39], v[187:188]
	v_fma_f64 v[197:198], v[2:3], v[38:39], -v[40:41]
	ds_load_b128 v[2:5], v1 offset:1776
	s_wait_loadcnt_dscnt 0x801
	v_mul_f64_e32 v[193:194], v[177:178], v[8:9]
	v_mul_f64_e32 v[8:9], v[179:180], v[8:9]
	scratch_load_b128 v[38:41], off, off offset:896
	v_add_f64_e32 v[175:176], v[189:190], v[175:176]
	v_add_f64_e32 v[189:190], v[191:192], v[185:186]
	s_wait_loadcnt_dscnt 0x800
	v_mul_f64_e32 v[191:192], v[2:3], v[12:13]
	v_mul_f64_e32 v[12:13], v[4:5], v[12:13]
	ds_load_b128 v[185:188], v1 offset:1792
	v_fma_f64 v[179:180], v[179:180], v[6:7], v[193:194]
	v_fma_f64 v[177:178], v[177:178], v[6:7], -v[8:9]
	scratch_load_b128 v[6:9], off, off offset:912
	v_add_f64_e32 v[175:176], v[175:176], v[197:198]
	v_add_f64_e32 v[189:190], v[189:190], v[195:196]
	v_fma_f64 v[191:192], v[4:5], v[10:11], v[191:192]
	v_fma_f64 v[195:196], v[2:3], v[10:11], -v[12:13]
	ds_load_b128 v[2:5], v1 offset:1808
	s_wait_loadcnt_dscnt 0x801
	v_mul_f64_e32 v[193:194], v[185:186], v[16:17]
	v_mul_f64_e32 v[16:17], v[187:188], v[16:17]
	scratch_load_b128 v[10:13], off, off offset:928
	v_add_f64_e32 v[197:198], v[175:176], v[177:178]
	v_add_f64_e32 v[179:180], v[189:190], v[179:180]
	s_wait_loadcnt_dscnt 0x800
	v_mul_f64_e32 v[189:190], v[2:3], v[20:21]
	v_mul_f64_e32 v[20:21], v[4:5], v[20:21]
	ds_load_b128 v[175:178], v1 offset:1824
	v_fma_f64 v[187:188], v[187:188], v[14:15], v[193:194]
	v_fma_f64 v[185:186], v[185:186], v[14:15], -v[16:17]
	scratch_load_b128 v[14:17], off, off offset:944
	v_add_f64_e32 v[193:194], v[197:198], v[195:196]
	v_add_f64_e32 v[179:180], v[179:180], v[191:192]
	v_fma_f64 v[189:190], v[4:5], v[18:19], v[189:190]
	v_fma_f64 v[195:196], v[2:3], v[18:19], -v[20:21]
	ds_load_b128 v[2:5], v1 offset:1840
	s_wait_loadcnt_dscnt 0x801
	v_mul_f64_e32 v[191:192], v[175:176], v[24:25]
	v_mul_f64_e32 v[24:25], v[177:178], v[24:25]
	scratch_load_b128 v[18:21], off, off offset:960
	s_wait_loadcnt_dscnt 0x800
	v_mul_f64_e32 v[197:198], v[2:3], v[28:29]
	v_mul_f64_e32 v[28:29], v[4:5], v[28:29]
	v_add_f64_e32 v[193:194], v[193:194], v[185:186]
	v_add_f64_e32 v[179:180], v[179:180], v[187:188]
	ds_load_b128 v[185:188], v1 offset:1856
	v_fma_f64 v[177:178], v[177:178], v[22:23], v[191:192]
	v_fma_f64 v[175:176], v[175:176], v[22:23], -v[24:25]
	scratch_load_b128 v[22:25], off, off offset:976
	v_add_f64_e32 v[191:192], v[193:194], v[195:196]
	v_add_f64_e32 v[179:180], v[179:180], v[189:190]
	v_fma_f64 v[193:194], v[4:5], v[26:27], v[197:198]
	v_fma_f64 v[195:196], v[2:3], v[26:27], -v[28:29]
	ds_load_b128 v[2:5], v1 offset:1872
	s_wait_loadcnt_dscnt 0x801
	v_mul_f64_e32 v[189:190], v[185:186], v[32:33]
	v_mul_f64_e32 v[32:33], v[187:188], v[32:33]
	scratch_load_b128 v[26:29], off, off offset:992
	s_wait_loadcnt_dscnt 0x800
	v_mul_f64_e32 v[197:198], v[2:3], v[36:37]
	v_mul_f64_e32 v[36:37], v[4:5], v[36:37]
	v_add_f64_e32 v[191:192], v[191:192], v[175:176]
	v_add_f64_e32 v[179:180], v[179:180], v[177:178]
	ds_load_b128 v[175:178], v1 offset:1888
	v_fma_f64 v[187:188], v[187:188], v[30:31], v[189:190]
	v_fma_f64 v[185:186], v[185:186], v[30:31], -v[32:33]
	scratch_load_b128 v[30:33], off, off offset:1008
	v_add_f64_e32 v[189:190], v[191:192], v[195:196]
	v_add_f64_e32 v[179:180], v[179:180], v[193:194]
	v_fma_f64 v[195:196], v[4:5], v[34:35], v[197:198]
	v_fma_f64 v[197:198], v[2:3], v[34:35], -v[36:37]
	ds_load_b128 v[2:5], v1 offset:1904
	scratch_load_b128 v[34:37], off, off offset:1024
	s_wait_loadcnt_dscnt 0x901
	v_mul_f64_e32 v[191:192], v[175:176], v[183:184]
	v_mul_f64_e32 v[193:194], v[177:178], v[183:184]
	v_add_f64_e32 v[189:190], v[189:190], v[185:186]
	v_add_f64_e32 v[179:180], v[179:180], v[187:188]
	s_wait_loadcnt_dscnt 0x800
	v_mul_f64_e32 v[187:188], v[2:3], v[40:41]
	v_mul_f64_e32 v[40:41], v[4:5], v[40:41]
	ds_load_b128 v[183:186], v1 offset:1920
	v_fma_f64 v[177:178], v[177:178], v[181:182], v[191:192]
	v_fma_f64 v[175:176], v[175:176], v[181:182], -v[193:194]
	v_add_f64_e32 v[181:182], v[189:190], v[197:198]
	v_add_f64_e32 v[179:180], v[179:180], v[195:196]
	s_wait_loadcnt_dscnt 0x700
	v_mul_f64_e32 v[189:190], v[183:184], v[8:9]
	v_mul_f64_e32 v[8:9], v[185:186], v[8:9]
	v_fma_f64 v[187:188], v[4:5], v[38:39], v[187:188]
	v_fma_f64 v[191:192], v[2:3], v[38:39], -v[40:41]
	ds_load_b128 v[2:5], v1 offset:1936
	ds_load_b128 v[38:41], v1 offset:1952
	v_add_f64_e32 v[175:176], v[181:182], v[175:176]
	v_add_f64_e32 v[177:178], v[179:180], v[177:178]
	s_wait_loadcnt_dscnt 0x601
	v_mul_f64_e32 v[179:180], v[2:3], v[12:13]
	v_mul_f64_e32 v[12:13], v[4:5], v[12:13]
	v_fma_f64 v[181:182], v[185:186], v[6:7], v[189:190]
	v_fma_f64 v[6:7], v[183:184], v[6:7], -v[8:9]
	v_add_f64_e32 v[8:9], v[175:176], v[191:192]
	v_add_f64_e32 v[175:176], v[177:178], v[187:188]
	s_wait_loadcnt_dscnt 0x500
	v_mul_f64_e32 v[177:178], v[38:39], v[16:17]
	v_mul_f64_e32 v[16:17], v[40:41], v[16:17]
	v_fma_f64 v[179:180], v[4:5], v[10:11], v[179:180]
	v_fma_f64 v[10:11], v[2:3], v[10:11], -v[12:13]
	v_add_f64_e32 v[12:13], v[8:9], v[6:7]
	v_add_f64_e32 v[175:176], v[175:176], v[181:182]
	ds_load_b128 v[2:5], v1 offset:1968
	ds_load_b128 v[6:9], v1 offset:1984
	v_fma_f64 v[40:41], v[40:41], v[14:15], v[177:178]
	v_fma_f64 v[14:15], v[38:39], v[14:15], -v[16:17]
	s_wait_loadcnt_dscnt 0x401
	v_mul_f64_e32 v[181:182], v[2:3], v[20:21]
	v_mul_f64_e32 v[20:21], v[4:5], v[20:21]
	s_wait_loadcnt_dscnt 0x300
	v_mul_f64_e32 v[16:17], v[6:7], v[24:25]
	v_mul_f64_e32 v[24:25], v[8:9], v[24:25]
	v_add_f64_e32 v[10:11], v[12:13], v[10:11]
	v_add_f64_e32 v[12:13], v[175:176], v[179:180]
	v_fma_f64 v[38:39], v[4:5], v[18:19], v[181:182]
	v_fma_f64 v[18:19], v[2:3], v[18:19], -v[20:21]
	v_fma_f64 v[8:9], v[8:9], v[22:23], v[16:17]
	v_fma_f64 v[6:7], v[6:7], v[22:23], -v[24:25]
	v_add_f64_e32 v[14:15], v[10:11], v[14:15]
	v_add_f64_e32 v[20:21], v[12:13], v[40:41]
	ds_load_b128 v[2:5], v1 offset:2000
	ds_load_b128 v[10:13], v1 offset:2016
	s_wait_loadcnt_dscnt 0x201
	v_mul_f64_e32 v[40:41], v[2:3], v[28:29]
	v_mul_f64_e32 v[28:29], v[4:5], v[28:29]
	v_add_f64_e32 v[14:15], v[14:15], v[18:19]
	v_add_f64_e32 v[16:17], v[20:21], v[38:39]
	s_wait_loadcnt_dscnt 0x100
	v_mul_f64_e32 v[18:19], v[10:11], v[32:33]
	v_mul_f64_e32 v[20:21], v[12:13], v[32:33]
	v_fma_f64 v[22:23], v[4:5], v[26:27], v[40:41]
	v_fma_f64 v[24:25], v[2:3], v[26:27], -v[28:29]
	ds_load_b128 v[2:5], v1 offset:2032
	v_add_f64_e32 v[6:7], v[14:15], v[6:7]
	v_add_f64_e32 v[8:9], v[16:17], v[8:9]
	v_fma_f64 v[12:13], v[12:13], v[30:31], v[18:19]
	v_fma_f64 v[10:11], v[10:11], v[30:31], -v[20:21]
	s_wait_loadcnt_dscnt 0x0
	v_mul_f64_e32 v[14:15], v[2:3], v[36:37]
	v_mul_f64_e32 v[16:17], v[4:5], v[36:37]
	v_add_f64_e32 v[6:7], v[6:7], v[24:25]
	v_add_f64_e32 v[8:9], v[8:9], v[22:23]
	s_delay_alu instid0(VALU_DEP_4) | instskip(NEXT) | instid1(VALU_DEP_4)
	v_fma_f64 v[4:5], v[4:5], v[34:35], v[14:15]
	v_fma_f64 v[2:3], v[2:3], v[34:35], -v[16:17]
	s_delay_alu instid0(VALU_DEP_4) | instskip(NEXT) | instid1(VALU_DEP_4)
	v_add_f64_e32 v[6:7], v[6:7], v[10:11]
	v_add_f64_e32 v[8:9], v[8:9], v[12:13]
	s_delay_alu instid0(VALU_DEP_2) | instskip(NEXT) | instid1(VALU_DEP_2)
	v_add_f64_e32 v[2:3], v[6:7], v[2:3]
	v_add_f64_e32 v[4:5], v[8:9], v[4:5]
	s_delay_alu instid0(VALU_DEP_2) | instskip(NEXT) | instid1(VALU_DEP_2)
	v_add_f64_e64 v[2:3], v[42:43], -v[2:3]
	v_add_f64_e64 v[4:5], v[44:45], -v[4:5]
	scratch_store_b128 off, v[2:5], off offset:240
	v_cmpx_lt_u32_e32 13, v0
	s_cbranch_execz .LBB127_383
; %bb.382:
	scratch_load_b128 v[5:8], off, s66
	v_dual_mov_b32 v2, v1 :: v_dual_mov_b32 v3, v1
	v_mov_b32_e32 v4, v1
	scratch_store_b128 off, v[1:4], off offset:224
	s_wait_loadcnt 0x0
	ds_store_b128 v174, v[5:8]
.LBB127_383:
	s_wait_alu 0xfffe
	s_or_b32 exec_lo, exec_lo, s0
	s_wait_storecnt_dscnt 0x0
	s_barrier_signal -1
	s_barrier_wait -1
	global_inv scope:SCOPE_SE
	s_clause 0x8
	scratch_load_b128 v[2:5], off, off offset:240
	scratch_load_b128 v[6:9], off, off offset:256
	;; [unrolled: 1-line block ×9, first 2 shown]
	ds_load_b128 v[42:45], v1 offset:1248
	ds_load_b128 v[38:41], v1 offset:1264
	s_clause 0x1
	scratch_load_b128 v[175:178], off, off offset:224
	scratch_load_b128 v[179:182], off, off offset:384
	s_mov_b32 s0, exec_lo
	s_wait_loadcnt_dscnt 0xa01
	v_mul_f64_e32 v[183:184], v[44:45], v[4:5]
	v_mul_f64_e32 v[4:5], v[42:43], v[4:5]
	s_wait_loadcnt_dscnt 0x900
	v_mul_f64_e32 v[187:188], v[38:39], v[8:9]
	v_mul_f64_e32 v[8:9], v[40:41], v[8:9]
	s_delay_alu instid0(VALU_DEP_4) | instskip(NEXT) | instid1(VALU_DEP_4)
	v_fma_f64 v[189:190], v[42:43], v[2:3], -v[183:184]
	v_fma_f64 v[191:192], v[44:45], v[2:3], v[4:5]
	ds_load_b128 v[2:5], v1 offset:1280
	ds_load_b128 v[183:186], v1 offset:1296
	scratch_load_b128 v[42:45], off, off offset:400
	v_fma_f64 v[40:41], v[40:41], v[6:7], v[187:188]
	v_fma_f64 v[38:39], v[38:39], v[6:7], -v[8:9]
	scratch_load_b128 v[6:9], off, off offset:416
	s_wait_loadcnt_dscnt 0xa01
	v_mul_f64_e32 v[193:194], v[2:3], v[12:13]
	v_mul_f64_e32 v[12:13], v[4:5], v[12:13]
	v_add_f64_e32 v[187:188], 0, v[189:190]
	v_add_f64_e32 v[189:190], 0, v[191:192]
	s_wait_loadcnt_dscnt 0x900
	v_mul_f64_e32 v[191:192], v[183:184], v[16:17]
	v_mul_f64_e32 v[16:17], v[185:186], v[16:17]
	v_fma_f64 v[193:194], v[4:5], v[10:11], v[193:194]
	v_fma_f64 v[195:196], v[2:3], v[10:11], -v[12:13]
	ds_load_b128 v[2:5], v1 offset:1312
	scratch_load_b128 v[10:13], off, off offset:432
	v_add_f64_e32 v[187:188], v[187:188], v[38:39]
	v_add_f64_e32 v[189:190], v[189:190], v[40:41]
	ds_load_b128 v[38:41], v1 offset:1328
	v_fma_f64 v[185:186], v[185:186], v[14:15], v[191:192]
	v_fma_f64 v[183:184], v[183:184], v[14:15], -v[16:17]
	scratch_load_b128 v[14:17], off, off offset:448
	s_wait_loadcnt_dscnt 0xa01
	v_mul_f64_e32 v[197:198], v[2:3], v[20:21]
	v_mul_f64_e32 v[20:21], v[4:5], v[20:21]
	s_wait_loadcnt_dscnt 0x900
	v_mul_f64_e32 v[191:192], v[38:39], v[24:25]
	v_mul_f64_e32 v[24:25], v[40:41], v[24:25]
	v_add_f64_e32 v[187:188], v[187:188], v[195:196]
	v_add_f64_e32 v[189:190], v[189:190], v[193:194]
	v_fma_f64 v[193:194], v[4:5], v[18:19], v[197:198]
	v_fma_f64 v[195:196], v[2:3], v[18:19], -v[20:21]
	ds_load_b128 v[2:5], v1 offset:1344
	scratch_load_b128 v[18:21], off, off offset:464
	v_fma_f64 v[40:41], v[40:41], v[22:23], v[191:192]
	v_fma_f64 v[38:39], v[38:39], v[22:23], -v[24:25]
	scratch_load_b128 v[22:25], off, off offset:480
	v_add_f64_e32 v[187:188], v[187:188], v[183:184]
	v_add_f64_e32 v[189:190], v[189:190], v[185:186]
	ds_load_b128 v[183:186], v1 offset:1360
	s_wait_loadcnt_dscnt 0xa01
	v_mul_f64_e32 v[197:198], v[2:3], v[28:29]
	v_mul_f64_e32 v[28:29], v[4:5], v[28:29]
	s_wait_loadcnt_dscnt 0x900
	v_mul_f64_e32 v[191:192], v[183:184], v[32:33]
	v_mul_f64_e32 v[32:33], v[185:186], v[32:33]
	v_add_f64_e32 v[187:188], v[187:188], v[195:196]
	v_add_f64_e32 v[189:190], v[189:190], v[193:194]
	v_fma_f64 v[193:194], v[4:5], v[26:27], v[197:198]
	v_fma_f64 v[195:196], v[2:3], v[26:27], -v[28:29]
	ds_load_b128 v[2:5], v1 offset:1376
	scratch_load_b128 v[26:29], off, off offset:496
	v_fma_f64 v[185:186], v[185:186], v[30:31], v[191:192]
	v_fma_f64 v[183:184], v[183:184], v[30:31], -v[32:33]
	scratch_load_b128 v[30:33], off, off offset:512
	v_add_f64_e32 v[187:188], v[187:188], v[38:39]
	v_add_f64_e32 v[189:190], v[189:190], v[40:41]
	ds_load_b128 v[38:41], v1 offset:1392
	s_wait_loadcnt_dscnt 0xa01
	v_mul_f64_e32 v[197:198], v[2:3], v[36:37]
	v_mul_f64_e32 v[36:37], v[4:5], v[36:37]
	s_wait_loadcnt_dscnt 0x800
	v_mul_f64_e32 v[191:192], v[38:39], v[181:182]
	v_add_f64_e32 v[187:188], v[187:188], v[195:196]
	v_add_f64_e32 v[189:190], v[189:190], v[193:194]
	v_mul_f64_e32 v[193:194], v[40:41], v[181:182]
	v_fma_f64 v[195:196], v[4:5], v[34:35], v[197:198]
	v_fma_f64 v[197:198], v[2:3], v[34:35], -v[36:37]
	ds_load_b128 v[2:5], v1 offset:1408
	scratch_load_b128 v[34:37], off, off offset:528
	v_fma_f64 v[191:192], v[40:41], v[179:180], v[191:192]
	v_add_f64_e32 v[187:188], v[187:188], v[183:184]
	v_add_f64_e32 v[185:186], v[189:190], v[185:186]
	ds_load_b128 v[181:184], v1 offset:1424
	v_fma_f64 v[179:180], v[38:39], v[179:180], -v[193:194]
	scratch_load_b128 v[38:41], off, off offset:544
	s_wait_loadcnt_dscnt 0x901
	v_mul_f64_e32 v[189:190], v[2:3], v[44:45]
	v_mul_f64_e32 v[44:45], v[4:5], v[44:45]
	s_wait_loadcnt_dscnt 0x800
	v_mul_f64_e32 v[193:194], v[181:182], v[8:9]
	v_mul_f64_e32 v[8:9], v[183:184], v[8:9]
	v_add_f64_e32 v[187:188], v[187:188], v[197:198]
	v_add_f64_e32 v[185:186], v[185:186], v[195:196]
	v_fma_f64 v[189:190], v[4:5], v[42:43], v[189:190]
	v_fma_f64 v[195:196], v[2:3], v[42:43], -v[44:45]
	ds_load_b128 v[2:5], v1 offset:1440
	scratch_load_b128 v[42:45], off, off offset:560
	v_fma_f64 v[183:184], v[183:184], v[6:7], v[193:194]
	v_fma_f64 v[181:182], v[181:182], v[6:7], -v[8:9]
	scratch_load_b128 v[6:9], off, off offset:576
	v_add_f64_e32 v[179:180], v[187:188], v[179:180]
	v_add_f64_e32 v[191:192], v[185:186], v[191:192]
	ds_load_b128 v[185:188], v1 offset:1456
	s_wait_loadcnt_dscnt 0x901
	v_mul_f64_e32 v[197:198], v[2:3], v[12:13]
	v_mul_f64_e32 v[12:13], v[4:5], v[12:13]
	v_add_f64_e32 v[179:180], v[179:180], v[195:196]
	v_add_f64_e32 v[189:190], v[191:192], v[189:190]
	s_wait_loadcnt_dscnt 0x800
	v_mul_f64_e32 v[191:192], v[185:186], v[16:17]
	v_mul_f64_e32 v[16:17], v[187:188], v[16:17]
	v_fma_f64 v[193:194], v[4:5], v[10:11], v[197:198]
	v_fma_f64 v[195:196], v[2:3], v[10:11], -v[12:13]
	ds_load_b128 v[2:5], v1 offset:1472
	scratch_load_b128 v[10:13], off, off offset:592
	v_add_f64_e32 v[197:198], v[179:180], v[181:182]
	v_add_f64_e32 v[183:184], v[189:190], v[183:184]
	ds_load_b128 v[179:182], v1 offset:1488
	s_wait_loadcnt_dscnt 0x801
	v_mul_f64_e32 v[189:190], v[2:3], v[20:21]
	v_mul_f64_e32 v[20:21], v[4:5], v[20:21]
	v_fma_f64 v[187:188], v[187:188], v[14:15], v[191:192]
	v_fma_f64 v[185:186], v[185:186], v[14:15], -v[16:17]
	scratch_load_b128 v[14:17], off, off offset:608
	v_add_f64_e32 v[191:192], v[197:198], v[195:196]
	v_add_f64_e32 v[183:184], v[183:184], v[193:194]
	s_wait_loadcnt_dscnt 0x800
	v_mul_f64_e32 v[193:194], v[179:180], v[24:25]
	v_mul_f64_e32 v[24:25], v[181:182], v[24:25]
	v_fma_f64 v[189:190], v[4:5], v[18:19], v[189:190]
	v_fma_f64 v[195:196], v[2:3], v[18:19], -v[20:21]
	ds_load_b128 v[2:5], v1 offset:1504
	scratch_load_b128 v[18:21], off, off offset:624
	v_add_f64_e32 v[191:192], v[191:192], v[185:186]
	v_add_f64_e32 v[187:188], v[183:184], v[187:188]
	ds_load_b128 v[183:186], v1 offset:1520
	s_wait_loadcnt_dscnt 0x801
	v_mul_f64_e32 v[197:198], v[2:3], v[28:29]
	v_mul_f64_e32 v[28:29], v[4:5], v[28:29]
	v_fma_f64 v[181:182], v[181:182], v[22:23], v[193:194]
	v_fma_f64 v[179:180], v[179:180], v[22:23], -v[24:25]
	scratch_load_b128 v[22:25], off, off offset:640
	;; [unrolled: 18-line block ×4, first 2 shown]
	s_wait_loadcnt_dscnt 0x800
	v_mul_f64_e32 v[191:192], v[183:184], v[8:9]
	v_mul_f64_e32 v[8:9], v[185:186], v[8:9]
	v_add_f64_e32 v[189:190], v[189:190], v[195:196]
	v_add_f64_e32 v[187:188], v[187:188], v[193:194]
	v_fma_f64 v[193:194], v[4:5], v[42:43], v[197:198]
	v_fma_f64 v[195:196], v[2:3], v[42:43], -v[44:45]
	ds_load_b128 v[2:5], v1 offset:1600
	scratch_load_b128 v[42:45], off, off offset:720
	v_fma_f64 v[185:186], v[185:186], v[6:7], v[191:192]
	v_fma_f64 v[183:184], v[183:184], v[6:7], -v[8:9]
	scratch_load_b128 v[6:9], off, off offset:736
	v_add_f64_e32 v[189:190], v[189:190], v[179:180]
	v_add_f64_e32 v[187:188], v[187:188], v[181:182]
	ds_load_b128 v[179:182], v1 offset:1616
	s_wait_loadcnt_dscnt 0x901
	v_mul_f64_e32 v[197:198], v[2:3], v[12:13]
	v_mul_f64_e32 v[12:13], v[4:5], v[12:13]
	s_wait_loadcnt_dscnt 0x800
	v_mul_f64_e32 v[191:192], v[179:180], v[16:17]
	v_mul_f64_e32 v[16:17], v[181:182], v[16:17]
	v_add_f64_e32 v[189:190], v[189:190], v[195:196]
	v_add_f64_e32 v[187:188], v[187:188], v[193:194]
	v_fma_f64 v[193:194], v[4:5], v[10:11], v[197:198]
	v_fma_f64 v[195:196], v[2:3], v[10:11], -v[12:13]
	ds_load_b128 v[2:5], v1 offset:1632
	scratch_load_b128 v[10:13], off, off offset:752
	v_fma_f64 v[181:182], v[181:182], v[14:15], v[191:192]
	v_fma_f64 v[179:180], v[179:180], v[14:15], -v[16:17]
	scratch_load_b128 v[14:17], off, off offset:768
	v_add_f64_e32 v[189:190], v[189:190], v[183:184]
	v_add_f64_e32 v[187:188], v[187:188], v[185:186]
	ds_load_b128 v[183:186], v1 offset:1648
	s_wait_loadcnt_dscnt 0x901
	v_mul_f64_e32 v[197:198], v[2:3], v[20:21]
	v_mul_f64_e32 v[20:21], v[4:5], v[20:21]
	;; [unrolled: 18-line block ×10, first 2 shown]
	s_wait_loadcnt_dscnt 0x800
	v_mul_f64_e32 v[191:192], v[183:184], v[8:9]
	v_mul_f64_e32 v[8:9], v[185:186], v[8:9]
	v_add_f64_e32 v[189:190], v[189:190], v[195:196]
	v_add_f64_e32 v[187:188], v[187:188], v[193:194]
	v_fma_f64 v[193:194], v[4:5], v[42:43], v[197:198]
	v_fma_f64 v[195:196], v[2:3], v[42:43], -v[44:45]
	ds_load_b128 v[2:5], v1 offset:1920
	ds_load_b128 v[42:45], v1 offset:1936
	v_fma_f64 v[185:186], v[185:186], v[6:7], v[191:192]
	v_fma_f64 v[6:7], v[183:184], v[6:7], -v[8:9]
	v_add_f64_e32 v[179:180], v[189:190], v[179:180]
	v_add_f64_e32 v[181:182], v[187:188], v[181:182]
	s_wait_loadcnt_dscnt 0x701
	v_mul_f64_e32 v[187:188], v[2:3], v[12:13]
	v_mul_f64_e32 v[12:13], v[4:5], v[12:13]
	s_delay_alu instid0(VALU_DEP_4) | instskip(NEXT) | instid1(VALU_DEP_4)
	v_add_f64_e32 v[8:9], v[179:180], v[195:196]
	v_add_f64_e32 v[179:180], v[181:182], v[193:194]
	s_wait_loadcnt_dscnt 0x600
	v_mul_f64_e32 v[181:182], v[42:43], v[16:17]
	v_mul_f64_e32 v[16:17], v[44:45], v[16:17]
	v_fma_f64 v[183:184], v[4:5], v[10:11], v[187:188]
	v_fma_f64 v[10:11], v[2:3], v[10:11], -v[12:13]
	v_add_f64_e32 v[12:13], v[8:9], v[6:7]
	v_add_f64_e32 v[179:180], v[179:180], v[185:186]
	ds_load_b128 v[2:5], v1 offset:1952
	ds_load_b128 v[6:9], v1 offset:1968
	v_fma_f64 v[44:45], v[44:45], v[14:15], v[181:182]
	v_fma_f64 v[14:15], v[42:43], v[14:15], -v[16:17]
	s_wait_loadcnt_dscnt 0x501
	v_mul_f64_e32 v[185:186], v[2:3], v[20:21]
	v_mul_f64_e32 v[20:21], v[4:5], v[20:21]
	s_wait_loadcnt_dscnt 0x400
	v_mul_f64_e32 v[16:17], v[6:7], v[24:25]
	v_mul_f64_e32 v[24:25], v[8:9], v[24:25]
	v_add_f64_e32 v[10:11], v[12:13], v[10:11]
	v_add_f64_e32 v[12:13], v[179:180], v[183:184]
	v_fma_f64 v[42:43], v[4:5], v[18:19], v[185:186]
	v_fma_f64 v[18:19], v[2:3], v[18:19], -v[20:21]
	v_fma_f64 v[8:9], v[8:9], v[22:23], v[16:17]
	v_fma_f64 v[6:7], v[6:7], v[22:23], -v[24:25]
	v_add_f64_e32 v[14:15], v[10:11], v[14:15]
	v_add_f64_e32 v[20:21], v[12:13], v[44:45]
	ds_load_b128 v[2:5], v1 offset:1984
	ds_load_b128 v[10:13], v1 offset:2000
	s_wait_loadcnt_dscnt 0x301
	v_mul_f64_e32 v[44:45], v[2:3], v[28:29]
	v_mul_f64_e32 v[28:29], v[4:5], v[28:29]
	v_add_f64_e32 v[14:15], v[14:15], v[18:19]
	v_add_f64_e32 v[16:17], v[20:21], v[42:43]
	s_wait_loadcnt_dscnt 0x200
	v_mul_f64_e32 v[18:19], v[10:11], v[32:33]
	v_mul_f64_e32 v[20:21], v[12:13], v[32:33]
	v_fma_f64 v[22:23], v[4:5], v[26:27], v[44:45]
	v_fma_f64 v[24:25], v[2:3], v[26:27], -v[28:29]
	v_add_f64_e32 v[14:15], v[14:15], v[6:7]
	v_add_f64_e32 v[16:17], v[16:17], v[8:9]
	ds_load_b128 v[2:5], v1 offset:2016
	ds_load_b128 v[6:9], v1 offset:2032
	v_fma_f64 v[12:13], v[12:13], v[30:31], v[18:19]
	v_fma_f64 v[10:11], v[10:11], v[30:31], -v[20:21]
	s_wait_loadcnt_dscnt 0x101
	v_mul_f64_e32 v[26:27], v[2:3], v[36:37]
	v_mul_f64_e32 v[28:29], v[4:5], v[36:37]
	s_wait_loadcnt_dscnt 0x0
	v_mul_f64_e32 v[18:19], v[6:7], v[40:41]
	v_mul_f64_e32 v[20:21], v[8:9], v[40:41]
	v_add_f64_e32 v[14:15], v[14:15], v[24:25]
	v_add_f64_e32 v[16:17], v[16:17], v[22:23]
	v_fma_f64 v[4:5], v[4:5], v[34:35], v[26:27]
	v_fma_f64 v[1:2], v[2:3], v[34:35], -v[28:29]
	v_fma_f64 v[8:9], v[8:9], v[38:39], v[18:19]
	v_fma_f64 v[6:7], v[6:7], v[38:39], -v[20:21]
	v_add_f64_e32 v[10:11], v[14:15], v[10:11]
	v_add_f64_e32 v[12:13], v[16:17], v[12:13]
	s_delay_alu instid0(VALU_DEP_2) | instskip(NEXT) | instid1(VALU_DEP_2)
	v_add_f64_e32 v[1:2], v[10:11], v[1:2]
	v_add_f64_e32 v[3:4], v[12:13], v[4:5]
	s_delay_alu instid0(VALU_DEP_2) | instskip(NEXT) | instid1(VALU_DEP_2)
	;; [unrolled: 3-line block ×3, first 2 shown]
	v_add_f64_e64 v[1:2], v[175:176], -v[1:2]
	v_add_f64_e64 v[3:4], v[177:178], -v[3:4]
	scratch_store_b128 off, v[1:4], off offset:224
	v_cmpx_lt_u32_e32 12, v0
	s_cbranch_execz .LBB127_385
; %bb.384:
	scratch_load_b128 v[1:4], off, s67
	v_mov_b32_e32 v5, 0
	s_delay_alu instid0(VALU_DEP_1)
	v_dual_mov_b32 v6, v5 :: v_dual_mov_b32 v7, v5
	v_mov_b32_e32 v8, v5
	scratch_store_b128 off, v[5:8], off offset:208
	s_wait_loadcnt 0x0
	ds_store_b128 v174, v[1:4]
.LBB127_385:
	s_wait_alu 0xfffe
	s_or_b32 exec_lo, exec_lo, s0
	s_wait_storecnt_dscnt 0x0
	s_barrier_signal -1
	s_barrier_wait -1
	global_inv scope:SCOPE_SE
	s_clause 0x7
	scratch_load_b128 v[2:5], off, off offset:224
	scratch_load_b128 v[6:9], off, off offset:240
	;; [unrolled: 1-line block ×8, first 2 shown]
	v_mov_b32_e32 v1, 0
	s_mov_b32 s0, exec_lo
	ds_load_b128 v[38:41], v1 offset:1232
	s_clause 0x1
	scratch_load_b128 v[34:37], off, off offset:352
	scratch_load_b128 v[42:45], off, off offset:208
	ds_load_b128 v[175:178], v1 offset:1248
	scratch_load_b128 v[179:182], off, off offset:368
	s_wait_loadcnt_dscnt 0xa01
	v_mul_f64_e32 v[183:184], v[40:41], v[4:5]
	v_mul_f64_e32 v[4:5], v[38:39], v[4:5]
	s_delay_alu instid0(VALU_DEP_2) | instskip(NEXT) | instid1(VALU_DEP_2)
	v_fma_f64 v[189:190], v[38:39], v[2:3], -v[183:184]
	v_fma_f64 v[191:192], v[40:41], v[2:3], v[4:5]
	ds_load_b128 v[2:5], v1 offset:1264
	s_wait_loadcnt_dscnt 0x901
	v_mul_f64_e32 v[187:188], v[175:176], v[8:9]
	v_mul_f64_e32 v[8:9], v[177:178], v[8:9]
	scratch_load_b128 v[38:41], off, off offset:384
	ds_load_b128 v[183:186], v1 offset:1280
	s_wait_loadcnt_dscnt 0x901
	v_mul_f64_e32 v[193:194], v[2:3], v[12:13]
	v_mul_f64_e32 v[12:13], v[4:5], v[12:13]
	v_fma_f64 v[177:178], v[177:178], v[6:7], v[187:188]
	v_fma_f64 v[175:176], v[175:176], v[6:7], -v[8:9]
	v_add_f64_e32 v[187:188], 0, v[189:190]
	v_add_f64_e32 v[189:190], 0, v[191:192]
	scratch_load_b128 v[6:9], off, off offset:400
	v_fma_f64 v[193:194], v[4:5], v[10:11], v[193:194]
	v_fma_f64 v[195:196], v[2:3], v[10:11], -v[12:13]
	ds_load_b128 v[2:5], v1 offset:1296
	s_wait_loadcnt_dscnt 0x901
	v_mul_f64_e32 v[191:192], v[183:184], v[16:17]
	v_mul_f64_e32 v[16:17], v[185:186], v[16:17]
	scratch_load_b128 v[10:13], off, off offset:416
	v_add_f64_e32 v[187:188], v[187:188], v[175:176]
	v_add_f64_e32 v[189:190], v[189:190], v[177:178]
	s_wait_loadcnt_dscnt 0x900
	v_mul_f64_e32 v[197:198], v[2:3], v[20:21]
	v_mul_f64_e32 v[20:21], v[4:5], v[20:21]
	ds_load_b128 v[175:178], v1 offset:1312
	v_fma_f64 v[185:186], v[185:186], v[14:15], v[191:192]
	v_fma_f64 v[183:184], v[183:184], v[14:15], -v[16:17]
	scratch_load_b128 v[14:17], off, off offset:432
	v_add_f64_e32 v[187:188], v[187:188], v[195:196]
	v_add_f64_e32 v[189:190], v[189:190], v[193:194]
	v_fma_f64 v[193:194], v[4:5], v[18:19], v[197:198]
	v_fma_f64 v[195:196], v[2:3], v[18:19], -v[20:21]
	ds_load_b128 v[2:5], v1 offset:1328
	s_wait_loadcnt_dscnt 0x901
	v_mul_f64_e32 v[191:192], v[175:176], v[24:25]
	v_mul_f64_e32 v[24:25], v[177:178], v[24:25]
	scratch_load_b128 v[18:21], off, off offset:448
	s_wait_loadcnt_dscnt 0x900
	v_mul_f64_e32 v[197:198], v[2:3], v[28:29]
	v_mul_f64_e32 v[28:29], v[4:5], v[28:29]
	v_add_f64_e32 v[187:188], v[187:188], v[183:184]
	v_add_f64_e32 v[189:190], v[189:190], v[185:186]
	ds_load_b128 v[183:186], v1 offset:1344
	v_fma_f64 v[177:178], v[177:178], v[22:23], v[191:192]
	v_fma_f64 v[175:176], v[175:176], v[22:23], -v[24:25]
	scratch_load_b128 v[22:25], off, off offset:464
	v_add_f64_e32 v[187:188], v[187:188], v[195:196]
	v_add_f64_e32 v[189:190], v[189:190], v[193:194]
	v_fma_f64 v[193:194], v[4:5], v[26:27], v[197:198]
	v_fma_f64 v[195:196], v[2:3], v[26:27], -v[28:29]
	ds_load_b128 v[2:5], v1 offset:1360
	s_wait_loadcnt_dscnt 0x901
	v_mul_f64_e32 v[191:192], v[183:184], v[32:33]
	v_mul_f64_e32 v[32:33], v[185:186], v[32:33]
	scratch_load_b128 v[26:29], off, off offset:480
	s_wait_loadcnt_dscnt 0x900
	v_mul_f64_e32 v[197:198], v[2:3], v[36:37]
	v_mul_f64_e32 v[36:37], v[4:5], v[36:37]
	v_add_f64_e32 v[187:188], v[187:188], v[175:176]
	v_add_f64_e32 v[189:190], v[189:190], v[177:178]
	ds_load_b128 v[175:178], v1 offset:1376
	v_fma_f64 v[185:186], v[185:186], v[30:31], v[191:192]
	v_fma_f64 v[183:184], v[183:184], v[30:31], -v[32:33]
	scratch_load_b128 v[30:33], off, off offset:496
	v_add_f64_e32 v[187:188], v[187:188], v[195:196]
	v_add_f64_e32 v[189:190], v[189:190], v[193:194]
	v_fma_f64 v[195:196], v[4:5], v[34:35], v[197:198]
	v_fma_f64 v[197:198], v[2:3], v[34:35], -v[36:37]
	ds_load_b128 v[2:5], v1 offset:1392
	s_wait_loadcnt_dscnt 0x801
	v_mul_f64_e32 v[191:192], v[175:176], v[181:182]
	v_mul_f64_e32 v[193:194], v[177:178], v[181:182]
	scratch_load_b128 v[34:37], off, off offset:512
	v_add_f64_e32 v[187:188], v[187:188], v[183:184]
	v_add_f64_e32 v[185:186], v[189:190], v[185:186]
	ds_load_b128 v[181:184], v1 offset:1408
	v_fma_f64 v[191:192], v[177:178], v[179:180], v[191:192]
	v_fma_f64 v[179:180], v[175:176], v[179:180], -v[193:194]
	scratch_load_b128 v[175:178], off, off offset:528
	s_wait_loadcnt_dscnt 0x901
	v_mul_f64_e32 v[189:190], v[2:3], v[40:41]
	v_mul_f64_e32 v[40:41], v[4:5], v[40:41]
	v_add_f64_e32 v[187:188], v[187:188], v[197:198]
	v_add_f64_e32 v[185:186], v[185:186], v[195:196]
	s_delay_alu instid0(VALU_DEP_4) | instskip(NEXT) | instid1(VALU_DEP_4)
	v_fma_f64 v[189:190], v[4:5], v[38:39], v[189:190]
	v_fma_f64 v[195:196], v[2:3], v[38:39], -v[40:41]
	ds_load_b128 v[2:5], v1 offset:1424
	s_wait_loadcnt_dscnt 0x801
	v_mul_f64_e32 v[193:194], v[181:182], v[8:9]
	v_mul_f64_e32 v[8:9], v[183:184], v[8:9]
	scratch_load_b128 v[38:41], off, off offset:544
	s_wait_loadcnt_dscnt 0x800
	v_mul_f64_e32 v[197:198], v[2:3], v[12:13]
	v_add_f64_e32 v[179:180], v[187:188], v[179:180]
	v_add_f64_e32 v[191:192], v[185:186], v[191:192]
	v_mul_f64_e32 v[12:13], v[4:5], v[12:13]
	ds_load_b128 v[185:188], v1 offset:1440
	v_fma_f64 v[183:184], v[183:184], v[6:7], v[193:194]
	v_fma_f64 v[181:182], v[181:182], v[6:7], -v[8:9]
	scratch_load_b128 v[6:9], off, off offset:560
	v_fma_f64 v[193:194], v[4:5], v[10:11], v[197:198]
	v_add_f64_e32 v[179:180], v[179:180], v[195:196]
	v_add_f64_e32 v[189:190], v[191:192], v[189:190]
	v_fma_f64 v[195:196], v[2:3], v[10:11], -v[12:13]
	ds_load_b128 v[2:5], v1 offset:1456
	s_wait_loadcnt_dscnt 0x801
	v_mul_f64_e32 v[191:192], v[185:186], v[16:17]
	v_mul_f64_e32 v[16:17], v[187:188], v[16:17]
	scratch_load_b128 v[10:13], off, off offset:576
	v_add_f64_e32 v[197:198], v[179:180], v[181:182]
	v_add_f64_e32 v[183:184], v[189:190], v[183:184]
	s_wait_loadcnt_dscnt 0x800
	v_mul_f64_e32 v[189:190], v[2:3], v[20:21]
	v_mul_f64_e32 v[20:21], v[4:5], v[20:21]
	v_fma_f64 v[187:188], v[187:188], v[14:15], v[191:192]
	v_fma_f64 v[185:186], v[185:186], v[14:15], -v[16:17]
	ds_load_b128 v[179:182], v1 offset:1472
	scratch_load_b128 v[14:17], off, off offset:592
	v_add_f64_e32 v[191:192], v[197:198], v[195:196]
	v_add_f64_e32 v[183:184], v[183:184], v[193:194]
	v_fma_f64 v[189:190], v[4:5], v[18:19], v[189:190]
	v_fma_f64 v[195:196], v[2:3], v[18:19], -v[20:21]
	ds_load_b128 v[2:5], v1 offset:1488
	s_wait_loadcnt_dscnt 0x801
	v_mul_f64_e32 v[193:194], v[179:180], v[24:25]
	v_mul_f64_e32 v[24:25], v[181:182], v[24:25]
	scratch_load_b128 v[18:21], off, off offset:608
	s_wait_loadcnt_dscnt 0x800
	v_mul_f64_e32 v[197:198], v[2:3], v[28:29]
	v_mul_f64_e32 v[28:29], v[4:5], v[28:29]
	v_add_f64_e32 v[191:192], v[191:192], v[185:186]
	v_add_f64_e32 v[187:188], v[183:184], v[187:188]
	ds_load_b128 v[183:186], v1 offset:1504
	v_fma_f64 v[181:182], v[181:182], v[22:23], v[193:194]
	v_fma_f64 v[179:180], v[179:180], v[22:23], -v[24:25]
	scratch_load_b128 v[22:25], off, off offset:624
	v_fma_f64 v[193:194], v[4:5], v[26:27], v[197:198]
	v_add_f64_e32 v[191:192], v[191:192], v[195:196]
	v_add_f64_e32 v[187:188], v[187:188], v[189:190]
	v_fma_f64 v[195:196], v[2:3], v[26:27], -v[28:29]
	ds_load_b128 v[2:5], v1 offset:1520
	s_wait_loadcnt_dscnt 0x801
	v_mul_f64_e32 v[189:190], v[183:184], v[32:33]
	v_mul_f64_e32 v[32:33], v[185:186], v[32:33]
	scratch_load_b128 v[26:29], off, off offset:640
	s_wait_loadcnt_dscnt 0x800
	v_mul_f64_e32 v[197:198], v[2:3], v[36:37]
	v_mul_f64_e32 v[36:37], v[4:5], v[36:37]
	v_add_f64_e32 v[191:192], v[191:192], v[179:180]
	v_add_f64_e32 v[187:188], v[187:188], v[181:182]
	ds_load_b128 v[179:182], v1 offset:1536
	v_fma_f64 v[185:186], v[185:186], v[30:31], v[189:190]
	v_fma_f64 v[183:184], v[183:184], v[30:31], -v[32:33]
	scratch_load_b128 v[30:33], off, off offset:656
	v_add_f64_e32 v[189:190], v[191:192], v[195:196]
	v_add_f64_e32 v[187:188], v[187:188], v[193:194]
	v_fma_f64 v[193:194], v[4:5], v[34:35], v[197:198]
	v_fma_f64 v[195:196], v[2:3], v[34:35], -v[36:37]
	ds_load_b128 v[2:5], v1 offset:1552
	s_wait_loadcnt_dscnt 0x801
	v_mul_f64_e32 v[191:192], v[179:180], v[177:178]
	v_mul_f64_e32 v[177:178], v[181:182], v[177:178]
	scratch_load_b128 v[34:37], off, off offset:672
	s_wait_loadcnt_dscnt 0x800
	v_mul_f64_e32 v[197:198], v[2:3], v[40:41]
	v_mul_f64_e32 v[40:41], v[4:5], v[40:41]
	v_add_f64_e32 v[189:190], v[189:190], v[183:184]
	v_add_f64_e32 v[187:188], v[187:188], v[185:186]
	ds_load_b128 v[183:186], v1 offset:1568
	v_fma_f64 v[181:182], v[181:182], v[175:176], v[191:192]
	v_fma_f64 v[179:180], v[179:180], v[175:176], -v[177:178]
	scratch_load_b128 v[175:178], off, off offset:688
	v_add_f64_e32 v[189:190], v[189:190], v[195:196]
	v_add_f64_e32 v[187:188], v[187:188], v[193:194]
	v_fma_f64 v[193:194], v[4:5], v[38:39], v[197:198]
	;; [unrolled: 18-line block ×6, first 2 shown]
	v_fma_f64 v[197:198], v[2:3], v[34:35], -v[36:37]
	ds_load_b128 v[2:5], v1 offset:1712
	s_wait_loadcnt_dscnt 0x801
	v_mul_f64_e32 v[191:192], v[183:184], v[177:178]
	v_mul_f64_e32 v[193:194], v[185:186], v[177:178]
	scratch_load_b128 v[34:37], off, off offset:832
	v_add_f64_e32 v[189:190], v[189:190], v[179:180]
	v_add_f64_e32 v[181:182], v[187:188], v[181:182]
	s_wait_loadcnt_dscnt 0x800
	v_mul_f64_e32 v[187:188], v[2:3], v[40:41]
	v_mul_f64_e32 v[40:41], v[4:5], v[40:41]
	ds_load_b128 v[177:180], v1 offset:1728
	v_fma_f64 v[185:186], v[185:186], v[175:176], v[191:192]
	v_fma_f64 v[175:176], v[183:184], v[175:176], -v[193:194]
	v_add_f64_e32 v[189:190], v[189:190], v[197:198]
	v_add_f64_e32 v[191:192], v[181:182], v[195:196]
	scratch_load_b128 v[181:184], off, off offset:848
	v_fma_f64 v[195:196], v[4:5], v[38:39], v[187:188]
	v_fma_f64 v[197:198], v[2:3], v[38:39], -v[40:41]
	ds_load_b128 v[2:5], v1 offset:1744
	s_wait_loadcnt_dscnt 0x801
	v_mul_f64_e32 v[193:194], v[177:178], v[8:9]
	v_mul_f64_e32 v[8:9], v[179:180], v[8:9]
	scratch_load_b128 v[38:41], off, off offset:864
	v_add_f64_e32 v[175:176], v[189:190], v[175:176]
	v_add_f64_e32 v[189:190], v[191:192], v[185:186]
	s_wait_loadcnt_dscnt 0x800
	v_mul_f64_e32 v[191:192], v[2:3], v[12:13]
	v_mul_f64_e32 v[12:13], v[4:5], v[12:13]
	ds_load_b128 v[185:188], v1 offset:1760
	v_fma_f64 v[179:180], v[179:180], v[6:7], v[193:194]
	v_fma_f64 v[177:178], v[177:178], v[6:7], -v[8:9]
	scratch_load_b128 v[6:9], off, off offset:880
	v_add_f64_e32 v[175:176], v[175:176], v[197:198]
	v_add_f64_e32 v[189:190], v[189:190], v[195:196]
	v_fma_f64 v[191:192], v[4:5], v[10:11], v[191:192]
	v_fma_f64 v[195:196], v[2:3], v[10:11], -v[12:13]
	ds_load_b128 v[2:5], v1 offset:1776
	s_wait_loadcnt_dscnt 0x801
	v_mul_f64_e32 v[193:194], v[185:186], v[16:17]
	v_mul_f64_e32 v[16:17], v[187:188], v[16:17]
	scratch_load_b128 v[10:13], off, off offset:896
	v_add_f64_e32 v[197:198], v[175:176], v[177:178]
	v_add_f64_e32 v[179:180], v[189:190], v[179:180]
	s_wait_loadcnt_dscnt 0x800
	v_mul_f64_e32 v[189:190], v[2:3], v[20:21]
	v_mul_f64_e32 v[20:21], v[4:5], v[20:21]
	ds_load_b128 v[175:178], v1 offset:1792
	v_fma_f64 v[187:188], v[187:188], v[14:15], v[193:194]
	v_fma_f64 v[185:186], v[185:186], v[14:15], -v[16:17]
	scratch_load_b128 v[14:17], off, off offset:912
	v_add_f64_e32 v[193:194], v[197:198], v[195:196]
	v_add_f64_e32 v[179:180], v[179:180], v[191:192]
	v_fma_f64 v[189:190], v[4:5], v[18:19], v[189:190]
	v_fma_f64 v[195:196], v[2:3], v[18:19], -v[20:21]
	ds_load_b128 v[2:5], v1 offset:1808
	s_wait_loadcnt_dscnt 0x801
	v_mul_f64_e32 v[191:192], v[175:176], v[24:25]
	v_mul_f64_e32 v[24:25], v[177:178], v[24:25]
	scratch_load_b128 v[18:21], off, off offset:928
	s_wait_loadcnt_dscnt 0x800
	v_mul_f64_e32 v[197:198], v[2:3], v[28:29]
	v_mul_f64_e32 v[28:29], v[4:5], v[28:29]
	v_add_f64_e32 v[193:194], v[193:194], v[185:186]
	v_add_f64_e32 v[179:180], v[179:180], v[187:188]
	ds_load_b128 v[185:188], v1 offset:1824
	v_fma_f64 v[177:178], v[177:178], v[22:23], v[191:192]
	v_fma_f64 v[175:176], v[175:176], v[22:23], -v[24:25]
	scratch_load_b128 v[22:25], off, off offset:944
	v_add_f64_e32 v[191:192], v[193:194], v[195:196]
	v_add_f64_e32 v[179:180], v[179:180], v[189:190]
	v_fma_f64 v[193:194], v[4:5], v[26:27], v[197:198]
	v_fma_f64 v[195:196], v[2:3], v[26:27], -v[28:29]
	ds_load_b128 v[2:5], v1 offset:1840
	s_wait_loadcnt_dscnt 0x801
	v_mul_f64_e32 v[189:190], v[185:186], v[32:33]
	v_mul_f64_e32 v[32:33], v[187:188], v[32:33]
	scratch_load_b128 v[26:29], off, off offset:960
	s_wait_loadcnt_dscnt 0x800
	v_mul_f64_e32 v[197:198], v[2:3], v[36:37]
	v_mul_f64_e32 v[36:37], v[4:5], v[36:37]
	v_add_f64_e32 v[191:192], v[191:192], v[175:176]
	v_add_f64_e32 v[179:180], v[179:180], v[177:178]
	ds_load_b128 v[175:178], v1 offset:1856
	v_fma_f64 v[187:188], v[187:188], v[30:31], v[189:190]
	v_fma_f64 v[185:186], v[185:186], v[30:31], -v[32:33]
	scratch_load_b128 v[30:33], off, off offset:976
	v_add_f64_e32 v[189:190], v[191:192], v[195:196]
	v_add_f64_e32 v[179:180], v[179:180], v[193:194]
	v_fma_f64 v[195:196], v[4:5], v[34:35], v[197:198]
	v_fma_f64 v[197:198], v[2:3], v[34:35], -v[36:37]
	ds_load_b128 v[2:5], v1 offset:1872
	scratch_load_b128 v[34:37], off, off offset:992
	s_wait_loadcnt_dscnt 0x901
	v_mul_f64_e32 v[191:192], v[175:176], v[183:184]
	v_mul_f64_e32 v[193:194], v[177:178], v[183:184]
	v_add_f64_e32 v[189:190], v[189:190], v[185:186]
	v_add_f64_e32 v[179:180], v[179:180], v[187:188]
	s_wait_loadcnt_dscnt 0x800
	v_mul_f64_e32 v[187:188], v[2:3], v[40:41]
	v_mul_f64_e32 v[40:41], v[4:5], v[40:41]
	ds_load_b128 v[183:186], v1 offset:1888
	v_fma_f64 v[191:192], v[177:178], v[181:182], v[191:192]
	v_fma_f64 v[181:182], v[175:176], v[181:182], -v[193:194]
	scratch_load_b128 v[175:178], off, off offset:1008
	v_add_f64_e32 v[189:190], v[189:190], v[197:198]
	v_add_f64_e32 v[179:180], v[179:180], v[195:196]
	v_fma_f64 v[187:188], v[4:5], v[38:39], v[187:188]
	v_fma_f64 v[195:196], v[2:3], v[38:39], -v[40:41]
	ds_load_b128 v[2:5], v1 offset:1904
	s_wait_loadcnt_dscnt 0x801
	v_mul_f64_e32 v[193:194], v[183:184], v[8:9]
	v_mul_f64_e32 v[8:9], v[185:186], v[8:9]
	scratch_load_b128 v[38:41], off, off offset:1024
	s_wait_loadcnt_dscnt 0x800
	v_mul_f64_e32 v[197:198], v[2:3], v[12:13]
	v_mul_f64_e32 v[12:13], v[4:5], v[12:13]
	v_add_f64_e32 v[189:190], v[189:190], v[181:182]
	v_add_f64_e32 v[191:192], v[179:180], v[191:192]
	ds_load_b128 v[179:182], v1 offset:1920
	v_fma_f64 v[185:186], v[185:186], v[6:7], v[193:194]
	v_fma_f64 v[6:7], v[183:184], v[6:7], -v[8:9]
	v_add_f64_e32 v[8:9], v[189:190], v[195:196]
	v_add_f64_e32 v[183:184], v[191:192], v[187:188]
	s_wait_loadcnt_dscnt 0x700
	v_mul_f64_e32 v[187:188], v[179:180], v[16:17]
	v_mul_f64_e32 v[16:17], v[181:182], v[16:17]
	v_fma_f64 v[189:190], v[4:5], v[10:11], v[197:198]
	v_fma_f64 v[10:11], v[2:3], v[10:11], -v[12:13]
	v_add_f64_e32 v[12:13], v[8:9], v[6:7]
	v_add_f64_e32 v[183:184], v[183:184], v[185:186]
	ds_load_b128 v[2:5], v1 offset:1936
	ds_load_b128 v[6:9], v1 offset:1952
	v_fma_f64 v[181:182], v[181:182], v[14:15], v[187:188]
	v_fma_f64 v[14:15], v[179:180], v[14:15], -v[16:17]
	s_wait_loadcnt_dscnt 0x601
	v_mul_f64_e32 v[185:186], v[2:3], v[20:21]
	v_mul_f64_e32 v[20:21], v[4:5], v[20:21]
	s_wait_loadcnt_dscnt 0x500
	v_mul_f64_e32 v[16:17], v[6:7], v[24:25]
	v_mul_f64_e32 v[24:25], v[8:9], v[24:25]
	v_add_f64_e32 v[10:11], v[12:13], v[10:11]
	v_add_f64_e32 v[12:13], v[183:184], v[189:190]
	v_fma_f64 v[179:180], v[4:5], v[18:19], v[185:186]
	v_fma_f64 v[18:19], v[2:3], v[18:19], -v[20:21]
	v_fma_f64 v[8:9], v[8:9], v[22:23], v[16:17]
	v_fma_f64 v[6:7], v[6:7], v[22:23], -v[24:25]
	v_add_f64_e32 v[14:15], v[10:11], v[14:15]
	v_add_f64_e32 v[20:21], v[12:13], v[181:182]
	ds_load_b128 v[2:5], v1 offset:1968
	ds_load_b128 v[10:13], v1 offset:1984
	s_wait_loadcnt_dscnt 0x401
	v_mul_f64_e32 v[181:182], v[2:3], v[28:29]
	v_mul_f64_e32 v[28:29], v[4:5], v[28:29]
	v_add_f64_e32 v[14:15], v[14:15], v[18:19]
	v_add_f64_e32 v[16:17], v[20:21], v[179:180]
	s_wait_loadcnt_dscnt 0x300
	v_mul_f64_e32 v[18:19], v[10:11], v[32:33]
	v_mul_f64_e32 v[20:21], v[12:13], v[32:33]
	v_fma_f64 v[22:23], v[4:5], v[26:27], v[181:182]
	v_fma_f64 v[24:25], v[2:3], v[26:27], -v[28:29]
	v_add_f64_e32 v[14:15], v[14:15], v[6:7]
	v_add_f64_e32 v[16:17], v[16:17], v[8:9]
	ds_load_b128 v[2:5], v1 offset:2000
	ds_load_b128 v[6:9], v1 offset:2016
	v_fma_f64 v[12:13], v[12:13], v[30:31], v[18:19]
	v_fma_f64 v[10:11], v[10:11], v[30:31], -v[20:21]
	s_wait_loadcnt_dscnt 0x201
	v_mul_f64_e32 v[26:27], v[2:3], v[36:37]
	v_mul_f64_e32 v[28:29], v[4:5], v[36:37]
	s_wait_loadcnt_dscnt 0x100
	v_mul_f64_e32 v[18:19], v[6:7], v[177:178]
	v_mul_f64_e32 v[20:21], v[8:9], v[177:178]
	v_add_f64_e32 v[14:15], v[14:15], v[24:25]
	v_add_f64_e32 v[16:17], v[16:17], v[22:23]
	v_fma_f64 v[22:23], v[4:5], v[34:35], v[26:27]
	v_fma_f64 v[24:25], v[2:3], v[34:35], -v[28:29]
	ds_load_b128 v[2:5], v1 offset:2032
	v_fma_f64 v[8:9], v[8:9], v[175:176], v[18:19]
	v_fma_f64 v[6:7], v[6:7], v[175:176], -v[20:21]
	v_add_f64_e32 v[10:11], v[14:15], v[10:11]
	v_add_f64_e32 v[12:13], v[16:17], v[12:13]
	s_wait_loadcnt_dscnt 0x0
	v_mul_f64_e32 v[14:15], v[2:3], v[40:41]
	v_mul_f64_e32 v[16:17], v[4:5], v[40:41]
	s_delay_alu instid0(VALU_DEP_4) | instskip(NEXT) | instid1(VALU_DEP_4)
	v_add_f64_e32 v[10:11], v[10:11], v[24:25]
	v_add_f64_e32 v[12:13], v[12:13], v[22:23]
	s_delay_alu instid0(VALU_DEP_4) | instskip(NEXT) | instid1(VALU_DEP_4)
	v_fma_f64 v[4:5], v[4:5], v[38:39], v[14:15]
	v_fma_f64 v[2:3], v[2:3], v[38:39], -v[16:17]
	s_delay_alu instid0(VALU_DEP_4) | instskip(NEXT) | instid1(VALU_DEP_4)
	v_add_f64_e32 v[6:7], v[10:11], v[6:7]
	v_add_f64_e32 v[8:9], v[12:13], v[8:9]
	s_delay_alu instid0(VALU_DEP_2) | instskip(NEXT) | instid1(VALU_DEP_2)
	v_add_f64_e32 v[2:3], v[6:7], v[2:3]
	v_add_f64_e32 v[4:5], v[8:9], v[4:5]
	s_delay_alu instid0(VALU_DEP_2) | instskip(NEXT) | instid1(VALU_DEP_2)
	v_add_f64_e64 v[2:3], v[42:43], -v[2:3]
	v_add_f64_e64 v[4:5], v[44:45], -v[4:5]
	scratch_store_b128 off, v[2:5], off offset:208
	v_cmpx_lt_u32_e32 11, v0
	s_cbranch_execz .LBB127_387
; %bb.386:
	scratch_load_b128 v[5:8], off, s68
	v_dual_mov_b32 v2, v1 :: v_dual_mov_b32 v3, v1
	v_mov_b32_e32 v4, v1
	scratch_store_b128 off, v[1:4], off offset:192
	s_wait_loadcnt 0x0
	ds_store_b128 v174, v[5:8]
.LBB127_387:
	s_wait_alu 0xfffe
	s_or_b32 exec_lo, exec_lo, s0
	s_wait_storecnt_dscnt 0x0
	s_barrier_signal -1
	s_barrier_wait -1
	global_inv scope:SCOPE_SE
	s_clause 0x8
	scratch_load_b128 v[2:5], off, off offset:208
	scratch_load_b128 v[6:9], off, off offset:224
	;; [unrolled: 1-line block ×9, first 2 shown]
	ds_load_b128 v[42:45], v1 offset:1216
	ds_load_b128 v[38:41], v1 offset:1232
	s_clause 0x1
	scratch_load_b128 v[175:178], off, off offset:192
	scratch_load_b128 v[179:182], off, off offset:352
	s_mov_b32 s0, exec_lo
	s_wait_loadcnt_dscnt 0xa01
	v_mul_f64_e32 v[183:184], v[44:45], v[4:5]
	v_mul_f64_e32 v[4:5], v[42:43], v[4:5]
	s_wait_loadcnt_dscnt 0x900
	v_mul_f64_e32 v[187:188], v[38:39], v[8:9]
	v_mul_f64_e32 v[8:9], v[40:41], v[8:9]
	s_delay_alu instid0(VALU_DEP_4) | instskip(NEXT) | instid1(VALU_DEP_4)
	v_fma_f64 v[189:190], v[42:43], v[2:3], -v[183:184]
	v_fma_f64 v[191:192], v[44:45], v[2:3], v[4:5]
	ds_load_b128 v[2:5], v1 offset:1248
	ds_load_b128 v[183:186], v1 offset:1264
	scratch_load_b128 v[42:45], off, off offset:368
	v_fma_f64 v[40:41], v[40:41], v[6:7], v[187:188]
	v_fma_f64 v[38:39], v[38:39], v[6:7], -v[8:9]
	scratch_load_b128 v[6:9], off, off offset:384
	s_wait_loadcnt_dscnt 0xa01
	v_mul_f64_e32 v[193:194], v[2:3], v[12:13]
	v_mul_f64_e32 v[12:13], v[4:5], v[12:13]
	v_add_f64_e32 v[187:188], 0, v[189:190]
	v_add_f64_e32 v[189:190], 0, v[191:192]
	s_wait_loadcnt_dscnt 0x900
	v_mul_f64_e32 v[191:192], v[183:184], v[16:17]
	v_mul_f64_e32 v[16:17], v[185:186], v[16:17]
	v_fma_f64 v[193:194], v[4:5], v[10:11], v[193:194]
	v_fma_f64 v[195:196], v[2:3], v[10:11], -v[12:13]
	ds_load_b128 v[2:5], v1 offset:1280
	scratch_load_b128 v[10:13], off, off offset:400
	v_add_f64_e32 v[187:188], v[187:188], v[38:39]
	v_add_f64_e32 v[189:190], v[189:190], v[40:41]
	ds_load_b128 v[38:41], v1 offset:1296
	v_fma_f64 v[185:186], v[185:186], v[14:15], v[191:192]
	v_fma_f64 v[183:184], v[183:184], v[14:15], -v[16:17]
	scratch_load_b128 v[14:17], off, off offset:416
	s_wait_loadcnt_dscnt 0xa01
	v_mul_f64_e32 v[197:198], v[2:3], v[20:21]
	v_mul_f64_e32 v[20:21], v[4:5], v[20:21]
	s_wait_loadcnt_dscnt 0x900
	v_mul_f64_e32 v[191:192], v[38:39], v[24:25]
	v_mul_f64_e32 v[24:25], v[40:41], v[24:25]
	v_add_f64_e32 v[187:188], v[187:188], v[195:196]
	v_add_f64_e32 v[189:190], v[189:190], v[193:194]
	v_fma_f64 v[193:194], v[4:5], v[18:19], v[197:198]
	v_fma_f64 v[195:196], v[2:3], v[18:19], -v[20:21]
	ds_load_b128 v[2:5], v1 offset:1312
	scratch_load_b128 v[18:21], off, off offset:432
	v_fma_f64 v[40:41], v[40:41], v[22:23], v[191:192]
	v_fma_f64 v[38:39], v[38:39], v[22:23], -v[24:25]
	scratch_load_b128 v[22:25], off, off offset:448
	v_add_f64_e32 v[187:188], v[187:188], v[183:184]
	v_add_f64_e32 v[189:190], v[189:190], v[185:186]
	ds_load_b128 v[183:186], v1 offset:1328
	s_wait_loadcnt_dscnt 0xa01
	v_mul_f64_e32 v[197:198], v[2:3], v[28:29]
	v_mul_f64_e32 v[28:29], v[4:5], v[28:29]
	s_wait_loadcnt_dscnt 0x900
	v_mul_f64_e32 v[191:192], v[183:184], v[32:33]
	v_mul_f64_e32 v[32:33], v[185:186], v[32:33]
	v_add_f64_e32 v[187:188], v[187:188], v[195:196]
	v_add_f64_e32 v[189:190], v[189:190], v[193:194]
	v_fma_f64 v[193:194], v[4:5], v[26:27], v[197:198]
	v_fma_f64 v[195:196], v[2:3], v[26:27], -v[28:29]
	ds_load_b128 v[2:5], v1 offset:1344
	scratch_load_b128 v[26:29], off, off offset:464
	v_fma_f64 v[185:186], v[185:186], v[30:31], v[191:192]
	v_fma_f64 v[183:184], v[183:184], v[30:31], -v[32:33]
	scratch_load_b128 v[30:33], off, off offset:480
	v_add_f64_e32 v[187:188], v[187:188], v[38:39]
	v_add_f64_e32 v[189:190], v[189:190], v[40:41]
	ds_load_b128 v[38:41], v1 offset:1360
	s_wait_loadcnt_dscnt 0xa01
	v_mul_f64_e32 v[197:198], v[2:3], v[36:37]
	v_mul_f64_e32 v[36:37], v[4:5], v[36:37]
	s_wait_loadcnt_dscnt 0x800
	v_mul_f64_e32 v[191:192], v[38:39], v[181:182]
	v_add_f64_e32 v[187:188], v[187:188], v[195:196]
	v_add_f64_e32 v[189:190], v[189:190], v[193:194]
	v_mul_f64_e32 v[193:194], v[40:41], v[181:182]
	v_fma_f64 v[195:196], v[4:5], v[34:35], v[197:198]
	v_fma_f64 v[197:198], v[2:3], v[34:35], -v[36:37]
	ds_load_b128 v[2:5], v1 offset:1376
	scratch_load_b128 v[34:37], off, off offset:496
	v_fma_f64 v[191:192], v[40:41], v[179:180], v[191:192]
	v_add_f64_e32 v[187:188], v[187:188], v[183:184]
	v_add_f64_e32 v[185:186], v[189:190], v[185:186]
	ds_load_b128 v[181:184], v1 offset:1392
	v_fma_f64 v[179:180], v[38:39], v[179:180], -v[193:194]
	scratch_load_b128 v[38:41], off, off offset:512
	s_wait_loadcnt_dscnt 0x901
	v_mul_f64_e32 v[189:190], v[2:3], v[44:45]
	v_mul_f64_e32 v[44:45], v[4:5], v[44:45]
	s_wait_loadcnt_dscnt 0x800
	v_mul_f64_e32 v[193:194], v[181:182], v[8:9]
	v_mul_f64_e32 v[8:9], v[183:184], v[8:9]
	v_add_f64_e32 v[187:188], v[187:188], v[197:198]
	v_add_f64_e32 v[185:186], v[185:186], v[195:196]
	v_fma_f64 v[189:190], v[4:5], v[42:43], v[189:190]
	v_fma_f64 v[195:196], v[2:3], v[42:43], -v[44:45]
	ds_load_b128 v[2:5], v1 offset:1408
	scratch_load_b128 v[42:45], off, off offset:528
	v_fma_f64 v[183:184], v[183:184], v[6:7], v[193:194]
	v_fma_f64 v[181:182], v[181:182], v[6:7], -v[8:9]
	scratch_load_b128 v[6:9], off, off offset:544
	v_add_f64_e32 v[179:180], v[187:188], v[179:180]
	v_add_f64_e32 v[191:192], v[185:186], v[191:192]
	ds_load_b128 v[185:188], v1 offset:1424
	s_wait_loadcnt_dscnt 0x901
	v_mul_f64_e32 v[197:198], v[2:3], v[12:13]
	v_mul_f64_e32 v[12:13], v[4:5], v[12:13]
	v_add_f64_e32 v[179:180], v[179:180], v[195:196]
	v_add_f64_e32 v[189:190], v[191:192], v[189:190]
	s_wait_loadcnt_dscnt 0x800
	v_mul_f64_e32 v[191:192], v[185:186], v[16:17]
	v_mul_f64_e32 v[16:17], v[187:188], v[16:17]
	v_fma_f64 v[193:194], v[4:5], v[10:11], v[197:198]
	v_fma_f64 v[195:196], v[2:3], v[10:11], -v[12:13]
	ds_load_b128 v[2:5], v1 offset:1440
	scratch_load_b128 v[10:13], off, off offset:560
	v_add_f64_e32 v[197:198], v[179:180], v[181:182]
	v_add_f64_e32 v[183:184], v[189:190], v[183:184]
	ds_load_b128 v[179:182], v1 offset:1456
	s_wait_loadcnt_dscnt 0x801
	v_mul_f64_e32 v[189:190], v[2:3], v[20:21]
	v_mul_f64_e32 v[20:21], v[4:5], v[20:21]
	v_fma_f64 v[187:188], v[187:188], v[14:15], v[191:192]
	v_fma_f64 v[185:186], v[185:186], v[14:15], -v[16:17]
	scratch_load_b128 v[14:17], off, off offset:576
	v_add_f64_e32 v[191:192], v[197:198], v[195:196]
	v_add_f64_e32 v[183:184], v[183:184], v[193:194]
	s_wait_loadcnt_dscnt 0x800
	v_mul_f64_e32 v[193:194], v[179:180], v[24:25]
	v_mul_f64_e32 v[24:25], v[181:182], v[24:25]
	v_fma_f64 v[189:190], v[4:5], v[18:19], v[189:190]
	v_fma_f64 v[195:196], v[2:3], v[18:19], -v[20:21]
	ds_load_b128 v[2:5], v1 offset:1472
	scratch_load_b128 v[18:21], off, off offset:592
	v_add_f64_e32 v[191:192], v[191:192], v[185:186]
	v_add_f64_e32 v[187:188], v[183:184], v[187:188]
	ds_load_b128 v[183:186], v1 offset:1488
	s_wait_loadcnt_dscnt 0x801
	v_mul_f64_e32 v[197:198], v[2:3], v[28:29]
	v_mul_f64_e32 v[28:29], v[4:5], v[28:29]
	v_fma_f64 v[181:182], v[181:182], v[22:23], v[193:194]
	v_fma_f64 v[179:180], v[179:180], v[22:23], -v[24:25]
	scratch_load_b128 v[22:25], off, off offset:608
	;; [unrolled: 18-line block ×4, first 2 shown]
	s_wait_loadcnt_dscnt 0x800
	v_mul_f64_e32 v[191:192], v[183:184], v[8:9]
	v_mul_f64_e32 v[8:9], v[185:186], v[8:9]
	v_add_f64_e32 v[189:190], v[189:190], v[195:196]
	v_add_f64_e32 v[187:188], v[187:188], v[193:194]
	v_fma_f64 v[193:194], v[4:5], v[42:43], v[197:198]
	v_fma_f64 v[195:196], v[2:3], v[42:43], -v[44:45]
	ds_load_b128 v[2:5], v1 offset:1568
	scratch_load_b128 v[42:45], off, off offset:688
	v_fma_f64 v[185:186], v[185:186], v[6:7], v[191:192]
	v_fma_f64 v[183:184], v[183:184], v[6:7], -v[8:9]
	scratch_load_b128 v[6:9], off, off offset:704
	v_add_f64_e32 v[189:190], v[189:190], v[179:180]
	v_add_f64_e32 v[187:188], v[187:188], v[181:182]
	ds_load_b128 v[179:182], v1 offset:1584
	s_wait_loadcnt_dscnt 0x901
	v_mul_f64_e32 v[197:198], v[2:3], v[12:13]
	v_mul_f64_e32 v[12:13], v[4:5], v[12:13]
	s_wait_loadcnt_dscnt 0x800
	v_mul_f64_e32 v[191:192], v[179:180], v[16:17]
	v_mul_f64_e32 v[16:17], v[181:182], v[16:17]
	v_add_f64_e32 v[189:190], v[189:190], v[195:196]
	v_add_f64_e32 v[187:188], v[187:188], v[193:194]
	v_fma_f64 v[193:194], v[4:5], v[10:11], v[197:198]
	v_fma_f64 v[195:196], v[2:3], v[10:11], -v[12:13]
	ds_load_b128 v[2:5], v1 offset:1600
	scratch_load_b128 v[10:13], off, off offset:720
	v_fma_f64 v[181:182], v[181:182], v[14:15], v[191:192]
	v_fma_f64 v[179:180], v[179:180], v[14:15], -v[16:17]
	scratch_load_b128 v[14:17], off, off offset:736
	v_add_f64_e32 v[189:190], v[189:190], v[183:184]
	v_add_f64_e32 v[187:188], v[187:188], v[185:186]
	ds_load_b128 v[183:186], v1 offset:1616
	s_wait_loadcnt_dscnt 0x901
	v_mul_f64_e32 v[197:198], v[2:3], v[20:21]
	v_mul_f64_e32 v[20:21], v[4:5], v[20:21]
	s_wait_loadcnt_dscnt 0x800
	v_mul_f64_e32 v[191:192], v[183:184], v[24:25]
	v_mul_f64_e32 v[24:25], v[185:186], v[24:25]
	v_add_f64_e32 v[189:190], v[189:190], v[195:196]
	v_add_f64_e32 v[187:188], v[187:188], v[193:194]
	v_fma_f64 v[193:194], v[4:5], v[18:19], v[197:198]
	v_fma_f64 v[195:196], v[2:3], v[18:19], -v[20:21]
	ds_load_b128 v[2:5], v1 offset:1632
	scratch_load_b128 v[18:21], off, off offset:752
	v_fma_f64 v[185:186], v[185:186], v[22:23], v[191:192]
	v_fma_f64 v[183:184], v[183:184], v[22:23], -v[24:25]
	scratch_load_b128 v[22:25], off, off offset:768
	v_add_f64_e32 v[189:190], v[189:190], v[179:180]
	v_add_f64_e32 v[187:188], v[187:188], v[181:182]
	ds_load_b128 v[179:182], v1 offset:1648
	s_wait_loadcnt_dscnt 0x901
	v_mul_f64_e32 v[197:198], v[2:3], v[28:29]
	v_mul_f64_e32 v[28:29], v[4:5], v[28:29]
	s_wait_loadcnt_dscnt 0x800
	v_mul_f64_e32 v[191:192], v[179:180], v[32:33]
	v_mul_f64_e32 v[32:33], v[181:182], v[32:33]
	v_add_f64_e32 v[189:190], v[189:190], v[195:196]
	v_add_f64_e32 v[187:188], v[187:188], v[193:194]
	v_fma_f64 v[193:194], v[4:5], v[26:27], v[197:198]
	v_fma_f64 v[195:196], v[2:3], v[26:27], -v[28:29]
	ds_load_b128 v[2:5], v1 offset:1664
	scratch_load_b128 v[26:29], off, off offset:784
	v_fma_f64 v[181:182], v[181:182], v[30:31], v[191:192]
	v_fma_f64 v[179:180], v[179:180], v[30:31], -v[32:33]
	scratch_load_b128 v[30:33], off, off offset:800
	v_add_f64_e32 v[189:190], v[189:190], v[183:184]
	v_add_f64_e32 v[187:188], v[187:188], v[185:186]
	ds_load_b128 v[183:186], v1 offset:1680
	s_wait_loadcnt_dscnt 0x901
	v_mul_f64_e32 v[197:198], v[2:3], v[36:37]
	v_mul_f64_e32 v[36:37], v[4:5], v[36:37]
	s_wait_loadcnt_dscnt 0x800
	v_mul_f64_e32 v[191:192], v[183:184], v[40:41]
	v_mul_f64_e32 v[40:41], v[185:186], v[40:41]
	v_add_f64_e32 v[189:190], v[189:190], v[195:196]
	v_add_f64_e32 v[187:188], v[187:188], v[193:194]
	v_fma_f64 v[193:194], v[4:5], v[34:35], v[197:198]
	v_fma_f64 v[195:196], v[2:3], v[34:35], -v[36:37]
	ds_load_b128 v[2:5], v1 offset:1696
	scratch_load_b128 v[34:37], off, off offset:816
	v_fma_f64 v[185:186], v[185:186], v[38:39], v[191:192]
	v_fma_f64 v[183:184], v[183:184], v[38:39], -v[40:41]
	scratch_load_b128 v[38:41], off, off offset:832
	v_add_f64_e32 v[189:190], v[189:190], v[179:180]
	v_add_f64_e32 v[187:188], v[187:188], v[181:182]
	ds_load_b128 v[179:182], v1 offset:1712
	s_wait_loadcnt_dscnt 0x901
	v_mul_f64_e32 v[197:198], v[2:3], v[44:45]
	v_mul_f64_e32 v[44:45], v[4:5], v[44:45]
	s_wait_loadcnt_dscnt 0x800
	v_mul_f64_e32 v[191:192], v[179:180], v[8:9]
	v_mul_f64_e32 v[8:9], v[181:182], v[8:9]
	v_add_f64_e32 v[189:190], v[189:190], v[195:196]
	v_add_f64_e32 v[187:188], v[187:188], v[193:194]
	v_fma_f64 v[193:194], v[4:5], v[42:43], v[197:198]
	v_fma_f64 v[195:196], v[2:3], v[42:43], -v[44:45]
	ds_load_b128 v[2:5], v1 offset:1728
	scratch_load_b128 v[42:45], off, off offset:848
	v_fma_f64 v[181:182], v[181:182], v[6:7], v[191:192]
	v_fma_f64 v[179:180], v[179:180], v[6:7], -v[8:9]
	scratch_load_b128 v[6:9], off, off offset:864
	v_add_f64_e32 v[189:190], v[189:190], v[183:184]
	v_add_f64_e32 v[187:188], v[187:188], v[185:186]
	ds_load_b128 v[183:186], v1 offset:1744
	s_wait_loadcnt_dscnt 0x901
	v_mul_f64_e32 v[197:198], v[2:3], v[12:13]
	v_mul_f64_e32 v[12:13], v[4:5], v[12:13]
	s_wait_loadcnt_dscnt 0x800
	v_mul_f64_e32 v[191:192], v[183:184], v[16:17]
	v_mul_f64_e32 v[16:17], v[185:186], v[16:17]
	v_add_f64_e32 v[189:190], v[189:190], v[195:196]
	v_add_f64_e32 v[187:188], v[187:188], v[193:194]
	v_fma_f64 v[193:194], v[4:5], v[10:11], v[197:198]
	v_fma_f64 v[195:196], v[2:3], v[10:11], -v[12:13]
	ds_load_b128 v[2:5], v1 offset:1760
	scratch_load_b128 v[10:13], off, off offset:880
	v_fma_f64 v[185:186], v[185:186], v[14:15], v[191:192]
	v_fma_f64 v[183:184], v[183:184], v[14:15], -v[16:17]
	scratch_load_b128 v[14:17], off, off offset:896
	v_add_f64_e32 v[189:190], v[189:190], v[179:180]
	v_add_f64_e32 v[187:188], v[187:188], v[181:182]
	ds_load_b128 v[179:182], v1 offset:1776
	s_wait_loadcnt_dscnt 0x901
	v_mul_f64_e32 v[197:198], v[2:3], v[20:21]
	v_mul_f64_e32 v[20:21], v[4:5], v[20:21]
	s_wait_loadcnt_dscnt 0x800
	v_mul_f64_e32 v[191:192], v[179:180], v[24:25]
	v_mul_f64_e32 v[24:25], v[181:182], v[24:25]
	v_add_f64_e32 v[189:190], v[189:190], v[195:196]
	v_add_f64_e32 v[187:188], v[187:188], v[193:194]
	v_fma_f64 v[193:194], v[4:5], v[18:19], v[197:198]
	v_fma_f64 v[195:196], v[2:3], v[18:19], -v[20:21]
	ds_load_b128 v[2:5], v1 offset:1792
	scratch_load_b128 v[18:21], off, off offset:912
	v_fma_f64 v[181:182], v[181:182], v[22:23], v[191:192]
	v_fma_f64 v[179:180], v[179:180], v[22:23], -v[24:25]
	scratch_load_b128 v[22:25], off, off offset:928
	v_add_f64_e32 v[189:190], v[189:190], v[183:184]
	v_add_f64_e32 v[187:188], v[187:188], v[185:186]
	ds_load_b128 v[183:186], v1 offset:1808
	s_wait_loadcnt_dscnt 0x901
	v_mul_f64_e32 v[197:198], v[2:3], v[28:29]
	v_mul_f64_e32 v[28:29], v[4:5], v[28:29]
	s_wait_loadcnt_dscnt 0x800
	v_mul_f64_e32 v[191:192], v[183:184], v[32:33]
	v_mul_f64_e32 v[32:33], v[185:186], v[32:33]
	v_add_f64_e32 v[189:190], v[189:190], v[195:196]
	v_add_f64_e32 v[187:188], v[187:188], v[193:194]
	v_fma_f64 v[193:194], v[4:5], v[26:27], v[197:198]
	v_fma_f64 v[195:196], v[2:3], v[26:27], -v[28:29]
	ds_load_b128 v[2:5], v1 offset:1824
	scratch_load_b128 v[26:29], off, off offset:944
	v_fma_f64 v[185:186], v[185:186], v[30:31], v[191:192]
	v_fma_f64 v[183:184], v[183:184], v[30:31], -v[32:33]
	scratch_load_b128 v[30:33], off, off offset:960
	v_add_f64_e32 v[189:190], v[189:190], v[179:180]
	v_add_f64_e32 v[187:188], v[187:188], v[181:182]
	ds_load_b128 v[179:182], v1 offset:1840
	s_wait_loadcnt_dscnt 0x901
	v_mul_f64_e32 v[197:198], v[2:3], v[36:37]
	v_mul_f64_e32 v[36:37], v[4:5], v[36:37]
	s_wait_loadcnt_dscnt 0x800
	v_mul_f64_e32 v[191:192], v[179:180], v[40:41]
	v_mul_f64_e32 v[40:41], v[181:182], v[40:41]
	v_add_f64_e32 v[189:190], v[189:190], v[195:196]
	v_add_f64_e32 v[187:188], v[187:188], v[193:194]
	v_fma_f64 v[193:194], v[4:5], v[34:35], v[197:198]
	v_fma_f64 v[195:196], v[2:3], v[34:35], -v[36:37]
	ds_load_b128 v[2:5], v1 offset:1856
	scratch_load_b128 v[34:37], off, off offset:976
	v_fma_f64 v[181:182], v[181:182], v[38:39], v[191:192]
	v_fma_f64 v[179:180], v[179:180], v[38:39], -v[40:41]
	scratch_load_b128 v[38:41], off, off offset:992
	v_add_f64_e32 v[189:190], v[189:190], v[183:184]
	v_add_f64_e32 v[187:188], v[187:188], v[185:186]
	ds_load_b128 v[183:186], v1 offset:1872
	s_wait_loadcnt_dscnt 0x901
	v_mul_f64_e32 v[197:198], v[2:3], v[44:45]
	v_mul_f64_e32 v[44:45], v[4:5], v[44:45]
	s_wait_loadcnt_dscnt 0x800
	v_mul_f64_e32 v[191:192], v[183:184], v[8:9]
	v_mul_f64_e32 v[8:9], v[185:186], v[8:9]
	v_add_f64_e32 v[189:190], v[189:190], v[195:196]
	v_add_f64_e32 v[187:188], v[187:188], v[193:194]
	v_fma_f64 v[193:194], v[4:5], v[42:43], v[197:198]
	v_fma_f64 v[195:196], v[2:3], v[42:43], -v[44:45]
	ds_load_b128 v[2:5], v1 offset:1888
	scratch_load_b128 v[42:45], off, off offset:1008
	v_fma_f64 v[185:186], v[185:186], v[6:7], v[191:192]
	v_fma_f64 v[183:184], v[183:184], v[6:7], -v[8:9]
	scratch_load_b128 v[6:9], off, off offset:1024
	v_add_f64_e32 v[189:190], v[189:190], v[179:180]
	v_add_f64_e32 v[187:188], v[187:188], v[181:182]
	ds_load_b128 v[179:182], v1 offset:1904
	s_wait_loadcnt_dscnt 0x901
	v_mul_f64_e32 v[197:198], v[2:3], v[12:13]
	v_mul_f64_e32 v[12:13], v[4:5], v[12:13]
	s_wait_loadcnt_dscnt 0x800
	v_mul_f64_e32 v[191:192], v[179:180], v[16:17]
	v_mul_f64_e32 v[16:17], v[181:182], v[16:17]
	v_add_f64_e32 v[189:190], v[189:190], v[195:196]
	v_add_f64_e32 v[187:188], v[187:188], v[193:194]
	v_fma_f64 v[193:194], v[4:5], v[10:11], v[197:198]
	v_fma_f64 v[195:196], v[2:3], v[10:11], -v[12:13]
	ds_load_b128 v[2:5], v1 offset:1920
	ds_load_b128 v[10:13], v1 offset:1936
	v_fma_f64 v[181:182], v[181:182], v[14:15], v[191:192]
	v_fma_f64 v[14:15], v[179:180], v[14:15], -v[16:17]
	v_add_f64_e32 v[183:184], v[189:190], v[183:184]
	v_add_f64_e32 v[185:186], v[187:188], v[185:186]
	s_wait_loadcnt_dscnt 0x701
	v_mul_f64_e32 v[187:188], v[2:3], v[20:21]
	v_mul_f64_e32 v[20:21], v[4:5], v[20:21]
	s_delay_alu instid0(VALU_DEP_4) | instskip(NEXT) | instid1(VALU_DEP_4)
	v_add_f64_e32 v[16:17], v[183:184], v[195:196]
	v_add_f64_e32 v[179:180], v[185:186], v[193:194]
	s_wait_loadcnt_dscnt 0x600
	v_mul_f64_e32 v[183:184], v[10:11], v[24:25]
	v_mul_f64_e32 v[24:25], v[12:13], v[24:25]
	v_fma_f64 v[185:186], v[4:5], v[18:19], v[187:188]
	v_fma_f64 v[18:19], v[2:3], v[18:19], -v[20:21]
	v_add_f64_e32 v[20:21], v[16:17], v[14:15]
	v_add_f64_e32 v[179:180], v[179:180], v[181:182]
	ds_load_b128 v[2:5], v1 offset:1952
	ds_load_b128 v[14:17], v1 offset:1968
	v_fma_f64 v[12:13], v[12:13], v[22:23], v[183:184]
	v_fma_f64 v[10:11], v[10:11], v[22:23], -v[24:25]
	s_wait_loadcnt_dscnt 0x501
	v_mul_f64_e32 v[181:182], v[2:3], v[28:29]
	v_mul_f64_e32 v[28:29], v[4:5], v[28:29]
	s_wait_loadcnt_dscnt 0x400
	v_mul_f64_e32 v[22:23], v[14:15], v[32:33]
	v_mul_f64_e32 v[24:25], v[16:17], v[32:33]
	v_add_f64_e32 v[18:19], v[20:21], v[18:19]
	v_add_f64_e32 v[20:21], v[179:180], v[185:186]
	v_fma_f64 v[32:33], v[4:5], v[26:27], v[181:182]
	v_fma_f64 v[26:27], v[2:3], v[26:27], -v[28:29]
	v_fma_f64 v[16:17], v[16:17], v[30:31], v[22:23]
	v_fma_f64 v[14:15], v[14:15], v[30:31], -v[24:25]
	v_add_f64_e32 v[18:19], v[18:19], v[10:11]
	v_add_f64_e32 v[20:21], v[20:21], v[12:13]
	ds_load_b128 v[2:5], v1 offset:1984
	ds_load_b128 v[10:13], v1 offset:2000
	s_wait_loadcnt_dscnt 0x301
	v_mul_f64_e32 v[28:29], v[2:3], v[36:37]
	v_mul_f64_e32 v[36:37], v[4:5], v[36:37]
	s_wait_loadcnt_dscnt 0x200
	v_mul_f64_e32 v[22:23], v[10:11], v[40:41]
	v_mul_f64_e32 v[24:25], v[12:13], v[40:41]
	v_add_f64_e32 v[18:19], v[18:19], v[26:27]
	v_add_f64_e32 v[20:21], v[20:21], v[32:33]
	v_fma_f64 v[26:27], v[4:5], v[34:35], v[28:29]
	v_fma_f64 v[28:29], v[2:3], v[34:35], -v[36:37]
	v_fma_f64 v[12:13], v[12:13], v[38:39], v[22:23]
	v_fma_f64 v[10:11], v[10:11], v[38:39], -v[24:25]
	v_add_f64_e32 v[18:19], v[18:19], v[14:15]
	v_add_f64_e32 v[20:21], v[20:21], v[16:17]
	ds_load_b128 v[2:5], v1 offset:2016
	ds_load_b128 v[14:17], v1 offset:2032
	s_wait_loadcnt_dscnt 0x101
	v_mul_f64_e32 v[30:31], v[2:3], v[44:45]
	v_mul_f64_e32 v[32:33], v[4:5], v[44:45]
	s_wait_loadcnt_dscnt 0x0
	v_mul_f64_e32 v[22:23], v[14:15], v[8:9]
	v_mul_f64_e32 v[8:9], v[16:17], v[8:9]
	v_add_f64_e32 v[18:19], v[18:19], v[28:29]
	v_add_f64_e32 v[20:21], v[20:21], v[26:27]
	v_fma_f64 v[4:5], v[4:5], v[42:43], v[30:31]
	v_fma_f64 v[1:2], v[2:3], v[42:43], -v[32:33]
	v_fma_f64 v[16:17], v[16:17], v[6:7], v[22:23]
	v_fma_f64 v[6:7], v[14:15], v[6:7], -v[8:9]
	v_add_f64_e32 v[10:11], v[18:19], v[10:11]
	v_add_f64_e32 v[12:13], v[20:21], v[12:13]
	s_delay_alu instid0(VALU_DEP_2) | instskip(NEXT) | instid1(VALU_DEP_2)
	v_add_f64_e32 v[1:2], v[10:11], v[1:2]
	v_add_f64_e32 v[3:4], v[12:13], v[4:5]
	s_delay_alu instid0(VALU_DEP_2) | instskip(NEXT) | instid1(VALU_DEP_2)
	;; [unrolled: 3-line block ×3, first 2 shown]
	v_add_f64_e64 v[1:2], v[175:176], -v[1:2]
	v_add_f64_e64 v[3:4], v[177:178], -v[3:4]
	scratch_store_b128 off, v[1:4], off offset:192
	v_cmpx_lt_u32_e32 10, v0
	s_cbranch_execz .LBB127_389
; %bb.388:
	scratch_load_b128 v[1:4], off, s69
	v_mov_b32_e32 v5, 0
	s_delay_alu instid0(VALU_DEP_1)
	v_dual_mov_b32 v6, v5 :: v_dual_mov_b32 v7, v5
	v_mov_b32_e32 v8, v5
	scratch_store_b128 off, v[5:8], off offset:176
	s_wait_loadcnt 0x0
	ds_store_b128 v174, v[1:4]
.LBB127_389:
	s_wait_alu 0xfffe
	s_or_b32 exec_lo, exec_lo, s0
	s_wait_storecnt_dscnt 0x0
	s_barrier_signal -1
	s_barrier_wait -1
	global_inv scope:SCOPE_SE
	s_clause 0x7
	scratch_load_b128 v[2:5], off, off offset:192
	scratch_load_b128 v[6:9], off, off offset:208
	;; [unrolled: 1-line block ×8, first 2 shown]
	v_mov_b32_e32 v1, 0
	s_mov_b32 s0, exec_lo
	ds_load_b128 v[38:41], v1 offset:1200
	s_clause 0x1
	scratch_load_b128 v[34:37], off, off offset:320
	scratch_load_b128 v[42:45], off, off offset:176
	ds_load_b128 v[175:178], v1 offset:1216
	scratch_load_b128 v[179:182], off, off offset:336
	s_wait_loadcnt_dscnt 0xa01
	v_mul_f64_e32 v[183:184], v[40:41], v[4:5]
	v_mul_f64_e32 v[4:5], v[38:39], v[4:5]
	s_delay_alu instid0(VALU_DEP_2) | instskip(NEXT) | instid1(VALU_DEP_2)
	v_fma_f64 v[189:190], v[38:39], v[2:3], -v[183:184]
	v_fma_f64 v[191:192], v[40:41], v[2:3], v[4:5]
	ds_load_b128 v[2:5], v1 offset:1232
	s_wait_loadcnt_dscnt 0x901
	v_mul_f64_e32 v[187:188], v[175:176], v[8:9]
	v_mul_f64_e32 v[8:9], v[177:178], v[8:9]
	scratch_load_b128 v[38:41], off, off offset:352
	ds_load_b128 v[183:186], v1 offset:1248
	s_wait_loadcnt_dscnt 0x901
	v_mul_f64_e32 v[193:194], v[2:3], v[12:13]
	v_mul_f64_e32 v[12:13], v[4:5], v[12:13]
	v_fma_f64 v[177:178], v[177:178], v[6:7], v[187:188]
	v_fma_f64 v[175:176], v[175:176], v[6:7], -v[8:9]
	v_add_f64_e32 v[187:188], 0, v[189:190]
	v_add_f64_e32 v[189:190], 0, v[191:192]
	scratch_load_b128 v[6:9], off, off offset:368
	v_fma_f64 v[193:194], v[4:5], v[10:11], v[193:194]
	v_fma_f64 v[195:196], v[2:3], v[10:11], -v[12:13]
	ds_load_b128 v[2:5], v1 offset:1264
	s_wait_loadcnt_dscnt 0x901
	v_mul_f64_e32 v[191:192], v[183:184], v[16:17]
	v_mul_f64_e32 v[16:17], v[185:186], v[16:17]
	scratch_load_b128 v[10:13], off, off offset:384
	v_add_f64_e32 v[187:188], v[187:188], v[175:176]
	v_add_f64_e32 v[189:190], v[189:190], v[177:178]
	s_wait_loadcnt_dscnt 0x900
	v_mul_f64_e32 v[197:198], v[2:3], v[20:21]
	v_mul_f64_e32 v[20:21], v[4:5], v[20:21]
	ds_load_b128 v[175:178], v1 offset:1280
	v_fma_f64 v[185:186], v[185:186], v[14:15], v[191:192]
	v_fma_f64 v[183:184], v[183:184], v[14:15], -v[16:17]
	scratch_load_b128 v[14:17], off, off offset:400
	v_add_f64_e32 v[187:188], v[187:188], v[195:196]
	v_add_f64_e32 v[189:190], v[189:190], v[193:194]
	v_fma_f64 v[193:194], v[4:5], v[18:19], v[197:198]
	v_fma_f64 v[195:196], v[2:3], v[18:19], -v[20:21]
	ds_load_b128 v[2:5], v1 offset:1296
	s_wait_loadcnt_dscnt 0x901
	v_mul_f64_e32 v[191:192], v[175:176], v[24:25]
	v_mul_f64_e32 v[24:25], v[177:178], v[24:25]
	scratch_load_b128 v[18:21], off, off offset:416
	s_wait_loadcnt_dscnt 0x900
	v_mul_f64_e32 v[197:198], v[2:3], v[28:29]
	v_mul_f64_e32 v[28:29], v[4:5], v[28:29]
	v_add_f64_e32 v[187:188], v[187:188], v[183:184]
	v_add_f64_e32 v[189:190], v[189:190], v[185:186]
	ds_load_b128 v[183:186], v1 offset:1312
	v_fma_f64 v[177:178], v[177:178], v[22:23], v[191:192]
	v_fma_f64 v[175:176], v[175:176], v[22:23], -v[24:25]
	scratch_load_b128 v[22:25], off, off offset:432
	v_add_f64_e32 v[187:188], v[187:188], v[195:196]
	v_add_f64_e32 v[189:190], v[189:190], v[193:194]
	v_fma_f64 v[193:194], v[4:5], v[26:27], v[197:198]
	v_fma_f64 v[195:196], v[2:3], v[26:27], -v[28:29]
	ds_load_b128 v[2:5], v1 offset:1328
	s_wait_loadcnt_dscnt 0x901
	v_mul_f64_e32 v[191:192], v[183:184], v[32:33]
	v_mul_f64_e32 v[32:33], v[185:186], v[32:33]
	scratch_load_b128 v[26:29], off, off offset:448
	s_wait_loadcnt_dscnt 0x900
	v_mul_f64_e32 v[197:198], v[2:3], v[36:37]
	v_mul_f64_e32 v[36:37], v[4:5], v[36:37]
	v_add_f64_e32 v[187:188], v[187:188], v[175:176]
	v_add_f64_e32 v[189:190], v[189:190], v[177:178]
	ds_load_b128 v[175:178], v1 offset:1344
	v_fma_f64 v[185:186], v[185:186], v[30:31], v[191:192]
	v_fma_f64 v[183:184], v[183:184], v[30:31], -v[32:33]
	scratch_load_b128 v[30:33], off, off offset:464
	v_add_f64_e32 v[187:188], v[187:188], v[195:196]
	v_add_f64_e32 v[189:190], v[189:190], v[193:194]
	v_fma_f64 v[195:196], v[4:5], v[34:35], v[197:198]
	v_fma_f64 v[197:198], v[2:3], v[34:35], -v[36:37]
	ds_load_b128 v[2:5], v1 offset:1360
	s_wait_loadcnt_dscnt 0x801
	v_mul_f64_e32 v[191:192], v[175:176], v[181:182]
	v_mul_f64_e32 v[193:194], v[177:178], v[181:182]
	scratch_load_b128 v[34:37], off, off offset:480
	v_add_f64_e32 v[187:188], v[187:188], v[183:184]
	v_add_f64_e32 v[185:186], v[189:190], v[185:186]
	ds_load_b128 v[181:184], v1 offset:1376
	v_fma_f64 v[191:192], v[177:178], v[179:180], v[191:192]
	v_fma_f64 v[179:180], v[175:176], v[179:180], -v[193:194]
	scratch_load_b128 v[175:178], off, off offset:496
	s_wait_loadcnt_dscnt 0x901
	v_mul_f64_e32 v[189:190], v[2:3], v[40:41]
	v_mul_f64_e32 v[40:41], v[4:5], v[40:41]
	v_add_f64_e32 v[187:188], v[187:188], v[197:198]
	v_add_f64_e32 v[185:186], v[185:186], v[195:196]
	s_delay_alu instid0(VALU_DEP_4) | instskip(NEXT) | instid1(VALU_DEP_4)
	v_fma_f64 v[189:190], v[4:5], v[38:39], v[189:190]
	v_fma_f64 v[195:196], v[2:3], v[38:39], -v[40:41]
	ds_load_b128 v[2:5], v1 offset:1392
	s_wait_loadcnt_dscnt 0x801
	v_mul_f64_e32 v[193:194], v[181:182], v[8:9]
	v_mul_f64_e32 v[8:9], v[183:184], v[8:9]
	scratch_load_b128 v[38:41], off, off offset:512
	s_wait_loadcnt_dscnt 0x800
	v_mul_f64_e32 v[197:198], v[2:3], v[12:13]
	v_add_f64_e32 v[179:180], v[187:188], v[179:180]
	v_add_f64_e32 v[191:192], v[185:186], v[191:192]
	v_mul_f64_e32 v[12:13], v[4:5], v[12:13]
	ds_load_b128 v[185:188], v1 offset:1408
	v_fma_f64 v[183:184], v[183:184], v[6:7], v[193:194]
	v_fma_f64 v[181:182], v[181:182], v[6:7], -v[8:9]
	scratch_load_b128 v[6:9], off, off offset:528
	v_fma_f64 v[193:194], v[4:5], v[10:11], v[197:198]
	v_add_f64_e32 v[179:180], v[179:180], v[195:196]
	v_add_f64_e32 v[189:190], v[191:192], v[189:190]
	v_fma_f64 v[195:196], v[2:3], v[10:11], -v[12:13]
	ds_load_b128 v[2:5], v1 offset:1424
	s_wait_loadcnt_dscnt 0x801
	v_mul_f64_e32 v[191:192], v[185:186], v[16:17]
	v_mul_f64_e32 v[16:17], v[187:188], v[16:17]
	scratch_load_b128 v[10:13], off, off offset:544
	v_add_f64_e32 v[197:198], v[179:180], v[181:182]
	v_add_f64_e32 v[183:184], v[189:190], v[183:184]
	s_wait_loadcnt_dscnt 0x800
	v_mul_f64_e32 v[189:190], v[2:3], v[20:21]
	v_mul_f64_e32 v[20:21], v[4:5], v[20:21]
	v_fma_f64 v[187:188], v[187:188], v[14:15], v[191:192]
	v_fma_f64 v[185:186], v[185:186], v[14:15], -v[16:17]
	ds_load_b128 v[179:182], v1 offset:1440
	scratch_load_b128 v[14:17], off, off offset:560
	v_add_f64_e32 v[191:192], v[197:198], v[195:196]
	v_add_f64_e32 v[183:184], v[183:184], v[193:194]
	v_fma_f64 v[189:190], v[4:5], v[18:19], v[189:190]
	v_fma_f64 v[195:196], v[2:3], v[18:19], -v[20:21]
	ds_load_b128 v[2:5], v1 offset:1456
	s_wait_loadcnt_dscnt 0x801
	v_mul_f64_e32 v[193:194], v[179:180], v[24:25]
	v_mul_f64_e32 v[24:25], v[181:182], v[24:25]
	scratch_load_b128 v[18:21], off, off offset:576
	s_wait_loadcnt_dscnt 0x800
	v_mul_f64_e32 v[197:198], v[2:3], v[28:29]
	v_mul_f64_e32 v[28:29], v[4:5], v[28:29]
	v_add_f64_e32 v[191:192], v[191:192], v[185:186]
	v_add_f64_e32 v[187:188], v[183:184], v[187:188]
	ds_load_b128 v[183:186], v1 offset:1472
	v_fma_f64 v[181:182], v[181:182], v[22:23], v[193:194]
	v_fma_f64 v[179:180], v[179:180], v[22:23], -v[24:25]
	scratch_load_b128 v[22:25], off, off offset:592
	v_fma_f64 v[193:194], v[4:5], v[26:27], v[197:198]
	v_add_f64_e32 v[191:192], v[191:192], v[195:196]
	v_add_f64_e32 v[187:188], v[187:188], v[189:190]
	v_fma_f64 v[195:196], v[2:3], v[26:27], -v[28:29]
	ds_load_b128 v[2:5], v1 offset:1488
	s_wait_loadcnt_dscnt 0x801
	v_mul_f64_e32 v[189:190], v[183:184], v[32:33]
	v_mul_f64_e32 v[32:33], v[185:186], v[32:33]
	scratch_load_b128 v[26:29], off, off offset:608
	s_wait_loadcnt_dscnt 0x800
	v_mul_f64_e32 v[197:198], v[2:3], v[36:37]
	v_mul_f64_e32 v[36:37], v[4:5], v[36:37]
	v_add_f64_e32 v[191:192], v[191:192], v[179:180]
	v_add_f64_e32 v[187:188], v[187:188], v[181:182]
	ds_load_b128 v[179:182], v1 offset:1504
	v_fma_f64 v[185:186], v[185:186], v[30:31], v[189:190]
	v_fma_f64 v[183:184], v[183:184], v[30:31], -v[32:33]
	scratch_load_b128 v[30:33], off, off offset:624
	v_add_f64_e32 v[189:190], v[191:192], v[195:196]
	v_add_f64_e32 v[187:188], v[187:188], v[193:194]
	v_fma_f64 v[193:194], v[4:5], v[34:35], v[197:198]
	v_fma_f64 v[195:196], v[2:3], v[34:35], -v[36:37]
	ds_load_b128 v[2:5], v1 offset:1520
	s_wait_loadcnt_dscnt 0x801
	v_mul_f64_e32 v[191:192], v[179:180], v[177:178]
	v_mul_f64_e32 v[177:178], v[181:182], v[177:178]
	scratch_load_b128 v[34:37], off, off offset:640
	s_wait_loadcnt_dscnt 0x800
	v_mul_f64_e32 v[197:198], v[2:3], v[40:41]
	v_mul_f64_e32 v[40:41], v[4:5], v[40:41]
	v_add_f64_e32 v[189:190], v[189:190], v[183:184]
	v_add_f64_e32 v[187:188], v[187:188], v[185:186]
	ds_load_b128 v[183:186], v1 offset:1536
	v_fma_f64 v[181:182], v[181:182], v[175:176], v[191:192]
	v_fma_f64 v[179:180], v[179:180], v[175:176], -v[177:178]
	scratch_load_b128 v[175:178], off, off offset:656
	v_add_f64_e32 v[189:190], v[189:190], v[195:196]
	v_add_f64_e32 v[187:188], v[187:188], v[193:194]
	v_fma_f64 v[193:194], v[4:5], v[38:39], v[197:198]
	;; [unrolled: 18-line block ×6, first 2 shown]
	v_fma_f64 v[197:198], v[2:3], v[34:35], -v[36:37]
	ds_load_b128 v[2:5], v1 offset:1680
	s_wait_loadcnt_dscnt 0x801
	v_mul_f64_e32 v[191:192], v[183:184], v[177:178]
	v_mul_f64_e32 v[193:194], v[185:186], v[177:178]
	scratch_load_b128 v[34:37], off, off offset:800
	v_add_f64_e32 v[189:190], v[189:190], v[179:180]
	v_add_f64_e32 v[181:182], v[187:188], v[181:182]
	s_wait_loadcnt_dscnt 0x800
	v_mul_f64_e32 v[187:188], v[2:3], v[40:41]
	v_mul_f64_e32 v[40:41], v[4:5], v[40:41]
	ds_load_b128 v[177:180], v1 offset:1696
	v_fma_f64 v[185:186], v[185:186], v[175:176], v[191:192]
	v_fma_f64 v[175:176], v[183:184], v[175:176], -v[193:194]
	v_add_f64_e32 v[189:190], v[189:190], v[197:198]
	v_add_f64_e32 v[191:192], v[181:182], v[195:196]
	scratch_load_b128 v[181:184], off, off offset:816
	v_fma_f64 v[195:196], v[4:5], v[38:39], v[187:188]
	v_fma_f64 v[197:198], v[2:3], v[38:39], -v[40:41]
	ds_load_b128 v[2:5], v1 offset:1712
	s_wait_loadcnt_dscnt 0x801
	v_mul_f64_e32 v[193:194], v[177:178], v[8:9]
	v_mul_f64_e32 v[8:9], v[179:180], v[8:9]
	scratch_load_b128 v[38:41], off, off offset:832
	v_add_f64_e32 v[175:176], v[189:190], v[175:176]
	v_add_f64_e32 v[189:190], v[191:192], v[185:186]
	s_wait_loadcnt_dscnt 0x800
	v_mul_f64_e32 v[191:192], v[2:3], v[12:13]
	v_mul_f64_e32 v[12:13], v[4:5], v[12:13]
	ds_load_b128 v[185:188], v1 offset:1728
	v_fma_f64 v[179:180], v[179:180], v[6:7], v[193:194]
	v_fma_f64 v[177:178], v[177:178], v[6:7], -v[8:9]
	scratch_load_b128 v[6:9], off, off offset:848
	v_add_f64_e32 v[175:176], v[175:176], v[197:198]
	v_add_f64_e32 v[189:190], v[189:190], v[195:196]
	v_fma_f64 v[191:192], v[4:5], v[10:11], v[191:192]
	v_fma_f64 v[195:196], v[2:3], v[10:11], -v[12:13]
	ds_load_b128 v[2:5], v1 offset:1744
	s_wait_loadcnt_dscnt 0x801
	v_mul_f64_e32 v[193:194], v[185:186], v[16:17]
	v_mul_f64_e32 v[16:17], v[187:188], v[16:17]
	scratch_load_b128 v[10:13], off, off offset:864
	v_add_f64_e32 v[197:198], v[175:176], v[177:178]
	v_add_f64_e32 v[179:180], v[189:190], v[179:180]
	s_wait_loadcnt_dscnt 0x800
	v_mul_f64_e32 v[189:190], v[2:3], v[20:21]
	v_mul_f64_e32 v[20:21], v[4:5], v[20:21]
	ds_load_b128 v[175:178], v1 offset:1760
	v_fma_f64 v[187:188], v[187:188], v[14:15], v[193:194]
	v_fma_f64 v[185:186], v[185:186], v[14:15], -v[16:17]
	scratch_load_b128 v[14:17], off, off offset:880
	v_add_f64_e32 v[193:194], v[197:198], v[195:196]
	v_add_f64_e32 v[179:180], v[179:180], v[191:192]
	v_fma_f64 v[189:190], v[4:5], v[18:19], v[189:190]
	v_fma_f64 v[195:196], v[2:3], v[18:19], -v[20:21]
	ds_load_b128 v[2:5], v1 offset:1776
	s_wait_loadcnt_dscnt 0x801
	v_mul_f64_e32 v[191:192], v[175:176], v[24:25]
	v_mul_f64_e32 v[24:25], v[177:178], v[24:25]
	scratch_load_b128 v[18:21], off, off offset:896
	s_wait_loadcnt_dscnt 0x800
	v_mul_f64_e32 v[197:198], v[2:3], v[28:29]
	v_mul_f64_e32 v[28:29], v[4:5], v[28:29]
	v_add_f64_e32 v[193:194], v[193:194], v[185:186]
	v_add_f64_e32 v[179:180], v[179:180], v[187:188]
	ds_load_b128 v[185:188], v1 offset:1792
	v_fma_f64 v[177:178], v[177:178], v[22:23], v[191:192]
	v_fma_f64 v[175:176], v[175:176], v[22:23], -v[24:25]
	scratch_load_b128 v[22:25], off, off offset:912
	v_add_f64_e32 v[191:192], v[193:194], v[195:196]
	v_add_f64_e32 v[179:180], v[179:180], v[189:190]
	v_fma_f64 v[193:194], v[4:5], v[26:27], v[197:198]
	v_fma_f64 v[195:196], v[2:3], v[26:27], -v[28:29]
	ds_load_b128 v[2:5], v1 offset:1808
	s_wait_loadcnt_dscnt 0x801
	v_mul_f64_e32 v[189:190], v[185:186], v[32:33]
	v_mul_f64_e32 v[32:33], v[187:188], v[32:33]
	scratch_load_b128 v[26:29], off, off offset:928
	s_wait_loadcnt_dscnt 0x800
	v_mul_f64_e32 v[197:198], v[2:3], v[36:37]
	v_mul_f64_e32 v[36:37], v[4:5], v[36:37]
	v_add_f64_e32 v[191:192], v[191:192], v[175:176]
	v_add_f64_e32 v[179:180], v[179:180], v[177:178]
	ds_load_b128 v[175:178], v1 offset:1824
	v_fma_f64 v[187:188], v[187:188], v[30:31], v[189:190]
	v_fma_f64 v[185:186], v[185:186], v[30:31], -v[32:33]
	scratch_load_b128 v[30:33], off, off offset:944
	v_add_f64_e32 v[189:190], v[191:192], v[195:196]
	v_add_f64_e32 v[179:180], v[179:180], v[193:194]
	v_fma_f64 v[195:196], v[4:5], v[34:35], v[197:198]
	v_fma_f64 v[197:198], v[2:3], v[34:35], -v[36:37]
	ds_load_b128 v[2:5], v1 offset:1840
	scratch_load_b128 v[34:37], off, off offset:960
	s_wait_loadcnt_dscnt 0x901
	v_mul_f64_e32 v[191:192], v[175:176], v[183:184]
	v_mul_f64_e32 v[193:194], v[177:178], v[183:184]
	v_add_f64_e32 v[189:190], v[189:190], v[185:186]
	v_add_f64_e32 v[179:180], v[179:180], v[187:188]
	s_wait_loadcnt_dscnt 0x800
	v_mul_f64_e32 v[187:188], v[2:3], v[40:41]
	v_mul_f64_e32 v[40:41], v[4:5], v[40:41]
	ds_load_b128 v[183:186], v1 offset:1856
	v_fma_f64 v[191:192], v[177:178], v[181:182], v[191:192]
	v_fma_f64 v[181:182], v[175:176], v[181:182], -v[193:194]
	scratch_load_b128 v[175:178], off, off offset:976
	v_add_f64_e32 v[189:190], v[189:190], v[197:198]
	v_add_f64_e32 v[179:180], v[179:180], v[195:196]
	v_fma_f64 v[187:188], v[4:5], v[38:39], v[187:188]
	v_fma_f64 v[195:196], v[2:3], v[38:39], -v[40:41]
	ds_load_b128 v[2:5], v1 offset:1872
	s_wait_loadcnt_dscnt 0x801
	v_mul_f64_e32 v[193:194], v[183:184], v[8:9]
	v_mul_f64_e32 v[8:9], v[185:186], v[8:9]
	scratch_load_b128 v[38:41], off, off offset:992
	s_wait_loadcnt_dscnt 0x800
	v_mul_f64_e32 v[197:198], v[2:3], v[12:13]
	v_mul_f64_e32 v[12:13], v[4:5], v[12:13]
	v_add_f64_e32 v[189:190], v[189:190], v[181:182]
	v_add_f64_e32 v[191:192], v[179:180], v[191:192]
	ds_load_b128 v[179:182], v1 offset:1888
	v_fma_f64 v[185:186], v[185:186], v[6:7], v[193:194]
	v_fma_f64 v[183:184], v[183:184], v[6:7], -v[8:9]
	scratch_load_b128 v[6:9], off, off offset:1008
	v_fma_f64 v[193:194], v[4:5], v[10:11], v[197:198]
	v_add_f64_e32 v[189:190], v[189:190], v[195:196]
	v_add_f64_e32 v[187:188], v[191:192], v[187:188]
	v_fma_f64 v[195:196], v[2:3], v[10:11], -v[12:13]
	ds_load_b128 v[2:5], v1 offset:1904
	s_wait_loadcnt_dscnt 0x801
	v_mul_f64_e32 v[191:192], v[179:180], v[16:17]
	v_mul_f64_e32 v[16:17], v[181:182], v[16:17]
	scratch_load_b128 v[10:13], off, off offset:1024
	s_wait_loadcnt_dscnt 0x800
	v_mul_f64_e32 v[197:198], v[2:3], v[20:21]
	v_mul_f64_e32 v[20:21], v[4:5], v[20:21]
	v_add_f64_e32 v[189:190], v[189:190], v[183:184]
	v_add_f64_e32 v[187:188], v[187:188], v[185:186]
	ds_load_b128 v[183:186], v1 offset:1920
	v_fma_f64 v[181:182], v[181:182], v[14:15], v[191:192]
	v_fma_f64 v[14:15], v[179:180], v[14:15], -v[16:17]
	v_add_f64_e32 v[16:17], v[189:190], v[195:196]
	v_add_f64_e32 v[179:180], v[187:188], v[193:194]
	s_wait_loadcnt_dscnt 0x700
	v_mul_f64_e32 v[187:188], v[183:184], v[24:25]
	v_mul_f64_e32 v[24:25], v[185:186], v[24:25]
	v_fma_f64 v[189:190], v[4:5], v[18:19], v[197:198]
	v_fma_f64 v[18:19], v[2:3], v[18:19], -v[20:21]
	v_add_f64_e32 v[20:21], v[16:17], v[14:15]
	v_add_f64_e32 v[179:180], v[179:180], v[181:182]
	ds_load_b128 v[2:5], v1 offset:1936
	ds_load_b128 v[14:17], v1 offset:1952
	v_fma_f64 v[185:186], v[185:186], v[22:23], v[187:188]
	v_fma_f64 v[22:23], v[183:184], v[22:23], -v[24:25]
	s_wait_loadcnt_dscnt 0x601
	v_mul_f64_e32 v[181:182], v[2:3], v[28:29]
	v_mul_f64_e32 v[28:29], v[4:5], v[28:29]
	s_wait_loadcnt_dscnt 0x500
	v_mul_f64_e32 v[24:25], v[14:15], v[32:33]
	v_mul_f64_e32 v[32:33], v[16:17], v[32:33]
	v_add_f64_e32 v[18:19], v[20:21], v[18:19]
	v_add_f64_e32 v[20:21], v[179:180], v[189:190]
	v_fma_f64 v[179:180], v[4:5], v[26:27], v[181:182]
	v_fma_f64 v[26:27], v[2:3], v[26:27], -v[28:29]
	v_fma_f64 v[16:17], v[16:17], v[30:31], v[24:25]
	v_fma_f64 v[14:15], v[14:15], v[30:31], -v[32:33]
	v_add_f64_e32 v[22:23], v[18:19], v[22:23]
	v_add_f64_e32 v[28:29], v[20:21], v[185:186]
	ds_load_b128 v[2:5], v1 offset:1968
	ds_load_b128 v[18:21], v1 offset:1984
	s_wait_loadcnt_dscnt 0x401
	v_mul_f64_e32 v[181:182], v[2:3], v[36:37]
	v_mul_f64_e32 v[36:37], v[4:5], v[36:37]
	v_add_f64_e32 v[22:23], v[22:23], v[26:27]
	v_add_f64_e32 v[24:25], v[28:29], v[179:180]
	s_wait_loadcnt_dscnt 0x300
	v_mul_f64_e32 v[26:27], v[18:19], v[177:178]
	v_mul_f64_e32 v[28:29], v[20:21], v[177:178]
	v_fma_f64 v[30:31], v[4:5], v[34:35], v[181:182]
	v_fma_f64 v[32:33], v[2:3], v[34:35], -v[36:37]
	v_add_f64_e32 v[22:23], v[22:23], v[14:15]
	v_add_f64_e32 v[24:25], v[24:25], v[16:17]
	ds_load_b128 v[2:5], v1 offset:2000
	ds_load_b128 v[14:17], v1 offset:2016
	v_fma_f64 v[20:21], v[20:21], v[175:176], v[26:27]
	v_fma_f64 v[18:19], v[18:19], v[175:176], -v[28:29]
	s_wait_loadcnt_dscnt 0x201
	v_mul_f64_e32 v[34:35], v[2:3], v[40:41]
	v_mul_f64_e32 v[36:37], v[4:5], v[40:41]
	s_wait_loadcnt_dscnt 0x100
	v_mul_f64_e32 v[26:27], v[14:15], v[8:9]
	v_mul_f64_e32 v[8:9], v[16:17], v[8:9]
	v_add_f64_e32 v[22:23], v[22:23], v[32:33]
	v_add_f64_e32 v[24:25], v[24:25], v[30:31]
	v_fma_f64 v[28:29], v[4:5], v[38:39], v[34:35]
	v_fma_f64 v[30:31], v[2:3], v[38:39], -v[36:37]
	ds_load_b128 v[2:5], v1 offset:2032
	v_fma_f64 v[16:17], v[16:17], v[6:7], v[26:27]
	v_fma_f64 v[6:7], v[14:15], v[6:7], -v[8:9]
	v_add_f64_e32 v[18:19], v[22:23], v[18:19]
	v_add_f64_e32 v[20:21], v[24:25], v[20:21]
	s_wait_loadcnt_dscnt 0x0
	v_mul_f64_e32 v[22:23], v[2:3], v[12:13]
	v_mul_f64_e32 v[12:13], v[4:5], v[12:13]
	s_delay_alu instid0(VALU_DEP_4) | instskip(NEXT) | instid1(VALU_DEP_4)
	v_add_f64_e32 v[8:9], v[18:19], v[30:31]
	v_add_f64_e32 v[14:15], v[20:21], v[28:29]
	s_delay_alu instid0(VALU_DEP_4) | instskip(NEXT) | instid1(VALU_DEP_4)
	v_fma_f64 v[4:5], v[4:5], v[10:11], v[22:23]
	v_fma_f64 v[2:3], v[2:3], v[10:11], -v[12:13]
	s_delay_alu instid0(VALU_DEP_4) | instskip(NEXT) | instid1(VALU_DEP_4)
	v_add_f64_e32 v[6:7], v[8:9], v[6:7]
	v_add_f64_e32 v[8:9], v[14:15], v[16:17]
	s_delay_alu instid0(VALU_DEP_2) | instskip(NEXT) | instid1(VALU_DEP_2)
	v_add_f64_e32 v[2:3], v[6:7], v[2:3]
	v_add_f64_e32 v[4:5], v[8:9], v[4:5]
	s_delay_alu instid0(VALU_DEP_2) | instskip(NEXT) | instid1(VALU_DEP_2)
	v_add_f64_e64 v[2:3], v[42:43], -v[2:3]
	v_add_f64_e64 v[4:5], v[44:45], -v[4:5]
	scratch_store_b128 off, v[2:5], off offset:176
	v_cmpx_lt_u32_e32 9, v0
	s_cbranch_execz .LBB127_391
; %bb.390:
	scratch_load_b128 v[5:8], off, s70
	v_dual_mov_b32 v2, v1 :: v_dual_mov_b32 v3, v1
	v_mov_b32_e32 v4, v1
	scratch_store_b128 off, v[1:4], off offset:160
	s_wait_loadcnt 0x0
	ds_store_b128 v174, v[5:8]
.LBB127_391:
	s_wait_alu 0xfffe
	s_or_b32 exec_lo, exec_lo, s0
	s_wait_storecnt_dscnt 0x0
	s_barrier_signal -1
	s_barrier_wait -1
	global_inv scope:SCOPE_SE
	s_clause 0x8
	scratch_load_b128 v[2:5], off, off offset:176
	scratch_load_b128 v[6:9], off, off offset:192
	;; [unrolled: 1-line block ×9, first 2 shown]
	ds_load_b128 v[42:45], v1 offset:1184
	ds_load_b128 v[38:41], v1 offset:1200
	s_clause 0x1
	scratch_load_b128 v[175:178], off, off offset:160
	scratch_load_b128 v[179:182], off, off offset:320
	s_mov_b32 s0, exec_lo
	s_wait_loadcnt_dscnt 0xa01
	v_mul_f64_e32 v[183:184], v[44:45], v[4:5]
	v_mul_f64_e32 v[4:5], v[42:43], v[4:5]
	s_wait_loadcnt_dscnt 0x900
	v_mul_f64_e32 v[187:188], v[38:39], v[8:9]
	v_mul_f64_e32 v[8:9], v[40:41], v[8:9]
	s_delay_alu instid0(VALU_DEP_4) | instskip(NEXT) | instid1(VALU_DEP_4)
	v_fma_f64 v[189:190], v[42:43], v[2:3], -v[183:184]
	v_fma_f64 v[191:192], v[44:45], v[2:3], v[4:5]
	ds_load_b128 v[2:5], v1 offset:1216
	ds_load_b128 v[183:186], v1 offset:1232
	scratch_load_b128 v[42:45], off, off offset:336
	v_fma_f64 v[40:41], v[40:41], v[6:7], v[187:188]
	v_fma_f64 v[38:39], v[38:39], v[6:7], -v[8:9]
	scratch_load_b128 v[6:9], off, off offset:352
	s_wait_loadcnt_dscnt 0xa01
	v_mul_f64_e32 v[193:194], v[2:3], v[12:13]
	v_mul_f64_e32 v[12:13], v[4:5], v[12:13]
	v_add_f64_e32 v[187:188], 0, v[189:190]
	v_add_f64_e32 v[189:190], 0, v[191:192]
	s_wait_loadcnt_dscnt 0x900
	v_mul_f64_e32 v[191:192], v[183:184], v[16:17]
	v_mul_f64_e32 v[16:17], v[185:186], v[16:17]
	v_fma_f64 v[193:194], v[4:5], v[10:11], v[193:194]
	v_fma_f64 v[195:196], v[2:3], v[10:11], -v[12:13]
	ds_load_b128 v[2:5], v1 offset:1248
	scratch_load_b128 v[10:13], off, off offset:368
	v_add_f64_e32 v[187:188], v[187:188], v[38:39]
	v_add_f64_e32 v[189:190], v[189:190], v[40:41]
	ds_load_b128 v[38:41], v1 offset:1264
	v_fma_f64 v[185:186], v[185:186], v[14:15], v[191:192]
	v_fma_f64 v[183:184], v[183:184], v[14:15], -v[16:17]
	scratch_load_b128 v[14:17], off, off offset:384
	s_wait_loadcnt_dscnt 0xa01
	v_mul_f64_e32 v[197:198], v[2:3], v[20:21]
	v_mul_f64_e32 v[20:21], v[4:5], v[20:21]
	s_wait_loadcnt_dscnt 0x900
	v_mul_f64_e32 v[191:192], v[38:39], v[24:25]
	v_mul_f64_e32 v[24:25], v[40:41], v[24:25]
	v_add_f64_e32 v[187:188], v[187:188], v[195:196]
	v_add_f64_e32 v[189:190], v[189:190], v[193:194]
	v_fma_f64 v[193:194], v[4:5], v[18:19], v[197:198]
	v_fma_f64 v[195:196], v[2:3], v[18:19], -v[20:21]
	ds_load_b128 v[2:5], v1 offset:1280
	scratch_load_b128 v[18:21], off, off offset:400
	v_fma_f64 v[40:41], v[40:41], v[22:23], v[191:192]
	v_fma_f64 v[38:39], v[38:39], v[22:23], -v[24:25]
	scratch_load_b128 v[22:25], off, off offset:416
	v_add_f64_e32 v[187:188], v[187:188], v[183:184]
	v_add_f64_e32 v[189:190], v[189:190], v[185:186]
	ds_load_b128 v[183:186], v1 offset:1296
	s_wait_loadcnt_dscnt 0xa01
	v_mul_f64_e32 v[197:198], v[2:3], v[28:29]
	v_mul_f64_e32 v[28:29], v[4:5], v[28:29]
	s_wait_loadcnt_dscnt 0x900
	v_mul_f64_e32 v[191:192], v[183:184], v[32:33]
	v_mul_f64_e32 v[32:33], v[185:186], v[32:33]
	v_add_f64_e32 v[187:188], v[187:188], v[195:196]
	v_add_f64_e32 v[189:190], v[189:190], v[193:194]
	v_fma_f64 v[193:194], v[4:5], v[26:27], v[197:198]
	v_fma_f64 v[195:196], v[2:3], v[26:27], -v[28:29]
	ds_load_b128 v[2:5], v1 offset:1312
	scratch_load_b128 v[26:29], off, off offset:432
	v_fma_f64 v[185:186], v[185:186], v[30:31], v[191:192]
	v_fma_f64 v[183:184], v[183:184], v[30:31], -v[32:33]
	scratch_load_b128 v[30:33], off, off offset:448
	v_add_f64_e32 v[187:188], v[187:188], v[38:39]
	v_add_f64_e32 v[189:190], v[189:190], v[40:41]
	ds_load_b128 v[38:41], v1 offset:1328
	s_wait_loadcnt_dscnt 0xa01
	v_mul_f64_e32 v[197:198], v[2:3], v[36:37]
	v_mul_f64_e32 v[36:37], v[4:5], v[36:37]
	s_wait_loadcnt_dscnt 0x800
	v_mul_f64_e32 v[191:192], v[38:39], v[181:182]
	v_add_f64_e32 v[187:188], v[187:188], v[195:196]
	v_add_f64_e32 v[189:190], v[189:190], v[193:194]
	v_mul_f64_e32 v[193:194], v[40:41], v[181:182]
	v_fma_f64 v[195:196], v[4:5], v[34:35], v[197:198]
	v_fma_f64 v[197:198], v[2:3], v[34:35], -v[36:37]
	ds_load_b128 v[2:5], v1 offset:1344
	scratch_load_b128 v[34:37], off, off offset:464
	v_fma_f64 v[191:192], v[40:41], v[179:180], v[191:192]
	v_add_f64_e32 v[187:188], v[187:188], v[183:184]
	v_add_f64_e32 v[185:186], v[189:190], v[185:186]
	ds_load_b128 v[181:184], v1 offset:1360
	v_fma_f64 v[179:180], v[38:39], v[179:180], -v[193:194]
	scratch_load_b128 v[38:41], off, off offset:480
	s_wait_loadcnt_dscnt 0x901
	v_mul_f64_e32 v[189:190], v[2:3], v[44:45]
	v_mul_f64_e32 v[44:45], v[4:5], v[44:45]
	s_wait_loadcnt_dscnt 0x800
	v_mul_f64_e32 v[193:194], v[181:182], v[8:9]
	v_mul_f64_e32 v[8:9], v[183:184], v[8:9]
	v_add_f64_e32 v[187:188], v[187:188], v[197:198]
	v_add_f64_e32 v[185:186], v[185:186], v[195:196]
	v_fma_f64 v[189:190], v[4:5], v[42:43], v[189:190]
	v_fma_f64 v[195:196], v[2:3], v[42:43], -v[44:45]
	ds_load_b128 v[2:5], v1 offset:1376
	scratch_load_b128 v[42:45], off, off offset:496
	v_fma_f64 v[183:184], v[183:184], v[6:7], v[193:194]
	v_fma_f64 v[181:182], v[181:182], v[6:7], -v[8:9]
	scratch_load_b128 v[6:9], off, off offset:512
	v_add_f64_e32 v[179:180], v[187:188], v[179:180]
	v_add_f64_e32 v[191:192], v[185:186], v[191:192]
	ds_load_b128 v[185:188], v1 offset:1392
	s_wait_loadcnt_dscnt 0x901
	v_mul_f64_e32 v[197:198], v[2:3], v[12:13]
	v_mul_f64_e32 v[12:13], v[4:5], v[12:13]
	v_add_f64_e32 v[179:180], v[179:180], v[195:196]
	v_add_f64_e32 v[189:190], v[191:192], v[189:190]
	s_wait_loadcnt_dscnt 0x800
	v_mul_f64_e32 v[191:192], v[185:186], v[16:17]
	v_mul_f64_e32 v[16:17], v[187:188], v[16:17]
	v_fma_f64 v[193:194], v[4:5], v[10:11], v[197:198]
	v_fma_f64 v[195:196], v[2:3], v[10:11], -v[12:13]
	ds_load_b128 v[2:5], v1 offset:1408
	scratch_load_b128 v[10:13], off, off offset:528
	v_add_f64_e32 v[197:198], v[179:180], v[181:182]
	v_add_f64_e32 v[183:184], v[189:190], v[183:184]
	ds_load_b128 v[179:182], v1 offset:1424
	s_wait_loadcnt_dscnt 0x801
	v_mul_f64_e32 v[189:190], v[2:3], v[20:21]
	v_mul_f64_e32 v[20:21], v[4:5], v[20:21]
	v_fma_f64 v[187:188], v[187:188], v[14:15], v[191:192]
	v_fma_f64 v[185:186], v[185:186], v[14:15], -v[16:17]
	scratch_load_b128 v[14:17], off, off offset:544
	v_add_f64_e32 v[191:192], v[197:198], v[195:196]
	v_add_f64_e32 v[183:184], v[183:184], v[193:194]
	s_wait_loadcnt_dscnt 0x800
	v_mul_f64_e32 v[193:194], v[179:180], v[24:25]
	v_mul_f64_e32 v[24:25], v[181:182], v[24:25]
	v_fma_f64 v[189:190], v[4:5], v[18:19], v[189:190]
	v_fma_f64 v[195:196], v[2:3], v[18:19], -v[20:21]
	ds_load_b128 v[2:5], v1 offset:1440
	scratch_load_b128 v[18:21], off, off offset:560
	v_add_f64_e32 v[191:192], v[191:192], v[185:186]
	v_add_f64_e32 v[187:188], v[183:184], v[187:188]
	ds_load_b128 v[183:186], v1 offset:1456
	s_wait_loadcnt_dscnt 0x801
	v_mul_f64_e32 v[197:198], v[2:3], v[28:29]
	v_mul_f64_e32 v[28:29], v[4:5], v[28:29]
	v_fma_f64 v[181:182], v[181:182], v[22:23], v[193:194]
	v_fma_f64 v[179:180], v[179:180], v[22:23], -v[24:25]
	scratch_load_b128 v[22:25], off, off offset:576
	;; [unrolled: 18-line block ×4, first 2 shown]
	s_wait_loadcnt_dscnt 0x800
	v_mul_f64_e32 v[191:192], v[183:184], v[8:9]
	v_mul_f64_e32 v[8:9], v[185:186], v[8:9]
	v_add_f64_e32 v[189:190], v[189:190], v[195:196]
	v_add_f64_e32 v[187:188], v[187:188], v[193:194]
	v_fma_f64 v[193:194], v[4:5], v[42:43], v[197:198]
	v_fma_f64 v[195:196], v[2:3], v[42:43], -v[44:45]
	ds_load_b128 v[2:5], v1 offset:1536
	scratch_load_b128 v[42:45], off, off offset:656
	v_fma_f64 v[185:186], v[185:186], v[6:7], v[191:192]
	v_fma_f64 v[183:184], v[183:184], v[6:7], -v[8:9]
	scratch_load_b128 v[6:9], off, off offset:672
	v_add_f64_e32 v[189:190], v[189:190], v[179:180]
	v_add_f64_e32 v[187:188], v[187:188], v[181:182]
	ds_load_b128 v[179:182], v1 offset:1552
	s_wait_loadcnt_dscnt 0x901
	v_mul_f64_e32 v[197:198], v[2:3], v[12:13]
	v_mul_f64_e32 v[12:13], v[4:5], v[12:13]
	s_wait_loadcnt_dscnt 0x800
	v_mul_f64_e32 v[191:192], v[179:180], v[16:17]
	v_mul_f64_e32 v[16:17], v[181:182], v[16:17]
	v_add_f64_e32 v[189:190], v[189:190], v[195:196]
	v_add_f64_e32 v[187:188], v[187:188], v[193:194]
	v_fma_f64 v[193:194], v[4:5], v[10:11], v[197:198]
	v_fma_f64 v[195:196], v[2:3], v[10:11], -v[12:13]
	ds_load_b128 v[2:5], v1 offset:1568
	scratch_load_b128 v[10:13], off, off offset:688
	v_fma_f64 v[181:182], v[181:182], v[14:15], v[191:192]
	v_fma_f64 v[179:180], v[179:180], v[14:15], -v[16:17]
	scratch_load_b128 v[14:17], off, off offset:704
	v_add_f64_e32 v[189:190], v[189:190], v[183:184]
	v_add_f64_e32 v[187:188], v[187:188], v[185:186]
	ds_load_b128 v[183:186], v1 offset:1584
	s_wait_loadcnt_dscnt 0x901
	v_mul_f64_e32 v[197:198], v[2:3], v[20:21]
	v_mul_f64_e32 v[20:21], v[4:5], v[20:21]
	;; [unrolled: 18-line block ×12, first 2 shown]
	s_wait_loadcnt_dscnt 0x800
	v_mul_f64_e32 v[191:192], v[183:184], v[24:25]
	v_mul_f64_e32 v[24:25], v[185:186], v[24:25]
	v_add_f64_e32 v[189:190], v[189:190], v[195:196]
	v_add_f64_e32 v[187:188], v[187:188], v[193:194]
	v_fma_f64 v[193:194], v[4:5], v[18:19], v[197:198]
	v_fma_f64 v[195:196], v[2:3], v[18:19], -v[20:21]
	ds_load_b128 v[2:5], v1 offset:1920
	ds_load_b128 v[18:21], v1 offset:1936
	v_fma_f64 v[185:186], v[185:186], v[22:23], v[191:192]
	v_fma_f64 v[22:23], v[183:184], v[22:23], -v[24:25]
	v_add_f64_e32 v[179:180], v[189:190], v[179:180]
	v_add_f64_e32 v[181:182], v[187:188], v[181:182]
	s_wait_loadcnt_dscnt 0x701
	v_mul_f64_e32 v[187:188], v[2:3], v[28:29]
	v_mul_f64_e32 v[28:29], v[4:5], v[28:29]
	s_delay_alu instid0(VALU_DEP_4) | instskip(NEXT) | instid1(VALU_DEP_4)
	v_add_f64_e32 v[24:25], v[179:180], v[195:196]
	v_add_f64_e32 v[179:180], v[181:182], v[193:194]
	s_wait_loadcnt_dscnt 0x600
	v_mul_f64_e32 v[181:182], v[18:19], v[32:33]
	v_mul_f64_e32 v[32:33], v[20:21], v[32:33]
	v_fma_f64 v[183:184], v[4:5], v[26:27], v[187:188]
	v_fma_f64 v[26:27], v[2:3], v[26:27], -v[28:29]
	v_add_f64_e32 v[28:29], v[24:25], v[22:23]
	v_add_f64_e32 v[179:180], v[179:180], v[185:186]
	ds_load_b128 v[2:5], v1 offset:1952
	ds_load_b128 v[22:25], v1 offset:1968
	v_fma_f64 v[20:21], v[20:21], v[30:31], v[181:182]
	v_fma_f64 v[18:19], v[18:19], v[30:31], -v[32:33]
	s_wait_loadcnt_dscnt 0x501
	v_mul_f64_e32 v[185:186], v[2:3], v[36:37]
	v_mul_f64_e32 v[36:37], v[4:5], v[36:37]
	s_wait_loadcnt_dscnt 0x400
	v_mul_f64_e32 v[30:31], v[22:23], v[40:41]
	v_mul_f64_e32 v[32:33], v[24:25], v[40:41]
	v_add_f64_e32 v[26:27], v[28:29], v[26:27]
	v_add_f64_e32 v[28:29], v[179:180], v[183:184]
	v_fma_f64 v[40:41], v[4:5], v[34:35], v[185:186]
	v_fma_f64 v[34:35], v[2:3], v[34:35], -v[36:37]
	v_fma_f64 v[24:25], v[24:25], v[38:39], v[30:31]
	v_fma_f64 v[22:23], v[22:23], v[38:39], -v[32:33]
	v_add_f64_e32 v[26:27], v[26:27], v[18:19]
	v_add_f64_e32 v[28:29], v[28:29], v[20:21]
	ds_load_b128 v[2:5], v1 offset:1984
	ds_load_b128 v[18:21], v1 offset:2000
	s_wait_loadcnt_dscnt 0x301
	v_mul_f64_e32 v[36:37], v[2:3], v[44:45]
	v_mul_f64_e32 v[44:45], v[4:5], v[44:45]
	s_wait_loadcnt_dscnt 0x200
	v_mul_f64_e32 v[30:31], v[18:19], v[8:9]
	v_mul_f64_e32 v[8:9], v[20:21], v[8:9]
	v_add_f64_e32 v[26:27], v[26:27], v[34:35]
	v_add_f64_e32 v[28:29], v[28:29], v[40:41]
	v_fma_f64 v[32:33], v[4:5], v[42:43], v[36:37]
	v_fma_f64 v[34:35], v[2:3], v[42:43], -v[44:45]
	v_fma_f64 v[20:21], v[20:21], v[6:7], v[30:31]
	v_fma_f64 v[6:7], v[18:19], v[6:7], -v[8:9]
	v_add_f64_e32 v[26:27], v[26:27], v[22:23]
	v_add_f64_e32 v[28:29], v[28:29], v[24:25]
	ds_load_b128 v[2:5], v1 offset:2016
	ds_load_b128 v[22:25], v1 offset:2032
	s_wait_loadcnt_dscnt 0x101
	v_mul_f64_e32 v[36:37], v[2:3], v[12:13]
	v_mul_f64_e32 v[12:13], v[4:5], v[12:13]
	v_add_f64_e32 v[8:9], v[26:27], v[34:35]
	v_add_f64_e32 v[18:19], v[28:29], v[32:33]
	s_wait_loadcnt_dscnt 0x0
	v_mul_f64_e32 v[26:27], v[22:23], v[16:17]
	v_mul_f64_e32 v[16:17], v[24:25], v[16:17]
	v_fma_f64 v[4:5], v[4:5], v[10:11], v[36:37]
	v_fma_f64 v[1:2], v[2:3], v[10:11], -v[12:13]
	v_add_f64_e32 v[6:7], v[8:9], v[6:7]
	v_add_f64_e32 v[8:9], v[18:19], v[20:21]
	v_fma_f64 v[10:11], v[24:25], v[14:15], v[26:27]
	v_fma_f64 v[12:13], v[22:23], v[14:15], -v[16:17]
	s_delay_alu instid0(VALU_DEP_4) | instskip(NEXT) | instid1(VALU_DEP_4)
	v_add_f64_e32 v[1:2], v[6:7], v[1:2]
	v_add_f64_e32 v[3:4], v[8:9], v[4:5]
	s_delay_alu instid0(VALU_DEP_2) | instskip(NEXT) | instid1(VALU_DEP_2)
	v_add_f64_e32 v[1:2], v[1:2], v[12:13]
	v_add_f64_e32 v[3:4], v[3:4], v[10:11]
	s_delay_alu instid0(VALU_DEP_2) | instskip(NEXT) | instid1(VALU_DEP_2)
	v_add_f64_e64 v[1:2], v[175:176], -v[1:2]
	v_add_f64_e64 v[3:4], v[177:178], -v[3:4]
	scratch_store_b128 off, v[1:4], off offset:160
	v_cmpx_lt_u32_e32 8, v0
	s_cbranch_execz .LBB127_393
; %bb.392:
	scratch_load_b128 v[1:4], off, s71
	v_mov_b32_e32 v5, 0
	s_delay_alu instid0(VALU_DEP_1)
	v_dual_mov_b32 v6, v5 :: v_dual_mov_b32 v7, v5
	v_mov_b32_e32 v8, v5
	scratch_store_b128 off, v[5:8], off offset:144
	s_wait_loadcnt 0x0
	ds_store_b128 v174, v[1:4]
.LBB127_393:
	s_wait_alu 0xfffe
	s_or_b32 exec_lo, exec_lo, s0
	s_wait_storecnt_dscnt 0x0
	s_barrier_signal -1
	s_barrier_wait -1
	global_inv scope:SCOPE_SE
	s_clause 0x7
	scratch_load_b128 v[2:5], off, off offset:160
	scratch_load_b128 v[6:9], off, off offset:176
	;; [unrolled: 1-line block ×8, first 2 shown]
	v_mov_b32_e32 v1, 0
	s_mov_b32 s0, exec_lo
	ds_load_b128 v[38:41], v1 offset:1168
	s_clause 0x1
	scratch_load_b128 v[34:37], off, off offset:288
	scratch_load_b128 v[42:45], off, off offset:144
	ds_load_b128 v[175:178], v1 offset:1184
	scratch_load_b128 v[179:182], off, off offset:304
	s_wait_loadcnt_dscnt 0xa01
	v_mul_f64_e32 v[183:184], v[40:41], v[4:5]
	v_mul_f64_e32 v[4:5], v[38:39], v[4:5]
	s_delay_alu instid0(VALU_DEP_2) | instskip(NEXT) | instid1(VALU_DEP_2)
	v_fma_f64 v[189:190], v[38:39], v[2:3], -v[183:184]
	v_fma_f64 v[191:192], v[40:41], v[2:3], v[4:5]
	ds_load_b128 v[2:5], v1 offset:1200
	s_wait_loadcnt_dscnt 0x901
	v_mul_f64_e32 v[187:188], v[175:176], v[8:9]
	v_mul_f64_e32 v[8:9], v[177:178], v[8:9]
	scratch_load_b128 v[38:41], off, off offset:320
	ds_load_b128 v[183:186], v1 offset:1216
	s_wait_loadcnt_dscnt 0x901
	v_mul_f64_e32 v[193:194], v[2:3], v[12:13]
	v_mul_f64_e32 v[12:13], v[4:5], v[12:13]
	v_fma_f64 v[177:178], v[177:178], v[6:7], v[187:188]
	v_fma_f64 v[175:176], v[175:176], v[6:7], -v[8:9]
	v_add_f64_e32 v[187:188], 0, v[189:190]
	v_add_f64_e32 v[189:190], 0, v[191:192]
	scratch_load_b128 v[6:9], off, off offset:336
	v_fma_f64 v[193:194], v[4:5], v[10:11], v[193:194]
	v_fma_f64 v[195:196], v[2:3], v[10:11], -v[12:13]
	ds_load_b128 v[2:5], v1 offset:1232
	s_wait_loadcnt_dscnt 0x901
	v_mul_f64_e32 v[191:192], v[183:184], v[16:17]
	v_mul_f64_e32 v[16:17], v[185:186], v[16:17]
	scratch_load_b128 v[10:13], off, off offset:352
	v_add_f64_e32 v[187:188], v[187:188], v[175:176]
	v_add_f64_e32 v[189:190], v[189:190], v[177:178]
	s_wait_loadcnt_dscnt 0x900
	v_mul_f64_e32 v[197:198], v[2:3], v[20:21]
	v_mul_f64_e32 v[20:21], v[4:5], v[20:21]
	ds_load_b128 v[175:178], v1 offset:1248
	v_fma_f64 v[185:186], v[185:186], v[14:15], v[191:192]
	v_fma_f64 v[183:184], v[183:184], v[14:15], -v[16:17]
	scratch_load_b128 v[14:17], off, off offset:368
	v_add_f64_e32 v[187:188], v[187:188], v[195:196]
	v_add_f64_e32 v[189:190], v[189:190], v[193:194]
	v_fma_f64 v[193:194], v[4:5], v[18:19], v[197:198]
	v_fma_f64 v[195:196], v[2:3], v[18:19], -v[20:21]
	ds_load_b128 v[2:5], v1 offset:1264
	s_wait_loadcnt_dscnt 0x901
	v_mul_f64_e32 v[191:192], v[175:176], v[24:25]
	v_mul_f64_e32 v[24:25], v[177:178], v[24:25]
	scratch_load_b128 v[18:21], off, off offset:384
	s_wait_loadcnt_dscnt 0x900
	v_mul_f64_e32 v[197:198], v[2:3], v[28:29]
	v_mul_f64_e32 v[28:29], v[4:5], v[28:29]
	v_add_f64_e32 v[187:188], v[187:188], v[183:184]
	v_add_f64_e32 v[189:190], v[189:190], v[185:186]
	ds_load_b128 v[183:186], v1 offset:1280
	v_fma_f64 v[177:178], v[177:178], v[22:23], v[191:192]
	v_fma_f64 v[175:176], v[175:176], v[22:23], -v[24:25]
	scratch_load_b128 v[22:25], off, off offset:400
	v_add_f64_e32 v[187:188], v[187:188], v[195:196]
	v_add_f64_e32 v[189:190], v[189:190], v[193:194]
	v_fma_f64 v[193:194], v[4:5], v[26:27], v[197:198]
	v_fma_f64 v[195:196], v[2:3], v[26:27], -v[28:29]
	ds_load_b128 v[2:5], v1 offset:1296
	s_wait_loadcnt_dscnt 0x901
	v_mul_f64_e32 v[191:192], v[183:184], v[32:33]
	v_mul_f64_e32 v[32:33], v[185:186], v[32:33]
	scratch_load_b128 v[26:29], off, off offset:416
	s_wait_loadcnt_dscnt 0x900
	v_mul_f64_e32 v[197:198], v[2:3], v[36:37]
	v_mul_f64_e32 v[36:37], v[4:5], v[36:37]
	v_add_f64_e32 v[187:188], v[187:188], v[175:176]
	v_add_f64_e32 v[189:190], v[189:190], v[177:178]
	ds_load_b128 v[175:178], v1 offset:1312
	v_fma_f64 v[185:186], v[185:186], v[30:31], v[191:192]
	v_fma_f64 v[183:184], v[183:184], v[30:31], -v[32:33]
	scratch_load_b128 v[30:33], off, off offset:432
	v_add_f64_e32 v[187:188], v[187:188], v[195:196]
	v_add_f64_e32 v[189:190], v[189:190], v[193:194]
	v_fma_f64 v[195:196], v[4:5], v[34:35], v[197:198]
	v_fma_f64 v[197:198], v[2:3], v[34:35], -v[36:37]
	ds_load_b128 v[2:5], v1 offset:1328
	s_wait_loadcnt_dscnt 0x801
	v_mul_f64_e32 v[191:192], v[175:176], v[181:182]
	v_mul_f64_e32 v[193:194], v[177:178], v[181:182]
	scratch_load_b128 v[34:37], off, off offset:448
	v_add_f64_e32 v[187:188], v[187:188], v[183:184]
	v_add_f64_e32 v[185:186], v[189:190], v[185:186]
	ds_load_b128 v[181:184], v1 offset:1344
	v_fma_f64 v[191:192], v[177:178], v[179:180], v[191:192]
	v_fma_f64 v[179:180], v[175:176], v[179:180], -v[193:194]
	scratch_load_b128 v[175:178], off, off offset:464
	s_wait_loadcnt_dscnt 0x901
	v_mul_f64_e32 v[189:190], v[2:3], v[40:41]
	v_mul_f64_e32 v[40:41], v[4:5], v[40:41]
	v_add_f64_e32 v[187:188], v[187:188], v[197:198]
	v_add_f64_e32 v[185:186], v[185:186], v[195:196]
	s_delay_alu instid0(VALU_DEP_4) | instskip(NEXT) | instid1(VALU_DEP_4)
	v_fma_f64 v[189:190], v[4:5], v[38:39], v[189:190]
	v_fma_f64 v[195:196], v[2:3], v[38:39], -v[40:41]
	ds_load_b128 v[2:5], v1 offset:1360
	s_wait_loadcnt_dscnt 0x801
	v_mul_f64_e32 v[193:194], v[181:182], v[8:9]
	v_mul_f64_e32 v[8:9], v[183:184], v[8:9]
	scratch_load_b128 v[38:41], off, off offset:480
	s_wait_loadcnt_dscnt 0x800
	v_mul_f64_e32 v[197:198], v[2:3], v[12:13]
	v_add_f64_e32 v[179:180], v[187:188], v[179:180]
	v_add_f64_e32 v[191:192], v[185:186], v[191:192]
	v_mul_f64_e32 v[12:13], v[4:5], v[12:13]
	ds_load_b128 v[185:188], v1 offset:1376
	v_fma_f64 v[183:184], v[183:184], v[6:7], v[193:194]
	v_fma_f64 v[181:182], v[181:182], v[6:7], -v[8:9]
	scratch_load_b128 v[6:9], off, off offset:496
	v_fma_f64 v[193:194], v[4:5], v[10:11], v[197:198]
	v_add_f64_e32 v[179:180], v[179:180], v[195:196]
	v_add_f64_e32 v[189:190], v[191:192], v[189:190]
	v_fma_f64 v[195:196], v[2:3], v[10:11], -v[12:13]
	ds_load_b128 v[2:5], v1 offset:1392
	s_wait_loadcnt_dscnt 0x801
	v_mul_f64_e32 v[191:192], v[185:186], v[16:17]
	v_mul_f64_e32 v[16:17], v[187:188], v[16:17]
	scratch_load_b128 v[10:13], off, off offset:512
	v_add_f64_e32 v[197:198], v[179:180], v[181:182]
	v_add_f64_e32 v[183:184], v[189:190], v[183:184]
	s_wait_loadcnt_dscnt 0x800
	v_mul_f64_e32 v[189:190], v[2:3], v[20:21]
	v_mul_f64_e32 v[20:21], v[4:5], v[20:21]
	v_fma_f64 v[187:188], v[187:188], v[14:15], v[191:192]
	v_fma_f64 v[185:186], v[185:186], v[14:15], -v[16:17]
	ds_load_b128 v[179:182], v1 offset:1408
	scratch_load_b128 v[14:17], off, off offset:528
	v_add_f64_e32 v[191:192], v[197:198], v[195:196]
	v_add_f64_e32 v[183:184], v[183:184], v[193:194]
	v_fma_f64 v[189:190], v[4:5], v[18:19], v[189:190]
	v_fma_f64 v[195:196], v[2:3], v[18:19], -v[20:21]
	ds_load_b128 v[2:5], v1 offset:1424
	s_wait_loadcnt_dscnt 0x801
	v_mul_f64_e32 v[193:194], v[179:180], v[24:25]
	v_mul_f64_e32 v[24:25], v[181:182], v[24:25]
	scratch_load_b128 v[18:21], off, off offset:544
	s_wait_loadcnt_dscnt 0x800
	v_mul_f64_e32 v[197:198], v[2:3], v[28:29]
	v_mul_f64_e32 v[28:29], v[4:5], v[28:29]
	v_add_f64_e32 v[191:192], v[191:192], v[185:186]
	v_add_f64_e32 v[187:188], v[183:184], v[187:188]
	ds_load_b128 v[183:186], v1 offset:1440
	v_fma_f64 v[181:182], v[181:182], v[22:23], v[193:194]
	v_fma_f64 v[179:180], v[179:180], v[22:23], -v[24:25]
	scratch_load_b128 v[22:25], off, off offset:560
	v_fma_f64 v[193:194], v[4:5], v[26:27], v[197:198]
	v_add_f64_e32 v[191:192], v[191:192], v[195:196]
	v_add_f64_e32 v[187:188], v[187:188], v[189:190]
	v_fma_f64 v[195:196], v[2:3], v[26:27], -v[28:29]
	ds_load_b128 v[2:5], v1 offset:1456
	s_wait_loadcnt_dscnt 0x801
	v_mul_f64_e32 v[189:190], v[183:184], v[32:33]
	v_mul_f64_e32 v[32:33], v[185:186], v[32:33]
	scratch_load_b128 v[26:29], off, off offset:576
	s_wait_loadcnt_dscnt 0x800
	v_mul_f64_e32 v[197:198], v[2:3], v[36:37]
	v_mul_f64_e32 v[36:37], v[4:5], v[36:37]
	v_add_f64_e32 v[191:192], v[191:192], v[179:180]
	v_add_f64_e32 v[187:188], v[187:188], v[181:182]
	ds_load_b128 v[179:182], v1 offset:1472
	v_fma_f64 v[185:186], v[185:186], v[30:31], v[189:190]
	v_fma_f64 v[183:184], v[183:184], v[30:31], -v[32:33]
	scratch_load_b128 v[30:33], off, off offset:592
	v_add_f64_e32 v[189:190], v[191:192], v[195:196]
	v_add_f64_e32 v[187:188], v[187:188], v[193:194]
	v_fma_f64 v[193:194], v[4:5], v[34:35], v[197:198]
	v_fma_f64 v[195:196], v[2:3], v[34:35], -v[36:37]
	ds_load_b128 v[2:5], v1 offset:1488
	s_wait_loadcnt_dscnt 0x801
	v_mul_f64_e32 v[191:192], v[179:180], v[177:178]
	v_mul_f64_e32 v[177:178], v[181:182], v[177:178]
	scratch_load_b128 v[34:37], off, off offset:608
	s_wait_loadcnt_dscnt 0x800
	v_mul_f64_e32 v[197:198], v[2:3], v[40:41]
	v_mul_f64_e32 v[40:41], v[4:5], v[40:41]
	v_add_f64_e32 v[189:190], v[189:190], v[183:184]
	v_add_f64_e32 v[187:188], v[187:188], v[185:186]
	ds_load_b128 v[183:186], v1 offset:1504
	v_fma_f64 v[181:182], v[181:182], v[175:176], v[191:192]
	v_fma_f64 v[179:180], v[179:180], v[175:176], -v[177:178]
	scratch_load_b128 v[175:178], off, off offset:624
	v_add_f64_e32 v[189:190], v[189:190], v[195:196]
	v_add_f64_e32 v[187:188], v[187:188], v[193:194]
	v_fma_f64 v[193:194], v[4:5], v[38:39], v[197:198]
	;; [unrolled: 18-line block ×6, first 2 shown]
	v_fma_f64 v[197:198], v[2:3], v[34:35], -v[36:37]
	ds_load_b128 v[2:5], v1 offset:1648
	s_wait_loadcnt_dscnt 0x801
	v_mul_f64_e32 v[191:192], v[183:184], v[177:178]
	v_mul_f64_e32 v[193:194], v[185:186], v[177:178]
	scratch_load_b128 v[34:37], off, off offset:768
	v_add_f64_e32 v[189:190], v[189:190], v[179:180]
	v_add_f64_e32 v[181:182], v[187:188], v[181:182]
	s_wait_loadcnt_dscnt 0x800
	v_mul_f64_e32 v[187:188], v[2:3], v[40:41]
	v_mul_f64_e32 v[40:41], v[4:5], v[40:41]
	ds_load_b128 v[177:180], v1 offset:1664
	v_fma_f64 v[185:186], v[185:186], v[175:176], v[191:192]
	v_fma_f64 v[175:176], v[183:184], v[175:176], -v[193:194]
	v_add_f64_e32 v[189:190], v[189:190], v[197:198]
	v_add_f64_e32 v[191:192], v[181:182], v[195:196]
	scratch_load_b128 v[181:184], off, off offset:784
	v_fma_f64 v[195:196], v[4:5], v[38:39], v[187:188]
	v_fma_f64 v[197:198], v[2:3], v[38:39], -v[40:41]
	ds_load_b128 v[2:5], v1 offset:1680
	s_wait_loadcnt_dscnt 0x801
	v_mul_f64_e32 v[193:194], v[177:178], v[8:9]
	v_mul_f64_e32 v[8:9], v[179:180], v[8:9]
	scratch_load_b128 v[38:41], off, off offset:800
	v_add_f64_e32 v[175:176], v[189:190], v[175:176]
	v_add_f64_e32 v[189:190], v[191:192], v[185:186]
	s_wait_loadcnt_dscnt 0x800
	v_mul_f64_e32 v[191:192], v[2:3], v[12:13]
	v_mul_f64_e32 v[12:13], v[4:5], v[12:13]
	ds_load_b128 v[185:188], v1 offset:1696
	v_fma_f64 v[179:180], v[179:180], v[6:7], v[193:194]
	v_fma_f64 v[177:178], v[177:178], v[6:7], -v[8:9]
	scratch_load_b128 v[6:9], off, off offset:816
	v_add_f64_e32 v[175:176], v[175:176], v[197:198]
	v_add_f64_e32 v[189:190], v[189:190], v[195:196]
	v_fma_f64 v[191:192], v[4:5], v[10:11], v[191:192]
	v_fma_f64 v[195:196], v[2:3], v[10:11], -v[12:13]
	ds_load_b128 v[2:5], v1 offset:1712
	s_wait_loadcnt_dscnt 0x801
	v_mul_f64_e32 v[193:194], v[185:186], v[16:17]
	v_mul_f64_e32 v[16:17], v[187:188], v[16:17]
	scratch_load_b128 v[10:13], off, off offset:832
	v_add_f64_e32 v[197:198], v[175:176], v[177:178]
	v_add_f64_e32 v[179:180], v[189:190], v[179:180]
	s_wait_loadcnt_dscnt 0x800
	v_mul_f64_e32 v[189:190], v[2:3], v[20:21]
	v_mul_f64_e32 v[20:21], v[4:5], v[20:21]
	ds_load_b128 v[175:178], v1 offset:1728
	v_fma_f64 v[187:188], v[187:188], v[14:15], v[193:194]
	v_fma_f64 v[185:186], v[185:186], v[14:15], -v[16:17]
	scratch_load_b128 v[14:17], off, off offset:848
	v_add_f64_e32 v[193:194], v[197:198], v[195:196]
	v_add_f64_e32 v[179:180], v[179:180], v[191:192]
	v_fma_f64 v[189:190], v[4:5], v[18:19], v[189:190]
	v_fma_f64 v[195:196], v[2:3], v[18:19], -v[20:21]
	ds_load_b128 v[2:5], v1 offset:1744
	s_wait_loadcnt_dscnt 0x801
	v_mul_f64_e32 v[191:192], v[175:176], v[24:25]
	v_mul_f64_e32 v[24:25], v[177:178], v[24:25]
	scratch_load_b128 v[18:21], off, off offset:864
	s_wait_loadcnt_dscnt 0x800
	v_mul_f64_e32 v[197:198], v[2:3], v[28:29]
	v_mul_f64_e32 v[28:29], v[4:5], v[28:29]
	v_add_f64_e32 v[193:194], v[193:194], v[185:186]
	v_add_f64_e32 v[179:180], v[179:180], v[187:188]
	ds_load_b128 v[185:188], v1 offset:1760
	v_fma_f64 v[177:178], v[177:178], v[22:23], v[191:192]
	v_fma_f64 v[175:176], v[175:176], v[22:23], -v[24:25]
	scratch_load_b128 v[22:25], off, off offset:880
	v_add_f64_e32 v[191:192], v[193:194], v[195:196]
	v_add_f64_e32 v[179:180], v[179:180], v[189:190]
	v_fma_f64 v[193:194], v[4:5], v[26:27], v[197:198]
	v_fma_f64 v[195:196], v[2:3], v[26:27], -v[28:29]
	ds_load_b128 v[2:5], v1 offset:1776
	s_wait_loadcnt_dscnt 0x801
	v_mul_f64_e32 v[189:190], v[185:186], v[32:33]
	v_mul_f64_e32 v[32:33], v[187:188], v[32:33]
	scratch_load_b128 v[26:29], off, off offset:896
	s_wait_loadcnt_dscnt 0x800
	v_mul_f64_e32 v[197:198], v[2:3], v[36:37]
	v_mul_f64_e32 v[36:37], v[4:5], v[36:37]
	v_add_f64_e32 v[191:192], v[191:192], v[175:176]
	v_add_f64_e32 v[179:180], v[179:180], v[177:178]
	ds_load_b128 v[175:178], v1 offset:1792
	v_fma_f64 v[187:188], v[187:188], v[30:31], v[189:190]
	v_fma_f64 v[185:186], v[185:186], v[30:31], -v[32:33]
	scratch_load_b128 v[30:33], off, off offset:912
	v_add_f64_e32 v[189:190], v[191:192], v[195:196]
	v_add_f64_e32 v[179:180], v[179:180], v[193:194]
	v_fma_f64 v[195:196], v[4:5], v[34:35], v[197:198]
	v_fma_f64 v[197:198], v[2:3], v[34:35], -v[36:37]
	ds_load_b128 v[2:5], v1 offset:1808
	scratch_load_b128 v[34:37], off, off offset:928
	s_wait_loadcnt_dscnt 0x901
	v_mul_f64_e32 v[191:192], v[175:176], v[183:184]
	v_mul_f64_e32 v[193:194], v[177:178], v[183:184]
	v_add_f64_e32 v[189:190], v[189:190], v[185:186]
	v_add_f64_e32 v[179:180], v[179:180], v[187:188]
	s_wait_loadcnt_dscnt 0x800
	v_mul_f64_e32 v[187:188], v[2:3], v[40:41]
	v_mul_f64_e32 v[40:41], v[4:5], v[40:41]
	ds_load_b128 v[183:186], v1 offset:1824
	v_fma_f64 v[191:192], v[177:178], v[181:182], v[191:192]
	v_fma_f64 v[181:182], v[175:176], v[181:182], -v[193:194]
	scratch_load_b128 v[175:178], off, off offset:944
	v_add_f64_e32 v[189:190], v[189:190], v[197:198]
	v_add_f64_e32 v[179:180], v[179:180], v[195:196]
	v_fma_f64 v[187:188], v[4:5], v[38:39], v[187:188]
	v_fma_f64 v[195:196], v[2:3], v[38:39], -v[40:41]
	ds_load_b128 v[2:5], v1 offset:1840
	s_wait_loadcnt_dscnt 0x801
	v_mul_f64_e32 v[193:194], v[183:184], v[8:9]
	v_mul_f64_e32 v[8:9], v[185:186], v[8:9]
	scratch_load_b128 v[38:41], off, off offset:960
	s_wait_loadcnt_dscnt 0x800
	v_mul_f64_e32 v[197:198], v[2:3], v[12:13]
	v_mul_f64_e32 v[12:13], v[4:5], v[12:13]
	v_add_f64_e32 v[189:190], v[189:190], v[181:182]
	v_add_f64_e32 v[191:192], v[179:180], v[191:192]
	ds_load_b128 v[179:182], v1 offset:1856
	v_fma_f64 v[185:186], v[185:186], v[6:7], v[193:194]
	v_fma_f64 v[183:184], v[183:184], v[6:7], -v[8:9]
	scratch_load_b128 v[6:9], off, off offset:976
	v_fma_f64 v[193:194], v[4:5], v[10:11], v[197:198]
	v_add_f64_e32 v[189:190], v[189:190], v[195:196]
	v_add_f64_e32 v[187:188], v[191:192], v[187:188]
	v_fma_f64 v[195:196], v[2:3], v[10:11], -v[12:13]
	ds_load_b128 v[2:5], v1 offset:1872
	s_wait_loadcnt_dscnt 0x801
	v_mul_f64_e32 v[191:192], v[179:180], v[16:17]
	v_mul_f64_e32 v[16:17], v[181:182], v[16:17]
	scratch_load_b128 v[10:13], off, off offset:992
	s_wait_loadcnt_dscnt 0x800
	v_mul_f64_e32 v[197:198], v[2:3], v[20:21]
	v_mul_f64_e32 v[20:21], v[4:5], v[20:21]
	v_add_f64_e32 v[189:190], v[189:190], v[183:184]
	v_add_f64_e32 v[187:188], v[187:188], v[185:186]
	ds_load_b128 v[183:186], v1 offset:1888
	v_fma_f64 v[181:182], v[181:182], v[14:15], v[191:192]
	v_fma_f64 v[179:180], v[179:180], v[14:15], -v[16:17]
	scratch_load_b128 v[14:17], off, off offset:1008
	v_add_f64_e32 v[189:190], v[189:190], v[195:196]
	v_add_f64_e32 v[187:188], v[187:188], v[193:194]
	v_fma_f64 v[193:194], v[4:5], v[18:19], v[197:198]
	v_fma_f64 v[195:196], v[2:3], v[18:19], -v[20:21]
	ds_load_b128 v[2:5], v1 offset:1904
	s_wait_loadcnt_dscnt 0x801
	v_mul_f64_e32 v[191:192], v[183:184], v[24:25]
	v_mul_f64_e32 v[24:25], v[185:186], v[24:25]
	scratch_load_b128 v[18:21], off, off offset:1024
	s_wait_loadcnt_dscnt 0x800
	v_mul_f64_e32 v[197:198], v[2:3], v[28:29]
	v_mul_f64_e32 v[28:29], v[4:5], v[28:29]
	v_add_f64_e32 v[189:190], v[189:190], v[179:180]
	v_add_f64_e32 v[187:188], v[187:188], v[181:182]
	ds_load_b128 v[179:182], v1 offset:1920
	v_fma_f64 v[185:186], v[185:186], v[22:23], v[191:192]
	v_fma_f64 v[22:23], v[183:184], v[22:23], -v[24:25]
	v_add_f64_e32 v[24:25], v[189:190], v[195:196]
	v_add_f64_e32 v[183:184], v[187:188], v[193:194]
	s_wait_loadcnt_dscnt 0x700
	v_mul_f64_e32 v[187:188], v[179:180], v[32:33]
	v_mul_f64_e32 v[32:33], v[181:182], v[32:33]
	v_fma_f64 v[189:190], v[4:5], v[26:27], v[197:198]
	v_fma_f64 v[26:27], v[2:3], v[26:27], -v[28:29]
	v_add_f64_e32 v[28:29], v[24:25], v[22:23]
	v_add_f64_e32 v[183:184], v[183:184], v[185:186]
	ds_load_b128 v[2:5], v1 offset:1936
	ds_load_b128 v[22:25], v1 offset:1952
	v_fma_f64 v[181:182], v[181:182], v[30:31], v[187:188]
	v_fma_f64 v[30:31], v[179:180], v[30:31], -v[32:33]
	s_wait_loadcnt_dscnt 0x601
	v_mul_f64_e32 v[185:186], v[2:3], v[36:37]
	v_mul_f64_e32 v[36:37], v[4:5], v[36:37]
	s_wait_loadcnt_dscnt 0x500
	v_mul_f64_e32 v[32:33], v[22:23], v[177:178]
	v_mul_f64_e32 v[177:178], v[24:25], v[177:178]
	v_add_f64_e32 v[26:27], v[28:29], v[26:27]
	v_add_f64_e32 v[28:29], v[183:184], v[189:190]
	v_fma_f64 v[179:180], v[4:5], v[34:35], v[185:186]
	v_fma_f64 v[34:35], v[2:3], v[34:35], -v[36:37]
	v_fma_f64 v[24:25], v[24:25], v[175:176], v[32:33]
	v_fma_f64 v[22:23], v[22:23], v[175:176], -v[177:178]
	v_add_f64_e32 v[30:31], v[26:27], v[30:31]
	v_add_f64_e32 v[36:37], v[28:29], v[181:182]
	ds_load_b128 v[2:5], v1 offset:1968
	ds_load_b128 v[26:29], v1 offset:1984
	s_wait_loadcnt_dscnt 0x401
	v_mul_f64_e32 v[181:182], v[2:3], v[40:41]
	v_mul_f64_e32 v[40:41], v[4:5], v[40:41]
	v_add_f64_e32 v[30:31], v[30:31], v[34:35]
	v_add_f64_e32 v[32:33], v[36:37], v[179:180]
	s_wait_loadcnt_dscnt 0x300
	v_mul_f64_e32 v[34:35], v[26:27], v[8:9]
	v_mul_f64_e32 v[8:9], v[28:29], v[8:9]
	v_fma_f64 v[36:37], v[4:5], v[38:39], v[181:182]
	v_fma_f64 v[38:39], v[2:3], v[38:39], -v[40:41]
	v_add_f64_e32 v[30:31], v[30:31], v[22:23]
	v_add_f64_e32 v[32:33], v[32:33], v[24:25]
	ds_load_b128 v[2:5], v1 offset:2000
	ds_load_b128 v[22:25], v1 offset:2016
	v_fma_f64 v[28:29], v[28:29], v[6:7], v[34:35]
	v_fma_f64 v[6:7], v[26:27], v[6:7], -v[8:9]
	s_wait_loadcnt_dscnt 0x201
	v_mul_f64_e32 v[40:41], v[2:3], v[12:13]
	v_mul_f64_e32 v[12:13], v[4:5], v[12:13]
	v_add_f64_e32 v[8:9], v[30:31], v[38:39]
	v_add_f64_e32 v[26:27], v[32:33], v[36:37]
	s_wait_loadcnt_dscnt 0x100
	v_mul_f64_e32 v[30:31], v[22:23], v[16:17]
	v_mul_f64_e32 v[16:17], v[24:25], v[16:17]
	v_fma_f64 v[32:33], v[4:5], v[10:11], v[40:41]
	v_fma_f64 v[10:11], v[2:3], v[10:11], -v[12:13]
	ds_load_b128 v[2:5], v1 offset:2032
	v_add_f64_e32 v[6:7], v[8:9], v[6:7]
	v_add_f64_e32 v[8:9], v[26:27], v[28:29]
	v_fma_f64 v[24:25], v[24:25], v[14:15], v[30:31]
	v_fma_f64 v[14:15], v[22:23], v[14:15], -v[16:17]
	s_wait_loadcnt_dscnt 0x0
	v_mul_f64_e32 v[12:13], v[2:3], v[20:21]
	v_mul_f64_e32 v[20:21], v[4:5], v[20:21]
	v_add_f64_e32 v[6:7], v[6:7], v[10:11]
	v_add_f64_e32 v[8:9], v[8:9], v[32:33]
	s_delay_alu instid0(VALU_DEP_4) | instskip(NEXT) | instid1(VALU_DEP_4)
	v_fma_f64 v[4:5], v[4:5], v[18:19], v[12:13]
	v_fma_f64 v[2:3], v[2:3], v[18:19], -v[20:21]
	s_delay_alu instid0(VALU_DEP_4) | instskip(NEXT) | instid1(VALU_DEP_4)
	v_add_f64_e32 v[6:7], v[6:7], v[14:15]
	v_add_f64_e32 v[8:9], v[8:9], v[24:25]
	s_delay_alu instid0(VALU_DEP_2) | instskip(NEXT) | instid1(VALU_DEP_2)
	v_add_f64_e32 v[2:3], v[6:7], v[2:3]
	v_add_f64_e32 v[4:5], v[8:9], v[4:5]
	s_delay_alu instid0(VALU_DEP_2) | instskip(NEXT) | instid1(VALU_DEP_2)
	v_add_f64_e64 v[2:3], v[42:43], -v[2:3]
	v_add_f64_e64 v[4:5], v[44:45], -v[4:5]
	scratch_store_b128 off, v[2:5], off offset:144
	v_cmpx_lt_u32_e32 7, v0
	s_cbranch_execz .LBB127_395
; %bb.394:
	scratch_load_b128 v[5:8], off, s72
	v_dual_mov_b32 v2, v1 :: v_dual_mov_b32 v3, v1
	v_mov_b32_e32 v4, v1
	scratch_store_b128 off, v[1:4], off offset:128
	s_wait_loadcnt 0x0
	ds_store_b128 v174, v[5:8]
.LBB127_395:
	s_wait_alu 0xfffe
	s_or_b32 exec_lo, exec_lo, s0
	s_wait_storecnt_dscnt 0x0
	s_barrier_signal -1
	s_barrier_wait -1
	global_inv scope:SCOPE_SE
	s_clause 0x8
	scratch_load_b128 v[2:5], off, off offset:144
	scratch_load_b128 v[6:9], off, off offset:160
	;; [unrolled: 1-line block ×9, first 2 shown]
	ds_load_b128 v[42:45], v1 offset:1152
	ds_load_b128 v[38:41], v1 offset:1168
	s_clause 0x1
	scratch_load_b128 v[175:178], off, off offset:128
	scratch_load_b128 v[179:182], off, off offset:288
	s_mov_b32 s0, exec_lo
	s_wait_loadcnt_dscnt 0xa01
	v_mul_f64_e32 v[183:184], v[44:45], v[4:5]
	v_mul_f64_e32 v[4:5], v[42:43], v[4:5]
	s_wait_loadcnt_dscnt 0x900
	v_mul_f64_e32 v[187:188], v[38:39], v[8:9]
	v_mul_f64_e32 v[8:9], v[40:41], v[8:9]
	s_delay_alu instid0(VALU_DEP_4) | instskip(NEXT) | instid1(VALU_DEP_4)
	v_fma_f64 v[189:190], v[42:43], v[2:3], -v[183:184]
	v_fma_f64 v[191:192], v[44:45], v[2:3], v[4:5]
	ds_load_b128 v[2:5], v1 offset:1184
	ds_load_b128 v[183:186], v1 offset:1200
	scratch_load_b128 v[42:45], off, off offset:304
	v_fma_f64 v[40:41], v[40:41], v[6:7], v[187:188]
	v_fma_f64 v[38:39], v[38:39], v[6:7], -v[8:9]
	scratch_load_b128 v[6:9], off, off offset:320
	s_wait_loadcnt_dscnt 0xa01
	v_mul_f64_e32 v[193:194], v[2:3], v[12:13]
	v_mul_f64_e32 v[12:13], v[4:5], v[12:13]
	v_add_f64_e32 v[187:188], 0, v[189:190]
	v_add_f64_e32 v[189:190], 0, v[191:192]
	s_wait_loadcnt_dscnt 0x900
	v_mul_f64_e32 v[191:192], v[183:184], v[16:17]
	v_mul_f64_e32 v[16:17], v[185:186], v[16:17]
	v_fma_f64 v[193:194], v[4:5], v[10:11], v[193:194]
	v_fma_f64 v[195:196], v[2:3], v[10:11], -v[12:13]
	ds_load_b128 v[2:5], v1 offset:1216
	scratch_load_b128 v[10:13], off, off offset:336
	v_add_f64_e32 v[187:188], v[187:188], v[38:39]
	v_add_f64_e32 v[189:190], v[189:190], v[40:41]
	ds_load_b128 v[38:41], v1 offset:1232
	v_fma_f64 v[185:186], v[185:186], v[14:15], v[191:192]
	v_fma_f64 v[183:184], v[183:184], v[14:15], -v[16:17]
	scratch_load_b128 v[14:17], off, off offset:352
	s_wait_loadcnt_dscnt 0xa01
	v_mul_f64_e32 v[197:198], v[2:3], v[20:21]
	v_mul_f64_e32 v[20:21], v[4:5], v[20:21]
	s_wait_loadcnt_dscnt 0x900
	v_mul_f64_e32 v[191:192], v[38:39], v[24:25]
	v_mul_f64_e32 v[24:25], v[40:41], v[24:25]
	v_add_f64_e32 v[187:188], v[187:188], v[195:196]
	v_add_f64_e32 v[189:190], v[189:190], v[193:194]
	v_fma_f64 v[193:194], v[4:5], v[18:19], v[197:198]
	v_fma_f64 v[195:196], v[2:3], v[18:19], -v[20:21]
	ds_load_b128 v[2:5], v1 offset:1248
	scratch_load_b128 v[18:21], off, off offset:368
	v_fma_f64 v[40:41], v[40:41], v[22:23], v[191:192]
	v_fma_f64 v[38:39], v[38:39], v[22:23], -v[24:25]
	scratch_load_b128 v[22:25], off, off offset:384
	v_add_f64_e32 v[187:188], v[187:188], v[183:184]
	v_add_f64_e32 v[189:190], v[189:190], v[185:186]
	ds_load_b128 v[183:186], v1 offset:1264
	s_wait_loadcnt_dscnt 0xa01
	v_mul_f64_e32 v[197:198], v[2:3], v[28:29]
	v_mul_f64_e32 v[28:29], v[4:5], v[28:29]
	s_wait_loadcnt_dscnt 0x900
	v_mul_f64_e32 v[191:192], v[183:184], v[32:33]
	v_mul_f64_e32 v[32:33], v[185:186], v[32:33]
	v_add_f64_e32 v[187:188], v[187:188], v[195:196]
	v_add_f64_e32 v[189:190], v[189:190], v[193:194]
	v_fma_f64 v[193:194], v[4:5], v[26:27], v[197:198]
	v_fma_f64 v[195:196], v[2:3], v[26:27], -v[28:29]
	ds_load_b128 v[2:5], v1 offset:1280
	scratch_load_b128 v[26:29], off, off offset:400
	v_fma_f64 v[185:186], v[185:186], v[30:31], v[191:192]
	v_fma_f64 v[183:184], v[183:184], v[30:31], -v[32:33]
	scratch_load_b128 v[30:33], off, off offset:416
	v_add_f64_e32 v[187:188], v[187:188], v[38:39]
	v_add_f64_e32 v[189:190], v[189:190], v[40:41]
	ds_load_b128 v[38:41], v1 offset:1296
	s_wait_loadcnt_dscnt 0xa01
	v_mul_f64_e32 v[197:198], v[2:3], v[36:37]
	v_mul_f64_e32 v[36:37], v[4:5], v[36:37]
	s_wait_loadcnt_dscnt 0x800
	v_mul_f64_e32 v[191:192], v[38:39], v[181:182]
	v_add_f64_e32 v[187:188], v[187:188], v[195:196]
	v_add_f64_e32 v[189:190], v[189:190], v[193:194]
	v_mul_f64_e32 v[193:194], v[40:41], v[181:182]
	v_fma_f64 v[195:196], v[4:5], v[34:35], v[197:198]
	v_fma_f64 v[197:198], v[2:3], v[34:35], -v[36:37]
	ds_load_b128 v[2:5], v1 offset:1312
	scratch_load_b128 v[34:37], off, off offset:432
	v_fma_f64 v[191:192], v[40:41], v[179:180], v[191:192]
	v_add_f64_e32 v[187:188], v[187:188], v[183:184]
	v_add_f64_e32 v[185:186], v[189:190], v[185:186]
	ds_load_b128 v[181:184], v1 offset:1328
	v_fma_f64 v[179:180], v[38:39], v[179:180], -v[193:194]
	scratch_load_b128 v[38:41], off, off offset:448
	s_wait_loadcnt_dscnt 0x901
	v_mul_f64_e32 v[189:190], v[2:3], v[44:45]
	v_mul_f64_e32 v[44:45], v[4:5], v[44:45]
	s_wait_loadcnt_dscnt 0x800
	v_mul_f64_e32 v[193:194], v[181:182], v[8:9]
	v_mul_f64_e32 v[8:9], v[183:184], v[8:9]
	v_add_f64_e32 v[187:188], v[187:188], v[197:198]
	v_add_f64_e32 v[185:186], v[185:186], v[195:196]
	v_fma_f64 v[189:190], v[4:5], v[42:43], v[189:190]
	v_fma_f64 v[195:196], v[2:3], v[42:43], -v[44:45]
	ds_load_b128 v[2:5], v1 offset:1344
	scratch_load_b128 v[42:45], off, off offset:464
	v_fma_f64 v[183:184], v[183:184], v[6:7], v[193:194]
	v_fma_f64 v[181:182], v[181:182], v[6:7], -v[8:9]
	scratch_load_b128 v[6:9], off, off offset:480
	v_add_f64_e32 v[179:180], v[187:188], v[179:180]
	v_add_f64_e32 v[191:192], v[185:186], v[191:192]
	ds_load_b128 v[185:188], v1 offset:1360
	s_wait_loadcnt_dscnt 0x901
	v_mul_f64_e32 v[197:198], v[2:3], v[12:13]
	v_mul_f64_e32 v[12:13], v[4:5], v[12:13]
	v_add_f64_e32 v[179:180], v[179:180], v[195:196]
	v_add_f64_e32 v[189:190], v[191:192], v[189:190]
	s_wait_loadcnt_dscnt 0x800
	v_mul_f64_e32 v[191:192], v[185:186], v[16:17]
	v_mul_f64_e32 v[16:17], v[187:188], v[16:17]
	v_fma_f64 v[193:194], v[4:5], v[10:11], v[197:198]
	v_fma_f64 v[195:196], v[2:3], v[10:11], -v[12:13]
	ds_load_b128 v[2:5], v1 offset:1376
	scratch_load_b128 v[10:13], off, off offset:496
	v_add_f64_e32 v[197:198], v[179:180], v[181:182]
	v_add_f64_e32 v[183:184], v[189:190], v[183:184]
	ds_load_b128 v[179:182], v1 offset:1392
	s_wait_loadcnt_dscnt 0x801
	v_mul_f64_e32 v[189:190], v[2:3], v[20:21]
	v_mul_f64_e32 v[20:21], v[4:5], v[20:21]
	v_fma_f64 v[187:188], v[187:188], v[14:15], v[191:192]
	v_fma_f64 v[185:186], v[185:186], v[14:15], -v[16:17]
	scratch_load_b128 v[14:17], off, off offset:512
	v_add_f64_e32 v[191:192], v[197:198], v[195:196]
	v_add_f64_e32 v[183:184], v[183:184], v[193:194]
	s_wait_loadcnt_dscnt 0x800
	v_mul_f64_e32 v[193:194], v[179:180], v[24:25]
	v_mul_f64_e32 v[24:25], v[181:182], v[24:25]
	v_fma_f64 v[189:190], v[4:5], v[18:19], v[189:190]
	v_fma_f64 v[195:196], v[2:3], v[18:19], -v[20:21]
	ds_load_b128 v[2:5], v1 offset:1408
	scratch_load_b128 v[18:21], off, off offset:528
	v_add_f64_e32 v[191:192], v[191:192], v[185:186]
	v_add_f64_e32 v[187:188], v[183:184], v[187:188]
	ds_load_b128 v[183:186], v1 offset:1424
	s_wait_loadcnt_dscnt 0x801
	v_mul_f64_e32 v[197:198], v[2:3], v[28:29]
	v_mul_f64_e32 v[28:29], v[4:5], v[28:29]
	v_fma_f64 v[181:182], v[181:182], v[22:23], v[193:194]
	v_fma_f64 v[179:180], v[179:180], v[22:23], -v[24:25]
	scratch_load_b128 v[22:25], off, off offset:544
	;; [unrolled: 18-line block ×4, first 2 shown]
	s_wait_loadcnt_dscnt 0x800
	v_mul_f64_e32 v[191:192], v[183:184], v[8:9]
	v_mul_f64_e32 v[8:9], v[185:186], v[8:9]
	v_add_f64_e32 v[189:190], v[189:190], v[195:196]
	v_add_f64_e32 v[187:188], v[187:188], v[193:194]
	v_fma_f64 v[193:194], v[4:5], v[42:43], v[197:198]
	v_fma_f64 v[195:196], v[2:3], v[42:43], -v[44:45]
	ds_load_b128 v[2:5], v1 offset:1504
	scratch_load_b128 v[42:45], off, off offset:624
	v_fma_f64 v[185:186], v[185:186], v[6:7], v[191:192]
	v_fma_f64 v[183:184], v[183:184], v[6:7], -v[8:9]
	scratch_load_b128 v[6:9], off, off offset:640
	v_add_f64_e32 v[189:190], v[189:190], v[179:180]
	v_add_f64_e32 v[187:188], v[187:188], v[181:182]
	ds_load_b128 v[179:182], v1 offset:1520
	s_wait_loadcnt_dscnt 0x901
	v_mul_f64_e32 v[197:198], v[2:3], v[12:13]
	v_mul_f64_e32 v[12:13], v[4:5], v[12:13]
	s_wait_loadcnt_dscnt 0x800
	v_mul_f64_e32 v[191:192], v[179:180], v[16:17]
	v_mul_f64_e32 v[16:17], v[181:182], v[16:17]
	v_add_f64_e32 v[189:190], v[189:190], v[195:196]
	v_add_f64_e32 v[187:188], v[187:188], v[193:194]
	v_fma_f64 v[193:194], v[4:5], v[10:11], v[197:198]
	v_fma_f64 v[195:196], v[2:3], v[10:11], -v[12:13]
	ds_load_b128 v[2:5], v1 offset:1536
	scratch_load_b128 v[10:13], off, off offset:656
	v_fma_f64 v[181:182], v[181:182], v[14:15], v[191:192]
	v_fma_f64 v[179:180], v[179:180], v[14:15], -v[16:17]
	scratch_load_b128 v[14:17], off, off offset:672
	v_add_f64_e32 v[189:190], v[189:190], v[183:184]
	v_add_f64_e32 v[187:188], v[187:188], v[185:186]
	ds_load_b128 v[183:186], v1 offset:1552
	s_wait_loadcnt_dscnt 0x901
	v_mul_f64_e32 v[197:198], v[2:3], v[20:21]
	v_mul_f64_e32 v[20:21], v[4:5], v[20:21]
	;; [unrolled: 18-line block ×13, first 2 shown]
	s_wait_loadcnt_dscnt 0x800
	v_mul_f64_e32 v[191:192], v[179:180], v[32:33]
	v_mul_f64_e32 v[32:33], v[181:182], v[32:33]
	v_add_f64_e32 v[189:190], v[189:190], v[195:196]
	v_add_f64_e32 v[187:188], v[187:188], v[193:194]
	v_fma_f64 v[193:194], v[4:5], v[26:27], v[197:198]
	v_fma_f64 v[195:196], v[2:3], v[26:27], -v[28:29]
	ds_load_b128 v[2:5], v1 offset:1920
	ds_load_b128 v[26:29], v1 offset:1936
	v_fma_f64 v[181:182], v[181:182], v[30:31], v[191:192]
	v_fma_f64 v[30:31], v[179:180], v[30:31], -v[32:33]
	v_add_f64_e32 v[183:184], v[189:190], v[183:184]
	v_add_f64_e32 v[185:186], v[187:188], v[185:186]
	s_wait_loadcnt_dscnt 0x701
	v_mul_f64_e32 v[187:188], v[2:3], v[36:37]
	v_mul_f64_e32 v[36:37], v[4:5], v[36:37]
	s_delay_alu instid0(VALU_DEP_4) | instskip(NEXT) | instid1(VALU_DEP_4)
	v_add_f64_e32 v[32:33], v[183:184], v[195:196]
	v_add_f64_e32 v[179:180], v[185:186], v[193:194]
	s_wait_loadcnt_dscnt 0x600
	v_mul_f64_e32 v[183:184], v[26:27], v[40:41]
	v_mul_f64_e32 v[40:41], v[28:29], v[40:41]
	v_fma_f64 v[185:186], v[4:5], v[34:35], v[187:188]
	v_fma_f64 v[34:35], v[2:3], v[34:35], -v[36:37]
	v_add_f64_e32 v[36:37], v[32:33], v[30:31]
	v_add_f64_e32 v[179:180], v[179:180], v[181:182]
	ds_load_b128 v[2:5], v1 offset:1952
	ds_load_b128 v[30:33], v1 offset:1968
	v_fma_f64 v[28:29], v[28:29], v[38:39], v[183:184]
	v_fma_f64 v[26:27], v[26:27], v[38:39], -v[40:41]
	s_wait_loadcnt_dscnt 0x501
	v_mul_f64_e32 v[181:182], v[2:3], v[44:45]
	v_mul_f64_e32 v[44:45], v[4:5], v[44:45]
	s_wait_loadcnt_dscnt 0x400
	v_mul_f64_e32 v[38:39], v[30:31], v[8:9]
	v_mul_f64_e32 v[8:9], v[32:33], v[8:9]
	v_add_f64_e32 v[34:35], v[36:37], v[34:35]
	v_add_f64_e32 v[36:37], v[179:180], v[185:186]
	v_fma_f64 v[40:41], v[4:5], v[42:43], v[181:182]
	v_fma_f64 v[42:43], v[2:3], v[42:43], -v[44:45]
	v_fma_f64 v[32:33], v[32:33], v[6:7], v[38:39]
	v_fma_f64 v[6:7], v[30:31], v[6:7], -v[8:9]
	v_add_f64_e32 v[34:35], v[34:35], v[26:27]
	v_add_f64_e32 v[36:37], v[36:37], v[28:29]
	ds_load_b128 v[2:5], v1 offset:1984
	ds_load_b128 v[26:29], v1 offset:2000
	s_wait_loadcnt_dscnt 0x301
	v_mul_f64_e32 v[44:45], v[2:3], v[12:13]
	v_mul_f64_e32 v[12:13], v[4:5], v[12:13]
	v_add_f64_e32 v[8:9], v[34:35], v[42:43]
	v_add_f64_e32 v[30:31], v[36:37], v[40:41]
	s_wait_loadcnt_dscnt 0x200
	v_mul_f64_e32 v[34:35], v[26:27], v[16:17]
	v_mul_f64_e32 v[16:17], v[28:29], v[16:17]
	v_fma_f64 v[36:37], v[4:5], v[10:11], v[44:45]
	v_fma_f64 v[10:11], v[2:3], v[10:11], -v[12:13]
	v_add_f64_e32 v[12:13], v[8:9], v[6:7]
	v_add_f64_e32 v[30:31], v[30:31], v[32:33]
	ds_load_b128 v[2:5], v1 offset:2016
	ds_load_b128 v[6:9], v1 offset:2032
	v_fma_f64 v[28:29], v[28:29], v[14:15], v[34:35]
	v_fma_f64 v[14:15], v[26:27], v[14:15], -v[16:17]
	s_wait_loadcnt_dscnt 0x101
	v_mul_f64_e32 v[32:33], v[2:3], v[20:21]
	v_mul_f64_e32 v[20:21], v[4:5], v[20:21]
	s_wait_loadcnt_dscnt 0x0
	v_mul_f64_e32 v[16:17], v[6:7], v[24:25]
	v_mul_f64_e32 v[24:25], v[8:9], v[24:25]
	v_add_f64_e32 v[10:11], v[12:13], v[10:11]
	v_add_f64_e32 v[12:13], v[30:31], v[36:37]
	v_fma_f64 v[4:5], v[4:5], v[18:19], v[32:33]
	v_fma_f64 v[1:2], v[2:3], v[18:19], -v[20:21]
	v_fma_f64 v[8:9], v[8:9], v[22:23], v[16:17]
	v_fma_f64 v[6:7], v[6:7], v[22:23], -v[24:25]
	v_add_f64_e32 v[10:11], v[10:11], v[14:15]
	v_add_f64_e32 v[12:13], v[12:13], v[28:29]
	s_delay_alu instid0(VALU_DEP_2) | instskip(NEXT) | instid1(VALU_DEP_2)
	v_add_f64_e32 v[1:2], v[10:11], v[1:2]
	v_add_f64_e32 v[3:4], v[12:13], v[4:5]
	s_delay_alu instid0(VALU_DEP_2) | instskip(NEXT) | instid1(VALU_DEP_2)
	;; [unrolled: 3-line block ×3, first 2 shown]
	v_add_f64_e64 v[1:2], v[175:176], -v[1:2]
	v_add_f64_e64 v[3:4], v[177:178], -v[3:4]
	scratch_store_b128 off, v[1:4], off offset:128
	v_cmpx_lt_u32_e32 6, v0
	s_cbranch_execz .LBB127_397
; %bb.396:
	scratch_load_b128 v[1:4], off, s73
	v_mov_b32_e32 v5, 0
	s_delay_alu instid0(VALU_DEP_1)
	v_dual_mov_b32 v6, v5 :: v_dual_mov_b32 v7, v5
	v_mov_b32_e32 v8, v5
	scratch_store_b128 off, v[5:8], off offset:112
	s_wait_loadcnt 0x0
	ds_store_b128 v174, v[1:4]
.LBB127_397:
	s_wait_alu 0xfffe
	s_or_b32 exec_lo, exec_lo, s0
	s_wait_storecnt_dscnt 0x0
	s_barrier_signal -1
	s_barrier_wait -1
	global_inv scope:SCOPE_SE
	s_clause 0x7
	scratch_load_b128 v[2:5], off, off offset:128
	scratch_load_b128 v[6:9], off, off offset:144
	;; [unrolled: 1-line block ×8, first 2 shown]
	v_mov_b32_e32 v1, 0
	s_mov_b32 s0, exec_lo
	ds_load_b128 v[38:41], v1 offset:1136
	s_clause 0x1
	scratch_load_b128 v[34:37], off, off offset:256
	scratch_load_b128 v[42:45], off, off offset:112
	ds_load_b128 v[175:178], v1 offset:1152
	scratch_load_b128 v[179:182], off, off offset:272
	s_wait_loadcnt_dscnt 0xa01
	v_mul_f64_e32 v[183:184], v[40:41], v[4:5]
	v_mul_f64_e32 v[4:5], v[38:39], v[4:5]
	s_delay_alu instid0(VALU_DEP_2) | instskip(NEXT) | instid1(VALU_DEP_2)
	v_fma_f64 v[189:190], v[38:39], v[2:3], -v[183:184]
	v_fma_f64 v[191:192], v[40:41], v[2:3], v[4:5]
	ds_load_b128 v[2:5], v1 offset:1168
	s_wait_loadcnt_dscnt 0x901
	v_mul_f64_e32 v[187:188], v[175:176], v[8:9]
	v_mul_f64_e32 v[8:9], v[177:178], v[8:9]
	scratch_load_b128 v[38:41], off, off offset:288
	ds_load_b128 v[183:186], v1 offset:1184
	s_wait_loadcnt_dscnt 0x901
	v_mul_f64_e32 v[193:194], v[2:3], v[12:13]
	v_mul_f64_e32 v[12:13], v[4:5], v[12:13]
	v_fma_f64 v[177:178], v[177:178], v[6:7], v[187:188]
	v_fma_f64 v[175:176], v[175:176], v[6:7], -v[8:9]
	v_add_f64_e32 v[187:188], 0, v[189:190]
	v_add_f64_e32 v[189:190], 0, v[191:192]
	scratch_load_b128 v[6:9], off, off offset:304
	v_fma_f64 v[193:194], v[4:5], v[10:11], v[193:194]
	v_fma_f64 v[195:196], v[2:3], v[10:11], -v[12:13]
	ds_load_b128 v[2:5], v1 offset:1200
	s_wait_loadcnt_dscnt 0x901
	v_mul_f64_e32 v[191:192], v[183:184], v[16:17]
	v_mul_f64_e32 v[16:17], v[185:186], v[16:17]
	scratch_load_b128 v[10:13], off, off offset:320
	v_add_f64_e32 v[187:188], v[187:188], v[175:176]
	v_add_f64_e32 v[189:190], v[189:190], v[177:178]
	s_wait_loadcnt_dscnt 0x900
	v_mul_f64_e32 v[197:198], v[2:3], v[20:21]
	v_mul_f64_e32 v[20:21], v[4:5], v[20:21]
	ds_load_b128 v[175:178], v1 offset:1216
	v_fma_f64 v[185:186], v[185:186], v[14:15], v[191:192]
	v_fma_f64 v[183:184], v[183:184], v[14:15], -v[16:17]
	scratch_load_b128 v[14:17], off, off offset:336
	v_add_f64_e32 v[187:188], v[187:188], v[195:196]
	v_add_f64_e32 v[189:190], v[189:190], v[193:194]
	v_fma_f64 v[193:194], v[4:5], v[18:19], v[197:198]
	v_fma_f64 v[195:196], v[2:3], v[18:19], -v[20:21]
	ds_load_b128 v[2:5], v1 offset:1232
	s_wait_loadcnt_dscnt 0x901
	v_mul_f64_e32 v[191:192], v[175:176], v[24:25]
	v_mul_f64_e32 v[24:25], v[177:178], v[24:25]
	scratch_load_b128 v[18:21], off, off offset:352
	s_wait_loadcnt_dscnt 0x900
	v_mul_f64_e32 v[197:198], v[2:3], v[28:29]
	v_mul_f64_e32 v[28:29], v[4:5], v[28:29]
	v_add_f64_e32 v[187:188], v[187:188], v[183:184]
	v_add_f64_e32 v[189:190], v[189:190], v[185:186]
	ds_load_b128 v[183:186], v1 offset:1248
	v_fma_f64 v[177:178], v[177:178], v[22:23], v[191:192]
	v_fma_f64 v[175:176], v[175:176], v[22:23], -v[24:25]
	scratch_load_b128 v[22:25], off, off offset:368
	v_add_f64_e32 v[187:188], v[187:188], v[195:196]
	v_add_f64_e32 v[189:190], v[189:190], v[193:194]
	v_fma_f64 v[193:194], v[4:5], v[26:27], v[197:198]
	v_fma_f64 v[195:196], v[2:3], v[26:27], -v[28:29]
	ds_load_b128 v[2:5], v1 offset:1264
	s_wait_loadcnt_dscnt 0x901
	v_mul_f64_e32 v[191:192], v[183:184], v[32:33]
	v_mul_f64_e32 v[32:33], v[185:186], v[32:33]
	scratch_load_b128 v[26:29], off, off offset:384
	s_wait_loadcnt_dscnt 0x900
	v_mul_f64_e32 v[197:198], v[2:3], v[36:37]
	v_mul_f64_e32 v[36:37], v[4:5], v[36:37]
	v_add_f64_e32 v[187:188], v[187:188], v[175:176]
	v_add_f64_e32 v[189:190], v[189:190], v[177:178]
	ds_load_b128 v[175:178], v1 offset:1280
	v_fma_f64 v[185:186], v[185:186], v[30:31], v[191:192]
	v_fma_f64 v[183:184], v[183:184], v[30:31], -v[32:33]
	scratch_load_b128 v[30:33], off, off offset:400
	v_add_f64_e32 v[187:188], v[187:188], v[195:196]
	v_add_f64_e32 v[189:190], v[189:190], v[193:194]
	v_fma_f64 v[195:196], v[4:5], v[34:35], v[197:198]
	v_fma_f64 v[197:198], v[2:3], v[34:35], -v[36:37]
	ds_load_b128 v[2:5], v1 offset:1296
	s_wait_loadcnt_dscnt 0x801
	v_mul_f64_e32 v[191:192], v[175:176], v[181:182]
	v_mul_f64_e32 v[193:194], v[177:178], v[181:182]
	scratch_load_b128 v[34:37], off, off offset:416
	v_add_f64_e32 v[187:188], v[187:188], v[183:184]
	v_add_f64_e32 v[185:186], v[189:190], v[185:186]
	ds_load_b128 v[181:184], v1 offset:1312
	v_fma_f64 v[191:192], v[177:178], v[179:180], v[191:192]
	v_fma_f64 v[179:180], v[175:176], v[179:180], -v[193:194]
	scratch_load_b128 v[175:178], off, off offset:432
	s_wait_loadcnt_dscnt 0x901
	v_mul_f64_e32 v[189:190], v[2:3], v[40:41]
	v_mul_f64_e32 v[40:41], v[4:5], v[40:41]
	v_add_f64_e32 v[187:188], v[187:188], v[197:198]
	v_add_f64_e32 v[185:186], v[185:186], v[195:196]
	s_delay_alu instid0(VALU_DEP_4) | instskip(NEXT) | instid1(VALU_DEP_4)
	v_fma_f64 v[189:190], v[4:5], v[38:39], v[189:190]
	v_fma_f64 v[195:196], v[2:3], v[38:39], -v[40:41]
	ds_load_b128 v[2:5], v1 offset:1328
	s_wait_loadcnt_dscnt 0x801
	v_mul_f64_e32 v[193:194], v[181:182], v[8:9]
	v_mul_f64_e32 v[8:9], v[183:184], v[8:9]
	scratch_load_b128 v[38:41], off, off offset:448
	s_wait_loadcnt_dscnt 0x800
	v_mul_f64_e32 v[197:198], v[2:3], v[12:13]
	v_add_f64_e32 v[179:180], v[187:188], v[179:180]
	v_add_f64_e32 v[191:192], v[185:186], v[191:192]
	v_mul_f64_e32 v[12:13], v[4:5], v[12:13]
	ds_load_b128 v[185:188], v1 offset:1344
	v_fma_f64 v[183:184], v[183:184], v[6:7], v[193:194]
	v_fma_f64 v[181:182], v[181:182], v[6:7], -v[8:9]
	scratch_load_b128 v[6:9], off, off offset:464
	v_fma_f64 v[193:194], v[4:5], v[10:11], v[197:198]
	v_add_f64_e32 v[179:180], v[179:180], v[195:196]
	v_add_f64_e32 v[189:190], v[191:192], v[189:190]
	v_fma_f64 v[195:196], v[2:3], v[10:11], -v[12:13]
	ds_load_b128 v[2:5], v1 offset:1360
	s_wait_loadcnt_dscnt 0x801
	v_mul_f64_e32 v[191:192], v[185:186], v[16:17]
	v_mul_f64_e32 v[16:17], v[187:188], v[16:17]
	scratch_load_b128 v[10:13], off, off offset:480
	v_add_f64_e32 v[197:198], v[179:180], v[181:182]
	v_add_f64_e32 v[183:184], v[189:190], v[183:184]
	s_wait_loadcnt_dscnt 0x800
	v_mul_f64_e32 v[189:190], v[2:3], v[20:21]
	v_mul_f64_e32 v[20:21], v[4:5], v[20:21]
	v_fma_f64 v[187:188], v[187:188], v[14:15], v[191:192]
	v_fma_f64 v[185:186], v[185:186], v[14:15], -v[16:17]
	ds_load_b128 v[179:182], v1 offset:1376
	scratch_load_b128 v[14:17], off, off offset:496
	v_add_f64_e32 v[191:192], v[197:198], v[195:196]
	v_add_f64_e32 v[183:184], v[183:184], v[193:194]
	v_fma_f64 v[189:190], v[4:5], v[18:19], v[189:190]
	v_fma_f64 v[195:196], v[2:3], v[18:19], -v[20:21]
	ds_load_b128 v[2:5], v1 offset:1392
	s_wait_loadcnt_dscnt 0x801
	v_mul_f64_e32 v[193:194], v[179:180], v[24:25]
	v_mul_f64_e32 v[24:25], v[181:182], v[24:25]
	scratch_load_b128 v[18:21], off, off offset:512
	s_wait_loadcnt_dscnt 0x800
	v_mul_f64_e32 v[197:198], v[2:3], v[28:29]
	v_mul_f64_e32 v[28:29], v[4:5], v[28:29]
	v_add_f64_e32 v[191:192], v[191:192], v[185:186]
	v_add_f64_e32 v[187:188], v[183:184], v[187:188]
	ds_load_b128 v[183:186], v1 offset:1408
	v_fma_f64 v[181:182], v[181:182], v[22:23], v[193:194]
	v_fma_f64 v[179:180], v[179:180], v[22:23], -v[24:25]
	scratch_load_b128 v[22:25], off, off offset:528
	v_fma_f64 v[193:194], v[4:5], v[26:27], v[197:198]
	v_add_f64_e32 v[191:192], v[191:192], v[195:196]
	v_add_f64_e32 v[187:188], v[187:188], v[189:190]
	v_fma_f64 v[195:196], v[2:3], v[26:27], -v[28:29]
	ds_load_b128 v[2:5], v1 offset:1424
	s_wait_loadcnt_dscnt 0x801
	v_mul_f64_e32 v[189:190], v[183:184], v[32:33]
	v_mul_f64_e32 v[32:33], v[185:186], v[32:33]
	scratch_load_b128 v[26:29], off, off offset:544
	s_wait_loadcnt_dscnt 0x800
	v_mul_f64_e32 v[197:198], v[2:3], v[36:37]
	v_mul_f64_e32 v[36:37], v[4:5], v[36:37]
	v_add_f64_e32 v[191:192], v[191:192], v[179:180]
	v_add_f64_e32 v[187:188], v[187:188], v[181:182]
	ds_load_b128 v[179:182], v1 offset:1440
	v_fma_f64 v[185:186], v[185:186], v[30:31], v[189:190]
	v_fma_f64 v[183:184], v[183:184], v[30:31], -v[32:33]
	scratch_load_b128 v[30:33], off, off offset:560
	v_add_f64_e32 v[189:190], v[191:192], v[195:196]
	v_add_f64_e32 v[187:188], v[187:188], v[193:194]
	v_fma_f64 v[193:194], v[4:5], v[34:35], v[197:198]
	v_fma_f64 v[195:196], v[2:3], v[34:35], -v[36:37]
	ds_load_b128 v[2:5], v1 offset:1456
	s_wait_loadcnt_dscnt 0x801
	v_mul_f64_e32 v[191:192], v[179:180], v[177:178]
	v_mul_f64_e32 v[177:178], v[181:182], v[177:178]
	scratch_load_b128 v[34:37], off, off offset:576
	s_wait_loadcnt_dscnt 0x800
	v_mul_f64_e32 v[197:198], v[2:3], v[40:41]
	v_mul_f64_e32 v[40:41], v[4:5], v[40:41]
	v_add_f64_e32 v[189:190], v[189:190], v[183:184]
	v_add_f64_e32 v[187:188], v[187:188], v[185:186]
	ds_load_b128 v[183:186], v1 offset:1472
	v_fma_f64 v[181:182], v[181:182], v[175:176], v[191:192]
	v_fma_f64 v[179:180], v[179:180], v[175:176], -v[177:178]
	scratch_load_b128 v[175:178], off, off offset:592
	v_add_f64_e32 v[189:190], v[189:190], v[195:196]
	v_add_f64_e32 v[187:188], v[187:188], v[193:194]
	v_fma_f64 v[193:194], v[4:5], v[38:39], v[197:198]
	;; [unrolled: 18-line block ×6, first 2 shown]
	v_fma_f64 v[197:198], v[2:3], v[34:35], -v[36:37]
	ds_load_b128 v[2:5], v1 offset:1616
	s_wait_loadcnt_dscnt 0x801
	v_mul_f64_e32 v[191:192], v[183:184], v[177:178]
	v_mul_f64_e32 v[193:194], v[185:186], v[177:178]
	scratch_load_b128 v[34:37], off, off offset:736
	v_add_f64_e32 v[189:190], v[189:190], v[179:180]
	v_add_f64_e32 v[181:182], v[187:188], v[181:182]
	s_wait_loadcnt_dscnt 0x800
	v_mul_f64_e32 v[187:188], v[2:3], v[40:41]
	v_mul_f64_e32 v[40:41], v[4:5], v[40:41]
	ds_load_b128 v[177:180], v1 offset:1632
	v_fma_f64 v[185:186], v[185:186], v[175:176], v[191:192]
	v_fma_f64 v[175:176], v[183:184], v[175:176], -v[193:194]
	v_add_f64_e32 v[189:190], v[189:190], v[197:198]
	v_add_f64_e32 v[191:192], v[181:182], v[195:196]
	scratch_load_b128 v[181:184], off, off offset:752
	v_fma_f64 v[195:196], v[4:5], v[38:39], v[187:188]
	v_fma_f64 v[197:198], v[2:3], v[38:39], -v[40:41]
	ds_load_b128 v[2:5], v1 offset:1648
	s_wait_loadcnt_dscnt 0x801
	v_mul_f64_e32 v[193:194], v[177:178], v[8:9]
	v_mul_f64_e32 v[8:9], v[179:180], v[8:9]
	scratch_load_b128 v[38:41], off, off offset:768
	v_add_f64_e32 v[175:176], v[189:190], v[175:176]
	v_add_f64_e32 v[189:190], v[191:192], v[185:186]
	s_wait_loadcnt_dscnt 0x800
	v_mul_f64_e32 v[191:192], v[2:3], v[12:13]
	v_mul_f64_e32 v[12:13], v[4:5], v[12:13]
	ds_load_b128 v[185:188], v1 offset:1664
	v_fma_f64 v[179:180], v[179:180], v[6:7], v[193:194]
	v_fma_f64 v[177:178], v[177:178], v[6:7], -v[8:9]
	scratch_load_b128 v[6:9], off, off offset:784
	v_add_f64_e32 v[175:176], v[175:176], v[197:198]
	v_add_f64_e32 v[189:190], v[189:190], v[195:196]
	v_fma_f64 v[191:192], v[4:5], v[10:11], v[191:192]
	v_fma_f64 v[195:196], v[2:3], v[10:11], -v[12:13]
	ds_load_b128 v[2:5], v1 offset:1680
	s_wait_loadcnt_dscnt 0x801
	v_mul_f64_e32 v[193:194], v[185:186], v[16:17]
	v_mul_f64_e32 v[16:17], v[187:188], v[16:17]
	scratch_load_b128 v[10:13], off, off offset:800
	v_add_f64_e32 v[197:198], v[175:176], v[177:178]
	v_add_f64_e32 v[179:180], v[189:190], v[179:180]
	s_wait_loadcnt_dscnt 0x800
	v_mul_f64_e32 v[189:190], v[2:3], v[20:21]
	v_mul_f64_e32 v[20:21], v[4:5], v[20:21]
	ds_load_b128 v[175:178], v1 offset:1696
	v_fma_f64 v[187:188], v[187:188], v[14:15], v[193:194]
	v_fma_f64 v[185:186], v[185:186], v[14:15], -v[16:17]
	scratch_load_b128 v[14:17], off, off offset:816
	v_add_f64_e32 v[193:194], v[197:198], v[195:196]
	v_add_f64_e32 v[179:180], v[179:180], v[191:192]
	v_fma_f64 v[189:190], v[4:5], v[18:19], v[189:190]
	v_fma_f64 v[195:196], v[2:3], v[18:19], -v[20:21]
	ds_load_b128 v[2:5], v1 offset:1712
	s_wait_loadcnt_dscnt 0x801
	v_mul_f64_e32 v[191:192], v[175:176], v[24:25]
	v_mul_f64_e32 v[24:25], v[177:178], v[24:25]
	scratch_load_b128 v[18:21], off, off offset:832
	s_wait_loadcnt_dscnt 0x800
	v_mul_f64_e32 v[197:198], v[2:3], v[28:29]
	v_mul_f64_e32 v[28:29], v[4:5], v[28:29]
	v_add_f64_e32 v[193:194], v[193:194], v[185:186]
	v_add_f64_e32 v[179:180], v[179:180], v[187:188]
	ds_load_b128 v[185:188], v1 offset:1728
	v_fma_f64 v[177:178], v[177:178], v[22:23], v[191:192]
	v_fma_f64 v[175:176], v[175:176], v[22:23], -v[24:25]
	scratch_load_b128 v[22:25], off, off offset:848
	v_add_f64_e32 v[191:192], v[193:194], v[195:196]
	v_add_f64_e32 v[179:180], v[179:180], v[189:190]
	v_fma_f64 v[193:194], v[4:5], v[26:27], v[197:198]
	v_fma_f64 v[195:196], v[2:3], v[26:27], -v[28:29]
	ds_load_b128 v[2:5], v1 offset:1744
	s_wait_loadcnt_dscnt 0x801
	v_mul_f64_e32 v[189:190], v[185:186], v[32:33]
	v_mul_f64_e32 v[32:33], v[187:188], v[32:33]
	scratch_load_b128 v[26:29], off, off offset:864
	s_wait_loadcnt_dscnt 0x800
	v_mul_f64_e32 v[197:198], v[2:3], v[36:37]
	v_mul_f64_e32 v[36:37], v[4:5], v[36:37]
	v_add_f64_e32 v[191:192], v[191:192], v[175:176]
	v_add_f64_e32 v[179:180], v[179:180], v[177:178]
	ds_load_b128 v[175:178], v1 offset:1760
	v_fma_f64 v[187:188], v[187:188], v[30:31], v[189:190]
	v_fma_f64 v[185:186], v[185:186], v[30:31], -v[32:33]
	scratch_load_b128 v[30:33], off, off offset:880
	v_add_f64_e32 v[189:190], v[191:192], v[195:196]
	v_add_f64_e32 v[179:180], v[179:180], v[193:194]
	v_fma_f64 v[195:196], v[4:5], v[34:35], v[197:198]
	v_fma_f64 v[197:198], v[2:3], v[34:35], -v[36:37]
	ds_load_b128 v[2:5], v1 offset:1776
	scratch_load_b128 v[34:37], off, off offset:896
	s_wait_loadcnt_dscnt 0x901
	v_mul_f64_e32 v[191:192], v[175:176], v[183:184]
	v_mul_f64_e32 v[193:194], v[177:178], v[183:184]
	v_add_f64_e32 v[189:190], v[189:190], v[185:186]
	v_add_f64_e32 v[179:180], v[179:180], v[187:188]
	s_wait_loadcnt_dscnt 0x800
	v_mul_f64_e32 v[187:188], v[2:3], v[40:41]
	v_mul_f64_e32 v[40:41], v[4:5], v[40:41]
	ds_load_b128 v[183:186], v1 offset:1792
	v_fma_f64 v[191:192], v[177:178], v[181:182], v[191:192]
	v_fma_f64 v[181:182], v[175:176], v[181:182], -v[193:194]
	scratch_load_b128 v[175:178], off, off offset:912
	v_add_f64_e32 v[189:190], v[189:190], v[197:198]
	v_add_f64_e32 v[179:180], v[179:180], v[195:196]
	v_fma_f64 v[187:188], v[4:5], v[38:39], v[187:188]
	v_fma_f64 v[195:196], v[2:3], v[38:39], -v[40:41]
	ds_load_b128 v[2:5], v1 offset:1808
	s_wait_loadcnt_dscnt 0x801
	v_mul_f64_e32 v[193:194], v[183:184], v[8:9]
	v_mul_f64_e32 v[8:9], v[185:186], v[8:9]
	scratch_load_b128 v[38:41], off, off offset:928
	s_wait_loadcnt_dscnt 0x800
	v_mul_f64_e32 v[197:198], v[2:3], v[12:13]
	v_mul_f64_e32 v[12:13], v[4:5], v[12:13]
	v_add_f64_e32 v[189:190], v[189:190], v[181:182]
	v_add_f64_e32 v[191:192], v[179:180], v[191:192]
	ds_load_b128 v[179:182], v1 offset:1824
	v_fma_f64 v[185:186], v[185:186], v[6:7], v[193:194]
	v_fma_f64 v[183:184], v[183:184], v[6:7], -v[8:9]
	scratch_load_b128 v[6:9], off, off offset:944
	v_fma_f64 v[193:194], v[4:5], v[10:11], v[197:198]
	v_add_f64_e32 v[189:190], v[189:190], v[195:196]
	v_add_f64_e32 v[187:188], v[191:192], v[187:188]
	v_fma_f64 v[195:196], v[2:3], v[10:11], -v[12:13]
	ds_load_b128 v[2:5], v1 offset:1840
	s_wait_loadcnt_dscnt 0x801
	v_mul_f64_e32 v[191:192], v[179:180], v[16:17]
	v_mul_f64_e32 v[16:17], v[181:182], v[16:17]
	scratch_load_b128 v[10:13], off, off offset:960
	s_wait_loadcnt_dscnt 0x800
	v_mul_f64_e32 v[197:198], v[2:3], v[20:21]
	v_mul_f64_e32 v[20:21], v[4:5], v[20:21]
	v_add_f64_e32 v[189:190], v[189:190], v[183:184]
	v_add_f64_e32 v[187:188], v[187:188], v[185:186]
	ds_load_b128 v[183:186], v1 offset:1856
	v_fma_f64 v[181:182], v[181:182], v[14:15], v[191:192]
	v_fma_f64 v[179:180], v[179:180], v[14:15], -v[16:17]
	scratch_load_b128 v[14:17], off, off offset:976
	v_add_f64_e32 v[189:190], v[189:190], v[195:196]
	v_add_f64_e32 v[187:188], v[187:188], v[193:194]
	v_fma_f64 v[193:194], v[4:5], v[18:19], v[197:198]
	v_fma_f64 v[195:196], v[2:3], v[18:19], -v[20:21]
	ds_load_b128 v[2:5], v1 offset:1872
	s_wait_loadcnt_dscnt 0x801
	v_mul_f64_e32 v[191:192], v[183:184], v[24:25]
	v_mul_f64_e32 v[24:25], v[185:186], v[24:25]
	scratch_load_b128 v[18:21], off, off offset:992
	s_wait_loadcnt_dscnt 0x800
	v_mul_f64_e32 v[197:198], v[2:3], v[28:29]
	v_mul_f64_e32 v[28:29], v[4:5], v[28:29]
	v_add_f64_e32 v[189:190], v[189:190], v[179:180]
	v_add_f64_e32 v[187:188], v[187:188], v[181:182]
	ds_load_b128 v[179:182], v1 offset:1888
	v_fma_f64 v[185:186], v[185:186], v[22:23], v[191:192]
	v_fma_f64 v[183:184], v[183:184], v[22:23], -v[24:25]
	scratch_load_b128 v[22:25], off, off offset:1008
	v_add_f64_e32 v[189:190], v[189:190], v[195:196]
	v_add_f64_e32 v[187:188], v[187:188], v[193:194]
	v_fma_f64 v[193:194], v[4:5], v[26:27], v[197:198]
	v_fma_f64 v[195:196], v[2:3], v[26:27], -v[28:29]
	ds_load_b128 v[2:5], v1 offset:1904
	s_wait_loadcnt_dscnt 0x801
	v_mul_f64_e32 v[191:192], v[179:180], v[32:33]
	v_mul_f64_e32 v[32:33], v[181:182], v[32:33]
	scratch_load_b128 v[26:29], off, off offset:1024
	s_wait_loadcnt_dscnt 0x800
	v_mul_f64_e32 v[197:198], v[2:3], v[36:37]
	v_mul_f64_e32 v[36:37], v[4:5], v[36:37]
	v_add_f64_e32 v[189:190], v[189:190], v[183:184]
	v_add_f64_e32 v[187:188], v[187:188], v[185:186]
	ds_load_b128 v[183:186], v1 offset:1920
	v_fma_f64 v[181:182], v[181:182], v[30:31], v[191:192]
	v_fma_f64 v[30:31], v[179:180], v[30:31], -v[32:33]
	v_add_f64_e32 v[32:33], v[189:190], v[195:196]
	v_add_f64_e32 v[179:180], v[187:188], v[193:194]
	s_wait_loadcnt_dscnt 0x700
	v_mul_f64_e32 v[187:188], v[183:184], v[177:178]
	v_mul_f64_e32 v[177:178], v[185:186], v[177:178]
	v_fma_f64 v[189:190], v[4:5], v[34:35], v[197:198]
	v_fma_f64 v[34:35], v[2:3], v[34:35], -v[36:37]
	v_add_f64_e32 v[36:37], v[32:33], v[30:31]
	v_add_f64_e32 v[179:180], v[179:180], v[181:182]
	ds_load_b128 v[2:5], v1 offset:1936
	ds_load_b128 v[30:33], v1 offset:1952
	v_fma_f64 v[185:186], v[185:186], v[175:176], v[187:188]
	v_fma_f64 v[175:176], v[183:184], v[175:176], -v[177:178]
	s_wait_loadcnt_dscnt 0x601
	v_mul_f64_e32 v[181:182], v[2:3], v[40:41]
	v_mul_f64_e32 v[40:41], v[4:5], v[40:41]
	s_wait_loadcnt_dscnt 0x500
	v_mul_f64_e32 v[177:178], v[30:31], v[8:9]
	v_mul_f64_e32 v[8:9], v[32:33], v[8:9]
	v_add_f64_e32 v[34:35], v[36:37], v[34:35]
	v_add_f64_e32 v[36:37], v[179:180], v[189:190]
	v_fma_f64 v[179:180], v[4:5], v[38:39], v[181:182]
	v_fma_f64 v[38:39], v[2:3], v[38:39], -v[40:41]
	v_fma_f64 v[32:33], v[32:33], v[6:7], v[177:178]
	v_fma_f64 v[6:7], v[30:31], v[6:7], -v[8:9]
	v_add_f64_e32 v[40:41], v[34:35], v[175:176]
	v_add_f64_e32 v[175:176], v[36:37], v[185:186]
	ds_load_b128 v[2:5], v1 offset:1968
	ds_load_b128 v[34:37], v1 offset:1984
	s_wait_loadcnt_dscnt 0x401
	v_mul_f64_e32 v[181:182], v[2:3], v[12:13]
	v_mul_f64_e32 v[12:13], v[4:5], v[12:13]
	v_add_f64_e32 v[8:9], v[40:41], v[38:39]
	v_add_f64_e32 v[30:31], v[175:176], v[179:180]
	s_wait_loadcnt_dscnt 0x300
	v_mul_f64_e32 v[38:39], v[34:35], v[16:17]
	v_mul_f64_e32 v[16:17], v[36:37], v[16:17]
	v_fma_f64 v[40:41], v[4:5], v[10:11], v[181:182]
	v_fma_f64 v[10:11], v[2:3], v[10:11], -v[12:13]
	v_add_f64_e32 v[12:13], v[8:9], v[6:7]
	v_add_f64_e32 v[30:31], v[30:31], v[32:33]
	ds_load_b128 v[2:5], v1 offset:2000
	ds_load_b128 v[6:9], v1 offset:2016
	v_fma_f64 v[36:37], v[36:37], v[14:15], v[38:39]
	v_fma_f64 v[14:15], v[34:35], v[14:15], -v[16:17]
	s_wait_loadcnt_dscnt 0x201
	v_mul_f64_e32 v[32:33], v[2:3], v[20:21]
	v_mul_f64_e32 v[20:21], v[4:5], v[20:21]
	s_wait_loadcnt_dscnt 0x100
	v_mul_f64_e32 v[16:17], v[6:7], v[24:25]
	v_mul_f64_e32 v[24:25], v[8:9], v[24:25]
	v_add_f64_e32 v[10:11], v[12:13], v[10:11]
	v_add_f64_e32 v[12:13], v[30:31], v[40:41]
	v_fma_f64 v[30:31], v[4:5], v[18:19], v[32:33]
	v_fma_f64 v[18:19], v[2:3], v[18:19], -v[20:21]
	ds_load_b128 v[2:5], v1 offset:2032
	v_fma_f64 v[8:9], v[8:9], v[22:23], v[16:17]
	v_fma_f64 v[6:7], v[6:7], v[22:23], -v[24:25]
	v_add_f64_e32 v[10:11], v[10:11], v[14:15]
	v_add_f64_e32 v[12:13], v[12:13], v[36:37]
	s_wait_loadcnt_dscnt 0x0
	v_mul_f64_e32 v[14:15], v[2:3], v[28:29]
	v_mul_f64_e32 v[20:21], v[4:5], v[28:29]
	s_delay_alu instid0(VALU_DEP_4) | instskip(NEXT) | instid1(VALU_DEP_4)
	v_add_f64_e32 v[10:11], v[10:11], v[18:19]
	v_add_f64_e32 v[12:13], v[12:13], v[30:31]
	s_delay_alu instid0(VALU_DEP_4) | instskip(NEXT) | instid1(VALU_DEP_4)
	v_fma_f64 v[4:5], v[4:5], v[26:27], v[14:15]
	v_fma_f64 v[2:3], v[2:3], v[26:27], -v[20:21]
	s_delay_alu instid0(VALU_DEP_4) | instskip(NEXT) | instid1(VALU_DEP_4)
	v_add_f64_e32 v[6:7], v[10:11], v[6:7]
	v_add_f64_e32 v[8:9], v[12:13], v[8:9]
	s_delay_alu instid0(VALU_DEP_2) | instskip(NEXT) | instid1(VALU_DEP_2)
	v_add_f64_e32 v[2:3], v[6:7], v[2:3]
	v_add_f64_e32 v[4:5], v[8:9], v[4:5]
	s_delay_alu instid0(VALU_DEP_2) | instskip(NEXT) | instid1(VALU_DEP_2)
	v_add_f64_e64 v[2:3], v[42:43], -v[2:3]
	v_add_f64_e64 v[4:5], v[44:45], -v[4:5]
	scratch_store_b128 off, v[2:5], off offset:112
	v_cmpx_lt_u32_e32 5, v0
	s_cbranch_execz .LBB127_399
; %bb.398:
	scratch_load_b128 v[5:8], off, s74
	v_dual_mov_b32 v2, v1 :: v_dual_mov_b32 v3, v1
	v_mov_b32_e32 v4, v1
	scratch_store_b128 off, v[1:4], off offset:96
	s_wait_loadcnt 0x0
	ds_store_b128 v174, v[5:8]
.LBB127_399:
	s_wait_alu 0xfffe
	s_or_b32 exec_lo, exec_lo, s0
	s_wait_storecnt_dscnt 0x0
	s_barrier_signal -1
	s_barrier_wait -1
	global_inv scope:SCOPE_SE
	s_clause 0x8
	scratch_load_b128 v[2:5], off, off offset:112
	scratch_load_b128 v[6:9], off, off offset:128
	;; [unrolled: 1-line block ×9, first 2 shown]
	ds_load_b128 v[42:45], v1 offset:1120
	ds_load_b128 v[38:41], v1 offset:1136
	s_clause 0x1
	scratch_load_b128 v[175:178], off, off offset:96
	scratch_load_b128 v[179:182], off, off offset:256
	s_mov_b32 s0, exec_lo
	s_wait_loadcnt_dscnt 0xa01
	v_mul_f64_e32 v[183:184], v[44:45], v[4:5]
	v_mul_f64_e32 v[4:5], v[42:43], v[4:5]
	s_wait_loadcnt_dscnt 0x900
	v_mul_f64_e32 v[187:188], v[38:39], v[8:9]
	v_mul_f64_e32 v[8:9], v[40:41], v[8:9]
	s_delay_alu instid0(VALU_DEP_4) | instskip(NEXT) | instid1(VALU_DEP_4)
	v_fma_f64 v[189:190], v[42:43], v[2:3], -v[183:184]
	v_fma_f64 v[191:192], v[44:45], v[2:3], v[4:5]
	ds_load_b128 v[2:5], v1 offset:1152
	ds_load_b128 v[183:186], v1 offset:1168
	scratch_load_b128 v[42:45], off, off offset:272
	v_fma_f64 v[40:41], v[40:41], v[6:7], v[187:188]
	v_fma_f64 v[38:39], v[38:39], v[6:7], -v[8:9]
	scratch_load_b128 v[6:9], off, off offset:288
	s_wait_loadcnt_dscnt 0xa01
	v_mul_f64_e32 v[193:194], v[2:3], v[12:13]
	v_mul_f64_e32 v[12:13], v[4:5], v[12:13]
	v_add_f64_e32 v[187:188], 0, v[189:190]
	v_add_f64_e32 v[189:190], 0, v[191:192]
	s_wait_loadcnt_dscnt 0x900
	v_mul_f64_e32 v[191:192], v[183:184], v[16:17]
	v_mul_f64_e32 v[16:17], v[185:186], v[16:17]
	v_fma_f64 v[193:194], v[4:5], v[10:11], v[193:194]
	v_fma_f64 v[195:196], v[2:3], v[10:11], -v[12:13]
	ds_load_b128 v[2:5], v1 offset:1184
	scratch_load_b128 v[10:13], off, off offset:304
	v_add_f64_e32 v[187:188], v[187:188], v[38:39]
	v_add_f64_e32 v[189:190], v[189:190], v[40:41]
	ds_load_b128 v[38:41], v1 offset:1200
	v_fma_f64 v[185:186], v[185:186], v[14:15], v[191:192]
	v_fma_f64 v[183:184], v[183:184], v[14:15], -v[16:17]
	scratch_load_b128 v[14:17], off, off offset:320
	s_wait_loadcnt_dscnt 0xa01
	v_mul_f64_e32 v[197:198], v[2:3], v[20:21]
	v_mul_f64_e32 v[20:21], v[4:5], v[20:21]
	s_wait_loadcnt_dscnt 0x900
	v_mul_f64_e32 v[191:192], v[38:39], v[24:25]
	v_mul_f64_e32 v[24:25], v[40:41], v[24:25]
	v_add_f64_e32 v[187:188], v[187:188], v[195:196]
	v_add_f64_e32 v[189:190], v[189:190], v[193:194]
	v_fma_f64 v[193:194], v[4:5], v[18:19], v[197:198]
	v_fma_f64 v[195:196], v[2:3], v[18:19], -v[20:21]
	ds_load_b128 v[2:5], v1 offset:1216
	scratch_load_b128 v[18:21], off, off offset:336
	v_fma_f64 v[40:41], v[40:41], v[22:23], v[191:192]
	v_fma_f64 v[38:39], v[38:39], v[22:23], -v[24:25]
	scratch_load_b128 v[22:25], off, off offset:352
	v_add_f64_e32 v[187:188], v[187:188], v[183:184]
	v_add_f64_e32 v[189:190], v[189:190], v[185:186]
	ds_load_b128 v[183:186], v1 offset:1232
	s_wait_loadcnt_dscnt 0xa01
	v_mul_f64_e32 v[197:198], v[2:3], v[28:29]
	v_mul_f64_e32 v[28:29], v[4:5], v[28:29]
	s_wait_loadcnt_dscnt 0x900
	v_mul_f64_e32 v[191:192], v[183:184], v[32:33]
	v_mul_f64_e32 v[32:33], v[185:186], v[32:33]
	v_add_f64_e32 v[187:188], v[187:188], v[195:196]
	v_add_f64_e32 v[189:190], v[189:190], v[193:194]
	v_fma_f64 v[193:194], v[4:5], v[26:27], v[197:198]
	v_fma_f64 v[195:196], v[2:3], v[26:27], -v[28:29]
	ds_load_b128 v[2:5], v1 offset:1248
	scratch_load_b128 v[26:29], off, off offset:368
	v_fma_f64 v[185:186], v[185:186], v[30:31], v[191:192]
	v_fma_f64 v[183:184], v[183:184], v[30:31], -v[32:33]
	scratch_load_b128 v[30:33], off, off offset:384
	v_add_f64_e32 v[187:188], v[187:188], v[38:39]
	v_add_f64_e32 v[189:190], v[189:190], v[40:41]
	ds_load_b128 v[38:41], v1 offset:1264
	s_wait_loadcnt_dscnt 0xa01
	v_mul_f64_e32 v[197:198], v[2:3], v[36:37]
	v_mul_f64_e32 v[36:37], v[4:5], v[36:37]
	s_wait_loadcnt_dscnt 0x800
	v_mul_f64_e32 v[191:192], v[38:39], v[181:182]
	v_add_f64_e32 v[187:188], v[187:188], v[195:196]
	v_add_f64_e32 v[189:190], v[189:190], v[193:194]
	v_mul_f64_e32 v[193:194], v[40:41], v[181:182]
	v_fma_f64 v[195:196], v[4:5], v[34:35], v[197:198]
	v_fma_f64 v[197:198], v[2:3], v[34:35], -v[36:37]
	ds_load_b128 v[2:5], v1 offset:1280
	scratch_load_b128 v[34:37], off, off offset:400
	v_fma_f64 v[191:192], v[40:41], v[179:180], v[191:192]
	v_add_f64_e32 v[187:188], v[187:188], v[183:184]
	v_add_f64_e32 v[185:186], v[189:190], v[185:186]
	ds_load_b128 v[181:184], v1 offset:1296
	v_fma_f64 v[179:180], v[38:39], v[179:180], -v[193:194]
	scratch_load_b128 v[38:41], off, off offset:416
	s_wait_loadcnt_dscnt 0x901
	v_mul_f64_e32 v[189:190], v[2:3], v[44:45]
	v_mul_f64_e32 v[44:45], v[4:5], v[44:45]
	s_wait_loadcnt_dscnt 0x800
	v_mul_f64_e32 v[193:194], v[181:182], v[8:9]
	v_mul_f64_e32 v[8:9], v[183:184], v[8:9]
	v_add_f64_e32 v[187:188], v[187:188], v[197:198]
	v_add_f64_e32 v[185:186], v[185:186], v[195:196]
	v_fma_f64 v[189:190], v[4:5], v[42:43], v[189:190]
	v_fma_f64 v[195:196], v[2:3], v[42:43], -v[44:45]
	ds_load_b128 v[2:5], v1 offset:1312
	scratch_load_b128 v[42:45], off, off offset:432
	v_fma_f64 v[183:184], v[183:184], v[6:7], v[193:194]
	v_fma_f64 v[181:182], v[181:182], v[6:7], -v[8:9]
	scratch_load_b128 v[6:9], off, off offset:448
	v_add_f64_e32 v[179:180], v[187:188], v[179:180]
	v_add_f64_e32 v[191:192], v[185:186], v[191:192]
	ds_load_b128 v[185:188], v1 offset:1328
	s_wait_loadcnt_dscnt 0x901
	v_mul_f64_e32 v[197:198], v[2:3], v[12:13]
	v_mul_f64_e32 v[12:13], v[4:5], v[12:13]
	v_add_f64_e32 v[179:180], v[179:180], v[195:196]
	v_add_f64_e32 v[189:190], v[191:192], v[189:190]
	s_wait_loadcnt_dscnt 0x800
	v_mul_f64_e32 v[191:192], v[185:186], v[16:17]
	v_mul_f64_e32 v[16:17], v[187:188], v[16:17]
	v_fma_f64 v[193:194], v[4:5], v[10:11], v[197:198]
	v_fma_f64 v[195:196], v[2:3], v[10:11], -v[12:13]
	ds_load_b128 v[2:5], v1 offset:1344
	scratch_load_b128 v[10:13], off, off offset:464
	v_add_f64_e32 v[197:198], v[179:180], v[181:182]
	v_add_f64_e32 v[183:184], v[189:190], v[183:184]
	ds_load_b128 v[179:182], v1 offset:1360
	s_wait_loadcnt_dscnt 0x801
	v_mul_f64_e32 v[189:190], v[2:3], v[20:21]
	v_mul_f64_e32 v[20:21], v[4:5], v[20:21]
	v_fma_f64 v[187:188], v[187:188], v[14:15], v[191:192]
	v_fma_f64 v[185:186], v[185:186], v[14:15], -v[16:17]
	scratch_load_b128 v[14:17], off, off offset:480
	v_add_f64_e32 v[191:192], v[197:198], v[195:196]
	v_add_f64_e32 v[183:184], v[183:184], v[193:194]
	s_wait_loadcnt_dscnt 0x800
	v_mul_f64_e32 v[193:194], v[179:180], v[24:25]
	v_mul_f64_e32 v[24:25], v[181:182], v[24:25]
	v_fma_f64 v[189:190], v[4:5], v[18:19], v[189:190]
	v_fma_f64 v[195:196], v[2:3], v[18:19], -v[20:21]
	ds_load_b128 v[2:5], v1 offset:1376
	scratch_load_b128 v[18:21], off, off offset:496
	v_add_f64_e32 v[191:192], v[191:192], v[185:186]
	v_add_f64_e32 v[187:188], v[183:184], v[187:188]
	ds_load_b128 v[183:186], v1 offset:1392
	s_wait_loadcnt_dscnt 0x801
	v_mul_f64_e32 v[197:198], v[2:3], v[28:29]
	v_mul_f64_e32 v[28:29], v[4:5], v[28:29]
	v_fma_f64 v[181:182], v[181:182], v[22:23], v[193:194]
	v_fma_f64 v[179:180], v[179:180], v[22:23], -v[24:25]
	scratch_load_b128 v[22:25], off, off offset:512
	v_add_f64_e32 v[191:192], v[191:192], v[195:196]
	v_add_f64_e32 v[187:188], v[187:188], v[189:190]
	s_wait_loadcnt_dscnt 0x800
	v_mul_f64_e32 v[189:190], v[183:184], v[32:33]
	v_mul_f64_e32 v[32:33], v[185:186], v[32:33]
	v_fma_f64 v[193:194], v[4:5], v[26:27], v[197:198]
	v_fma_f64 v[195:196], v[2:3], v[26:27], -v[28:29]
	ds_load_b128 v[2:5], v1 offset:1408
	scratch_load_b128 v[26:29], off, off offset:528
	v_add_f64_e32 v[191:192], v[191:192], v[179:180]
	v_add_f64_e32 v[187:188], v[187:188], v[181:182]
	ds_load_b128 v[179:182], v1 offset:1424
	s_wait_loadcnt_dscnt 0x801
	v_mul_f64_e32 v[197:198], v[2:3], v[36:37]
	v_mul_f64_e32 v[36:37], v[4:5], v[36:37]
	v_fma_f64 v[185:186], v[185:186], v[30:31], v[189:190]
	v_fma_f64 v[183:184], v[183:184], v[30:31], -v[32:33]
	scratch_load_b128 v[30:33], off, off offset:544
	v_add_f64_e32 v[189:190], v[191:192], v[195:196]
	v_add_f64_e32 v[187:188], v[187:188], v[193:194]
	s_wait_loadcnt_dscnt 0x800
	v_mul_f64_e32 v[191:192], v[179:180], v[40:41]
	v_mul_f64_e32 v[40:41], v[181:182], v[40:41]
	v_fma_f64 v[193:194], v[4:5], v[34:35], v[197:198]
	v_fma_f64 v[195:196], v[2:3], v[34:35], -v[36:37]
	ds_load_b128 v[2:5], v1 offset:1440
	scratch_load_b128 v[34:37], off, off offset:560
	v_add_f64_e32 v[189:190], v[189:190], v[183:184]
	v_add_f64_e32 v[187:188], v[187:188], v[185:186]
	ds_load_b128 v[183:186], v1 offset:1456
	s_wait_loadcnt_dscnt 0x801
	v_mul_f64_e32 v[197:198], v[2:3], v[44:45]
	v_mul_f64_e32 v[44:45], v[4:5], v[44:45]
	v_fma_f64 v[181:182], v[181:182], v[38:39], v[191:192]
	v_fma_f64 v[179:180], v[179:180], v[38:39], -v[40:41]
	scratch_load_b128 v[38:41], off, off offset:576
	s_wait_loadcnt_dscnt 0x800
	v_mul_f64_e32 v[191:192], v[183:184], v[8:9]
	v_mul_f64_e32 v[8:9], v[185:186], v[8:9]
	v_add_f64_e32 v[189:190], v[189:190], v[195:196]
	v_add_f64_e32 v[187:188], v[187:188], v[193:194]
	v_fma_f64 v[193:194], v[4:5], v[42:43], v[197:198]
	v_fma_f64 v[195:196], v[2:3], v[42:43], -v[44:45]
	ds_load_b128 v[2:5], v1 offset:1472
	scratch_load_b128 v[42:45], off, off offset:592
	v_fma_f64 v[185:186], v[185:186], v[6:7], v[191:192]
	v_fma_f64 v[183:184], v[183:184], v[6:7], -v[8:9]
	scratch_load_b128 v[6:9], off, off offset:608
	v_add_f64_e32 v[189:190], v[189:190], v[179:180]
	v_add_f64_e32 v[187:188], v[187:188], v[181:182]
	ds_load_b128 v[179:182], v1 offset:1488
	s_wait_loadcnt_dscnt 0x901
	v_mul_f64_e32 v[197:198], v[2:3], v[12:13]
	v_mul_f64_e32 v[12:13], v[4:5], v[12:13]
	s_wait_loadcnt_dscnt 0x800
	v_mul_f64_e32 v[191:192], v[179:180], v[16:17]
	v_mul_f64_e32 v[16:17], v[181:182], v[16:17]
	v_add_f64_e32 v[189:190], v[189:190], v[195:196]
	v_add_f64_e32 v[187:188], v[187:188], v[193:194]
	v_fma_f64 v[193:194], v[4:5], v[10:11], v[197:198]
	v_fma_f64 v[195:196], v[2:3], v[10:11], -v[12:13]
	ds_load_b128 v[2:5], v1 offset:1504
	scratch_load_b128 v[10:13], off, off offset:624
	v_fma_f64 v[181:182], v[181:182], v[14:15], v[191:192]
	v_fma_f64 v[179:180], v[179:180], v[14:15], -v[16:17]
	scratch_load_b128 v[14:17], off, off offset:640
	v_add_f64_e32 v[189:190], v[189:190], v[183:184]
	v_add_f64_e32 v[187:188], v[187:188], v[185:186]
	ds_load_b128 v[183:186], v1 offset:1520
	s_wait_loadcnt_dscnt 0x901
	v_mul_f64_e32 v[197:198], v[2:3], v[20:21]
	v_mul_f64_e32 v[20:21], v[4:5], v[20:21]
	;; [unrolled: 18-line block ×14, first 2 shown]
	s_wait_loadcnt_dscnt 0x800
	v_mul_f64_e32 v[191:192], v[183:184], v[40:41]
	v_mul_f64_e32 v[40:41], v[185:186], v[40:41]
	v_add_f64_e32 v[189:190], v[189:190], v[195:196]
	v_add_f64_e32 v[187:188], v[187:188], v[193:194]
	v_fma_f64 v[193:194], v[4:5], v[34:35], v[197:198]
	v_fma_f64 v[195:196], v[2:3], v[34:35], -v[36:37]
	ds_load_b128 v[2:5], v1 offset:1920
	ds_load_b128 v[34:37], v1 offset:1936
	v_fma_f64 v[185:186], v[185:186], v[38:39], v[191:192]
	v_fma_f64 v[38:39], v[183:184], v[38:39], -v[40:41]
	v_add_f64_e32 v[179:180], v[189:190], v[179:180]
	v_add_f64_e32 v[181:182], v[187:188], v[181:182]
	s_wait_loadcnt_dscnt 0x701
	v_mul_f64_e32 v[187:188], v[2:3], v[44:45]
	v_mul_f64_e32 v[44:45], v[4:5], v[44:45]
	s_delay_alu instid0(VALU_DEP_4) | instskip(NEXT) | instid1(VALU_DEP_4)
	v_add_f64_e32 v[40:41], v[179:180], v[195:196]
	v_add_f64_e32 v[179:180], v[181:182], v[193:194]
	s_wait_loadcnt_dscnt 0x600
	v_mul_f64_e32 v[181:182], v[34:35], v[8:9]
	v_mul_f64_e32 v[8:9], v[36:37], v[8:9]
	v_fma_f64 v[183:184], v[4:5], v[42:43], v[187:188]
	v_fma_f64 v[42:43], v[2:3], v[42:43], -v[44:45]
	v_add_f64_e32 v[44:45], v[40:41], v[38:39]
	v_add_f64_e32 v[179:180], v[179:180], v[185:186]
	ds_load_b128 v[2:5], v1 offset:1952
	ds_load_b128 v[38:41], v1 offset:1968
	v_fma_f64 v[36:37], v[36:37], v[6:7], v[181:182]
	v_fma_f64 v[6:7], v[34:35], v[6:7], -v[8:9]
	s_wait_loadcnt_dscnt 0x501
	v_mul_f64_e32 v[185:186], v[2:3], v[12:13]
	v_mul_f64_e32 v[12:13], v[4:5], v[12:13]
	v_add_f64_e32 v[8:9], v[44:45], v[42:43]
	v_add_f64_e32 v[34:35], v[179:180], v[183:184]
	s_wait_loadcnt_dscnt 0x400
	v_mul_f64_e32 v[42:43], v[38:39], v[16:17]
	v_mul_f64_e32 v[16:17], v[40:41], v[16:17]
	v_fma_f64 v[44:45], v[4:5], v[10:11], v[185:186]
	v_fma_f64 v[10:11], v[2:3], v[10:11], -v[12:13]
	v_add_f64_e32 v[12:13], v[8:9], v[6:7]
	v_add_f64_e32 v[34:35], v[34:35], v[36:37]
	ds_load_b128 v[2:5], v1 offset:1984
	ds_load_b128 v[6:9], v1 offset:2000
	v_fma_f64 v[40:41], v[40:41], v[14:15], v[42:43]
	v_fma_f64 v[14:15], v[38:39], v[14:15], -v[16:17]
	s_wait_loadcnt_dscnt 0x301
	v_mul_f64_e32 v[36:37], v[2:3], v[20:21]
	v_mul_f64_e32 v[20:21], v[4:5], v[20:21]
	s_wait_loadcnt_dscnt 0x200
	v_mul_f64_e32 v[16:17], v[6:7], v[24:25]
	v_mul_f64_e32 v[24:25], v[8:9], v[24:25]
	v_add_f64_e32 v[10:11], v[12:13], v[10:11]
	v_add_f64_e32 v[12:13], v[34:35], v[44:45]
	v_fma_f64 v[34:35], v[4:5], v[18:19], v[36:37]
	v_fma_f64 v[18:19], v[2:3], v[18:19], -v[20:21]
	v_fma_f64 v[8:9], v[8:9], v[22:23], v[16:17]
	v_fma_f64 v[6:7], v[6:7], v[22:23], -v[24:25]
	v_add_f64_e32 v[14:15], v[10:11], v[14:15]
	v_add_f64_e32 v[20:21], v[12:13], v[40:41]
	ds_load_b128 v[2:5], v1 offset:2016
	ds_load_b128 v[10:13], v1 offset:2032
	s_wait_loadcnt_dscnt 0x101
	v_mul_f64_e32 v[36:37], v[2:3], v[28:29]
	v_mul_f64_e32 v[28:29], v[4:5], v[28:29]
	v_add_f64_e32 v[14:15], v[14:15], v[18:19]
	v_add_f64_e32 v[16:17], v[20:21], v[34:35]
	s_wait_loadcnt_dscnt 0x0
	v_mul_f64_e32 v[18:19], v[10:11], v[32:33]
	v_mul_f64_e32 v[20:21], v[12:13], v[32:33]
	v_fma_f64 v[4:5], v[4:5], v[26:27], v[36:37]
	v_fma_f64 v[1:2], v[2:3], v[26:27], -v[28:29]
	v_add_f64_e32 v[6:7], v[14:15], v[6:7]
	v_add_f64_e32 v[8:9], v[16:17], v[8:9]
	v_fma_f64 v[12:13], v[12:13], v[30:31], v[18:19]
	v_fma_f64 v[10:11], v[10:11], v[30:31], -v[20:21]
	s_delay_alu instid0(VALU_DEP_4) | instskip(NEXT) | instid1(VALU_DEP_4)
	v_add_f64_e32 v[1:2], v[6:7], v[1:2]
	v_add_f64_e32 v[3:4], v[8:9], v[4:5]
	s_delay_alu instid0(VALU_DEP_2) | instskip(NEXT) | instid1(VALU_DEP_2)
	v_add_f64_e32 v[1:2], v[1:2], v[10:11]
	v_add_f64_e32 v[3:4], v[3:4], v[12:13]
	s_delay_alu instid0(VALU_DEP_2) | instskip(NEXT) | instid1(VALU_DEP_2)
	v_add_f64_e64 v[1:2], v[175:176], -v[1:2]
	v_add_f64_e64 v[3:4], v[177:178], -v[3:4]
	scratch_store_b128 off, v[1:4], off offset:96
	v_cmpx_lt_u32_e32 4, v0
	s_cbranch_execz .LBB127_401
; %bb.400:
	scratch_load_b128 v[1:4], off, s4
	v_mov_b32_e32 v5, 0
	s_delay_alu instid0(VALU_DEP_1)
	v_dual_mov_b32 v6, v5 :: v_dual_mov_b32 v7, v5
	v_mov_b32_e32 v8, v5
	scratch_store_b128 off, v[5:8], off offset:80
	s_wait_loadcnt 0x0
	ds_store_b128 v174, v[1:4]
.LBB127_401:
	s_wait_alu 0xfffe
	s_or_b32 exec_lo, exec_lo, s0
	s_wait_storecnt_dscnt 0x0
	s_barrier_signal -1
	s_barrier_wait -1
	global_inv scope:SCOPE_SE
	s_clause 0x7
	scratch_load_b128 v[2:5], off, off offset:96
	scratch_load_b128 v[6:9], off, off offset:112
	;; [unrolled: 1-line block ×8, first 2 shown]
	v_mov_b32_e32 v1, 0
	s_mov_b32 s0, exec_lo
	ds_load_b128 v[38:41], v1 offset:1104
	s_clause 0x1
	scratch_load_b128 v[34:37], off, off offset:224
	scratch_load_b128 v[42:45], off, off offset:80
	ds_load_b128 v[175:178], v1 offset:1120
	scratch_load_b128 v[179:182], off, off offset:240
	s_wait_loadcnt_dscnt 0xa01
	v_mul_f64_e32 v[183:184], v[40:41], v[4:5]
	v_mul_f64_e32 v[4:5], v[38:39], v[4:5]
	s_delay_alu instid0(VALU_DEP_2) | instskip(NEXT) | instid1(VALU_DEP_2)
	v_fma_f64 v[189:190], v[38:39], v[2:3], -v[183:184]
	v_fma_f64 v[191:192], v[40:41], v[2:3], v[4:5]
	ds_load_b128 v[2:5], v1 offset:1136
	s_wait_loadcnt_dscnt 0x901
	v_mul_f64_e32 v[187:188], v[175:176], v[8:9]
	v_mul_f64_e32 v[8:9], v[177:178], v[8:9]
	scratch_load_b128 v[38:41], off, off offset:256
	ds_load_b128 v[183:186], v1 offset:1152
	s_wait_loadcnt_dscnt 0x901
	v_mul_f64_e32 v[193:194], v[2:3], v[12:13]
	v_mul_f64_e32 v[12:13], v[4:5], v[12:13]
	v_fma_f64 v[177:178], v[177:178], v[6:7], v[187:188]
	v_fma_f64 v[175:176], v[175:176], v[6:7], -v[8:9]
	v_add_f64_e32 v[187:188], 0, v[189:190]
	v_add_f64_e32 v[189:190], 0, v[191:192]
	scratch_load_b128 v[6:9], off, off offset:272
	v_fma_f64 v[193:194], v[4:5], v[10:11], v[193:194]
	v_fma_f64 v[195:196], v[2:3], v[10:11], -v[12:13]
	ds_load_b128 v[2:5], v1 offset:1168
	s_wait_loadcnt_dscnt 0x901
	v_mul_f64_e32 v[191:192], v[183:184], v[16:17]
	v_mul_f64_e32 v[16:17], v[185:186], v[16:17]
	scratch_load_b128 v[10:13], off, off offset:288
	v_add_f64_e32 v[187:188], v[187:188], v[175:176]
	v_add_f64_e32 v[189:190], v[189:190], v[177:178]
	s_wait_loadcnt_dscnt 0x900
	v_mul_f64_e32 v[197:198], v[2:3], v[20:21]
	v_mul_f64_e32 v[20:21], v[4:5], v[20:21]
	ds_load_b128 v[175:178], v1 offset:1184
	v_fma_f64 v[185:186], v[185:186], v[14:15], v[191:192]
	v_fma_f64 v[183:184], v[183:184], v[14:15], -v[16:17]
	scratch_load_b128 v[14:17], off, off offset:304
	v_add_f64_e32 v[187:188], v[187:188], v[195:196]
	v_add_f64_e32 v[189:190], v[189:190], v[193:194]
	v_fma_f64 v[193:194], v[4:5], v[18:19], v[197:198]
	v_fma_f64 v[195:196], v[2:3], v[18:19], -v[20:21]
	ds_load_b128 v[2:5], v1 offset:1200
	s_wait_loadcnt_dscnt 0x901
	v_mul_f64_e32 v[191:192], v[175:176], v[24:25]
	v_mul_f64_e32 v[24:25], v[177:178], v[24:25]
	scratch_load_b128 v[18:21], off, off offset:320
	s_wait_loadcnt_dscnt 0x900
	v_mul_f64_e32 v[197:198], v[2:3], v[28:29]
	v_mul_f64_e32 v[28:29], v[4:5], v[28:29]
	v_add_f64_e32 v[187:188], v[187:188], v[183:184]
	v_add_f64_e32 v[189:190], v[189:190], v[185:186]
	ds_load_b128 v[183:186], v1 offset:1216
	v_fma_f64 v[177:178], v[177:178], v[22:23], v[191:192]
	v_fma_f64 v[175:176], v[175:176], v[22:23], -v[24:25]
	scratch_load_b128 v[22:25], off, off offset:336
	v_add_f64_e32 v[187:188], v[187:188], v[195:196]
	v_add_f64_e32 v[189:190], v[189:190], v[193:194]
	v_fma_f64 v[193:194], v[4:5], v[26:27], v[197:198]
	v_fma_f64 v[195:196], v[2:3], v[26:27], -v[28:29]
	ds_load_b128 v[2:5], v1 offset:1232
	s_wait_loadcnt_dscnt 0x901
	v_mul_f64_e32 v[191:192], v[183:184], v[32:33]
	v_mul_f64_e32 v[32:33], v[185:186], v[32:33]
	scratch_load_b128 v[26:29], off, off offset:352
	s_wait_loadcnt_dscnt 0x900
	v_mul_f64_e32 v[197:198], v[2:3], v[36:37]
	v_mul_f64_e32 v[36:37], v[4:5], v[36:37]
	v_add_f64_e32 v[187:188], v[187:188], v[175:176]
	v_add_f64_e32 v[189:190], v[189:190], v[177:178]
	ds_load_b128 v[175:178], v1 offset:1248
	v_fma_f64 v[185:186], v[185:186], v[30:31], v[191:192]
	v_fma_f64 v[183:184], v[183:184], v[30:31], -v[32:33]
	scratch_load_b128 v[30:33], off, off offset:368
	v_add_f64_e32 v[187:188], v[187:188], v[195:196]
	v_add_f64_e32 v[189:190], v[189:190], v[193:194]
	v_fma_f64 v[195:196], v[4:5], v[34:35], v[197:198]
	v_fma_f64 v[197:198], v[2:3], v[34:35], -v[36:37]
	ds_load_b128 v[2:5], v1 offset:1264
	s_wait_loadcnt_dscnt 0x801
	v_mul_f64_e32 v[191:192], v[175:176], v[181:182]
	v_mul_f64_e32 v[193:194], v[177:178], v[181:182]
	scratch_load_b128 v[34:37], off, off offset:384
	v_add_f64_e32 v[187:188], v[187:188], v[183:184]
	v_add_f64_e32 v[185:186], v[189:190], v[185:186]
	ds_load_b128 v[181:184], v1 offset:1280
	v_fma_f64 v[191:192], v[177:178], v[179:180], v[191:192]
	v_fma_f64 v[179:180], v[175:176], v[179:180], -v[193:194]
	scratch_load_b128 v[175:178], off, off offset:400
	s_wait_loadcnt_dscnt 0x901
	v_mul_f64_e32 v[189:190], v[2:3], v[40:41]
	v_mul_f64_e32 v[40:41], v[4:5], v[40:41]
	v_add_f64_e32 v[187:188], v[187:188], v[197:198]
	v_add_f64_e32 v[185:186], v[185:186], v[195:196]
	s_delay_alu instid0(VALU_DEP_4) | instskip(NEXT) | instid1(VALU_DEP_4)
	v_fma_f64 v[189:190], v[4:5], v[38:39], v[189:190]
	v_fma_f64 v[195:196], v[2:3], v[38:39], -v[40:41]
	ds_load_b128 v[2:5], v1 offset:1296
	s_wait_loadcnt_dscnt 0x801
	v_mul_f64_e32 v[193:194], v[181:182], v[8:9]
	v_mul_f64_e32 v[8:9], v[183:184], v[8:9]
	scratch_load_b128 v[38:41], off, off offset:416
	s_wait_loadcnt_dscnt 0x800
	v_mul_f64_e32 v[197:198], v[2:3], v[12:13]
	v_add_f64_e32 v[179:180], v[187:188], v[179:180]
	v_add_f64_e32 v[191:192], v[185:186], v[191:192]
	v_mul_f64_e32 v[12:13], v[4:5], v[12:13]
	ds_load_b128 v[185:188], v1 offset:1312
	v_fma_f64 v[183:184], v[183:184], v[6:7], v[193:194]
	v_fma_f64 v[181:182], v[181:182], v[6:7], -v[8:9]
	scratch_load_b128 v[6:9], off, off offset:432
	v_fma_f64 v[193:194], v[4:5], v[10:11], v[197:198]
	v_add_f64_e32 v[179:180], v[179:180], v[195:196]
	v_add_f64_e32 v[189:190], v[191:192], v[189:190]
	v_fma_f64 v[195:196], v[2:3], v[10:11], -v[12:13]
	ds_load_b128 v[2:5], v1 offset:1328
	s_wait_loadcnt_dscnt 0x801
	v_mul_f64_e32 v[191:192], v[185:186], v[16:17]
	v_mul_f64_e32 v[16:17], v[187:188], v[16:17]
	scratch_load_b128 v[10:13], off, off offset:448
	v_add_f64_e32 v[197:198], v[179:180], v[181:182]
	v_add_f64_e32 v[183:184], v[189:190], v[183:184]
	s_wait_loadcnt_dscnt 0x800
	v_mul_f64_e32 v[189:190], v[2:3], v[20:21]
	v_mul_f64_e32 v[20:21], v[4:5], v[20:21]
	v_fma_f64 v[187:188], v[187:188], v[14:15], v[191:192]
	v_fma_f64 v[185:186], v[185:186], v[14:15], -v[16:17]
	ds_load_b128 v[179:182], v1 offset:1344
	scratch_load_b128 v[14:17], off, off offset:464
	v_add_f64_e32 v[191:192], v[197:198], v[195:196]
	v_add_f64_e32 v[183:184], v[183:184], v[193:194]
	v_fma_f64 v[189:190], v[4:5], v[18:19], v[189:190]
	v_fma_f64 v[195:196], v[2:3], v[18:19], -v[20:21]
	ds_load_b128 v[2:5], v1 offset:1360
	s_wait_loadcnt_dscnt 0x801
	v_mul_f64_e32 v[193:194], v[179:180], v[24:25]
	v_mul_f64_e32 v[24:25], v[181:182], v[24:25]
	scratch_load_b128 v[18:21], off, off offset:480
	s_wait_loadcnt_dscnt 0x800
	v_mul_f64_e32 v[197:198], v[2:3], v[28:29]
	v_mul_f64_e32 v[28:29], v[4:5], v[28:29]
	v_add_f64_e32 v[191:192], v[191:192], v[185:186]
	v_add_f64_e32 v[187:188], v[183:184], v[187:188]
	ds_load_b128 v[183:186], v1 offset:1376
	v_fma_f64 v[181:182], v[181:182], v[22:23], v[193:194]
	v_fma_f64 v[179:180], v[179:180], v[22:23], -v[24:25]
	scratch_load_b128 v[22:25], off, off offset:496
	v_fma_f64 v[193:194], v[4:5], v[26:27], v[197:198]
	v_add_f64_e32 v[191:192], v[191:192], v[195:196]
	v_add_f64_e32 v[187:188], v[187:188], v[189:190]
	v_fma_f64 v[195:196], v[2:3], v[26:27], -v[28:29]
	ds_load_b128 v[2:5], v1 offset:1392
	s_wait_loadcnt_dscnt 0x801
	v_mul_f64_e32 v[189:190], v[183:184], v[32:33]
	v_mul_f64_e32 v[32:33], v[185:186], v[32:33]
	scratch_load_b128 v[26:29], off, off offset:512
	s_wait_loadcnt_dscnt 0x800
	v_mul_f64_e32 v[197:198], v[2:3], v[36:37]
	v_mul_f64_e32 v[36:37], v[4:5], v[36:37]
	v_add_f64_e32 v[191:192], v[191:192], v[179:180]
	v_add_f64_e32 v[187:188], v[187:188], v[181:182]
	ds_load_b128 v[179:182], v1 offset:1408
	v_fma_f64 v[185:186], v[185:186], v[30:31], v[189:190]
	v_fma_f64 v[183:184], v[183:184], v[30:31], -v[32:33]
	scratch_load_b128 v[30:33], off, off offset:528
	v_add_f64_e32 v[189:190], v[191:192], v[195:196]
	v_add_f64_e32 v[187:188], v[187:188], v[193:194]
	v_fma_f64 v[193:194], v[4:5], v[34:35], v[197:198]
	v_fma_f64 v[195:196], v[2:3], v[34:35], -v[36:37]
	ds_load_b128 v[2:5], v1 offset:1424
	s_wait_loadcnt_dscnt 0x801
	v_mul_f64_e32 v[191:192], v[179:180], v[177:178]
	v_mul_f64_e32 v[177:178], v[181:182], v[177:178]
	scratch_load_b128 v[34:37], off, off offset:544
	s_wait_loadcnt_dscnt 0x800
	v_mul_f64_e32 v[197:198], v[2:3], v[40:41]
	v_mul_f64_e32 v[40:41], v[4:5], v[40:41]
	v_add_f64_e32 v[189:190], v[189:190], v[183:184]
	v_add_f64_e32 v[187:188], v[187:188], v[185:186]
	ds_load_b128 v[183:186], v1 offset:1440
	v_fma_f64 v[181:182], v[181:182], v[175:176], v[191:192]
	v_fma_f64 v[179:180], v[179:180], v[175:176], -v[177:178]
	scratch_load_b128 v[175:178], off, off offset:560
	v_add_f64_e32 v[189:190], v[189:190], v[195:196]
	v_add_f64_e32 v[187:188], v[187:188], v[193:194]
	v_fma_f64 v[193:194], v[4:5], v[38:39], v[197:198]
	;; [unrolled: 18-line block ×6, first 2 shown]
	v_fma_f64 v[197:198], v[2:3], v[34:35], -v[36:37]
	ds_load_b128 v[2:5], v1 offset:1584
	s_wait_loadcnt_dscnt 0x801
	v_mul_f64_e32 v[191:192], v[183:184], v[177:178]
	v_mul_f64_e32 v[193:194], v[185:186], v[177:178]
	scratch_load_b128 v[34:37], off, off offset:704
	v_add_f64_e32 v[189:190], v[189:190], v[179:180]
	v_add_f64_e32 v[181:182], v[187:188], v[181:182]
	s_wait_loadcnt_dscnt 0x800
	v_mul_f64_e32 v[187:188], v[2:3], v[40:41]
	v_mul_f64_e32 v[40:41], v[4:5], v[40:41]
	ds_load_b128 v[177:180], v1 offset:1600
	v_fma_f64 v[185:186], v[185:186], v[175:176], v[191:192]
	v_fma_f64 v[175:176], v[183:184], v[175:176], -v[193:194]
	v_add_f64_e32 v[189:190], v[189:190], v[197:198]
	v_add_f64_e32 v[191:192], v[181:182], v[195:196]
	scratch_load_b128 v[181:184], off, off offset:720
	v_fma_f64 v[195:196], v[4:5], v[38:39], v[187:188]
	v_fma_f64 v[197:198], v[2:3], v[38:39], -v[40:41]
	ds_load_b128 v[2:5], v1 offset:1616
	s_wait_loadcnt_dscnt 0x801
	v_mul_f64_e32 v[193:194], v[177:178], v[8:9]
	v_mul_f64_e32 v[8:9], v[179:180], v[8:9]
	scratch_load_b128 v[38:41], off, off offset:736
	v_add_f64_e32 v[175:176], v[189:190], v[175:176]
	v_add_f64_e32 v[189:190], v[191:192], v[185:186]
	s_wait_loadcnt_dscnt 0x800
	v_mul_f64_e32 v[191:192], v[2:3], v[12:13]
	v_mul_f64_e32 v[12:13], v[4:5], v[12:13]
	ds_load_b128 v[185:188], v1 offset:1632
	v_fma_f64 v[179:180], v[179:180], v[6:7], v[193:194]
	v_fma_f64 v[177:178], v[177:178], v[6:7], -v[8:9]
	scratch_load_b128 v[6:9], off, off offset:752
	v_add_f64_e32 v[175:176], v[175:176], v[197:198]
	v_add_f64_e32 v[189:190], v[189:190], v[195:196]
	v_fma_f64 v[191:192], v[4:5], v[10:11], v[191:192]
	v_fma_f64 v[195:196], v[2:3], v[10:11], -v[12:13]
	ds_load_b128 v[2:5], v1 offset:1648
	s_wait_loadcnt_dscnt 0x801
	v_mul_f64_e32 v[193:194], v[185:186], v[16:17]
	v_mul_f64_e32 v[16:17], v[187:188], v[16:17]
	scratch_load_b128 v[10:13], off, off offset:768
	v_add_f64_e32 v[197:198], v[175:176], v[177:178]
	v_add_f64_e32 v[179:180], v[189:190], v[179:180]
	s_wait_loadcnt_dscnt 0x800
	v_mul_f64_e32 v[189:190], v[2:3], v[20:21]
	v_mul_f64_e32 v[20:21], v[4:5], v[20:21]
	ds_load_b128 v[175:178], v1 offset:1664
	v_fma_f64 v[187:188], v[187:188], v[14:15], v[193:194]
	v_fma_f64 v[185:186], v[185:186], v[14:15], -v[16:17]
	scratch_load_b128 v[14:17], off, off offset:784
	v_add_f64_e32 v[193:194], v[197:198], v[195:196]
	v_add_f64_e32 v[179:180], v[179:180], v[191:192]
	v_fma_f64 v[189:190], v[4:5], v[18:19], v[189:190]
	v_fma_f64 v[195:196], v[2:3], v[18:19], -v[20:21]
	ds_load_b128 v[2:5], v1 offset:1680
	s_wait_loadcnt_dscnt 0x801
	v_mul_f64_e32 v[191:192], v[175:176], v[24:25]
	v_mul_f64_e32 v[24:25], v[177:178], v[24:25]
	scratch_load_b128 v[18:21], off, off offset:800
	s_wait_loadcnt_dscnt 0x800
	v_mul_f64_e32 v[197:198], v[2:3], v[28:29]
	v_mul_f64_e32 v[28:29], v[4:5], v[28:29]
	v_add_f64_e32 v[193:194], v[193:194], v[185:186]
	v_add_f64_e32 v[179:180], v[179:180], v[187:188]
	ds_load_b128 v[185:188], v1 offset:1696
	v_fma_f64 v[177:178], v[177:178], v[22:23], v[191:192]
	v_fma_f64 v[175:176], v[175:176], v[22:23], -v[24:25]
	scratch_load_b128 v[22:25], off, off offset:816
	v_add_f64_e32 v[191:192], v[193:194], v[195:196]
	v_add_f64_e32 v[179:180], v[179:180], v[189:190]
	v_fma_f64 v[193:194], v[4:5], v[26:27], v[197:198]
	v_fma_f64 v[195:196], v[2:3], v[26:27], -v[28:29]
	ds_load_b128 v[2:5], v1 offset:1712
	s_wait_loadcnt_dscnt 0x801
	v_mul_f64_e32 v[189:190], v[185:186], v[32:33]
	v_mul_f64_e32 v[32:33], v[187:188], v[32:33]
	scratch_load_b128 v[26:29], off, off offset:832
	s_wait_loadcnt_dscnt 0x800
	v_mul_f64_e32 v[197:198], v[2:3], v[36:37]
	v_mul_f64_e32 v[36:37], v[4:5], v[36:37]
	v_add_f64_e32 v[191:192], v[191:192], v[175:176]
	v_add_f64_e32 v[179:180], v[179:180], v[177:178]
	ds_load_b128 v[175:178], v1 offset:1728
	v_fma_f64 v[187:188], v[187:188], v[30:31], v[189:190]
	v_fma_f64 v[185:186], v[185:186], v[30:31], -v[32:33]
	scratch_load_b128 v[30:33], off, off offset:848
	v_add_f64_e32 v[189:190], v[191:192], v[195:196]
	v_add_f64_e32 v[179:180], v[179:180], v[193:194]
	v_fma_f64 v[195:196], v[4:5], v[34:35], v[197:198]
	v_fma_f64 v[197:198], v[2:3], v[34:35], -v[36:37]
	ds_load_b128 v[2:5], v1 offset:1744
	scratch_load_b128 v[34:37], off, off offset:864
	s_wait_loadcnt_dscnt 0x901
	v_mul_f64_e32 v[191:192], v[175:176], v[183:184]
	v_mul_f64_e32 v[193:194], v[177:178], v[183:184]
	v_add_f64_e32 v[189:190], v[189:190], v[185:186]
	v_add_f64_e32 v[179:180], v[179:180], v[187:188]
	s_wait_loadcnt_dscnt 0x800
	v_mul_f64_e32 v[187:188], v[2:3], v[40:41]
	v_mul_f64_e32 v[40:41], v[4:5], v[40:41]
	ds_load_b128 v[183:186], v1 offset:1760
	v_fma_f64 v[191:192], v[177:178], v[181:182], v[191:192]
	v_fma_f64 v[181:182], v[175:176], v[181:182], -v[193:194]
	scratch_load_b128 v[175:178], off, off offset:880
	v_add_f64_e32 v[189:190], v[189:190], v[197:198]
	v_add_f64_e32 v[179:180], v[179:180], v[195:196]
	v_fma_f64 v[187:188], v[4:5], v[38:39], v[187:188]
	v_fma_f64 v[195:196], v[2:3], v[38:39], -v[40:41]
	ds_load_b128 v[2:5], v1 offset:1776
	s_wait_loadcnt_dscnt 0x801
	v_mul_f64_e32 v[193:194], v[183:184], v[8:9]
	v_mul_f64_e32 v[8:9], v[185:186], v[8:9]
	scratch_load_b128 v[38:41], off, off offset:896
	s_wait_loadcnt_dscnt 0x800
	v_mul_f64_e32 v[197:198], v[2:3], v[12:13]
	v_mul_f64_e32 v[12:13], v[4:5], v[12:13]
	v_add_f64_e32 v[189:190], v[189:190], v[181:182]
	v_add_f64_e32 v[191:192], v[179:180], v[191:192]
	ds_load_b128 v[179:182], v1 offset:1792
	v_fma_f64 v[185:186], v[185:186], v[6:7], v[193:194]
	v_fma_f64 v[183:184], v[183:184], v[6:7], -v[8:9]
	scratch_load_b128 v[6:9], off, off offset:912
	v_fma_f64 v[193:194], v[4:5], v[10:11], v[197:198]
	v_add_f64_e32 v[189:190], v[189:190], v[195:196]
	v_add_f64_e32 v[187:188], v[191:192], v[187:188]
	v_fma_f64 v[195:196], v[2:3], v[10:11], -v[12:13]
	ds_load_b128 v[2:5], v1 offset:1808
	s_wait_loadcnt_dscnt 0x801
	v_mul_f64_e32 v[191:192], v[179:180], v[16:17]
	v_mul_f64_e32 v[16:17], v[181:182], v[16:17]
	scratch_load_b128 v[10:13], off, off offset:928
	s_wait_loadcnt_dscnt 0x800
	v_mul_f64_e32 v[197:198], v[2:3], v[20:21]
	v_mul_f64_e32 v[20:21], v[4:5], v[20:21]
	v_add_f64_e32 v[189:190], v[189:190], v[183:184]
	v_add_f64_e32 v[187:188], v[187:188], v[185:186]
	ds_load_b128 v[183:186], v1 offset:1824
	v_fma_f64 v[181:182], v[181:182], v[14:15], v[191:192]
	v_fma_f64 v[179:180], v[179:180], v[14:15], -v[16:17]
	scratch_load_b128 v[14:17], off, off offset:944
	v_add_f64_e32 v[189:190], v[189:190], v[195:196]
	v_add_f64_e32 v[187:188], v[187:188], v[193:194]
	v_fma_f64 v[193:194], v[4:5], v[18:19], v[197:198]
	v_fma_f64 v[195:196], v[2:3], v[18:19], -v[20:21]
	ds_load_b128 v[2:5], v1 offset:1840
	s_wait_loadcnt_dscnt 0x801
	v_mul_f64_e32 v[191:192], v[183:184], v[24:25]
	v_mul_f64_e32 v[24:25], v[185:186], v[24:25]
	scratch_load_b128 v[18:21], off, off offset:960
	s_wait_loadcnt_dscnt 0x800
	v_mul_f64_e32 v[197:198], v[2:3], v[28:29]
	v_mul_f64_e32 v[28:29], v[4:5], v[28:29]
	v_add_f64_e32 v[189:190], v[189:190], v[179:180]
	v_add_f64_e32 v[187:188], v[187:188], v[181:182]
	ds_load_b128 v[179:182], v1 offset:1856
	v_fma_f64 v[185:186], v[185:186], v[22:23], v[191:192]
	v_fma_f64 v[183:184], v[183:184], v[22:23], -v[24:25]
	scratch_load_b128 v[22:25], off, off offset:976
	v_add_f64_e32 v[189:190], v[189:190], v[195:196]
	v_add_f64_e32 v[187:188], v[187:188], v[193:194]
	v_fma_f64 v[193:194], v[4:5], v[26:27], v[197:198]
	;; [unrolled: 18-line block ×3, first 2 shown]
	v_fma_f64 v[197:198], v[2:3], v[34:35], -v[36:37]
	ds_load_b128 v[2:5], v1 offset:1904
	s_wait_loadcnt_dscnt 0x801
	v_mul_f64_e32 v[191:192], v[183:184], v[177:178]
	v_mul_f64_e32 v[193:194], v[185:186], v[177:178]
	scratch_load_b128 v[34:37], off, off offset:1024
	v_add_f64_e32 v[189:190], v[189:190], v[179:180]
	v_add_f64_e32 v[181:182], v[187:188], v[181:182]
	s_wait_loadcnt_dscnt 0x800
	v_mul_f64_e32 v[187:188], v[2:3], v[40:41]
	v_mul_f64_e32 v[40:41], v[4:5], v[40:41]
	ds_load_b128 v[177:180], v1 offset:1920
	v_fma_f64 v[185:186], v[185:186], v[175:176], v[191:192]
	v_fma_f64 v[175:176], v[183:184], v[175:176], -v[193:194]
	v_add_f64_e32 v[183:184], v[189:190], v[197:198]
	v_add_f64_e32 v[181:182], v[181:182], v[195:196]
	s_wait_loadcnt_dscnt 0x700
	v_mul_f64_e32 v[189:190], v[177:178], v[8:9]
	v_mul_f64_e32 v[8:9], v[179:180], v[8:9]
	v_fma_f64 v[187:188], v[4:5], v[38:39], v[187:188]
	v_fma_f64 v[191:192], v[2:3], v[38:39], -v[40:41]
	ds_load_b128 v[2:5], v1 offset:1936
	ds_load_b128 v[38:41], v1 offset:1952
	v_add_f64_e32 v[175:176], v[183:184], v[175:176]
	v_add_f64_e32 v[181:182], v[181:182], v[185:186]
	s_wait_loadcnt_dscnt 0x601
	v_mul_f64_e32 v[183:184], v[2:3], v[12:13]
	v_mul_f64_e32 v[12:13], v[4:5], v[12:13]
	v_fma_f64 v[179:180], v[179:180], v[6:7], v[189:190]
	v_fma_f64 v[6:7], v[177:178], v[6:7], -v[8:9]
	s_wait_loadcnt_dscnt 0x500
	v_mul_f64_e32 v[177:178], v[38:39], v[16:17]
	v_mul_f64_e32 v[16:17], v[40:41], v[16:17]
	v_add_f64_e32 v[8:9], v[175:176], v[191:192]
	v_add_f64_e32 v[175:176], v[181:182], v[187:188]
	v_fma_f64 v[181:182], v[4:5], v[10:11], v[183:184]
	v_fma_f64 v[10:11], v[2:3], v[10:11], -v[12:13]
	v_fma_f64 v[40:41], v[40:41], v[14:15], v[177:178]
	v_fma_f64 v[14:15], v[38:39], v[14:15], -v[16:17]
	v_add_f64_e32 v[12:13], v[8:9], v[6:7]
	v_add_f64_e32 v[175:176], v[175:176], v[179:180]
	ds_load_b128 v[2:5], v1 offset:1968
	ds_load_b128 v[6:9], v1 offset:1984
	s_wait_loadcnt_dscnt 0x401
	v_mul_f64_e32 v[179:180], v[2:3], v[20:21]
	v_mul_f64_e32 v[20:21], v[4:5], v[20:21]
	s_wait_loadcnt_dscnt 0x300
	v_mul_f64_e32 v[16:17], v[6:7], v[24:25]
	v_mul_f64_e32 v[24:25], v[8:9], v[24:25]
	v_add_f64_e32 v[10:11], v[12:13], v[10:11]
	v_add_f64_e32 v[12:13], v[175:176], v[181:182]
	v_fma_f64 v[38:39], v[4:5], v[18:19], v[179:180]
	v_fma_f64 v[18:19], v[2:3], v[18:19], -v[20:21]
	v_fma_f64 v[8:9], v[8:9], v[22:23], v[16:17]
	v_fma_f64 v[6:7], v[6:7], v[22:23], -v[24:25]
	v_add_f64_e32 v[14:15], v[10:11], v[14:15]
	v_add_f64_e32 v[20:21], v[12:13], v[40:41]
	ds_load_b128 v[2:5], v1 offset:2000
	ds_load_b128 v[10:13], v1 offset:2016
	s_wait_loadcnt_dscnt 0x201
	v_mul_f64_e32 v[40:41], v[2:3], v[28:29]
	v_mul_f64_e32 v[28:29], v[4:5], v[28:29]
	v_add_f64_e32 v[14:15], v[14:15], v[18:19]
	v_add_f64_e32 v[16:17], v[20:21], v[38:39]
	s_wait_loadcnt_dscnt 0x100
	v_mul_f64_e32 v[18:19], v[10:11], v[32:33]
	v_mul_f64_e32 v[20:21], v[12:13], v[32:33]
	v_fma_f64 v[22:23], v[4:5], v[26:27], v[40:41]
	v_fma_f64 v[24:25], v[2:3], v[26:27], -v[28:29]
	ds_load_b128 v[2:5], v1 offset:2032
	v_add_f64_e32 v[6:7], v[14:15], v[6:7]
	v_add_f64_e32 v[8:9], v[16:17], v[8:9]
	v_fma_f64 v[12:13], v[12:13], v[30:31], v[18:19]
	v_fma_f64 v[10:11], v[10:11], v[30:31], -v[20:21]
	s_wait_loadcnt_dscnt 0x0
	v_mul_f64_e32 v[14:15], v[2:3], v[36:37]
	v_mul_f64_e32 v[16:17], v[4:5], v[36:37]
	v_add_f64_e32 v[6:7], v[6:7], v[24:25]
	v_add_f64_e32 v[8:9], v[8:9], v[22:23]
	s_delay_alu instid0(VALU_DEP_4) | instskip(NEXT) | instid1(VALU_DEP_4)
	v_fma_f64 v[4:5], v[4:5], v[34:35], v[14:15]
	v_fma_f64 v[2:3], v[2:3], v[34:35], -v[16:17]
	s_delay_alu instid0(VALU_DEP_4) | instskip(NEXT) | instid1(VALU_DEP_4)
	v_add_f64_e32 v[6:7], v[6:7], v[10:11]
	v_add_f64_e32 v[8:9], v[8:9], v[12:13]
	s_delay_alu instid0(VALU_DEP_2) | instskip(NEXT) | instid1(VALU_DEP_2)
	v_add_f64_e32 v[2:3], v[6:7], v[2:3]
	v_add_f64_e32 v[4:5], v[8:9], v[4:5]
	s_delay_alu instid0(VALU_DEP_2) | instskip(NEXT) | instid1(VALU_DEP_2)
	v_add_f64_e64 v[2:3], v[42:43], -v[2:3]
	v_add_f64_e64 v[4:5], v[44:45], -v[4:5]
	scratch_store_b128 off, v[2:5], off offset:80
	v_cmpx_lt_u32_e32 3, v0
	s_cbranch_execz .LBB127_403
; %bb.402:
	scratch_load_b128 v[5:8], off, s12
	v_dual_mov_b32 v2, v1 :: v_dual_mov_b32 v3, v1
	v_mov_b32_e32 v4, v1
	scratch_store_b128 off, v[1:4], off offset:64
	s_wait_loadcnt 0x0
	ds_store_b128 v174, v[5:8]
.LBB127_403:
	s_wait_alu 0xfffe
	s_or_b32 exec_lo, exec_lo, s0
	s_wait_storecnt_dscnt 0x0
	s_barrier_signal -1
	s_barrier_wait -1
	global_inv scope:SCOPE_SE
	s_clause 0x8
	scratch_load_b128 v[2:5], off, off offset:80
	scratch_load_b128 v[6:9], off, off offset:96
	;; [unrolled: 1-line block ×9, first 2 shown]
	ds_load_b128 v[42:45], v1 offset:1088
	ds_load_b128 v[38:41], v1 offset:1104
	s_clause 0x1
	scratch_load_b128 v[175:178], off, off offset:64
	scratch_load_b128 v[179:182], off, off offset:224
	s_mov_b32 s0, exec_lo
	s_wait_loadcnt_dscnt 0xa01
	v_mul_f64_e32 v[183:184], v[44:45], v[4:5]
	v_mul_f64_e32 v[4:5], v[42:43], v[4:5]
	s_wait_loadcnt_dscnt 0x900
	v_mul_f64_e32 v[187:188], v[38:39], v[8:9]
	v_mul_f64_e32 v[8:9], v[40:41], v[8:9]
	s_delay_alu instid0(VALU_DEP_4) | instskip(NEXT) | instid1(VALU_DEP_4)
	v_fma_f64 v[189:190], v[42:43], v[2:3], -v[183:184]
	v_fma_f64 v[191:192], v[44:45], v[2:3], v[4:5]
	ds_load_b128 v[2:5], v1 offset:1120
	ds_load_b128 v[183:186], v1 offset:1136
	scratch_load_b128 v[42:45], off, off offset:240
	v_fma_f64 v[40:41], v[40:41], v[6:7], v[187:188]
	v_fma_f64 v[38:39], v[38:39], v[6:7], -v[8:9]
	scratch_load_b128 v[6:9], off, off offset:256
	s_wait_loadcnt_dscnt 0xa01
	v_mul_f64_e32 v[193:194], v[2:3], v[12:13]
	v_mul_f64_e32 v[12:13], v[4:5], v[12:13]
	v_add_f64_e32 v[187:188], 0, v[189:190]
	v_add_f64_e32 v[189:190], 0, v[191:192]
	s_wait_loadcnt_dscnt 0x900
	v_mul_f64_e32 v[191:192], v[183:184], v[16:17]
	v_mul_f64_e32 v[16:17], v[185:186], v[16:17]
	v_fma_f64 v[193:194], v[4:5], v[10:11], v[193:194]
	v_fma_f64 v[195:196], v[2:3], v[10:11], -v[12:13]
	ds_load_b128 v[2:5], v1 offset:1152
	scratch_load_b128 v[10:13], off, off offset:272
	v_add_f64_e32 v[187:188], v[187:188], v[38:39]
	v_add_f64_e32 v[189:190], v[189:190], v[40:41]
	ds_load_b128 v[38:41], v1 offset:1168
	v_fma_f64 v[185:186], v[185:186], v[14:15], v[191:192]
	v_fma_f64 v[183:184], v[183:184], v[14:15], -v[16:17]
	scratch_load_b128 v[14:17], off, off offset:288
	s_wait_loadcnt_dscnt 0xa01
	v_mul_f64_e32 v[197:198], v[2:3], v[20:21]
	v_mul_f64_e32 v[20:21], v[4:5], v[20:21]
	s_wait_loadcnt_dscnt 0x900
	v_mul_f64_e32 v[191:192], v[38:39], v[24:25]
	v_mul_f64_e32 v[24:25], v[40:41], v[24:25]
	v_add_f64_e32 v[187:188], v[187:188], v[195:196]
	v_add_f64_e32 v[189:190], v[189:190], v[193:194]
	v_fma_f64 v[193:194], v[4:5], v[18:19], v[197:198]
	v_fma_f64 v[195:196], v[2:3], v[18:19], -v[20:21]
	ds_load_b128 v[2:5], v1 offset:1184
	scratch_load_b128 v[18:21], off, off offset:304
	v_fma_f64 v[40:41], v[40:41], v[22:23], v[191:192]
	v_fma_f64 v[38:39], v[38:39], v[22:23], -v[24:25]
	scratch_load_b128 v[22:25], off, off offset:320
	v_add_f64_e32 v[187:188], v[187:188], v[183:184]
	v_add_f64_e32 v[189:190], v[189:190], v[185:186]
	ds_load_b128 v[183:186], v1 offset:1200
	s_wait_loadcnt_dscnt 0xa01
	v_mul_f64_e32 v[197:198], v[2:3], v[28:29]
	v_mul_f64_e32 v[28:29], v[4:5], v[28:29]
	s_wait_loadcnt_dscnt 0x900
	v_mul_f64_e32 v[191:192], v[183:184], v[32:33]
	v_mul_f64_e32 v[32:33], v[185:186], v[32:33]
	v_add_f64_e32 v[187:188], v[187:188], v[195:196]
	v_add_f64_e32 v[189:190], v[189:190], v[193:194]
	v_fma_f64 v[193:194], v[4:5], v[26:27], v[197:198]
	v_fma_f64 v[195:196], v[2:3], v[26:27], -v[28:29]
	ds_load_b128 v[2:5], v1 offset:1216
	scratch_load_b128 v[26:29], off, off offset:336
	v_fma_f64 v[185:186], v[185:186], v[30:31], v[191:192]
	v_fma_f64 v[183:184], v[183:184], v[30:31], -v[32:33]
	scratch_load_b128 v[30:33], off, off offset:352
	v_add_f64_e32 v[187:188], v[187:188], v[38:39]
	v_add_f64_e32 v[189:190], v[189:190], v[40:41]
	ds_load_b128 v[38:41], v1 offset:1232
	s_wait_loadcnt_dscnt 0xa01
	v_mul_f64_e32 v[197:198], v[2:3], v[36:37]
	v_mul_f64_e32 v[36:37], v[4:5], v[36:37]
	s_wait_loadcnt_dscnt 0x800
	v_mul_f64_e32 v[191:192], v[38:39], v[181:182]
	v_add_f64_e32 v[187:188], v[187:188], v[195:196]
	v_add_f64_e32 v[189:190], v[189:190], v[193:194]
	v_mul_f64_e32 v[193:194], v[40:41], v[181:182]
	v_fma_f64 v[195:196], v[4:5], v[34:35], v[197:198]
	v_fma_f64 v[197:198], v[2:3], v[34:35], -v[36:37]
	ds_load_b128 v[2:5], v1 offset:1248
	scratch_load_b128 v[34:37], off, off offset:368
	v_fma_f64 v[191:192], v[40:41], v[179:180], v[191:192]
	v_add_f64_e32 v[187:188], v[187:188], v[183:184]
	v_add_f64_e32 v[185:186], v[189:190], v[185:186]
	ds_load_b128 v[181:184], v1 offset:1264
	v_fma_f64 v[179:180], v[38:39], v[179:180], -v[193:194]
	scratch_load_b128 v[38:41], off, off offset:384
	s_wait_loadcnt_dscnt 0x901
	v_mul_f64_e32 v[189:190], v[2:3], v[44:45]
	v_mul_f64_e32 v[44:45], v[4:5], v[44:45]
	s_wait_loadcnt_dscnt 0x800
	v_mul_f64_e32 v[193:194], v[181:182], v[8:9]
	v_mul_f64_e32 v[8:9], v[183:184], v[8:9]
	v_add_f64_e32 v[187:188], v[187:188], v[197:198]
	v_add_f64_e32 v[185:186], v[185:186], v[195:196]
	v_fma_f64 v[189:190], v[4:5], v[42:43], v[189:190]
	v_fma_f64 v[195:196], v[2:3], v[42:43], -v[44:45]
	ds_load_b128 v[2:5], v1 offset:1280
	scratch_load_b128 v[42:45], off, off offset:400
	v_fma_f64 v[183:184], v[183:184], v[6:7], v[193:194]
	v_fma_f64 v[181:182], v[181:182], v[6:7], -v[8:9]
	scratch_load_b128 v[6:9], off, off offset:416
	v_add_f64_e32 v[179:180], v[187:188], v[179:180]
	v_add_f64_e32 v[191:192], v[185:186], v[191:192]
	ds_load_b128 v[185:188], v1 offset:1296
	s_wait_loadcnt_dscnt 0x901
	v_mul_f64_e32 v[197:198], v[2:3], v[12:13]
	v_mul_f64_e32 v[12:13], v[4:5], v[12:13]
	v_add_f64_e32 v[179:180], v[179:180], v[195:196]
	v_add_f64_e32 v[189:190], v[191:192], v[189:190]
	s_wait_loadcnt_dscnt 0x800
	v_mul_f64_e32 v[191:192], v[185:186], v[16:17]
	v_mul_f64_e32 v[16:17], v[187:188], v[16:17]
	v_fma_f64 v[193:194], v[4:5], v[10:11], v[197:198]
	v_fma_f64 v[195:196], v[2:3], v[10:11], -v[12:13]
	ds_load_b128 v[2:5], v1 offset:1312
	scratch_load_b128 v[10:13], off, off offset:432
	v_add_f64_e32 v[197:198], v[179:180], v[181:182]
	v_add_f64_e32 v[183:184], v[189:190], v[183:184]
	ds_load_b128 v[179:182], v1 offset:1328
	s_wait_loadcnt_dscnt 0x801
	v_mul_f64_e32 v[189:190], v[2:3], v[20:21]
	v_mul_f64_e32 v[20:21], v[4:5], v[20:21]
	v_fma_f64 v[187:188], v[187:188], v[14:15], v[191:192]
	v_fma_f64 v[185:186], v[185:186], v[14:15], -v[16:17]
	scratch_load_b128 v[14:17], off, off offset:448
	v_add_f64_e32 v[191:192], v[197:198], v[195:196]
	v_add_f64_e32 v[183:184], v[183:184], v[193:194]
	s_wait_loadcnt_dscnt 0x800
	v_mul_f64_e32 v[193:194], v[179:180], v[24:25]
	v_mul_f64_e32 v[24:25], v[181:182], v[24:25]
	v_fma_f64 v[189:190], v[4:5], v[18:19], v[189:190]
	v_fma_f64 v[195:196], v[2:3], v[18:19], -v[20:21]
	ds_load_b128 v[2:5], v1 offset:1344
	scratch_load_b128 v[18:21], off, off offset:464
	v_add_f64_e32 v[191:192], v[191:192], v[185:186]
	v_add_f64_e32 v[187:188], v[183:184], v[187:188]
	ds_load_b128 v[183:186], v1 offset:1360
	s_wait_loadcnt_dscnt 0x801
	v_mul_f64_e32 v[197:198], v[2:3], v[28:29]
	v_mul_f64_e32 v[28:29], v[4:5], v[28:29]
	v_fma_f64 v[181:182], v[181:182], v[22:23], v[193:194]
	v_fma_f64 v[179:180], v[179:180], v[22:23], -v[24:25]
	scratch_load_b128 v[22:25], off, off offset:480
	;; [unrolled: 18-line block ×4, first 2 shown]
	s_wait_loadcnt_dscnt 0x800
	v_mul_f64_e32 v[191:192], v[183:184], v[8:9]
	v_mul_f64_e32 v[8:9], v[185:186], v[8:9]
	v_add_f64_e32 v[189:190], v[189:190], v[195:196]
	v_add_f64_e32 v[187:188], v[187:188], v[193:194]
	v_fma_f64 v[193:194], v[4:5], v[42:43], v[197:198]
	v_fma_f64 v[195:196], v[2:3], v[42:43], -v[44:45]
	ds_load_b128 v[2:5], v1 offset:1440
	scratch_load_b128 v[42:45], off, off offset:560
	v_fma_f64 v[185:186], v[185:186], v[6:7], v[191:192]
	v_fma_f64 v[183:184], v[183:184], v[6:7], -v[8:9]
	scratch_load_b128 v[6:9], off, off offset:576
	v_add_f64_e32 v[189:190], v[189:190], v[179:180]
	v_add_f64_e32 v[187:188], v[187:188], v[181:182]
	ds_load_b128 v[179:182], v1 offset:1456
	s_wait_loadcnt_dscnt 0x901
	v_mul_f64_e32 v[197:198], v[2:3], v[12:13]
	v_mul_f64_e32 v[12:13], v[4:5], v[12:13]
	s_wait_loadcnt_dscnt 0x800
	v_mul_f64_e32 v[191:192], v[179:180], v[16:17]
	v_mul_f64_e32 v[16:17], v[181:182], v[16:17]
	v_add_f64_e32 v[189:190], v[189:190], v[195:196]
	v_add_f64_e32 v[187:188], v[187:188], v[193:194]
	v_fma_f64 v[193:194], v[4:5], v[10:11], v[197:198]
	v_fma_f64 v[195:196], v[2:3], v[10:11], -v[12:13]
	ds_load_b128 v[2:5], v1 offset:1472
	scratch_load_b128 v[10:13], off, off offset:592
	v_fma_f64 v[181:182], v[181:182], v[14:15], v[191:192]
	v_fma_f64 v[179:180], v[179:180], v[14:15], -v[16:17]
	scratch_load_b128 v[14:17], off, off offset:608
	v_add_f64_e32 v[189:190], v[189:190], v[183:184]
	v_add_f64_e32 v[187:188], v[187:188], v[185:186]
	ds_load_b128 v[183:186], v1 offset:1488
	s_wait_loadcnt_dscnt 0x901
	v_mul_f64_e32 v[197:198], v[2:3], v[20:21]
	v_mul_f64_e32 v[20:21], v[4:5], v[20:21]
	;; [unrolled: 18-line block ×15, first 2 shown]
	s_wait_loadcnt_dscnt 0x800
	v_mul_f64_e32 v[191:192], v[179:180], v[8:9]
	v_mul_f64_e32 v[8:9], v[181:182], v[8:9]
	v_add_f64_e32 v[189:190], v[189:190], v[195:196]
	v_add_f64_e32 v[187:188], v[187:188], v[193:194]
	v_fma_f64 v[193:194], v[4:5], v[42:43], v[197:198]
	v_fma_f64 v[195:196], v[2:3], v[42:43], -v[44:45]
	ds_load_b128 v[2:5], v1 offset:1920
	ds_load_b128 v[42:45], v1 offset:1936
	v_fma_f64 v[181:182], v[181:182], v[6:7], v[191:192]
	v_fma_f64 v[6:7], v[179:180], v[6:7], -v[8:9]
	v_add_f64_e32 v[183:184], v[189:190], v[183:184]
	v_add_f64_e32 v[185:186], v[187:188], v[185:186]
	s_wait_loadcnt_dscnt 0x701
	v_mul_f64_e32 v[187:188], v[2:3], v[12:13]
	v_mul_f64_e32 v[12:13], v[4:5], v[12:13]
	s_delay_alu instid0(VALU_DEP_4) | instskip(NEXT) | instid1(VALU_DEP_4)
	v_add_f64_e32 v[8:9], v[183:184], v[195:196]
	v_add_f64_e32 v[179:180], v[185:186], v[193:194]
	s_wait_loadcnt_dscnt 0x600
	v_mul_f64_e32 v[183:184], v[42:43], v[16:17]
	v_mul_f64_e32 v[16:17], v[44:45], v[16:17]
	v_fma_f64 v[185:186], v[4:5], v[10:11], v[187:188]
	v_fma_f64 v[10:11], v[2:3], v[10:11], -v[12:13]
	v_add_f64_e32 v[12:13], v[8:9], v[6:7]
	v_add_f64_e32 v[179:180], v[179:180], v[181:182]
	ds_load_b128 v[2:5], v1 offset:1952
	ds_load_b128 v[6:9], v1 offset:1968
	v_fma_f64 v[44:45], v[44:45], v[14:15], v[183:184]
	v_fma_f64 v[14:15], v[42:43], v[14:15], -v[16:17]
	s_wait_loadcnt_dscnt 0x501
	v_mul_f64_e32 v[181:182], v[2:3], v[20:21]
	v_mul_f64_e32 v[20:21], v[4:5], v[20:21]
	s_wait_loadcnt_dscnt 0x400
	v_mul_f64_e32 v[16:17], v[6:7], v[24:25]
	v_mul_f64_e32 v[24:25], v[8:9], v[24:25]
	v_add_f64_e32 v[10:11], v[12:13], v[10:11]
	v_add_f64_e32 v[12:13], v[179:180], v[185:186]
	v_fma_f64 v[42:43], v[4:5], v[18:19], v[181:182]
	v_fma_f64 v[18:19], v[2:3], v[18:19], -v[20:21]
	v_fma_f64 v[8:9], v[8:9], v[22:23], v[16:17]
	v_fma_f64 v[6:7], v[6:7], v[22:23], -v[24:25]
	v_add_f64_e32 v[14:15], v[10:11], v[14:15]
	v_add_f64_e32 v[20:21], v[12:13], v[44:45]
	ds_load_b128 v[2:5], v1 offset:1984
	ds_load_b128 v[10:13], v1 offset:2000
	s_wait_loadcnt_dscnt 0x301
	v_mul_f64_e32 v[44:45], v[2:3], v[28:29]
	v_mul_f64_e32 v[28:29], v[4:5], v[28:29]
	v_add_f64_e32 v[14:15], v[14:15], v[18:19]
	v_add_f64_e32 v[16:17], v[20:21], v[42:43]
	s_wait_loadcnt_dscnt 0x200
	v_mul_f64_e32 v[18:19], v[10:11], v[32:33]
	v_mul_f64_e32 v[20:21], v[12:13], v[32:33]
	v_fma_f64 v[22:23], v[4:5], v[26:27], v[44:45]
	v_fma_f64 v[24:25], v[2:3], v[26:27], -v[28:29]
	v_add_f64_e32 v[14:15], v[14:15], v[6:7]
	v_add_f64_e32 v[16:17], v[16:17], v[8:9]
	ds_load_b128 v[2:5], v1 offset:2016
	ds_load_b128 v[6:9], v1 offset:2032
	v_fma_f64 v[12:13], v[12:13], v[30:31], v[18:19]
	v_fma_f64 v[10:11], v[10:11], v[30:31], -v[20:21]
	s_wait_loadcnt_dscnt 0x101
	v_mul_f64_e32 v[26:27], v[2:3], v[36:37]
	v_mul_f64_e32 v[28:29], v[4:5], v[36:37]
	s_wait_loadcnt_dscnt 0x0
	v_mul_f64_e32 v[18:19], v[6:7], v[40:41]
	v_mul_f64_e32 v[20:21], v[8:9], v[40:41]
	v_add_f64_e32 v[14:15], v[14:15], v[24:25]
	v_add_f64_e32 v[16:17], v[16:17], v[22:23]
	v_fma_f64 v[4:5], v[4:5], v[34:35], v[26:27]
	v_fma_f64 v[1:2], v[2:3], v[34:35], -v[28:29]
	v_fma_f64 v[8:9], v[8:9], v[38:39], v[18:19]
	v_fma_f64 v[6:7], v[6:7], v[38:39], -v[20:21]
	v_add_f64_e32 v[10:11], v[14:15], v[10:11]
	v_add_f64_e32 v[12:13], v[16:17], v[12:13]
	s_delay_alu instid0(VALU_DEP_2) | instskip(NEXT) | instid1(VALU_DEP_2)
	v_add_f64_e32 v[1:2], v[10:11], v[1:2]
	v_add_f64_e32 v[3:4], v[12:13], v[4:5]
	s_delay_alu instid0(VALU_DEP_2) | instskip(NEXT) | instid1(VALU_DEP_2)
	;; [unrolled: 3-line block ×3, first 2 shown]
	v_add_f64_e64 v[1:2], v[175:176], -v[1:2]
	v_add_f64_e64 v[3:4], v[177:178], -v[3:4]
	scratch_store_b128 off, v[1:4], off offset:64
	v_cmpx_lt_u32_e32 2, v0
	s_cbranch_execz .LBB127_405
; %bb.404:
	scratch_load_b128 v[1:4], off, s15
	v_mov_b32_e32 v5, 0
	s_delay_alu instid0(VALU_DEP_1)
	v_dual_mov_b32 v6, v5 :: v_dual_mov_b32 v7, v5
	v_mov_b32_e32 v8, v5
	scratch_store_b128 off, v[5:8], off offset:48
	s_wait_loadcnt 0x0
	ds_store_b128 v174, v[1:4]
.LBB127_405:
	s_wait_alu 0xfffe
	s_or_b32 exec_lo, exec_lo, s0
	s_wait_storecnt_dscnt 0x0
	s_barrier_signal -1
	s_barrier_wait -1
	global_inv scope:SCOPE_SE
	s_clause 0x7
	scratch_load_b128 v[2:5], off, off offset:64
	scratch_load_b128 v[6:9], off, off offset:80
	;; [unrolled: 1-line block ×8, first 2 shown]
	v_mov_b32_e32 v1, 0
	s_mov_b32 s0, exec_lo
	ds_load_b128 v[38:41], v1 offset:1072
	s_clause 0x1
	scratch_load_b128 v[34:37], off, off offset:192
	scratch_load_b128 v[42:45], off, off offset:48
	ds_load_b128 v[175:178], v1 offset:1088
	scratch_load_b128 v[179:182], off, off offset:208
	s_wait_loadcnt_dscnt 0xa01
	v_mul_f64_e32 v[183:184], v[40:41], v[4:5]
	v_mul_f64_e32 v[4:5], v[38:39], v[4:5]
	s_delay_alu instid0(VALU_DEP_2) | instskip(NEXT) | instid1(VALU_DEP_2)
	v_fma_f64 v[189:190], v[38:39], v[2:3], -v[183:184]
	v_fma_f64 v[191:192], v[40:41], v[2:3], v[4:5]
	ds_load_b128 v[2:5], v1 offset:1104
	s_wait_loadcnt_dscnt 0x901
	v_mul_f64_e32 v[187:188], v[175:176], v[8:9]
	v_mul_f64_e32 v[8:9], v[177:178], v[8:9]
	scratch_load_b128 v[38:41], off, off offset:224
	ds_load_b128 v[183:186], v1 offset:1120
	s_wait_loadcnt_dscnt 0x901
	v_mul_f64_e32 v[193:194], v[2:3], v[12:13]
	v_mul_f64_e32 v[12:13], v[4:5], v[12:13]
	v_fma_f64 v[177:178], v[177:178], v[6:7], v[187:188]
	v_fma_f64 v[175:176], v[175:176], v[6:7], -v[8:9]
	v_add_f64_e32 v[187:188], 0, v[189:190]
	v_add_f64_e32 v[189:190], 0, v[191:192]
	scratch_load_b128 v[6:9], off, off offset:240
	v_fma_f64 v[193:194], v[4:5], v[10:11], v[193:194]
	v_fma_f64 v[195:196], v[2:3], v[10:11], -v[12:13]
	ds_load_b128 v[2:5], v1 offset:1136
	s_wait_loadcnt_dscnt 0x901
	v_mul_f64_e32 v[191:192], v[183:184], v[16:17]
	v_mul_f64_e32 v[16:17], v[185:186], v[16:17]
	scratch_load_b128 v[10:13], off, off offset:256
	v_add_f64_e32 v[187:188], v[187:188], v[175:176]
	v_add_f64_e32 v[189:190], v[189:190], v[177:178]
	s_wait_loadcnt_dscnt 0x900
	v_mul_f64_e32 v[197:198], v[2:3], v[20:21]
	v_mul_f64_e32 v[20:21], v[4:5], v[20:21]
	ds_load_b128 v[175:178], v1 offset:1152
	v_fma_f64 v[185:186], v[185:186], v[14:15], v[191:192]
	v_fma_f64 v[183:184], v[183:184], v[14:15], -v[16:17]
	scratch_load_b128 v[14:17], off, off offset:272
	v_add_f64_e32 v[187:188], v[187:188], v[195:196]
	v_add_f64_e32 v[189:190], v[189:190], v[193:194]
	v_fma_f64 v[193:194], v[4:5], v[18:19], v[197:198]
	v_fma_f64 v[195:196], v[2:3], v[18:19], -v[20:21]
	ds_load_b128 v[2:5], v1 offset:1168
	s_wait_loadcnt_dscnt 0x901
	v_mul_f64_e32 v[191:192], v[175:176], v[24:25]
	v_mul_f64_e32 v[24:25], v[177:178], v[24:25]
	scratch_load_b128 v[18:21], off, off offset:288
	s_wait_loadcnt_dscnt 0x900
	v_mul_f64_e32 v[197:198], v[2:3], v[28:29]
	v_mul_f64_e32 v[28:29], v[4:5], v[28:29]
	v_add_f64_e32 v[187:188], v[187:188], v[183:184]
	v_add_f64_e32 v[189:190], v[189:190], v[185:186]
	ds_load_b128 v[183:186], v1 offset:1184
	v_fma_f64 v[177:178], v[177:178], v[22:23], v[191:192]
	v_fma_f64 v[175:176], v[175:176], v[22:23], -v[24:25]
	scratch_load_b128 v[22:25], off, off offset:304
	v_add_f64_e32 v[187:188], v[187:188], v[195:196]
	v_add_f64_e32 v[189:190], v[189:190], v[193:194]
	v_fma_f64 v[193:194], v[4:5], v[26:27], v[197:198]
	v_fma_f64 v[195:196], v[2:3], v[26:27], -v[28:29]
	ds_load_b128 v[2:5], v1 offset:1200
	s_wait_loadcnt_dscnt 0x901
	v_mul_f64_e32 v[191:192], v[183:184], v[32:33]
	v_mul_f64_e32 v[32:33], v[185:186], v[32:33]
	scratch_load_b128 v[26:29], off, off offset:320
	s_wait_loadcnt_dscnt 0x900
	v_mul_f64_e32 v[197:198], v[2:3], v[36:37]
	v_mul_f64_e32 v[36:37], v[4:5], v[36:37]
	v_add_f64_e32 v[187:188], v[187:188], v[175:176]
	v_add_f64_e32 v[189:190], v[189:190], v[177:178]
	ds_load_b128 v[175:178], v1 offset:1216
	v_fma_f64 v[185:186], v[185:186], v[30:31], v[191:192]
	v_fma_f64 v[183:184], v[183:184], v[30:31], -v[32:33]
	scratch_load_b128 v[30:33], off, off offset:336
	v_add_f64_e32 v[187:188], v[187:188], v[195:196]
	v_add_f64_e32 v[189:190], v[189:190], v[193:194]
	v_fma_f64 v[195:196], v[4:5], v[34:35], v[197:198]
	v_fma_f64 v[197:198], v[2:3], v[34:35], -v[36:37]
	ds_load_b128 v[2:5], v1 offset:1232
	s_wait_loadcnt_dscnt 0x801
	v_mul_f64_e32 v[191:192], v[175:176], v[181:182]
	v_mul_f64_e32 v[193:194], v[177:178], v[181:182]
	scratch_load_b128 v[34:37], off, off offset:352
	v_add_f64_e32 v[187:188], v[187:188], v[183:184]
	v_add_f64_e32 v[185:186], v[189:190], v[185:186]
	ds_load_b128 v[181:184], v1 offset:1248
	v_fma_f64 v[191:192], v[177:178], v[179:180], v[191:192]
	v_fma_f64 v[179:180], v[175:176], v[179:180], -v[193:194]
	scratch_load_b128 v[175:178], off, off offset:368
	s_wait_loadcnt_dscnt 0x901
	v_mul_f64_e32 v[189:190], v[2:3], v[40:41]
	v_mul_f64_e32 v[40:41], v[4:5], v[40:41]
	v_add_f64_e32 v[187:188], v[187:188], v[197:198]
	v_add_f64_e32 v[185:186], v[185:186], v[195:196]
	s_delay_alu instid0(VALU_DEP_4) | instskip(NEXT) | instid1(VALU_DEP_4)
	v_fma_f64 v[189:190], v[4:5], v[38:39], v[189:190]
	v_fma_f64 v[195:196], v[2:3], v[38:39], -v[40:41]
	ds_load_b128 v[2:5], v1 offset:1264
	s_wait_loadcnt_dscnt 0x801
	v_mul_f64_e32 v[193:194], v[181:182], v[8:9]
	v_mul_f64_e32 v[8:9], v[183:184], v[8:9]
	scratch_load_b128 v[38:41], off, off offset:384
	s_wait_loadcnt_dscnt 0x800
	v_mul_f64_e32 v[197:198], v[2:3], v[12:13]
	v_add_f64_e32 v[179:180], v[187:188], v[179:180]
	v_add_f64_e32 v[191:192], v[185:186], v[191:192]
	v_mul_f64_e32 v[12:13], v[4:5], v[12:13]
	ds_load_b128 v[185:188], v1 offset:1280
	v_fma_f64 v[183:184], v[183:184], v[6:7], v[193:194]
	v_fma_f64 v[181:182], v[181:182], v[6:7], -v[8:9]
	scratch_load_b128 v[6:9], off, off offset:400
	v_fma_f64 v[193:194], v[4:5], v[10:11], v[197:198]
	v_add_f64_e32 v[179:180], v[179:180], v[195:196]
	v_add_f64_e32 v[189:190], v[191:192], v[189:190]
	v_fma_f64 v[195:196], v[2:3], v[10:11], -v[12:13]
	ds_load_b128 v[2:5], v1 offset:1296
	s_wait_loadcnt_dscnt 0x801
	v_mul_f64_e32 v[191:192], v[185:186], v[16:17]
	v_mul_f64_e32 v[16:17], v[187:188], v[16:17]
	scratch_load_b128 v[10:13], off, off offset:416
	v_add_f64_e32 v[197:198], v[179:180], v[181:182]
	v_add_f64_e32 v[183:184], v[189:190], v[183:184]
	s_wait_loadcnt_dscnt 0x800
	v_mul_f64_e32 v[189:190], v[2:3], v[20:21]
	v_mul_f64_e32 v[20:21], v[4:5], v[20:21]
	v_fma_f64 v[187:188], v[187:188], v[14:15], v[191:192]
	v_fma_f64 v[185:186], v[185:186], v[14:15], -v[16:17]
	ds_load_b128 v[179:182], v1 offset:1312
	scratch_load_b128 v[14:17], off, off offset:432
	v_add_f64_e32 v[191:192], v[197:198], v[195:196]
	v_add_f64_e32 v[183:184], v[183:184], v[193:194]
	v_fma_f64 v[189:190], v[4:5], v[18:19], v[189:190]
	v_fma_f64 v[195:196], v[2:3], v[18:19], -v[20:21]
	ds_load_b128 v[2:5], v1 offset:1328
	s_wait_loadcnt_dscnt 0x801
	v_mul_f64_e32 v[193:194], v[179:180], v[24:25]
	v_mul_f64_e32 v[24:25], v[181:182], v[24:25]
	scratch_load_b128 v[18:21], off, off offset:448
	s_wait_loadcnt_dscnt 0x800
	v_mul_f64_e32 v[197:198], v[2:3], v[28:29]
	v_mul_f64_e32 v[28:29], v[4:5], v[28:29]
	v_add_f64_e32 v[191:192], v[191:192], v[185:186]
	v_add_f64_e32 v[187:188], v[183:184], v[187:188]
	ds_load_b128 v[183:186], v1 offset:1344
	v_fma_f64 v[181:182], v[181:182], v[22:23], v[193:194]
	v_fma_f64 v[179:180], v[179:180], v[22:23], -v[24:25]
	scratch_load_b128 v[22:25], off, off offset:464
	v_fma_f64 v[193:194], v[4:5], v[26:27], v[197:198]
	v_add_f64_e32 v[191:192], v[191:192], v[195:196]
	v_add_f64_e32 v[187:188], v[187:188], v[189:190]
	v_fma_f64 v[195:196], v[2:3], v[26:27], -v[28:29]
	ds_load_b128 v[2:5], v1 offset:1360
	s_wait_loadcnt_dscnt 0x801
	v_mul_f64_e32 v[189:190], v[183:184], v[32:33]
	v_mul_f64_e32 v[32:33], v[185:186], v[32:33]
	scratch_load_b128 v[26:29], off, off offset:480
	s_wait_loadcnt_dscnt 0x800
	v_mul_f64_e32 v[197:198], v[2:3], v[36:37]
	v_mul_f64_e32 v[36:37], v[4:5], v[36:37]
	v_add_f64_e32 v[191:192], v[191:192], v[179:180]
	v_add_f64_e32 v[187:188], v[187:188], v[181:182]
	ds_load_b128 v[179:182], v1 offset:1376
	v_fma_f64 v[185:186], v[185:186], v[30:31], v[189:190]
	v_fma_f64 v[183:184], v[183:184], v[30:31], -v[32:33]
	scratch_load_b128 v[30:33], off, off offset:496
	v_add_f64_e32 v[189:190], v[191:192], v[195:196]
	v_add_f64_e32 v[187:188], v[187:188], v[193:194]
	v_fma_f64 v[193:194], v[4:5], v[34:35], v[197:198]
	v_fma_f64 v[195:196], v[2:3], v[34:35], -v[36:37]
	ds_load_b128 v[2:5], v1 offset:1392
	s_wait_loadcnt_dscnt 0x801
	v_mul_f64_e32 v[191:192], v[179:180], v[177:178]
	v_mul_f64_e32 v[177:178], v[181:182], v[177:178]
	scratch_load_b128 v[34:37], off, off offset:512
	s_wait_loadcnt_dscnt 0x800
	v_mul_f64_e32 v[197:198], v[2:3], v[40:41]
	v_mul_f64_e32 v[40:41], v[4:5], v[40:41]
	v_add_f64_e32 v[189:190], v[189:190], v[183:184]
	v_add_f64_e32 v[187:188], v[187:188], v[185:186]
	ds_load_b128 v[183:186], v1 offset:1408
	v_fma_f64 v[181:182], v[181:182], v[175:176], v[191:192]
	v_fma_f64 v[179:180], v[179:180], v[175:176], -v[177:178]
	scratch_load_b128 v[175:178], off, off offset:528
	v_add_f64_e32 v[189:190], v[189:190], v[195:196]
	v_add_f64_e32 v[187:188], v[187:188], v[193:194]
	v_fma_f64 v[193:194], v[4:5], v[38:39], v[197:198]
	v_fma_f64 v[195:196], v[2:3], v[38:39], -v[40:41]
	ds_load_b128 v[2:5], v1 offset:1424
	s_wait_loadcnt_dscnt 0x801
	v_mul_f64_e32 v[191:192], v[183:184], v[8:9]
	v_mul_f64_e32 v[8:9], v[185:186], v[8:9]
	scratch_load_b128 v[38:41], off, off offset:544
	s_wait_loadcnt_dscnt 0x800
	v_mul_f64_e32 v[197:198], v[2:3], v[12:13]
	v_mul_f64_e32 v[12:13], v[4:5], v[12:13]
	v_add_f64_e32 v[189:190], v[189:190], v[179:180]
	v_add_f64_e32 v[187:188], v[187:188], v[181:182]
	ds_load_b128 v[179:182], v1 offset:1440
	v_fma_f64 v[185:186], v[185:186], v[6:7], v[191:192]
	v_fma_f64 v[183:184], v[183:184], v[6:7], -v[8:9]
	scratch_load_b128 v[6:9], off, off offset:560
	v_add_f64_e32 v[189:190], v[189:190], v[195:196]
	v_add_f64_e32 v[187:188], v[187:188], v[193:194]
	v_fma_f64 v[193:194], v[4:5], v[10:11], v[197:198]
	v_fma_f64 v[195:196], v[2:3], v[10:11], -v[12:13]
	ds_load_b128 v[2:5], v1 offset:1456
	s_wait_loadcnt_dscnt 0x801
	v_mul_f64_e32 v[191:192], v[179:180], v[16:17]
	v_mul_f64_e32 v[16:17], v[181:182], v[16:17]
	scratch_load_b128 v[10:13], off, off offset:576
	s_wait_loadcnt_dscnt 0x800
	v_mul_f64_e32 v[197:198], v[2:3], v[20:21]
	v_mul_f64_e32 v[20:21], v[4:5], v[20:21]
	v_add_f64_e32 v[189:190], v[189:190], v[183:184]
	v_add_f64_e32 v[187:188], v[187:188], v[185:186]
	ds_load_b128 v[183:186], v1 offset:1472
	v_fma_f64 v[181:182], v[181:182], v[14:15], v[191:192]
	v_fma_f64 v[179:180], v[179:180], v[14:15], -v[16:17]
	scratch_load_b128 v[14:17], off, off offset:592
	v_add_f64_e32 v[189:190], v[189:190], v[195:196]
	v_add_f64_e32 v[187:188], v[187:188], v[193:194]
	v_fma_f64 v[193:194], v[4:5], v[18:19], v[197:198]
	v_fma_f64 v[195:196], v[2:3], v[18:19], -v[20:21]
	ds_load_b128 v[2:5], v1 offset:1488
	s_wait_loadcnt_dscnt 0x801
	v_mul_f64_e32 v[191:192], v[183:184], v[24:25]
	v_mul_f64_e32 v[24:25], v[185:186], v[24:25]
	scratch_load_b128 v[18:21], off, off offset:608
	s_wait_loadcnt_dscnt 0x800
	v_mul_f64_e32 v[197:198], v[2:3], v[28:29]
	v_mul_f64_e32 v[28:29], v[4:5], v[28:29]
	v_add_f64_e32 v[189:190], v[189:190], v[179:180]
	v_add_f64_e32 v[187:188], v[187:188], v[181:182]
	ds_load_b128 v[179:182], v1 offset:1504
	v_fma_f64 v[185:186], v[185:186], v[22:23], v[191:192]
	v_fma_f64 v[183:184], v[183:184], v[22:23], -v[24:25]
	scratch_load_b128 v[22:25], off, off offset:624
	v_add_f64_e32 v[189:190], v[189:190], v[195:196]
	v_add_f64_e32 v[187:188], v[187:188], v[193:194]
	v_fma_f64 v[193:194], v[4:5], v[26:27], v[197:198]
	v_fma_f64 v[195:196], v[2:3], v[26:27], -v[28:29]
	ds_load_b128 v[2:5], v1 offset:1520
	s_wait_loadcnt_dscnt 0x801
	v_mul_f64_e32 v[191:192], v[179:180], v[32:33]
	v_mul_f64_e32 v[32:33], v[181:182], v[32:33]
	scratch_load_b128 v[26:29], off, off offset:640
	s_wait_loadcnt_dscnt 0x800
	v_mul_f64_e32 v[197:198], v[2:3], v[36:37]
	v_mul_f64_e32 v[36:37], v[4:5], v[36:37]
	v_add_f64_e32 v[189:190], v[189:190], v[183:184]
	v_add_f64_e32 v[187:188], v[187:188], v[185:186]
	ds_load_b128 v[183:186], v1 offset:1536
	v_fma_f64 v[181:182], v[181:182], v[30:31], v[191:192]
	v_fma_f64 v[179:180], v[179:180], v[30:31], -v[32:33]
	scratch_load_b128 v[30:33], off, off offset:656
	v_add_f64_e32 v[189:190], v[189:190], v[195:196]
	v_add_f64_e32 v[187:188], v[187:188], v[193:194]
	v_fma_f64 v[195:196], v[4:5], v[34:35], v[197:198]
	v_fma_f64 v[197:198], v[2:3], v[34:35], -v[36:37]
	ds_load_b128 v[2:5], v1 offset:1552
	s_wait_loadcnt_dscnt 0x801
	v_mul_f64_e32 v[191:192], v[183:184], v[177:178]
	v_mul_f64_e32 v[193:194], v[185:186], v[177:178]
	scratch_load_b128 v[34:37], off, off offset:672
	v_add_f64_e32 v[189:190], v[189:190], v[179:180]
	v_add_f64_e32 v[181:182], v[187:188], v[181:182]
	s_wait_loadcnt_dscnt 0x800
	v_mul_f64_e32 v[187:188], v[2:3], v[40:41]
	v_mul_f64_e32 v[40:41], v[4:5], v[40:41]
	ds_load_b128 v[177:180], v1 offset:1568
	v_fma_f64 v[185:186], v[185:186], v[175:176], v[191:192]
	v_fma_f64 v[175:176], v[183:184], v[175:176], -v[193:194]
	v_add_f64_e32 v[189:190], v[189:190], v[197:198]
	v_add_f64_e32 v[191:192], v[181:182], v[195:196]
	scratch_load_b128 v[181:184], off, off offset:688
	v_fma_f64 v[195:196], v[4:5], v[38:39], v[187:188]
	v_fma_f64 v[197:198], v[2:3], v[38:39], -v[40:41]
	ds_load_b128 v[2:5], v1 offset:1584
	s_wait_loadcnt_dscnt 0x801
	v_mul_f64_e32 v[193:194], v[177:178], v[8:9]
	v_mul_f64_e32 v[8:9], v[179:180], v[8:9]
	scratch_load_b128 v[38:41], off, off offset:704
	v_add_f64_e32 v[175:176], v[189:190], v[175:176]
	v_add_f64_e32 v[189:190], v[191:192], v[185:186]
	s_wait_loadcnt_dscnt 0x800
	v_mul_f64_e32 v[191:192], v[2:3], v[12:13]
	v_mul_f64_e32 v[12:13], v[4:5], v[12:13]
	ds_load_b128 v[185:188], v1 offset:1600
	v_fma_f64 v[179:180], v[179:180], v[6:7], v[193:194]
	v_fma_f64 v[177:178], v[177:178], v[6:7], -v[8:9]
	scratch_load_b128 v[6:9], off, off offset:720
	v_add_f64_e32 v[175:176], v[175:176], v[197:198]
	v_add_f64_e32 v[189:190], v[189:190], v[195:196]
	v_fma_f64 v[191:192], v[4:5], v[10:11], v[191:192]
	v_fma_f64 v[195:196], v[2:3], v[10:11], -v[12:13]
	ds_load_b128 v[2:5], v1 offset:1616
	s_wait_loadcnt_dscnt 0x801
	v_mul_f64_e32 v[193:194], v[185:186], v[16:17]
	v_mul_f64_e32 v[16:17], v[187:188], v[16:17]
	scratch_load_b128 v[10:13], off, off offset:736
	v_add_f64_e32 v[197:198], v[175:176], v[177:178]
	v_add_f64_e32 v[179:180], v[189:190], v[179:180]
	s_wait_loadcnt_dscnt 0x800
	v_mul_f64_e32 v[189:190], v[2:3], v[20:21]
	v_mul_f64_e32 v[20:21], v[4:5], v[20:21]
	ds_load_b128 v[175:178], v1 offset:1632
	v_fma_f64 v[187:188], v[187:188], v[14:15], v[193:194]
	v_fma_f64 v[185:186], v[185:186], v[14:15], -v[16:17]
	scratch_load_b128 v[14:17], off, off offset:752
	v_add_f64_e32 v[193:194], v[197:198], v[195:196]
	v_add_f64_e32 v[179:180], v[179:180], v[191:192]
	v_fma_f64 v[189:190], v[4:5], v[18:19], v[189:190]
	v_fma_f64 v[195:196], v[2:3], v[18:19], -v[20:21]
	ds_load_b128 v[2:5], v1 offset:1648
	s_wait_loadcnt_dscnt 0x801
	v_mul_f64_e32 v[191:192], v[175:176], v[24:25]
	v_mul_f64_e32 v[24:25], v[177:178], v[24:25]
	scratch_load_b128 v[18:21], off, off offset:768
	s_wait_loadcnt_dscnt 0x800
	v_mul_f64_e32 v[197:198], v[2:3], v[28:29]
	v_mul_f64_e32 v[28:29], v[4:5], v[28:29]
	v_add_f64_e32 v[193:194], v[193:194], v[185:186]
	v_add_f64_e32 v[179:180], v[179:180], v[187:188]
	ds_load_b128 v[185:188], v1 offset:1664
	v_fma_f64 v[177:178], v[177:178], v[22:23], v[191:192]
	v_fma_f64 v[175:176], v[175:176], v[22:23], -v[24:25]
	scratch_load_b128 v[22:25], off, off offset:784
	v_add_f64_e32 v[191:192], v[193:194], v[195:196]
	v_add_f64_e32 v[179:180], v[179:180], v[189:190]
	v_fma_f64 v[193:194], v[4:5], v[26:27], v[197:198]
	v_fma_f64 v[195:196], v[2:3], v[26:27], -v[28:29]
	ds_load_b128 v[2:5], v1 offset:1680
	s_wait_loadcnt_dscnt 0x801
	v_mul_f64_e32 v[189:190], v[185:186], v[32:33]
	v_mul_f64_e32 v[32:33], v[187:188], v[32:33]
	scratch_load_b128 v[26:29], off, off offset:800
	s_wait_loadcnt_dscnt 0x800
	v_mul_f64_e32 v[197:198], v[2:3], v[36:37]
	v_mul_f64_e32 v[36:37], v[4:5], v[36:37]
	v_add_f64_e32 v[191:192], v[191:192], v[175:176]
	v_add_f64_e32 v[179:180], v[179:180], v[177:178]
	ds_load_b128 v[175:178], v1 offset:1696
	v_fma_f64 v[187:188], v[187:188], v[30:31], v[189:190]
	v_fma_f64 v[185:186], v[185:186], v[30:31], -v[32:33]
	scratch_load_b128 v[30:33], off, off offset:816
	v_add_f64_e32 v[189:190], v[191:192], v[195:196]
	v_add_f64_e32 v[179:180], v[179:180], v[193:194]
	v_fma_f64 v[195:196], v[4:5], v[34:35], v[197:198]
	v_fma_f64 v[197:198], v[2:3], v[34:35], -v[36:37]
	ds_load_b128 v[2:5], v1 offset:1712
	scratch_load_b128 v[34:37], off, off offset:832
	s_wait_loadcnt_dscnt 0x901
	v_mul_f64_e32 v[191:192], v[175:176], v[183:184]
	v_mul_f64_e32 v[193:194], v[177:178], v[183:184]
	v_add_f64_e32 v[189:190], v[189:190], v[185:186]
	v_add_f64_e32 v[179:180], v[179:180], v[187:188]
	s_wait_loadcnt_dscnt 0x800
	v_mul_f64_e32 v[187:188], v[2:3], v[40:41]
	v_mul_f64_e32 v[40:41], v[4:5], v[40:41]
	ds_load_b128 v[183:186], v1 offset:1728
	v_fma_f64 v[191:192], v[177:178], v[181:182], v[191:192]
	v_fma_f64 v[181:182], v[175:176], v[181:182], -v[193:194]
	scratch_load_b128 v[175:178], off, off offset:848
	v_add_f64_e32 v[189:190], v[189:190], v[197:198]
	v_add_f64_e32 v[179:180], v[179:180], v[195:196]
	v_fma_f64 v[187:188], v[4:5], v[38:39], v[187:188]
	v_fma_f64 v[195:196], v[2:3], v[38:39], -v[40:41]
	ds_load_b128 v[2:5], v1 offset:1744
	s_wait_loadcnt_dscnt 0x801
	v_mul_f64_e32 v[193:194], v[183:184], v[8:9]
	v_mul_f64_e32 v[8:9], v[185:186], v[8:9]
	scratch_load_b128 v[38:41], off, off offset:864
	s_wait_loadcnt_dscnt 0x800
	v_mul_f64_e32 v[197:198], v[2:3], v[12:13]
	v_mul_f64_e32 v[12:13], v[4:5], v[12:13]
	v_add_f64_e32 v[189:190], v[189:190], v[181:182]
	v_add_f64_e32 v[191:192], v[179:180], v[191:192]
	ds_load_b128 v[179:182], v1 offset:1760
	v_fma_f64 v[185:186], v[185:186], v[6:7], v[193:194]
	v_fma_f64 v[183:184], v[183:184], v[6:7], -v[8:9]
	scratch_load_b128 v[6:9], off, off offset:880
	v_fma_f64 v[193:194], v[4:5], v[10:11], v[197:198]
	v_add_f64_e32 v[189:190], v[189:190], v[195:196]
	v_add_f64_e32 v[187:188], v[191:192], v[187:188]
	v_fma_f64 v[195:196], v[2:3], v[10:11], -v[12:13]
	ds_load_b128 v[2:5], v1 offset:1776
	s_wait_loadcnt_dscnt 0x801
	v_mul_f64_e32 v[191:192], v[179:180], v[16:17]
	v_mul_f64_e32 v[16:17], v[181:182], v[16:17]
	scratch_load_b128 v[10:13], off, off offset:896
	s_wait_loadcnt_dscnt 0x800
	v_mul_f64_e32 v[197:198], v[2:3], v[20:21]
	v_mul_f64_e32 v[20:21], v[4:5], v[20:21]
	v_add_f64_e32 v[189:190], v[189:190], v[183:184]
	v_add_f64_e32 v[187:188], v[187:188], v[185:186]
	ds_load_b128 v[183:186], v1 offset:1792
	v_fma_f64 v[181:182], v[181:182], v[14:15], v[191:192]
	v_fma_f64 v[179:180], v[179:180], v[14:15], -v[16:17]
	scratch_load_b128 v[14:17], off, off offset:912
	v_add_f64_e32 v[189:190], v[189:190], v[195:196]
	v_add_f64_e32 v[187:188], v[187:188], v[193:194]
	v_fma_f64 v[193:194], v[4:5], v[18:19], v[197:198]
	v_fma_f64 v[195:196], v[2:3], v[18:19], -v[20:21]
	ds_load_b128 v[2:5], v1 offset:1808
	s_wait_loadcnt_dscnt 0x801
	v_mul_f64_e32 v[191:192], v[183:184], v[24:25]
	v_mul_f64_e32 v[24:25], v[185:186], v[24:25]
	scratch_load_b128 v[18:21], off, off offset:928
	s_wait_loadcnt_dscnt 0x800
	v_mul_f64_e32 v[197:198], v[2:3], v[28:29]
	v_mul_f64_e32 v[28:29], v[4:5], v[28:29]
	v_add_f64_e32 v[189:190], v[189:190], v[179:180]
	v_add_f64_e32 v[187:188], v[187:188], v[181:182]
	ds_load_b128 v[179:182], v1 offset:1824
	v_fma_f64 v[185:186], v[185:186], v[22:23], v[191:192]
	v_fma_f64 v[183:184], v[183:184], v[22:23], -v[24:25]
	scratch_load_b128 v[22:25], off, off offset:944
	v_add_f64_e32 v[189:190], v[189:190], v[195:196]
	v_add_f64_e32 v[187:188], v[187:188], v[193:194]
	v_fma_f64 v[193:194], v[4:5], v[26:27], v[197:198]
	;; [unrolled: 18-line block ×3, first 2 shown]
	v_fma_f64 v[197:198], v[2:3], v[34:35], -v[36:37]
	ds_load_b128 v[2:5], v1 offset:1872
	s_wait_loadcnt_dscnt 0x801
	v_mul_f64_e32 v[191:192], v[183:184], v[177:178]
	v_mul_f64_e32 v[193:194], v[185:186], v[177:178]
	scratch_load_b128 v[34:37], off, off offset:992
	v_add_f64_e32 v[189:190], v[189:190], v[179:180]
	v_add_f64_e32 v[181:182], v[187:188], v[181:182]
	s_wait_loadcnt_dscnt 0x800
	v_mul_f64_e32 v[187:188], v[2:3], v[40:41]
	v_mul_f64_e32 v[40:41], v[4:5], v[40:41]
	ds_load_b128 v[177:180], v1 offset:1888
	v_fma_f64 v[185:186], v[185:186], v[175:176], v[191:192]
	v_fma_f64 v[175:176], v[183:184], v[175:176], -v[193:194]
	v_add_f64_e32 v[189:190], v[189:190], v[197:198]
	v_add_f64_e32 v[191:192], v[181:182], v[195:196]
	scratch_load_b128 v[181:184], off, off offset:1008
	v_fma_f64 v[195:196], v[4:5], v[38:39], v[187:188]
	v_fma_f64 v[197:198], v[2:3], v[38:39], -v[40:41]
	ds_load_b128 v[2:5], v1 offset:1904
	s_wait_loadcnt_dscnt 0x801
	v_mul_f64_e32 v[193:194], v[177:178], v[8:9]
	v_mul_f64_e32 v[8:9], v[179:180], v[8:9]
	scratch_load_b128 v[38:41], off, off offset:1024
	v_add_f64_e32 v[175:176], v[189:190], v[175:176]
	v_add_f64_e32 v[189:190], v[191:192], v[185:186]
	s_wait_loadcnt_dscnt 0x800
	v_mul_f64_e32 v[191:192], v[2:3], v[12:13]
	v_mul_f64_e32 v[12:13], v[4:5], v[12:13]
	ds_load_b128 v[185:188], v1 offset:1920
	v_fma_f64 v[179:180], v[179:180], v[6:7], v[193:194]
	v_fma_f64 v[6:7], v[177:178], v[6:7], -v[8:9]
	s_wait_loadcnt_dscnt 0x700
	v_mul_f64_e32 v[177:178], v[185:186], v[16:17]
	v_mul_f64_e32 v[16:17], v[187:188], v[16:17]
	v_add_f64_e32 v[8:9], v[175:176], v[197:198]
	v_add_f64_e32 v[175:176], v[189:190], v[195:196]
	v_fma_f64 v[189:190], v[4:5], v[10:11], v[191:192]
	v_fma_f64 v[10:11], v[2:3], v[10:11], -v[12:13]
	v_fma_f64 v[177:178], v[187:188], v[14:15], v[177:178]
	v_fma_f64 v[14:15], v[185:186], v[14:15], -v[16:17]
	v_add_f64_e32 v[12:13], v[8:9], v[6:7]
	v_add_f64_e32 v[175:176], v[175:176], v[179:180]
	ds_load_b128 v[2:5], v1 offset:1936
	ds_load_b128 v[6:9], v1 offset:1952
	s_wait_loadcnt_dscnt 0x601
	v_mul_f64_e32 v[179:180], v[2:3], v[20:21]
	v_mul_f64_e32 v[20:21], v[4:5], v[20:21]
	s_wait_loadcnt_dscnt 0x500
	v_mul_f64_e32 v[16:17], v[6:7], v[24:25]
	v_mul_f64_e32 v[24:25], v[8:9], v[24:25]
	v_add_f64_e32 v[10:11], v[12:13], v[10:11]
	v_add_f64_e32 v[12:13], v[175:176], v[189:190]
	v_fma_f64 v[175:176], v[4:5], v[18:19], v[179:180]
	v_fma_f64 v[18:19], v[2:3], v[18:19], -v[20:21]
	v_fma_f64 v[8:9], v[8:9], v[22:23], v[16:17]
	v_fma_f64 v[6:7], v[6:7], v[22:23], -v[24:25]
	v_add_f64_e32 v[14:15], v[10:11], v[14:15]
	v_add_f64_e32 v[20:21], v[12:13], v[177:178]
	ds_load_b128 v[2:5], v1 offset:1968
	ds_load_b128 v[10:13], v1 offset:1984
	s_wait_loadcnt_dscnt 0x401
	v_mul_f64_e32 v[177:178], v[2:3], v[28:29]
	v_mul_f64_e32 v[28:29], v[4:5], v[28:29]
	v_add_f64_e32 v[14:15], v[14:15], v[18:19]
	v_add_f64_e32 v[16:17], v[20:21], v[175:176]
	s_wait_loadcnt_dscnt 0x300
	v_mul_f64_e32 v[18:19], v[10:11], v[32:33]
	v_mul_f64_e32 v[20:21], v[12:13], v[32:33]
	v_fma_f64 v[22:23], v[4:5], v[26:27], v[177:178]
	v_fma_f64 v[24:25], v[2:3], v[26:27], -v[28:29]
	v_add_f64_e32 v[14:15], v[14:15], v[6:7]
	v_add_f64_e32 v[16:17], v[16:17], v[8:9]
	ds_load_b128 v[2:5], v1 offset:2000
	ds_load_b128 v[6:9], v1 offset:2016
	v_fma_f64 v[12:13], v[12:13], v[30:31], v[18:19]
	v_fma_f64 v[10:11], v[10:11], v[30:31], -v[20:21]
	s_wait_loadcnt_dscnt 0x201
	v_mul_f64_e32 v[26:27], v[2:3], v[36:37]
	v_mul_f64_e32 v[28:29], v[4:5], v[36:37]
	v_add_f64_e32 v[14:15], v[14:15], v[24:25]
	v_add_f64_e32 v[16:17], v[16:17], v[22:23]
	s_wait_loadcnt_dscnt 0x100
	v_mul_f64_e32 v[18:19], v[6:7], v[183:184]
	v_mul_f64_e32 v[20:21], v[8:9], v[183:184]
	v_fma_f64 v[22:23], v[4:5], v[34:35], v[26:27]
	v_fma_f64 v[24:25], v[2:3], v[34:35], -v[28:29]
	ds_load_b128 v[2:5], v1 offset:2032
	v_add_f64_e32 v[10:11], v[14:15], v[10:11]
	v_add_f64_e32 v[12:13], v[16:17], v[12:13]
	s_wait_loadcnt_dscnt 0x0
	v_mul_f64_e32 v[14:15], v[2:3], v[40:41]
	v_mul_f64_e32 v[16:17], v[4:5], v[40:41]
	v_fma_f64 v[8:9], v[8:9], v[181:182], v[18:19]
	v_fma_f64 v[6:7], v[6:7], v[181:182], -v[20:21]
	v_add_f64_e32 v[10:11], v[10:11], v[24:25]
	v_add_f64_e32 v[12:13], v[12:13], v[22:23]
	v_fma_f64 v[4:5], v[4:5], v[38:39], v[14:15]
	v_fma_f64 v[2:3], v[2:3], v[38:39], -v[16:17]
	s_delay_alu instid0(VALU_DEP_4) | instskip(NEXT) | instid1(VALU_DEP_4)
	v_add_f64_e32 v[6:7], v[10:11], v[6:7]
	v_add_f64_e32 v[8:9], v[12:13], v[8:9]
	s_delay_alu instid0(VALU_DEP_2) | instskip(NEXT) | instid1(VALU_DEP_2)
	v_add_f64_e32 v[2:3], v[6:7], v[2:3]
	v_add_f64_e32 v[4:5], v[8:9], v[4:5]
	s_delay_alu instid0(VALU_DEP_2) | instskip(NEXT) | instid1(VALU_DEP_2)
	v_add_f64_e64 v[2:3], v[42:43], -v[2:3]
	v_add_f64_e64 v[4:5], v[44:45], -v[4:5]
	scratch_store_b128 off, v[2:5], off offset:48
	v_cmpx_lt_u32_e32 1, v0
	s_cbranch_execz .LBB127_407
; %bb.406:
	scratch_load_b128 v[5:8], off, s17
	v_dual_mov_b32 v2, v1 :: v_dual_mov_b32 v3, v1
	v_mov_b32_e32 v4, v1
	scratch_store_b128 off, v[1:4], off offset:32
	s_wait_loadcnt 0x0
	ds_store_b128 v174, v[5:8]
.LBB127_407:
	s_wait_alu 0xfffe
	s_or_b32 exec_lo, exec_lo, s0
	s_wait_storecnt_dscnt 0x0
	s_barrier_signal -1
	s_barrier_wait -1
	global_inv scope:SCOPE_SE
	s_clause 0x8
	scratch_load_b128 v[2:5], off, off offset:48
	scratch_load_b128 v[6:9], off, off offset:64
	;; [unrolled: 1-line block ×9, first 2 shown]
	ds_load_b128 v[42:45], v1 offset:1056
	ds_load_b128 v[38:41], v1 offset:1072
	s_clause 0x1
	scratch_load_b128 v[175:178], off, off offset:32
	scratch_load_b128 v[179:182], off, off offset:192
	s_mov_b32 s0, exec_lo
	s_wait_loadcnt_dscnt 0xa01
	v_mul_f64_e32 v[183:184], v[44:45], v[4:5]
	v_mul_f64_e32 v[4:5], v[42:43], v[4:5]
	s_wait_loadcnt_dscnt 0x900
	v_mul_f64_e32 v[187:188], v[38:39], v[8:9]
	v_mul_f64_e32 v[8:9], v[40:41], v[8:9]
	s_delay_alu instid0(VALU_DEP_4) | instskip(NEXT) | instid1(VALU_DEP_4)
	v_fma_f64 v[189:190], v[42:43], v[2:3], -v[183:184]
	v_fma_f64 v[191:192], v[44:45], v[2:3], v[4:5]
	ds_load_b128 v[2:5], v1 offset:1088
	ds_load_b128 v[183:186], v1 offset:1104
	scratch_load_b128 v[42:45], off, off offset:208
	v_fma_f64 v[40:41], v[40:41], v[6:7], v[187:188]
	v_fma_f64 v[38:39], v[38:39], v[6:7], -v[8:9]
	scratch_load_b128 v[6:9], off, off offset:224
	s_wait_loadcnt_dscnt 0xa01
	v_mul_f64_e32 v[193:194], v[2:3], v[12:13]
	v_mul_f64_e32 v[12:13], v[4:5], v[12:13]
	v_add_f64_e32 v[187:188], 0, v[189:190]
	v_add_f64_e32 v[189:190], 0, v[191:192]
	s_wait_loadcnt_dscnt 0x900
	v_mul_f64_e32 v[191:192], v[183:184], v[16:17]
	v_mul_f64_e32 v[16:17], v[185:186], v[16:17]
	v_fma_f64 v[193:194], v[4:5], v[10:11], v[193:194]
	v_fma_f64 v[195:196], v[2:3], v[10:11], -v[12:13]
	ds_load_b128 v[2:5], v1 offset:1120
	scratch_load_b128 v[10:13], off, off offset:240
	v_add_f64_e32 v[187:188], v[187:188], v[38:39]
	v_add_f64_e32 v[189:190], v[189:190], v[40:41]
	ds_load_b128 v[38:41], v1 offset:1136
	v_fma_f64 v[185:186], v[185:186], v[14:15], v[191:192]
	v_fma_f64 v[183:184], v[183:184], v[14:15], -v[16:17]
	scratch_load_b128 v[14:17], off, off offset:256
	s_wait_loadcnt_dscnt 0xa01
	v_mul_f64_e32 v[197:198], v[2:3], v[20:21]
	v_mul_f64_e32 v[20:21], v[4:5], v[20:21]
	s_wait_loadcnt_dscnt 0x900
	v_mul_f64_e32 v[191:192], v[38:39], v[24:25]
	v_mul_f64_e32 v[24:25], v[40:41], v[24:25]
	v_add_f64_e32 v[187:188], v[187:188], v[195:196]
	v_add_f64_e32 v[189:190], v[189:190], v[193:194]
	v_fma_f64 v[193:194], v[4:5], v[18:19], v[197:198]
	v_fma_f64 v[195:196], v[2:3], v[18:19], -v[20:21]
	ds_load_b128 v[2:5], v1 offset:1152
	scratch_load_b128 v[18:21], off, off offset:272
	v_fma_f64 v[40:41], v[40:41], v[22:23], v[191:192]
	v_fma_f64 v[38:39], v[38:39], v[22:23], -v[24:25]
	scratch_load_b128 v[22:25], off, off offset:288
	v_add_f64_e32 v[187:188], v[187:188], v[183:184]
	v_add_f64_e32 v[189:190], v[189:190], v[185:186]
	ds_load_b128 v[183:186], v1 offset:1168
	s_wait_loadcnt_dscnt 0xa01
	v_mul_f64_e32 v[197:198], v[2:3], v[28:29]
	v_mul_f64_e32 v[28:29], v[4:5], v[28:29]
	s_wait_loadcnt_dscnt 0x900
	v_mul_f64_e32 v[191:192], v[183:184], v[32:33]
	v_mul_f64_e32 v[32:33], v[185:186], v[32:33]
	v_add_f64_e32 v[187:188], v[187:188], v[195:196]
	v_add_f64_e32 v[189:190], v[189:190], v[193:194]
	v_fma_f64 v[193:194], v[4:5], v[26:27], v[197:198]
	v_fma_f64 v[195:196], v[2:3], v[26:27], -v[28:29]
	ds_load_b128 v[2:5], v1 offset:1184
	scratch_load_b128 v[26:29], off, off offset:304
	v_fma_f64 v[185:186], v[185:186], v[30:31], v[191:192]
	v_fma_f64 v[183:184], v[183:184], v[30:31], -v[32:33]
	scratch_load_b128 v[30:33], off, off offset:320
	v_add_f64_e32 v[187:188], v[187:188], v[38:39]
	v_add_f64_e32 v[189:190], v[189:190], v[40:41]
	ds_load_b128 v[38:41], v1 offset:1200
	s_wait_loadcnt_dscnt 0xa01
	v_mul_f64_e32 v[197:198], v[2:3], v[36:37]
	v_mul_f64_e32 v[36:37], v[4:5], v[36:37]
	s_wait_loadcnt_dscnt 0x800
	v_mul_f64_e32 v[191:192], v[38:39], v[181:182]
	v_add_f64_e32 v[187:188], v[187:188], v[195:196]
	v_add_f64_e32 v[189:190], v[189:190], v[193:194]
	v_mul_f64_e32 v[193:194], v[40:41], v[181:182]
	v_fma_f64 v[195:196], v[4:5], v[34:35], v[197:198]
	v_fma_f64 v[197:198], v[2:3], v[34:35], -v[36:37]
	ds_load_b128 v[2:5], v1 offset:1216
	scratch_load_b128 v[34:37], off, off offset:336
	v_fma_f64 v[191:192], v[40:41], v[179:180], v[191:192]
	v_add_f64_e32 v[187:188], v[187:188], v[183:184]
	v_add_f64_e32 v[185:186], v[189:190], v[185:186]
	ds_load_b128 v[181:184], v1 offset:1232
	v_fma_f64 v[179:180], v[38:39], v[179:180], -v[193:194]
	scratch_load_b128 v[38:41], off, off offset:352
	s_wait_loadcnt_dscnt 0x901
	v_mul_f64_e32 v[189:190], v[2:3], v[44:45]
	v_mul_f64_e32 v[44:45], v[4:5], v[44:45]
	s_wait_loadcnt_dscnt 0x800
	v_mul_f64_e32 v[193:194], v[181:182], v[8:9]
	v_mul_f64_e32 v[8:9], v[183:184], v[8:9]
	v_add_f64_e32 v[187:188], v[187:188], v[197:198]
	v_add_f64_e32 v[185:186], v[185:186], v[195:196]
	v_fma_f64 v[189:190], v[4:5], v[42:43], v[189:190]
	v_fma_f64 v[195:196], v[2:3], v[42:43], -v[44:45]
	ds_load_b128 v[2:5], v1 offset:1248
	scratch_load_b128 v[42:45], off, off offset:368
	v_fma_f64 v[183:184], v[183:184], v[6:7], v[193:194]
	v_fma_f64 v[181:182], v[181:182], v[6:7], -v[8:9]
	scratch_load_b128 v[6:9], off, off offset:384
	v_add_f64_e32 v[179:180], v[187:188], v[179:180]
	v_add_f64_e32 v[191:192], v[185:186], v[191:192]
	ds_load_b128 v[185:188], v1 offset:1264
	s_wait_loadcnt_dscnt 0x901
	v_mul_f64_e32 v[197:198], v[2:3], v[12:13]
	v_mul_f64_e32 v[12:13], v[4:5], v[12:13]
	v_add_f64_e32 v[179:180], v[179:180], v[195:196]
	v_add_f64_e32 v[189:190], v[191:192], v[189:190]
	s_wait_loadcnt_dscnt 0x800
	v_mul_f64_e32 v[191:192], v[185:186], v[16:17]
	v_mul_f64_e32 v[16:17], v[187:188], v[16:17]
	v_fma_f64 v[193:194], v[4:5], v[10:11], v[197:198]
	v_fma_f64 v[195:196], v[2:3], v[10:11], -v[12:13]
	ds_load_b128 v[2:5], v1 offset:1280
	scratch_load_b128 v[10:13], off, off offset:400
	v_add_f64_e32 v[197:198], v[179:180], v[181:182]
	v_add_f64_e32 v[183:184], v[189:190], v[183:184]
	ds_load_b128 v[179:182], v1 offset:1296
	s_wait_loadcnt_dscnt 0x801
	v_mul_f64_e32 v[189:190], v[2:3], v[20:21]
	v_mul_f64_e32 v[20:21], v[4:5], v[20:21]
	v_fma_f64 v[187:188], v[187:188], v[14:15], v[191:192]
	v_fma_f64 v[185:186], v[185:186], v[14:15], -v[16:17]
	scratch_load_b128 v[14:17], off, off offset:416
	v_add_f64_e32 v[191:192], v[197:198], v[195:196]
	v_add_f64_e32 v[183:184], v[183:184], v[193:194]
	s_wait_loadcnt_dscnt 0x800
	v_mul_f64_e32 v[193:194], v[179:180], v[24:25]
	v_mul_f64_e32 v[24:25], v[181:182], v[24:25]
	v_fma_f64 v[189:190], v[4:5], v[18:19], v[189:190]
	v_fma_f64 v[195:196], v[2:3], v[18:19], -v[20:21]
	ds_load_b128 v[2:5], v1 offset:1312
	scratch_load_b128 v[18:21], off, off offset:432
	v_add_f64_e32 v[191:192], v[191:192], v[185:186]
	v_add_f64_e32 v[187:188], v[183:184], v[187:188]
	ds_load_b128 v[183:186], v1 offset:1328
	s_wait_loadcnt_dscnt 0x801
	v_mul_f64_e32 v[197:198], v[2:3], v[28:29]
	v_mul_f64_e32 v[28:29], v[4:5], v[28:29]
	v_fma_f64 v[181:182], v[181:182], v[22:23], v[193:194]
	v_fma_f64 v[179:180], v[179:180], v[22:23], -v[24:25]
	scratch_load_b128 v[22:25], off, off offset:448
	;; [unrolled: 18-line block ×4, first 2 shown]
	s_wait_loadcnt_dscnt 0x800
	v_mul_f64_e32 v[191:192], v[183:184], v[8:9]
	v_mul_f64_e32 v[8:9], v[185:186], v[8:9]
	v_add_f64_e32 v[189:190], v[189:190], v[195:196]
	v_add_f64_e32 v[187:188], v[187:188], v[193:194]
	v_fma_f64 v[193:194], v[4:5], v[42:43], v[197:198]
	v_fma_f64 v[195:196], v[2:3], v[42:43], -v[44:45]
	ds_load_b128 v[2:5], v1 offset:1408
	scratch_load_b128 v[42:45], off, off offset:528
	v_fma_f64 v[185:186], v[185:186], v[6:7], v[191:192]
	v_fma_f64 v[183:184], v[183:184], v[6:7], -v[8:9]
	scratch_load_b128 v[6:9], off, off offset:544
	v_add_f64_e32 v[189:190], v[189:190], v[179:180]
	v_add_f64_e32 v[187:188], v[187:188], v[181:182]
	ds_load_b128 v[179:182], v1 offset:1424
	s_wait_loadcnt_dscnt 0x901
	v_mul_f64_e32 v[197:198], v[2:3], v[12:13]
	v_mul_f64_e32 v[12:13], v[4:5], v[12:13]
	s_wait_loadcnt_dscnt 0x800
	v_mul_f64_e32 v[191:192], v[179:180], v[16:17]
	v_mul_f64_e32 v[16:17], v[181:182], v[16:17]
	v_add_f64_e32 v[189:190], v[189:190], v[195:196]
	v_add_f64_e32 v[187:188], v[187:188], v[193:194]
	v_fma_f64 v[193:194], v[4:5], v[10:11], v[197:198]
	v_fma_f64 v[195:196], v[2:3], v[10:11], -v[12:13]
	ds_load_b128 v[2:5], v1 offset:1440
	scratch_load_b128 v[10:13], off, off offset:560
	v_fma_f64 v[181:182], v[181:182], v[14:15], v[191:192]
	v_fma_f64 v[179:180], v[179:180], v[14:15], -v[16:17]
	scratch_load_b128 v[14:17], off, off offset:576
	v_add_f64_e32 v[189:190], v[189:190], v[183:184]
	v_add_f64_e32 v[187:188], v[187:188], v[185:186]
	ds_load_b128 v[183:186], v1 offset:1456
	s_wait_loadcnt_dscnt 0x901
	v_mul_f64_e32 v[197:198], v[2:3], v[20:21]
	v_mul_f64_e32 v[20:21], v[4:5], v[20:21]
	;; [unrolled: 18-line block ×16, first 2 shown]
	s_wait_loadcnt_dscnt 0x800
	v_mul_f64_e32 v[191:192], v[183:184], v[16:17]
	v_mul_f64_e32 v[16:17], v[185:186], v[16:17]
	v_add_f64_e32 v[189:190], v[189:190], v[195:196]
	v_add_f64_e32 v[187:188], v[187:188], v[193:194]
	v_fma_f64 v[193:194], v[4:5], v[10:11], v[197:198]
	v_fma_f64 v[195:196], v[2:3], v[10:11], -v[12:13]
	ds_load_b128 v[2:5], v1 offset:1920
	ds_load_b128 v[10:13], v1 offset:1936
	v_fma_f64 v[185:186], v[185:186], v[14:15], v[191:192]
	v_fma_f64 v[14:15], v[183:184], v[14:15], -v[16:17]
	v_add_f64_e32 v[179:180], v[189:190], v[179:180]
	v_add_f64_e32 v[181:182], v[187:188], v[181:182]
	s_wait_loadcnt_dscnt 0x701
	v_mul_f64_e32 v[187:188], v[2:3], v[20:21]
	v_mul_f64_e32 v[20:21], v[4:5], v[20:21]
	s_delay_alu instid0(VALU_DEP_4) | instskip(NEXT) | instid1(VALU_DEP_4)
	v_add_f64_e32 v[16:17], v[179:180], v[195:196]
	v_add_f64_e32 v[179:180], v[181:182], v[193:194]
	s_wait_loadcnt_dscnt 0x600
	v_mul_f64_e32 v[181:182], v[10:11], v[24:25]
	v_mul_f64_e32 v[24:25], v[12:13], v[24:25]
	v_fma_f64 v[183:184], v[4:5], v[18:19], v[187:188]
	v_fma_f64 v[18:19], v[2:3], v[18:19], -v[20:21]
	v_add_f64_e32 v[20:21], v[16:17], v[14:15]
	v_add_f64_e32 v[179:180], v[179:180], v[185:186]
	ds_load_b128 v[2:5], v1 offset:1952
	ds_load_b128 v[14:17], v1 offset:1968
	v_fma_f64 v[12:13], v[12:13], v[22:23], v[181:182]
	v_fma_f64 v[10:11], v[10:11], v[22:23], -v[24:25]
	s_wait_loadcnt_dscnt 0x501
	v_mul_f64_e32 v[185:186], v[2:3], v[28:29]
	v_mul_f64_e32 v[28:29], v[4:5], v[28:29]
	s_wait_loadcnt_dscnt 0x400
	v_mul_f64_e32 v[22:23], v[14:15], v[32:33]
	v_mul_f64_e32 v[24:25], v[16:17], v[32:33]
	v_add_f64_e32 v[18:19], v[20:21], v[18:19]
	v_add_f64_e32 v[20:21], v[179:180], v[183:184]
	v_fma_f64 v[32:33], v[4:5], v[26:27], v[185:186]
	v_fma_f64 v[26:27], v[2:3], v[26:27], -v[28:29]
	v_fma_f64 v[16:17], v[16:17], v[30:31], v[22:23]
	v_fma_f64 v[14:15], v[14:15], v[30:31], -v[24:25]
	v_add_f64_e32 v[18:19], v[18:19], v[10:11]
	v_add_f64_e32 v[20:21], v[20:21], v[12:13]
	ds_load_b128 v[2:5], v1 offset:1984
	ds_load_b128 v[10:13], v1 offset:2000
	s_wait_loadcnt_dscnt 0x301
	v_mul_f64_e32 v[28:29], v[2:3], v[36:37]
	v_mul_f64_e32 v[36:37], v[4:5], v[36:37]
	s_wait_loadcnt_dscnt 0x200
	v_mul_f64_e32 v[22:23], v[10:11], v[40:41]
	v_mul_f64_e32 v[24:25], v[12:13], v[40:41]
	v_add_f64_e32 v[18:19], v[18:19], v[26:27]
	v_add_f64_e32 v[20:21], v[20:21], v[32:33]
	v_fma_f64 v[26:27], v[4:5], v[34:35], v[28:29]
	v_fma_f64 v[28:29], v[2:3], v[34:35], -v[36:37]
	v_fma_f64 v[12:13], v[12:13], v[38:39], v[22:23]
	v_fma_f64 v[10:11], v[10:11], v[38:39], -v[24:25]
	v_add_f64_e32 v[18:19], v[18:19], v[14:15]
	v_add_f64_e32 v[20:21], v[20:21], v[16:17]
	ds_load_b128 v[2:5], v1 offset:2016
	ds_load_b128 v[14:17], v1 offset:2032
	s_wait_loadcnt_dscnt 0x101
	v_mul_f64_e32 v[30:31], v[2:3], v[44:45]
	v_mul_f64_e32 v[32:33], v[4:5], v[44:45]
	s_wait_loadcnt_dscnt 0x0
	v_mul_f64_e32 v[22:23], v[14:15], v[8:9]
	v_mul_f64_e32 v[8:9], v[16:17], v[8:9]
	v_add_f64_e32 v[18:19], v[18:19], v[28:29]
	v_add_f64_e32 v[20:21], v[20:21], v[26:27]
	v_fma_f64 v[4:5], v[4:5], v[42:43], v[30:31]
	v_fma_f64 v[1:2], v[2:3], v[42:43], -v[32:33]
	v_fma_f64 v[16:17], v[16:17], v[6:7], v[22:23]
	v_fma_f64 v[6:7], v[14:15], v[6:7], -v[8:9]
	v_add_f64_e32 v[10:11], v[18:19], v[10:11]
	v_add_f64_e32 v[12:13], v[20:21], v[12:13]
	s_delay_alu instid0(VALU_DEP_2) | instskip(NEXT) | instid1(VALU_DEP_2)
	v_add_f64_e32 v[1:2], v[10:11], v[1:2]
	v_add_f64_e32 v[3:4], v[12:13], v[4:5]
	s_delay_alu instid0(VALU_DEP_2) | instskip(NEXT) | instid1(VALU_DEP_2)
	;; [unrolled: 3-line block ×3, first 2 shown]
	v_add_f64_e64 v[1:2], v[175:176], -v[1:2]
	v_add_f64_e64 v[3:4], v[177:178], -v[3:4]
	scratch_store_b128 off, v[1:4], off offset:32
	v_cmpx_ne_u32_e32 0, v0
	s_cbranch_execz .LBB127_409
; %bb.408:
	scratch_load_b128 v[0:3], off, off offset:16
	v_mov_b32_e32 v4, 0
	s_delay_alu instid0(VALU_DEP_1)
	v_dual_mov_b32 v5, v4 :: v_dual_mov_b32 v6, v4
	v_mov_b32_e32 v7, v4
	scratch_store_b128 off, v[4:7], off offset:16
	s_wait_loadcnt 0x0
	ds_store_b128 v174, v[0:3]
.LBB127_409:
	s_wait_alu 0xfffe
	s_or_b32 exec_lo, exec_lo, s0
	v_mov_b32_e32 v0, 0
	v_dual_mov_b32 v1, 0 :: v_dual_mov_b32 v2, 0
	v_mov_b32_e32 v3, 0
	s_movk_i32 s0, 0xfc10
	s_wait_storecnt_dscnt 0x0
	s_barrier_signal -1
	s_barrier_wait -1
	global_inv scope:SCOPE_SE
.LBB127_410:                            ; =>This Inner Loop Header: Depth=1
	s_wait_alu 0xfffe
	s_add_co_i32 s1, s0, 16
	v_mov_b32_e32 v184, s0
	s_clause 0x8
	scratch_load_b128 v[4:7], off, s1 offset:1024
	scratch_load_b128 v[8:11], off, s1 offset:1040
	;; [unrolled: 1-line block ×9, first 2 shown]
	s_addk_co_i32 s0, 0x90
	ds_load_b128 v[36:39], v184 offset:2048
	ds_load_b128 v[174:177], v184 offset:2064
	s_wait_alu 0xfffe
	s_cmp_lg_u32 s0, 0
	s_wait_loadcnt_dscnt 0x801
	v_mul_f64_e32 v[44:45], v[38:39], v[6:7]
	v_mul_f64_e32 v[6:7], v[36:37], v[6:7]
	s_wait_loadcnt_dscnt 0x700
	v_mul_f64_e32 v[178:179], v[176:177], v[10:11]
	v_mul_f64_e32 v[10:11], v[174:175], v[10:11]
	s_delay_alu instid0(VALU_DEP_4) | instskip(NEXT) | instid1(VALU_DEP_4)
	v_fma_f64 v[44:45], v[36:37], v[4:5], -v[44:45]
	v_fma_f64 v[180:181], v[38:39], v[4:5], v[6:7]
	ds_load_b128 v[4:7], v184 offset:2080
	ds_load_b128 v[36:39], v184 offset:2096
	v_fma_f64 v[174:175], v[174:175], v[8:9], -v[178:179]
	v_fma_f64 v[8:9], v[176:177], v[8:9], v[10:11]
	s_wait_loadcnt_dscnt 0x601
	v_mul_f64_e32 v[182:183], v[6:7], v[14:15]
	v_mul_f64_e32 v[14:15], v[4:5], v[14:15]
	s_wait_loadcnt_dscnt 0x500
	v_mul_f64_e32 v[10:11], v[38:39], v[18:19]
	v_mul_f64_e32 v[18:19], v[36:37], v[18:19]
	v_add_f64_e32 v[2:3], v[2:3], v[44:45]
	v_add_f64_e32 v[0:1], v[0:1], v[180:181]
	v_fma_f64 v[44:45], v[4:5], v[12:13], -v[182:183]
	v_fma_f64 v[12:13], v[6:7], v[12:13], v[14:15]
	v_fma_f64 v[10:11], v[36:37], v[16:17], -v[10:11]
	v_fma_f64 v[16:17], v[38:39], v[16:17], v[18:19]
	v_add_f64_e32 v[14:15], v[2:3], v[174:175]
	v_add_f64_e32 v[8:9], v[0:1], v[8:9]
	ds_load_b128 v[0:3], v184 offset:2112
	ds_load_b128 v[4:7], v184 offset:2128
	s_wait_loadcnt_dscnt 0x401
	v_mul_f64_e32 v[174:175], v[2:3], v[22:23]
	v_mul_f64_e32 v[22:23], v[0:1], v[22:23]
	s_wait_loadcnt_dscnt 0x300
	v_mul_f64_e32 v[18:19], v[4:5], v[26:27]
	v_add_f64_e32 v[14:15], v[14:15], v[44:45]
	v_add_f64_e32 v[8:9], v[8:9], v[12:13]
	v_mul_f64_e32 v[12:13], v[6:7], v[26:27]
	v_fma_f64 v[26:27], v[0:1], v[20:21], -v[174:175]
	v_fma_f64 v[20:21], v[2:3], v[20:21], v[22:23]
	v_fma_f64 v[6:7], v[6:7], v[24:25], v[18:19]
	v_add_f64_e32 v[14:15], v[14:15], v[10:11]
	v_add_f64_e32 v[16:17], v[8:9], v[16:17]
	ds_load_b128 v[0:3], v184 offset:2144
	ds_load_b128 v[8:11], v184 offset:2160
	v_fma_f64 v[4:5], v[4:5], v[24:25], -v[12:13]
	s_wait_loadcnt_dscnt 0x201
	v_mul_f64_e32 v[22:23], v[2:3], v[30:31]
	v_mul_f64_e32 v[30:31], v[0:1], v[30:31]
	s_wait_loadcnt_dscnt 0x100
	v_mul_f64_e32 v[18:19], v[8:9], v[34:35]
	v_add_f64_e32 v[12:13], v[14:15], v[26:27]
	v_add_f64_e32 v[14:15], v[16:17], v[20:21]
	v_mul_f64_e32 v[16:17], v[10:11], v[34:35]
	v_fma_f64 v[20:21], v[0:1], v[28:29], -v[22:23]
	v_fma_f64 v[22:23], v[2:3], v[28:29], v[30:31]
	ds_load_b128 v[0:3], v184 offset:2176
	v_fma_f64 v[10:11], v[10:11], v[32:33], v[18:19]
	v_add_f64_e32 v[4:5], v[12:13], v[4:5]
	v_add_f64_e32 v[6:7], v[14:15], v[6:7]
	v_fma_f64 v[8:9], v[8:9], v[32:33], -v[16:17]
	s_wait_loadcnt_dscnt 0x0
	v_mul_f64_e32 v[12:13], v[2:3], v[42:43]
	v_mul_f64_e32 v[14:15], v[0:1], v[42:43]
	v_add_f64_e32 v[4:5], v[4:5], v[20:21]
	v_add_f64_e32 v[6:7], v[6:7], v[22:23]
	s_delay_alu instid0(VALU_DEP_4) | instskip(NEXT) | instid1(VALU_DEP_4)
	v_fma_f64 v[0:1], v[0:1], v[40:41], -v[12:13]
	v_fma_f64 v[12:13], v[2:3], v[40:41], v[14:15]
	s_delay_alu instid0(VALU_DEP_4) | instskip(NEXT) | instid1(VALU_DEP_4)
	v_add_f64_e32 v[2:3], v[4:5], v[8:9]
	v_add_f64_e32 v[4:5], v[6:7], v[10:11]
	s_delay_alu instid0(VALU_DEP_2) | instskip(NEXT) | instid1(VALU_DEP_2)
	v_add_f64_e32 v[2:3], v[2:3], v[0:1]
	v_add_f64_e32 v[0:1], v[4:5], v[12:13]
	s_cbranch_scc1 .LBB127_410
; %bb.411:
	scratch_load_b128 v[4:7], off, off offset:16
	s_and_b32 vcc_lo, exec_lo, s14
	s_wait_loadcnt 0x0
	v_add_f64_e64 v[2:3], v[4:5], -v[2:3]
	v_add_f64_e64 v[4:5], v[6:7], -v[0:1]
	scratch_store_b128 off, v[2:5], off offset:16
	s_wait_alu 0xfffe
	s_cbranch_vccz .LBB127_538
; %bb.412:
	v_mov_b32_e32 v0, 0
	global_load_b32 v1, v0, s[8:9] offset:248
	s_wait_loadcnt 0x0
	v_cmp_ne_u32_e32 vcc_lo, 63, v1
	s_cbranch_vccz .LBB127_414
; %bb.413:
	v_lshlrev_b32_e32 v1, 4, v1
	s_delay_alu instid0(VALU_DEP_1)
	v_add_nc_u32_e32 v9, 16, v1
	s_clause 0x1
	scratch_load_b128 v[1:4], v9, off offset:-16
	scratch_load_b128 v[5:8], off, s13
	s_wait_loadcnt 0x1
	scratch_store_b128 off, v[1:4], s13
	s_wait_loadcnt 0x0
	scratch_store_b128 v9, v[5:8], off offset:-16
.LBB127_414:
	global_load_b32 v0, v0, s[8:9] offset:244
	s_wait_loadcnt 0x0
	v_cmp_eq_u32_e32 vcc_lo, 62, v0
	s_cbranch_vccnz .LBB127_416
; %bb.415:
	v_lshlrev_b32_e32 v0, 4, v0
	s_delay_alu instid0(VALU_DEP_1)
	v_add_nc_u32_e32 v8, 16, v0
	s_clause 0x1
	scratch_load_b128 v[0:3], v8, off offset:-16
	scratch_load_b128 v[4:7], off, s16
	s_wait_loadcnt 0x1
	scratch_store_b128 off, v[0:3], s16
	s_wait_loadcnt 0x0
	scratch_store_b128 v8, v[4:7], off offset:-16
.LBB127_416:
	v_mov_b32_e32 v0, 0
	global_load_b32 v1, v0, s[8:9] offset:240
	s_wait_loadcnt 0x0
	v_cmp_eq_u32_e32 vcc_lo, 61, v1
	s_cbranch_vccnz .LBB127_418
; %bb.417:
	v_lshlrev_b32_e32 v1, 4, v1
	s_delay_alu instid0(VALU_DEP_1)
	v_add_nc_u32_e32 v9, 16, v1
	s_clause 0x1
	scratch_load_b128 v[1:4], v9, off offset:-16
	scratch_load_b128 v[5:8], off, s18
	s_wait_loadcnt 0x1
	scratch_store_b128 off, v[1:4], s18
	s_wait_loadcnt 0x0
	scratch_store_b128 v9, v[5:8], off offset:-16
.LBB127_418:
	global_load_b32 v0, v0, s[8:9] offset:236
	s_wait_loadcnt 0x0
	v_cmp_eq_u32_e32 vcc_lo, 60, v0
	s_cbranch_vccnz .LBB127_420
; %bb.419:
	v_lshlrev_b32_e32 v0, 4, v0
	s_delay_alu instid0(VALU_DEP_1)
	v_add_nc_u32_e32 v8, 16, v0
	s_clause 0x1
	scratch_load_b128 v[0:3], v8, off offset:-16
	scratch_load_b128 v[4:7], off, s19
	s_wait_loadcnt 0x1
	scratch_store_b128 off, v[0:3], s19
	s_wait_loadcnt 0x0
	scratch_store_b128 v8, v[4:7], off offset:-16
.LBB127_420:
	v_mov_b32_e32 v0, 0
	global_load_b32 v1, v0, s[8:9] offset:232
	s_wait_loadcnt 0x0
	v_cmp_eq_u32_e32 vcc_lo, 59, v1
	s_cbranch_vccnz .LBB127_422
; %bb.421:
	v_lshlrev_b32_e32 v1, 4, v1
	s_delay_alu instid0(VALU_DEP_1)
	v_add_nc_u32_e32 v9, 16, v1
	s_clause 0x1
	scratch_load_b128 v[1:4], v9, off offset:-16
	scratch_load_b128 v[5:8], off, s20
	s_wait_loadcnt 0x1
	scratch_store_b128 off, v[1:4], s20
	s_wait_loadcnt 0x0
	scratch_store_b128 v9, v[5:8], off offset:-16
.LBB127_422:
	;; [unrolled: 33-line block ×30, first 2 shown]
	global_load_b32 v0, v0, s[8:9] offset:4
	s_wait_loadcnt 0x0
	v_cmp_eq_u32_e32 vcc_lo, 2, v0
	s_cbranch_vccnz .LBB127_536
; %bb.535:
	v_lshlrev_b32_e32 v0, 4, v0
	s_delay_alu instid0(VALU_DEP_1)
	v_add_nc_u32_e32 v8, 16, v0
	s_clause 0x1
	scratch_load_b128 v[0:3], v8, off offset:-16
	scratch_load_b128 v[4:7], off, s17
	s_wait_loadcnt 0x1
	scratch_store_b128 off, v[0:3], s17
	s_wait_loadcnt 0x0
	scratch_store_b128 v8, v[4:7], off offset:-16
.LBB127_536:
	v_mov_b32_e32 v0, 0
	global_load_b32 v0, v0, s[8:9]
	s_wait_loadcnt 0x0
	v_cmp_eq_u32_e32 vcc_lo, 1, v0
	s_cbranch_vccnz .LBB127_538
; %bb.537:
	v_lshlrev_b32_e32 v0, 4, v0
	s_delay_alu instid0(VALU_DEP_1)
	v_add_nc_u32_e32 v8, 16, v0
	scratch_load_b128 v[0:3], v8, off offset:-16
	scratch_load_b128 v[4:7], off, off offset:16
	s_wait_loadcnt 0x1
	scratch_store_b128 off, v[0:3], off offset:16
	s_wait_loadcnt 0x0
	scratch_store_b128 v8, v[4:7], off offset:-16
.LBB127_538:
	scratch_load_b128 v[0:3], off, off offset:16
	s_wait_loadcnt 0x0
	flat_store_b128 v[46:47], v[0:3]
	scratch_load_b128 v[0:3], off, s17
	s_wait_loadcnt 0x0
	flat_store_b128 v[48:49], v[0:3]
	scratch_load_b128 v[0:3], off, s15
	;; [unrolled: 3-line block ×63, first 2 shown]
	s_wait_loadcnt 0x0
	flat_store_b128 v[172:173], v[0:3]
	s_nop 0
	s_sendmsg sendmsg(MSG_DEALLOC_VGPRS)
	s_endpgm
	.section	.rodata,"a",@progbits
	.p2align	6, 0x0
	.amdhsa_kernel _ZN9rocsolver6v33100L18getri_kernel_smallILi64E19rocblas_complex_numIdEPKPS3_EEvT1_iilPiilS8_bb
		.amdhsa_group_segment_fixed_size 2056
		.amdhsa_private_segment_fixed_size 1056
		.amdhsa_kernarg_size 60
		.amdhsa_user_sgpr_count 2
		.amdhsa_user_sgpr_dispatch_ptr 0
		.amdhsa_user_sgpr_queue_ptr 0
		.amdhsa_user_sgpr_kernarg_segment_ptr 1
		.amdhsa_user_sgpr_dispatch_id 0
		.amdhsa_user_sgpr_private_segment_size 0
		.amdhsa_wavefront_size32 1
		.amdhsa_uses_dynamic_stack 0
		.amdhsa_enable_private_segment 1
		.amdhsa_system_sgpr_workgroup_id_x 1
		.amdhsa_system_sgpr_workgroup_id_y 0
		.amdhsa_system_sgpr_workgroup_id_z 0
		.amdhsa_system_sgpr_workgroup_info 0
		.amdhsa_system_vgpr_workitem_id 0
		.amdhsa_next_free_vgpr 201
		.amdhsa_next_free_sgpr 105
		.amdhsa_reserve_vcc 1
		.amdhsa_float_round_mode_32 0
		.amdhsa_float_round_mode_16_64 0
		.amdhsa_float_denorm_mode_32 3
		.amdhsa_float_denorm_mode_16_64 3
		.amdhsa_fp16_overflow 0
		.amdhsa_workgroup_processor_mode 1
		.amdhsa_memory_ordered 1
		.amdhsa_forward_progress 1
		.amdhsa_inst_pref_size 255
		.amdhsa_round_robin_scheduling 0
		.amdhsa_exception_fp_ieee_invalid_op 0
		.amdhsa_exception_fp_denorm_src 0
		.amdhsa_exception_fp_ieee_div_zero 0
		.amdhsa_exception_fp_ieee_overflow 0
		.amdhsa_exception_fp_ieee_underflow 0
		.amdhsa_exception_fp_ieee_inexact 0
		.amdhsa_exception_int_div_zero 0
	.end_amdhsa_kernel
	.section	.text._ZN9rocsolver6v33100L18getri_kernel_smallILi64E19rocblas_complex_numIdEPKPS3_EEvT1_iilPiilS8_bb,"axG",@progbits,_ZN9rocsolver6v33100L18getri_kernel_smallILi64E19rocblas_complex_numIdEPKPS3_EEvT1_iilPiilS8_bb,comdat
.Lfunc_end127:
	.size	_ZN9rocsolver6v33100L18getri_kernel_smallILi64E19rocblas_complex_numIdEPKPS3_EEvT1_iilPiilS8_bb, .Lfunc_end127-_ZN9rocsolver6v33100L18getri_kernel_smallILi64E19rocblas_complex_numIdEPKPS3_EEvT1_iilPiilS8_bb
                                        ; -- End function
	.set _ZN9rocsolver6v33100L18getri_kernel_smallILi64E19rocblas_complex_numIdEPKPS3_EEvT1_iilPiilS8_bb.num_vgpr, 201
	.set _ZN9rocsolver6v33100L18getri_kernel_smallILi64E19rocblas_complex_numIdEPKPS3_EEvT1_iilPiilS8_bb.num_agpr, 0
	.set _ZN9rocsolver6v33100L18getri_kernel_smallILi64E19rocblas_complex_numIdEPKPS3_EEvT1_iilPiilS8_bb.numbered_sgpr, 105
	.set _ZN9rocsolver6v33100L18getri_kernel_smallILi64E19rocblas_complex_numIdEPKPS3_EEvT1_iilPiilS8_bb.num_named_barrier, 0
	.set _ZN9rocsolver6v33100L18getri_kernel_smallILi64E19rocblas_complex_numIdEPKPS3_EEvT1_iilPiilS8_bb.private_seg_size, 1056
	.set _ZN9rocsolver6v33100L18getri_kernel_smallILi64E19rocblas_complex_numIdEPKPS3_EEvT1_iilPiilS8_bb.uses_vcc, 1
	.set _ZN9rocsolver6v33100L18getri_kernel_smallILi64E19rocblas_complex_numIdEPKPS3_EEvT1_iilPiilS8_bb.uses_flat_scratch, 1
	.set _ZN9rocsolver6v33100L18getri_kernel_smallILi64E19rocblas_complex_numIdEPKPS3_EEvT1_iilPiilS8_bb.has_dyn_sized_stack, 0
	.set _ZN9rocsolver6v33100L18getri_kernel_smallILi64E19rocblas_complex_numIdEPKPS3_EEvT1_iilPiilS8_bb.has_recursion, 0
	.set _ZN9rocsolver6v33100L18getri_kernel_smallILi64E19rocblas_complex_numIdEPKPS3_EEvT1_iilPiilS8_bb.has_indirect_call, 0
	.section	.AMDGPU.csdata,"",@progbits
; Kernel info:
; codeLenInByte = 153428
; TotalNumSgprs: 107
; NumVgprs: 201
; ScratchSize: 1056
; MemoryBound: 0
; FloatMode: 240
; IeeeMode: 1
; LDSByteSize: 2056 bytes/workgroup (compile time only)
; SGPRBlocks: 0
; VGPRBlocks: 25
; NumSGPRsForWavesPerEU: 107
; NumVGPRsForWavesPerEU: 201
; Occupancy: 7
; WaveLimiterHint : 1
; COMPUTE_PGM_RSRC2:SCRATCH_EN: 1
; COMPUTE_PGM_RSRC2:USER_SGPR: 2
; COMPUTE_PGM_RSRC2:TRAP_HANDLER: 0
; COMPUTE_PGM_RSRC2:TGID_X_EN: 1
; COMPUTE_PGM_RSRC2:TGID_Y_EN: 0
; COMPUTE_PGM_RSRC2:TGID_Z_EN: 0
; COMPUTE_PGM_RSRC2:TIDIG_COMP_CNT: 0
	.section	.AMDGPU.gpr_maximums,"",@progbits
	.set amdgpu.max_num_vgpr, 0
	.set amdgpu.max_num_agpr, 0
	.set amdgpu.max_num_sgpr, 0
	.section	.AMDGPU.csdata,"",@progbits
	.type	__hip_cuid_e5c9269553b9784a,@object ; @__hip_cuid_e5c9269553b9784a
	.section	.bss,"aw",@nobits
	.globl	__hip_cuid_e5c9269553b9784a
__hip_cuid_e5c9269553b9784a:
	.byte	0                               ; 0x0
	.size	__hip_cuid_e5c9269553b9784a, 1

	.ident	"AMD clang version 22.0.0git (https://github.com/RadeonOpenCompute/llvm-project roc-7.2.4 26084 f58b06dce1f9c15707c5f808fd002e18c2accf7e)"
	.section	".note.GNU-stack","",@progbits
	.addrsig
	.addrsig_sym __hip_cuid_e5c9269553b9784a
	.amdgpu_metadata
---
amdhsa.kernels:
  - .args:
      - .address_space:  global
        .offset:         0
        .size:           8
        .value_kind:     global_buffer
      - .offset:         8
        .size:           4
        .value_kind:     by_value
      - .offset:         12
        .size:           4
        .value_kind:     by_value
      - .offset:         16
        .size:           8
        .value_kind:     by_value
      - .address_space:  global
        .offset:         24
        .size:           8
        .value_kind:     global_buffer
      - .offset:         32
        .size:           4
        .value_kind:     by_value
      - .offset:         40
        .size:           8
        .value_kind:     by_value
      - .address_space:  global
        .offset:         48
        .size:           8
        .value_kind:     global_buffer
      - .offset:         56
        .size:           1
        .value_kind:     by_value
      - .offset:         57
        .size:           1
        .value_kind:     by_value
    .group_segment_fixed_size: 4
    .kernarg_segment_align: 8
    .kernarg_segment_size: 60
    .language:       OpenCL C
    .language_version:
      - 2
      - 0
    .max_flat_workgroup_size: 64
    .name:           _ZN9rocsolver6v33100L18getri_kernel_smallILi1E19rocblas_complex_numIdEPS3_EEvT1_iilPiilS6_bb
    .private_segment_fixed_size: 0
    .sgpr_count:     16
    .sgpr_spill_count: 0
    .symbol:         _ZN9rocsolver6v33100L18getri_kernel_smallILi1E19rocblas_complex_numIdEPS3_EEvT1_iilPiilS6_bb.kd
    .uniform_work_group_size: 1
    .uses_dynamic_stack: false
    .vgpr_count:     12
    .vgpr_spill_count: 0
    .wavefront_size: 32
    .workgroup_processor_mode: 1
  - .args:
      - .address_space:  global
        .offset:         0
        .size:           8
        .value_kind:     global_buffer
      - .offset:         8
        .size:           4
        .value_kind:     by_value
      - .offset:         12
        .size:           4
        .value_kind:     by_value
      - .offset:         16
        .size:           8
        .value_kind:     by_value
      - .address_space:  global
        .offset:         24
        .size:           8
        .value_kind:     global_buffer
      - .offset:         32
        .size:           4
        .value_kind:     by_value
      - .offset:         40
        .size:           8
        .value_kind:     by_value
      - .address_space:  global
        .offset:         48
        .size:           8
        .value_kind:     global_buffer
      - .offset:         56
        .size:           1
        .value_kind:     by_value
      - .offset:         57
        .size:           1
        .value_kind:     by_value
    .group_segment_fixed_size: 1096
    .kernarg_segment_align: 8
    .kernarg_segment_size: 60
    .language:       OpenCL C
    .language_version:
      - 2
      - 0
    .max_flat_workgroup_size: 64
    .name:           _ZN9rocsolver6v33100L18getri_kernel_smallILi2E19rocblas_complex_numIdEPS3_EEvT1_iilPiilS6_bb
    .private_segment_fixed_size: 48
    .sgpr_count:     26
    .sgpr_spill_count: 0
    .symbol:         _ZN9rocsolver6v33100L18getri_kernel_smallILi2E19rocblas_complex_numIdEPS3_EEvT1_iilPiilS6_bb.kd
    .uniform_work_group_size: 1
    .uses_dynamic_stack: false
    .vgpr_count:     22
    .vgpr_spill_count: 0
    .wavefront_size: 32
    .workgroup_processor_mode: 1
  - .args:
      - .address_space:  global
        .offset:         0
        .size:           8
        .value_kind:     global_buffer
      - .offset:         8
        .size:           4
        .value_kind:     by_value
      - .offset:         12
        .size:           4
        .value_kind:     by_value
      - .offset:         16
        .size:           8
        .value_kind:     by_value
      - .address_space:  global
        .offset:         24
        .size:           8
        .value_kind:     global_buffer
      - .offset:         32
        .size:           4
        .value_kind:     by_value
      - .offset:         40
        .size:           8
        .value_kind:     by_value
      - .address_space:  global
        .offset:         48
        .size:           8
        .value_kind:     global_buffer
      - .offset:         56
        .size:           1
        .value_kind:     by_value
      - .offset:         57
        .size:           1
        .value_kind:     by_value
    .group_segment_fixed_size: 104
    .kernarg_segment_align: 8
    .kernarg_segment_size: 60
    .language:       OpenCL C
    .language_version:
      - 2
      - 0
    .max_flat_workgroup_size: 64
    .name:           _ZN9rocsolver6v33100L18getri_kernel_smallILi3E19rocblas_complex_numIdEPS3_EEvT1_iilPiilS6_bb
    .private_segment_fixed_size: 80
    .sgpr_count:     22
    .sgpr_spill_count: 0
    .symbol:         _ZN9rocsolver6v33100L18getri_kernel_smallILi3E19rocblas_complex_numIdEPS3_EEvT1_iilPiilS6_bb.kd
    .uniform_work_group_size: 1
    .uses_dynamic_stack: false
    .vgpr_count:     31
    .vgpr_spill_count: 0
    .wavefront_size: 32
    .workgroup_processor_mode: 1
  - .args:
      - .address_space:  global
        .offset:         0
        .size:           8
        .value_kind:     global_buffer
      - .offset:         8
        .size:           4
        .value_kind:     by_value
      - .offset:         12
        .size:           4
        .value_kind:     by_value
      - .offset:         16
        .size:           8
        .value_kind:     by_value
      - .address_space:  global
        .offset:         24
        .size:           8
        .value_kind:     global_buffer
      - .offset:         32
        .size:           4
        .value_kind:     by_value
      - .offset:         40
        .size:           8
        .value_kind:     by_value
      - .address_space:  global
        .offset:         48
        .size:           8
        .value_kind:     global_buffer
      - .offset:         56
        .size:           1
        .value_kind:     by_value
      - .offset:         57
        .size:           1
        .value_kind:     by_value
    .group_segment_fixed_size: 1160
    .kernarg_segment_align: 8
    .kernarg_segment_size: 60
    .language:       OpenCL C
    .language_version:
      - 2
      - 0
    .max_flat_workgroup_size: 64
    .name:           _ZN9rocsolver6v33100L18getri_kernel_smallILi4E19rocblas_complex_numIdEPS3_EEvT1_iilPiilS6_bb
    .private_segment_fixed_size: 80
    .sgpr_count:     23
    .sgpr_spill_count: 0
    .symbol:         _ZN9rocsolver6v33100L18getri_kernel_smallILi4E19rocblas_complex_numIdEPS3_EEvT1_iilPiilS6_bb.kd
    .uniform_work_group_size: 1
    .uses_dynamic_stack: false
    .vgpr_count:     40
    .vgpr_spill_count: 0
    .wavefront_size: 32
    .workgroup_processor_mode: 1
  - .args:
      - .address_space:  global
        .offset:         0
        .size:           8
        .value_kind:     global_buffer
      - .offset:         8
        .size:           4
        .value_kind:     by_value
      - .offset:         12
        .size:           4
        .value_kind:     by_value
      - .offset:         16
        .size:           8
        .value_kind:     by_value
      - .address_space:  global
        .offset:         24
        .size:           8
        .value_kind:     global_buffer
      - .offset:         32
        .size:           4
        .value_kind:     by_value
      - .offset:         40
        .size:           8
        .value_kind:     by_value
      - .address_space:  global
        .offset:         48
        .size:           8
        .value_kind:     global_buffer
      - .offset:         56
        .size:           1
        .value_kind:     by_value
      - .offset:         57
        .size:           1
        .value_kind:     by_value
    .group_segment_fixed_size: 1192
    .kernarg_segment_align: 8
    .kernarg_segment_size: 60
    .language:       OpenCL C
    .language_version:
      - 2
      - 0
    .max_flat_workgroup_size: 64
    .name:           _ZN9rocsolver6v33100L18getri_kernel_smallILi5E19rocblas_complex_numIdEPS3_EEvT1_iilPiilS6_bb
    .private_segment_fixed_size: 96
    .sgpr_count:     23
    .sgpr_spill_count: 0
    .symbol:         _ZN9rocsolver6v33100L18getri_kernel_smallILi5E19rocblas_complex_numIdEPS3_EEvT1_iilPiilS6_bb.kd
    .uniform_work_group_size: 1
    .uses_dynamic_stack: false
    .vgpr_count:     50
    .vgpr_spill_count: 0
    .wavefront_size: 32
    .workgroup_processor_mode: 1
  - .args:
      - .address_space:  global
        .offset:         0
        .size:           8
        .value_kind:     global_buffer
      - .offset:         8
        .size:           4
        .value_kind:     by_value
      - .offset:         12
        .size:           4
        .value_kind:     by_value
      - .offset:         16
        .size:           8
        .value_kind:     by_value
      - .address_space:  global
        .offset:         24
        .size:           8
        .value_kind:     global_buffer
      - .offset:         32
        .size:           4
        .value_kind:     by_value
      - .offset:         40
        .size:           8
        .value_kind:     by_value
      - .address_space:  global
        .offset:         48
        .size:           8
        .value_kind:     global_buffer
      - .offset:         56
        .size:           1
        .value_kind:     by_value
      - .offset:         57
        .size:           1
        .value_kind:     by_value
    .group_segment_fixed_size: 1224
    .kernarg_segment_align: 8
    .kernarg_segment_size: 60
    .language:       OpenCL C
    .language_version:
      - 2
      - 0
    .max_flat_workgroup_size: 64
    .name:           _ZN9rocsolver6v33100L18getri_kernel_smallILi6E19rocblas_complex_numIdEPS3_EEvT1_iilPiilS6_bb
    .private_segment_fixed_size: 112
    .sgpr_count:     23
    .sgpr_spill_count: 0
    .symbol:         _ZN9rocsolver6v33100L18getri_kernel_smallILi6E19rocblas_complex_numIdEPS3_EEvT1_iilPiilS6_bb.kd
    .uniform_work_group_size: 1
    .uses_dynamic_stack: false
    .vgpr_count:     56
    .vgpr_spill_count: 0
    .wavefront_size: 32
    .workgroup_processor_mode: 1
  - .args:
      - .address_space:  global
        .offset:         0
        .size:           8
        .value_kind:     global_buffer
      - .offset:         8
        .size:           4
        .value_kind:     by_value
      - .offset:         12
        .size:           4
        .value_kind:     by_value
      - .offset:         16
        .size:           8
        .value_kind:     by_value
      - .address_space:  global
        .offset:         24
        .size:           8
        .value_kind:     global_buffer
      - .offset:         32
        .size:           4
        .value_kind:     by_value
      - .offset:         40
        .size:           8
        .value_kind:     by_value
      - .address_space:  global
        .offset:         48
        .size:           8
        .value_kind:     global_buffer
      - .offset:         56
        .size:           1
        .value_kind:     by_value
      - .offset:         57
        .size:           1
        .value_kind:     by_value
    .group_segment_fixed_size: 1256
    .kernarg_segment_align: 8
    .kernarg_segment_size: 60
    .language:       OpenCL C
    .language_version:
      - 2
      - 0
    .max_flat_workgroup_size: 64
    .name:           _ZN9rocsolver6v33100L18getri_kernel_smallILi7E19rocblas_complex_numIdEPS3_EEvT1_iilPiilS6_bb
    .private_segment_fixed_size: 128
    .sgpr_count:     23
    .sgpr_spill_count: 0
    .symbol:         _ZN9rocsolver6v33100L18getri_kernel_smallILi7E19rocblas_complex_numIdEPS3_EEvT1_iilPiilS6_bb.kd
    .uniform_work_group_size: 1
    .uses_dynamic_stack: false
    .vgpr_count:     62
    .vgpr_spill_count: 0
    .wavefront_size: 32
    .workgroup_processor_mode: 1
  - .args:
      - .address_space:  global
        .offset:         0
        .size:           8
        .value_kind:     global_buffer
      - .offset:         8
        .size:           4
        .value_kind:     by_value
      - .offset:         12
        .size:           4
        .value_kind:     by_value
      - .offset:         16
        .size:           8
        .value_kind:     by_value
      - .address_space:  global
        .offset:         24
        .size:           8
        .value_kind:     global_buffer
      - .offset:         32
        .size:           4
        .value_kind:     by_value
      - .offset:         40
        .size:           8
        .value_kind:     by_value
      - .address_space:  global
        .offset:         48
        .size:           8
        .value_kind:     global_buffer
      - .offset:         56
        .size:           1
        .value_kind:     by_value
      - .offset:         57
        .size:           1
        .value_kind:     by_value
    .group_segment_fixed_size: 1288
    .kernarg_segment_align: 8
    .kernarg_segment_size: 60
    .language:       OpenCL C
    .language_version:
      - 2
      - 0
    .max_flat_workgroup_size: 64
    .name:           _ZN9rocsolver6v33100L18getri_kernel_smallILi8E19rocblas_complex_numIdEPS3_EEvT1_iilPiilS6_bb
    .private_segment_fixed_size: 144
    .sgpr_count:     23
    .sgpr_spill_count: 0
    .symbol:         _ZN9rocsolver6v33100L18getri_kernel_smallILi8E19rocblas_complex_numIdEPS3_EEvT1_iilPiilS6_bb.kd
    .uniform_work_group_size: 1
    .uses_dynamic_stack: false
    .vgpr_count:     68
    .vgpr_spill_count: 0
    .wavefront_size: 32
    .workgroup_processor_mode: 1
  - .args:
      - .address_space:  global
        .offset:         0
        .size:           8
        .value_kind:     global_buffer
      - .offset:         8
        .size:           4
        .value_kind:     by_value
      - .offset:         12
        .size:           4
        .value_kind:     by_value
      - .offset:         16
        .size:           8
        .value_kind:     by_value
      - .address_space:  global
        .offset:         24
        .size:           8
        .value_kind:     global_buffer
      - .offset:         32
        .size:           4
        .value_kind:     by_value
      - .offset:         40
        .size:           8
        .value_kind:     by_value
      - .address_space:  global
        .offset:         48
        .size:           8
        .value_kind:     global_buffer
      - .offset:         56
        .size:           1
        .value_kind:     by_value
      - .offset:         57
        .size:           1
        .value_kind:     by_value
    .group_segment_fixed_size: 1320
    .kernarg_segment_align: 8
    .kernarg_segment_size: 60
    .language:       OpenCL C
    .language_version:
      - 2
      - 0
    .max_flat_workgroup_size: 64
    .name:           _ZN9rocsolver6v33100L18getri_kernel_smallILi9E19rocblas_complex_numIdEPS3_EEvT1_iilPiilS6_bb
    .private_segment_fixed_size: 160
    .sgpr_count:     24
    .sgpr_spill_count: 0
    .symbol:         _ZN9rocsolver6v33100L18getri_kernel_smallILi9E19rocblas_complex_numIdEPS3_EEvT1_iilPiilS6_bb.kd
    .uniform_work_group_size: 1
    .uses_dynamic_stack: false
    .vgpr_count:     74
    .vgpr_spill_count: 0
    .wavefront_size: 32
    .workgroup_processor_mode: 1
  - .args:
      - .address_space:  global
        .offset:         0
        .size:           8
        .value_kind:     global_buffer
      - .offset:         8
        .size:           4
        .value_kind:     by_value
      - .offset:         12
        .size:           4
        .value_kind:     by_value
      - .offset:         16
        .size:           8
        .value_kind:     by_value
      - .address_space:  global
        .offset:         24
        .size:           8
        .value_kind:     global_buffer
      - .offset:         32
        .size:           4
        .value_kind:     by_value
      - .offset:         40
        .size:           8
        .value_kind:     by_value
      - .address_space:  global
        .offset:         48
        .size:           8
        .value_kind:     global_buffer
      - .offset:         56
        .size:           1
        .value_kind:     by_value
      - .offset:         57
        .size:           1
        .value_kind:     by_value
    .group_segment_fixed_size: 1352
    .kernarg_segment_align: 8
    .kernarg_segment_size: 60
    .language:       OpenCL C
    .language_version:
      - 2
      - 0
    .max_flat_workgroup_size: 64
    .name:           _ZN9rocsolver6v33100L18getri_kernel_smallILi10E19rocblas_complex_numIdEPS3_EEvT1_iilPiilS6_bb
    .private_segment_fixed_size: 176
    .sgpr_count:     26
    .sgpr_spill_count: 0
    .symbol:         _ZN9rocsolver6v33100L18getri_kernel_smallILi10E19rocblas_complex_numIdEPS3_EEvT1_iilPiilS6_bb.kd
    .uniform_work_group_size: 1
    .uses_dynamic_stack: false
    .vgpr_count:     80
    .vgpr_spill_count: 0
    .wavefront_size: 32
    .workgroup_processor_mode: 1
  - .args:
      - .address_space:  global
        .offset:         0
        .size:           8
        .value_kind:     global_buffer
      - .offset:         8
        .size:           4
        .value_kind:     by_value
      - .offset:         12
        .size:           4
        .value_kind:     by_value
      - .offset:         16
        .size:           8
        .value_kind:     by_value
      - .address_space:  global
        .offset:         24
        .size:           8
        .value_kind:     global_buffer
      - .offset:         32
        .size:           4
        .value_kind:     by_value
      - .offset:         40
        .size:           8
        .value_kind:     by_value
      - .address_space:  global
        .offset:         48
        .size:           8
        .value_kind:     global_buffer
      - .offset:         56
        .size:           1
        .value_kind:     by_value
      - .offset:         57
        .size:           1
        .value_kind:     by_value
    .group_segment_fixed_size: 1384
    .kernarg_segment_align: 8
    .kernarg_segment_size: 60
    .language:       OpenCL C
    .language_version:
      - 2
      - 0
    .max_flat_workgroup_size: 64
    .name:           _ZN9rocsolver6v33100L18getri_kernel_smallILi11E19rocblas_complex_numIdEPS3_EEvT1_iilPiilS6_bb
    .private_segment_fixed_size: 192
    .sgpr_count:     26
    .sgpr_spill_count: 0
    .symbol:         _ZN9rocsolver6v33100L18getri_kernel_smallILi11E19rocblas_complex_numIdEPS3_EEvT1_iilPiilS6_bb.kd
    .uniform_work_group_size: 1
    .uses_dynamic_stack: false
    .vgpr_count:     86
    .vgpr_spill_count: 0
    .wavefront_size: 32
    .workgroup_processor_mode: 1
  - .args:
      - .address_space:  global
        .offset:         0
        .size:           8
        .value_kind:     global_buffer
      - .offset:         8
        .size:           4
        .value_kind:     by_value
      - .offset:         12
        .size:           4
        .value_kind:     by_value
      - .offset:         16
        .size:           8
        .value_kind:     by_value
      - .address_space:  global
        .offset:         24
        .size:           8
        .value_kind:     global_buffer
      - .offset:         32
        .size:           4
        .value_kind:     by_value
      - .offset:         40
        .size:           8
        .value_kind:     by_value
      - .address_space:  global
        .offset:         48
        .size:           8
        .value_kind:     global_buffer
      - .offset:         56
        .size:           1
        .value_kind:     by_value
      - .offset:         57
        .size:           1
        .value_kind:     by_value
    .group_segment_fixed_size: 1416
    .kernarg_segment_align: 8
    .kernarg_segment_size: 60
    .language:       OpenCL C
    .language_version:
      - 2
      - 0
    .max_flat_workgroup_size: 64
    .name:           _ZN9rocsolver6v33100L18getri_kernel_smallILi12E19rocblas_complex_numIdEPS3_EEvT1_iilPiilS6_bb
    .private_segment_fixed_size: 208
    .sgpr_count:     27
    .sgpr_spill_count: 0
    .symbol:         _ZN9rocsolver6v33100L18getri_kernel_smallILi12E19rocblas_complex_numIdEPS3_EEvT1_iilPiilS6_bb.kd
    .uniform_work_group_size: 1
    .uses_dynamic_stack: false
    .vgpr_count:     92
    .vgpr_spill_count: 0
    .wavefront_size: 32
    .workgroup_processor_mode: 1
  - .args:
      - .address_space:  global
        .offset:         0
        .size:           8
        .value_kind:     global_buffer
      - .offset:         8
        .size:           4
        .value_kind:     by_value
      - .offset:         12
        .size:           4
        .value_kind:     by_value
      - .offset:         16
        .size:           8
        .value_kind:     by_value
      - .address_space:  global
        .offset:         24
        .size:           8
        .value_kind:     global_buffer
      - .offset:         32
        .size:           4
        .value_kind:     by_value
      - .offset:         40
        .size:           8
        .value_kind:     by_value
      - .address_space:  global
        .offset:         48
        .size:           8
        .value_kind:     global_buffer
      - .offset:         56
        .size:           1
        .value_kind:     by_value
      - .offset:         57
        .size:           1
        .value_kind:     by_value
    .group_segment_fixed_size: 1448
    .kernarg_segment_align: 8
    .kernarg_segment_size: 60
    .language:       OpenCL C
    .language_version:
      - 2
      - 0
    .max_flat_workgroup_size: 64
    .name:           _ZN9rocsolver6v33100L18getri_kernel_smallILi13E19rocblas_complex_numIdEPS3_EEvT1_iilPiilS6_bb
    .private_segment_fixed_size: 224
    .sgpr_count:     28
    .sgpr_spill_count: 0
    .symbol:         _ZN9rocsolver6v33100L18getri_kernel_smallILi13E19rocblas_complex_numIdEPS3_EEvT1_iilPiilS6_bb.kd
    .uniform_work_group_size: 1
    .uses_dynamic_stack: false
    .vgpr_count:     96
    .vgpr_spill_count: 0
    .wavefront_size: 32
    .workgroup_processor_mode: 1
  - .args:
      - .address_space:  global
        .offset:         0
        .size:           8
        .value_kind:     global_buffer
      - .offset:         8
        .size:           4
        .value_kind:     by_value
      - .offset:         12
        .size:           4
        .value_kind:     by_value
      - .offset:         16
        .size:           8
        .value_kind:     by_value
      - .address_space:  global
        .offset:         24
        .size:           8
        .value_kind:     global_buffer
      - .offset:         32
        .size:           4
        .value_kind:     by_value
      - .offset:         40
        .size:           8
        .value_kind:     by_value
      - .address_space:  global
        .offset:         48
        .size:           8
        .value_kind:     global_buffer
      - .offset:         56
        .size:           1
        .value_kind:     by_value
      - .offset:         57
        .size:           1
        .value_kind:     by_value
    .group_segment_fixed_size: 1480
    .kernarg_segment_align: 8
    .kernarg_segment_size: 60
    .language:       OpenCL C
    .language_version:
      - 2
      - 0
    .max_flat_workgroup_size: 64
    .name:           _ZN9rocsolver6v33100L18getri_kernel_smallILi14E19rocblas_complex_numIdEPS3_EEvT1_iilPiilS6_bb
    .private_segment_fixed_size: 240
    .sgpr_count:     29
    .sgpr_spill_count: 0
    .symbol:         _ZN9rocsolver6v33100L18getri_kernel_smallILi14E19rocblas_complex_numIdEPS3_EEvT1_iilPiilS6_bb.kd
    .uniform_work_group_size: 1
    .uses_dynamic_stack: false
    .vgpr_count:     100
    .vgpr_spill_count: 0
    .wavefront_size: 32
    .workgroup_processor_mode: 1
  - .args:
      - .address_space:  global
        .offset:         0
        .size:           8
        .value_kind:     global_buffer
      - .offset:         8
        .size:           4
        .value_kind:     by_value
      - .offset:         12
        .size:           4
        .value_kind:     by_value
      - .offset:         16
        .size:           8
        .value_kind:     by_value
      - .address_space:  global
        .offset:         24
        .size:           8
        .value_kind:     global_buffer
      - .offset:         32
        .size:           4
        .value_kind:     by_value
      - .offset:         40
        .size:           8
        .value_kind:     by_value
      - .address_space:  global
        .offset:         48
        .size:           8
        .value_kind:     global_buffer
      - .offset:         56
        .size:           1
        .value_kind:     by_value
      - .offset:         57
        .size:           1
        .value_kind:     by_value
    .group_segment_fixed_size: 1512
    .kernarg_segment_align: 8
    .kernarg_segment_size: 60
    .language:       OpenCL C
    .language_version:
      - 2
      - 0
    .max_flat_workgroup_size: 64
    .name:           _ZN9rocsolver6v33100L18getri_kernel_smallILi15E19rocblas_complex_numIdEPS3_EEvT1_iilPiilS6_bb
    .private_segment_fixed_size: 256
    .sgpr_count:     30
    .sgpr_spill_count: 0
    .symbol:         _ZN9rocsolver6v33100L18getri_kernel_smallILi15E19rocblas_complex_numIdEPS3_EEvT1_iilPiilS6_bb.kd
    .uniform_work_group_size: 1
    .uses_dynamic_stack: false
    .vgpr_count:     104
    .vgpr_spill_count: 0
    .wavefront_size: 32
    .workgroup_processor_mode: 1
  - .args:
      - .address_space:  global
        .offset:         0
        .size:           8
        .value_kind:     global_buffer
      - .offset:         8
        .size:           4
        .value_kind:     by_value
      - .offset:         12
        .size:           4
        .value_kind:     by_value
      - .offset:         16
        .size:           8
        .value_kind:     by_value
      - .address_space:  global
        .offset:         24
        .size:           8
        .value_kind:     global_buffer
      - .offset:         32
        .size:           4
        .value_kind:     by_value
      - .offset:         40
        .size:           8
        .value_kind:     by_value
      - .address_space:  global
        .offset:         48
        .size:           8
        .value_kind:     global_buffer
      - .offset:         56
        .size:           1
        .value_kind:     by_value
      - .offset:         57
        .size:           1
        .value_kind:     by_value
    .group_segment_fixed_size: 1544
    .kernarg_segment_align: 8
    .kernarg_segment_size: 60
    .language:       OpenCL C
    .language_version:
      - 2
      - 0
    .max_flat_workgroup_size: 64
    .name:           _ZN9rocsolver6v33100L18getri_kernel_smallILi16E19rocblas_complex_numIdEPS3_EEvT1_iilPiilS6_bb
    .private_segment_fixed_size: 272
    .sgpr_count:     31
    .sgpr_spill_count: 0
    .symbol:         _ZN9rocsolver6v33100L18getri_kernel_smallILi16E19rocblas_complex_numIdEPS3_EEvT1_iilPiilS6_bb.kd
    .uniform_work_group_size: 1
    .uses_dynamic_stack: false
    .vgpr_count:     106
    .vgpr_spill_count: 0
    .wavefront_size: 32
    .workgroup_processor_mode: 1
  - .args:
      - .address_space:  global
        .offset:         0
        .size:           8
        .value_kind:     global_buffer
      - .offset:         8
        .size:           4
        .value_kind:     by_value
      - .offset:         12
        .size:           4
        .value_kind:     by_value
      - .offset:         16
        .size:           8
        .value_kind:     by_value
      - .address_space:  global
        .offset:         24
        .size:           8
        .value_kind:     global_buffer
      - .offset:         32
        .size:           4
        .value_kind:     by_value
      - .offset:         40
        .size:           8
        .value_kind:     by_value
      - .address_space:  global
        .offset:         48
        .size:           8
        .value_kind:     global_buffer
      - .offset:         56
        .size:           1
        .value_kind:     by_value
      - .offset:         57
        .size:           1
        .value_kind:     by_value
    .group_segment_fixed_size: 552
    .kernarg_segment_align: 8
    .kernarg_segment_size: 60
    .language:       OpenCL C
    .language_version:
      - 2
      - 0
    .max_flat_workgroup_size: 64
    .name:           _ZN9rocsolver6v33100L18getri_kernel_smallILi17E19rocblas_complex_numIdEPS3_EEvT1_iilPiilS6_bb
    .private_segment_fixed_size: 304
    .sgpr_count:     30
    .sgpr_spill_count: 0
    .symbol:         _ZN9rocsolver6v33100L18getri_kernel_smallILi17E19rocblas_complex_numIdEPS3_EEvT1_iilPiilS6_bb.kd
    .uniform_work_group_size: 1
    .uses_dynamic_stack: false
    .vgpr_count:     107
    .vgpr_spill_count: 0
    .wavefront_size: 32
    .workgroup_processor_mode: 1
  - .args:
      - .address_space:  global
        .offset:         0
        .size:           8
        .value_kind:     global_buffer
      - .offset:         8
        .size:           4
        .value_kind:     by_value
      - .offset:         12
        .size:           4
        .value_kind:     by_value
      - .offset:         16
        .size:           8
        .value_kind:     by_value
      - .address_space:  global
        .offset:         24
        .size:           8
        .value_kind:     global_buffer
      - .offset:         32
        .size:           4
        .value_kind:     by_value
      - .offset:         40
        .size:           8
        .value_kind:     by_value
      - .address_space:  global
        .offset:         48
        .size:           8
        .value_kind:     global_buffer
      - .offset:         56
        .size:           1
        .value_kind:     by_value
      - .offset:         57
        .size:           1
        .value_kind:     by_value
    .group_segment_fixed_size: 584
    .kernarg_segment_align: 8
    .kernarg_segment_size: 60
    .language:       OpenCL C
    .language_version:
      - 2
      - 0
    .max_flat_workgroup_size: 64
    .name:           _ZN9rocsolver6v33100L18getri_kernel_smallILi18E19rocblas_complex_numIdEPS3_EEvT1_iilPiilS6_bb
    .private_segment_fixed_size: 320
    .sgpr_count:     31
    .sgpr_spill_count: 0
    .symbol:         _ZN9rocsolver6v33100L18getri_kernel_smallILi18E19rocblas_complex_numIdEPS3_EEvT1_iilPiilS6_bb.kd
    .uniform_work_group_size: 1
    .uses_dynamic_stack: false
    .vgpr_count:     110
    .vgpr_spill_count: 0
    .wavefront_size: 32
    .workgroup_processor_mode: 1
  - .args:
      - .address_space:  global
        .offset:         0
        .size:           8
        .value_kind:     global_buffer
      - .offset:         8
        .size:           4
        .value_kind:     by_value
      - .offset:         12
        .size:           4
        .value_kind:     by_value
      - .offset:         16
        .size:           8
        .value_kind:     by_value
      - .address_space:  global
        .offset:         24
        .size:           8
        .value_kind:     global_buffer
      - .offset:         32
        .size:           4
        .value_kind:     by_value
      - .offset:         40
        .size:           8
        .value_kind:     by_value
      - .address_space:  global
        .offset:         48
        .size:           8
        .value_kind:     global_buffer
      - .offset:         56
        .size:           1
        .value_kind:     by_value
      - .offset:         57
        .size:           1
        .value_kind:     by_value
    .group_segment_fixed_size: 616
    .kernarg_segment_align: 8
    .kernarg_segment_size: 60
    .language:       OpenCL C
    .language_version:
      - 2
      - 0
    .max_flat_workgroup_size: 64
    .name:           _ZN9rocsolver6v33100L18getri_kernel_smallILi19E19rocblas_complex_numIdEPS3_EEvT1_iilPiilS6_bb
    .private_segment_fixed_size: 336
    .sgpr_count:     32
    .sgpr_spill_count: 0
    .symbol:         _ZN9rocsolver6v33100L18getri_kernel_smallILi19E19rocblas_complex_numIdEPS3_EEvT1_iilPiilS6_bb.kd
    .uniform_work_group_size: 1
    .uses_dynamic_stack: false
    .vgpr_count:     116
    .vgpr_spill_count: 0
    .wavefront_size: 32
    .workgroup_processor_mode: 1
  - .args:
      - .address_space:  global
        .offset:         0
        .size:           8
        .value_kind:     global_buffer
      - .offset:         8
        .size:           4
        .value_kind:     by_value
      - .offset:         12
        .size:           4
        .value_kind:     by_value
      - .offset:         16
        .size:           8
        .value_kind:     by_value
      - .address_space:  global
        .offset:         24
        .size:           8
        .value_kind:     global_buffer
      - .offset:         32
        .size:           4
        .value_kind:     by_value
      - .offset:         40
        .size:           8
        .value_kind:     by_value
      - .address_space:  global
        .offset:         48
        .size:           8
        .value_kind:     global_buffer
      - .offset:         56
        .size:           1
        .value_kind:     by_value
      - .offset:         57
        .size:           1
        .value_kind:     by_value
    .group_segment_fixed_size: 648
    .kernarg_segment_align: 8
    .kernarg_segment_size: 60
    .language:       OpenCL C
    .language_version:
      - 2
      - 0
    .max_flat_workgroup_size: 64
    .name:           _ZN9rocsolver6v33100L18getri_kernel_smallILi20E19rocblas_complex_numIdEPS3_EEvT1_iilPiilS6_bb
    .private_segment_fixed_size: 352
    .sgpr_count:     33
    .sgpr_spill_count: 0
    .symbol:         _ZN9rocsolver6v33100L18getri_kernel_smallILi20E19rocblas_complex_numIdEPS3_EEvT1_iilPiilS6_bb.kd
    .uniform_work_group_size: 1
    .uses_dynamic_stack: false
    .vgpr_count:     117
    .vgpr_spill_count: 0
    .wavefront_size: 32
    .workgroup_processor_mode: 1
  - .args:
      - .address_space:  global
        .offset:         0
        .size:           8
        .value_kind:     global_buffer
      - .offset:         8
        .size:           4
        .value_kind:     by_value
      - .offset:         12
        .size:           4
        .value_kind:     by_value
      - .offset:         16
        .size:           8
        .value_kind:     by_value
      - .address_space:  global
        .offset:         24
        .size:           8
        .value_kind:     global_buffer
      - .offset:         32
        .size:           4
        .value_kind:     by_value
      - .offset:         40
        .size:           8
        .value_kind:     by_value
      - .address_space:  global
        .offset:         48
        .size:           8
        .value_kind:     global_buffer
      - .offset:         56
        .size:           1
        .value_kind:     by_value
      - .offset:         57
        .size:           1
        .value_kind:     by_value
    .group_segment_fixed_size: 680
    .kernarg_segment_align: 8
    .kernarg_segment_size: 60
    .language:       OpenCL C
    .language_version:
      - 2
      - 0
    .max_flat_workgroup_size: 64
    .name:           _ZN9rocsolver6v33100L18getri_kernel_smallILi21E19rocblas_complex_numIdEPS3_EEvT1_iilPiilS6_bb
    .private_segment_fixed_size: 368
    .sgpr_count:     34
    .sgpr_spill_count: 0
    .symbol:         _ZN9rocsolver6v33100L18getri_kernel_smallILi21E19rocblas_complex_numIdEPS3_EEvT1_iilPiilS6_bb.kd
    .uniform_work_group_size: 1
    .uses_dynamic_stack: false
    .vgpr_count:     116
    .vgpr_spill_count: 0
    .wavefront_size: 32
    .workgroup_processor_mode: 1
  - .args:
      - .address_space:  global
        .offset:         0
        .size:           8
        .value_kind:     global_buffer
      - .offset:         8
        .size:           4
        .value_kind:     by_value
      - .offset:         12
        .size:           4
        .value_kind:     by_value
      - .offset:         16
        .size:           8
        .value_kind:     by_value
      - .address_space:  global
        .offset:         24
        .size:           8
        .value_kind:     global_buffer
      - .offset:         32
        .size:           4
        .value_kind:     by_value
      - .offset:         40
        .size:           8
        .value_kind:     by_value
      - .address_space:  global
        .offset:         48
        .size:           8
        .value_kind:     global_buffer
      - .offset:         56
        .size:           1
        .value_kind:     by_value
      - .offset:         57
        .size:           1
        .value_kind:     by_value
    .group_segment_fixed_size: 712
    .kernarg_segment_align: 8
    .kernarg_segment_size: 60
    .language:       OpenCL C
    .language_version:
      - 2
      - 0
    .max_flat_workgroup_size: 64
    .name:           _ZN9rocsolver6v33100L18getri_kernel_smallILi22E19rocblas_complex_numIdEPS3_EEvT1_iilPiilS6_bb
    .private_segment_fixed_size: 384
    .sgpr_count:     36
    .sgpr_spill_count: 0
    .symbol:         _ZN9rocsolver6v33100L18getri_kernel_smallILi22E19rocblas_complex_numIdEPS3_EEvT1_iilPiilS6_bb.kd
    .uniform_work_group_size: 1
    .uses_dynamic_stack: false
    .vgpr_count:     117
    .vgpr_spill_count: 0
    .wavefront_size: 32
    .workgroup_processor_mode: 1
  - .args:
      - .address_space:  global
        .offset:         0
        .size:           8
        .value_kind:     global_buffer
      - .offset:         8
        .size:           4
        .value_kind:     by_value
      - .offset:         12
        .size:           4
        .value_kind:     by_value
      - .offset:         16
        .size:           8
        .value_kind:     by_value
      - .address_space:  global
        .offset:         24
        .size:           8
        .value_kind:     global_buffer
      - .offset:         32
        .size:           4
        .value_kind:     by_value
      - .offset:         40
        .size:           8
        .value_kind:     by_value
      - .address_space:  global
        .offset:         48
        .size:           8
        .value_kind:     global_buffer
      - .offset:         56
        .size:           1
        .value_kind:     by_value
      - .offset:         57
        .size:           1
        .value_kind:     by_value
    .group_segment_fixed_size: 744
    .kernarg_segment_align: 8
    .kernarg_segment_size: 60
    .language:       OpenCL C
    .language_version:
      - 2
      - 0
    .max_flat_workgroup_size: 64
    .name:           _ZN9rocsolver6v33100L18getri_kernel_smallILi23E19rocblas_complex_numIdEPS3_EEvT1_iilPiilS6_bb
    .private_segment_fixed_size: 400
    .sgpr_count:     38
    .sgpr_spill_count: 0
    .symbol:         _ZN9rocsolver6v33100L18getri_kernel_smallILi23E19rocblas_complex_numIdEPS3_EEvT1_iilPiilS6_bb.kd
    .uniform_work_group_size: 1
    .uses_dynamic_stack: false
    .vgpr_count:     119
    .vgpr_spill_count: 0
    .wavefront_size: 32
    .workgroup_processor_mode: 1
  - .args:
      - .address_space:  global
        .offset:         0
        .size:           8
        .value_kind:     global_buffer
      - .offset:         8
        .size:           4
        .value_kind:     by_value
      - .offset:         12
        .size:           4
        .value_kind:     by_value
      - .offset:         16
        .size:           8
        .value_kind:     by_value
      - .address_space:  global
        .offset:         24
        .size:           8
        .value_kind:     global_buffer
      - .offset:         32
        .size:           4
        .value_kind:     by_value
      - .offset:         40
        .size:           8
        .value_kind:     by_value
      - .address_space:  global
        .offset:         48
        .size:           8
        .value_kind:     global_buffer
      - .offset:         56
        .size:           1
        .value_kind:     by_value
      - .offset:         57
        .size:           1
        .value_kind:     by_value
    .group_segment_fixed_size: 776
    .kernarg_segment_align: 8
    .kernarg_segment_size: 60
    .language:       OpenCL C
    .language_version:
      - 2
      - 0
    .max_flat_workgroup_size: 64
    .name:           _ZN9rocsolver6v33100L18getri_kernel_smallILi24E19rocblas_complex_numIdEPS3_EEvT1_iilPiilS6_bb
    .private_segment_fixed_size: 416
    .sgpr_count:     38
    .sgpr_spill_count: 0
    .symbol:         _ZN9rocsolver6v33100L18getri_kernel_smallILi24E19rocblas_complex_numIdEPS3_EEvT1_iilPiilS6_bb.kd
    .uniform_work_group_size: 1
    .uses_dynamic_stack: false
    .vgpr_count:     119
    .vgpr_spill_count: 0
    .wavefront_size: 32
    .workgroup_processor_mode: 1
  - .args:
      - .address_space:  global
        .offset:         0
        .size:           8
        .value_kind:     global_buffer
      - .offset:         8
        .size:           4
        .value_kind:     by_value
      - .offset:         12
        .size:           4
        .value_kind:     by_value
      - .offset:         16
        .size:           8
        .value_kind:     by_value
      - .address_space:  global
        .offset:         24
        .size:           8
        .value_kind:     global_buffer
      - .offset:         32
        .size:           4
        .value_kind:     by_value
      - .offset:         40
        .size:           8
        .value_kind:     by_value
      - .address_space:  global
        .offset:         48
        .size:           8
        .value_kind:     global_buffer
      - .offset:         56
        .size:           1
        .value_kind:     by_value
      - .offset:         57
        .size:           1
        .value_kind:     by_value
    .group_segment_fixed_size: 808
    .kernarg_segment_align: 8
    .kernarg_segment_size: 60
    .language:       OpenCL C
    .language_version:
      - 2
      - 0
    .max_flat_workgroup_size: 64
    .name:           _ZN9rocsolver6v33100L18getri_kernel_smallILi25E19rocblas_complex_numIdEPS3_EEvT1_iilPiilS6_bb
    .private_segment_fixed_size: 432
    .sgpr_count:     39
    .sgpr_spill_count: 0
    .symbol:         _ZN9rocsolver6v33100L18getri_kernel_smallILi25E19rocblas_complex_numIdEPS3_EEvT1_iilPiilS6_bb.kd
    .uniform_work_group_size: 1
    .uses_dynamic_stack: false
    .vgpr_count:     121
    .vgpr_spill_count: 0
    .wavefront_size: 32
    .workgroup_processor_mode: 1
  - .args:
      - .address_space:  global
        .offset:         0
        .size:           8
        .value_kind:     global_buffer
      - .offset:         8
        .size:           4
        .value_kind:     by_value
      - .offset:         12
        .size:           4
        .value_kind:     by_value
      - .offset:         16
        .size:           8
        .value_kind:     by_value
      - .address_space:  global
        .offset:         24
        .size:           8
        .value_kind:     global_buffer
      - .offset:         32
        .size:           4
        .value_kind:     by_value
      - .offset:         40
        .size:           8
        .value_kind:     by_value
      - .address_space:  global
        .offset:         48
        .size:           8
        .value_kind:     global_buffer
      - .offset:         56
        .size:           1
        .value_kind:     by_value
      - .offset:         57
        .size:           1
        .value_kind:     by_value
    .group_segment_fixed_size: 840
    .kernarg_segment_align: 8
    .kernarg_segment_size: 60
    .language:       OpenCL C
    .language_version:
      - 2
      - 0
    .max_flat_workgroup_size: 64
    .name:           _ZN9rocsolver6v33100L18getri_kernel_smallILi26E19rocblas_complex_numIdEPS3_EEvT1_iilPiilS6_bb
    .private_segment_fixed_size: 448
    .sgpr_count:     40
    .sgpr_spill_count: 0
    .symbol:         _ZN9rocsolver6v33100L18getri_kernel_smallILi26E19rocblas_complex_numIdEPS3_EEvT1_iilPiilS6_bb.kd
    .uniform_work_group_size: 1
    .uses_dynamic_stack: false
    .vgpr_count:     124
    .vgpr_spill_count: 0
    .wavefront_size: 32
    .workgroup_processor_mode: 1
  - .args:
      - .address_space:  global
        .offset:         0
        .size:           8
        .value_kind:     global_buffer
      - .offset:         8
        .size:           4
        .value_kind:     by_value
      - .offset:         12
        .size:           4
        .value_kind:     by_value
      - .offset:         16
        .size:           8
        .value_kind:     by_value
      - .address_space:  global
        .offset:         24
        .size:           8
        .value_kind:     global_buffer
      - .offset:         32
        .size:           4
        .value_kind:     by_value
      - .offset:         40
        .size:           8
        .value_kind:     by_value
      - .address_space:  global
        .offset:         48
        .size:           8
        .value_kind:     global_buffer
      - .offset:         56
        .size:           1
        .value_kind:     by_value
      - .offset:         57
        .size:           1
        .value_kind:     by_value
    .group_segment_fixed_size: 872
    .kernarg_segment_align: 8
    .kernarg_segment_size: 60
    .language:       OpenCL C
    .language_version:
      - 2
      - 0
    .max_flat_workgroup_size: 64
    .name:           _ZN9rocsolver6v33100L18getri_kernel_smallILi27E19rocblas_complex_numIdEPS3_EEvT1_iilPiilS6_bb
    .private_segment_fixed_size: 464
    .sgpr_count:     41
    .sgpr_spill_count: 0
    .symbol:         _ZN9rocsolver6v33100L18getri_kernel_smallILi27E19rocblas_complex_numIdEPS3_EEvT1_iilPiilS6_bb.kd
    .uniform_work_group_size: 1
    .uses_dynamic_stack: false
    .vgpr_count:     121
    .vgpr_spill_count: 0
    .wavefront_size: 32
    .workgroup_processor_mode: 1
  - .args:
      - .address_space:  global
        .offset:         0
        .size:           8
        .value_kind:     global_buffer
      - .offset:         8
        .size:           4
        .value_kind:     by_value
      - .offset:         12
        .size:           4
        .value_kind:     by_value
      - .offset:         16
        .size:           8
        .value_kind:     by_value
      - .address_space:  global
        .offset:         24
        .size:           8
        .value_kind:     global_buffer
      - .offset:         32
        .size:           4
        .value_kind:     by_value
      - .offset:         40
        .size:           8
        .value_kind:     by_value
      - .address_space:  global
        .offset:         48
        .size:           8
        .value_kind:     global_buffer
      - .offset:         56
        .size:           1
        .value_kind:     by_value
      - .offset:         57
        .size:           1
        .value_kind:     by_value
    .group_segment_fixed_size: 904
    .kernarg_segment_align: 8
    .kernarg_segment_size: 60
    .language:       OpenCL C
    .language_version:
      - 2
      - 0
    .max_flat_workgroup_size: 64
    .name:           _ZN9rocsolver6v33100L18getri_kernel_smallILi28E19rocblas_complex_numIdEPS3_EEvT1_iilPiilS6_bb
    .private_segment_fixed_size: 480
    .sgpr_count:     42
    .sgpr_spill_count: 0
    .symbol:         _ZN9rocsolver6v33100L18getri_kernel_smallILi28E19rocblas_complex_numIdEPS3_EEvT1_iilPiilS6_bb.kd
    .uniform_work_group_size: 1
    .uses_dynamic_stack: false
    .vgpr_count:     142
    .vgpr_spill_count: 0
    .wavefront_size: 32
    .workgroup_processor_mode: 1
  - .args:
      - .address_space:  global
        .offset:         0
        .size:           8
        .value_kind:     global_buffer
      - .offset:         8
        .size:           4
        .value_kind:     by_value
      - .offset:         12
        .size:           4
        .value_kind:     by_value
      - .offset:         16
        .size:           8
        .value_kind:     by_value
      - .address_space:  global
        .offset:         24
        .size:           8
        .value_kind:     global_buffer
      - .offset:         32
        .size:           4
        .value_kind:     by_value
      - .offset:         40
        .size:           8
        .value_kind:     by_value
      - .address_space:  global
        .offset:         48
        .size:           8
        .value_kind:     global_buffer
      - .offset:         56
        .size:           1
        .value_kind:     by_value
      - .offset:         57
        .size:           1
        .value_kind:     by_value
    .group_segment_fixed_size: 936
    .kernarg_segment_align: 8
    .kernarg_segment_size: 60
    .language:       OpenCL C
    .language_version:
      - 2
      - 0
    .max_flat_workgroup_size: 64
    .name:           _ZN9rocsolver6v33100L18getri_kernel_smallILi29E19rocblas_complex_numIdEPS3_EEvT1_iilPiilS6_bb
    .private_segment_fixed_size: 496
    .sgpr_count:     43
    .sgpr_spill_count: 0
    .symbol:         _ZN9rocsolver6v33100L18getri_kernel_smallILi29E19rocblas_complex_numIdEPS3_EEvT1_iilPiilS6_bb.kd
    .uniform_work_group_size: 1
    .uses_dynamic_stack: false
    .vgpr_count:     143
    .vgpr_spill_count: 0
    .wavefront_size: 32
    .workgroup_processor_mode: 1
  - .args:
      - .address_space:  global
        .offset:         0
        .size:           8
        .value_kind:     global_buffer
      - .offset:         8
        .size:           4
        .value_kind:     by_value
      - .offset:         12
        .size:           4
        .value_kind:     by_value
      - .offset:         16
        .size:           8
        .value_kind:     by_value
      - .address_space:  global
        .offset:         24
        .size:           8
        .value_kind:     global_buffer
      - .offset:         32
        .size:           4
        .value_kind:     by_value
      - .offset:         40
        .size:           8
        .value_kind:     by_value
      - .address_space:  global
        .offset:         48
        .size:           8
        .value_kind:     global_buffer
      - .offset:         56
        .size:           1
        .value_kind:     by_value
      - .offset:         57
        .size:           1
        .value_kind:     by_value
    .group_segment_fixed_size: 968
    .kernarg_segment_align: 8
    .kernarg_segment_size: 60
    .language:       OpenCL C
    .language_version:
      - 2
      - 0
    .max_flat_workgroup_size: 64
    .name:           _ZN9rocsolver6v33100L18getri_kernel_smallILi30E19rocblas_complex_numIdEPS3_EEvT1_iilPiilS6_bb
    .private_segment_fixed_size: 512
    .sgpr_count:     44
    .sgpr_spill_count: 0
    .symbol:         _ZN9rocsolver6v33100L18getri_kernel_smallILi30E19rocblas_complex_numIdEPS3_EEvT1_iilPiilS6_bb.kd
    .uniform_work_group_size: 1
    .uses_dynamic_stack: false
    .vgpr_count:     148
    .vgpr_spill_count: 0
    .wavefront_size: 32
    .workgroup_processor_mode: 1
  - .args:
      - .address_space:  global
        .offset:         0
        .size:           8
        .value_kind:     global_buffer
      - .offset:         8
        .size:           4
        .value_kind:     by_value
      - .offset:         12
        .size:           4
        .value_kind:     by_value
      - .offset:         16
        .size:           8
        .value_kind:     by_value
      - .address_space:  global
        .offset:         24
        .size:           8
        .value_kind:     global_buffer
      - .offset:         32
        .size:           4
        .value_kind:     by_value
      - .offset:         40
        .size:           8
        .value_kind:     by_value
      - .address_space:  global
        .offset:         48
        .size:           8
        .value_kind:     global_buffer
      - .offset:         56
        .size:           1
        .value_kind:     by_value
      - .offset:         57
        .size:           1
        .value_kind:     by_value
    .group_segment_fixed_size: 1000
    .kernarg_segment_align: 8
    .kernarg_segment_size: 60
    .language:       OpenCL C
    .language_version:
      - 2
      - 0
    .max_flat_workgroup_size: 64
    .name:           _ZN9rocsolver6v33100L18getri_kernel_smallILi31E19rocblas_complex_numIdEPS3_EEvT1_iilPiilS6_bb
    .private_segment_fixed_size: 528
    .sgpr_count:     45
    .sgpr_spill_count: 0
    .symbol:         _ZN9rocsolver6v33100L18getri_kernel_smallILi31E19rocblas_complex_numIdEPS3_EEvT1_iilPiilS6_bb.kd
    .uniform_work_group_size: 1
    .uses_dynamic_stack: false
    .vgpr_count:     143
    .vgpr_spill_count: 0
    .wavefront_size: 32
    .workgroup_processor_mode: 1
  - .args:
      - .address_space:  global
        .offset:         0
        .size:           8
        .value_kind:     global_buffer
      - .offset:         8
        .size:           4
        .value_kind:     by_value
      - .offset:         12
        .size:           4
        .value_kind:     by_value
      - .offset:         16
        .size:           8
        .value_kind:     by_value
      - .address_space:  global
        .offset:         24
        .size:           8
        .value_kind:     global_buffer
      - .offset:         32
        .size:           4
        .value_kind:     by_value
      - .offset:         40
        .size:           8
        .value_kind:     by_value
      - .address_space:  global
        .offset:         48
        .size:           8
        .value_kind:     global_buffer
      - .offset:         56
        .size:           1
        .value_kind:     by_value
      - .offset:         57
        .size:           1
        .value_kind:     by_value
    .group_segment_fixed_size: 1032
    .kernarg_segment_align: 8
    .kernarg_segment_size: 60
    .language:       OpenCL C
    .language_version:
      - 2
      - 0
    .max_flat_workgroup_size: 64
    .name:           _ZN9rocsolver6v33100L18getri_kernel_smallILi32E19rocblas_complex_numIdEPS3_EEvT1_iilPiilS6_bb
    .private_segment_fixed_size: 544
    .sgpr_count:     46
    .sgpr_spill_count: 0
    .symbol:         _ZN9rocsolver6v33100L18getri_kernel_smallILi32E19rocblas_complex_numIdEPS3_EEvT1_iilPiilS6_bb.kd
    .uniform_work_group_size: 1
    .uses_dynamic_stack: false
    .vgpr_count:     148
    .vgpr_spill_count: 0
    .wavefront_size: 32
    .workgroup_processor_mode: 1
  - .args:
      - .address_space:  global
        .offset:         0
        .size:           8
        .value_kind:     global_buffer
      - .offset:         8
        .size:           4
        .value_kind:     by_value
      - .offset:         12
        .size:           4
        .value_kind:     by_value
      - .offset:         16
        .size:           8
        .value_kind:     by_value
      - .address_space:  global
        .offset:         24
        .size:           8
        .value_kind:     global_buffer
      - .offset:         32
        .size:           4
        .value_kind:     by_value
      - .offset:         40
        .size:           8
        .value_kind:     by_value
      - .address_space:  global
        .offset:         48
        .size:           8
        .value_kind:     global_buffer
      - .offset:         56
        .size:           1
        .value_kind:     by_value
      - .offset:         57
        .size:           1
        .value_kind:     by_value
    .group_segment_fixed_size: 1064
    .kernarg_segment_align: 8
    .kernarg_segment_size: 60
    .language:       OpenCL C
    .language_version:
      - 2
      - 0
    .max_flat_workgroup_size: 64
    .name:           _ZN9rocsolver6v33100L18getri_kernel_smallILi33E19rocblas_complex_numIdEPS3_EEvT1_iilPiilS6_bb
    .private_segment_fixed_size: 560
    .sgpr_count:     47
    .sgpr_spill_count: 0
    .symbol:         _ZN9rocsolver6v33100L18getri_kernel_smallILi33E19rocblas_complex_numIdEPS3_EEvT1_iilPiilS6_bb.kd
    .uniform_work_group_size: 1
    .uses_dynamic_stack: false
    .vgpr_count:     143
    .vgpr_spill_count: 0
    .wavefront_size: 32
    .workgroup_processor_mode: 1
  - .args:
      - .address_space:  global
        .offset:         0
        .size:           8
        .value_kind:     global_buffer
      - .offset:         8
        .size:           4
        .value_kind:     by_value
      - .offset:         12
        .size:           4
        .value_kind:     by_value
      - .offset:         16
        .size:           8
        .value_kind:     by_value
      - .address_space:  global
        .offset:         24
        .size:           8
        .value_kind:     global_buffer
      - .offset:         32
        .size:           4
        .value_kind:     by_value
      - .offset:         40
        .size:           8
        .value_kind:     by_value
      - .address_space:  global
        .offset:         48
        .size:           8
        .value_kind:     global_buffer
      - .offset:         56
        .size:           1
        .value_kind:     by_value
      - .offset:         57
        .size:           1
        .value_kind:     by_value
    .group_segment_fixed_size: 1096
    .kernarg_segment_align: 8
    .kernarg_segment_size: 60
    .language:       OpenCL C
    .language_version:
      - 2
      - 0
    .max_flat_workgroup_size: 64
    .name:           _ZN9rocsolver6v33100L18getri_kernel_smallILi34E19rocblas_complex_numIdEPS3_EEvT1_iilPiilS6_bb
    .private_segment_fixed_size: 576
    .sgpr_count:     48
    .sgpr_spill_count: 0
    .symbol:         _ZN9rocsolver6v33100L18getri_kernel_smallILi34E19rocblas_complex_numIdEPS3_EEvT1_iilPiilS6_bb.kd
    .uniform_work_group_size: 1
    .uses_dynamic_stack: false
    .vgpr_count:     148
    .vgpr_spill_count: 0
    .wavefront_size: 32
    .workgroup_processor_mode: 1
  - .args:
      - .address_space:  global
        .offset:         0
        .size:           8
        .value_kind:     global_buffer
      - .offset:         8
        .size:           4
        .value_kind:     by_value
      - .offset:         12
        .size:           4
        .value_kind:     by_value
      - .offset:         16
        .size:           8
        .value_kind:     by_value
      - .address_space:  global
        .offset:         24
        .size:           8
        .value_kind:     global_buffer
      - .offset:         32
        .size:           4
        .value_kind:     by_value
      - .offset:         40
        .size:           8
        .value_kind:     by_value
      - .address_space:  global
        .offset:         48
        .size:           8
        .value_kind:     global_buffer
      - .offset:         56
        .size:           1
        .value_kind:     by_value
      - .offset:         57
        .size:           1
        .value_kind:     by_value
    .group_segment_fixed_size: 1128
    .kernarg_segment_align: 8
    .kernarg_segment_size: 60
    .language:       OpenCL C
    .language_version:
      - 2
      - 0
    .max_flat_workgroup_size: 64
    .name:           _ZN9rocsolver6v33100L18getri_kernel_smallILi35E19rocblas_complex_numIdEPS3_EEvT1_iilPiilS6_bb
    .private_segment_fixed_size: 592
    .sgpr_count:     50
    .sgpr_spill_count: 0
    .symbol:         _ZN9rocsolver6v33100L18getri_kernel_smallILi35E19rocblas_complex_numIdEPS3_EEvT1_iilPiilS6_bb.kd
    .uniform_work_group_size: 1
    .uses_dynamic_stack: false
    .vgpr_count:     144
    .vgpr_spill_count: 0
    .wavefront_size: 32
    .workgroup_processor_mode: 1
  - .args:
      - .address_space:  global
        .offset:         0
        .size:           8
        .value_kind:     global_buffer
      - .offset:         8
        .size:           4
        .value_kind:     by_value
      - .offset:         12
        .size:           4
        .value_kind:     by_value
      - .offset:         16
        .size:           8
        .value_kind:     by_value
      - .address_space:  global
        .offset:         24
        .size:           8
        .value_kind:     global_buffer
      - .offset:         32
        .size:           4
        .value_kind:     by_value
      - .offset:         40
        .size:           8
        .value_kind:     by_value
      - .address_space:  global
        .offset:         48
        .size:           8
        .value_kind:     global_buffer
      - .offset:         56
        .size:           1
        .value_kind:     by_value
      - .offset:         57
        .size:           1
        .value_kind:     by_value
    .group_segment_fixed_size: 1160
    .kernarg_segment_align: 8
    .kernarg_segment_size: 60
    .language:       OpenCL C
    .language_version:
      - 2
      - 0
    .max_flat_workgroup_size: 64
    .name:           _ZN9rocsolver6v33100L18getri_kernel_smallILi36E19rocblas_complex_numIdEPS3_EEvT1_iilPiilS6_bb
    .private_segment_fixed_size: 608
    .sgpr_count:     51
    .sgpr_spill_count: 0
    .symbol:         _ZN9rocsolver6v33100L18getri_kernel_smallILi36E19rocblas_complex_numIdEPS3_EEvT1_iilPiilS6_bb.kd
    .uniform_work_group_size: 1
    .uses_dynamic_stack: false
    .vgpr_count:     148
    .vgpr_spill_count: 0
    .wavefront_size: 32
    .workgroup_processor_mode: 1
  - .args:
      - .address_space:  global
        .offset:         0
        .size:           8
        .value_kind:     global_buffer
      - .offset:         8
        .size:           4
        .value_kind:     by_value
      - .offset:         12
        .size:           4
        .value_kind:     by_value
      - .offset:         16
        .size:           8
        .value_kind:     by_value
      - .address_space:  global
        .offset:         24
        .size:           8
        .value_kind:     global_buffer
      - .offset:         32
        .size:           4
        .value_kind:     by_value
      - .offset:         40
        .size:           8
        .value_kind:     by_value
      - .address_space:  global
        .offset:         48
        .size:           8
        .value_kind:     global_buffer
      - .offset:         56
        .size:           1
        .value_kind:     by_value
      - .offset:         57
        .size:           1
        .value_kind:     by_value
    .group_segment_fixed_size: 1192
    .kernarg_segment_align: 8
    .kernarg_segment_size: 60
    .language:       OpenCL C
    .language_version:
      - 2
      - 0
    .max_flat_workgroup_size: 64
    .name:           _ZN9rocsolver6v33100L18getri_kernel_smallILi37E19rocblas_complex_numIdEPS3_EEvT1_iilPiilS6_bb
    .private_segment_fixed_size: 624
    .sgpr_count:     57
    .sgpr_spill_count: 0
    .symbol:         _ZN9rocsolver6v33100L18getri_kernel_smallILi37E19rocblas_complex_numIdEPS3_EEvT1_iilPiilS6_bb.kd
    .uniform_work_group_size: 1
    .uses_dynamic_stack: false
    .vgpr_count:     144
    .vgpr_spill_count: 0
    .wavefront_size: 32
    .workgroup_processor_mode: 1
  - .args:
      - .address_space:  global
        .offset:         0
        .size:           8
        .value_kind:     global_buffer
      - .offset:         8
        .size:           4
        .value_kind:     by_value
      - .offset:         12
        .size:           4
        .value_kind:     by_value
      - .offset:         16
        .size:           8
        .value_kind:     by_value
      - .address_space:  global
        .offset:         24
        .size:           8
        .value_kind:     global_buffer
      - .offset:         32
        .size:           4
        .value_kind:     by_value
      - .offset:         40
        .size:           8
        .value_kind:     by_value
      - .address_space:  global
        .offset:         48
        .size:           8
        .value_kind:     global_buffer
      - .offset:         56
        .size:           1
        .value_kind:     by_value
      - .offset:         57
        .size:           1
        .value_kind:     by_value
    .group_segment_fixed_size: 1224
    .kernarg_segment_align: 8
    .kernarg_segment_size: 60
    .language:       OpenCL C
    .language_version:
      - 2
      - 0
    .max_flat_workgroup_size: 64
    .name:           _ZN9rocsolver6v33100L18getri_kernel_smallILi38E19rocblas_complex_numIdEPS3_EEvT1_iilPiilS6_bb
    .private_segment_fixed_size: 640
    .sgpr_count:     55
    .sgpr_spill_count: 0
    .symbol:         _ZN9rocsolver6v33100L18getri_kernel_smallILi38E19rocblas_complex_numIdEPS3_EEvT1_iilPiilS6_bb.kd
    .uniform_work_group_size: 1
    .uses_dynamic_stack: false
    .vgpr_count:     150
    .vgpr_spill_count: 0
    .wavefront_size: 32
    .workgroup_processor_mode: 1
  - .args:
      - .address_space:  global
        .offset:         0
        .size:           8
        .value_kind:     global_buffer
      - .offset:         8
        .size:           4
        .value_kind:     by_value
      - .offset:         12
        .size:           4
        .value_kind:     by_value
      - .offset:         16
        .size:           8
        .value_kind:     by_value
      - .address_space:  global
        .offset:         24
        .size:           8
        .value_kind:     global_buffer
      - .offset:         32
        .size:           4
        .value_kind:     by_value
      - .offset:         40
        .size:           8
        .value_kind:     by_value
      - .address_space:  global
        .offset:         48
        .size:           8
        .value_kind:     global_buffer
      - .offset:         56
        .size:           1
        .value_kind:     by_value
      - .offset:         57
        .size:           1
        .value_kind:     by_value
    .group_segment_fixed_size: 1256
    .kernarg_segment_align: 8
    .kernarg_segment_size: 60
    .language:       OpenCL C
    .language_version:
      - 2
      - 0
    .max_flat_workgroup_size: 64
    .name:           _ZN9rocsolver6v33100L18getri_kernel_smallILi39E19rocblas_complex_numIdEPS3_EEvT1_iilPiilS6_bb
    .private_segment_fixed_size: 656
    .sgpr_count:     62
    .sgpr_spill_count: 0
    .symbol:         _ZN9rocsolver6v33100L18getri_kernel_smallILi39E19rocblas_complex_numIdEPS3_EEvT1_iilPiilS6_bb.kd
    .uniform_work_group_size: 1
    .uses_dynamic_stack: false
    .vgpr_count:     144
    .vgpr_spill_count: 0
    .wavefront_size: 32
    .workgroup_processor_mode: 1
  - .args:
      - .address_space:  global
        .offset:         0
        .size:           8
        .value_kind:     global_buffer
      - .offset:         8
        .size:           4
        .value_kind:     by_value
      - .offset:         12
        .size:           4
        .value_kind:     by_value
      - .offset:         16
        .size:           8
        .value_kind:     by_value
      - .address_space:  global
        .offset:         24
        .size:           8
        .value_kind:     global_buffer
      - .offset:         32
        .size:           4
        .value_kind:     by_value
      - .offset:         40
        .size:           8
        .value_kind:     by_value
      - .address_space:  global
        .offset:         48
        .size:           8
        .value_kind:     global_buffer
      - .offset:         56
        .size:           1
        .value_kind:     by_value
      - .offset:         57
        .size:           1
        .value_kind:     by_value
    .group_segment_fixed_size: 1288
    .kernarg_segment_align: 8
    .kernarg_segment_size: 60
    .language:       OpenCL C
    .language_version:
      - 2
      - 0
    .max_flat_workgroup_size: 64
    .name:           _ZN9rocsolver6v33100L18getri_kernel_smallILi40E19rocblas_complex_numIdEPS3_EEvT1_iilPiilS6_bb
    .private_segment_fixed_size: 672
    .sgpr_count:     63
    .sgpr_spill_count: 0
    .symbol:         _ZN9rocsolver6v33100L18getri_kernel_smallILi40E19rocblas_complex_numIdEPS3_EEvT1_iilPiilS6_bb.kd
    .uniform_work_group_size: 1
    .uses_dynamic_stack: false
    .vgpr_count:     172
    .vgpr_spill_count: 0
    .wavefront_size: 32
    .workgroup_processor_mode: 1
  - .args:
      - .address_space:  global
        .offset:         0
        .size:           8
        .value_kind:     global_buffer
      - .offset:         8
        .size:           4
        .value_kind:     by_value
      - .offset:         12
        .size:           4
        .value_kind:     by_value
      - .offset:         16
        .size:           8
        .value_kind:     by_value
      - .address_space:  global
        .offset:         24
        .size:           8
        .value_kind:     global_buffer
      - .offset:         32
        .size:           4
        .value_kind:     by_value
      - .offset:         40
        .size:           8
        .value_kind:     by_value
      - .address_space:  global
        .offset:         48
        .size:           8
        .value_kind:     global_buffer
      - .offset:         56
        .size:           1
        .value_kind:     by_value
      - .offset:         57
        .size:           1
        .value_kind:     by_value
    .group_segment_fixed_size: 1320
    .kernarg_segment_align: 8
    .kernarg_segment_size: 60
    .language:       OpenCL C
    .language_version:
      - 2
      - 0
    .max_flat_workgroup_size: 64
    .name:           _ZN9rocsolver6v33100L18getri_kernel_smallILi41E19rocblas_complex_numIdEPS3_EEvT1_iilPiilS6_bb
    .private_segment_fixed_size: 688
    .sgpr_count:     66
    .sgpr_spill_count: 0
    .symbol:         _ZN9rocsolver6v33100L18getri_kernel_smallILi41E19rocblas_complex_numIdEPS3_EEvT1_iilPiilS6_bb.kd
    .uniform_work_group_size: 1
    .uses_dynamic_stack: false
    .vgpr_count:     168
    .vgpr_spill_count: 0
    .wavefront_size: 32
    .workgroup_processor_mode: 1
  - .args:
      - .address_space:  global
        .offset:         0
        .size:           8
        .value_kind:     global_buffer
      - .offset:         8
        .size:           4
        .value_kind:     by_value
      - .offset:         12
        .size:           4
        .value_kind:     by_value
      - .offset:         16
        .size:           8
        .value_kind:     by_value
      - .address_space:  global
        .offset:         24
        .size:           8
        .value_kind:     global_buffer
      - .offset:         32
        .size:           4
        .value_kind:     by_value
      - .offset:         40
        .size:           8
        .value_kind:     by_value
      - .address_space:  global
        .offset:         48
        .size:           8
        .value_kind:     global_buffer
      - .offset:         56
        .size:           1
        .value_kind:     by_value
      - .offset:         57
        .size:           1
        .value_kind:     by_value
    .group_segment_fixed_size: 1352
    .kernarg_segment_align: 8
    .kernarg_segment_size: 60
    .language:       OpenCL C
    .language_version:
      - 2
      - 0
    .max_flat_workgroup_size: 64
    .name:           _ZN9rocsolver6v33100L18getri_kernel_smallILi42E19rocblas_complex_numIdEPS3_EEvT1_iilPiilS6_bb
    .private_segment_fixed_size: 704
    .sgpr_count:     67
    .sgpr_spill_count: 0
    .symbol:         _ZN9rocsolver6v33100L18getri_kernel_smallILi42E19rocblas_complex_numIdEPS3_EEvT1_iilPiilS6_bb.kd
    .uniform_work_group_size: 1
    .uses_dynamic_stack: false
    .vgpr_count:     172
    .vgpr_spill_count: 0
    .wavefront_size: 32
    .workgroup_processor_mode: 1
  - .args:
      - .address_space:  global
        .offset:         0
        .size:           8
        .value_kind:     global_buffer
      - .offset:         8
        .size:           4
        .value_kind:     by_value
      - .offset:         12
        .size:           4
        .value_kind:     by_value
      - .offset:         16
        .size:           8
        .value_kind:     by_value
      - .address_space:  global
        .offset:         24
        .size:           8
        .value_kind:     global_buffer
      - .offset:         32
        .size:           4
        .value_kind:     by_value
      - .offset:         40
        .size:           8
        .value_kind:     by_value
      - .address_space:  global
        .offset:         48
        .size:           8
        .value_kind:     global_buffer
      - .offset:         56
        .size:           1
        .value_kind:     by_value
      - .offset:         57
        .size:           1
        .value_kind:     by_value
    .group_segment_fixed_size: 1384
    .kernarg_segment_align: 8
    .kernarg_segment_size: 60
    .language:       OpenCL C
    .language_version:
      - 2
      - 0
    .max_flat_workgroup_size: 64
    .name:           _ZN9rocsolver6v33100L18getri_kernel_smallILi43E19rocblas_complex_numIdEPS3_EEvT1_iilPiilS6_bb
    .private_segment_fixed_size: 720
    .sgpr_count:     72
    .sgpr_spill_count: 0
    .symbol:         _ZN9rocsolver6v33100L18getri_kernel_smallILi43E19rocblas_complex_numIdEPS3_EEvT1_iilPiilS6_bb.kd
    .uniform_work_group_size: 1
    .uses_dynamic_stack: false
    .vgpr_count:     164
    .vgpr_spill_count: 0
    .wavefront_size: 32
    .workgroup_processor_mode: 1
  - .args:
      - .address_space:  global
        .offset:         0
        .size:           8
        .value_kind:     global_buffer
      - .offset:         8
        .size:           4
        .value_kind:     by_value
      - .offset:         12
        .size:           4
        .value_kind:     by_value
      - .offset:         16
        .size:           8
        .value_kind:     by_value
      - .address_space:  global
        .offset:         24
        .size:           8
        .value_kind:     global_buffer
      - .offset:         32
        .size:           4
        .value_kind:     by_value
      - .offset:         40
        .size:           8
        .value_kind:     by_value
      - .address_space:  global
        .offset:         48
        .size:           8
        .value_kind:     global_buffer
      - .offset:         56
        .size:           1
        .value_kind:     by_value
      - .offset:         57
        .size:           1
        .value_kind:     by_value
    .group_segment_fixed_size: 1416
    .kernarg_segment_align: 8
    .kernarg_segment_size: 60
    .language:       OpenCL C
    .language_version:
      - 2
      - 0
    .max_flat_workgroup_size: 64
    .name:           _ZN9rocsolver6v33100L18getri_kernel_smallILi44E19rocblas_complex_numIdEPS3_EEvT1_iilPiilS6_bb
    .private_segment_fixed_size: 736
    .sgpr_count:     70
    .sgpr_spill_count: 0
    .symbol:         _ZN9rocsolver6v33100L18getri_kernel_smallILi44E19rocblas_complex_numIdEPS3_EEvT1_iilPiilS6_bb.kd
    .uniform_work_group_size: 1
    .uses_dynamic_stack: false
    .vgpr_count:     176
    .vgpr_spill_count: 0
    .wavefront_size: 32
    .workgroup_processor_mode: 1
  - .args:
      - .address_space:  global
        .offset:         0
        .size:           8
        .value_kind:     global_buffer
      - .offset:         8
        .size:           4
        .value_kind:     by_value
      - .offset:         12
        .size:           4
        .value_kind:     by_value
      - .offset:         16
        .size:           8
        .value_kind:     by_value
      - .address_space:  global
        .offset:         24
        .size:           8
        .value_kind:     global_buffer
      - .offset:         32
        .size:           4
        .value_kind:     by_value
      - .offset:         40
        .size:           8
        .value_kind:     by_value
      - .address_space:  global
        .offset:         48
        .size:           8
        .value_kind:     global_buffer
      - .offset:         56
        .size:           1
        .value_kind:     by_value
      - .offset:         57
        .size:           1
        .value_kind:     by_value
    .group_segment_fixed_size: 1448
    .kernarg_segment_align: 8
    .kernarg_segment_size: 60
    .language:       OpenCL C
    .language_version:
      - 2
      - 0
    .max_flat_workgroup_size: 64
    .name:           _ZN9rocsolver6v33100L18getri_kernel_smallILi45E19rocblas_complex_numIdEPS3_EEvT1_iilPiilS6_bb
    .private_segment_fixed_size: 752
    .sgpr_count:     76
    .sgpr_spill_count: 0
    .symbol:         _ZN9rocsolver6v33100L18getri_kernel_smallILi45E19rocblas_complex_numIdEPS3_EEvT1_iilPiilS6_bb.kd
    .uniform_work_group_size: 1
    .uses_dynamic_stack: false
    .vgpr_count:     164
    .vgpr_spill_count: 0
    .wavefront_size: 32
    .workgroup_processor_mode: 1
  - .args:
      - .address_space:  global
        .offset:         0
        .size:           8
        .value_kind:     global_buffer
      - .offset:         8
        .size:           4
        .value_kind:     by_value
      - .offset:         12
        .size:           4
        .value_kind:     by_value
      - .offset:         16
        .size:           8
        .value_kind:     by_value
      - .address_space:  global
        .offset:         24
        .size:           8
        .value_kind:     global_buffer
      - .offset:         32
        .size:           4
        .value_kind:     by_value
      - .offset:         40
        .size:           8
        .value_kind:     by_value
      - .address_space:  global
        .offset:         48
        .size:           8
        .value_kind:     global_buffer
      - .offset:         56
        .size:           1
        .value_kind:     by_value
      - .offset:         57
        .size:           1
        .value_kind:     by_value
    .group_segment_fixed_size: 1480
    .kernarg_segment_align: 8
    .kernarg_segment_size: 60
    .language:       OpenCL C
    .language_version:
      - 2
      - 0
    .max_flat_workgroup_size: 64
    .name:           _ZN9rocsolver6v33100L18getri_kernel_smallILi46E19rocblas_complex_numIdEPS3_EEvT1_iilPiilS6_bb
    .private_segment_fixed_size: 768
    .sgpr_count:     74
    .sgpr_spill_count: 0
    .symbol:         _ZN9rocsolver6v33100L18getri_kernel_smallILi46E19rocblas_complex_numIdEPS3_EEvT1_iilPiilS6_bb.kd
    .uniform_work_group_size: 1
    .uses_dynamic_stack: false
    .vgpr_count:     174
    .vgpr_spill_count: 0
    .wavefront_size: 32
    .workgroup_processor_mode: 1
  - .args:
      - .address_space:  global
        .offset:         0
        .size:           8
        .value_kind:     global_buffer
      - .offset:         8
        .size:           4
        .value_kind:     by_value
      - .offset:         12
        .size:           4
        .value_kind:     by_value
      - .offset:         16
        .size:           8
        .value_kind:     by_value
      - .address_space:  global
        .offset:         24
        .size:           8
        .value_kind:     global_buffer
      - .offset:         32
        .size:           4
        .value_kind:     by_value
      - .offset:         40
        .size:           8
        .value_kind:     by_value
      - .address_space:  global
        .offset:         48
        .size:           8
        .value_kind:     global_buffer
      - .offset:         56
        .size:           1
        .value_kind:     by_value
      - .offset:         57
        .size:           1
        .value_kind:     by_value
    .group_segment_fixed_size: 1512
    .kernarg_segment_align: 8
    .kernarg_segment_size: 60
    .language:       OpenCL C
    .language_version:
      - 2
      - 0
    .max_flat_workgroup_size: 64
    .name:           _ZN9rocsolver6v33100L18getri_kernel_smallILi47E19rocblas_complex_numIdEPS3_EEvT1_iilPiilS6_bb
    .private_segment_fixed_size: 784
    .sgpr_count:     79
    .sgpr_spill_count: 0
    .symbol:         _ZN9rocsolver6v33100L18getri_kernel_smallILi47E19rocblas_complex_numIdEPS3_EEvT1_iilPiilS6_bb.kd
    .uniform_work_group_size: 1
    .uses_dynamic_stack: false
    .vgpr_count:     167
    .vgpr_spill_count: 0
    .wavefront_size: 32
    .workgroup_processor_mode: 1
  - .args:
      - .address_space:  global
        .offset:         0
        .size:           8
        .value_kind:     global_buffer
      - .offset:         8
        .size:           4
        .value_kind:     by_value
      - .offset:         12
        .size:           4
        .value_kind:     by_value
      - .offset:         16
        .size:           8
        .value_kind:     by_value
      - .address_space:  global
        .offset:         24
        .size:           8
        .value_kind:     global_buffer
      - .offset:         32
        .size:           4
        .value_kind:     by_value
      - .offset:         40
        .size:           8
        .value_kind:     by_value
      - .address_space:  global
        .offset:         48
        .size:           8
        .value_kind:     global_buffer
      - .offset:         56
        .size:           1
        .value_kind:     by_value
      - .offset:         57
        .size:           1
        .value_kind:     by_value
    .group_segment_fixed_size: 1544
    .kernarg_segment_align: 8
    .kernarg_segment_size: 60
    .language:       OpenCL C
    .language_version:
      - 2
      - 0
    .max_flat_workgroup_size: 64
    .name:           _ZN9rocsolver6v33100L18getri_kernel_smallILi48E19rocblas_complex_numIdEPS3_EEvT1_iilPiilS6_bb
    .private_segment_fixed_size: 800
    .sgpr_count:     78
    .sgpr_spill_count: 0
    .symbol:         _ZN9rocsolver6v33100L18getri_kernel_smallILi48E19rocblas_complex_numIdEPS3_EEvT1_iilPiilS6_bb.kd
    .uniform_work_group_size: 1
    .uses_dynamic_stack: false
    .vgpr_count:     182
    .vgpr_spill_count: 0
    .wavefront_size: 32
    .workgroup_processor_mode: 1
  - .args:
      - .address_space:  global
        .offset:         0
        .size:           8
        .value_kind:     global_buffer
      - .offset:         8
        .size:           4
        .value_kind:     by_value
      - .offset:         12
        .size:           4
        .value_kind:     by_value
      - .offset:         16
        .size:           8
        .value_kind:     by_value
      - .address_space:  global
        .offset:         24
        .size:           8
        .value_kind:     global_buffer
      - .offset:         32
        .size:           4
        .value_kind:     by_value
      - .offset:         40
        .size:           8
        .value_kind:     by_value
      - .address_space:  global
        .offset:         48
        .size:           8
        .value_kind:     global_buffer
      - .offset:         56
        .size:           1
        .value_kind:     by_value
      - .offset:         57
        .size:           1
        .value_kind:     by_value
    .group_segment_fixed_size: 1576
    .kernarg_segment_align: 8
    .kernarg_segment_size: 60
    .language:       OpenCL C
    .language_version:
      - 2
      - 0
    .max_flat_workgroup_size: 64
    .name:           _ZN9rocsolver6v33100L18getri_kernel_smallILi49E19rocblas_complex_numIdEPS3_EEvT1_iilPiilS6_bb
    .private_segment_fixed_size: 816
    .sgpr_count:     82
    .sgpr_spill_count: 0
    .symbol:         _ZN9rocsolver6v33100L18getri_kernel_smallILi49E19rocblas_complex_numIdEPS3_EEvT1_iilPiilS6_bb.kd
    .uniform_work_group_size: 1
    .uses_dynamic_stack: false
    .vgpr_count:     172
    .vgpr_spill_count: 0
    .wavefront_size: 32
    .workgroup_processor_mode: 1
  - .args:
      - .address_space:  global
        .offset:         0
        .size:           8
        .value_kind:     global_buffer
      - .offset:         8
        .size:           4
        .value_kind:     by_value
      - .offset:         12
        .size:           4
        .value_kind:     by_value
      - .offset:         16
        .size:           8
        .value_kind:     by_value
      - .address_space:  global
        .offset:         24
        .size:           8
        .value_kind:     global_buffer
      - .offset:         32
        .size:           4
        .value_kind:     by_value
      - .offset:         40
        .size:           8
        .value_kind:     by_value
      - .address_space:  global
        .offset:         48
        .size:           8
        .value_kind:     global_buffer
      - .offset:         56
        .size:           1
        .value_kind:     by_value
      - .offset:         57
        .size:           1
        .value_kind:     by_value
    .group_segment_fixed_size: 1608
    .kernarg_segment_align: 8
    .kernarg_segment_size: 60
    .language:       OpenCL C
    .language_version:
      - 2
      - 0
    .max_flat_workgroup_size: 64
    .name:           _ZN9rocsolver6v33100L18getri_kernel_smallILi50E19rocblas_complex_numIdEPS3_EEvT1_iilPiilS6_bb
    .private_segment_fixed_size: 832
    .sgpr_count:     82
    .sgpr_spill_count: 0
    .symbol:         _ZN9rocsolver6v33100L18getri_kernel_smallILi50E19rocblas_complex_numIdEPS3_EEvT1_iilPiilS6_bb.kd
    .uniform_work_group_size: 1
    .uses_dynamic_stack: false
    .vgpr_count:     180
    .vgpr_spill_count: 0
    .wavefront_size: 32
    .workgroup_processor_mode: 1
  - .args:
      - .address_space:  global
        .offset:         0
        .size:           8
        .value_kind:     global_buffer
      - .offset:         8
        .size:           4
        .value_kind:     by_value
      - .offset:         12
        .size:           4
        .value_kind:     by_value
      - .offset:         16
        .size:           8
        .value_kind:     by_value
      - .address_space:  global
        .offset:         24
        .size:           8
        .value_kind:     global_buffer
      - .offset:         32
        .size:           4
        .value_kind:     by_value
      - .offset:         40
        .size:           8
        .value_kind:     by_value
      - .address_space:  global
        .offset:         48
        .size:           8
        .value_kind:     global_buffer
      - .offset:         56
        .size:           1
        .value_kind:     by_value
      - .offset:         57
        .size:           1
        .value_kind:     by_value
    .group_segment_fixed_size: 1640
    .kernarg_segment_align: 8
    .kernarg_segment_size: 60
    .language:       OpenCL C
    .language_version:
      - 2
      - 0
    .max_flat_workgroup_size: 64
    .name:           _ZN9rocsolver6v33100L18getri_kernel_smallILi51E19rocblas_complex_numIdEPS3_EEvT1_iilPiilS6_bb
    .private_segment_fixed_size: 848
    .sgpr_count:     85
    .sgpr_spill_count: 0
    .symbol:         _ZN9rocsolver6v33100L18getri_kernel_smallILi51E19rocblas_complex_numIdEPS3_EEvT1_iilPiilS6_bb.kd
    .uniform_work_group_size: 1
    .uses_dynamic_stack: false
    .vgpr_count:     176
    .vgpr_spill_count: 0
    .wavefront_size: 32
    .workgroup_processor_mode: 1
  - .args:
      - .address_space:  global
        .offset:         0
        .size:           8
        .value_kind:     global_buffer
      - .offset:         8
        .size:           4
        .value_kind:     by_value
      - .offset:         12
        .size:           4
        .value_kind:     by_value
      - .offset:         16
        .size:           8
        .value_kind:     by_value
      - .address_space:  global
        .offset:         24
        .size:           8
        .value_kind:     global_buffer
      - .offset:         32
        .size:           4
        .value_kind:     by_value
      - .offset:         40
        .size:           8
        .value_kind:     by_value
      - .address_space:  global
        .offset:         48
        .size:           8
        .value_kind:     global_buffer
      - .offset:         56
        .size:           1
        .value_kind:     by_value
      - .offset:         57
        .size:           1
        .value_kind:     by_value
    .group_segment_fixed_size: 1672
    .kernarg_segment_align: 8
    .kernarg_segment_size: 60
    .language:       OpenCL C
    .language_version:
      - 2
      - 0
    .max_flat_workgroup_size: 64
    .name:           _ZN9rocsolver6v33100L18getri_kernel_smallILi52E19rocblas_complex_numIdEPS3_EEvT1_iilPiilS6_bb
    .private_segment_fixed_size: 864
    .sgpr_count:     82
    .sgpr_spill_count: 0
    .symbol:         _ZN9rocsolver6v33100L18getri_kernel_smallILi52E19rocblas_complex_numIdEPS3_EEvT1_iilPiilS6_bb.kd
    .uniform_work_group_size: 1
    .uses_dynamic_stack: false
    .vgpr_count:     206
    .vgpr_spill_count: 0
    .wavefront_size: 32
    .workgroup_processor_mode: 1
  - .args:
      - .address_space:  global
        .offset:         0
        .size:           8
        .value_kind:     global_buffer
      - .offset:         8
        .size:           4
        .value_kind:     by_value
      - .offset:         12
        .size:           4
        .value_kind:     by_value
      - .offset:         16
        .size:           8
        .value_kind:     by_value
      - .address_space:  global
        .offset:         24
        .size:           8
        .value_kind:     global_buffer
      - .offset:         32
        .size:           4
        .value_kind:     by_value
      - .offset:         40
        .size:           8
        .value_kind:     by_value
      - .address_space:  global
        .offset:         48
        .size:           8
        .value_kind:     global_buffer
      - .offset:         56
        .size:           1
        .value_kind:     by_value
      - .offset:         57
        .size:           1
        .value_kind:     by_value
    .group_segment_fixed_size: 1704
    .kernarg_segment_align: 8
    .kernarg_segment_size: 60
    .language:       OpenCL C
    .language_version:
      - 2
      - 0
    .max_flat_workgroup_size: 64
    .name:           _ZN9rocsolver6v33100L18getri_kernel_smallILi53E19rocblas_complex_numIdEPS3_EEvT1_iilPiilS6_bb
    .private_segment_fixed_size: 880
    .sgpr_count:     88
    .sgpr_spill_count: 0
    .symbol:         _ZN9rocsolver6v33100L18getri_kernel_smallILi53E19rocblas_complex_numIdEPS3_EEvT1_iilPiilS6_bb.kd
    .uniform_work_group_size: 1
    .uses_dynamic_stack: false
    .vgpr_count:     198
    .vgpr_spill_count: 0
    .wavefront_size: 32
    .workgroup_processor_mode: 1
  - .args:
      - .address_space:  global
        .offset:         0
        .size:           8
        .value_kind:     global_buffer
      - .offset:         8
        .size:           4
        .value_kind:     by_value
      - .offset:         12
        .size:           4
        .value_kind:     by_value
      - .offset:         16
        .size:           8
        .value_kind:     by_value
      - .address_space:  global
        .offset:         24
        .size:           8
        .value_kind:     global_buffer
      - .offset:         32
        .size:           4
        .value_kind:     by_value
      - .offset:         40
        .size:           8
        .value_kind:     by_value
      - .address_space:  global
        .offset:         48
        .size:           8
        .value_kind:     global_buffer
      - .offset:         56
        .size:           1
        .value_kind:     by_value
      - .offset:         57
        .size:           1
        .value_kind:     by_value
    .group_segment_fixed_size: 1736
    .kernarg_segment_align: 8
    .kernarg_segment_size: 60
    .language:       OpenCL C
    .language_version:
      - 2
      - 0
    .max_flat_workgroup_size: 64
    .name:           _ZN9rocsolver6v33100L18getri_kernel_smallILi54E19rocblas_complex_numIdEPS3_EEvT1_iilPiilS6_bb
    .private_segment_fixed_size: 896
    .sgpr_count:     86
    .sgpr_spill_count: 0
    .symbol:         _ZN9rocsolver6v33100L18getri_kernel_smallILi54E19rocblas_complex_numIdEPS3_EEvT1_iilPiilS6_bb.kd
    .uniform_work_group_size: 1
    .uses_dynamic_stack: false
    .vgpr_count:     202
    .vgpr_spill_count: 0
    .wavefront_size: 32
    .workgroup_processor_mode: 1
  - .args:
      - .address_space:  global
        .offset:         0
        .size:           8
        .value_kind:     global_buffer
      - .offset:         8
        .size:           4
        .value_kind:     by_value
      - .offset:         12
        .size:           4
        .value_kind:     by_value
      - .offset:         16
        .size:           8
        .value_kind:     by_value
      - .address_space:  global
        .offset:         24
        .size:           8
        .value_kind:     global_buffer
      - .offset:         32
        .size:           4
        .value_kind:     by_value
      - .offset:         40
        .size:           8
        .value_kind:     by_value
      - .address_space:  global
        .offset:         48
        .size:           8
        .value_kind:     global_buffer
      - .offset:         56
        .size:           1
        .value_kind:     by_value
      - .offset:         57
        .size:           1
        .value_kind:     by_value
    .group_segment_fixed_size: 1768
    .kernarg_segment_align: 8
    .kernarg_segment_size: 60
    .language:       OpenCL C
    .language_version:
      - 2
      - 0
    .max_flat_workgroup_size: 64
    .name:           _ZN9rocsolver6v33100L18getri_kernel_smallILi55E19rocblas_complex_numIdEPS3_EEvT1_iilPiilS6_bb
    .private_segment_fixed_size: 912
    .sgpr_count:     91
    .sgpr_spill_count: 0
    .symbol:         _ZN9rocsolver6v33100L18getri_kernel_smallILi55E19rocblas_complex_numIdEPS3_EEvT1_iilPiilS6_bb.kd
    .uniform_work_group_size: 1
    .uses_dynamic_stack: false
    .vgpr_count:     200
    .vgpr_spill_count: 0
    .wavefront_size: 32
    .workgroup_processor_mode: 1
  - .args:
      - .address_space:  global
        .offset:         0
        .size:           8
        .value_kind:     global_buffer
      - .offset:         8
        .size:           4
        .value_kind:     by_value
      - .offset:         12
        .size:           4
        .value_kind:     by_value
      - .offset:         16
        .size:           8
        .value_kind:     by_value
      - .address_space:  global
        .offset:         24
        .size:           8
        .value_kind:     global_buffer
      - .offset:         32
        .size:           4
        .value_kind:     by_value
      - .offset:         40
        .size:           8
        .value_kind:     by_value
      - .address_space:  global
        .offset:         48
        .size:           8
        .value_kind:     global_buffer
      - .offset:         56
        .size:           1
        .value_kind:     by_value
      - .offset:         57
        .size:           1
        .value_kind:     by_value
    .group_segment_fixed_size: 1800
    .kernarg_segment_align: 8
    .kernarg_segment_size: 60
    .language:       OpenCL C
    .language_version:
      - 2
      - 0
    .max_flat_workgroup_size: 64
    .name:           _ZN9rocsolver6v33100L18getri_kernel_smallILi56E19rocblas_complex_numIdEPS3_EEvT1_iilPiilS6_bb
    .private_segment_fixed_size: 928
    .sgpr_count:     90
    .sgpr_spill_count: 0
    .symbol:         _ZN9rocsolver6v33100L18getri_kernel_smallILi56E19rocblas_complex_numIdEPS3_EEvT1_iilPiilS6_bb.kd
    .uniform_work_group_size: 1
    .uses_dynamic_stack: false
    .vgpr_count:     206
    .vgpr_spill_count: 0
    .wavefront_size: 32
    .workgroup_processor_mode: 1
  - .args:
      - .address_space:  global
        .offset:         0
        .size:           8
        .value_kind:     global_buffer
      - .offset:         8
        .size:           4
        .value_kind:     by_value
      - .offset:         12
        .size:           4
        .value_kind:     by_value
      - .offset:         16
        .size:           8
        .value_kind:     by_value
      - .address_space:  global
        .offset:         24
        .size:           8
        .value_kind:     global_buffer
      - .offset:         32
        .size:           4
        .value_kind:     by_value
      - .offset:         40
        .size:           8
        .value_kind:     by_value
      - .address_space:  global
        .offset:         48
        .size:           8
        .value_kind:     global_buffer
      - .offset:         56
        .size:           1
        .value_kind:     by_value
      - .offset:         57
        .size:           1
        .value_kind:     by_value
    .group_segment_fixed_size: 1832
    .kernarg_segment_align: 8
    .kernarg_segment_size: 60
    .language:       OpenCL C
    .language_version:
      - 2
      - 0
    .max_flat_workgroup_size: 64
    .name:           _ZN9rocsolver6v33100L18getri_kernel_smallILi57E19rocblas_complex_numIdEPS3_EEvT1_iilPiilS6_bb
    .private_segment_fixed_size: 944
    .sgpr_count:     94
    .sgpr_spill_count: 0
    .symbol:         _ZN9rocsolver6v33100L18getri_kernel_smallILi57E19rocblas_complex_numIdEPS3_EEvT1_iilPiilS6_bb.kd
    .uniform_work_group_size: 1
    .uses_dynamic_stack: false
    .vgpr_count:     202
    .vgpr_spill_count: 0
    .wavefront_size: 32
    .workgroup_processor_mode: 1
  - .args:
      - .address_space:  global
        .offset:         0
        .size:           8
        .value_kind:     global_buffer
      - .offset:         8
        .size:           4
        .value_kind:     by_value
      - .offset:         12
        .size:           4
        .value_kind:     by_value
      - .offset:         16
        .size:           8
        .value_kind:     by_value
      - .address_space:  global
        .offset:         24
        .size:           8
        .value_kind:     global_buffer
      - .offset:         32
        .size:           4
        .value_kind:     by_value
      - .offset:         40
        .size:           8
        .value_kind:     by_value
      - .address_space:  global
        .offset:         48
        .size:           8
        .value_kind:     global_buffer
      - .offset:         56
        .size:           1
        .value_kind:     by_value
      - .offset:         57
        .size:           1
        .value_kind:     by_value
    .group_segment_fixed_size: 1864
    .kernarg_segment_align: 8
    .kernarg_segment_size: 60
    .language:       OpenCL C
    .language_version:
      - 2
      - 0
    .max_flat_workgroup_size: 64
    .name:           _ZN9rocsolver6v33100L18getri_kernel_smallILi58E19rocblas_complex_numIdEPS3_EEvT1_iilPiilS6_bb
    .private_segment_fixed_size: 960
    .sgpr_count:     92
    .sgpr_spill_count: 0
    .symbol:         _ZN9rocsolver6v33100L18getri_kernel_smallILi58E19rocblas_complex_numIdEPS3_EEvT1_iilPiilS6_bb.kd
    .uniform_work_group_size: 1
    .uses_dynamic_stack: false
    .vgpr_count:     208
    .vgpr_spill_count: 0
    .wavefront_size: 32
    .workgroup_processor_mode: 1
  - .args:
      - .address_space:  global
        .offset:         0
        .size:           8
        .value_kind:     global_buffer
      - .offset:         8
        .size:           4
        .value_kind:     by_value
      - .offset:         12
        .size:           4
        .value_kind:     by_value
      - .offset:         16
        .size:           8
        .value_kind:     by_value
      - .address_space:  global
        .offset:         24
        .size:           8
        .value_kind:     global_buffer
      - .offset:         32
        .size:           4
        .value_kind:     by_value
      - .offset:         40
        .size:           8
        .value_kind:     by_value
      - .address_space:  global
        .offset:         48
        .size:           8
        .value_kind:     global_buffer
      - .offset:         56
        .size:           1
        .value_kind:     by_value
      - .offset:         57
        .size:           1
        .value_kind:     by_value
    .group_segment_fixed_size: 1896
    .kernarg_segment_align: 8
    .kernarg_segment_size: 60
    .language:       OpenCL C
    .language_version:
      - 2
      - 0
    .max_flat_workgroup_size: 64
    .name:           _ZN9rocsolver6v33100L18getri_kernel_smallILi59E19rocblas_complex_numIdEPS3_EEvT1_iilPiilS6_bb
    .private_segment_fixed_size: 976
    .sgpr_count:     93
    .sgpr_spill_count: 0
    .symbol:         _ZN9rocsolver6v33100L18getri_kernel_smallILi59E19rocblas_complex_numIdEPS3_EEvT1_iilPiilS6_bb.kd
    .uniform_work_group_size: 1
    .uses_dynamic_stack: false
    .vgpr_count:     202
    .vgpr_spill_count: 0
    .wavefront_size: 32
    .workgroup_processor_mode: 1
  - .args:
      - .address_space:  global
        .offset:         0
        .size:           8
        .value_kind:     global_buffer
      - .offset:         8
        .size:           4
        .value_kind:     by_value
      - .offset:         12
        .size:           4
        .value_kind:     by_value
      - .offset:         16
        .size:           8
        .value_kind:     by_value
      - .address_space:  global
        .offset:         24
        .size:           8
        .value_kind:     global_buffer
      - .offset:         32
        .size:           4
        .value_kind:     by_value
      - .offset:         40
        .size:           8
        .value_kind:     by_value
      - .address_space:  global
        .offset:         48
        .size:           8
        .value_kind:     global_buffer
      - .offset:         56
        .size:           1
        .value_kind:     by_value
      - .offset:         57
        .size:           1
        .value_kind:     by_value
    .group_segment_fixed_size: 1928
    .kernarg_segment_align: 8
    .kernarg_segment_size: 60
    .language:       OpenCL C
    .language_version:
      - 2
      - 0
    .max_flat_workgroup_size: 64
    .name:           _ZN9rocsolver6v33100L18getri_kernel_smallILi60E19rocblas_complex_numIdEPS3_EEvT1_iilPiilS6_bb
    .private_segment_fixed_size: 992
    .sgpr_count:     88
    .sgpr_spill_count: 0
    .symbol:         _ZN9rocsolver6v33100L18getri_kernel_smallILi60E19rocblas_complex_numIdEPS3_EEvT1_iilPiilS6_bb.kd
    .uniform_work_group_size: 1
    .uses_dynamic_stack: false
    .vgpr_count:     202
    .vgpr_spill_count: 0
    .wavefront_size: 32
    .workgroup_processor_mode: 1
  - .args:
      - .address_space:  global
        .offset:         0
        .size:           8
        .value_kind:     global_buffer
      - .offset:         8
        .size:           4
        .value_kind:     by_value
      - .offset:         12
        .size:           4
        .value_kind:     by_value
      - .offset:         16
        .size:           8
        .value_kind:     by_value
      - .address_space:  global
        .offset:         24
        .size:           8
        .value_kind:     global_buffer
      - .offset:         32
        .size:           4
        .value_kind:     by_value
      - .offset:         40
        .size:           8
        .value_kind:     by_value
      - .address_space:  global
        .offset:         48
        .size:           8
        .value_kind:     global_buffer
      - .offset:         56
        .size:           1
        .value_kind:     by_value
      - .offset:         57
        .size:           1
        .value_kind:     by_value
    .group_segment_fixed_size: 1960
    .kernarg_segment_align: 8
    .kernarg_segment_size: 60
    .language:       OpenCL C
    .language_version:
      - 2
      - 0
    .max_flat_workgroup_size: 64
    .name:           _ZN9rocsolver6v33100L18getri_kernel_smallILi61E19rocblas_complex_numIdEPS3_EEvT1_iilPiilS6_bb
    .private_segment_fixed_size: 1008
    .sgpr_count:     90
    .sgpr_spill_count: 0
    .symbol:         _ZN9rocsolver6v33100L18getri_kernel_smallILi61E19rocblas_complex_numIdEPS3_EEvT1_iilPiilS6_bb.kd
    .uniform_work_group_size: 1
    .uses_dynamic_stack: false
    .vgpr_count:     210
    .vgpr_spill_count: 0
    .wavefront_size: 32
    .workgroup_processor_mode: 1
  - .args:
      - .address_space:  global
        .offset:         0
        .size:           8
        .value_kind:     global_buffer
      - .offset:         8
        .size:           4
        .value_kind:     by_value
      - .offset:         12
        .size:           4
        .value_kind:     by_value
      - .offset:         16
        .size:           8
        .value_kind:     by_value
      - .address_space:  global
        .offset:         24
        .size:           8
        .value_kind:     global_buffer
      - .offset:         32
        .size:           4
        .value_kind:     by_value
      - .offset:         40
        .size:           8
        .value_kind:     by_value
      - .address_space:  global
        .offset:         48
        .size:           8
        .value_kind:     global_buffer
      - .offset:         56
        .size:           1
        .value_kind:     by_value
      - .offset:         57
        .size:           1
        .value_kind:     by_value
    .group_segment_fixed_size: 1992
    .kernarg_segment_align: 8
    .kernarg_segment_size: 60
    .language:       OpenCL C
    .language_version:
      - 2
      - 0
    .max_flat_workgroup_size: 64
    .name:           _ZN9rocsolver6v33100L18getri_kernel_smallILi62E19rocblas_complex_numIdEPS3_EEvT1_iilPiilS6_bb
    .private_segment_fixed_size: 1024
    .sgpr_count:     83
    .sgpr_spill_count: 0
    .symbol:         _ZN9rocsolver6v33100L18getri_kernel_smallILi62E19rocblas_complex_numIdEPS3_EEvT1_iilPiilS6_bb.kd
    .uniform_work_group_size: 1
    .uses_dynamic_stack: false
    .vgpr_count:     210
    .vgpr_spill_count: 0
    .wavefront_size: 32
    .workgroup_processor_mode: 1
  - .args:
      - .address_space:  global
        .offset:         0
        .size:           8
        .value_kind:     global_buffer
      - .offset:         8
        .size:           4
        .value_kind:     by_value
      - .offset:         12
        .size:           4
        .value_kind:     by_value
      - .offset:         16
        .size:           8
        .value_kind:     by_value
      - .address_space:  global
        .offset:         24
        .size:           8
        .value_kind:     global_buffer
      - .offset:         32
        .size:           4
        .value_kind:     by_value
      - .offset:         40
        .size:           8
        .value_kind:     by_value
      - .address_space:  global
        .offset:         48
        .size:           8
        .value_kind:     global_buffer
      - .offset:         56
        .size:           1
        .value_kind:     by_value
      - .offset:         57
        .size:           1
        .value_kind:     by_value
    .group_segment_fixed_size: 2024
    .kernarg_segment_align: 8
    .kernarg_segment_size: 60
    .language:       OpenCL C
    .language_version:
      - 2
      - 0
    .max_flat_workgroup_size: 64
    .name:           _ZN9rocsolver6v33100L18getri_kernel_smallILi63E19rocblas_complex_numIdEPS3_EEvT1_iilPiilS6_bb
    .private_segment_fixed_size: 1040
    .sgpr_count:     87
    .sgpr_spill_count: 0
    .symbol:         _ZN9rocsolver6v33100L18getri_kernel_smallILi63E19rocblas_complex_numIdEPS3_EEvT1_iilPiilS6_bb.kd
    .uniform_work_group_size: 1
    .uses_dynamic_stack: false
    .vgpr_count:     210
    .vgpr_spill_count: 0
    .wavefront_size: 32
    .workgroup_processor_mode: 1
  - .args:
      - .address_space:  global
        .offset:         0
        .size:           8
        .value_kind:     global_buffer
      - .offset:         8
        .size:           4
        .value_kind:     by_value
      - .offset:         12
        .size:           4
        .value_kind:     by_value
      - .offset:         16
        .size:           8
        .value_kind:     by_value
      - .address_space:  global
        .offset:         24
        .size:           8
        .value_kind:     global_buffer
      - .offset:         32
        .size:           4
        .value_kind:     by_value
      - .offset:         40
        .size:           8
        .value_kind:     by_value
      - .address_space:  global
        .offset:         48
        .size:           8
        .value_kind:     global_buffer
      - .offset:         56
        .size:           1
        .value_kind:     by_value
      - .offset:         57
        .size:           1
        .value_kind:     by_value
    .group_segment_fixed_size: 2056
    .kernarg_segment_align: 8
    .kernarg_segment_size: 60
    .language:       OpenCL C
    .language_version:
      - 2
      - 0
    .max_flat_workgroup_size: 64
    .name:           _ZN9rocsolver6v33100L18getri_kernel_smallILi64E19rocblas_complex_numIdEPS3_EEvT1_iilPiilS6_bb
    .private_segment_fixed_size: 1056
    .sgpr_count:     82
    .sgpr_spill_count: 0
    .symbol:         _ZN9rocsolver6v33100L18getri_kernel_smallILi64E19rocblas_complex_numIdEPS3_EEvT1_iilPiilS6_bb.kd
    .uniform_work_group_size: 1
    .uses_dynamic_stack: false
    .vgpr_count:     232
    .vgpr_spill_count: 0
    .wavefront_size: 32
    .workgroup_processor_mode: 1
  - .args:
      - .address_space:  global
        .offset:         0
        .size:           8
        .value_kind:     global_buffer
      - .offset:         8
        .size:           4
        .value_kind:     by_value
      - .offset:         12
        .size:           4
        .value_kind:     by_value
      - .offset:         16
        .size:           8
        .value_kind:     by_value
      - .address_space:  global
        .offset:         24
        .size:           8
        .value_kind:     global_buffer
      - .offset:         32
        .size:           4
        .value_kind:     by_value
      - .offset:         40
        .size:           8
        .value_kind:     by_value
      - .address_space:  global
        .offset:         48
        .size:           8
        .value_kind:     global_buffer
      - .offset:         56
        .size:           1
        .value_kind:     by_value
      - .offset:         57
        .size:           1
        .value_kind:     by_value
    .group_segment_fixed_size: 4
    .kernarg_segment_align: 8
    .kernarg_segment_size: 60
    .language:       OpenCL C
    .language_version:
      - 2
      - 0
    .max_flat_workgroup_size: 64
    .name:           _ZN9rocsolver6v33100L18getri_kernel_smallILi1E19rocblas_complex_numIdEPKPS3_EEvT1_iilPiilS8_bb
    .private_segment_fixed_size: 0
    .sgpr_count:     17
    .sgpr_spill_count: 0
    .symbol:         _ZN9rocsolver6v33100L18getri_kernel_smallILi1E19rocblas_complex_numIdEPKPS3_EEvT1_iilPiilS8_bb.kd
    .uniform_work_group_size: 1
    .uses_dynamic_stack: false
    .vgpr_count:     12
    .vgpr_spill_count: 0
    .wavefront_size: 32
    .workgroup_processor_mode: 1
  - .args:
      - .address_space:  global
        .offset:         0
        .size:           8
        .value_kind:     global_buffer
      - .offset:         8
        .size:           4
        .value_kind:     by_value
      - .offset:         12
        .size:           4
        .value_kind:     by_value
      - .offset:         16
        .size:           8
        .value_kind:     by_value
      - .address_space:  global
        .offset:         24
        .size:           8
        .value_kind:     global_buffer
      - .offset:         32
        .size:           4
        .value_kind:     by_value
      - .offset:         40
        .size:           8
        .value_kind:     by_value
      - .address_space:  global
        .offset:         48
        .size:           8
        .value_kind:     global_buffer
      - .offset:         56
        .size:           1
        .value_kind:     by_value
      - .offset:         57
        .size:           1
        .value_kind:     by_value
    .group_segment_fixed_size: 1096
    .kernarg_segment_align: 8
    .kernarg_segment_size: 60
    .language:       OpenCL C
    .language_version:
      - 2
      - 0
    .max_flat_workgroup_size: 64
    .name:           _ZN9rocsolver6v33100L18getri_kernel_smallILi2E19rocblas_complex_numIdEPKPS3_EEvT1_iilPiilS8_bb
    .private_segment_fixed_size: 48
    .sgpr_count:     21
    .sgpr_spill_count: 0
    .symbol:         _ZN9rocsolver6v33100L18getri_kernel_smallILi2E19rocblas_complex_numIdEPKPS3_EEvT1_iilPiilS8_bb.kd
    .uniform_work_group_size: 1
    .uses_dynamic_stack: false
    .vgpr_count:     22
    .vgpr_spill_count: 0
    .wavefront_size: 32
    .workgroup_processor_mode: 1
  - .args:
      - .address_space:  global
        .offset:         0
        .size:           8
        .value_kind:     global_buffer
      - .offset:         8
        .size:           4
        .value_kind:     by_value
      - .offset:         12
        .size:           4
        .value_kind:     by_value
      - .offset:         16
        .size:           8
        .value_kind:     by_value
      - .address_space:  global
        .offset:         24
        .size:           8
        .value_kind:     global_buffer
      - .offset:         32
        .size:           4
        .value_kind:     by_value
      - .offset:         40
        .size:           8
        .value_kind:     by_value
      - .address_space:  global
        .offset:         48
        .size:           8
        .value_kind:     global_buffer
      - .offset:         56
        .size:           1
        .value_kind:     by_value
      - .offset:         57
        .size:           1
        .value_kind:     by_value
    .group_segment_fixed_size: 104
    .kernarg_segment_align: 8
    .kernarg_segment_size: 60
    .language:       OpenCL C
    .language_version:
      - 2
      - 0
    .max_flat_workgroup_size: 64
    .name:           _ZN9rocsolver6v33100L18getri_kernel_smallILi3E19rocblas_complex_numIdEPKPS3_EEvT1_iilPiilS8_bb
    .private_segment_fixed_size: 80
    .sgpr_count:     21
    .sgpr_spill_count: 0
    .symbol:         _ZN9rocsolver6v33100L18getri_kernel_smallILi3E19rocblas_complex_numIdEPKPS3_EEvT1_iilPiilS8_bb.kd
    .uniform_work_group_size: 1
    .uses_dynamic_stack: false
    .vgpr_count:     31
    .vgpr_spill_count: 0
    .wavefront_size: 32
    .workgroup_processor_mode: 1
  - .args:
      - .address_space:  global
        .offset:         0
        .size:           8
        .value_kind:     global_buffer
      - .offset:         8
        .size:           4
        .value_kind:     by_value
      - .offset:         12
        .size:           4
        .value_kind:     by_value
      - .offset:         16
        .size:           8
        .value_kind:     by_value
      - .address_space:  global
        .offset:         24
        .size:           8
        .value_kind:     global_buffer
      - .offset:         32
        .size:           4
        .value_kind:     by_value
      - .offset:         40
        .size:           8
        .value_kind:     by_value
      - .address_space:  global
        .offset:         48
        .size:           8
        .value_kind:     global_buffer
      - .offset:         56
        .size:           1
        .value_kind:     by_value
      - .offset:         57
        .size:           1
        .value_kind:     by_value
    .group_segment_fixed_size: 1160
    .kernarg_segment_align: 8
    .kernarg_segment_size: 60
    .language:       OpenCL C
    .language_version:
      - 2
      - 0
    .max_flat_workgroup_size: 64
    .name:           _ZN9rocsolver6v33100L18getri_kernel_smallILi4E19rocblas_complex_numIdEPKPS3_EEvT1_iilPiilS8_bb
    .private_segment_fixed_size: 80
    .sgpr_count:     21
    .sgpr_spill_count: 0
    .symbol:         _ZN9rocsolver6v33100L18getri_kernel_smallILi4E19rocblas_complex_numIdEPKPS3_EEvT1_iilPiilS8_bb.kd
    .uniform_work_group_size: 1
    .uses_dynamic_stack: false
    .vgpr_count:     40
    .vgpr_spill_count: 0
    .wavefront_size: 32
    .workgroup_processor_mode: 1
  - .args:
      - .address_space:  global
        .offset:         0
        .size:           8
        .value_kind:     global_buffer
      - .offset:         8
        .size:           4
        .value_kind:     by_value
      - .offset:         12
        .size:           4
        .value_kind:     by_value
      - .offset:         16
        .size:           8
        .value_kind:     by_value
      - .address_space:  global
        .offset:         24
        .size:           8
        .value_kind:     global_buffer
      - .offset:         32
        .size:           4
        .value_kind:     by_value
      - .offset:         40
        .size:           8
        .value_kind:     by_value
      - .address_space:  global
        .offset:         48
        .size:           8
        .value_kind:     global_buffer
      - .offset:         56
        .size:           1
        .value_kind:     by_value
      - .offset:         57
        .size:           1
        .value_kind:     by_value
    .group_segment_fixed_size: 1192
    .kernarg_segment_align: 8
    .kernarg_segment_size: 60
    .language:       OpenCL C
    .language_version:
      - 2
      - 0
    .max_flat_workgroup_size: 64
    .name:           _ZN9rocsolver6v33100L18getri_kernel_smallILi5E19rocblas_complex_numIdEPKPS3_EEvT1_iilPiilS8_bb
    .private_segment_fixed_size: 96
    .sgpr_count:     21
    .sgpr_spill_count: 0
    .symbol:         _ZN9rocsolver6v33100L18getri_kernel_smallILi5E19rocblas_complex_numIdEPKPS3_EEvT1_iilPiilS8_bb.kd
    .uniform_work_group_size: 1
    .uses_dynamic_stack: false
    .vgpr_count:     50
    .vgpr_spill_count: 0
    .wavefront_size: 32
    .workgroup_processor_mode: 1
  - .args:
      - .address_space:  global
        .offset:         0
        .size:           8
        .value_kind:     global_buffer
      - .offset:         8
        .size:           4
        .value_kind:     by_value
      - .offset:         12
        .size:           4
        .value_kind:     by_value
      - .offset:         16
        .size:           8
        .value_kind:     by_value
      - .address_space:  global
        .offset:         24
        .size:           8
        .value_kind:     global_buffer
      - .offset:         32
        .size:           4
        .value_kind:     by_value
      - .offset:         40
        .size:           8
        .value_kind:     by_value
      - .address_space:  global
        .offset:         48
        .size:           8
        .value_kind:     global_buffer
      - .offset:         56
        .size:           1
        .value_kind:     by_value
      - .offset:         57
        .size:           1
        .value_kind:     by_value
    .group_segment_fixed_size: 1224
    .kernarg_segment_align: 8
    .kernarg_segment_size: 60
    .language:       OpenCL C
    .language_version:
      - 2
      - 0
    .max_flat_workgroup_size: 64
    .name:           _ZN9rocsolver6v33100L18getri_kernel_smallILi6E19rocblas_complex_numIdEPKPS3_EEvT1_iilPiilS8_bb
    .private_segment_fixed_size: 112
    .sgpr_count:     21
    .sgpr_spill_count: 0
    .symbol:         _ZN9rocsolver6v33100L18getri_kernel_smallILi6E19rocblas_complex_numIdEPKPS3_EEvT1_iilPiilS8_bb.kd
    .uniform_work_group_size: 1
    .uses_dynamic_stack: false
    .vgpr_count:     56
    .vgpr_spill_count: 0
    .wavefront_size: 32
    .workgroup_processor_mode: 1
  - .args:
      - .address_space:  global
        .offset:         0
        .size:           8
        .value_kind:     global_buffer
      - .offset:         8
        .size:           4
        .value_kind:     by_value
      - .offset:         12
        .size:           4
        .value_kind:     by_value
      - .offset:         16
        .size:           8
        .value_kind:     by_value
      - .address_space:  global
        .offset:         24
        .size:           8
        .value_kind:     global_buffer
      - .offset:         32
        .size:           4
        .value_kind:     by_value
      - .offset:         40
        .size:           8
        .value_kind:     by_value
      - .address_space:  global
        .offset:         48
        .size:           8
        .value_kind:     global_buffer
      - .offset:         56
        .size:           1
        .value_kind:     by_value
      - .offset:         57
        .size:           1
        .value_kind:     by_value
    .group_segment_fixed_size: 1256
    .kernarg_segment_align: 8
    .kernarg_segment_size: 60
    .language:       OpenCL C
    .language_version:
      - 2
      - 0
    .max_flat_workgroup_size: 64
    .name:           _ZN9rocsolver6v33100L18getri_kernel_smallILi7E19rocblas_complex_numIdEPKPS3_EEvT1_iilPiilS8_bb
    .private_segment_fixed_size: 128
    .sgpr_count:     22
    .sgpr_spill_count: 0
    .symbol:         _ZN9rocsolver6v33100L18getri_kernel_smallILi7E19rocblas_complex_numIdEPKPS3_EEvT1_iilPiilS8_bb.kd
    .uniform_work_group_size: 1
    .uses_dynamic_stack: false
    .vgpr_count:     62
    .vgpr_spill_count: 0
    .wavefront_size: 32
    .workgroup_processor_mode: 1
  - .args:
      - .address_space:  global
        .offset:         0
        .size:           8
        .value_kind:     global_buffer
      - .offset:         8
        .size:           4
        .value_kind:     by_value
      - .offset:         12
        .size:           4
        .value_kind:     by_value
      - .offset:         16
        .size:           8
        .value_kind:     by_value
      - .address_space:  global
        .offset:         24
        .size:           8
        .value_kind:     global_buffer
      - .offset:         32
        .size:           4
        .value_kind:     by_value
      - .offset:         40
        .size:           8
        .value_kind:     by_value
      - .address_space:  global
        .offset:         48
        .size:           8
        .value_kind:     global_buffer
      - .offset:         56
        .size:           1
        .value_kind:     by_value
      - .offset:         57
        .size:           1
        .value_kind:     by_value
    .group_segment_fixed_size: 1288
    .kernarg_segment_align: 8
    .kernarg_segment_size: 60
    .language:       OpenCL C
    .language_version:
      - 2
      - 0
    .max_flat_workgroup_size: 64
    .name:           _ZN9rocsolver6v33100L18getri_kernel_smallILi8E19rocblas_complex_numIdEPKPS3_EEvT1_iilPiilS8_bb
    .private_segment_fixed_size: 144
    .sgpr_count:     23
    .sgpr_spill_count: 0
    .symbol:         _ZN9rocsolver6v33100L18getri_kernel_smallILi8E19rocblas_complex_numIdEPKPS3_EEvT1_iilPiilS8_bb.kd
    .uniform_work_group_size: 1
    .uses_dynamic_stack: false
    .vgpr_count:     68
    .vgpr_spill_count: 0
    .wavefront_size: 32
    .workgroup_processor_mode: 1
  - .args:
      - .address_space:  global
        .offset:         0
        .size:           8
        .value_kind:     global_buffer
      - .offset:         8
        .size:           4
        .value_kind:     by_value
      - .offset:         12
        .size:           4
        .value_kind:     by_value
      - .offset:         16
        .size:           8
        .value_kind:     by_value
      - .address_space:  global
        .offset:         24
        .size:           8
        .value_kind:     global_buffer
      - .offset:         32
        .size:           4
        .value_kind:     by_value
      - .offset:         40
        .size:           8
        .value_kind:     by_value
      - .address_space:  global
        .offset:         48
        .size:           8
        .value_kind:     global_buffer
      - .offset:         56
        .size:           1
        .value_kind:     by_value
      - .offset:         57
        .size:           1
        .value_kind:     by_value
    .group_segment_fixed_size: 1320
    .kernarg_segment_align: 8
    .kernarg_segment_size: 60
    .language:       OpenCL C
    .language_version:
      - 2
      - 0
    .max_flat_workgroup_size: 64
    .name:           _ZN9rocsolver6v33100L18getri_kernel_smallILi9E19rocblas_complex_numIdEPKPS3_EEvT1_iilPiilS8_bb
    .private_segment_fixed_size: 160
    .sgpr_count:     24
    .sgpr_spill_count: 0
    .symbol:         _ZN9rocsolver6v33100L18getri_kernel_smallILi9E19rocblas_complex_numIdEPKPS3_EEvT1_iilPiilS8_bb.kd
    .uniform_work_group_size: 1
    .uses_dynamic_stack: false
    .vgpr_count:     74
    .vgpr_spill_count: 0
    .wavefront_size: 32
    .workgroup_processor_mode: 1
  - .args:
      - .address_space:  global
        .offset:         0
        .size:           8
        .value_kind:     global_buffer
      - .offset:         8
        .size:           4
        .value_kind:     by_value
      - .offset:         12
        .size:           4
        .value_kind:     by_value
      - .offset:         16
        .size:           8
        .value_kind:     by_value
      - .address_space:  global
        .offset:         24
        .size:           8
        .value_kind:     global_buffer
      - .offset:         32
        .size:           4
        .value_kind:     by_value
      - .offset:         40
        .size:           8
        .value_kind:     by_value
      - .address_space:  global
        .offset:         48
        .size:           8
        .value_kind:     global_buffer
      - .offset:         56
        .size:           1
        .value_kind:     by_value
      - .offset:         57
        .size:           1
        .value_kind:     by_value
    .group_segment_fixed_size: 1352
    .kernarg_segment_align: 8
    .kernarg_segment_size: 60
    .language:       OpenCL C
    .language_version:
      - 2
      - 0
    .max_flat_workgroup_size: 64
    .name:           _ZN9rocsolver6v33100L18getri_kernel_smallILi10E19rocblas_complex_numIdEPKPS3_EEvT1_iilPiilS8_bb
    .private_segment_fixed_size: 176
    .sgpr_count:     25
    .sgpr_spill_count: 0
    .symbol:         _ZN9rocsolver6v33100L18getri_kernel_smallILi10E19rocblas_complex_numIdEPKPS3_EEvT1_iilPiilS8_bb.kd
    .uniform_work_group_size: 1
    .uses_dynamic_stack: false
    .vgpr_count:     80
    .vgpr_spill_count: 0
    .wavefront_size: 32
    .workgroup_processor_mode: 1
  - .args:
      - .address_space:  global
        .offset:         0
        .size:           8
        .value_kind:     global_buffer
      - .offset:         8
        .size:           4
        .value_kind:     by_value
      - .offset:         12
        .size:           4
        .value_kind:     by_value
      - .offset:         16
        .size:           8
        .value_kind:     by_value
      - .address_space:  global
        .offset:         24
        .size:           8
        .value_kind:     global_buffer
      - .offset:         32
        .size:           4
        .value_kind:     by_value
      - .offset:         40
        .size:           8
        .value_kind:     by_value
      - .address_space:  global
        .offset:         48
        .size:           8
        .value_kind:     global_buffer
      - .offset:         56
        .size:           1
        .value_kind:     by_value
      - .offset:         57
        .size:           1
        .value_kind:     by_value
    .group_segment_fixed_size: 1384
    .kernarg_segment_align: 8
    .kernarg_segment_size: 60
    .language:       OpenCL C
    .language_version:
      - 2
      - 0
    .max_flat_workgroup_size: 64
    .name:           _ZN9rocsolver6v33100L18getri_kernel_smallILi11E19rocblas_complex_numIdEPKPS3_EEvT1_iilPiilS8_bb
    .private_segment_fixed_size: 192
    .sgpr_count:     26
    .sgpr_spill_count: 0
    .symbol:         _ZN9rocsolver6v33100L18getri_kernel_smallILi11E19rocblas_complex_numIdEPKPS3_EEvT1_iilPiilS8_bb.kd
    .uniform_work_group_size: 1
    .uses_dynamic_stack: false
    .vgpr_count:     86
    .vgpr_spill_count: 0
    .wavefront_size: 32
    .workgroup_processor_mode: 1
  - .args:
      - .address_space:  global
        .offset:         0
        .size:           8
        .value_kind:     global_buffer
      - .offset:         8
        .size:           4
        .value_kind:     by_value
      - .offset:         12
        .size:           4
        .value_kind:     by_value
      - .offset:         16
        .size:           8
        .value_kind:     by_value
      - .address_space:  global
        .offset:         24
        .size:           8
        .value_kind:     global_buffer
      - .offset:         32
        .size:           4
        .value_kind:     by_value
      - .offset:         40
        .size:           8
        .value_kind:     by_value
      - .address_space:  global
        .offset:         48
        .size:           8
        .value_kind:     global_buffer
      - .offset:         56
        .size:           1
        .value_kind:     by_value
      - .offset:         57
        .size:           1
        .value_kind:     by_value
    .group_segment_fixed_size: 1416
    .kernarg_segment_align: 8
    .kernarg_segment_size: 60
    .language:       OpenCL C
    .language_version:
      - 2
      - 0
    .max_flat_workgroup_size: 64
    .name:           _ZN9rocsolver6v33100L18getri_kernel_smallILi12E19rocblas_complex_numIdEPKPS3_EEvT1_iilPiilS8_bb
    .private_segment_fixed_size: 208
    .sgpr_count:     27
    .sgpr_spill_count: 0
    .symbol:         _ZN9rocsolver6v33100L18getri_kernel_smallILi12E19rocblas_complex_numIdEPKPS3_EEvT1_iilPiilS8_bb.kd
    .uniform_work_group_size: 1
    .uses_dynamic_stack: false
    .vgpr_count:     92
    .vgpr_spill_count: 0
    .wavefront_size: 32
    .workgroup_processor_mode: 1
  - .args:
      - .address_space:  global
        .offset:         0
        .size:           8
        .value_kind:     global_buffer
      - .offset:         8
        .size:           4
        .value_kind:     by_value
      - .offset:         12
        .size:           4
        .value_kind:     by_value
      - .offset:         16
        .size:           8
        .value_kind:     by_value
      - .address_space:  global
        .offset:         24
        .size:           8
        .value_kind:     global_buffer
      - .offset:         32
        .size:           4
        .value_kind:     by_value
      - .offset:         40
        .size:           8
        .value_kind:     by_value
      - .address_space:  global
        .offset:         48
        .size:           8
        .value_kind:     global_buffer
      - .offset:         56
        .size:           1
        .value_kind:     by_value
      - .offset:         57
        .size:           1
        .value_kind:     by_value
    .group_segment_fixed_size: 1448
    .kernarg_segment_align: 8
    .kernarg_segment_size: 60
    .language:       OpenCL C
    .language_version:
      - 2
      - 0
    .max_flat_workgroup_size: 64
    .name:           _ZN9rocsolver6v33100L18getri_kernel_smallILi13E19rocblas_complex_numIdEPKPS3_EEvT1_iilPiilS8_bb
    .private_segment_fixed_size: 224
    .sgpr_count:     28
    .sgpr_spill_count: 0
    .symbol:         _ZN9rocsolver6v33100L18getri_kernel_smallILi13E19rocblas_complex_numIdEPKPS3_EEvT1_iilPiilS8_bb.kd
    .uniform_work_group_size: 1
    .uses_dynamic_stack: false
    .vgpr_count:     96
    .vgpr_spill_count: 0
    .wavefront_size: 32
    .workgroup_processor_mode: 1
  - .args:
      - .address_space:  global
        .offset:         0
        .size:           8
        .value_kind:     global_buffer
      - .offset:         8
        .size:           4
        .value_kind:     by_value
      - .offset:         12
        .size:           4
        .value_kind:     by_value
      - .offset:         16
        .size:           8
        .value_kind:     by_value
      - .address_space:  global
        .offset:         24
        .size:           8
        .value_kind:     global_buffer
      - .offset:         32
        .size:           4
        .value_kind:     by_value
      - .offset:         40
        .size:           8
        .value_kind:     by_value
      - .address_space:  global
        .offset:         48
        .size:           8
        .value_kind:     global_buffer
      - .offset:         56
        .size:           1
        .value_kind:     by_value
      - .offset:         57
        .size:           1
        .value_kind:     by_value
    .group_segment_fixed_size: 1480
    .kernarg_segment_align: 8
    .kernarg_segment_size: 60
    .language:       OpenCL C
    .language_version:
      - 2
      - 0
    .max_flat_workgroup_size: 64
    .name:           _ZN9rocsolver6v33100L18getri_kernel_smallILi14E19rocblas_complex_numIdEPKPS3_EEvT1_iilPiilS8_bb
    .private_segment_fixed_size: 240
    .sgpr_count:     29
    .sgpr_spill_count: 0
    .symbol:         _ZN9rocsolver6v33100L18getri_kernel_smallILi14E19rocblas_complex_numIdEPKPS3_EEvT1_iilPiilS8_bb.kd
    .uniform_work_group_size: 1
    .uses_dynamic_stack: false
    .vgpr_count:     100
    .vgpr_spill_count: 0
    .wavefront_size: 32
    .workgroup_processor_mode: 1
  - .args:
      - .address_space:  global
        .offset:         0
        .size:           8
        .value_kind:     global_buffer
      - .offset:         8
        .size:           4
        .value_kind:     by_value
      - .offset:         12
        .size:           4
        .value_kind:     by_value
      - .offset:         16
        .size:           8
        .value_kind:     by_value
      - .address_space:  global
        .offset:         24
        .size:           8
        .value_kind:     global_buffer
      - .offset:         32
        .size:           4
        .value_kind:     by_value
      - .offset:         40
        .size:           8
        .value_kind:     by_value
      - .address_space:  global
        .offset:         48
        .size:           8
        .value_kind:     global_buffer
      - .offset:         56
        .size:           1
        .value_kind:     by_value
      - .offset:         57
        .size:           1
        .value_kind:     by_value
    .group_segment_fixed_size: 1512
    .kernarg_segment_align: 8
    .kernarg_segment_size: 60
    .language:       OpenCL C
    .language_version:
      - 2
      - 0
    .max_flat_workgroup_size: 64
    .name:           _ZN9rocsolver6v33100L18getri_kernel_smallILi15E19rocblas_complex_numIdEPKPS3_EEvT1_iilPiilS8_bb
    .private_segment_fixed_size: 256
    .sgpr_count:     30
    .sgpr_spill_count: 0
    .symbol:         _ZN9rocsolver6v33100L18getri_kernel_smallILi15E19rocblas_complex_numIdEPKPS3_EEvT1_iilPiilS8_bb.kd
    .uniform_work_group_size: 1
    .uses_dynamic_stack: false
    .vgpr_count:     104
    .vgpr_spill_count: 0
    .wavefront_size: 32
    .workgroup_processor_mode: 1
  - .args:
      - .address_space:  global
        .offset:         0
        .size:           8
        .value_kind:     global_buffer
      - .offset:         8
        .size:           4
        .value_kind:     by_value
      - .offset:         12
        .size:           4
        .value_kind:     by_value
      - .offset:         16
        .size:           8
        .value_kind:     by_value
      - .address_space:  global
        .offset:         24
        .size:           8
        .value_kind:     global_buffer
      - .offset:         32
        .size:           4
        .value_kind:     by_value
      - .offset:         40
        .size:           8
        .value_kind:     by_value
      - .address_space:  global
        .offset:         48
        .size:           8
        .value_kind:     global_buffer
      - .offset:         56
        .size:           1
        .value_kind:     by_value
      - .offset:         57
        .size:           1
        .value_kind:     by_value
    .group_segment_fixed_size: 1544
    .kernarg_segment_align: 8
    .kernarg_segment_size: 60
    .language:       OpenCL C
    .language_version:
      - 2
      - 0
    .max_flat_workgroup_size: 64
    .name:           _ZN9rocsolver6v33100L18getri_kernel_smallILi16E19rocblas_complex_numIdEPKPS3_EEvT1_iilPiilS8_bb
    .private_segment_fixed_size: 272
    .sgpr_count:     31
    .sgpr_spill_count: 0
    .symbol:         _ZN9rocsolver6v33100L18getri_kernel_smallILi16E19rocblas_complex_numIdEPKPS3_EEvT1_iilPiilS8_bb.kd
    .uniform_work_group_size: 1
    .uses_dynamic_stack: false
    .vgpr_count:     106
    .vgpr_spill_count: 0
    .wavefront_size: 32
    .workgroup_processor_mode: 1
  - .args:
      - .address_space:  global
        .offset:         0
        .size:           8
        .value_kind:     global_buffer
      - .offset:         8
        .size:           4
        .value_kind:     by_value
      - .offset:         12
        .size:           4
        .value_kind:     by_value
      - .offset:         16
        .size:           8
        .value_kind:     by_value
      - .address_space:  global
        .offset:         24
        .size:           8
        .value_kind:     global_buffer
      - .offset:         32
        .size:           4
        .value_kind:     by_value
      - .offset:         40
        .size:           8
        .value_kind:     by_value
      - .address_space:  global
        .offset:         48
        .size:           8
        .value_kind:     global_buffer
      - .offset:         56
        .size:           1
        .value_kind:     by_value
      - .offset:         57
        .size:           1
        .value_kind:     by_value
    .group_segment_fixed_size: 552
    .kernarg_segment_align: 8
    .kernarg_segment_size: 60
    .language:       OpenCL C
    .language_version:
      - 2
      - 0
    .max_flat_workgroup_size: 64
    .name:           _ZN9rocsolver6v33100L18getri_kernel_smallILi17E19rocblas_complex_numIdEPKPS3_EEvT1_iilPiilS8_bb
    .private_segment_fixed_size: 304
    .sgpr_count:     30
    .sgpr_spill_count: 0
    .symbol:         _ZN9rocsolver6v33100L18getri_kernel_smallILi17E19rocblas_complex_numIdEPKPS3_EEvT1_iilPiilS8_bb.kd
    .uniform_work_group_size: 1
    .uses_dynamic_stack: false
    .vgpr_count:     107
    .vgpr_spill_count: 0
    .wavefront_size: 32
    .workgroup_processor_mode: 1
  - .args:
      - .address_space:  global
        .offset:         0
        .size:           8
        .value_kind:     global_buffer
      - .offset:         8
        .size:           4
        .value_kind:     by_value
      - .offset:         12
        .size:           4
        .value_kind:     by_value
      - .offset:         16
        .size:           8
        .value_kind:     by_value
      - .address_space:  global
        .offset:         24
        .size:           8
        .value_kind:     global_buffer
      - .offset:         32
        .size:           4
        .value_kind:     by_value
      - .offset:         40
        .size:           8
        .value_kind:     by_value
      - .address_space:  global
        .offset:         48
        .size:           8
        .value_kind:     global_buffer
      - .offset:         56
        .size:           1
        .value_kind:     by_value
      - .offset:         57
        .size:           1
        .value_kind:     by_value
    .group_segment_fixed_size: 584
    .kernarg_segment_align: 8
    .kernarg_segment_size: 60
    .language:       OpenCL C
    .language_version:
      - 2
      - 0
    .max_flat_workgroup_size: 64
    .name:           _ZN9rocsolver6v33100L18getri_kernel_smallILi18E19rocblas_complex_numIdEPKPS3_EEvT1_iilPiilS8_bb
    .private_segment_fixed_size: 320
    .sgpr_count:     31
    .sgpr_spill_count: 0
    .symbol:         _ZN9rocsolver6v33100L18getri_kernel_smallILi18E19rocblas_complex_numIdEPKPS3_EEvT1_iilPiilS8_bb.kd
    .uniform_work_group_size: 1
    .uses_dynamic_stack: false
    .vgpr_count:     109
    .vgpr_spill_count: 0
    .wavefront_size: 32
    .workgroup_processor_mode: 1
  - .args:
      - .address_space:  global
        .offset:         0
        .size:           8
        .value_kind:     global_buffer
      - .offset:         8
        .size:           4
        .value_kind:     by_value
      - .offset:         12
        .size:           4
        .value_kind:     by_value
      - .offset:         16
        .size:           8
        .value_kind:     by_value
      - .address_space:  global
        .offset:         24
        .size:           8
        .value_kind:     global_buffer
      - .offset:         32
        .size:           4
        .value_kind:     by_value
      - .offset:         40
        .size:           8
        .value_kind:     by_value
      - .address_space:  global
        .offset:         48
        .size:           8
        .value_kind:     global_buffer
      - .offset:         56
        .size:           1
        .value_kind:     by_value
      - .offset:         57
        .size:           1
        .value_kind:     by_value
    .group_segment_fixed_size: 616
    .kernarg_segment_align: 8
    .kernarg_segment_size: 60
    .language:       OpenCL C
    .language_version:
      - 2
      - 0
    .max_flat_workgroup_size: 64
    .name:           _ZN9rocsolver6v33100L18getri_kernel_smallILi19E19rocblas_complex_numIdEPKPS3_EEvT1_iilPiilS8_bb
    .private_segment_fixed_size: 336
    .sgpr_count:     32
    .sgpr_spill_count: 0
    .symbol:         _ZN9rocsolver6v33100L18getri_kernel_smallILi19E19rocblas_complex_numIdEPKPS3_EEvT1_iilPiilS8_bb.kd
    .uniform_work_group_size: 1
    .uses_dynamic_stack: false
    .vgpr_count:     111
    .vgpr_spill_count: 0
    .wavefront_size: 32
    .workgroup_processor_mode: 1
  - .args:
      - .address_space:  global
        .offset:         0
        .size:           8
        .value_kind:     global_buffer
      - .offset:         8
        .size:           4
        .value_kind:     by_value
      - .offset:         12
        .size:           4
        .value_kind:     by_value
      - .offset:         16
        .size:           8
        .value_kind:     by_value
      - .address_space:  global
        .offset:         24
        .size:           8
        .value_kind:     global_buffer
      - .offset:         32
        .size:           4
        .value_kind:     by_value
      - .offset:         40
        .size:           8
        .value_kind:     by_value
      - .address_space:  global
        .offset:         48
        .size:           8
        .value_kind:     global_buffer
      - .offset:         56
        .size:           1
        .value_kind:     by_value
      - .offset:         57
        .size:           1
        .value_kind:     by_value
    .group_segment_fixed_size: 648
    .kernarg_segment_align: 8
    .kernarg_segment_size: 60
    .language:       OpenCL C
    .language_version:
      - 2
      - 0
    .max_flat_workgroup_size: 64
    .name:           _ZN9rocsolver6v33100L18getri_kernel_smallILi20E19rocblas_complex_numIdEPKPS3_EEvT1_iilPiilS8_bb
    .private_segment_fixed_size: 352
    .sgpr_count:     33
    .sgpr_spill_count: 0
    .symbol:         _ZN9rocsolver6v33100L18getri_kernel_smallILi20E19rocblas_complex_numIdEPKPS3_EEvT1_iilPiilS8_bb.kd
    .uniform_work_group_size: 1
    .uses_dynamic_stack: false
    .vgpr_count:     113
    .vgpr_spill_count: 0
    .wavefront_size: 32
    .workgroup_processor_mode: 1
  - .args:
      - .address_space:  global
        .offset:         0
        .size:           8
        .value_kind:     global_buffer
      - .offset:         8
        .size:           4
        .value_kind:     by_value
      - .offset:         12
        .size:           4
        .value_kind:     by_value
      - .offset:         16
        .size:           8
        .value_kind:     by_value
      - .address_space:  global
        .offset:         24
        .size:           8
        .value_kind:     global_buffer
      - .offset:         32
        .size:           4
        .value_kind:     by_value
      - .offset:         40
        .size:           8
        .value_kind:     by_value
      - .address_space:  global
        .offset:         48
        .size:           8
        .value_kind:     global_buffer
      - .offset:         56
        .size:           1
        .value_kind:     by_value
      - .offset:         57
        .size:           1
        .value_kind:     by_value
    .group_segment_fixed_size: 680
    .kernarg_segment_align: 8
    .kernarg_segment_size: 60
    .language:       OpenCL C
    .language_version:
      - 2
      - 0
    .max_flat_workgroup_size: 64
    .name:           _ZN9rocsolver6v33100L18getri_kernel_smallILi21E19rocblas_complex_numIdEPKPS3_EEvT1_iilPiilS8_bb
    .private_segment_fixed_size: 368
    .sgpr_count:     34
    .sgpr_spill_count: 0
    .symbol:         _ZN9rocsolver6v33100L18getri_kernel_smallILi21E19rocblas_complex_numIdEPKPS3_EEvT1_iilPiilS8_bb.kd
    .uniform_work_group_size: 1
    .uses_dynamic_stack: false
    .vgpr_count:     115
    .vgpr_spill_count: 0
    .wavefront_size: 32
    .workgroup_processor_mode: 1
  - .args:
      - .address_space:  global
        .offset:         0
        .size:           8
        .value_kind:     global_buffer
      - .offset:         8
        .size:           4
        .value_kind:     by_value
      - .offset:         12
        .size:           4
        .value_kind:     by_value
      - .offset:         16
        .size:           8
        .value_kind:     by_value
      - .address_space:  global
        .offset:         24
        .size:           8
        .value_kind:     global_buffer
      - .offset:         32
        .size:           4
        .value_kind:     by_value
      - .offset:         40
        .size:           8
        .value_kind:     by_value
      - .address_space:  global
        .offset:         48
        .size:           8
        .value_kind:     global_buffer
      - .offset:         56
        .size:           1
        .value_kind:     by_value
      - .offset:         57
        .size:           1
        .value_kind:     by_value
    .group_segment_fixed_size: 712
    .kernarg_segment_align: 8
    .kernarg_segment_size: 60
    .language:       OpenCL C
    .language_version:
      - 2
      - 0
    .max_flat_workgroup_size: 64
    .name:           _ZN9rocsolver6v33100L18getri_kernel_smallILi22E19rocblas_complex_numIdEPKPS3_EEvT1_iilPiilS8_bb
    .private_segment_fixed_size: 384
    .sgpr_count:     36
    .sgpr_spill_count: 0
    .symbol:         _ZN9rocsolver6v33100L18getri_kernel_smallILi22E19rocblas_complex_numIdEPKPS3_EEvT1_iilPiilS8_bb.kd
    .uniform_work_group_size: 1
    .uses_dynamic_stack: false
    .vgpr_count:     117
    .vgpr_spill_count: 0
    .wavefront_size: 32
    .workgroup_processor_mode: 1
  - .args:
      - .address_space:  global
        .offset:         0
        .size:           8
        .value_kind:     global_buffer
      - .offset:         8
        .size:           4
        .value_kind:     by_value
      - .offset:         12
        .size:           4
        .value_kind:     by_value
      - .offset:         16
        .size:           8
        .value_kind:     by_value
      - .address_space:  global
        .offset:         24
        .size:           8
        .value_kind:     global_buffer
      - .offset:         32
        .size:           4
        .value_kind:     by_value
      - .offset:         40
        .size:           8
        .value_kind:     by_value
      - .address_space:  global
        .offset:         48
        .size:           8
        .value_kind:     global_buffer
      - .offset:         56
        .size:           1
        .value_kind:     by_value
      - .offset:         57
        .size:           1
        .value_kind:     by_value
    .group_segment_fixed_size: 744
    .kernarg_segment_align: 8
    .kernarg_segment_size: 60
    .language:       OpenCL C
    .language_version:
      - 2
      - 0
    .max_flat_workgroup_size: 64
    .name:           _ZN9rocsolver6v33100L18getri_kernel_smallILi23E19rocblas_complex_numIdEPKPS3_EEvT1_iilPiilS8_bb
    .private_segment_fixed_size: 400
    .sgpr_count:     38
    .sgpr_spill_count: 0
    .symbol:         _ZN9rocsolver6v33100L18getri_kernel_smallILi23E19rocblas_complex_numIdEPKPS3_EEvT1_iilPiilS8_bb.kd
    .uniform_work_group_size: 1
    .uses_dynamic_stack: false
    .vgpr_count:     119
    .vgpr_spill_count: 0
    .wavefront_size: 32
    .workgroup_processor_mode: 1
  - .args:
      - .address_space:  global
        .offset:         0
        .size:           8
        .value_kind:     global_buffer
      - .offset:         8
        .size:           4
        .value_kind:     by_value
      - .offset:         12
        .size:           4
        .value_kind:     by_value
      - .offset:         16
        .size:           8
        .value_kind:     by_value
      - .address_space:  global
        .offset:         24
        .size:           8
        .value_kind:     global_buffer
      - .offset:         32
        .size:           4
        .value_kind:     by_value
      - .offset:         40
        .size:           8
        .value_kind:     by_value
      - .address_space:  global
        .offset:         48
        .size:           8
        .value_kind:     global_buffer
      - .offset:         56
        .size:           1
        .value_kind:     by_value
      - .offset:         57
        .size:           1
        .value_kind:     by_value
    .group_segment_fixed_size: 776
    .kernarg_segment_align: 8
    .kernarg_segment_size: 60
    .language:       OpenCL C
    .language_version:
      - 2
      - 0
    .max_flat_workgroup_size: 64
    .name:           _ZN9rocsolver6v33100L18getri_kernel_smallILi24E19rocblas_complex_numIdEPKPS3_EEvT1_iilPiilS8_bb
    .private_segment_fixed_size: 416
    .sgpr_count:     38
    .sgpr_spill_count: 0
    .symbol:         _ZN9rocsolver6v33100L18getri_kernel_smallILi24E19rocblas_complex_numIdEPKPS3_EEvT1_iilPiilS8_bb.kd
    .uniform_work_group_size: 1
    .uses_dynamic_stack: false
    .vgpr_count:     121
    .vgpr_spill_count: 0
    .wavefront_size: 32
    .workgroup_processor_mode: 1
  - .args:
      - .address_space:  global
        .offset:         0
        .size:           8
        .value_kind:     global_buffer
      - .offset:         8
        .size:           4
        .value_kind:     by_value
      - .offset:         12
        .size:           4
        .value_kind:     by_value
      - .offset:         16
        .size:           8
        .value_kind:     by_value
      - .address_space:  global
        .offset:         24
        .size:           8
        .value_kind:     global_buffer
      - .offset:         32
        .size:           4
        .value_kind:     by_value
      - .offset:         40
        .size:           8
        .value_kind:     by_value
      - .address_space:  global
        .offset:         48
        .size:           8
        .value_kind:     global_buffer
      - .offset:         56
        .size:           1
        .value_kind:     by_value
      - .offset:         57
        .size:           1
        .value_kind:     by_value
    .group_segment_fixed_size: 808
    .kernarg_segment_align: 8
    .kernarg_segment_size: 60
    .language:       OpenCL C
    .language_version:
      - 2
      - 0
    .max_flat_workgroup_size: 64
    .name:           _ZN9rocsolver6v33100L18getri_kernel_smallILi25E19rocblas_complex_numIdEPKPS3_EEvT1_iilPiilS8_bb
    .private_segment_fixed_size: 432
    .sgpr_count:     39
    .sgpr_spill_count: 0
    .symbol:         _ZN9rocsolver6v33100L18getri_kernel_smallILi25E19rocblas_complex_numIdEPKPS3_EEvT1_iilPiilS8_bb.kd
    .uniform_work_group_size: 1
    .uses_dynamic_stack: false
    .vgpr_count:     123
    .vgpr_spill_count: 0
    .wavefront_size: 32
    .workgroup_processor_mode: 1
  - .args:
      - .address_space:  global
        .offset:         0
        .size:           8
        .value_kind:     global_buffer
      - .offset:         8
        .size:           4
        .value_kind:     by_value
      - .offset:         12
        .size:           4
        .value_kind:     by_value
      - .offset:         16
        .size:           8
        .value_kind:     by_value
      - .address_space:  global
        .offset:         24
        .size:           8
        .value_kind:     global_buffer
      - .offset:         32
        .size:           4
        .value_kind:     by_value
      - .offset:         40
        .size:           8
        .value_kind:     by_value
      - .address_space:  global
        .offset:         48
        .size:           8
        .value_kind:     global_buffer
      - .offset:         56
        .size:           1
        .value_kind:     by_value
      - .offset:         57
        .size:           1
        .value_kind:     by_value
    .group_segment_fixed_size: 840
    .kernarg_segment_align: 8
    .kernarg_segment_size: 60
    .language:       OpenCL C
    .language_version:
      - 2
      - 0
    .max_flat_workgroup_size: 64
    .name:           _ZN9rocsolver6v33100L18getri_kernel_smallILi26E19rocblas_complex_numIdEPKPS3_EEvT1_iilPiilS8_bb
    .private_segment_fixed_size: 448
    .sgpr_count:     40
    .sgpr_spill_count: 0
    .symbol:         _ZN9rocsolver6v33100L18getri_kernel_smallILi26E19rocblas_complex_numIdEPKPS3_EEvT1_iilPiilS8_bb.kd
    .uniform_work_group_size: 1
    .uses_dynamic_stack: false
    .vgpr_count:     125
    .vgpr_spill_count: 0
    .wavefront_size: 32
    .workgroup_processor_mode: 1
  - .args:
      - .address_space:  global
        .offset:         0
        .size:           8
        .value_kind:     global_buffer
      - .offset:         8
        .size:           4
        .value_kind:     by_value
      - .offset:         12
        .size:           4
        .value_kind:     by_value
      - .offset:         16
        .size:           8
        .value_kind:     by_value
      - .address_space:  global
        .offset:         24
        .size:           8
        .value_kind:     global_buffer
      - .offset:         32
        .size:           4
        .value_kind:     by_value
      - .offset:         40
        .size:           8
        .value_kind:     by_value
      - .address_space:  global
        .offset:         48
        .size:           8
        .value_kind:     global_buffer
      - .offset:         56
        .size:           1
        .value_kind:     by_value
      - .offset:         57
        .size:           1
        .value_kind:     by_value
    .group_segment_fixed_size: 872
    .kernarg_segment_align: 8
    .kernarg_segment_size: 60
    .language:       OpenCL C
    .language_version:
      - 2
      - 0
    .max_flat_workgroup_size: 64
    .name:           _ZN9rocsolver6v33100L18getri_kernel_smallILi27E19rocblas_complex_numIdEPKPS3_EEvT1_iilPiilS8_bb
    .private_segment_fixed_size: 464
    .sgpr_count:     41
    .sgpr_spill_count: 0
    .symbol:         _ZN9rocsolver6v33100L18getri_kernel_smallILi27E19rocblas_complex_numIdEPKPS3_EEvT1_iilPiilS8_bb.kd
    .uniform_work_group_size: 1
    .uses_dynamic_stack: false
    .vgpr_count:     127
    .vgpr_spill_count: 0
    .wavefront_size: 32
    .workgroup_processor_mode: 1
  - .args:
      - .address_space:  global
        .offset:         0
        .size:           8
        .value_kind:     global_buffer
      - .offset:         8
        .size:           4
        .value_kind:     by_value
      - .offset:         12
        .size:           4
        .value_kind:     by_value
      - .offset:         16
        .size:           8
        .value_kind:     by_value
      - .address_space:  global
        .offset:         24
        .size:           8
        .value_kind:     global_buffer
      - .offset:         32
        .size:           4
        .value_kind:     by_value
      - .offset:         40
        .size:           8
        .value_kind:     by_value
      - .address_space:  global
        .offset:         48
        .size:           8
        .value_kind:     global_buffer
      - .offset:         56
        .size:           1
        .value_kind:     by_value
      - .offset:         57
        .size:           1
        .value_kind:     by_value
    .group_segment_fixed_size: 904
    .kernarg_segment_align: 8
    .kernarg_segment_size: 60
    .language:       OpenCL C
    .language_version:
      - 2
      - 0
    .max_flat_workgroup_size: 64
    .name:           _ZN9rocsolver6v33100L18getri_kernel_smallILi28E19rocblas_complex_numIdEPKPS3_EEvT1_iilPiilS8_bb
    .private_segment_fixed_size: 480
    .sgpr_count:     42
    .sgpr_spill_count: 0
    .symbol:         _ZN9rocsolver6v33100L18getri_kernel_smallILi28E19rocblas_complex_numIdEPKPS3_EEvT1_iilPiilS8_bb.kd
    .uniform_work_group_size: 1
    .uses_dynamic_stack: false
    .vgpr_count:     129
    .vgpr_spill_count: 0
    .wavefront_size: 32
    .workgroup_processor_mode: 1
  - .args:
      - .address_space:  global
        .offset:         0
        .size:           8
        .value_kind:     global_buffer
      - .offset:         8
        .size:           4
        .value_kind:     by_value
      - .offset:         12
        .size:           4
        .value_kind:     by_value
      - .offset:         16
        .size:           8
        .value_kind:     by_value
      - .address_space:  global
        .offset:         24
        .size:           8
        .value_kind:     global_buffer
      - .offset:         32
        .size:           4
        .value_kind:     by_value
      - .offset:         40
        .size:           8
        .value_kind:     by_value
      - .address_space:  global
        .offset:         48
        .size:           8
        .value_kind:     global_buffer
      - .offset:         56
        .size:           1
        .value_kind:     by_value
      - .offset:         57
        .size:           1
        .value_kind:     by_value
    .group_segment_fixed_size: 936
    .kernarg_segment_align: 8
    .kernarg_segment_size: 60
    .language:       OpenCL C
    .language_version:
      - 2
      - 0
    .max_flat_workgroup_size: 64
    .name:           _ZN9rocsolver6v33100L18getri_kernel_smallILi29E19rocblas_complex_numIdEPKPS3_EEvT1_iilPiilS8_bb
    .private_segment_fixed_size: 496
    .sgpr_count:     43
    .sgpr_spill_count: 0
    .symbol:         _ZN9rocsolver6v33100L18getri_kernel_smallILi29E19rocblas_complex_numIdEPKPS3_EEvT1_iilPiilS8_bb.kd
    .uniform_work_group_size: 1
    .uses_dynamic_stack: false
    .vgpr_count:     131
    .vgpr_spill_count: 0
    .wavefront_size: 32
    .workgroup_processor_mode: 1
  - .args:
      - .address_space:  global
        .offset:         0
        .size:           8
        .value_kind:     global_buffer
      - .offset:         8
        .size:           4
        .value_kind:     by_value
      - .offset:         12
        .size:           4
        .value_kind:     by_value
      - .offset:         16
        .size:           8
        .value_kind:     by_value
      - .address_space:  global
        .offset:         24
        .size:           8
        .value_kind:     global_buffer
      - .offset:         32
        .size:           4
        .value_kind:     by_value
      - .offset:         40
        .size:           8
        .value_kind:     by_value
      - .address_space:  global
        .offset:         48
        .size:           8
        .value_kind:     global_buffer
      - .offset:         56
        .size:           1
        .value_kind:     by_value
      - .offset:         57
        .size:           1
        .value_kind:     by_value
    .group_segment_fixed_size: 968
    .kernarg_segment_align: 8
    .kernarg_segment_size: 60
    .language:       OpenCL C
    .language_version:
      - 2
      - 0
    .max_flat_workgroup_size: 64
    .name:           _ZN9rocsolver6v33100L18getri_kernel_smallILi30E19rocblas_complex_numIdEPKPS3_EEvT1_iilPiilS8_bb
    .private_segment_fixed_size: 512
    .sgpr_count:     44
    .sgpr_spill_count: 0
    .symbol:         _ZN9rocsolver6v33100L18getri_kernel_smallILi30E19rocblas_complex_numIdEPKPS3_EEvT1_iilPiilS8_bb.kd
    .uniform_work_group_size: 1
    .uses_dynamic_stack: false
    .vgpr_count:     133
    .vgpr_spill_count: 0
    .wavefront_size: 32
    .workgroup_processor_mode: 1
  - .args:
      - .address_space:  global
        .offset:         0
        .size:           8
        .value_kind:     global_buffer
      - .offset:         8
        .size:           4
        .value_kind:     by_value
      - .offset:         12
        .size:           4
        .value_kind:     by_value
      - .offset:         16
        .size:           8
        .value_kind:     by_value
      - .address_space:  global
        .offset:         24
        .size:           8
        .value_kind:     global_buffer
      - .offset:         32
        .size:           4
        .value_kind:     by_value
      - .offset:         40
        .size:           8
        .value_kind:     by_value
      - .address_space:  global
        .offset:         48
        .size:           8
        .value_kind:     global_buffer
      - .offset:         56
        .size:           1
        .value_kind:     by_value
      - .offset:         57
        .size:           1
        .value_kind:     by_value
    .group_segment_fixed_size: 1000
    .kernarg_segment_align: 8
    .kernarg_segment_size: 60
    .language:       OpenCL C
    .language_version:
      - 2
      - 0
    .max_flat_workgroup_size: 64
    .name:           _ZN9rocsolver6v33100L18getri_kernel_smallILi31E19rocblas_complex_numIdEPKPS3_EEvT1_iilPiilS8_bb
    .private_segment_fixed_size: 528
    .sgpr_count:     45
    .sgpr_spill_count: 0
    .symbol:         _ZN9rocsolver6v33100L18getri_kernel_smallILi31E19rocblas_complex_numIdEPKPS3_EEvT1_iilPiilS8_bb.kd
    .uniform_work_group_size: 1
    .uses_dynamic_stack: false
    .vgpr_count:     135
    .vgpr_spill_count: 0
    .wavefront_size: 32
    .workgroup_processor_mode: 1
  - .args:
      - .address_space:  global
        .offset:         0
        .size:           8
        .value_kind:     global_buffer
      - .offset:         8
        .size:           4
        .value_kind:     by_value
      - .offset:         12
        .size:           4
        .value_kind:     by_value
      - .offset:         16
        .size:           8
        .value_kind:     by_value
      - .address_space:  global
        .offset:         24
        .size:           8
        .value_kind:     global_buffer
      - .offset:         32
        .size:           4
        .value_kind:     by_value
      - .offset:         40
        .size:           8
        .value_kind:     by_value
      - .address_space:  global
        .offset:         48
        .size:           8
        .value_kind:     global_buffer
      - .offset:         56
        .size:           1
        .value_kind:     by_value
      - .offset:         57
        .size:           1
        .value_kind:     by_value
    .group_segment_fixed_size: 1032
    .kernarg_segment_align: 8
    .kernarg_segment_size: 60
    .language:       OpenCL C
    .language_version:
      - 2
      - 0
    .max_flat_workgroup_size: 64
    .name:           _ZN9rocsolver6v33100L18getri_kernel_smallILi32E19rocblas_complex_numIdEPKPS3_EEvT1_iilPiilS8_bb
    .private_segment_fixed_size: 544
    .sgpr_count:     46
    .sgpr_spill_count: 0
    .symbol:         _ZN9rocsolver6v33100L18getri_kernel_smallILi32E19rocblas_complex_numIdEPKPS3_EEvT1_iilPiilS8_bb.kd
    .uniform_work_group_size: 1
    .uses_dynamic_stack: false
    .vgpr_count:     137
    .vgpr_spill_count: 0
    .wavefront_size: 32
    .workgroup_processor_mode: 1
  - .args:
      - .address_space:  global
        .offset:         0
        .size:           8
        .value_kind:     global_buffer
      - .offset:         8
        .size:           4
        .value_kind:     by_value
      - .offset:         12
        .size:           4
        .value_kind:     by_value
      - .offset:         16
        .size:           8
        .value_kind:     by_value
      - .address_space:  global
        .offset:         24
        .size:           8
        .value_kind:     global_buffer
      - .offset:         32
        .size:           4
        .value_kind:     by_value
      - .offset:         40
        .size:           8
        .value_kind:     by_value
      - .address_space:  global
        .offset:         48
        .size:           8
        .value_kind:     global_buffer
      - .offset:         56
        .size:           1
        .value_kind:     by_value
      - .offset:         57
        .size:           1
        .value_kind:     by_value
    .group_segment_fixed_size: 1064
    .kernarg_segment_align: 8
    .kernarg_segment_size: 60
    .language:       OpenCL C
    .language_version:
      - 2
      - 0
    .max_flat_workgroup_size: 64
    .name:           _ZN9rocsolver6v33100L18getri_kernel_smallILi33E19rocblas_complex_numIdEPKPS3_EEvT1_iilPiilS8_bb
    .private_segment_fixed_size: 560
    .sgpr_count:     47
    .sgpr_spill_count: 0
    .symbol:         _ZN9rocsolver6v33100L18getri_kernel_smallILi33E19rocblas_complex_numIdEPKPS3_EEvT1_iilPiilS8_bb.kd
    .uniform_work_group_size: 1
    .uses_dynamic_stack: false
    .vgpr_count:     139
    .vgpr_spill_count: 0
    .wavefront_size: 32
    .workgroup_processor_mode: 1
  - .args:
      - .address_space:  global
        .offset:         0
        .size:           8
        .value_kind:     global_buffer
      - .offset:         8
        .size:           4
        .value_kind:     by_value
      - .offset:         12
        .size:           4
        .value_kind:     by_value
      - .offset:         16
        .size:           8
        .value_kind:     by_value
      - .address_space:  global
        .offset:         24
        .size:           8
        .value_kind:     global_buffer
      - .offset:         32
        .size:           4
        .value_kind:     by_value
      - .offset:         40
        .size:           8
        .value_kind:     by_value
      - .address_space:  global
        .offset:         48
        .size:           8
        .value_kind:     global_buffer
      - .offset:         56
        .size:           1
        .value_kind:     by_value
      - .offset:         57
        .size:           1
        .value_kind:     by_value
    .group_segment_fixed_size: 1096
    .kernarg_segment_align: 8
    .kernarg_segment_size: 60
    .language:       OpenCL C
    .language_version:
      - 2
      - 0
    .max_flat_workgroup_size: 64
    .name:           _ZN9rocsolver6v33100L18getri_kernel_smallILi34E19rocblas_complex_numIdEPKPS3_EEvT1_iilPiilS8_bb
    .private_segment_fixed_size: 576
    .sgpr_count:     48
    .sgpr_spill_count: 0
    .symbol:         _ZN9rocsolver6v33100L18getri_kernel_smallILi34E19rocblas_complex_numIdEPKPS3_EEvT1_iilPiilS8_bb.kd
    .uniform_work_group_size: 1
    .uses_dynamic_stack: false
    .vgpr_count:     142
    .vgpr_spill_count: 0
    .wavefront_size: 32
    .workgroup_processor_mode: 1
  - .args:
      - .address_space:  global
        .offset:         0
        .size:           8
        .value_kind:     global_buffer
      - .offset:         8
        .size:           4
        .value_kind:     by_value
      - .offset:         12
        .size:           4
        .value_kind:     by_value
      - .offset:         16
        .size:           8
        .value_kind:     by_value
      - .address_space:  global
        .offset:         24
        .size:           8
        .value_kind:     global_buffer
      - .offset:         32
        .size:           4
        .value_kind:     by_value
      - .offset:         40
        .size:           8
        .value_kind:     by_value
      - .address_space:  global
        .offset:         48
        .size:           8
        .value_kind:     global_buffer
      - .offset:         56
        .size:           1
        .value_kind:     by_value
      - .offset:         57
        .size:           1
        .value_kind:     by_value
    .group_segment_fixed_size: 1128
    .kernarg_segment_align: 8
    .kernarg_segment_size: 60
    .language:       OpenCL C
    .language_version:
      - 2
      - 0
    .max_flat_workgroup_size: 64
    .name:           _ZN9rocsolver6v33100L18getri_kernel_smallILi35E19rocblas_complex_numIdEPKPS3_EEvT1_iilPiilS8_bb
    .private_segment_fixed_size: 592
    .sgpr_count:     49
    .sgpr_spill_count: 0
    .symbol:         _ZN9rocsolver6v33100L18getri_kernel_smallILi35E19rocblas_complex_numIdEPKPS3_EEvT1_iilPiilS8_bb.kd
    .uniform_work_group_size: 1
    .uses_dynamic_stack: false
    .vgpr_count:     144
    .vgpr_spill_count: 0
    .wavefront_size: 32
    .workgroup_processor_mode: 1
  - .args:
      - .address_space:  global
        .offset:         0
        .size:           8
        .value_kind:     global_buffer
      - .offset:         8
        .size:           4
        .value_kind:     by_value
      - .offset:         12
        .size:           4
        .value_kind:     by_value
      - .offset:         16
        .size:           8
        .value_kind:     by_value
      - .address_space:  global
        .offset:         24
        .size:           8
        .value_kind:     global_buffer
      - .offset:         32
        .size:           4
        .value_kind:     by_value
      - .offset:         40
        .size:           8
        .value_kind:     by_value
      - .address_space:  global
        .offset:         48
        .size:           8
        .value_kind:     global_buffer
      - .offset:         56
        .size:           1
        .value_kind:     by_value
      - .offset:         57
        .size:           1
        .value_kind:     by_value
    .group_segment_fixed_size: 1160
    .kernarg_segment_align: 8
    .kernarg_segment_size: 60
    .language:       OpenCL C
    .language_version:
      - 2
      - 0
    .max_flat_workgroup_size: 64
    .name:           _ZN9rocsolver6v33100L18getri_kernel_smallILi36E19rocblas_complex_numIdEPKPS3_EEvT1_iilPiilS8_bb
    .private_segment_fixed_size: 608
    .sgpr_count:     50
    .sgpr_spill_count: 0
    .symbol:         _ZN9rocsolver6v33100L18getri_kernel_smallILi36E19rocblas_complex_numIdEPKPS3_EEvT1_iilPiilS8_bb.kd
    .uniform_work_group_size: 1
    .uses_dynamic_stack: false
    .vgpr_count:     146
    .vgpr_spill_count: 0
    .wavefront_size: 32
    .workgroup_processor_mode: 1
  - .args:
      - .address_space:  global
        .offset:         0
        .size:           8
        .value_kind:     global_buffer
      - .offset:         8
        .size:           4
        .value_kind:     by_value
      - .offset:         12
        .size:           4
        .value_kind:     by_value
      - .offset:         16
        .size:           8
        .value_kind:     by_value
      - .address_space:  global
        .offset:         24
        .size:           8
        .value_kind:     global_buffer
      - .offset:         32
        .size:           4
        .value_kind:     by_value
      - .offset:         40
        .size:           8
        .value_kind:     by_value
      - .address_space:  global
        .offset:         48
        .size:           8
        .value_kind:     global_buffer
      - .offset:         56
        .size:           1
        .value_kind:     by_value
      - .offset:         57
        .size:           1
        .value_kind:     by_value
    .group_segment_fixed_size: 1192
    .kernarg_segment_align: 8
    .kernarg_segment_size: 60
    .language:       OpenCL C
    .language_version:
      - 2
      - 0
    .max_flat_workgroup_size: 64
    .name:           _ZN9rocsolver6v33100L18getri_kernel_smallILi37E19rocblas_complex_numIdEPKPS3_EEvT1_iilPiilS8_bb
    .private_segment_fixed_size: 624
    .sgpr_count:     51
    .sgpr_spill_count: 0
    .symbol:         _ZN9rocsolver6v33100L18getri_kernel_smallILi37E19rocblas_complex_numIdEPKPS3_EEvT1_iilPiilS8_bb.kd
    .uniform_work_group_size: 1
    .uses_dynamic_stack: false
    .vgpr_count:     147
    .vgpr_spill_count: 0
    .wavefront_size: 32
    .workgroup_processor_mode: 1
  - .args:
      - .address_space:  global
        .offset:         0
        .size:           8
        .value_kind:     global_buffer
      - .offset:         8
        .size:           4
        .value_kind:     by_value
      - .offset:         12
        .size:           4
        .value_kind:     by_value
      - .offset:         16
        .size:           8
        .value_kind:     by_value
      - .address_space:  global
        .offset:         24
        .size:           8
        .value_kind:     global_buffer
      - .offset:         32
        .size:           4
        .value_kind:     by_value
      - .offset:         40
        .size:           8
        .value_kind:     by_value
      - .address_space:  global
        .offset:         48
        .size:           8
        .value_kind:     global_buffer
      - .offset:         56
        .size:           1
        .value_kind:     by_value
      - .offset:         57
        .size:           1
        .value_kind:     by_value
    .group_segment_fixed_size: 1224
    .kernarg_segment_align: 8
    .kernarg_segment_size: 60
    .language:       OpenCL C
    .language_version:
      - 2
      - 0
    .max_flat_workgroup_size: 64
    .name:           _ZN9rocsolver6v33100L18getri_kernel_smallILi38E19rocblas_complex_numIdEPKPS3_EEvT1_iilPiilS8_bb
    .private_segment_fixed_size: 640
    .sgpr_count:     52
    .sgpr_spill_count: 0
    .symbol:         _ZN9rocsolver6v33100L18getri_kernel_smallILi38E19rocblas_complex_numIdEPKPS3_EEvT1_iilPiilS8_bb.kd
    .uniform_work_group_size: 1
    .uses_dynamic_stack: false
    .vgpr_count:     149
    .vgpr_spill_count: 0
    .wavefront_size: 32
    .workgroup_processor_mode: 1
  - .args:
      - .address_space:  global
        .offset:         0
        .size:           8
        .value_kind:     global_buffer
      - .offset:         8
        .size:           4
        .value_kind:     by_value
      - .offset:         12
        .size:           4
        .value_kind:     by_value
      - .offset:         16
        .size:           8
        .value_kind:     by_value
      - .address_space:  global
        .offset:         24
        .size:           8
        .value_kind:     global_buffer
      - .offset:         32
        .size:           4
        .value_kind:     by_value
      - .offset:         40
        .size:           8
        .value_kind:     by_value
      - .address_space:  global
        .offset:         48
        .size:           8
        .value_kind:     global_buffer
      - .offset:         56
        .size:           1
        .value_kind:     by_value
      - .offset:         57
        .size:           1
        .value_kind:     by_value
    .group_segment_fixed_size: 1256
    .kernarg_segment_align: 8
    .kernarg_segment_size: 60
    .language:       OpenCL C
    .language_version:
      - 2
      - 0
    .max_flat_workgroup_size: 64
    .name:           _ZN9rocsolver6v33100L18getri_kernel_smallILi39E19rocblas_complex_numIdEPKPS3_EEvT1_iilPiilS8_bb
    .private_segment_fixed_size: 656
    .sgpr_count:     53
    .sgpr_spill_count: 0
    .symbol:         _ZN9rocsolver6v33100L18getri_kernel_smallILi39E19rocblas_complex_numIdEPKPS3_EEvT1_iilPiilS8_bb.kd
    .uniform_work_group_size: 1
    .uses_dynamic_stack: false
    .vgpr_count:     152
    .vgpr_spill_count: 0
    .wavefront_size: 32
    .workgroup_processor_mode: 1
  - .args:
      - .address_space:  global
        .offset:         0
        .size:           8
        .value_kind:     global_buffer
      - .offset:         8
        .size:           4
        .value_kind:     by_value
      - .offset:         12
        .size:           4
        .value_kind:     by_value
      - .offset:         16
        .size:           8
        .value_kind:     by_value
      - .address_space:  global
        .offset:         24
        .size:           8
        .value_kind:     global_buffer
      - .offset:         32
        .size:           4
        .value_kind:     by_value
      - .offset:         40
        .size:           8
        .value_kind:     by_value
      - .address_space:  global
        .offset:         48
        .size:           8
        .value_kind:     global_buffer
      - .offset:         56
        .size:           1
        .value_kind:     by_value
      - .offset:         57
        .size:           1
        .value_kind:     by_value
    .group_segment_fixed_size: 1288
    .kernarg_segment_align: 8
    .kernarg_segment_size: 60
    .language:       OpenCL C
    .language_version:
      - 2
      - 0
    .max_flat_workgroup_size: 64
    .name:           _ZN9rocsolver6v33100L18getri_kernel_smallILi40E19rocblas_complex_numIdEPKPS3_EEvT1_iilPiilS8_bb
    .private_segment_fixed_size: 672
    .sgpr_count:     54
    .sgpr_spill_count: 0
    .symbol:         _ZN9rocsolver6v33100L18getri_kernel_smallILi40E19rocblas_complex_numIdEPKPS3_EEvT1_iilPiilS8_bb.kd
    .uniform_work_group_size: 1
    .uses_dynamic_stack: false
    .vgpr_count:     153
    .vgpr_spill_count: 0
    .wavefront_size: 32
    .workgroup_processor_mode: 1
  - .args:
      - .address_space:  global
        .offset:         0
        .size:           8
        .value_kind:     global_buffer
      - .offset:         8
        .size:           4
        .value_kind:     by_value
      - .offset:         12
        .size:           4
        .value_kind:     by_value
      - .offset:         16
        .size:           8
        .value_kind:     by_value
      - .address_space:  global
        .offset:         24
        .size:           8
        .value_kind:     global_buffer
      - .offset:         32
        .size:           4
        .value_kind:     by_value
      - .offset:         40
        .size:           8
        .value_kind:     by_value
      - .address_space:  global
        .offset:         48
        .size:           8
        .value_kind:     global_buffer
      - .offset:         56
        .size:           1
        .value_kind:     by_value
      - .offset:         57
        .size:           1
        .value_kind:     by_value
    .group_segment_fixed_size: 1320
    .kernarg_segment_align: 8
    .kernarg_segment_size: 60
    .language:       OpenCL C
    .language_version:
      - 2
      - 0
    .max_flat_workgroup_size: 64
    .name:           _ZN9rocsolver6v33100L18getri_kernel_smallILi41E19rocblas_complex_numIdEPKPS3_EEvT1_iilPiilS8_bb
    .private_segment_fixed_size: 688
    .sgpr_count:     55
    .sgpr_spill_count: 0
    .symbol:         _ZN9rocsolver6v33100L18getri_kernel_smallILi41E19rocblas_complex_numIdEPKPS3_EEvT1_iilPiilS8_bb.kd
    .uniform_work_group_size: 1
    .uses_dynamic_stack: false
    .vgpr_count:     155
    .vgpr_spill_count: 0
    .wavefront_size: 32
    .workgroup_processor_mode: 1
  - .args:
      - .address_space:  global
        .offset:         0
        .size:           8
        .value_kind:     global_buffer
      - .offset:         8
        .size:           4
        .value_kind:     by_value
      - .offset:         12
        .size:           4
        .value_kind:     by_value
      - .offset:         16
        .size:           8
        .value_kind:     by_value
      - .address_space:  global
        .offset:         24
        .size:           8
        .value_kind:     global_buffer
      - .offset:         32
        .size:           4
        .value_kind:     by_value
      - .offset:         40
        .size:           8
        .value_kind:     by_value
      - .address_space:  global
        .offset:         48
        .size:           8
        .value_kind:     global_buffer
      - .offset:         56
        .size:           1
        .value_kind:     by_value
      - .offset:         57
        .size:           1
        .value_kind:     by_value
    .group_segment_fixed_size: 1352
    .kernarg_segment_align: 8
    .kernarg_segment_size: 60
    .language:       OpenCL C
    .language_version:
      - 2
      - 0
    .max_flat_workgroup_size: 64
    .name:           _ZN9rocsolver6v33100L18getri_kernel_smallILi42E19rocblas_complex_numIdEPKPS3_EEvT1_iilPiilS8_bb
    .private_segment_fixed_size: 704
    .sgpr_count:     56
    .sgpr_spill_count: 0
    .symbol:         _ZN9rocsolver6v33100L18getri_kernel_smallILi42E19rocblas_complex_numIdEPKPS3_EEvT1_iilPiilS8_bb.kd
    .uniform_work_group_size: 1
    .uses_dynamic_stack: false
    .vgpr_count:     157
    .vgpr_spill_count: 0
    .wavefront_size: 32
    .workgroup_processor_mode: 1
  - .args:
      - .address_space:  global
        .offset:         0
        .size:           8
        .value_kind:     global_buffer
      - .offset:         8
        .size:           4
        .value_kind:     by_value
      - .offset:         12
        .size:           4
        .value_kind:     by_value
      - .offset:         16
        .size:           8
        .value_kind:     by_value
      - .address_space:  global
        .offset:         24
        .size:           8
        .value_kind:     global_buffer
      - .offset:         32
        .size:           4
        .value_kind:     by_value
      - .offset:         40
        .size:           8
        .value_kind:     by_value
      - .address_space:  global
        .offset:         48
        .size:           8
        .value_kind:     global_buffer
      - .offset:         56
        .size:           1
        .value_kind:     by_value
      - .offset:         57
        .size:           1
        .value_kind:     by_value
    .group_segment_fixed_size: 1384
    .kernarg_segment_align: 8
    .kernarg_segment_size: 60
    .language:       OpenCL C
    .language_version:
      - 2
      - 0
    .max_flat_workgroup_size: 64
    .name:           _ZN9rocsolver6v33100L18getri_kernel_smallILi43E19rocblas_complex_numIdEPKPS3_EEvT1_iilPiilS8_bb
    .private_segment_fixed_size: 720
    .sgpr_count:     57
    .sgpr_spill_count: 0
    .symbol:         _ZN9rocsolver6v33100L18getri_kernel_smallILi43E19rocblas_complex_numIdEPKPS3_EEvT1_iilPiilS8_bb.kd
    .uniform_work_group_size: 1
    .uses_dynamic_stack: false
    .vgpr_count:     159
    .vgpr_spill_count: 0
    .wavefront_size: 32
    .workgroup_processor_mode: 1
  - .args:
      - .address_space:  global
        .offset:         0
        .size:           8
        .value_kind:     global_buffer
      - .offset:         8
        .size:           4
        .value_kind:     by_value
      - .offset:         12
        .size:           4
        .value_kind:     by_value
      - .offset:         16
        .size:           8
        .value_kind:     by_value
      - .address_space:  global
        .offset:         24
        .size:           8
        .value_kind:     global_buffer
      - .offset:         32
        .size:           4
        .value_kind:     by_value
      - .offset:         40
        .size:           8
        .value_kind:     by_value
      - .address_space:  global
        .offset:         48
        .size:           8
        .value_kind:     global_buffer
      - .offset:         56
        .size:           1
        .value_kind:     by_value
      - .offset:         57
        .size:           1
        .value_kind:     by_value
    .group_segment_fixed_size: 1416
    .kernarg_segment_align: 8
    .kernarg_segment_size: 60
    .language:       OpenCL C
    .language_version:
      - 2
      - 0
    .max_flat_workgroup_size: 64
    .name:           _ZN9rocsolver6v33100L18getri_kernel_smallILi44E19rocblas_complex_numIdEPKPS3_EEvT1_iilPiilS8_bb
    .private_segment_fixed_size: 736
    .sgpr_count:     74
    .sgpr_spill_count: 0
    .symbol:         _ZN9rocsolver6v33100L18getri_kernel_smallILi44E19rocblas_complex_numIdEPKPS3_EEvT1_iilPiilS8_bb.kd
    .uniform_work_group_size: 1
    .uses_dynamic_stack: false
    .vgpr_count:     161
    .vgpr_spill_count: 0
    .wavefront_size: 32
    .workgroup_processor_mode: 1
  - .args:
      - .address_space:  global
        .offset:         0
        .size:           8
        .value_kind:     global_buffer
      - .offset:         8
        .size:           4
        .value_kind:     by_value
      - .offset:         12
        .size:           4
        .value_kind:     by_value
      - .offset:         16
        .size:           8
        .value_kind:     by_value
      - .address_space:  global
        .offset:         24
        .size:           8
        .value_kind:     global_buffer
      - .offset:         32
        .size:           4
        .value_kind:     by_value
      - .offset:         40
        .size:           8
        .value_kind:     by_value
      - .address_space:  global
        .offset:         48
        .size:           8
        .value_kind:     global_buffer
      - .offset:         56
        .size:           1
        .value_kind:     by_value
      - .offset:         57
        .size:           1
        .value_kind:     by_value
    .group_segment_fixed_size: 1448
    .kernarg_segment_align: 8
    .kernarg_segment_size: 60
    .language:       OpenCL C
    .language_version:
      - 2
      - 0
    .max_flat_workgroup_size: 64
    .name:           _ZN9rocsolver6v33100L18getri_kernel_smallILi45E19rocblas_complex_numIdEPKPS3_EEvT1_iilPiilS8_bb
    .private_segment_fixed_size: 752
    .sgpr_count:     76
    .sgpr_spill_count: 0
    .symbol:         _ZN9rocsolver6v33100L18getri_kernel_smallILi45E19rocblas_complex_numIdEPKPS3_EEvT1_iilPiilS8_bb.kd
    .uniform_work_group_size: 1
    .uses_dynamic_stack: false
    .vgpr_count:     163
    .vgpr_spill_count: 0
    .wavefront_size: 32
    .workgroup_processor_mode: 1
  - .args:
      - .address_space:  global
        .offset:         0
        .size:           8
        .value_kind:     global_buffer
      - .offset:         8
        .size:           4
        .value_kind:     by_value
      - .offset:         12
        .size:           4
        .value_kind:     by_value
      - .offset:         16
        .size:           8
        .value_kind:     by_value
      - .address_space:  global
        .offset:         24
        .size:           8
        .value_kind:     global_buffer
      - .offset:         32
        .size:           4
        .value_kind:     by_value
      - .offset:         40
        .size:           8
        .value_kind:     by_value
      - .address_space:  global
        .offset:         48
        .size:           8
        .value_kind:     global_buffer
      - .offset:         56
        .size:           1
        .value_kind:     by_value
      - .offset:         57
        .size:           1
        .value_kind:     by_value
    .group_segment_fixed_size: 1480
    .kernarg_segment_align: 8
    .kernarg_segment_size: 60
    .language:       OpenCL C
    .language_version:
      - 2
      - 0
    .max_flat_workgroup_size: 64
    .name:           _ZN9rocsolver6v33100L18getri_kernel_smallILi46E19rocblas_complex_numIdEPKPS3_EEvT1_iilPiilS8_bb
    .private_segment_fixed_size: 768
    .sgpr_count:     77
    .sgpr_spill_count: 0
    .symbol:         _ZN9rocsolver6v33100L18getri_kernel_smallILi46E19rocblas_complex_numIdEPKPS3_EEvT1_iilPiilS8_bb.kd
    .uniform_work_group_size: 1
    .uses_dynamic_stack: false
    .vgpr_count:     165
    .vgpr_spill_count: 0
    .wavefront_size: 32
    .workgroup_processor_mode: 1
  - .args:
      - .address_space:  global
        .offset:         0
        .size:           8
        .value_kind:     global_buffer
      - .offset:         8
        .size:           4
        .value_kind:     by_value
      - .offset:         12
        .size:           4
        .value_kind:     by_value
      - .offset:         16
        .size:           8
        .value_kind:     by_value
      - .address_space:  global
        .offset:         24
        .size:           8
        .value_kind:     global_buffer
      - .offset:         32
        .size:           4
        .value_kind:     by_value
      - .offset:         40
        .size:           8
        .value_kind:     by_value
      - .address_space:  global
        .offset:         48
        .size:           8
        .value_kind:     global_buffer
      - .offset:         56
        .size:           1
        .value_kind:     by_value
      - .offset:         57
        .size:           1
        .value_kind:     by_value
    .group_segment_fixed_size: 1512
    .kernarg_segment_align: 8
    .kernarg_segment_size: 60
    .language:       OpenCL C
    .language_version:
      - 2
      - 0
    .max_flat_workgroup_size: 64
    .name:           _ZN9rocsolver6v33100L18getri_kernel_smallILi47E19rocblas_complex_numIdEPKPS3_EEvT1_iilPiilS8_bb
    .private_segment_fixed_size: 784
    .sgpr_count:     79
    .sgpr_spill_count: 0
    .symbol:         _ZN9rocsolver6v33100L18getri_kernel_smallILi47E19rocblas_complex_numIdEPKPS3_EEvT1_iilPiilS8_bb.kd
    .uniform_work_group_size: 1
    .uses_dynamic_stack: false
    .vgpr_count:     167
    .vgpr_spill_count: 0
    .wavefront_size: 32
    .workgroup_processor_mode: 1
  - .args:
      - .address_space:  global
        .offset:         0
        .size:           8
        .value_kind:     global_buffer
      - .offset:         8
        .size:           4
        .value_kind:     by_value
      - .offset:         12
        .size:           4
        .value_kind:     by_value
      - .offset:         16
        .size:           8
        .value_kind:     by_value
      - .address_space:  global
        .offset:         24
        .size:           8
        .value_kind:     global_buffer
      - .offset:         32
        .size:           4
        .value_kind:     by_value
      - .offset:         40
        .size:           8
        .value_kind:     by_value
      - .address_space:  global
        .offset:         48
        .size:           8
        .value_kind:     global_buffer
      - .offset:         56
        .size:           1
        .value_kind:     by_value
      - .offset:         57
        .size:           1
        .value_kind:     by_value
    .group_segment_fixed_size: 1544
    .kernarg_segment_align: 8
    .kernarg_segment_size: 60
    .language:       OpenCL C
    .language_version:
      - 2
      - 0
    .max_flat_workgroup_size: 64
    .name:           _ZN9rocsolver6v33100L18getri_kernel_smallILi48E19rocblas_complex_numIdEPKPS3_EEvT1_iilPiilS8_bb
    .private_segment_fixed_size: 800
    .sgpr_count:     80
    .sgpr_spill_count: 0
    .symbol:         _ZN9rocsolver6v33100L18getri_kernel_smallILi48E19rocblas_complex_numIdEPKPS3_EEvT1_iilPiilS8_bb.kd
    .uniform_work_group_size: 1
    .uses_dynamic_stack: false
    .vgpr_count:     166
    .vgpr_spill_count: 0
    .wavefront_size: 32
    .workgroup_processor_mode: 1
  - .args:
      - .address_space:  global
        .offset:         0
        .size:           8
        .value_kind:     global_buffer
      - .offset:         8
        .size:           4
        .value_kind:     by_value
      - .offset:         12
        .size:           4
        .value_kind:     by_value
      - .offset:         16
        .size:           8
        .value_kind:     by_value
      - .address_space:  global
        .offset:         24
        .size:           8
        .value_kind:     global_buffer
      - .offset:         32
        .size:           4
        .value_kind:     by_value
      - .offset:         40
        .size:           8
        .value_kind:     by_value
      - .address_space:  global
        .offset:         48
        .size:           8
        .value_kind:     global_buffer
      - .offset:         56
        .size:           1
        .value_kind:     by_value
      - .offset:         57
        .size:           1
        .value_kind:     by_value
    .group_segment_fixed_size: 1576
    .kernarg_segment_align: 8
    .kernarg_segment_size: 60
    .language:       OpenCL C
    .language_version:
      - 2
      - 0
    .max_flat_workgroup_size: 64
    .name:           _ZN9rocsolver6v33100L18getri_kernel_smallILi49E19rocblas_complex_numIdEPKPS3_EEvT1_iilPiilS8_bb
    .private_segment_fixed_size: 816
    .sgpr_count:     82
    .sgpr_spill_count: 0
    .symbol:         _ZN9rocsolver6v33100L18getri_kernel_smallILi49E19rocblas_complex_numIdEPKPS3_EEvT1_iilPiilS8_bb.kd
    .uniform_work_group_size: 1
    .uses_dynamic_stack: false
    .vgpr_count:     167
    .vgpr_spill_count: 0
    .wavefront_size: 32
    .workgroup_processor_mode: 1
  - .args:
      - .address_space:  global
        .offset:         0
        .size:           8
        .value_kind:     global_buffer
      - .offset:         8
        .size:           4
        .value_kind:     by_value
      - .offset:         12
        .size:           4
        .value_kind:     by_value
      - .offset:         16
        .size:           8
        .value_kind:     by_value
      - .address_space:  global
        .offset:         24
        .size:           8
        .value_kind:     global_buffer
      - .offset:         32
        .size:           4
        .value_kind:     by_value
      - .offset:         40
        .size:           8
        .value_kind:     by_value
      - .address_space:  global
        .offset:         48
        .size:           8
        .value_kind:     global_buffer
      - .offset:         56
        .size:           1
        .value_kind:     by_value
      - .offset:         57
        .size:           1
        .value_kind:     by_value
    .group_segment_fixed_size: 1608
    .kernarg_segment_align: 8
    .kernarg_segment_size: 60
    .language:       OpenCL C
    .language_version:
      - 2
      - 0
    .max_flat_workgroup_size: 64
    .name:           _ZN9rocsolver6v33100L18getri_kernel_smallILi50E19rocblas_complex_numIdEPKPS3_EEvT1_iilPiilS8_bb
    .private_segment_fixed_size: 832
    .sgpr_count:     83
    .sgpr_spill_count: 0
    .symbol:         _ZN9rocsolver6v33100L18getri_kernel_smallILi50E19rocblas_complex_numIdEPKPS3_EEvT1_iilPiilS8_bb.kd
    .uniform_work_group_size: 1
    .uses_dynamic_stack: false
    .vgpr_count:     165
    .vgpr_spill_count: 0
    .wavefront_size: 32
    .workgroup_processor_mode: 1
  - .args:
      - .address_space:  global
        .offset:         0
        .size:           8
        .value_kind:     global_buffer
      - .offset:         8
        .size:           4
        .value_kind:     by_value
      - .offset:         12
        .size:           4
        .value_kind:     by_value
      - .offset:         16
        .size:           8
        .value_kind:     by_value
      - .address_space:  global
        .offset:         24
        .size:           8
        .value_kind:     global_buffer
      - .offset:         32
        .size:           4
        .value_kind:     by_value
      - .offset:         40
        .size:           8
        .value_kind:     by_value
      - .address_space:  global
        .offset:         48
        .size:           8
        .value_kind:     global_buffer
      - .offset:         56
        .size:           1
        .value_kind:     by_value
      - .offset:         57
        .size:           1
        .value_kind:     by_value
    .group_segment_fixed_size: 1640
    .kernarg_segment_align: 8
    .kernarg_segment_size: 60
    .language:       OpenCL C
    .language_version:
      - 2
      - 0
    .max_flat_workgroup_size: 64
    .name:           _ZN9rocsolver6v33100L18getri_kernel_smallILi51E19rocblas_complex_numIdEPKPS3_EEvT1_iilPiilS8_bb
    .private_segment_fixed_size: 848
    .sgpr_count:     85
    .sgpr_spill_count: 0
    .symbol:         _ZN9rocsolver6v33100L18getri_kernel_smallILi51E19rocblas_complex_numIdEPKPS3_EEvT1_iilPiilS8_bb.kd
    .uniform_work_group_size: 1
    .uses_dynamic_stack: false
    .vgpr_count:     167
    .vgpr_spill_count: 0
    .wavefront_size: 32
    .workgroup_processor_mode: 1
  - .args:
      - .address_space:  global
        .offset:         0
        .size:           8
        .value_kind:     global_buffer
      - .offset:         8
        .size:           4
        .value_kind:     by_value
      - .offset:         12
        .size:           4
        .value_kind:     by_value
      - .offset:         16
        .size:           8
        .value_kind:     by_value
      - .address_space:  global
        .offset:         24
        .size:           8
        .value_kind:     global_buffer
      - .offset:         32
        .size:           4
        .value_kind:     by_value
      - .offset:         40
        .size:           8
        .value_kind:     by_value
      - .address_space:  global
        .offset:         48
        .size:           8
        .value_kind:     global_buffer
      - .offset:         56
        .size:           1
        .value_kind:     by_value
      - .offset:         57
        .size:           1
        .value_kind:     by_value
    .group_segment_fixed_size: 1672
    .kernarg_segment_align: 8
    .kernarg_segment_size: 60
    .language:       OpenCL C
    .language_version:
      - 2
      - 0
    .max_flat_workgroup_size: 64
    .name:           _ZN9rocsolver6v33100L18getri_kernel_smallILi52E19rocblas_complex_numIdEPKPS3_EEvT1_iilPiilS8_bb
    .private_segment_fixed_size: 864
    .sgpr_count:     86
    .sgpr_spill_count: 0
    .symbol:         _ZN9rocsolver6v33100L18getri_kernel_smallILi52E19rocblas_complex_numIdEPKPS3_EEvT1_iilPiilS8_bb.kd
    .uniform_work_group_size: 1
    .uses_dynamic_stack: false
    .vgpr_count:     177
    .vgpr_spill_count: 0
    .wavefront_size: 32
    .workgroup_processor_mode: 1
  - .args:
      - .address_space:  global
        .offset:         0
        .size:           8
        .value_kind:     global_buffer
      - .offset:         8
        .size:           4
        .value_kind:     by_value
      - .offset:         12
        .size:           4
        .value_kind:     by_value
      - .offset:         16
        .size:           8
        .value_kind:     by_value
      - .address_space:  global
        .offset:         24
        .size:           8
        .value_kind:     global_buffer
      - .offset:         32
        .size:           4
        .value_kind:     by_value
      - .offset:         40
        .size:           8
        .value_kind:     by_value
      - .address_space:  global
        .offset:         48
        .size:           8
        .value_kind:     global_buffer
      - .offset:         56
        .size:           1
        .value_kind:     by_value
      - .offset:         57
        .size:           1
        .value_kind:     by_value
    .group_segment_fixed_size: 1704
    .kernarg_segment_align: 8
    .kernarg_segment_size: 60
    .language:       OpenCL C
    .language_version:
      - 2
      - 0
    .max_flat_workgroup_size: 64
    .name:           _ZN9rocsolver6v33100L18getri_kernel_smallILi53E19rocblas_complex_numIdEPKPS3_EEvT1_iilPiilS8_bb
    .private_segment_fixed_size: 880
    .sgpr_count:     88
    .sgpr_spill_count: 0
    .symbol:         _ZN9rocsolver6v33100L18getri_kernel_smallILi53E19rocblas_complex_numIdEPKPS3_EEvT1_iilPiilS8_bb.kd
    .uniform_work_group_size: 1
    .uses_dynamic_stack: false
    .vgpr_count:     179
    .vgpr_spill_count: 0
    .wavefront_size: 32
    .workgroup_processor_mode: 1
  - .args:
      - .address_space:  global
        .offset:         0
        .size:           8
        .value_kind:     global_buffer
      - .offset:         8
        .size:           4
        .value_kind:     by_value
      - .offset:         12
        .size:           4
        .value_kind:     by_value
      - .offset:         16
        .size:           8
        .value_kind:     by_value
      - .address_space:  global
        .offset:         24
        .size:           8
        .value_kind:     global_buffer
      - .offset:         32
        .size:           4
        .value_kind:     by_value
      - .offset:         40
        .size:           8
        .value_kind:     by_value
      - .address_space:  global
        .offset:         48
        .size:           8
        .value_kind:     global_buffer
      - .offset:         56
        .size:           1
        .value_kind:     by_value
      - .offset:         57
        .size:           1
        .value_kind:     by_value
    .group_segment_fixed_size: 1736
    .kernarg_segment_align: 8
    .kernarg_segment_size: 60
    .language:       OpenCL C
    .language_version:
      - 2
      - 0
    .max_flat_workgroup_size: 64
    .name:           _ZN9rocsolver6v33100L18getri_kernel_smallILi54E19rocblas_complex_numIdEPKPS3_EEvT1_iilPiilS8_bb
    .private_segment_fixed_size: 896
    .sgpr_count:     89
    .sgpr_spill_count: 0
    .symbol:         _ZN9rocsolver6v33100L18getri_kernel_smallILi54E19rocblas_complex_numIdEPKPS3_EEvT1_iilPiilS8_bb.kd
    .uniform_work_group_size: 1
    .uses_dynamic_stack: false
    .vgpr_count:     181
    .vgpr_spill_count: 0
    .wavefront_size: 32
    .workgroup_processor_mode: 1
  - .args:
      - .address_space:  global
        .offset:         0
        .size:           8
        .value_kind:     global_buffer
      - .offset:         8
        .size:           4
        .value_kind:     by_value
      - .offset:         12
        .size:           4
        .value_kind:     by_value
      - .offset:         16
        .size:           8
        .value_kind:     by_value
      - .address_space:  global
        .offset:         24
        .size:           8
        .value_kind:     global_buffer
      - .offset:         32
        .size:           4
        .value_kind:     by_value
      - .offset:         40
        .size:           8
        .value_kind:     by_value
      - .address_space:  global
        .offset:         48
        .size:           8
        .value_kind:     global_buffer
      - .offset:         56
        .size:           1
        .value_kind:     by_value
      - .offset:         57
        .size:           1
        .value_kind:     by_value
    .group_segment_fixed_size: 1768
    .kernarg_segment_align: 8
    .kernarg_segment_size: 60
    .language:       OpenCL C
    .language_version:
      - 2
      - 0
    .max_flat_workgroup_size: 64
    .name:           _ZN9rocsolver6v33100L18getri_kernel_smallILi55E19rocblas_complex_numIdEPKPS3_EEvT1_iilPiilS8_bb
    .private_segment_fixed_size: 912
    .sgpr_count:     91
    .sgpr_spill_count: 0
    .symbol:         _ZN9rocsolver6v33100L18getri_kernel_smallILi55E19rocblas_complex_numIdEPKPS3_EEvT1_iilPiilS8_bb.kd
    .uniform_work_group_size: 1
    .uses_dynamic_stack: false
    .vgpr_count:     183
    .vgpr_spill_count: 0
    .wavefront_size: 32
    .workgroup_processor_mode: 1
  - .args:
      - .address_space:  global
        .offset:         0
        .size:           8
        .value_kind:     global_buffer
      - .offset:         8
        .size:           4
        .value_kind:     by_value
      - .offset:         12
        .size:           4
        .value_kind:     by_value
      - .offset:         16
        .size:           8
        .value_kind:     by_value
      - .address_space:  global
        .offset:         24
        .size:           8
        .value_kind:     global_buffer
      - .offset:         32
        .size:           4
        .value_kind:     by_value
      - .offset:         40
        .size:           8
        .value_kind:     by_value
      - .address_space:  global
        .offset:         48
        .size:           8
        .value_kind:     global_buffer
      - .offset:         56
        .size:           1
        .value_kind:     by_value
      - .offset:         57
        .size:           1
        .value_kind:     by_value
    .group_segment_fixed_size: 1800
    .kernarg_segment_align: 8
    .kernarg_segment_size: 60
    .language:       OpenCL C
    .language_version:
      - 2
      - 0
    .max_flat_workgroup_size: 64
    .name:           _ZN9rocsolver6v33100L18getri_kernel_smallILi56E19rocblas_complex_numIdEPKPS3_EEvT1_iilPiilS8_bb
    .private_segment_fixed_size: 928
    .sgpr_count:     92
    .sgpr_spill_count: 0
    .symbol:         _ZN9rocsolver6v33100L18getri_kernel_smallILi56E19rocblas_complex_numIdEPKPS3_EEvT1_iilPiilS8_bb.kd
    .uniform_work_group_size: 1
    .uses_dynamic_stack: false
    .vgpr_count:     185
    .vgpr_spill_count: 0
    .wavefront_size: 32
    .workgroup_processor_mode: 1
  - .args:
      - .address_space:  global
        .offset:         0
        .size:           8
        .value_kind:     global_buffer
      - .offset:         8
        .size:           4
        .value_kind:     by_value
      - .offset:         12
        .size:           4
        .value_kind:     by_value
      - .offset:         16
        .size:           8
        .value_kind:     by_value
      - .address_space:  global
        .offset:         24
        .size:           8
        .value_kind:     global_buffer
      - .offset:         32
        .size:           4
        .value_kind:     by_value
      - .offset:         40
        .size:           8
        .value_kind:     by_value
      - .address_space:  global
        .offset:         48
        .size:           8
        .value_kind:     global_buffer
      - .offset:         56
        .size:           1
        .value_kind:     by_value
      - .offset:         57
        .size:           1
        .value_kind:     by_value
    .group_segment_fixed_size: 1832
    .kernarg_segment_align: 8
    .kernarg_segment_size: 60
    .language:       OpenCL C
    .language_version:
      - 2
      - 0
    .max_flat_workgroup_size: 64
    .name:           _ZN9rocsolver6v33100L18getri_kernel_smallILi57E19rocblas_complex_numIdEPKPS3_EEvT1_iilPiilS8_bb
    .private_segment_fixed_size: 944
    .sgpr_count:     94
    .sgpr_spill_count: 0
    .symbol:         _ZN9rocsolver6v33100L18getri_kernel_smallILi57E19rocblas_complex_numIdEPKPS3_EEvT1_iilPiilS8_bb.kd
    .uniform_work_group_size: 1
    .uses_dynamic_stack: false
    .vgpr_count:     187
    .vgpr_spill_count: 0
    .wavefront_size: 32
    .workgroup_processor_mode: 1
  - .args:
      - .address_space:  global
        .offset:         0
        .size:           8
        .value_kind:     global_buffer
      - .offset:         8
        .size:           4
        .value_kind:     by_value
      - .offset:         12
        .size:           4
        .value_kind:     by_value
      - .offset:         16
        .size:           8
        .value_kind:     by_value
      - .address_space:  global
        .offset:         24
        .size:           8
        .value_kind:     global_buffer
      - .offset:         32
        .size:           4
        .value_kind:     by_value
      - .offset:         40
        .size:           8
        .value_kind:     by_value
      - .address_space:  global
        .offset:         48
        .size:           8
        .value_kind:     global_buffer
      - .offset:         56
        .size:           1
        .value_kind:     by_value
      - .offset:         57
        .size:           1
        .value_kind:     by_value
    .group_segment_fixed_size: 1864
    .kernarg_segment_align: 8
    .kernarg_segment_size: 60
    .language:       OpenCL C
    .language_version:
      - 2
      - 0
    .max_flat_workgroup_size: 64
    .name:           _ZN9rocsolver6v33100L18getri_kernel_smallILi58E19rocblas_complex_numIdEPKPS3_EEvT1_iilPiilS8_bb
    .private_segment_fixed_size: 960
    .sgpr_count:     95
    .sgpr_spill_count: 0
    .symbol:         _ZN9rocsolver6v33100L18getri_kernel_smallILi58E19rocblas_complex_numIdEPKPS3_EEvT1_iilPiilS8_bb.kd
    .uniform_work_group_size: 1
    .uses_dynamic_stack: false
    .vgpr_count:     189
    .vgpr_spill_count: 0
    .wavefront_size: 32
    .workgroup_processor_mode: 1
  - .args:
      - .address_space:  global
        .offset:         0
        .size:           8
        .value_kind:     global_buffer
      - .offset:         8
        .size:           4
        .value_kind:     by_value
      - .offset:         12
        .size:           4
        .value_kind:     by_value
      - .offset:         16
        .size:           8
        .value_kind:     by_value
      - .address_space:  global
        .offset:         24
        .size:           8
        .value_kind:     global_buffer
      - .offset:         32
        .size:           4
        .value_kind:     by_value
      - .offset:         40
        .size:           8
        .value_kind:     by_value
      - .address_space:  global
        .offset:         48
        .size:           8
        .value_kind:     global_buffer
      - .offset:         56
        .size:           1
        .value_kind:     by_value
      - .offset:         57
        .size:           1
        .value_kind:     by_value
    .group_segment_fixed_size: 1896
    .kernarg_segment_align: 8
    .kernarg_segment_size: 60
    .language:       OpenCL C
    .language_version:
      - 2
      - 0
    .max_flat_workgroup_size: 64
    .name:           _ZN9rocsolver6v33100L18getri_kernel_smallILi59E19rocblas_complex_numIdEPKPS3_EEvT1_iilPiilS8_bb
    .private_segment_fixed_size: 976
    .sgpr_count:     97
    .sgpr_spill_count: 0
    .symbol:         _ZN9rocsolver6v33100L18getri_kernel_smallILi59E19rocblas_complex_numIdEPKPS3_EEvT1_iilPiilS8_bb.kd
    .uniform_work_group_size: 1
    .uses_dynamic_stack: false
    .vgpr_count:     191
    .vgpr_spill_count: 0
    .wavefront_size: 32
    .workgroup_processor_mode: 1
  - .args:
      - .address_space:  global
        .offset:         0
        .size:           8
        .value_kind:     global_buffer
      - .offset:         8
        .size:           4
        .value_kind:     by_value
      - .offset:         12
        .size:           4
        .value_kind:     by_value
      - .offset:         16
        .size:           8
        .value_kind:     by_value
      - .address_space:  global
        .offset:         24
        .size:           8
        .value_kind:     global_buffer
      - .offset:         32
        .size:           4
        .value_kind:     by_value
      - .offset:         40
        .size:           8
        .value_kind:     by_value
      - .address_space:  global
        .offset:         48
        .size:           8
        .value_kind:     global_buffer
      - .offset:         56
        .size:           1
        .value_kind:     by_value
      - .offset:         57
        .size:           1
        .value_kind:     by_value
    .group_segment_fixed_size: 1928
    .kernarg_segment_align: 8
    .kernarg_segment_size: 60
    .language:       OpenCL C
    .language_version:
      - 2
      - 0
    .max_flat_workgroup_size: 64
    .name:           _ZN9rocsolver6v33100L18getri_kernel_smallILi60E19rocblas_complex_numIdEPKPS3_EEvT1_iilPiilS8_bb
    .private_segment_fixed_size: 992
    .sgpr_count:     98
    .sgpr_spill_count: 0
    .symbol:         _ZN9rocsolver6v33100L18getri_kernel_smallILi60E19rocblas_complex_numIdEPKPS3_EEvT1_iilPiilS8_bb.kd
    .uniform_work_group_size: 1
    .uses_dynamic_stack: false
    .vgpr_count:     190
    .vgpr_spill_count: 0
    .wavefront_size: 32
    .workgroup_processor_mode: 1
  - .args:
      - .address_space:  global
        .offset:         0
        .size:           8
        .value_kind:     global_buffer
      - .offset:         8
        .size:           4
        .value_kind:     by_value
      - .offset:         12
        .size:           4
        .value_kind:     by_value
      - .offset:         16
        .size:           8
        .value_kind:     by_value
      - .address_space:  global
        .offset:         24
        .size:           8
        .value_kind:     global_buffer
      - .offset:         32
        .size:           4
        .value_kind:     by_value
      - .offset:         40
        .size:           8
        .value_kind:     by_value
      - .address_space:  global
        .offset:         48
        .size:           8
        .value_kind:     global_buffer
      - .offset:         56
        .size:           1
        .value_kind:     by_value
      - .offset:         57
        .size:           1
        .value_kind:     by_value
    .group_segment_fixed_size: 1960
    .kernarg_segment_align: 8
    .kernarg_segment_size: 60
    .language:       OpenCL C
    .language_version:
      - 2
      - 0
    .max_flat_workgroup_size: 64
    .name:           _ZN9rocsolver6v33100L18getri_kernel_smallILi61E19rocblas_complex_numIdEPKPS3_EEvT1_iilPiilS8_bb
    .private_segment_fixed_size: 1008
    .sgpr_count:     101
    .sgpr_spill_count: 0
    .symbol:         _ZN9rocsolver6v33100L18getri_kernel_smallILi61E19rocblas_complex_numIdEPKPS3_EEvT1_iilPiilS8_bb.kd
    .uniform_work_group_size: 1
    .uses_dynamic_stack: false
    .vgpr_count:     191
    .vgpr_spill_count: 0
    .wavefront_size: 32
    .workgroup_processor_mode: 1
  - .args:
      - .address_space:  global
        .offset:         0
        .size:           8
        .value_kind:     global_buffer
      - .offset:         8
        .size:           4
        .value_kind:     by_value
      - .offset:         12
        .size:           4
        .value_kind:     by_value
      - .offset:         16
        .size:           8
        .value_kind:     by_value
      - .address_space:  global
        .offset:         24
        .size:           8
        .value_kind:     global_buffer
      - .offset:         32
        .size:           4
        .value_kind:     by_value
      - .offset:         40
        .size:           8
        .value_kind:     by_value
      - .address_space:  global
        .offset:         48
        .size:           8
        .value_kind:     global_buffer
      - .offset:         56
        .size:           1
        .value_kind:     by_value
      - .offset:         57
        .size:           1
        .value_kind:     by_value
    .group_segment_fixed_size: 1992
    .kernarg_segment_align: 8
    .kernarg_segment_size: 60
    .language:       OpenCL C
    .language_version:
      - 2
      - 0
    .max_flat_workgroup_size: 64
    .name:           _ZN9rocsolver6v33100L18getri_kernel_smallILi62E19rocblas_complex_numIdEPKPS3_EEvT1_iilPiilS8_bb
    .private_segment_fixed_size: 1024
    .sgpr_count:     102
    .sgpr_spill_count: 0
    .symbol:         _ZN9rocsolver6v33100L18getri_kernel_smallILi62E19rocblas_complex_numIdEPKPS3_EEvT1_iilPiilS8_bb.kd
    .uniform_work_group_size: 1
    .uses_dynamic_stack: false
    .vgpr_count:     189
    .vgpr_spill_count: 0
    .wavefront_size: 32
    .workgroup_processor_mode: 1
  - .args:
      - .address_space:  global
        .offset:         0
        .size:           8
        .value_kind:     global_buffer
      - .offset:         8
        .size:           4
        .value_kind:     by_value
      - .offset:         12
        .size:           4
        .value_kind:     by_value
      - .offset:         16
        .size:           8
        .value_kind:     by_value
      - .address_space:  global
        .offset:         24
        .size:           8
        .value_kind:     global_buffer
      - .offset:         32
        .size:           4
        .value_kind:     by_value
      - .offset:         40
        .size:           8
        .value_kind:     by_value
      - .address_space:  global
        .offset:         48
        .size:           8
        .value_kind:     global_buffer
      - .offset:         56
        .size:           1
        .value_kind:     by_value
      - .offset:         57
        .size:           1
        .value_kind:     by_value
    .group_segment_fixed_size: 2024
    .kernarg_segment_align: 8
    .kernarg_segment_size: 60
    .language:       OpenCL C
    .language_version:
      - 2
      - 0
    .max_flat_workgroup_size: 64
    .name:           _ZN9rocsolver6v33100L18getri_kernel_smallILi63E19rocblas_complex_numIdEPKPS3_EEvT1_iilPiilS8_bb
    .private_segment_fixed_size: 1040
    .sgpr_count:     104
    .sgpr_spill_count: 0
    .symbol:         _ZN9rocsolver6v33100L18getri_kernel_smallILi63E19rocblas_complex_numIdEPKPS3_EEvT1_iilPiilS8_bb.kd
    .uniform_work_group_size: 1
    .uses_dynamic_stack: false
    .vgpr_count:     191
    .vgpr_spill_count: 0
    .wavefront_size: 32
    .workgroup_processor_mode: 1
  - .args:
      - .address_space:  global
        .offset:         0
        .size:           8
        .value_kind:     global_buffer
      - .offset:         8
        .size:           4
        .value_kind:     by_value
      - .offset:         12
        .size:           4
        .value_kind:     by_value
      - .offset:         16
        .size:           8
        .value_kind:     by_value
      - .address_space:  global
        .offset:         24
        .size:           8
        .value_kind:     global_buffer
      - .offset:         32
        .size:           4
        .value_kind:     by_value
      - .offset:         40
        .size:           8
        .value_kind:     by_value
      - .address_space:  global
        .offset:         48
        .size:           8
        .value_kind:     global_buffer
      - .offset:         56
        .size:           1
        .value_kind:     by_value
      - .offset:         57
        .size:           1
        .value_kind:     by_value
    .group_segment_fixed_size: 2056
    .kernarg_segment_align: 8
    .kernarg_segment_size: 60
    .language:       OpenCL C
    .language_version:
      - 2
      - 0
    .max_flat_workgroup_size: 64
    .name:           _ZN9rocsolver6v33100L18getri_kernel_smallILi64E19rocblas_complex_numIdEPKPS3_EEvT1_iilPiilS8_bb
    .private_segment_fixed_size: 1056
    .sgpr_count:     107
    .sgpr_spill_count: 0
    .symbol:         _ZN9rocsolver6v33100L18getri_kernel_smallILi64E19rocblas_complex_numIdEPKPS3_EEvT1_iilPiilS8_bb.kd
    .uniform_work_group_size: 1
    .uses_dynamic_stack: false
    .vgpr_count:     201
    .vgpr_spill_count: 0
    .wavefront_size: 32
    .workgroup_processor_mode: 1
amdhsa.target:   amdgcn-amd-amdhsa--gfx1201
amdhsa.version:
  - 1
  - 2
...

	.end_amdgpu_metadata
